;; amdgpu-corpus repo=ROCm/rocBLAS kind=compiled arch=gfx1100 opt=O3
	.text
	.amdgcn_target "amdgcn-amd-amdhsa--gfx1100"
	.amdhsa_code_object_version 6
	.section	.text._ZL26rocblas_syr2k_her2k_kernelIiLb0ELb0ELb0ELi32EfPKfPfEvbiT_T4_T5_S3_lS5_S3_lT6_S3_li,"axG",@progbits,_ZL26rocblas_syr2k_her2k_kernelIiLb0ELb0ELb0ELi32EfPKfPfEvbiT_T4_T5_S3_lS5_S3_lT6_S3_li,comdat
	.globl	_ZL26rocblas_syr2k_her2k_kernelIiLb0ELb0ELb0ELi32EfPKfPfEvbiT_T4_T5_S3_lS5_S3_lT6_S3_li ; -- Begin function _ZL26rocblas_syr2k_her2k_kernelIiLb0ELb0ELb0ELi32EfPKfPfEvbiT_T4_T5_S3_lS5_S3_lT6_S3_li
	.p2align	8
	.type	_ZL26rocblas_syr2k_her2k_kernelIiLb0ELb0ELb0ELi32EfPKfPfEvbiT_T4_T5_S3_lS5_S3_lT6_S3_li,@function
_ZL26rocblas_syr2k_her2k_kernelIiLb0ELb0ELb0ELi32EfPKfPfEvbiT_T4_T5_S3_lS5_S3_lT6_S3_li: ; @_ZL26rocblas_syr2k_her2k_kernelIiLb0ELb0ELb0ELi32EfPKfPfEvbiT_T4_T5_S3_lS5_S3_lT6_S3_li
; %bb.0:
	s_load_b128 s[4:7], s[0:1], 0x0
	s_waitcnt lgkmcnt(0)
	v_cmp_eq_f32_e64 s2, s7, 0
	s_delay_alu instid0(VALU_DEP_1)
	s_and_b32 vcc_lo, exec_lo, s2
	s_cbranch_vccnz .LBB0_11
; %bb.1:
	s_and_b32 s4, 1, s4
	s_lshl_b32 s2, s14, 5
	s_lshl_b32 s3, s13, 5
	s_cmp_eq_u32 s4, 1
	s_cselect_b32 vcc_lo, -1, 0
	s_delay_alu instid0(SALU_CYCLE_1) | instskip(SKIP_2) | instid1(SALU_CYCLE_1)
	s_and_b32 s4, vcc_lo, exec_lo
	s_cselect_b32 s4, s3, s2
	s_cselect_b32 s8, s2, s3
	s_cmp_gt_i32 s4, s8
	s_cbranch_scc1 .LBB0_11
; %bb.2:
	s_cmp_lt_i32 s6, 1
	s_cbranch_scc1 .LBB0_11
; %bb.3:
	s_clause 0x1
	s_load_b128 s[16:19], s[0:1], 0x20
	s_load_b128 s[8:11], s[0:1], 0x38
	v_bfe_u32 v2, v0, 10, 10
	v_and_b32_e32 v3, 0x3ff, v0
	s_clause 0x1
	s_load_b64 s[12:13], s[0:1], 0x50
	s_load_b64 s[20:21], s[0:1], 0x10
	v_add_nc_u32_e32 v0, s2, v2
	v_add_nc_u32_e32 v4, s3, v3
	s_clause 0x2
	s_load_b32 s3, s[0:1], 0x18
	s_load_b32 s4, s[0:1], 0x30
	;; [unrolled: 1-line block ×3, first 2 shown]
	v_lshlrev_b32_e32 v8, 2, v2
	v_ashrrev_i32_e32 v1, 31, v0
	v_cndmask_b32_e32 v17, v0, v4, vcc_lo
	v_ashrrev_i32_e32 v5, 31, v4
	v_cndmask_b32_e32 v16, v4, v0, vcc_lo
	v_cmp_gt_i32_e32 vcc_lo, s5, v4
	v_lshlrev_b64 v[14:15], 2, v[0:1]
	s_delay_alu instid0(VALU_DEP_4)
	v_lshlrev_b64 v[12:13], 2, v[4:5]
	s_waitcnt lgkmcnt(0)
	s_mul_i32 s1, s15, s17
	s_mul_hi_u32 s14, s15, s16
	s_mul_i32 s0, s15, s16
	s_add_i32 s1, s14, s1
	s_mul_i32 s9, s15, s9
	s_lshl_b64 s[0:1], s[0:1], 2
	s_mul_hi_u32 s16, s15, s8
	s_add_u32 s14, s20, s0
	s_mul_i32 s8, s15, s8
	s_addc_u32 s17, s21, s1
	s_add_i32 s9, s16, s9
	s_mul_i32 s13, s15, s13
	s_lshl_b64 s[0:1], s[8:9], 2
	s_mul_hi_u32 s16, s15, s12
	s_mul_i32 s8, s15, s12
	s_add_u32 s12, s18, s0
	v_mad_i64_i32 v[9:10], null, s2, v0, 0
	s_addc_u32 s15, s19, s1
	s_add_i32 s9, s16, s13
	v_lshlrev_b32_e32 v4, 7, v3
	s_lshl_b64 s[0:1], s[8:9], 2
	s_delay_alu instid0(SALU_CYCLE_1) | instskip(SKIP_1) | instid1(VALU_DEP_1)
	s_add_u32 s8, s10, s0
	v_add_co_u32 v5, s0, s14, v12
	v_add_co_ci_u32_e64 v6, s0, s17, v13, s0
	v_cmp_gt_i32_e64 s0, s5, v0
	v_lshlrev_b64 v[0:1], 2, v[9:10]
	s_addc_u32 s9, s11, s1
	v_add_nc_u32_e32 v7, v4, v8
	v_or_b32_e32 v8, 0x1000, v8
	v_add_co_u32 v9, s1, s12, v14
	s_delay_alu instid0(VALU_DEP_4) | instskip(NEXT) | instid1(VALU_DEP_1)
	v_add_co_u32 v0, s2, s8, v0
	v_add_co_ci_u32_e64 v1, s2, s9, v1, s2
	v_add_co_ci_u32_e64 v10, s1, s15, v15, s1
	v_cmp_le_i32_e64 s1, v17, v16
	s_delay_alu instid0(VALU_DEP_4)
	v_add_co_u32 v0, s2, v0, v12
	v_add_nc_u32_e32 v11, v8, v4
	v_add_co_ci_u32_e64 v1, s2, v1, v13, s2
	v_add_nc_u32_e32 v12, 0x400, v8
	v_add_nc_u32_e32 v13, 0x800, v8
	;; [unrolled: 1-line block ×3, first 2 shown]
	s_and_b32 s5, s0, vcc_lo
	s_delay_alu instid0(SALU_CYCLE_1)
	s_and_b32 s2, s5, s1
	s_mov_b32 s5, 0
	s_branch .LBB0_5
.LBB0_4:                                ;   in Loop: Header=BB0_5 Depth=1
	s_or_b32 exec_lo, exec_lo, s1
	s_add_i32 s5, s5, 32
	s_waitcnt_vscnt null, 0x0
	s_cmp_lt_i32 s5, s6
	s_barrier
	buffer_gl0_inv
	s_cbranch_scc0 .LBB0_11
.LBB0_5:                                ; =>This Inner Loop Header: Depth=1
	v_dual_mov_b32 v15, 0 :: v_dual_add_nc_u32 v16, s5, v2
	s_delay_alu instid0(VALU_DEP_1) | instskip(NEXT) | instid1(VALU_DEP_1)
	v_cmp_gt_i32_e64 s1, s6, v16
	s_and_b32 s1, vcc_lo, s1
	s_delay_alu instid0(SALU_CYCLE_1)
	s_and_saveexec_b32 s8, s1
	s_cbranch_execz .LBB0_7
; %bb.6:                                ;   in Loop: Header=BB0_5 Depth=1
	v_mad_i64_i32 v[17:18], null, v16, s3, 0
	s_delay_alu instid0(VALU_DEP_1) | instskip(NEXT) | instid1(VALU_DEP_1)
	v_lshlrev_b64 v[15:16], 2, v[17:18]
	v_add_co_u32 v15, s1, v5, v15
	s_delay_alu instid0(VALU_DEP_1)
	v_add_co_ci_u32_e64 v16, s1, v6, v16, s1
	global_load_b32 v15, v[15:16], off
.LBB0_7:                                ;   in Loop: Header=BB0_5 Depth=1
	s_or_b32 exec_lo, exec_lo, s8
	v_dual_mov_b32 v16, 0 :: v_dual_add_nc_u32 v17, s5, v3
	s_waitcnt vmcnt(0)
	ds_store_b32 v7, v15
	v_cmp_gt_i32_e64 s1, s6, v17
	s_delay_alu instid0(VALU_DEP_1) | instskip(NEXT) | instid1(SALU_CYCLE_1)
	s_and_b32 s1, s0, s1
	s_and_saveexec_b32 s8, s1
	s_cbranch_execz .LBB0_9
; %bb.8:                                ;   in Loop: Header=BB0_5 Depth=1
	v_mad_i64_i32 v[15:16], null, v17, s4, 0
	s_delay_alu instid0(VALU_DEP_1) | instskip(NEXT) | instid1(VALU_DEP_1)
	v_lshlrev_b64 v[15:16], 2, v[15:16]
	v_add_co_u32 v15, s1, v9, v15
	s_delay_alu instid0(VALU_DEP_1)
	v_add_co_ci_u32_e64 v16, s1, v10, v16, s1
	global_load_b32 v16, v[15:16], off
.LBB0_9:                                ;   in Loop: Header=BB0_5 Depth=1
	s_or_b32 exec_lo, exec_lo, s8
	s_waitcnt vmcnt(0)
	ds_store_b32 v11, v16
	s_waitcnt lgkmcnt(0)
	s_barrier
	buffer_gl0_inv
	s_and_saveexec_b32 s1, s2
	s_cbranch_execz .LBB0_4
; %bb.10:                               ;   in Loop: Header=BB0_5 Depth=1
	global_load_b32 v29, v[0:1], off
	ds_load_2addr_b32 v[23:24], v8 offset1:32
	ds_load_b128 v[15:18], v4
	ds_load_2addr_b32 v[25:26], v8 offset0:64 offset1:96
	ds_load_b128 v[19:22], v4 offset:16
	ds_load_2addr_b32 v[27:28], v8 offset0:128 offset1:160
	s_waitcnt lgkmcnt(3)
	v_fma_f32 v30, v15, v23, 0
	s_delay_alu instid0(VALU_DEP_1) | instskip(SKIP_3) | instid1(VALU_DEP_1)
	v_fmac_f32_e32 v30, v16, v24
	ds_load_2addr_b32 v[23:24], v8 offset0:192 offset1:224
	s_waitcnt lgkmcnt(3)
	v_fmac_f32_e32 v30, v17, v25
	v_fmac_f32_e32 v30, v18, v26
	ds_load_2addr_b32 v[25:26], v12 offset1:32
	ds_load_b128 v[15:18], v4 offset:32
	s_waitcnt lgkmcnt(3)
	v_fmac_f32_e32 v30, v19, v27
	s_delay_alu instid0(VALU_DEP_1) | instskip(SKIP_3) | instid1(VALU_DEP_1)
	v_fmac_f32_e32 v30, v20, v28
	ds_load_2addr_b32 v[27:28], v12 offset0:64 offset1:96
	s_waitcnt lgkmcnt(3)
	v_fmac_f32_e32 v30, v21, v23
	v_fmac_f32_e32 v30, v22, v24
	ds_load_b128 v[19:22], v4 offset:48
	ds_load_2addr_b32 v[23:24], v12 offset0:128 offset1:160
	s_waitcnt lgkmcnt(3)
	v_fmac_f32_e32 v30, v15, v25
	s_delay_alu instid0(VALU_DEP_1) | instskip(SKIP_3) | instid1(VALU_DEP_1)
	v_fmac_f32_e32 v30, v16, v26
	ds_load_2addr_b32 v[25:26], v12 offset0:192 offset1:224
	s_waitcnt lgkmcnt(3)
	v_fmac_f32_e32 v30, v17, v27
	v_fmac_f32_e32 v30, v18, v28
	ds_load_2addr_b32 v[27:28], v13 offset1:32
	ds_load_b128 v[15:18], v4 offset:64
	s_waitcnt lgkmcnt(3)
	v_fmac_f32_e32 v30, v19, v23
	s_delay_alu instid0(VALU_DEP_1) | instskip(SKIP_3) | instid1(VALU_DEP_1)
	v_fmac_f32_e32 v30, v20, v24
	ds_load_2addr_b32 v[23:24], v13 offset0:64 offset1:96
	s_waitcnt lgkmcnt(3)
	v_fmac_f32_e32 v30, v21, v25
	v_fmac_f32_e32 v30, v22, v26
	ds_load_b128 v[19:22], v4 offset:80
	ds_load_2addr_b32 v[25:26], v13 offset0:128 offset1:160
	s_waitcnt lgkmcnt(3)
	v_fmac_f32_e32 v30, v15, v27
	;; [unrolled: 20-line block ×3, first 2 shown]
	s_delay_alu instid0(VALU_DEP_1) | instskip(SKIP_3) | instid1(VALU_DEP_1)
	v_fmac_f32_e32 v30, v16, v24
	ds_load_2addr_b32 v[15:16], v14 offset0:192 offset1:224
	s_waitcnt lgkmcnt(3)
	v_fmac_f32_e32 v30, v17, v25
	v_fmac_f32_e32 v30, v18, v26
	s_waitcnt lgkmcnt(1)
	s_delay_alu instid0(VALU_DEP_1) | instskip(NEXT) | instid1(VALU_DEP_1)
	v_fmac_f32_e32 v30, v19, v27
	v_fmac_f32_e32 v30, v20, v28
	s_waitcnt lgkmcnt(0)
	s_delay_alu instid0(VALU_DEP_1) | instskip(NEXT) | instid1(VALU_DEP_1)
	v_fmac_f32_e32 v30, v21, v15
	v_fmac_f32_e32 v30, v22, v16
	s_waitcnt vmcnt(0)
	s_delay_alu instid0(VALU_DEP_1)
	v_fmac_f32_e32 v29, s7, v30
	global_store_b32 v[0:1], v29, off
	s_branch .LBB0_4
.LBB0_11:
	s_endpgm
	.section	.rodata,"a",@progbits
	.p2align	6, 0x0
	.amdhsa_kernel _ZL26rocblas_syr2k_her2k_kernelIiLb0ELb0ELb0ELi32EfPKfPfEvbiT_T4_T5_S3_lS5_S3_lT6_S3_li
		.amdhsa_group_segment_fixed_size 8192
		.amdhsa_private_segment_fixed_size 0
		.amdhsa_kernarg_size 92
		.amdhsa_user_sgpr_count 13
		.amdhsa_user_sgpr_dispatch_ptr 0
		.amdhsa_user_sgpr_queue_ptr 0
		.amdhsa_user_sgpr_kernarg_segment_ptr 1
		.amdhsa_user_sgpr_dispatch_id 0
		.amdhsa_user_sgpr_private_segment_size 0
		.amdhsa_wavefront_size32 1
		.amdhsa_uses_dynamic_stack 0
		.amdhsa_enable_private_segment 0
		.amdhsa_system_sgpr_workgroup_id_x 1
		.amdhsa_system_sgpr_workgroup_id_y 1
		.amdhsa_system_sgpr_workgroup_id_z 1
		.amdhsa_system_sgpr_workgroup_info 0
		.amdhsa_system_vgpr_workitem_id 1
		.amdhsa_next_free_vgpr 31
		.amdhsa_next_free_sgpr 22
		.amdhsa_reserve_vcc 1
		.amdhsa_float_round_mode_32 0
		.amdhsa_float_round_mode_16_64 0
		.amdhsa_float_denorm_mode_32 3
		.amdhsa_float_denorm_mode_16_64 3
		.amdhsa_dx10_clamp 1
		.amdhsa_ieee_mode 1
		.amdhsa_fp16_overflow 0
		.amdhsa_workgroup_processor_mode 1
		.amdhsa_memory_ordered 1
		.amdhsa_forward_progress 0
		.amdhsa_shared_vgpr_count 0
		.amdhsa_exception_fp_ieee_invalid_op 0
		.amdhsa_exception_fp_denorm_src 0
		.amdhsa_exception_fp_ieee_div_zero 0
		.amdhsa_exception_fp_ieee_overflow 0
		.amdhsa_exception_fp_ieee_underflow 0
		.amdhsa_exception_fp_ieee_inexact 0
		.amdhsa_exception_int_div_zero 0
	.end_amdhsa_kernel
	.section	.text._ZL26rocblas_syr2k_her2k_kernelIiLb0ELb0ELb0ELi32EfPKfPfEvbiT_T4_T5_S3_lS5_S3_lT6_S3_li,"axG",@progbits,_ZL26rocblas_syr2k_her2k_kernelIiLb0ELb0ELb0ELi32EfPKfPfEvbiT_T4_T5_S3_lS5_S3_lT6_S3_li,comdat
.Lfunc_end0:
	.size	_ZL26rocblas_syr2k_her2k_kernelIiLb0ELb0ELb0ELi32EfPKfPfEvbiT_T4_T5_S3_lS5_S3_lT6_S3_li, .Lfunc_end0-_ZL26rocblas_syr2k_her2k_kernelIiLb0ELb0ELb0ELi32EfPKfPfEvbiT_T4_T5_S3_lS5_S3_lT6_S3_li
                                        ; -- End function
	.section	.AMDGPU.csdata,"",@progbits
; Kernel info:
; codeLenInByte = 1192
; NumSgprs: 24
; NumVgprs: 31
; ScratchSize: 0
; MemoryBound: 0
; FloatMode: 240
; IeeeMode: 1
; LDSByteSize: 8192 bytes/workgroup (compile time only)
; SGPRBlocks: 2
; VGPRBlocks: 3
; NumSGPRsForWavesPerEU: 24
; NumVGPRsForWavesPerEU: 31
; Occupancy: 16
; WaveLimiterHint : 0
; COMPUTE_PGM_RSRC2:SCRATCH_EN: 0
; COMPUTE_PGM_RSRC2:USER_SGPR: 13
; COMPUTE_PGM_RSRC2:TRAP_HANDLER: 0
; COMPUTE_PGM_RSRC2:TGID_X_EN: 1
; COMPUTE_PGM_RSRC2:TGID_Y_EN: 1
; COMPUTE_PGM_RSRC2:TGID_Z_EN: 1
; COMPUTE_PGM_RSRC2:TIDIG_COMP_CNT: 1
	.section	.text._ZL26rocblas_syr2k_her2k_kernelIiLb0ELb0ELb1ELi32EfPKfPfEvbiT_T4_T5_S3_lS5_S3_lT6_S3_li,"axG",@progbits,_ZL26rocblas_syr2k_her2k_kernelIiLb0ELb0ELb1ELi32EfPKfPfEvbiT_T4_T5_S3_lS5_S3_lT6_S3_li,comdat
	.globl	_ZL26rocblas_syr2k_her2k_kernelIiLb0ELb0ELb1ELi32EfPKfPfEvbiT_T4_T5_S3_lS5_S3_lT6_S3_li ; -- Begin function _ZL26rocblas_syr2k_her2k_kernelIiLb0ELb0ELb1ELi32EfPKfPfEvbiT_T4_T5_S3_lS5_S3_lT6_S3_li
	.p2align	8
	.type	_ZL26rocblas_syr2k_her2k_kernelIiLb0ELb0ELb1ELi32EfPKfPfEvbiT_T4_T5_S3_lS5_S3_lT6_S3_li,@function
_ZL26rocblas_syr2k_her2k_kernelIiLb0ELb0ELb1ELi32EfPKfPfEvbiT_T4_T5_S3_lS5_S3_lT6_S3_li: ; @_ZL26rocblas_syr2k_her2k_kernelIiLb0ELb0ELb1ELi32EfPKfPfEvbiT_T4_T5_S3_lS5_S3_lT6_S3_li
; %bb.0:
	s_load_b128 s[4:7], s[0:1], 0x0
	s_waitcnt lgkmcnt(0)
	v_cmp_eq_f32_e64 s2, s7, 0
	s_delay_alu instid0(VALU_DEP_1)
	s_and_b32 vcc_lo, exec_lo, s2
	s_cbranch_vccnz .LBB1_11
; %bb.1:
	s_and_b32 s4, 1, s4
	s_lshl_b32 s2, s14, 5
	s_lshl_b32 s3, s13, 5
	s_cmp_eq_u32 s4, 1
	s_cselect_b32 vcc_lo, -1, 0
	s_delay_alu instid0(SALU_CYCLE_1) | instskip(SKIP_2) | instid1(SALU_CYCLE_1)
	s_and_b32 s4, vcc_lo, exec_lo
	s_cselect_b32 s4, s3, s2
	s_cselect_b32 s8, s2, s3
	s_cmp_gt_i32 s4, s8
	s_cbranch_scc1 .LBB1_11
; %bb.2:
	s_cmp_lt_i32 s6, 1
	s_cbranch_scc1 .LBB1_11
; %bb.3:
	s_clause 0x6
	s_load_b128 s[16:19], s[0:1], 0x20
	s_load_b128 s[8:11], s[0:1], 0x38
	s_load_b32 s4, s[0:1], 0x18
	s_load_b32 s14, s[0:1], 0x30
	s_load_b32 s22, s[0:1], 0x48
	s_load_b64 s[12:13], s[0:1], 0x50
	s_load_b64 s[20:21], s[0:1], 0x10
	v_bfe_u32 v4, v0, 10, 10
	s_delay_alu instid0(VALU_DEP_1) | instskip(SKIP_2) | instid1(VALU_DEP_2)
	v_add_nc_u32_e32 v13, s2, v4
	v_and_b32_e32 v5, 0x3ff, v0
	v_lshlrev_b32_e32 v14, 2, v4
	v_add_nc_u32_e32 v0, s3, v5
	s_waitcnt lgkmcnt(0)
	s_mul_i32 s1, s15, s17
	s_delay_alu instid0(VALU_DEP_1)
	v_cndmask_b32_e32 v16, v0, v13, vcc_lo
	s_mul_hi_u32 s3, s15, s16
	s_mul_i32 s0, s15, s16
	s_add_i32 s1, s3, s1
	v_mad_i64_i32 v[2:3], null, s4, v0, 0
	s_lshl_b64 s[0:1], s[0:1], 2
	s_mul_i32 s9, s15, s9
	s_mul_hi_u32 s16, s15, s8
	s_add_u32 s17, s20, s0
	s_mul_i32 s2, s15, s8
	s_addc_u32 s20, s21, s1
	s_add_i32 s3, s16, s9
	s_mul_i32 s8, s15, s13
	s_lshl_b64 s[2:3], s[2:3], 2
	s_mul_hi_u32 s13, s15, s12
	v_lshlrev_b64 v[2:3], 2, v[2:3]
	v_mad_i64_i32 v[9:10], null, s14, v13, 0
	v_mad_i64_i32 v[11:12], null, s22, v13, 0
	s_add_u32 s2, s18, s2
	s_mul_i32 s0, s15, s12
	s_addc_u32 s3, s19, s3
	s_add_i32 s1, s13, s8
	v_dual_cndmask_b32 v17, v13, v0 :: v_dual_lshlrev_b32 v6, 7, v5
	s_lshl_b64 s[0:1], s[0:1], 2
	v_ashrrev_i32_e32 v1, 31, v0
	s_add_u32 s4, s10, s0
	v_add_co_u32 v7, s0, s17, v2
	s_delay_alu instid0(VALU_DEP_1)
	v_add_co_ci_u32_e64 v8, s0, s20, v3, s0
	v_lshlrev_b64 v[2:3], 2, v[9:10]
	v_add_nc_u32_e32 v9, v6, v14
	v_or_b32_e32 v10, 0x1000, v14
	v_lshlrev_b64 v[14:15], 2, v[11:12]
	v_cmp_gt_i32_e32 vcc_lo, s5, v0
	v_lshlrev_b64 v[0:1], 2, v[0:1]
	s_addc_u32 s8, s11, s1
	v_add_co_u32 v11, s1, s2, v2
	s_delay_alu instid0(VALU_DEP_4)
	v_add_co_u32 v2, s2, s4, v14
	v_add_co_ci_u32_e64 v12, s1, s3, v3, s1
	v_add_co_ci_u32_e64 v3, s2, s8, v15, s2
	v_cmp_gt_i32_e64 s0, s5, v13
	v_cmp_le_i32_e64 s1, v17, v16
	v_add_co_u32 v0, s2, v2, v0
	v_add_nc_u32_e32 v13, v10, v6
	v_add_co_ci_u32_e64 v1, s2, v3, v1, s2
	v_add_nc_u32_e32 v14, 0x400, v10
	v_add_nc_u32_e32 v15, 0x800, v10
	;; [unrolled: 1-line block ×3, first 2 shown]
	s_and_b32 s3, s0, vcc_lo
	s_delay_alu instid0(SALU_CYCLE_1)
	s_and_b32 s2, s3, s1
	s_mov_b32 s3, 0
	s_branch .LBB1_5
.LBB1_4:                                ;   in Loop: Header=BB1_5 Depth=1
	s_or_b32 exec_lo, exec_lo, s1
	s_add_i32 s3, s3, 32
	s_waitcnt_vscnt null, 0x0
	s_cmp_lt_i32 s3, s6
	s_barrier
	buffer_gl0_inv
	s_cbranch_scc0 .LBB1_11
.LBB1_5:                                ; =>This Inner Loop Header: Depth=1
	v_dual_mov_b32 v3, 0 :: v_dual_add_nc_u32 v2, s3, v4
	s_delay_alu instid0(VALU_DEP_1) | instskip(NEXT) | instid1(VALU_DEP_1)
	v_cmp_gt_i32_e64 s1, s6, v2
	s_and_b32 s1, vcc_lo, s1
	s_delay_alu instid0(SALU_CYCLE_1)
	s_and_saveexec_b32 s4, s1
	s_cbranch_execz .LBB1_7
; %bb.6:                                ;   in Loop: Header=BB1_5 Depth=1
	v_ashrrev_i32_e32 v3, 31, v2
	s_delay_alu instid0(VALU_DEP_1) | instskip(NEXT) | instid1(VALU_DEP_1)
	v_lshlrev_b64 v[2:3], 2, v[2:3]
	v_add_co_u32 v2, s1, v7, v2
	s_delay_alu instid0(VALU_DEP_1)
	v_add_co_ci_u32_e64 v3, s1, v8, v3, s1
	global_load_b32 v3, v[2:3], off
.LBB1_7:                                ;   in Loop: Header=BB1_5 Depth=1
	s_or_b32 exec_lo, exec_lo, s4
	v_dual_mov_b32 v17, 0 :: v_dual_add_nc_u32 v2, s3, v5
	s_waitcnt vmcnt(0)
	ds_store_b32 v9, v3
	v_cmp_gt_i32_e64 s1, s6, v2
	s_delay_alu instid0(VALU_DEP_1) | instskip(NEXT) | instid1(SALU_CYCLE_1)
	s_and_b32 s1, s0, s1
	s_and_saveexec_b32 s4, s1
	s_cbranch_execz .LBB1_9
; %bb.8:                                ;   in Loop: Header=BB1_5 Depth=1
	v_ashrrev_i32_e32 v3, 31, v2
	s_delay_alu instid0(VALU_DEP_1) | instskip(NEXT) | instid1(VALU_DEP_1)
	v_lshlrev_b64 v[2:3], 2, v[2:3]
	v_add_co_u32 v2, s1, v11, v2
	s_delay_alu instid0(VALU_DEP_1)
	v_add_co_ci_u32_e64 v3, s1, v12, v3, s1
	global_load_b32 v17, v[2:3], off
.LBB1_9:                                ;   in Loop: Header=BB1_5 Depth=1
	s_or_b32 exec_lo, exec_lo, s4
	s_waitcnt vmcnt(0)
	ds_store_b32 v13, v17
	s_waitcnt lgkmcnt(0)
	s_barrier
	buffer_gl0_inv
	s_and_saveexec_b32 s1, s2
	s_cbranch_execz .LBB1_4
; %bb.10:                               ;   in Loop: Header=BB1_5 Depth=1
	global_load_b32 v29, v[0:1], off
	ds_load_2addr_b32 v[2:3], v10 offset1:32
	ds_load_b128 v[17:20], v6
	ds_load_2addr_b32 v[25:26], v10 offset0:64 offset1:96
	ds_load_b128 v[21:24], v6 offset:16
	ds_load_2addr_b32 v[27:28], v10 offset0:128 offset1:160
	s_waitcnt lgkmcnt(3)
	v_fma_f32 v30, v17, v2, 0
	s_delay_alu instid0(VALU_DEP_1) | instskip(SKIP_3) | instid1(VALU_DEP_1)
	v_fmac_f32_e32 v30, v18, v3
	ds_load_2addr_b32 v[2:3], v10 offset0:192 offset1:224
	s_waitcnt lgkmcnt(3)
	v_fmac_f32_e32 v30, v19, v25
	v_fmac_f32_e32 v30, v20, v26
	ds_load_2addr_b32 v[25:26], v14 offset1:32
	ds_load_b128 v[17:20], v6 offset:32
	s_waitcnt lgkmcnt(3)
	v_fmac_f32_e32 v30, v21, v27
	s_delay_alu instid0(VALU_DEP_1) | instskip(SKIP_3) | instid1(VALU_DEP_1)
	v_fmac_f32_e32 v30, v22, v28
	ds_load_2addr_b32 v[27:28], v14 offset0:64 offset1:96
	s_waitcnt lgkmcnt(3)
	v_fmac_f32_e32 v30, v23, v2
	v_fmac_f32_e32 v30, v24, v3
	ds_load_b128 v[21:24], v6 offset:48
	ds_load_2addr_b32 v[2:3], v14 offset0:128 offset1:160
	s_waitcnt lgkmcnt(3)
	v_fmac_f32_e32 v30, v17, v25
	s_delay_alu instid0(VALU_DEP_1) | instskip(SKIP_3) | instid1(VALU_DEP_1)
	v_fmac_f32_e32 v30, v18, v26
	ds_load_2addr_b32 v[25:26], v14 offset0:192 offset1:224
	s_waitcnt lgkmcnt(3)
	v_fmac_f32_e32 v30, v19, v27
	v_fmac_f32_e32 v30, v20, v28
	ds_load_2addr_b32 v[27:28], v15 offset1:32
	ds_load_b128 v[17:20], v6 offset:64
	s_waitcnt lgkmcnt(3)
	v_fmac_f32_e32 v30, v21, v2
	s_delay_alu instid0(VALU_DEP_1) | instskip(SKIP_3) | instid1(VALU_DEP_1)
	v_fmac_f32_e32 v30, v22, v3
	ds_load_2addr_b32 v[2:3], v15 offset0:64 offset1:96
	s_waitcnt lgkmcnt(3)
	v_fmac_f32_e32 v30, v23, v25
	v_fmac_f32_e32 v30, v24, v26
	ds_load_b128 v[21:24], v6 offset:80
	ds_load_2addr_b32 v[25:26], v15 offset0:128 offset1:160
	s_waitcnt lgkmcnt(3)
	v_fmac_f32_e32 v30, v17, v27
	;; [unrolled: 20-line block ×3, first 2 shown]
	s_delay_alu instid0(VALU_DEP_1) | instskip(SKIP_3) | instid1(VALU_DEP_1)
	v_fmac_f32_e32 v30, v18, v3
	ds_load_2addr_b32 v[2:3], v16 offset0:192 offset1:224
	s_waitcnt lgkmcnt(3)
	v_fmac_f32_e32 v30, v19, v25
	v_fmac_f32_e32 v30, v20, v26
	s_waitcnt lgkmcnt(1)
	s_delay_alu instid0(VALU_DEP_1) | instskip(NEXT) | instid1(VALU_DEP_1)
	v_fmac_f32_e32 v30, v21, v27
	v_fmac_f32_e32 v30, v22, v28
	s_waitcnt lgkmcnt(0)
	s_delay_alu instid0(VALU_DEP_1) | instskip(NEXT) | instid1(VALU_DEP_1)
	v_fmac_f32_e32 v30, v23, v2
	v_fmac_f32_e32 v30, v24, v3
	s_waitcnt vmcnt(0)
	s_delay_alu instid0(VALU_DEP_1)
	v_fmac_f32_e32 v29, s7, v30
	global_store_b32 v[0:1], v29, off
	s_branch .LBB1_4
.LBB1_11:
	s_endpgm
	.section	.rodata,"a",@progbits
	.p2align	6, 0x0
	.amdhsa_kernel _ZL26rocblas_syr2k_her2k_kernelIiLb0ELb0ELb1ELi32EfPKfPfEvbiT_T4_T5_S3_lS5_S3_lT6_S3_li
		.amdhsa_group_segment_fixed_size 8192
		.amdhsa_private_segment_fixed_size 0
		.amdhsa_kernarg_size 92
		.amdhsa_user_sgpr_count 13
		.amdhsa_user_sgpr_dispatch_ptr 0
		.amdhsa_user_sgpr_queue_ptr 0
		.amdhsa_user_sgpr_kernarg_segment_ptr 1
		.amdhsa_user_sgpr_dispatch_id 0
		.amdhsa_user_sgpr_private_segment_size 0
		.amdhsa_wavefront_size32 1
		.amdhsa_uses_dynamic_stack 0
		.amdhsa_enable_private_segment 0
		.amdhsa_system_sgpr_workgroup_id_x 1
		.amdhsa_system_sgpr_workgroup_id_y 1
		.amdhsa_system_sgpr_workgroup_id_z 1
		.amdhsa_system_sgpr_workgroup_info 0
		.amdhsa_system_vgpr_workitem_id 1
		.amdhsa_next_free_vgpr 31
		.amdhsa_next_free_sgpr 23
		.amdhsa_reserve_vcc 1
		.amdhsa_float_round_mode_32 0
		.amdhsa_float_round_mode_16_64 0
		.amdhsa_float_denorm_mode_32 3
		.amdhsa_float_denorm_mode_16_64 3
		.amdhsa_dx10_clamp 1
		.amdhsa_ieee_mode 1
		.amdhsa_fp16_overflow 0
		.amdhsa_workgroup_processor_mode 1
		.amdhsa_memory_ordered 1
		.amdhsa_forward_progress 0
		.amdhsa_shared_vgpr_count 0
		.amdhsa_exception_fp_ieee_invalid_op 0
		.amdhsa_exception_fp_denorm_src 0
		.amdhsa_exception_fp_ieee_div_zero 0
		.amdhsa_exception_fp_ieee_overflow 0
		.amdhsa_exception_fp_ieee_underflow 0
		.amdhsa_exception_fp_ieee_inexact 0
		.amdhsa_exception_int_div_zero 0
	.end_amdhsa_kernel
	.section	.text._ZL26rocblas_syr2k_her2k_kernelIiLb0ELb0ELb1ELi32EfPKfPfEvbiT_T4_T5_S3_lS5_S3_lT6_S3_li,"axG",@progbits,_ZL26rocblas_syr2k_her2k_kernelIiLb0ELb0ELb1ELi32EfPKfPfEvbiT_T4_T5_S3_lS5_S3_lT6_S3_li,comdat
.Lfunc_end1:
	.size	_ZL26rocblas_syr2k_her2k_kernelIiLb0ELb0ELb1ELi32EfPKfPfEvbiT_T4_T5_S3_lS5_S3_lT6_S3_li, .Lfunc_end1-_ZL26rocblas_syr2k_her2k_kernelIiLb0ELb0ELb1ELi32EfPKfPfEvbiT_T4_T5_S3_lS5_S3_lT6_S3_li
                                        ; -- End function
	.section	.AMDGPU.csdata,"",@progbits
; Kernel info:
; codeLenInByte = 1196
; NumSgprs: 25
; NumVgprs: 31
; ScratchSize: 0
; MemoryBound: 0
; FloatMode: 240
; IeeeMode: 1
; LDSByteSize: 8192 bytes/workgroup (compile time only)
; SGPRBlocks: 3
; VGPRBlocks: 3
; NumSGPRsForWavesPerEU: 25
; NumVGPRsForWavesPerEU: 31
; Occupancy: 16
; WaveLimiterHint : 0
; COMPUTE_PGM_RSRC2:SCRATCH_EN: 0
; COMPUTE_PGM_RSRC2:USER_SGPR: 13
; COMPUTE_PGM_RSRC2:TRAP_HANDLER: 0
; COMPUTE_PGM_RSRC2:TGID_X_EN: 1
; COMPUTE_PGM_RSRC2:TGID_Y_EN: 1
; COMPUTE_PGM_RSRC2:TGID_Z_EN: 1
; COMPUTE_PGM_RSRC2:TIDIG_COMP_CNT: 1
	.section	.text._ZL37rocblas_syrkx_herkx_restricted_kernelIifLi16ELi32ELi8ELi1ELi1ELb0ELc84ELc76EKffEviT_PT9_S1_lS3_S1_lPT10_S1_li,"axG",@progbits,_ZL37rocblas_syrkx_herkx_restricted_kernelIifLi16ELi32ELi8ELi1ELi1ELb0ELc84ELc76EKffEviT_PT9_S1_lS3_S1_lPT10_S1_li,comdat
	.globl	_ZL37rocblas_syrkx_herkx_restricted_kernelIifLi16ELi32ELi8ELi1ELi1ELb0ELc84ELc76EKffEviT_PT9_S1_lS3_S1_lPT10_S1_li ; -- Begin function _ZL37rocblas_syrkx_herkx_restricted_kernelIifLi16ELi32ELi8ELi1ELi1ELb0ELc84ELc76EKffEviT_PT9_S1_lS3_S1_lPT10_S1_li
	.p2align	8
	.type	_ZL37rocblas_syrkx_herkx_restricted_kernelIifLi16ELi32ELi8ELi1ELi1ELb0ELc84ELc76EKffEviT_PT9_S1_lS3_S1_lPT10_S1_li,@function
_ZL37rocblas_syrkx_herkx_restricted_kernelIifLi16ELi32ELi8ELi1ELi1ELb0ELc84ELc76EKffEviT_PT9_S1_lS3_S1_lPT10_S1_li: ; @_ZL37rocblas_syrkx_herkx_restricted_kernelIifLi16ELi32ELi8ELi1ELi1ELb0ELc84ELc76EKffEviT_PT9_S1_lS3_S1_lPT10_S1_li
; %bb.0:
	s_clause 0x1
	s_load_b64 s[2:3], s[0:1], 0x0
	s_load_b128 s[4:7], s[0:1], 0x30
	v_dual_mov_b32 v9, 0 :: v_dual_and_b32 v6, 0x3ff, v0
	v_bfe_u32 v7, v0, 10, 10
	v_dual_mov_b32 v8, 0 :: v_dual_mov_b32 v1, 0
	v_mov_b32_e32 v0, 0
	s_lshl_b32 s12, s13, 5
	s_lshl_b32 s13, s14, 5
	s_mov_b32 s14, 0
	s_waitcnt lgkmcnt(0)
	s_cmp_lt_i32 s3, 1
	s_cbranch_scc1 .LBB2_3
; %bb.1:
	s_clause 0x3
	s_load_b32 s18, s[0:1], 0x10
	s_load_b128 s[8:11], s[0:1], 0x18
	s_load_b64 s[16:17], s[0:1], 0x8
	s_load_b32 s19, s[0:1], 0x28
	v_lshl_add_u32 v2, v7, 4, v6
	v_dual_mov_b32 v1, 0 :: v_dual_and_b32 v0, 7, v6
	v_lshlrev_b32_e32 v10, 2, v6
	s_mul_i32 s5, s5, s15
	s_delay_alu instid0(VALU_DEP_3) | instskip(SKIP_3) | instid1(VALU_DEP_4)
	v_lshrrev_b32_e32 v4, 3, v2
	v_and_b32_e32 v5, 31, v2
	v_lshlrev_b32_e32 v3, 2, v0
	v_lshrrev_b32_e32 v2, 5, v2
	v_add_nc_u32_e32 v14, s13, v4
	s_delay_alu instid0(VALU_DEP_4) | instskip(NEXT) | instid1(VALU_DEP_4)
	v_add_nc_u32_e32 v13, s12, v5
	v_lshl_or_b32 v9, v4, 5, v3
	v_dual_mov_b32 v3, v1 :: v_dual_lshlrev_b32 v8, 2, v5
	s_delay_alu instid0(VALU_DEP_2) | instskip(SKIP_1) | instid1(VALU_DEP_2)
	v_add_nc_u32_e32 v12, 0x400, v9
	s_waitcnt lgkmcnt(0)
	v_mad_i64_i32 v[4:5], null, s18, v13, v[2:3]
	s_delay_alu instid0(VALU_DEP_3)
	v_lshl_or_b32 v11, v2, 7, v8
	s_mul_i32 s9, s9, s15
	s_mul_hi_u32 s18, s8, s15
	v_mad_i64_i32 v[2:3], null, s19, v14, v[0:1]
	s_mul_i32 s8, s8, s15
	s_add_i32 s9, s18, s9
	s_delay_alu instid0(VALU_DEP_3)
	v_lshlrev_b64 v[4:5], 2, v[4:5]
	s_lshl_b64 s[8:9], s[8:9], 2
	v_lshl_add_u32 v13, v7, 5, 0x400
	s_add_u32 s8, s16, s8
	s_mul_hi_u32 s16, s4, s15
	s_addc_u32 s9, s17, s9
	s_add_i32 s5, s16, s5
	s_mul_i32 s4, s4, s15
	v_lshlrev_b64 v[8:9], 2, v[2:3]
	s_lshl_b64 s[4:5], s[4:5], 2
	v_add_co_u32 v2, vcc_lo, s8, v4
	s_add_u32 s4, s10, s4
	v_add_co_ci_u32_e32 v3, vcc_lo, s9, v5, vcc_lo
	s_addc_u32 s5, s11, s5
	v_add_co_u32 v4, vcc_lo, s4, v8
	v_add_co_ci_u32_e32 v5, vcc_lo, s5, v9, vcc_lo
	v_mov_b32_e32 v9, v1
	v_mov_b32_e32 v0, v1
	;; [unrolled: 1-line block ×3, first 2 shown]
.LBB2_2:                                ; =>This Inner Loop Header: Depth=1
	global_load_b32 v14, v[2:3], off
	global_load_b32 v15, v[4:5], off
	v_add_co_u32 v2, vcc_lo, v2, 32
	v_add_co_ci_u32_e32 v3, vcc_lo, 0, v3, vcc_lo
	v_add_co_u32 v4, vcc_lo, v4, 32
	v_add_co_ci_u32_e32 v5, vcc_lo, 0, v5, vcc_lo
	s_add_i32 s14, s14, 8
	s_waitcnt vmcnt(1)
	ds_store_b32 v11, v14
	s_waitcnt vmcnt(0)
	ds_store_b32 v12, v15
	s_waitcnt lgkmcnt(0)
	s_barrier
	buffer_gl0_inv
	ds_load_2addr_b32 v[30:31], v10 offset1:16
	ds_load_b128 v[14:17], v13
	ds_load_b128 v[18:21], v13 offset:512
	ds_load_2addr_b32 v[32:33], v10 offset0:32 offset1:48
	ds_load_2addr_b32 v[34:35], v10 offset0:64 offset1:80
	ds_load_b128 v[22:25], v13 offset:16
	ds_load_2addr_b32 v[36:37], v10 offset0:96 offset1:112
	ds_load_2addr_b32 v[38:39], v10 offset0:128 offset1:144
	;; [unrolled: 3-line block ×3, first 2 shown]
	ds_load_2addr_b32 v[44:45], v10 offset0:224 offset1:240
	s_cmp_ge_i32 s14, s3
	s_waitcnt lgkmcnt(0)
	s_barrier
	buffer_gl0_inv
	v_fmac_f32_e32 v8, v31, v14
	v_fmac_f32_e32 v9, v30, v14
	;; [unrolled: 1-line block ×4, first 2 shown]
	s_delay_alu instid0(VALU_DEP_4) | instskip(NEXT) | instid1(VALU_DEP_4)
	v_fmac_f32_e32 v8, v33, v15
	v_fmac_f32_e32 v9, v32, v15
	s_delay_alu instid0(VALU_DEP_4) | instskip(NEXT) | instid1(VALU_DEP_4)
	v_fmac_f32_e32 v1, v33, v19
	v_fmac_f32_e32 v0, v32, v19
	s_delay_alu instid0(VALU_DEP_4) | instskip(NEXT) | instid1(VALU_DEP_4)
	v_fmac_f32_e32 v8, v35, v16
	v_fmac_f32_e32 v9, v34, v16
	s_delay_alu instid0(VALU_DEP_4) | instskip(NEXT) | instid1(VALU_DEP_4)
	v_fmac_f32_e32 v1, v35, v20
	v_fmac_f32_e32 v0, v34, v20
	s_delay_alu instid0(VALU_DEP_4) | instskip(NEXT) | instid1(VALU_DEP_4)
	v_fmac_f32_e32 v8, v37, v17
	v_fmac_f32_e32 v9, v36, v17
	s_delay_alu instid0(VALU_DEP_4) | instskip(NEXT) | instid1(VALU_DEP_4)
	v_fmac_f32_e32 v1, v37, v21
	v_fmac_f32_e32 v0, v36, v21
	s_delay_alu instid0(VALU_DEP_4) | instskip(NEXT) | instid1(VALU_DEP_4)
	v_fmac_f32_e32 v8, v39, v22
	v_fmac_f32_e32 v9, v38, v22
	s_delay_alu instid0(VALU_DEP_4) | instskip(NEXT) | instid1(VALU_DEP_4)
	v_fmac_f32_e32 v1, v39, v26
	v_fmac_f32_e32 v0, v38, v26
	s_delay_alu instid0(VALU_DEP_4) | instskip(NEXT) | instid1(VALU_DEP_4)
	v_fmac_f32_e32 v8, v41, v23
	v_fmac_f32_e32 v9, v40, v23
	s_delay_alu instid0(VALU_DEP_4) | instskip(NEXT) | instid1(VALU_DEP_4)
	v_fmac_f32_e32 v1, v41, v27
	v_fmac_f32_e32 v0, v40, v27
	s_delay_alu instid0(VALU_DEP_4) | instskip(NEXT) | instid1(VALU_DEP_4)
	v_fmac_f32_e32 v8, v43, v24
	v_fmac_f32_e32 v9, v42, v24
	s_delay_alu instid0(VALU_DEP_4) | instskip(NEXT) | instid1(VALU_DEP_4)
	v_fmac_f32_e32 v1, v43, v28
	v_fmac_f32_e32 v0, v42, v28
	s_delay_alu instid0(VALU_DEP_4) | instskip(NEXT) | instid1(VALU_DEP_4)
	v_fmac_f32_e32 v8, v45, v25
	v_fmac_f32_e32 v9, v44, v25
	s_delay_alu instid0(VALU_DEP_4) | instskip(NEXT) | instid1(VALU_DEP_4)
	v_fmac_f32_e32 v1, v45, v29
	v_fmac_f32_e32 v0, v44, v29
	s_cbranch_scc0 .LBB2_2
.LBB2_3:
	s_clause 0x1
	s_load_b32 s3, s[0:1], 0x40
	s_load_b64 s[4:5], s[0:1], 0x48
	v_add_nc_u32_e32 v7, s13, v7
	v_add_nc_u32_e32 v2, s12, v6
	s_delay_alu instid0(VALU_DEP_1)
	v_cmp_le_i32_e64 s0, v7, v2
	v_cmp_gt_i32_e32 vcc_lo, s2, v2
	s_waitcnt lgkmcnt(0)
	v_mad_i64_i32 v[3:4], null, v7, s3, 0
	s_mul_i32 s1, s15, s5
	s_mul_hi_u32 s5, s15, s4
	s_mul_i32 s4, s15, s4
	s_add_i32 s5, s5, s1
	s_delay_alu instid0(SALU_CYCLE_1) | instskip(NEXT) | instid1(VALU_DEP_1)
	s_lshl_b64 s[4:5], s[4:5], 2
	v_lshlrev_b64 v[3:4], 2, v[3:4]
	s_add_u32 s4, s6, s4
	s_addc_u32 s5, s7, s5
	s_and_b32 s0, s0, vcc_lo
	s_delay_alu instid0(VALU_DEP_1) | instskip(NEXT) | instid1(VALU_DEP_1)
	v_add_co_u32 v6, s1, s4, v3
	v_add_co_ci_u32_e64 v10, s1, s5, v4, s1
	s_and_saveexec_b32 s1, s0
	s_cbranch_execz .LBB2_5
; %bb.4:
	v_ashrrev_i32_e32 v3, 31, v2
	s_delay_alu instid0(VALU_DEP_1) | instskip(NEXT) | instid1(VALU_DEP_1)
	v_lshlrev_b64 v[3:4], 2, v[2:3]
	v_add_co_u32 v3, s0, v6, v3
	s_delay_alu instid0(VALU_DEP_1)
	v_add_co_ci_u32_e64 v4, s0, v10, v4, s0
	global_load_b32 v5, v[3:4], off
	s_waitcnt vmcnt(0)
	v_add_f32_e32 v5, v9, v5
	global_store_b32 v[3:4], v5, off
.LBB2_5:
	s_or_b32 exec_lo, exec_lo, s1
	v_add_nc_u32_e32 v4, 16, v2
	s_delay_alu instid0(VALU_DEP_1) | instskip(SKIP_1) | instid1(VALU_DEP_1)
	v_cmp_le_i32_e64 s1, v7, v4
	v_cmp_gt_i32_e64 s0, s2, v4
	s_and_b32 s1, s1, s0
	s_delay_alu instid0(SALU_CYCLE_1)
	s_and_saveexec_b32 s2, s1
	s_cbranch_execz .LBB2_7
; %bb.6:
	v_ashrrev_i32_e32 v5, 31, v4
	s_delay_alu instid0(VALU_DEP_1) | instskip(NEXT) | instid1(VALU_DEP_1)
	v_lshlrev_b64 v[11:12], 2, v[4:5]
	v_add_co_u32 v5, s1, v6, v11
	s_delay_alu instid0(VALU_DEP_1)
	v_add_co_ci_u32_e64 v6, s1, v10, v12, s1
	global_load_b32 v3, v[5:6], off
	s_waitcnt vmcnt(0)
	v_add_f32_e32 v3, v8, v3
	global_store_b32 v[5:6], v3, off
.LBB2_7:
	s_or_b32 exec_lo, exec_lo, s2
	v_add_nc_u32_e32 v5, 16, v7
	s_delay_alu instid0(VALU_DEP_1) | instskip(SKIP_1) | instid1(VALU_DEP_2)
	v_mad_i64_i32 v[6:7], null, v5, s3, 0
	v_cmp_le_i32_e64 s1, v5, v2
	v_lshlrev_b64 v[6:7], 2, v[6:7]
	s_delay_alu instid0(VALU_DEP_1) | instskip(NEXT) | instid1(VALU_DEP_1)
	v_add_co_u32 v6, s2, s4, v6
	v_add_co_ci_u32_e64 v7, s2, s5, v7, s2
	s_delay_alu instid0(VALU_DEP_4) | instskip(NEXT) | instid1(SALU_CYCLE_1)
	s_and_b32 s2, s1, vcc_lo
	s_and_saveexec_b32 s1, s2
	s_cbranch_execz .LBB2_9
; %bb.8:
	v_ashrrev_i32_e32 v3, 31, v2
	s_delay_alu instid0(VALU_DEP_1) | instskip(NEXT) | instid1(VALU_DEP_1)
	v_lshlrev_b64 v[2:3], 2, v[2:3]
	v_add_co_u32 v2, vcc_lo, v6, v2
	s_delay_alu instid0(VALU_DEP_2)
	v_add_co_ci_u32_e32 v3, vcc_lo, v7, v3, vcc_lo
	global_load_b32 v8, v[2:3], off
	s_waitcnt vmcnt(0)
	v_add_f32_e32 v0, v0, v8
	global_store_b32 v[2:3], v0, off
.LBB2_9:
	s_or_b32 exec_lo, exec_lo, s1
	v_cmp_le_i32_e32 vcc_lo, v5, v4
	s_and_b32 s0, vcc_lo, s0
	s_delay_alu instid0(SALU_CYCLE_1)
	s_and_saveexec_b32 s1, s0
	s_cbranch_execz .LBB2_11
; %bb.10:
	v_ashrrev_i32_e32 v5, 31, v4
	s_delay_alu instid0(VALU_DEP_1) | instskip(NEXT) | instid1(VALU_DEP_1)
	v_lshlrev_b64 v[2:3], 2, v[4:5]
	v_add_co_u32 v2, vcc_lo, v6, v2
	s_delay_alu instid0(VALU_DEP_2)
	v_add_co_ci_u32_e32 v3, vcc_lo, v7, v3, vcc_lo
	global_load_b32 v0, v[2:3], off
	s_waitcnt vmcnt(0)
	v_add_f32_e32 v0, v1, v0
	global_store_b32 v[2:3], v0, off
.LBB2_11:
	s_nop 0
	s_sendmsg sendmsg(MSG_DEALLOC_VGPRS)
	s_endpgm
	.section	.rodata,"a",@progbits
	.p2align	6, 0x0
	.amdhsa_kernel _ZL37rocblas_syrkx_herkx_restricted_kernelIifLi16ELi32ELi8ELi1ELi1ELb0ELc84ELc76EKffEviT_PT9_S1_lS3_S1_lPT10_S1_li
		.amdhsa_group_segment_fixed_size 2048
		.amdhsa_private_segment_fixed_size 0
		.amdhsa_kernarg_size 84
		.amdhsa_user_sgpr_count 13
		.amdhsa_user_sgpr_dispatch_ptr 0
		.amdhsa_user_sgpr_queue_ptr 0
		.amdhsa_user_sgpr_kernarg_segment_ptr 1
		.amdhsa_user_sgpr_dispatch_id 0
		.amdhsa_user_sgpr_private_segment_size 0
		.amdhsa_wavefront_size32 1
		.amdhsa_uses_dynamic_stack 0
		.amdhsa_enable_private_segment 0
		.amdhsa_system_sgpr_workgroup_id_x 1
		.amdhsa_system_sgpr_workgroup_id_y 1
		.amdhsa_system_sgpr_workgroup_id_z 1
		.amdhsa_system_sgpr_workgroup_info 0
		.amdhsa_system_vgpr_workitem_id 1
		.amdhsa_next_free_vgpr 46
		.amdhsa_next_free_sgpr 20
		.amdhsa_reserve_vcc 1
		.amdhsa_float_round_mode_32 0
		.amdhsa_float_round_mode_16_64 0
		.amdhsa_float_denorm_mode_32 3
		.amdhsa_float_denorm_mode_16_64 3
		.amdhsa_dx10_clamp 1
		.amdhsa_ieee_mode 1
		.amdhsa_fp16_overflow 0
		.amdhsa_workgroup_processor_mode 1
		.amdhsa_memory_ordered 1
		.amdhsa_forward_progress 0
		.amdhsa_shared_vgpr_count 0
		.amdhsa_exception_fp_ieee_invalid_op 0
		.amdhsa_exception_fp_denorm_src 0
		.amdhsa_exception_fp_ieee_div_zero 0
		.amdhsa_exception_fp_ieee_overflow 0
		.amdhsa_exception_fp_ieee_underflow 0
		.amdhsa_exception_fp_ieee_inexact 0
		.amdhsa_exception_int_div_zero 0
	.end_amdhsa_kernel
	.section	.text._ZL37rocblas_syrkx_herkx_restricted_kernelIifLi16ELi32ELi8ELi1ELi1ELb0ELc84ELc76EKffEviT_PT9_S1_lS3_S1_lPT10_S1_li,"axG",@progbits,_ZL37rocblas_syrkx_herkx_restricted_kernelIifLi16ELi32ELi8ELi1ELi1ELb0ELc84ELc76EKffEviT_PT9_S1_lS3_S1_lPT10_S1_li,comdat
.Lfunc_end2:
	.size	_ZL37rocblas_syrkx_herkx_restricted_kernelIifLi16ELi32ELi8ELi1ELi1ELb0ELc84ELc76EKffEviT_PT9_S1_lS3_S1_lPT10_S1_li, .Lfunc_end2-_ZL37rocblas_syrkx_herkx_restricted_kernelIifLi16ELi32ELi8ELi1ELi1ELb0ELc84ELc76EKffEviT_PT9_S1_lS3_S1_lPT10_S1_li
                                        ; -- End function
	.section	.AMDGPU.csdata,"",@progbits
; Kernel info:
; codeLenInByte = 1248
; NumSgprs: 22
; NumVgprs: 46
; ScratchSize: 0
; MemoryBound: 0
; FloatMode: 240
; IeeeMode: 1
; LDSByteSize: 2048 bytes/workgroup (compile time only)
; SGPRBlocks: 2
; VGPRBlocks: 5
; NumSGPRsForWavesPerEU: 22
; NumVGPRsForWavesPerEU: 46
; Occupancy: 16
; WaveLimiterHint : 0
; COMPUTE_PGM_RSRC2:SCRATCH_EN: 0
; COMPUTE_PGM_RSRC2:USER_SGPR: 13
; COMPUTE_PGM_RSRC2:TRAP_HANDLER: 0
; COMPUTE_PGM_RSRC2:TGID_X_EN: 1
; COMPUTE_PGM_RSRC2:TGID_Y_EN: 1
; COMPUTE_PGM_RSRC2:TGID_Z_EN: 1
; COMPUTE_PGM_RSRC2:TIDIG_COMP_CNT: 1
	.section	.text._ZL37rocblas_syrkx_herkx_restricted_kernelIifLi16ELi32ELi8ELi1ELi1ELb0ELc67ELc76EKffEviT_PT9_S1_lS3_S1_lPT10_S1_li,"axG",@progbits,_ZL37rocblas_syrkx_herkx_restricted_kernelIifLi16ELi32ELi8ELi1ELi1ELb0ELc67ELc76EKffEviT_PT9_S1_lS3_S1_lPT10_S1_li,comdat
	.globl	_ZL37rocblas_syrkx_herkx_restricted_kernelIifLi16ELi32ELi8ELi1ELi1ELb0ELc67ELc76EKffEviT_PT9_S1_lS3_S1_lPT10_S1_li ; -- Begin function _ZL37rocblas_syrkx_herkx_restricted_kernelIifLi16ELi32ELi8ELi1ELi1ELb0ELc67ELc76EKffEviT_PT9_S1_lS3_S1_lPT10_S1_li
	.p2align	8
	.type	_ZL37rocblas_syrkx_herkx_restricted_kernelIifLi16ELi32ELi8ELi1ELi1ELb0ELc67ELc76EKffEviT_PT9_S1_lS3_S1_lPT10_S1_li,@function
_ZL37rocblas_syrkx_herkx_restricted_kernelIifLi16ELi32ELi8ELi1ELi1ELb0ELc67ELc76EKffEviT_PT9_S1_lS3_S1_lPT10_S1_li: ; @_ZL37rocblas_syrkx_herkx_restricted_kernelIifLi16ELi32ELi8ELi1ELi1ELb0ELc67ELc76EKffEviT_PT9_S1_lS3_S1_lPT10_S1_li
; %bb.0:
	s_clause 0x1
	s_load_b64 s[2:3], s[0:1], 0x0
	s_load_b128 s[4:7], s[0:1], 0x30
	v_dual_mov_b32 v9, 0 :: v_dual_and_b32 v6, 0x3ff, v0
	v_bfe_u32 v7, v0, 10, 10
	v_dual_mov_b32 v8, 0 :: v_dual_mov_b32 v1, 0
	v_mov_b32_e32 v0, 0
	s_lshl_b32 s12, s13, 5
	s_lshl_b32 s13, s14, 5
	s_mov_b32 s14, 0
	s_waitcnt lgkmcnt(0)
	s_cmp_lt_i32 s3, 1
	s_cbranch_scc1 .LBB3_3
; %bb.1:
	s_clause 0x3
	s_load_b32 s18, s[0:1], 0x10
	s_load_b128 s[8:11], s[0:1], 0x18
	s_load_b64 s[16:17], s[0:1], 0x8
	s_load_b32 s19, s[0:1], 0x28
	v_lshl_add_u32 v2, v7, 4, v6
	v_dual_mov_b32 v1, 0 :: v_dual_and_b32 v0, 7, v6
	v_lshlrev_b32_e32 v10, 2, v6
	s_mul_i32 s5, s5, s15
	s_delay_alu instid0(VALU_DEP_3) | instskip(SKIP_3) | instid1(VALU_DEP_4)
	v_lshrrev_b32_e32 v4, 3, v2
	v_and_b32_e32 v5, 31, v2
	v_lshlrev_b32_e32 v3, 2, v0
	v_lshrrev_b32_e32 v2, 5, v2
	v_add_nc_u32_e32 v14, s13, v4
	s_delay_alu instid0(VALU_DEP_4) | instskip(NEXT) | instid1(VALU_DEP_4)
	v_add_nc_u32_e32 v13, s12, v5
	v_lshl_or_b32 v9, v4, 5, v3
	v_dual_mov_b32 v3, v1 :: v_dual_lshlrev_b32 v8, 2, v5
	s_delay_alu instid0(VALU_DEP_2) | instskip(SKIP_1) | instid1(VALU_DEP_2)
	v_add_nc_u32_e32 v12, 0x400, v9
	s_waitcnt lgkmcnt(0)
	v_mad_i64_i32 v[4:5], null, s18, v13, v[2:3]
	s_delay_alu instid0(VALU_DEP_3)
	v_lshl_or_b32 v11, v2, 7, v8
	s_mul_i32 s9, s9, s15
	s_mul_hi_u32 s18, s8, s15
	v_mad_i64_i32 v[2:3], null, s19, v14, v[0:1]
	s_mul_i32 s8, s8, s15
	s_add_i32 s9, s18, s9
	s_delay_alu instid0(VALU_DEP_3)
	v_lshlrev_b64 v[4:5], 2, v[4:5]
	s_lshl_b64 s[8:9], s[8:9], 2
	v_lshl_add_u32 v13, v7, 5, 0x400
	s_add_u32 s8, s16, s8
	s_mul_hi_u32 s16, s4, s15
	s_addc_u32 s9, s17, s9
	s_add_i32 s5, s16, s5
	s_mul_i32 s4, s4, s15
	v_lshlrev_b64 v[8:9], 2, v[2:3]
	s_lshl_b64 s[4:5], s[4:5], 2
	v_add_co_u32 v2, vcc_lo, s8, v4
	s_add_u32 s4, s10, s4
	v_add_co_ci_u32_e32 v3, vcc_lo, s9, v5, vcc_lo
	s_addc_u32 s5, s11, s5
	v_add_co_u32 v4, vcc_lo, s4, v8
	v_add_co_ci_u32_e32 v5, vcc_lo, s5, v9, vcc_lo
	v_mov_b32_e32 v9, v1
	v_mov_b32_e32 v0, v1
	;; [unrolled: 1-line block ×3, first 2 shown]
.LBB3_2:                                ; =>This Inner Loop Header: Depth=1
	global_load_b32 v14, v[2:3], off
	global_load_b32 v15, v[4:5], off
	v_add_co_u32 v2, vcc_lo, v2, 32
	v_add_co_ci_u32_e32 v3, vcc_lo, 0, v3, vcc_lo
	v_add_co_u32 v4, vcc_lo, v4, 32
	v_add_co_ci_u32_e32 v5, vcc_lo, 0, v5, vcc_lo
	s_add_i32 s14, s14, 8
	s_waitcnt vmcnt(1)
	ds_store_b32 v11, v14
	s_waitcnt vmcnt(0)
	ds_store_b32 v12, v15
	s_waitcnt lgkmcnt(0)
	s_barrier
	buffer_gl0_inv
	ds_load_2addr_b32 v[30:31], v10 offset1:16
	ds_load_b128 v[14:17], v13
	ds_load_b128 v[18:21], v13 offset:512
	ds_load_2addr_b32 v[32:33], v10 offset0:32 offset1:48
	ds_load_2addr_b32 v[34:35], v10 offset0:64 offset1:80
	ds_load_b128 v[22:25], v13 offset:16
	ds_load_2addr_b32 v[36:37], v10 offset0:96 offset1:112
	ds_load_2addr_b32 v[38:39], v10 offset0:128 offset1:144
	;; [unrolled: 3-line block ×3, first 2 shown]
	ds_load_2addr_b32 v[44:45], v10 offset0:224 offset1:240
	s_cmp_ge_i32 s14, s3
	s_waitcnt lgkmcnt(0)
	s_barrier
	buffer_gl0_inv
	v_fmac_f32_e32 v8, v31, v14
	v_fmac_f32_e32 v9, v30, v14
	;; [unrolled: 1-line block ×4, first 2 shown]
	s_delay_alu instid0(VALU_DEP_4) | instskip(NEXT) | instid1(VALU_DEP_4)
	v_fmac_f32_e32 v8, v33, v15
	v_fmac_f32_e32 v9, v32, v15
	s_delay_alu instid0(VALU_DEP_4) | instskip(NEXT) | instid1(VALU_DEP_4)
	v_fmac_f32_e32 v1, v33, v19
	v_fmac_f32_e32 v0, v32, v19
	;; [unrolled: 3-line block ×14, first 2 shown]
	s_cbranch_scc0 .LBB3_2
.LBB3_3:
	s_clause 0x1
	s_load_b32 s3, s[0:1], 0x40
	s_load_b64 s[4:5], s[0:1], 0x48
	v_add_nc_u32_e32 v7, s13, v7
	v_add_nc_u32_e32 v2, s12, v6
	s_delay_alu instid0(VALU_DEP_1)
	v_cmp_le_i32_e64 s0, v7, v2
	v_cmp_gt_i32_e32 vcc_lo, s2, v2
	s_waitcnt lgkmcnt(0)
	v_mad_i64_i32 v[3:4], null, v7, s3, 0
	s_mul_i32 s1, s15, s5
	s_mul_hi_u32 s5, s15, s4
	s_mul_i32 s4, s15, s4
	s_add_i32 s5, s5, s1
	s_delay_alu instid0(SALU_CYCLE_1) | instskip(NEXT) | instid1(VALU_DEP_1)
	s_lshl_b64 s[4:5], s[4:5], 2
	v_lshlrev_b64 v[3:4], 2, v[3:4]
	s_add_u32 s4, s6, s4
	s_addc_u32 s5, s7, s5
	s_and_b32 s0, s0, vcc_lo
	s_delay_alu instid0(VALU_DEP_1) | instskip(NEXT) | instid1(VALU_DEP_1)
	v_add_co_u32 v6, s1, s4, v3
	v_add_co_ci_u32_e64 v10, s1, s5, v4, s1
	s_and_saveexec_b32 s1, s0
	s_cbranch_execz .LBB3_5
; %bb.4:
	v_ashrrev_i32_e32 v3, 31, v2
	s_delay_alu instid0(VALU_DEP_1) | instskip(NEXT) | instid1(VALU_DEP_1)
	v_lshlrev_b64 v[3:4], 2, v[2:3]
	v_add_co_u32 v3, s0, v6, v3
	s_delay_alu instid0(VALU_DEP_1)
	v_add_co_ci_u32_e64 v4, s0, v10, v4, s0
	global_load_b32 v5, v[3:4], off
	s_waitcnt vmcnt(0)
	v_add_f32_e32 v5, v9, v5
	global_store_b32 v[3:4], v5, off
.LBB3_5:
	s_or_b32 exec_lo, exec_lo, s1
	v_add_nc_u32_e32 v4, 16, v2
	s_delay_alu instid0(VALU_DEP_1) | instskip(SKIP_1) | instid1(VALU_DEP_1)
	v_cmp_le_i32_e64 s1, v7, v4
	v_cmp_gt_i32_e64 s0, s2, v4
	s_and_b32 s1, s1, s0
	s_delay_alu instid0(SALU_CYCLE_1)
	s_and_saveexec_b32 s2, s1
	s_cbranch_execz .LBB3_7
; %bb.6:
	v_ashrrev_i32_e32 v5, 31, v4
	s_delay_alu instid0(VALU_DEP_1) | instskip(NEXT) | instid1(VALU_DEP_1)
	v_lshlrev_b64 v[11:12], 2, v[4:5]
	v_add_co_u32 v5, s1, v6, v11
	s_delay_alu instid0(VALU_DEP_1)
	v_add_co_ci_u32_e64 v6, s1, v10, v12, s1
	global_load_b32 v3, v[5:6], off
	s_waitcnt vmcnt(0)
	v_add_f32_e32 v3, v8, v3
	global_store_b32 v[5:6], v3, off
.LBB3_7:
	s_or_b32 exec_lo, exec_lo, s2
	v_add_nc_u32_e32 v5, 16, v7
	s_delay_alu instid0(VALU_DEP_1) | instskip(SKIP_1) | instid1(VALU_DEP_2)
	v_mad_i64_i32 v[6:7], null, v5, s3, 0
	v_cmp_le_i32_e64 s1, v5, v2
	v_lshlrev_b64 v[6:7], 2, v[6:7]
	s_delay_alu instid0(VALU_DEP_1) | instskip(NEXT) | instid1(VALU_DEP_1)
	v_add_co_u32 v6, s2, s4, v6
	v_add_co_ci_u32_e64 v7, s2, s5, v7, s2
	s_delay_alu instid0(VALU_DEP_4) | instskip(NEXT) | instid1(SALU_CYCLE_1)
	s_and_b32 s2, s1, vcc_lo
	s_and_saveexec_b32 s1, s2
	s_cbranch_execz .LBB3_9
; %bb.8:
	v_ashrrev_i32_e32 v3, 31, v2
	s_delay_alu instid0(VALU_DEP_1) | instskip(NEXT) | instid1(VALU_DEP_1)
	v_lshlrev_b64 v[2:3], 2, v[2:3]
	v_add_co_u32 v2, vcc_lo, v6, v2
	s_delay_alu instid0(VALU_DEP_2)
	v_add_co_ci_u32_e32 v3, vcc_lo, v7, v3, vcc_lo
	global_load_b32 v8, v[2:3], off
	s_waitcnt vmcnt(0)
	v_add_f32_e32 v0, v0, v8
	global_store_b32 v[2:3], v0, off
.LBB3_9:
	s_or_b32 exec_lo, exec_lo, s1
	v_cmp_le_i32_e32 vcc_lo, v5, v4
	s_and_b32 s0, vcc_lo, s0
	s_delay_alu instid0(SALU_CYCLE_1)
	s_and_saveexec_b32 s1, s0
	s_cbranch_execz .LBB3_11
; %bb.10:
	v_ashrrev_i32_e32 v5, 31, v4
	s_delay_alu instid0(VALU_DEP_1) | instskip(NEXT) | instid1(VALU_DEP_1)
	v_lshlrev_b64 v[2:3], 2, v[4:5]
	v_add_co_u32 v2, vcc_lo, v6, v2
	s_delay_alu instid0(VALU_DEP_2)
	v_add_co_ci_u32_e32 v3, vcc_lo, v7, v3, vcc_lo
	global_load_b32 v0, v[2:3], off
	s_waitcnt vmcnt(0)
	v_add_f32_e32 v0, v1, v0
	global_store_b32 v[2:3], v0, off
.LBB3_11:
	s_nop 0
	s_sendmsg sendmsg(MSG_DEALLOC_VGPRS)
	s_endpgm
	.section	.rodata,"a",@progbits
	.p2align	6, 0x0
	.amdhsa_kernel _ZL37rocblas_syrkx_herkx_restricted_kernelIifLi16ELi32ELi8ELi1ELi1ELb0ELc67ELc76EKffEviT_PT9_S1_lS3_S1_lPT10_S1_li
		.amdhsa_group_segment_fixed_size 2048
		.amdhsa_private_segment_fixed_size 0
		.amdhsa_kernarg_size 84
		.amdhsa_user_sgpr_count 13
		.amdhsa_user_sgpr_dispatch_ptr 0
		.amdhsa_user_sgpr_queue_ptr 0
		.amdhsa_user_sgpr_kernarg_segment_ptr 1
		.amdhsa_user_sgpr_dispatch_id 0
		.amdhsa_user_sgpr_private_segment_size 0
		.amdhsa_wavefront_size32 1
		.amdhsa_uses_dynamic_stack 0
		.amdhsa_enable_private_segment 0
		.amdhsa_system_sgpr_workgroup_id_x 1
		.amdhsa_system_sgpr_workgroup_id_y 1
		.amdhsa_system_sgpr_workgroup_id_z 1
		.amdhsa_system_sgpr_workgroup_info 0
		.amdhsa_system_vgpr_workitem_id 1
		.amdhsa_next_free_vgpr 46
		.amdhsa_next_free_sgpr 20
		.amdhsa_reserve_vcc 1
		.amdhsa_float_round_mode_32 0
		.amdhsa_float_round_mode_16_64 0
		.amdhsa_float_denorm_mode_32 3
		.amdhsa_float_denorm_mode_16_64 3
		.amdhsa_dx10_clamp 1
		.amdhsa_ieee_mode 1
		.amdhsa_fp16_overflow 0
		.amdhsa_workgroup_processor_mode 1
		.amdhsa_memory_ordered 1
		.amdhsa_forward_progress 0
		.amdhsa_shared_vgpr_count 0
		.amdhsa_exception_fp_ieee_invalid_op 0
		.amdhsa_exception_fp_denorm_src 0
		.amdhsa_exception_fp_ieee_div_zero 0
		.amdhsa_exception_fp_ieee_overflow 0
		.amdhsa_exception_fp_ieee_underflow 0
		.amdhsa_exception_fp_ieee_inexact 0
		.amdhsa_exception_int_div_zero 0
	.end_amdhsa_kernel
	.section	.text._ZL37rocblas_syrkx_herkx_restricted_kernelIifLi16ELi32ELi8ELi1ELi1ELb0ELc67ELc76EKffEviT_PT9_S1_lS3_S1_lPT10_S1_li,"axG",@progbits,_ZL37rocblas_syrkx_herkx_restricted_kernelIifLi16ELi32ELi8ELi1ELi1ELb0ELc67ELc76EKffEviT_PT9_S1_lS3_S1_lPT10_S1_li,comdat
.Lfunc_end3:
	.size	_ZL37rocblas_syrkx_herkx_restricted_kernelIifLi16ELi32ELi8ELi1ELi1ELb0ELc67ELc76EKffEviT_PT9_S1_lS3_S1_lPT10_S1_li, .Lfunc_end3-_ZL37rocblas_syrkx_herkx_restricted_kernelIifLi16ELi32ELi8ELi1ELi1ELb0ELc67ELc76EKffEviT_PT9_S1_lS3_S1_lPT10_S1_li
                                        ; -- End function
	.section	.AMDGPU.csdata,"",@progbits
; Kernel info:
; codeLenInByte = 1248
; NumSgprs: 22
; NumVgprs: 46
; ScratchSize: 0
; MemoryBound: 0
; FloatMode: 240
; IeeeMode: 1
; LDSByteSize: 2048 bytes/workgroup (compile time only)
; SGPRBlocks: 2
; VGPRBlocks: 5
; NumSGPRsForWavesPerEU: 22
; NumVGPRsForWavesPerEU: 46
; Occupancy: 16
; WaveLimiterHint : 0
; COMPUTE_PGM_RSRC2:SCRATCH_EN: 0
; COMPUTE_PGM_RSRC2:USER_SGPR: 13
; COMPUTE_PGM_RSRC2:TRAP_HANDLER: 0
; COMPUTE_PGM_RSRC2:TGID_X_EN: 1
; COMPUTE_PGM_RSRC2:TGID_Y_EN: 1
; COMPUTE_PGM_RSRC2:TGID_Z_EN: 1
; COMPUTE_PGM_RSRC2:TIDIG_COMP_CNT: 1
	.section	.text._ZL37rocblas_syrkx_herkx_restricted_kernelIifLi16ELi32ELi8ELi1ELi1ELb0ELc78ELc76EKffEviT_PT9_S1_lS3_S1_lPT10_S1_li,"axG",@progbits,_ZL37rocblas_syrkx_herkx_restricted_kernelIifLi16ELi32ELi8ELi1ELi1ELb0ELc78ELc76EKffEviT_PT9_S1_lS3_S1_lPT10_S1_li,comdat
	.globl	_ZL37rocblas_syrkx_herkx_restricted_kernelIifLi16ELi32ELi8ELi1ELi1ELb0ELc78ELc76EKffEviT_PT9_S1_lS3_S1_lPT10_S1_li ; -- Begin function _ZL37rocblas_syrkx_herkx_restricted_kernelIifLi16ELi32ELi8ELi1ELi1ELb0ELc78ELc76EKffEviT_PT9_S1_lS3_S1_lPT10_S1_li
	.p2align	8
	.type	_ZL37rocblas_syrkx_herkx_restricted_kernelIifLi16ELi32ELi8ELi1ELi1ELb0ELc78ELc76EKffEviT_PT9_S1_lS3_S1_lPT10_S1_li,@function
_ZL37rocblas_syrkx_herkx_restricted_kernelIifLi16ELi32ELi8ELi1ELi1ELb0ELc78ELc76EKffEviT_PT9_S1_lS3_S1_lPT10_S1_li: ; @_ZL37rocblas_syrkx_herkx_restricted_kernelIifLi16ELi32ELi8ELi1ELi1ELb0ELc78ELc76EKffEviT_PT9_S1_lS3_S1_lPT10_S1_li
; %bb.0:
	s_clause 0x1
	s_load_b64 s[2:3], s[0:1], 0x0
	s_load_b128 s[4:7], s[0:1], 0x30
	v_dual_mov_b32 v8, 0 :: v_dual_and_b32 v5, 0x3ff, v0
	v_bfe_u32 v6, v0, 10, 10
	v_dual_mov_b32 v9, 0 :: v_dual_mov_b32 v4, 0
	v_mov_b32_e32 v7, 0
	s_lshl_b32 s12, s13, 5
	s_lshl_b32 s13, s14, 5
	s_mov_b32 s14, 0
	s_waitcnt lgkmcnt(0)
	s_cmp_lt_i32 s3, 1
	s_cbranch_scc1 .LBB4_3
; %bb.1:
	s_clause 0x1
	s_load_b32 s16, s[0:1], 0x10
	s_load_b32 s18, s[0:1], 0x28
	v_lshl_add_u32 v0, v6, 4, v5
	v_and_b32_e32 v4, 7, v5
	s_clause 0x1
	s_load_b128 s[8:11], s[0:1], 0x18
	s_load_b64 s[20:21], s[0:1], 0x8
	s_mul_i32 s5, s5, s15
	v_lshrrev_b32_e32 v1, 3, v0
	v_and_b32_e32 v2, 31, v0
	v_lshrrev_b32_e32 v9, 5, v0
	v_lshlrev_b32_e32 v3, 2, v4
	v_lshlrev_b32_e32 v12, 2, v5
	v_add_nc_u32_e32 v0, s13, v1
	v_lshlrev_b32_e32 v7, 2, v2
	v_add_nc_u32_e32 v2, s12, v2
	v_lshl_or_b32 v11, v1, 5, v3
	v_lshl_add_u32 v13, v6, 5, 0x400
	v_ashrrev_i32_e32 v1, 31, v0
	v_lshl_or_b32 v10, v9, 7, v7
	v_ashrrev_i32_e32 v3, 31, v2
	s_waitcnt lgkmcnt(0)
	s_ashr_i32 s17, s16, 31
	s_ashr_i32 s19, s18, 31
	v_mad_i64_i32 v[7:8], null, s18, v4, v[0:1]
	v_mad_i64_i32 v[0:1], null, s16, v9, v[2:3]
	s_mul_i32 s9, s9, s15
	s_mul_hi_u32 s22, s8, s15
	s_mul_i32 s8, s8, s15
	s_add_i32 s9, s22, s9
	s_delay_alu instid0(VALU_DEP_2) | instskip(SKIP_1) | instid1(VALU_DEP_3)
	v_lshlrev_b64 v[2:3], 2, v[7:8]
	v_mov_b32_e32 v8, 0
	v_lshlrev_b64 v[0:1], 2, v[0:1]
	s_lshl_b64 s[8:9], s[8:9], 2
	v_add_nc_u32_e32 v11, 0x400, v11
	s_add_u32 s8, s20, s8
	s_mul_hi_u32 s20, s4, s15
	s_addc_u32 s9, s21, s9
	v_add_co_u32 v0, vcc_lo, s8, v0
	s_add_i32 s5, s20, s5
	s_mul_i32 s4, s4, s15
	v_add_co_ci_u32_e32 v1, vcc_lo, s9, v1, vcc_lo
	s_lshl_b64 s[8:9], s[4:5], 2
	s_lshl_b64 s[4:5], s[16:17], 5
	s_add_u32 s8, s10, s8
	s_addc_u32 s9, s11, s9
	v_add_co_u32 v2, vcc_lo, s8, v2
	v_add_co_ci_u32_e32 v3, vcc_lo, s9, v3, vcc_lo
	v_dual_mov_b32 v4, 0 :: v_dual_mov_b32 v7, 0
	v_mov_b32_e32 v9, 0
	s_lshl_b64 s[8:9], s[18:19], 5
.LBB4_2:                                ; =>This Inner Loop Header: Depth=1
	global_load_b32 v14, v[0:1], off
	global_load_b32 v15, v[2:3], off
	v_add_co_u32 v0, vcc_lo, v0, s4
	v_add_co_ci_u32_e32 v1, vcc_lo, s5, v1, vcc_lo
	v_add_co_u32 v2, vcc_lo, v2, s8
	v_add_co_ci_u32_e32 v3, vcc_lo, s9, v3, vcc_lo
	s_add_i32 s14, s14, 8
	s_waitcnt vmcnt(1)
	ds_store_b32 v10, v14
	s_waitcnt vmcnt(0)
	ds_store_b32 v11, v15
	s_waitcnt lgkmcnt(0)
	s_barrier
	buffer_gl0_inv
	ds_load_2addr_b32 v[30:31], v12 offset1:16
	ds_load_b128 v[14:17], v13
	ds_load_b128 v[18:21], v13 offset:512
	ds_load_2addr_b32 v[32:33], v12 offset0:32 offset1:48
	ds_load_2addr_b32 v[34:35], v12 offset0:64 offset1:80
	ds_load_b128 v[22:25], v13 offset:16
	ds_load_2addr_b32 v[36:37], v12 offset0:96 offset1:112
	ds_load_2addr_b32 v[38:39], v12 offset0:128 offset1:144
	ds_load_b128 v[26:29], v13 offset:528
	ds_load_2addr_b32 v[40:41], v12 offset0:160 offset1:176
	ds_load_2addr_b32 v[42:43], v12 offset0:192 offset1:208
	ds_load_2addr_b32 v[44:45], v12 offset0:224 offset1:240
	s_cmp_ge_i32 s14, s3
	s_waitcnt lgkmcnt(0)
	s_barrier
	buffer_gl0_inv
	v_fmac_f32_e32 v8, v31, v14
	v_fmac_f32_e32 v9, v30, v14
	;; [unrolled: 1-line block ×3, first 2 shown]
	s_delay_alu instid0(VALU_DEP_3) | instskip(NEXT) | instid1(VALU_DEP_3)
	v_dual_fmac_f32 v7, v30, v18 :: v_dual_fmac_f32 v8, v33, v15
	v_fmac_f32_e32 v9, v32, v15
	s_delay_alu instid0(VALU_DEP_3) | instskip(NEXT) | instid1(VALU_DEP_3)
	v_fmac_f32_e32 v4, v33, v19
	v_dual_fmac_f32 v7, v32, v19 :: v_dual_fmac_f32 v8, v35, v16
	s_delay_alu instid0(VALU_DEP_3) | instskip(NEXT) | instid1(VALU_DEP_3)
	v_fmac_f32_e32 v9, v34, v16
	v_fmac_f32_e32 v4, v35, v20
	s_delay_alu instid0(VALU_DEP_3) | instskip(NEXT) | instid1(VALU_DEP_3)
	v_dual_fmac_f32 v7, v34, v20 :: v_dual_fmac_f32 v8, v37, v17
	v_fmac_f32_e32 v9, v36, v17
	s_delay_alu instid0(VALU_DEP_3) | instskip(NEXT) | instid1(VALU_DEP_3)
	v_fmac_f32_e32 v4, v37, v21
	v_dual_fmac_f32 v7, v36, v21 :: v_dual_fmac_f32 v8, v39, v22
	s_delay_alu instid0(VALU_DEP_3) | instskip(NEXT) | instid1(VALU_DEP_3)
	v_fmac_f32_e32 v9, v38, v22
	v_fmac_f32_e32 v4, v39, v26
	;; [unrolled: 9-line block ×3, first 2 shown]
	s_delay_alu instid0(VALU_DEP_3) | instskip(NEXT) | instid1(VALU_DEP_3)
	v_dual_fmac_f32 v7, v42, v28 :: v_dual_fmac_f32 v8, v45, v25
	v_fmac_f32_e32 v9, v44, v25
	s_delay_alu instid0(VALU_DEP_3) | instskip(NEXT) | instid1(VALU_DEP_3)
	v_fmac_f32_e32 v4, v45, v29
	v_fmac_f32_e32 v7, v44, v29
	s_cbranch_scc0 .LBB4_2
.LBB4_3:
	s_clause 0x1
	s_load_b32 s3, s[0:1], 0x40
	s_load_b64 s[4:5], s[0:1], 0x48
	v_add_nc_u32_e32 v6, s13, v6
	v_add_nc_u32_e32 v0, s12, v5
	s_delay_alu instid0(VALU_DEP_1)
	v_cmp_le_i32_e64 s0, v6, v0
	v_cmp_gt_i32_e32 vcc_lo, s2, v0
	s_waitcnt lgkmcnt(0)
	v_mad_i64_i32 v[1:2], null, v6, s3, 0
	s_mul_i32 s1, s15, s5
	s_mul_hi_u32 s5, s15, s4
	s_mul_i32 s4, s15, s4
	s_add_i32 s5, s5, s1
	s_delay_alu instid0(SALU_CYCLE_1) | instskip(NEXT) | instid1(VALU_DEP_1)
	s_lshl_b64 s[4:5], s[4:5], 2
	v_lshlrev_b64 v[1:2], 2, v[1:2]
	s_add_u32 s4, s6, s4
	s_addc_u32 s5, s7, s5
	s_and_b32 s0, s0, vcc_lo
	s_delay_alu instid0(VALU_DEP_1) | instskip(NEXT) | instid1(VALU_DEP_1)
	v_add_co_u32 v5, s1, s4, v1
	v_add_co_ci_u32_e64 v10, s1, s5, v2, s1
	s_and_saveexec_b32 s1, s0
	s_cbranch_execz .LBB4_5
; %bb.4:
	v_ashrrev_i32_e32 v1, 31, v0
	s_delay_alu instid0(VALU_DEP_1) | instskip(NEXT) | instid1(VALU_DEP_1)
	v_lshlrev_b64 v[1:2], 2, v[0:1]
	v_add_co_u32 v1, s0, v5, v1
	s_delay_alu instid0(VALU_DEP_1)
	v_add_co_ci_u32_e64 v2, s0, v10, v2, s0
	global_load_b32 v3, v[1:2], off
	s_waitcnt vmcnt(0)
	v_add_f32_e32 v3, v9, v3
	global_store_b32 v[1:2], v3, off
.LBB4_5:
	s_or_b32 exec_lo, exec_lo, s1
	v_add_nc_u32_e32 v2, 16, v0
	s_delay_alu instid0(VALU_DEP_1) | instskip(SKIP_1) | instid1(VALU_DEP_1)
	v_cmp_le_i32_e64 s1, v6, v2
	v_cmp_gt_i32_e64 s0, s2, v2
	s_and_b32 s1, s1, s0
	s_delay_alu instid0(SALU_CYCLE_1)
	s_and_saveexec_b32 s2, s1
	s_cbranch_execz .LBB4_7
; %bb.6:
	v_ashrrev_i32_e32 v3, 31, v2
	s_delay_alu instid0(VALU_DEP_1) | instskip(NEXT) | instid1(VALU_DEP_1)
	v_lshlrev_b64 v[11:12], 2, v[2:3]
	v_add_co_u32 v9, s1, v5, v11
	s_delay_alu instid0(VALU_DEP_1)
	v_add_co_ci_u32_e64 v10, s1, v10, v12, s1
	global_load_b32 v1, v[9:10], off
	s_waitcnt vmcnt(0)
	v_add_f32_e32 v1, v8, v1
	global_store_b32 v[9:10], v1, off
.LBB4_7:
	s_or_b32 exec_lo, exec_lo, s2
	v_add_nc_u32_e32 v3, 16, v6
	s_delay_alu instid0(VALU_DEP_1) | instskip(SKIP_1) | instid1(VALU_DEP_2)
	v_mad_i64_i32 v[5:6], null, v3, s3, 0
	v_cmp_le_i32_e64 s1, v3, v0
	v_lshlrev_b64 v[5:6], 2, v[5:6]
	s_delay_alu instid0(VALU_DEP_1) | instskip(NEXT) | instid1(VALU_DEP_1)
	v_add_co_u32 v5, s2, s4, v5
	v_add_co_ci_u32_e64 v6, s2, s5, v6, s2
	s_delay_alu instid0(VALU_DEP_4) | instskip(NEXT) | instid1(SALU_CYCLE_1)
	s_and_b32 s2, s1, vcc_lo
	s_and_saveexec_b32 s1, s2
	s_cbranch_execz .LBB4_9
; %bb.8:
	v_ashrrev_i32_e32 v1, 31, v0
	s_delay_alu instid0(VALU_DEP_1) | instskip(NEXT) | instid1(VALU_DEP_1)
	v_lshlrev_b64 v[0:1], 2, v[0:1]
	v_add_co_u32 v0, vcc_lo, v5, v0
	s_delay_alu instid0(VALU_DEP_2)
	v_add_co_ci_u32_e32 v1, vcc_lo, v6, v1, vcc_lo
	global_load_b32 v8, v[0:1], off
	s_waitcnt vmcnt(0)
	v_add_f32_e32 v7, v7, v8
	global_store_b32 v[0:1], v7, off
.LBB4_9:
	s_or_b32 exec_lo, exec_lo, s1
	v_cmp_le_i32_e32 vcc_lo, v3, v2
	s_and_b32 s0, vcc_lo, s0
	s_delay_alu instid0(SALU_CYCLE_1)
	s_and_saveexec_b32 s1, s0
	s_cbranch_execz .LBB4_11
; %bb.10:
	v_ashrrev_i32_e32 v3, 31, v2
	s_delay_alu instid0(VALU_DEP_1) | instskip(NEXT) | instid1(VALU_DEP_1)
	v_lshlrev_b64 v[0:1], 2, v[2:3]
	v_add_co_u32 v0, vcc_lo, v5, v0
	s_delay_alu instid0(VALU_DEP_2)
	v_add_co_ci_u32_e32 v1, vcc_lo, v6, v1, vcc_lo
	global_load_b32 v2, v[0:1], off
	s_waitcnt vmcnt(0)
	v_add_f32_e32 v2, v4, v2
	global_store_b32 v[0:1], v2, off
.LBB4_11:
	s_nop 0
	s_sendmsg sendmsg(MSG_DEALLOC_VGPRS)
	s_endpgm
	.section	.rodata,"a",@progbits
	.p2align	6, 0x0
	.amdhsa_kernel _ZL37rocblas_syrkx_herkx_restricted_kernelIifLi16ELi32ELi8ELi1ELi1ELb0ELc78ELc76EKffEviT_PT9_S1_lS3_S1_lPT10_S1_li
		.amdhsa_group_segment_fixed_size 2048
		.amdhsa_private_segment_fixed_size 0
		.amdhsa_kernarg_size 84
		.amdhsa_user_sgpr_count 13
		.amdhsa_user_sgpr_dispatch_ptr 0
		.amdhsa_user_sgpr_queue_ptr 0
		.amdhsa_user_sgpr_kernarg_segment_ptr 1
		.amdhsa_user_sgpr_dispatch_id 0
		.amdhsa_user_sgpr_private_segment_size 0
		.amdhsa_wavefront_size32 1
		.amdhsa_uses_dynamic_stack 0
		.amdhsa_enable_private_segment 0
		.amdhsa_system_sgpr_workgroup_id_x 1
		.amdhsa_system_sgpr_workgroup_id_y 1
		.amdhsa_system_sgpr_workgroup_id_z 1
		.amdhsa_system_sgpr_workgroup_info 0
		.amdhsa_system_vgpr_workitem_id 1
		.amdhsa_next_free_vgpr 46
		.amdhsa_next_free_sgpr 23
		.amdhsa_reserve_vcc 1
		.amdhsa_float_round_mode_32 0
		.amdhsa_float_round_mode_16_64 0
		.amdhsa_float_denorm_mode_32 3
		.amdhsa_float_denorm_mode_16_64 3
		.amdhsa_dx10_clamp 1
		.amdhsa_ieee_mode 1
		.amdhsa_fp16_overflow 0
		.amdhsa_workgroup_processor_mode 1
		.amdhsa_memory_ordered 1
		.amdhsa_forward_progress 0
		.amdhsa_shared_vgpr_count 0
		.amdhsa_exception_fp_ieee_invalid_op 0
		.amdhsa_exception_fp_denorm_src 0
		.amdhsa_exception_fp_ieee_div_zero 0
		.amdhsa_exception_fp_ieee_overflow 0
		.amdhsa_exception_fp_ieee_underflow 0
		.amdhsa_exception_fp_ieee_inexact 0
		.amdhsa_exception_int_div_zero 0
	.end_amdhsa_kernel
	.section	.text._ZL37rocblas_syrkx_herkx_restricted_kernelIifLi16ELi32ELi8ELi1ELi1ELb0ELc78ELc76EKffEviT_PT9_S1_lS3_S1_lPT10_S1_li,"axG",@progbits,_ZL37rocblas_syrkx_herkx_restricted_kernelIifLi16ELi32ELi8ELi1ELi1ELb0ELc78ELc76EKffEviT_PT9_S1_lS3_S1_lPT10_S1_li,comdat
.Lfunc_end4:
	.size	_ZL37rocblas_syrkx_herkx_restricted_kernelIifLi16ELi32ELi8ELi1ELi1ELb0ELc78ELc76EKffEviT_PT9_S1_lS3_S1_lPT10_S1_li, .Lfunc_end4-_ZL37rocblas_syrkx_herkx_restricted_kernelIifLi16ELi32ELi8ELi1ELi1ELb0ELc78ELc76EKffEviT_PT9_S1_lS3_S1_lPT10_S1_li
                                        ; -- End function
	.section	.AMDGPU.csdata,"",@progbits
; Kernel info:
; codeLenInByte = 1244
; NumSgprs: 25
; NumVgprs: 46
; ScratchSize: 0
; MemoryBound: 0
; FloatMode: 240
; IeeeMode: 1
; LDSByteSize: 2048 bytes/workgroup (compile time only)
; SGPRBlocks: 3
; VGPRBlocks: 5
; NumSGPRsForWavesPerEU: 25
; NumVGPRsForWavesPerEU: 46
; Occupancy: 16
; WaveLimiterHint : 0
; COMPUTE_PGM_RSRC2:SCRATCH_EN: 0
; COMPUTE_PGM_RSRC2:USER_SGPR: 13
; COMPUTE_PGM_RSRC2:TRAP_HANDLER: 0
; COMPUTE_PGM_RSRC2:TGID_X_EN: 1
; COMPUTE_PGM_RSRC2:TGID_Y_EN: 1
; COMPUTE_PGM_RSRC2:TGID_Z_EN: 1
; COMPUTE_PGM_RSRC2:TIDIG_COMP_CNT: 1
	.section	.text._ZL37rocblas_syrkx_herkx_restricted_kernelIifLi16ELi32ELi8ELi1ELi1ELb0ELc84ELc85EKffEviT_PT9_S1_lS3_S1_lPT10_S1_li,"axG",@progbits,_ZL37rocblas_syrkx_herkx_restricted_kernelIifLi16ELi32ELi8ELi1ELi1ELb0ELc84ELc85EKffEviT_PT9_S1_lS3_S1_lPT10_S1_li,comdat
	.globl	_ZL37rocblas_syrkx_herkx_restricted_kernelIifLi16ELi32ELi8ELi1ELi1ELb0ELc84ELc85EKffEviT_PT9_S1_lS3_S1_lPT10_S1_li ; -- Begin function _ZL37rocblas_syrkx_herkx_restricted_kernelIifLi16ELi32ELi8ELi1ELi1ELb0ELc84ELc85EKffEviT_PT9_S1_lS3_S1_lPT10_S1_li
	.p2align	8
	.type	_ZL37rocblas_syrkx_herkx_restricted_kernelIifLi16ELi32ELi8ELi1ELi1ELb0ELc84ELc85EKffEviT_PT9_S1_lS3_S1_lPT10_S1_li,@function
_ZL37rocblas_syrkx_herkx_restricted_kernelIifLi16ELi32ELi8ELi1ELi1ELb0ELc84ELc85EKffEviT_PT9_S1_lS3_S1_lPT10_S1_li: ; @_ZL37rocblas_syrkx_herkx_restricted_kernelIifLi16ELi32ELi8ELi1ELi1ELb0ELc84ELc85EKffEviT_PT9_S1_lS3_S1_lPT10_S1_li
; %bb.0:
	s_clause 0x1
	s_load_b64 s[2:3], s[0:1], 0x0
	s_load_b128 s[4:7], s[0:1], 0x30
	v_dual_mov_b32 v9, 0 :: v_dual_and_b32 v6, 0x3ff, v0
	v_bfe_u32 v7, v0, 10, 10
	v_dual_mov_b32 v8, 0 :: v_dual_mov_b32 v1, 0
	v_mov_b32_e32 v0, 0
	s_lshl_b32 s12, s13, 5
	s_lshl_b32 s13, s14, 5
	s_mov_b32 s14, 0
	s_waitcnt lgkmcnt(0)
	s_cmp_lt_i32 s3, 1
	s_cbranch_scc1 .LBB5_3
; %bb.1:
	s_clause 0x3
	s_load_b32 s18, s[0:1], 0x10
	s_load_b128 s[8:11], s[0:1], 0x18
	s_load_b64 s[16:17], s[0:1], 0x8
	s_load_b32 s19, s[0:1], 0x28
	v_lshl_add_u32 v2, v7, 4, v6
	v_dual_mov_b32 v1, 0 :: v_dual_and_b32 v0, 7, v6
	v_lshlrev_b32_e32 v10, 2, v6
	s_mul_i32 s5, s5, s15
	s_delay_alu instid0(VALU_DEP_3) | instskip(SKIP_3) | instid1(VALU_DEP_4)
	v_lshrrev_b32_e32 v4, 3, v2
	v_and_b32_e32 v5, 31, v2
	v_lshlrev_b32_e32 v3, 2, v0
	v_lshrrev_b32_e32 v2, 5, v2
	v_add_nc_u32_e32 v14, s13, v4
	s_delay_alu instid0(VALU_DEP_4) | instskip(NEXT) | instid1(VALU_DEP_4)
	v_add_nc_u32_e32 v13, s12, v5
	v_lshl_or_b32 v9, v4, 5, v3
	v_dual_mov_b32 v3, v1 :: v_dual_lshlrev_b32 v8, 2, v5
	s_delay_alu instid0(VALU_DEP_2) | instskip(SKIP_1) | instid1(VALU_DEP_2)
	v_add_nc_u32_e32 v12, 0x400, v9
	s_waitcnt lgkmcnt(0)
	v_mad_i64_i32 v[4:5], null, s18, v13, v[2:3]
	s_delay_alu instid0(VALU_DEP_3)
	v_lshl_or_b32 v11, v2, 7, v8
	s_mul_i32 s9, s9, s15
	s_mul_hi_u32 s18, s8, s15
	v_mad_i64_i32 v[2:3], null, s19, v14, v[0:1]
	s_mul_i32 s8, s8, s15
	s_add_i32 s9, s18, s9
	s_delay_alu instid0(VALU_DEP_3)
	v_lshlrev_b64 v[4:5], 2, v[4:5]
	s_lshl_b64 s[8:9], s[8:9], 2
	v_lshl_add_u32 v13, v7, 5, 0x400
	s_add_u32 s8, s16, s8
	s_mul_hi_u32 s16, s4, s15
	s_addc_u32 s9, s17, s9
	s_add_i32 s5, s16, s5
	s_mul_i32 s4, s4, s15
	v_lshlrev_b64 v[8:9], 2, v[2:3]
	s_lshl_b64 s[4:5], s[4:5], 2
	v_add_co_u32 v2, vcc_lo, s8, v4
	s_add_u32 s4, s10, s4
	v_add_co_ci_u32_e32 v3, vcc_lo, s9, v5, vcc_lo
	s_addc_u32 s5, s11, s5
	v_add_co_u32 v4, vcc_lo, s4, v8
	v_add_co_ci_u32_e32 v5, vcc_lo, s5, v9, vcc_lo
	v_mov_b32_e32 v9, v1
	v_mov_b32_e32 v0, v1
	;; [unrolled: 1-line block ×3, first 2 shown]
.LBB5_2:                                ; =>This Inner Loop Header: Depth=1
	global_load_b32 v14, v[2:3], off
	global_load_b32 v15, v[4:5], off
	v_add_co_u32 v2, vcc_lo, v2, 32
	v_add_co_ci_u32_e32 v3, vcc_lo, 0, v3, vcc_lo
	v_add_co_u32 v4, vcc_lo, v4, 32
	v_add_co_ci_u32_e32 v5, vcc_lo, 0, v5, vcc_lo
	s_add_i32 s14, s14, 8
	s_waitcnt vmcnt(1)
	ds_store_b32 v11, v14
	s_waitcnt vmcnt(0)
	ds_store_b32 v12, v15
	s_waitcnt lgkmcnt(0)
	s_barrier
	buffer_gl0_inv
	ds_load_2addr_b32 v[30:31], v10 offset1:16
	ds_load_b128 v[14:17], v13
	ds_load_b128 v[18:21], v13 offset:512
	ds_load_2addr_b32 v[32:33], v10 offset0:32 offset1:48
	ds_load_2addr_b32 v[34:35], v10 offset0:64 offset1:80
	ds_load_b128 v[22:25], v13 offset:16
	ds_load_2addr_b32 v[36:37], v10 offset0:96 offset1:112
	ds_load_2addr_b32 v[38:39], v10 offset0:128 offset1:144
	;; [unrolled: 3-line block ×3, first 2 shown]
	ds_load_2addr_b32 v[44:45], v10 offset0:224 offset1:240
	s_cmp_ge_i32 s14, s3
	s_waitcnt lgkmcnt(0)
	s_barrier
	buffer_gl0_inv
	v_fmac_f32_e32 v8, v31, v14
	v_fmac_f32_e32 v9, v30, v14
	;; [unrolled: 1-line block ×4, first 2 shown]
	s_delay_alu instid0(VALU_DEP_4) | instskip(NEXT) | instid1(VALU_DEP_4)
	v_fmac_f32_e32 v8, v33, v15
	v_fmac_f32_e32 v9, v32, v15
	s_delay_alu instid0(VALU_DEP_4) | instskip(NEXT) | instid1(VALU_DEP_4)
	v_fmac_f32_e32 v1, v33, v19
	v_fmac_f32_e32 v0, v32, v19
	s_delay_alu instid0(VALU_DEP_4) | instskip(NEXT) | instid1(VALU_DEP_4)
	v_fmac_f32_e32 v8, v35, v16
	v_fmac_f32_e32 v9, v34, v16
	s_delay_alu instid0(VALU_DEP_4) | instskip(NEXT) | instid1(VALU_DEP_4)
	v_fmac_f32_e32 v1, v35, v20
	v_fmac_f32_e32 v0, v34, v20
	s_delay_alu instid0(VALU_DEP_4) | instskip(NEXT) | instid1(VALU_DEP_4)
	v_fmac_f32_e32 v8, v37, v17
	v_fmac_f32_e32 v9, v36, v17
	s_delay_alu instid0(VALU_DEP_4) | instskip(NEXT) | instid1(VALU_DEP_4)
	v_fmac_f32_e32 v1, v37, v21
	v_fmac_f32_e32 v0, v36, v21
	s_delay_alu instid0(VALU_DEP_4) | instskip(NEXT) | instid1(VALU_DEP_4)
	v_fmac_f32_e32 v8, v39, v22
	v_fmac_f32_e32 v9, v38, v22
	s_delay_alu instid0(VALU_DEP_4) | instskip(NEXT) | instid1(VALU_DEP_4)
	v_fmac_f32_e32 v1, v39, v26
	v_fmac_f32_e32 v0, v38, v26
	s_delay_alu instid0(VALU_DEP_4) | instskip(NEXT) | instid1(VALU_DEP_4)
	v_fmac_f32_e32 v8, v41, v23
	v_fmac_f32_e32 v9, v40, v23
	s_delay_alu instid0(VALU_DEP_4) | instskip(NEXT) | instid1(VALU_DEP_4)
	v_fmac_f32_e32 v1, v41, v27
	v_fmac_f32_e32 v0, v40, v27
	s_delay_alu instid0(VALU_DEP_4) | instskip(NEXT) | instid1(VALU_DEP_4)
	v_fmac_f32_e32 v8, v43, v24
	v_fmac_f32_e32 v9, v42, v24
	s_delay_alu instid0(VALU_DEP_4) | instskip(NEXT) | instid1(VALU_DEP_4)
	v_fmac_f32_e32 v1, v43, v28
	v_fmac_f32_e32 v0, v42, v28
	s_delay_alu instid0(VALU_DEP_4) | instskip(NEXT) | instid1(VALU_DEP_4)
	v_fmac_f32_e32 v8, v45, v25
	v_fmac_f32_e32 v9, v44, v25
	s_delay_alu instid0(VALU_DEP_4) | instskip(NEXT) | instid1(VALU_DEP_4)
	v_fmac_f32_e32 v1, v45, v29
	v_fmac_f32_e32 v0, v44, v29
	s_cbranch_scc0 .LBB5_2
.LBB5_3:
	s_clause 0x1
	s_load_b32 s3, s[0:1], 0x40
	s_load_b64 s[0:1], s[0:1], 0x48
	v_add_nc_u32_e32 v7, s13, v7
	v_add_nc_u32_e32 v2, s12, v6
	s_delay_alu instid0(VALU_DEP_2)
	v_cmp_gt_i32_e32 vcc_lo, s2, v7
	s_waitcnt lgkmcnt(0)
	v_mad_i64_i32 v[3:4], null, v7, s3, 0
	s_mul_i32 s1, s15, s1
	s_mul_hi_u32 s4, s15, s0
	s_mul_i32 s0, s15, s0
	s_add_i32 s1, s4, s1
	s_delay_alu instid0(SALU_CYCLE_1) | instskip(NEXT) | instid1(VALU_DEP_1)
	s_lshl_b64 s[4:5], s[0:1], 2
	v_lshlrev_b64 v[3:4], 2, v[3:4]
	s_add_u32 s4, s6, s4
	v_cmp_le_i32_e64 s0, v2, v7
	s_addc_u32 s5, s7, s5
	s_delay_alu instid0(VALU_DEP_2) | instskip(NEXT) | instid1(VALU_DEP_1)
	v_add_co_u32 v6, s1, s4, v3
	v_add_co_ci_u32_e64 v10, s1, s5, v4, s1
	s_delay_alu instid0(VALU_DEP_3) | instskip(NEXT) | instid1(SALU_CYCLE_1)
	s_and_b32 s0, vcc_lo, s0
	s_and_saveexec_b32 s1, s0
	s_cbranch_execz .LBB5_5
; %bb.4:
	v_ashrrev_i32_e32 v3, 31, v2
	s_delay_alu instid0(VALU_DEP_1) | instskip(NEXT) | instid1(VALU_DEP_1)
	v_lshlrev_b64 v[3:4], 2, v[2:3]
	v_add_co_u32 v3, s0, v6, v3
	s_delay_alu instid0(VALU_DEP_1)
	v_add_co_ci_u32_e64 v4, s0, v10, v4, s0
	global_load_b32 v5, v[3:4], off
	s_waitcnt vmcnt(0)
	v_add_f32_e32 v5, v9, v5
	global_store_b32 v[3:4], v5, off
.LBB5_5:
	s_or_b32 exec_lo, exec_lo, s1
	v_add_nc_u32_e32 v4, 16, v2
	s_delay_alu instid0(VALU_DEP_1) | instskip(NEXT) | instid1(VALU_DEP_1)
	v_cmp_le_i32_e64 s0, v4, v7
	s_and_b32 s1, vcc_lo, s0
	s_delay_alu instid0(SALU_CYCLE_1)
	s_and_saveexec_b32 s0, s1
	s_cbranch_execz .LBB5_7
; %bb.6:
	v_ashrrev_i32_e32 v5, 31, v4
	s_delay_alu instid0(VALU_DEP_1) | instskip(NEXT) | instid1(VALU_DEP_1)
	v_lshlrev_b64 v[11:12], 2, v[4:5]
	v_add_co_u32 v5, vcc_lo, v6, v11
	s_delay_alu instid0(VALU_DEP_2)
	v_add_co_ci_u32_e32 v6, vcc_lo, v10, v12, vcc_lo
	global_load_b32 v3, v[5:6], off
	s_waitcnt vmcnt(0)
	v_add_f32_e32 v3, v8, v3
	global_store_b32 v[5:6], v3, off
.LBB5_7:
	s_or_b32 exec_lo, exec_lo, s0
	v_add_nc_u32_e32 v5, 16, v7
	s_delay_alu instid0(VALU_DEP_1) | instskip(SKIP_2) | instid1(VALU_DEP_1)
	v_mad_i64_i32 v[6:7], null, v5, s3, 0
	v_cmp_gt_i32_e32 vcc_lo, s2, v5
	v_cmp_le_i32_e64 s0, v2, v5
	s_and_b32 s0, vcc_lo, s0
	s_delay_alu instid0(VALU_DEP_3) | instskip(NEXT) | instid1(VALU_DEP_1)
	v_lshlrev_b64 v[6:7], 2, v[6:7]
	v_add_co_u32 v6, s1, s4, v6
	s_delay_alu instid0(VALU_DEP_1)
	v_add_co_ci_u32_e64 v7, s1, s5, v7, s1
	s_and_saveexec_b32 s1, s0
	s_cbranch_execz .LBB5_9
; %bb.8:
	v_ashrrev_i32_e32 v3, 31, v2
	s_delay_alu instid0(VALU_DEP_1) | instskip(NEXT) | instid1(VALU_DEP_1)
	v_lshlrev_b64 v[2:3], 2, v[2:3]
	v_add_co_u32 v2, s0, v6, v2
	s_delay_alu instid0(VALU_DEP_1)
	v_add_co_ci_u32_e64 v3, s0, v7, v3, s0
	global_load_b32 v8, v[2:3], off
	s_waitcnt vmcnt(0)
	v_add_f32_e32 v0, v0, v8
	global_store_b32 v[2:3], v0, off
.LBB5_9:
	s_or_b32 exec_lo, exec_lo, s1
	v_cmp_le_i32_e64 s0, v4, v5
	s_delay_alu instid0(VALU_DEP_1) | instskip(NEXT) | instid1(SALU_CYCLE_1)
	s_and_b32 s0, vcc_lo, s0
	s_and_saveexec_b32 s1, s0
	s_cbranch_execz .LBB5_11
; %bb.10:
	v_ashrrev_i32_e32 v5, 31, v4
	s_delay_alu instid0(VALU_DEP_1) | instskip(NEXT) | instid1(VALU_DEP_1)
	v_lshlrev_b64 v[2:3], 2, v[4:5]
	v_add_co_u32 v2, vcc_lo, v6, v2
	s_delay_alu instid0(VALU_DEP_2)
	v_add_co_ci_u32_e32 v3, vcc_lo, v7, v3, vcc_lo
	global_load_b32 v0, v[2:3], off
	s_waitcnt vmcnt(0)
	v_add_f32_e32 v0, v1, v0
	global_store_b32 v[2:3], v0, off
.LBB5_11:
	s_nop 0
	s_sendmsg sendmsg(MSG_DEALLOC_VGPRS)
	s_endpgm
	.section	.rodata,"a",@progbits
	.p2align	6, 0x0
	.amdhsa_kernel _ZL37rocblas_syrkx_herkx_restricted_kernelIifLi16ELi32ELi8ELi1ELi1ELb0ELc84ELc85EKffEviT_PT9_S1_lS3_S1_lPT10_S1_li
		.amdhsa_group_segment_fixed_size 2048
		.amdhsa_private_segment_fixed_size 0
		.amdhsa_kernarg_size 84
		.amdhsa_user_sgpr_count 13
		.amdhsa_user_sgpr_dispatch_ptr 0
		.amdhsa_user_sgpr_queue_ptr 0
		.amdhsa_user_sgpr_kernarg_segment_ptr 1
		.amdhsa_user_sgpr_dispatch_id 0
		.amdhsa_user_sgpr_private_segment_size 0
		.amdhsa_wavefront_size32 1
		.amdhsa_uses_dynamic_stack 0
		.amdhsa_enable_private_segment 0
		.amdhsa_system_sgpr_workgroup_id_x 1
		.amdhsa_system_sgpr_workgroup_id_y 1
		.amdhsa_system_sgpr_workgroup_id_z 1
		.amdhsa_system_sgpr_workgroup_info 0
		.amdhsa_system_vgpr_workitem_id 1
		.amdhsa_next_free_vgpr 46
		.amdhsa_next_free_sgpr 20
		.amdhsa_reserve_vcc 1
		.amdhsa_float_round_mode_32 0
		.amdhsa_float_round_mode_16_64 0
		.amdhsa_float_denorm_mode_32 3
		.amdhsa_float_denorm_mode_16_64 3
		.amdhsa_dx10_clamp 1
		.amdhsa_ieee_mode 1
		.amdhsa_fp16_overflow 0
		.amdhsa_workgroup_processor_mode 1
		.amdhsa_memory_ordered 1
		.amdhsa_forward_progress 0
		.amdhsa_shared_vgpr_count 0
		.amdhsa_exception_fp_ieee_invalid_op 0
		.amdhsa_exception_fp_denorm_src 0
		.amdhsa_exception_fp_ieee_div_zero 0
		.amdhsa_exception_fp_ieee_overflow 0
		.amdhsa_exception_fp_ieee_underflow 0
		.amdhsa_exception_fp_ieee_inexact 0
		.amdhsa_exception_int_div_zero 0
	.end_amdhsa_kernel
	.section	.text._ZL37rocblas_syrkx_herkx_restricted_kernelIifLi16ELi32ELi8ELi1ELi1ELb0ELc84ELc85EKffEviT_PT9_S1_lS3_S1_lPT10_S1_li,"axG",@progbits,_ZL37rocblas_syrkx_herkx_restricted_kernelIifLi16ELi32ELi8ELi1ELi1ELb0ELc84ELc85EKffEviT_PT9_S1_lS3_S1_lPT10_S1_li,comdat
.Lfunc_end5:
	.size	_ZL37rocblas_syrkx_herkx_restricted_kernelIifLi16ELi32ELi8ELi1ELi1ELb0ELc84ELc85EKffEviT_PT9_S1_lS3_S1_lPT10_S1_li, .Lfunc_end5-_ZL37rocblas_syrkx_herkx_restricted_kernelIifLi16ELi32ELi8ELi1ELi1ELb0ELc84ELc85EKffEviT_PT9_S1_lS3_S1_lPT10_S1_li
                                        ; -- End function
	.section	.AMDGPU.csdata,"",@progbits
; Kernel info:
; codeLenInByte = 1252
; NumSgprs: 22
; NumVgprs: 46
; ScratchSize: 0
; MemoryBound: 0
; FloatMode: 240
; IeeeMode: 1
; LDSByteSize: 2048 bytes/workgroup (compile time only)
; SGPRBlocks: 2
; VGPRBlocks: 5
; NumSGPRsForWavesPerEU: 22
; NumVGPRsForWavesPerEU: 46
; Occupancy: 16
; WaveLimiterHint : 0
; COMPUTE_PGM_RSRC2:SCRATCH_EN: 0
; COMPUTE_PGM_RSRC2:USER_SGPR: 13
; COMPUTE_PGM_RSRC2:TRAP_HANDLER: 0
; COMPUTE_PGM_RSRC2:TGID_X_EN: 1
; COMPUTE_PGM_RSRC2:TGID_Y_EN: 1
; COMPUTE_PGM_RSRC2:TGID_Z_EN: 1
; COMPUTE_PGM_RSRC2:TIDIG_COMP_CNT: 1
	.section	.text._ZL37rocblas_syrkx_herkx_restricted_kernelIifLi16ELi32ELi8ELi1ELi1ELb0ELc67ELc85EKffEviT_PT9_S1_lS3_S1_lPT10_S1_li,"axG",@progbits,_ZL37rocblas_syrkx_herkx_restricted_kernelIifLi16ELi32ELi8ELi1ELi1ELb0ELc67ELc85EKffEviT_PT9_S1_lS3_S1_lPT10_S1_li,comdat
	.globl	_ZL37rocblas_syrkx_herkx_restricted_kernelIifLi16ELi32ELi8ELi1ELi1ELb0ELc67ELc85EKffEviT_PT9_S1_lS3_S1_lPT10_S1_li ; -- Begin function _ZL37rocblas_syrkx_herkx_restricted_kernelIifLi16ELi32ELi8ELi1ELi1ELb0ELc67ELc85EKffEviT_PT9_S1_lS3_S1_lPT10_S1_li
	.p2align	8
	.type	_ZL37rocblas_syrkx_herkx_restricted_kernelIifLi16ELi32ELi8ELi1ELi1ELb0ELc67ELc85EKffEviT_PT9_S1_lS3_S1_lPT10_S1_li,@function
_ZL37rocblas_syrkx_herkx_restricted_kernelIifLi16ELi32ELi8ELi1ELi1ELb0ELc67ELc85EKffEviT_PT9_S1_lS3_S1_lPT10_S1_li: ; @_ZL37rocblas_syrkx_herkx_restricted_kernelIifLi16ELi32ELi8ELi1ELi1ELb0ELc67ELc85EKffEviT_PT9_S1_lS3_S1_lPT10_S1_li
; %bb.0:
	s_clause 0x1
	s_load_b64 s[2:3], s[0:1], 0x0
	s_load_b128 s[4:7], s[0:1], 0x30
	v_dual_mov_b32 v9, 0 :: v_dual_and_b32 v6, 0x3ff, v0
	v_bfe_u32 v7, v0, 10, 10
	v_dual_mov_b32 v8, 0 :: v_dual_mov_b32 v1, 0
	v_mov_b32_e32 v0, 0
	s_lshl_b32 s12, s13, 5
	s_lshl_b32 s13, s14, 5
	s_mov_b32 s14, 0
	s_waitcnt lgkmcnt(0)
	s_cmp_lt_i32 s3, 1
	s_cbranch_scc1 .LBB6_3
; %bb.1:
	s_clause 0x3
	s_load_b32 s18, s[0:1], 0x10
	s_load_b128 s[8:11], s[0:1], 0x18
	s_load_b64 s[16:17], s[0:1], 0x8
	s_load_b32 s19, s[0:1], 0x28
	v_lshl_add_u32 v2, v7, 4, v6
	v_dual_mov_b32 v1, 0 :: v_dual_and_b32 v0, 7, v6
	v_lshlrev_b32_e32 v10, 2, v6
	s_mul_i32 s5, s5, s15
	s_delay_alu instid0(VALU_DEP_3) | instskip(SKIP_3) | instid1(VALU_DEP_4)
	v_lshrrev_b32_e32 v4, 3, v2
	v_and_b32_e32 v5, 31, v2
	v_lshlrev_b32_e32 v3, 2, v0
	v_lshrrev_b32_e32 v2, 5, v2
	v_add_nc_u32_e32 v14, s13, v4
	s_delay_alu instid0(VALU_DEP_4) | instskip(NEXT) | instid1(VALU_DEP_4)
	v_add_nc_u32_e32 v13, s12, v5
	v_lshl_or_b32 v9, v4, 5, v3
	v_dual_mov_b32 v3, v1 :: v_dual_lshlrev_b32 v8, 2, v5
	s_delay_alu instid0(VALU_DEP_2) | instskip(SKIP_1) | instid1(VALU_DEP_2)
	v_add_nc_u32_e32 v12, 0x400, v9
	s_waitcnt lgkmcnt(0)
	v_mad_i64_i32 v[4:5], null, s18, v13, v[2:3]
	s_delay_alu instid0(VALU_DEP_3)
	v_lshl_or_b32 v11, v2, 7, v8
	s_mul_i32 s9, s9, s15
	s_mul_hi_u32 s18, s8, s15
	v_mad_i64_i32 v[2:3], null, s19, v14, v[0:1]
	s_mul_i32 s8, s8, s15
	s_add_i32 s9, s18, s9
	s_delay_alu instid0(VALU_DEP_3)
	v_lshlrev_b64 v[4:5], 2, v[4:5]
	s_lshl_b64 s[8:9], s[8:9], 2
	v_lshl_add_u32 v13, v7, 5, 0x400
	s_add_u32 s8, s16, s8
	s_mul_hi_u32 s16, s4, s15
	s_addc_u32 s9, s17, s9
	s_add_i32 s5, s16, s5
	s_mul_i32 s4, s4, s15
	v_lshlrev_b64 v[8:9], 2, v[2:3]
	s_lshl_b64 s[4:5], s[4:5], 2
	v_add_co_u32 v2, vcc_lo, s8, v4
	s_add_u32 s4, s10, s4
	v_add_co_ci_u32_e32 v3, vcc_lo, s9, v5, vcc_lo
	s_addc_u32 s5, s11, s5
	v_add_co_u32 v4, vcc_lo, s4, v8
	v_add_co_ci_u32_e32 v5, vcc_lo, s5, v9, vcc_lo
	v_mov_b32_e32 v9, v1
	v_mov_b32_e32 v0, v1
	;; [unrolled: 1-line block ×3, first 2 shown]
.LBB6_2:                                ; =>This Inner Loop Header: Depth=1
	global_load_b32 v14, v[2:3], off
	global_load_b32 v15, v[4:5], off
	v_add_co_u32 v2, vcc_lo, v2, 32
	v_add_co_ci_u32_e32 v3, vcc_lo, 0, v3, vcc_lo
	v_add_co_u32 v4, vcc_lo, v4, 32
	v_add_co_ci_u32_e32 v5, vcc_lo, 0, v5, vcc_lo
	s_add_i32 s14, s14, 8
	s_waitcnt vmcnt(1)
	ds_store_b32 v11, v14
	s_waitcnt vmcnt(0)
	ds_store_b32 v12, v15
	s_waitcnt lgkmcnt(0)
	s_barrier
	buffer_gl0_inv
	ds_load_2addr_b32 v[30:31], v10 offset1:16
	ds_load_b128 v[14:17], v13
	ds_load_b128 v[18:21], v13 offset:512
	ds_load_2addr_b32 v[32:33], v10 offset0:32 offset1:48
	ds_load_2addr_b32 v[34:35], v10 offset0:64 offset1:80
	ds_load_b128 v[22:25], v13 offset:16
	ds_load_2addr_b32 v[36:37], v10 offset0:96 offset1:112
	ds_load_2addr_b32 v[38:39], v10 offset0:128 offset1:144
	;; [unrolled: 3-line block ×3, first 2 shown]
	ds_load_2addr_b32 v[44:45], v10 offset0:224 offset1:240
	s_cmp_ge_i32 s14, s3
	s_waitcnt lgkmcnt(0)
	s_barrier
	buffer_gl0_inv
	v_fmac_f32_e32 v8, v31, v14
	v_fmac_f32_e32 v9, v30, v14
	;; [unrolled: 1-line block ×4, first 2 shown]
	s_delay_alu instid0(VALU_DEP_4) | instskip(NEXT) | instid1(VALU_DEP_4)
	v_fmac_f32_e32 v8, v33, v15
	v_fmac_f32_e32 v9, v32, v15
	s_delay_alu instid0(VALU_DEP_4) | instskip(NEXT) | instid1(VALU_DEP_4)
	v_fmac_f32_e32 v1, v33, v19
	v_fmac_f32_e32 v0, v32, v19
	;; [unrolled: 3-line block ×14, first 2 shown]
	s_cbranch_scc0 .LBB6_2
.LBB6_3:
	s_clause 0x1
	s_load_b32 s3, s[0:1], 0x40
	s_load_b64 s[0:1], s[0:1], 0x48
	v_add_nc_u32_e32 v7, s13, v7
	v_add_nc_u32_e32 v2, s12, v6
	s_delay_alu instid0(VALU_DEP_2)
	v_cmp_gt_i32_e32 vcc_lo, s2, v7
	s_waitcnt lgkmcnt(0)
	v_mad_i64_i32 v[3:4], null, v7, s3, 0
	s_mul_i32 s1, s15, s1
	s_mul_hi_u32 s4, s15, s0
	s_mul_i32 s0, s15, s0
	s_add_i32 s1, s4, s1
	s_delay_alu instid0(SALU_CYCLE_1) | instskip(NEXT) | instid1(VALU_DEP_1)
	s_lshl_b64 s[4:5], s[0:1], 2
	v_lshlrev_b64 v[3:4], 2, v[3:4]
	s_add_u32 s4, s6, s4
	v_cmp_le_i32_e64 s0, v2, v7
	s_addc_u32 s5, s7, s5
	s_delay_alu instid0(VALU_DEP_2) | instskip(NEXT) | instid1(VALU_DEP_1)
	v_add_co_u32 v6, s1, s4, v3
	v_add_co_ci_u32_e64 v10, s1, s5, v4, s1
	s_delay_alu instid0(VALU_DEP_3) | instskip(NEXT) | instid1(SALU_CYCLE_1)
	s_and_b32 s0, vcc_lo, s0
	s_and_saveexec_b32 s1, s0
	s_cbranch_execz .LBB6_5
; %bb.4:
	v_ashrrev_i32_e32 v3, 31, v2
	s_delay_alu instid0(VALU_DEP_1) | instskip(NEXT) | instid1(VALU_DEP_1)
	v_lshlrev_b64 v[3:4], 2, v[2:3]
	v_add_co_u32 v3, s0, v6, v3
	s_delay_alu instid0(VALU_DEP_1)
	v_add_co_ci_u32_e64 v4, s0, v10, v4, s0
	global_load_b32 v5, v[3:4], off
	s_waitcnt vmcnt(0)
	v_add_f32_e32 v5, v9, v5
	global_store_b32 v[3:4], v5, off
.LBB6_5:
	s_or_b32 exec_lo, exec_lo, s1
	v_add_nc_u32_e32 v4, 16, v2
	s_delay_alu instid0(VALU_DEP_1) | instskip(NEXT) | instid1(VALU_DEP_1)
	v_cmp_le_i32_e64 s0, v4, v7
	s_and_b32 s1, vcc_lo, s0
	s_delay_alu instid0(SALU_CYCLE_1)
	s_and_saveexec_b32 s0, s1
	s_cbranch_execz .LBB6_7
; %bb.6:
	v_ashrrev_i32_e32 v5, 31, v4
	s_delay_alu instid0(VALU_DEP_1) | instskip(NEXT) | instid1(VALU_DEP_1)
	v_lshlrev_b64 v[11:12], 2, v[4:5]
	v_add_co_u32 v5, vcc_lo, v6, v11
	s_delay_alu instid0(VALU_DEP_2)
	v_add_co_ci_u32_e32 v6, vcc_lo, v10, v12, vcc_lo
	global_load_b32 v3, v[5:6], off
	s_waitcnt vmcnt(0)
	v_add_f32_e32 v3, v8, v3
	global_store_b32 v[5:6], v3, off
.LBB6_7:
	s_or_b32 exec_lo, exec_lo, s0
	v_add_nc_u32_e32 v5, 16, v7
	s_delay_alu instid0(VALU_DEP_1) | instskip(SKIP_2) | instid1(VALU_DEP_1)
	v_mad_i64_i32 v[6:7], null, v5, s3, 0
	v_cmp_gt_i32_e32 vcc_lo, s2, v5
	v_cmp_le_i32_e64 s0, v2, v5
	s_and_b32 s0, vcc_lo, s0
	s_delay_alu instid0(VALU_DEP_3) | instskip(NEXT) | instid1(VALU_DEP_1)
	v_lshlrev_b64 v[6:7], 2, v[6:7]
	v_add_co_u32 v6, s1, s4, v6
	s_delay_alu instid0(VALU_DEP_1)
	v_add_co_ci_u32_e64 v7, s1, s5, v7, s1
	s_and_saveexec_b32 s1, s0
	s_cbranch_execz .LBB6_9
; %bb.8:
	v_ashrrev_i32_e32 v3, 31, v2
	s_delay_alu instid0(VALU_DEP_1) | instskip(NEXT) | instid1(VALU_DEP_1)
	v_lshlrev_b64 v[2:3], 2, v[2:3]
	v_add_co_u32 v2, s0, v6, v2
	s_delay_alu instid0(VALU_DEP_1)
	v_add_co_ci_u32_e64 v3, s0, v7, v3, s0
	global_load_b32 v8, v[2:3], off
	s_waitcnt vmcnt(0)
	v_add_f32_e32 v0, v0, v8
	global_store_b32 v[2:3], v0, off
.LBB6_9:
	s_or_b32 exec_lo, exec_lo, s1
	v_cmp_le_i32_e64 s0, v4, v5
	s_delay_alu instid0(VALU_DEP_1) | instskip(NEXT) | instid1(SALU_CYCLE_1)
	s_and_b32 s0, vcc_lo, s0
	s_and_saveexec_b32 s1, s0
	s_cbranch_execz .LBB6_11
; %bb.10:
	v_ashrrev_i32_e32 v5, 31, v4
	s_delay_alu instid0(VALU_DEP_1) | instskip(NEXT) | instid1(VALU_DEP_1)
	v_lshlrev_b64 v[2:3], 2, v[4:5]
	v_add_co_u32 v2, vcc_lo, v6, v2
	s_delay_alu instid0(VALU_DEP_2)
	v_add_co_ci_u32_e32 v3, vcc_lo, v7, v3, vcc_lo
	global_load_b32 v0, v[2:3], off
	s_waitcnt vmcnt(0)
	v_add_f32_e32 v0, v1, v0
	global_store_b32 v[2:3], v0, off
.LBB6_11:
	s_nop 0
	s_sendmsg sendmsg(MSG_DEALLOC_VGPRS)
	s_endpgm
	.section	.rodata,"a",@progbits
	.p2align	6, 0x0
	.amdhsa_kernel _ZL37rocblas_syrkx_herkx_restricted_kernelIifLi16ELi32ELi8ELi1ELi1ELb0ELc67ELc85EKffEviT_PT9_S1_lS3_S1_lPT10_S1_li
		.amdhsa_group_segment_fixed_size 2048
		.amdhsa_private_segment_fixed_size 0
		.amdhsa_kernarg_size 84
		.amdhsa_user_sgpr_count 13
		.amdhsa_user_sgpr_dispatch_ptr 0
		.amdhsa_user_sgpr_queue_ptr 0
		.amdhsa_user_sgpr_kernarg_segment_ptr 1
		.amdhsa_user_sgpr_dispatch_id 0
		.amdhsa_user_sgpr_private_segment_size 0
		.amdhsa_wavefront_size32 1
		.amdhsa_uses_dynamic_stack 0
		.amdhsa_enable_private_segment 0
		.amdhsa_system_sgpr_workgroup_id_x 1
		.amdhsa_system_sgpr_workgroup_id_y 1
		.amdhsa_system_sgpr_workgroup_id_z 1
		.amdhsa_system_sgpr_workgroup_info 0
		.amdhsa_system_vgpr_workitem_id 1
		.amdhsa_next_free_vgpr 46
		.amdhsa_next_free_sgpr 20
		.amdhsa_reserve_vcc 1
		.amdhsa_float_round_mode_32 0
		.amdhsa_float_round_mode_16_64 0
		.amdhsa_float_denorm_mode_32 3
		.amdhsa_float_denorm_mode_16_64 3
		.amdhsa_dx10_clamp 1
		.amdhsa_ieee_mode 1
		.amdhsa_fp16_overflow 0
		.amdhsa_workgroup_processor_mode 1
		.amdhsa_memory_ordered 1
		.amdhsa_forward_progress 0
		.amdhsa_shared_vgpr_count 0
		.amdhsa_exception_fp_ieee_invalid_op 0
		.amdhsa_exception_fp_denorm_src 0
		.amdhsa_exception_fp_ieee_div_zero 0
		.amdhsa_exception_fp_ieee_overflow 0
		.amdhsa_exception_fp_ieee_underflow 0
		.amdhsa_exception_fp_ieee_inexact 0
		.amdhsa_exception_int_div_zero 0
	.end_amdhsa_kernel
	.section	.text._ZL37rocblas_syrkx_herkx_restricted_kernelIifLi16ELi32ELi8ELi1ELi1ELb0ELc67ELc85EKffEviT_PT9_S1_lS3_S1_lPT10_S1_li,"axG",@progbits,_ZL37rocblas_syrkx_herkx_restricted_kernelIifLi16ELi32ELi8ELi1ELi1ELb0ELc67ELc85EKffEviT_PT9_S1_lS3_S1_lPT10_S1_li,comdat
.Lfunc_end6:
	.size	_ZL37rocblas_syrkx_herkx_restricted_kernelIifLi16ELi32ELi8ELi1ELi1ELb0ELc67ELc85EKffEviT_PT9_S1_lS3_S1_lPT10_S1_li, .Lfunc_end6-_ZL37rocblas_syrkx_herkx_restricted_kernelIifLi16ELi32ELi8ELi1ELi1ELb0ELc67ELc85EKffEviT_PT9_S1_lS3_S1_lPT10_S1_li
                                        ; -- End function
	.section	.AMDGPU.csdata,"",@progbits
; Kernel info:
; codeLenInByte = 1252
; NumSgprs: 22
; NumVgprs: 46
; ScratchSize: 0
; MemoryBound: 0
; FloatMode: 240
; IeeeMode: 1
; LDSByteSize: 2048 bytes/workgroup (compile time only)
; SGPRBlocks: 2
; VGPRBlocks: 5
; NumSGPRsForWavesPerEU: 22
; NumVGPRsForWavesPerEU: 46
; Occupancy: 16
; WaveLimiterHint : 0
; COMPUTE_PGM_RSRC2:SCRATCH_EN: 0
; COMPUTE_PGM_RSRC2:USER_SGPR: 13
; COMPUTE_PGM_RSRC2:TRAP_HANDLER: 0
; COMPUTE_PGM_RSRC2:TGID_X_EN: 1
; COMPUTE_PGM_RSRC2:TGID_Y_EN: 1
; COMPUTE_PGM_RSRC2:TGID_Z_EN: 1
; COMPUTE_PGM_RSRC2:TIDIG_COMP_CNT: 1
	.section	.text._ZL37rocblas_syrkx_herkx_restricted_kernelIifLi16ELi32ELi8ELi1ELi1ELb0ELc78ELc85EKffEviT_PT9_S1_lS3_S1_lPT10_S1_li,"axG",@progbits,_ZL37rocblas_syrkx_herkx_restricted_kernelIifLi16ELi32ELi8ELi1ELi1ELb0ELc78ELc85EKffEviT_PT9_S1_lS3_S1_lPT10_S1_li,comdat
	.globl	_ZL37rocblas_syrkx_herkx_restricted_kernelIifLi16ELi32ELi8ELi1ELi1ELb0ELc78ELc85EKffEviT_PT9_S1_lS3_S1_lPT10_S1_li ; -- Begin function _ZL37rocblas_syrkx_herkx_restricted_kernelIifLi16ELi32ELi8ELi1ELi1ELb0ELc78ELc85EKffEviT_PT9_S1_lS3_S1_lPT10_S1_li
	.p2align	8
	.type	_ZL37rocblas_syrkx_herkx_restricted_kernelIifLi16ELi32ELi8ELi1ELi1ELb0ELc78ELc85EKffEviT_PT9_S1_lS3_S1_lPT10_S1_li,@function
_ZL37rocblas_syrkx_herkx_restricted_kernelIifLi16ELi32ELi8ELi1ELi1ELb0ELc78ELc85EKffEviT_PT9_S1_lS3_S1_lPT10_S1_li: ; @_ZL37rocblas_syrkx_herkx_restricted_kernelIifLi16ELi32ELi8ELi1ELi1ELb0ELc78ELc85EKffEviT_PT9_S1_lS3_S1_lPT10_S1_li
; %bb.0:
	s_clause 0x1
	s_load_b64 s[2:3], s[0:1], 0x0
	s_load_b128 s[4:7], s[0:1], 0x30
	v_dual_mov_b32 v8, 0 :: v_dual_and_b32 v5, 0x3ff, v0
	v_bfe_u32 v6, v0, 10, 10
	v_dual_mov_b32 v9, 0 :: v_dual_mov_b32 v4, 0
	v_mov_b32_e32 v7, 0
	s_lshl_b32 s12, s13, 5
	s_lshl_b32 s13, s14, 5
	s_mov_b32 s14, 0
	s_waitcnt lgkmcnt(0)
	s_cmp_lt_i32 s3, 1
	s_cbranch_scc1 .LBB7_3
; %bb.1:
	s_clause 0x1
	s_load_b32 s16, s[0:1], 0x10
	s_load_b32 s18, s[0:1], 0x28
	v_lshl_add_u32 v0, v6, 4, v5
	v_and_b32_e32 v4, 7, v5
	s_clause 0x1
	s_load_b128 s[8:11], s[0:1], 0x18
	s_load_b64 s[20:21], s[0:1], 0x8
	s_mul_i32 s5, s5, s15
	v_lshrrev_b32_e32 v1, 3, v0
	v_and_b32_e32 v2, 31, v0
	v_lshrrev_b32_e32 v9, 5, v0
	v_lshlrev_b32_e32 v3, 2, v4
	v_lshlrev_b32_e32 v12, 2, v5
	v_add_nc_u32_e32 v0, s13, v1
	v_lshlrev_b32_e32 v7, 2, v2
	v_add_nc_u32_e32 v2, s12, v2
	v_lshl_or_b32 v11, v1, 5, v3
	v_lshl_add_u32 v13, v6, 5, 0x400
	v_ashrrev_i32_e32 v1, 31, v0
	v_lshl_or_b32 v10, v9, 7, v7
	v_ashrrev_i32_e32 v3, 31, v2
	s_waitcnt lgkmcnt(0)
	s_ashr_i32 s17, s16, 31
	s_ashr_i32 s19, s18, 31
	v_mad_i64_i32 v[7:8], null, s18, v4, v[0:1]
	v_mad_i64_i32 v[0:1], null, s16, v9, v[2:3]
	s_mul_i32 s9, s9, s15
	s_mul_hi_u32 s22, s8, s15
	s_mul_i32 s8, s8, s15
	s_add_i32 s9, s22, s9
	s_delay_alu instid0(VALU_DEP_2) | instskip(SKIP_1) | instid1(VALU_DEP_3)
	v_lshlrev_b64 v[2:3], 2, v[7:8]
	v_mov_b32_e32 v8, 0
	v_lshlrev_b64 v[0:1], 2, v[0:1]
	s_lshl_b64 s[8:9], s[8:9], 2
	v_add_nc_u32_e32 v11, 0x400, v11
	s_add_u32 s8, s20, s8
	s_mul_hi_u32 s20, s4, s15
	s_addc_u32 s9, s21, s9
	v_add_co_u32 v0, vcc_lo, s8, v0
	s_add_i32 s5, s20, s5
	s_mul_i32 s4, s4, s15
	v_add_co_ci_u32_e32 v1, vcc_lo, s9, v1, vcc_lo
	s_lshl_b64 s[8:9], s[4:5], 2
	s_lshl_b64 s[4:5], s[16:17], 5
	s_add_u32 s8, s10, s8
	s_addc_u32 s9, s11, s9
	v_add_co_u32 v2, vcc_lo, s8, v2
	v_add_co_ci_u32_e32 v3, vcc_lo, s9, v3, vcc_lo
	v_dual_mov_b32 v4, 0 :: v_dual_mov_b32 v7, 0
	v_mov_b32_e32 v9, 0
	s_lshl_b64 s[8:9], s[18:19], 5
.LBB7_2:                                ; =>This Inner Loop Header: Depth=1
	global_load_b32 v14, v[0:1], off
	global_load_b32 v15, v[2:3], off
	v_add_co_u32 v0, vcc_lo, v0, s4
	v_add_co_ci_u32_e32 v1, vcc_lo, s5, v1, vcc_lo
	v_add_co_u32 v2, vcc_lo, v2, s8
	v_add_co_ci_u32_e32 v3, vcc_lo, s9, v3, vcc_lo
	s_add_i32 s14, s14, 8
	s_waitcnt vmcnt(1)
	ds_store_b32 v10, v14
	s_waitcnt vmcnt(0)
	ds_store_b32 v11, v15
	s_waitcnt lgkmcnt(0)
	s_barrier
	buffer_gl0_inv
	ds_load_2addr_b32 v[30:31], v12 offset1:16
	ds_load_b128 v[14:17], v13
	ds_load_b128 v[18:21], v13 offset:512
	ds_load_2addr_b32 v[32:33], v12 offset0:32 offset1:48
	ds_load_2addr_b32 v[34:35], v12 offset0:64 offset1:80
	ds_load_b128 v[22:25], v13 offset:16
	ds_load_2addr_b32 v[36:37], v12 offset0:96 offset1:112
	ds_load_2addr_b32 v[38:39], v12 offset0:128 offset1:144
	;; [unrolled: 3-line block ×3, first 2 shown]
	ds_load_2addr_b32 v[44:45], v12 offset0:224 offset1:240
	s_cmp_ge_i32 s14, s3
	s_waitcnt lgkmcnt(0)
	s_barrier
	buffer_gl0_inv
	v_fmac_f32_e32 v8, v31, v14
	v_fmac_f32_e32 v9, v30, v14
	;; [unrolled: 1-line block ×3, first 2 shown]
	s_delay_alu instid0(VALU_DEP_3) | instskip(NEXT) | instid1(VALU_DEP_3)
	v_dual_fmac_f32 v7, v30, v18 :: v_dual_fmac_f32 v8, v33, v15
	v_fmac_f32_e32 v9, v32, v15
	s_delay_alu instid0(VALU_DEP_3) | instskip(NEXT) | instid1(VALU_DEP_3)
	v_fmac_f32_e32 v4, v33, v19
	v_dual_fmac_f32 v7, v32, v19 :: v_dual_fmac_f32 v8, v35, v16
	s_delay_alu instid0(VALU_DEP_3) | instskip(NEXT) | instid1(VALU_DEP_3)
	v_fmac_f32_e32 v9, v34, v16
	v_fmac_f32_e32 v4, v35, v20
	s_delay_alu instid0(VALU_DEP_3) | instskip(NEXT) | instid1(VALU_DEP_3)
	v_dual_fmac_f32 v7, v34, v20 :: v_dual_fmac_f32 v8, v37, v17
	v_fmac_f32_e32 v9, v36, v17
	s_delay_alu instid0(VALU_DEP_3) | instskip(NEXT) | instid1(VALU_DEP_3)
	v_fmac_f32_e32 v4, v37, v21
	v_dual_fmac_f32 v7, v36, v21 :: v_dual_fmac_f32 v8, v39, v22
	s_delay_alu instid0(VALU_DEP_3) | instskip(NEXT) | instid1(VALU_DEP_3)
	v_fmac_f32_e32 v9, v38, v22
	v_fmac_f32_e32 v4, v39, v26
	;; [unrolled: 9-line block ×3, first 2 shown]
	s_delay_alu instid0(VALU_DEP_3) | instskip(NEXT) | instid1(VALU_DEP_3)
	v_dual_fmac_f32 v7, v42, v28 :: v_dual_fmac_f32 v8, v45, v25
	v_fmac_f32_e32 v9, v44, v25
	s_delay_alu instid0(VALU_DEP_3) | instskip(NEXT) | instid1(VALU_DEP_3)
	v_fmac_f32_e32 v4, v45, v29
	v_fmac_f32_e32 v7, v44, v29
	s_cbranch_scc0 .LBB7_2
.LBB7_3:
	s_clause 0x1
	s_load_b32 s3, s[0:1], 0x40
	s_load_b64 s[0:1], s[0:1], 0x48
	v_add_nc_u32_e32 v6, s13, v6
	v_add_nc_u32_e32 v0, s12, v5
	s_delay_alu instid0(VALU_DEP_2)
	v_cmp_gt_i32_e32 vcc_lo, s2, v6
	s_waitcnt lgkmcnt(0)
	v_mad_i64_i32 v[1:2], null, v6, s3, 0
	s_mul_i32 s1, s15, s1
	s_mul_hi_u32 s4, s15, s0
	s_mul_i32 s0, s15, s0
	s_add_i32 s1, s4, s1
	s_delay_alu instid0(SALU_CYCLE_1) | instskip(NEXT) | instid1(VALU_DEP_1)
	s_lshl_b64 s[4:5], s[0:1], 2
	v_lshlrev_b64 v[1:2], 2, v[1:2]
	s_add_u32 s4, s6, s4
	v_cmp_le_i32_e64 s0, v0, v6
	s_addc_u32 s5, s7, s5
	s_delay_alu instid0(VALU_DEP_2) | instskip(NEXT) | instid1(VALU_DEP_1)
	v_add_co_u32 v5, s1, s4, v1
	v_add_co_ci_u32_e64 v10, s1, s5, v2, s1
	s_delay_alu instid0(VALU_DEP_3) | instskip(NEXT) | instid1(SALU_CYCLE_1)
	s_and_b32 s0, vcc_lo, s0
	s_and_saveexec_b32 s1, s0
	s_cbranch_execz .LBB7_5
; %bb.4:
	v_ashrrev_i32_e32 v1, 31, v0
	s_delay_alu instid0(VALU_DEP_1) | instskip(NEXT) | instid1(VALU_DEP_1)
	v_lshlrev_b64 v[1:2], 2, v[0:1]
	v_add_co_u32 v1, s0, v5, v1
	s_delay_alu instid0(VALU_DEP_1)
	v_add_co_ci_u32_e64 v2, s0, v10, v2, s0
	global_load_b32 v3, v[1:2], off
	s_waitcnt vmcnt(0)
	v_add_f32_e32 v3, v9, v3
	global_store_b32 v[1:2], v3, off
.LBB7_5:
	s_or_b32 exec_lo, exec_lo, s1
	v_add_nc_u32_e32 v2, 16, v0
	s_delay_alu instid0(VALU_DEP_1) | instskip(NEXT) | instid1(VALU_DEP_1)
	v_cmp_le_i32_e64 s0, v2, v6
	s_and_b32 s1, vcc_lo, s0
	s_delay_alu instid0(SALU_CYCLE_1)
	s_and_saveexec_b32 s0, s1
	s_cbranch_execz .LBB7_7
; %bb.6:
	v_ashrrev_i32_e32 v3, 31, v2
	s_delay_alu instid0(VALU_DEP_1) | instskip(NEXT) | instid1(VALU_DEP_1)
	v_lshlrev_b64 v[11:12], 2, v[2:3]
	v_add_co_u32 v9, vcc_lo, v5, v11
	s_delay_alu instid0(VALU_DEP_2)
	v_add_co_ci_u32_e32 v10, vcc_lo, v10, v12, vcc_lo
	global_load_b32 v1, v[9:10], off
	s_waitcnt vmcnt(0)
	v_add_f32_e32 v1, v8, v1
	global_store_b32 v[9:10], v1, off
.LBB7_7:
	s_or_b32 exec_lo, exec_lo, s0
	v_add_nc_u32_e32 v3, 16, v6
	s_delay_alu instid0(VALU_DEP_1) | instskip(SKIP_2) | instid1(VALU_DEP_1)
	v_mad_i64_i32 v[5:6], null, v3, s3, 0
	v_cmp_gt_i32_e32 vcc_lo, s2, v3
	v_cmp_le_i32_e64 s0, v0, v3
	s_and_b32 s0, vcc_lo, s0
	s_delay_alu instid0(VALU_DEP_3) | instskip(NEXT) | instid1(VALU_DEP_1)
	v_lshlrev_b64 v[5:6], 2, v[5:6]
	v_add_co_u32 v5, s1, s4, v5
	s_delay_alu instid0(VALU_DEP_1)
	v_add_co_ci_u32_e64 v6, s1, s5, v6, s1
	s_and_saveexec_b32 s1, s0
	s_cbranch_execz .LBB7_9
; %bb.8:
	v_ashrrev_i32_e32 v1, 31, v0
	s_delay_alu instid0(VALU_DEP_1) | instskip(NEXT) | instid1(VALU_DEP_1)
	v_lshlrev_b64 v[0:1], 2, v[0:1]
	v_add_co_u32 v0, s0, v5, v0
	s_delay_alu instid0(VALU_DEP_1)
	v_add_co_ci_u32_e64 v1, s0, v6, v1, s0
	global_load_b32 v8, v[0:1], off
	s_waitcnt vmcnt(0)
	v_add_f32_e32 v7, v7, v8
	global_store_b32 v[0:1], v7, off
.LBB7_9:
	s_or_b32 exec_lo, exec_lo, s1
	v_cmp_le_i32_e64 s0, v2, v3
	s_delay_alu instid0(VALU_DEP_1) | instskip(NEXT) | instid1(SALU_CYCLE_1)
	s_and_b32 s0, vcc_lo, s0
	s_and_saveexec_b32 s1, s0
	s_cbranch_execz .LBB7_11
; %bb.10:
	v_ashrrev_i32_e32 v3, 31, v2
	s_delay_alu instid0(VALU_DEP_1) | instskip(NEXT) | instid1(VALU_DEP_1)
	v_lshlrev_b64 v[0:1], 2, v[2:3]
	v_add_co_u32 v0, vcc_lo, v5, v0
	s_delay_alu instid0(VALU_DEP_2)
	v_add_co_ci_u32_e32 v1, vcc_lo, v6, v1, vcc_lo
	global_load_b32 v2, v[0:1], off
	s_waitcnt vmcnt(0)
	v_add_f32_e32 v2, v4, v2
	global_store_b32 v[0:1], v2, off
.LBB7_11:
	s_nop 0
	s_sendmsg sendmsg(MSG_DEALLOC_VGPRS)
	s_endpgm
	.section	.rodata,"a",@progbits
	.p2align	6, 0x0
	.amdhsa_kernel _ZL37rocblas_syrkx_herkx_restricted_kernelIifLi16ELi32ELi8ELi1ELi1ELb0ELc78ELc85EKffEviT_PT9_S1_lS3_S1_lPT10_S1_li
		.amdhsa_group_segment_fixed_size 2048
		.amdhsa_private_segment_fixed_size 0
		.amdhsa_kernarg_size 84
		.amdhsa_user_sgpr_count 13
		.amdhsa_user_sgpr_dispatch_ptr 0
		.amdhsa_user_sgpr_queue_ptr 0
		.amdhsa_user_sgpr_kernarg_segment_ptr 1
		.amdhsa_user_sgpr_dispatch_id 0
		.amdhsa_user_sgpr_private_segment_size 0
		.amdhsa_wavefront_size32 1
		.amdhsa_uses_dynamic_stack 0
		.amdhsa_enable_private_segment 0
		.amdhsa_system_sgpr_workgroup_id_x 1
		.amdhsa_system_sgpr_workgroup_id_y 1
		.amdhsa_system_sgpr_workgroup_id_z 1
		.amdhsa_system_sgpr_workgroup_info 0
		.amdhsa_system_vgpr_workitem_id 1
		.amdhsa_next_free_vgpr 46
		.amdhsa_next_free_sgpr 23
		.amdhsa_reserve_vcc 1
		.amdhsa_float_round_mode_32 0
		.amdhsa_float_round_mode_16_64 0
		.amdhsa_float_denorm_mode_32 3
		.amdhsa_float_denorm_mode_16_64 3
		.amdhsa_dx10_clamp 1
		.amdhsa_ieee_mode 1
		.amdhsa_fp16_overflow 0
		.amdhsa_workgroup_processor_mode 1
		.amdhsa_memory_ordered 1
		.amdhsa_forward_progress 0
		.amdhsa_shared_vgpr_count 0
		.amdhsa_exception_fp_ieee_invalid_op 0
		.amdhsa_exception_fp_denorm_src 0
		.amdhsa_exception_fp_ieee_div_zero 0
		.amdhsa_exception_fp_ieee_overflow 0
		.amdhsa_exception_fp_ieee_underflow 0
		.amdhsa_exception_fp_ieee_inexact 0
		.amdhsa_exception_int_div_zero 0
	.end_amdhsa_kernel
	.section	.text._ZL37rocblas_syrkx_herkx_restricted_kernelIifLi16ELi32ELi8ELi1ELi1ELb0ELc78ELc85EKffEviT_PT9_S1_lS3_S1_lPT10_S1_li,"axG",@progbits,_ZL37rocblas_syrkx_herkx_restricted_kernelIifLi16ELi32ELi8ELi1ELi1ELb0ELc78ELc85EKffEviT_PT9_S1_lS3_S1_lPT10_S1_li,comdat
.Lfunc_end7:
	.size	_ZL37rocblas_syrkx_herkx_restricted_kernelIifLi16ELi32ELi8ELi1ELi1ELb0ELc78ELc85EKffEviT_PT9_S1_lS3_S1_lPT10_S1_li, .Lfunc_end7-_ZL37rocblas_syrkx_herkx_restricted_kernelIifLi16ELi32ELi8ELi1ELi1ELb0ELc78ELc85EKffEviT_PT9_S1_lS3_S1_lPT10_S1_li
                                        ; -- End function
	.section	.AMDGPU.csdata,"",@progbits
; Kernel info:
; codeLenInByte = 1248
; NumSgprs: 25
; NumVgprs: 46
; ScratchSize: 0
; MemoryBound: 0
; FloatMode: 240
; IeeeMode: 1
; LDSByteSize: 2048 bytes/workgroup (compile time only)
; SGPRBlocks: 3
; VGPRBlocks: 5
; NumSGPRsForWavesPerEU: 25
; NumVGPRsForWavesPerEU: 46
; Occupancy: 16
; WaveLimiterHint : 0
; COMPUTE_PGM_RSRC2:SCRATCH_EN: 0
; COMPUTE_PGM_RSRC2:USER_SGPR: 13
; COMPUTE_PGM_RSRC2:TRAP_HANDLER: 0
; COMPUTE_PGM_RSRC2:TGID_X_EN: 1
; COMPUTE_PGM_RSRC2:TGID_Y_EN: 1
; COMPUTE_PGM_RSRC2:TGID_Z_EN: 1
; COMPUTE_PGM_RSRC2:TIDIG_COMP_CNT: 1
	.section	.text._ZL37rocblas_syrkx_herkx_restricted_kernelIifLi16ELi32ELi8ELi1ELin1ELb0ELc84ELc76EKffEviT_PT9_S1_lS3_S1_lPT10_S1_li,"axG",@progbits,_ZL37rocblas_syrkx_herkx_restricted_kernelIifLi16ELi32ELi8ELi1ELin1ELb0ELc84ELc76EKffEviT_PT9_S1_lS3_S1_lPT10_S1_li,comdat
	.globl	_ZL37rocblas_syrkx_herkx_restricted_kernelIifLi16ELi32ELi8ELi1ELin1ELb0ELc84ELc76EKffEviT_PT9_S1_lS3_S1_lPT10_S1_li ; -- Begin function _ZL37rocblas_syrkx_herkx_restricted_kernelIifLi16ELi32ELi8ELi1ELin1ELb0ELc84ELc76EKffEviT_PT9_S1_lS3_S1_lPT10_S1_li
	.p2align	8
	.type	_ZL37rocblas_syrkx_herkx_restricted_kernelIifLi16ELi32ELi8ELi1ELin1ELb0ELc84ELc76EKffEviT_PT9_S1_lS3_S1_lPT10_S1_li,@function
_ZL37rocblas_syrkx_herkx_restricted_kernelIifLi16ELi32ELi8ELi1ELin1ELb0ELc84ELc76EKffEviT_PT9_S1_lS3_S1_lPT10_S1_li: ; @_ZL37rocblas_syrkx_herkx_restricted_kernelIifLi16ELi32ELi8ELi1ELin1ELb0ELc84ELc76EKffEviT_PT9_S1_lS3_S1_lPT10_S1_li
; %bb.0:
	s_clause 0x1
	s_load_b64 s[2:3], s[0:1], 0x0
	s_load_b128 s[4:7], s[0:1], 0x30
	v_dual_mov_b32 v9, 0 :: v_dual_and_b32 v6, 0x3ff, v0
	v_bfe_u32 v7, v0, 10, 10
	v_dual_mov_b32 v8, 0 :: v_dual_mov_b32 v1, 0
	v_mov_b32_e32 v0, 0
	s_lshl_b32 s12, s13, 5
	s_lshl_b32 s13, s14, 5
	s_mov_b32 s14, 0
	s_waitcnt lgkmcnt(0)
	s_cmp_lt_i32 s3, 1
	s_cbranch_scc1 .LBB8_3
; %bb.1:
	s_clause 0x3
	s_load_b32 s18, s[0:1], 0x10
	s_load_b128 s[8:11], s[0:1], 0x18
	s_load_b64 s[16:17], s[0:1], 0x8
	s_load_b32 s19, s[0:1], 0x28
	v_lshl_add_u32 v2, v7, 4, v6
	v_dual_mov_b32 v1, 0 :: v_dual_and_b32 v0, 7, v6
	v_lshlrev_b32_e32 v10, 2, v6
	s_mul_i32 s5, s5, s15
	s_delay_alu instid0(VALU_DEP_3) | instskip(SKIP_3) | instid1(VALU_DEP_4)
	v_lshrrev_b32_e32 v4, 3, v2
	v_and_b32_e32 v5, 31, v2
	v_lshlrev_b32_e32 v3, 2, v0
	v_lshrrev_b32_e32 v2, 5, v2
	v_add_nc_u32_e32 v14, s13, v4
	s_delay_alu instid0(VALU_DEP_4) | instskip(NEXT) | instid1(VALU_DEP_4)
	v_add_nc_u32_e32 v13, s12, v5
	v_lshl_or_b32 v9, v4, 5, v3
	v_dual_mov_b32 v3, v1 :: v_dual_lshlrev_b32 v8, 2, v5
	s_delay_alu instid0(VALU_DEP_2) | instskip(SKIP_1) | instid1(VALU_DEP_2)
	v_add_nc_u32_e32 v12, 0x400, v9
	s_waitcnt lgkmcnt(0)
	v_mad_i64_i32 v[4:5], null, s18, v13, v[2:3]
	s_delay_alu instid0(VALU_DEP_3)
	v_lshl_or_b32 v11, v2, 7, v8
	s_mul_i32 s9, s9, s15
	s_mul_hi_u32 s18, s8, s15
	v_mad_i64_i32 v[2:3], null, s19, v14, v[0:1]
	s_mul_i32 s8, s8, s15
	s_add_i32 s9, s18, s9
	s_delay_alu instid0(VALU_DEP_3)
	v_lshlrev_b64 v[4:5], 2, v[4:5]
	s_lshl_b64 s[8:9], s[8:9], 2
	v_lshl_add_u32 v13, v7, 5, 0x400
	s_add_u32 s8, s16, s8
	s_mul_hi_u32 s16, s4, s15
	s_addc_u32 s9, s17, s9
	s_add_i32 s5, s16, s5
	s_mul_i32 s4, s4, s15
	v_lshlrev_b64 v[8:9], 2, v[2:3]
	s_lshl_b64 s[4:5], s[4:5], 2
	v_add_co_u32 v2, vcc_lo, s8, v4
	s_add_u32 s4, s10, s4
	v_add_co_ci_u32_e32 v3, vcc_lo, s9, v5, vcc_lo
	s_addc_u32 s5, s11, s5
	v_add_co_u32 v4, vcc_lo, s4, v8
	v_add_co_ci_u32_e32 v5, vcc_lo, s5, v9, vcc_lo
	v_mov_b32_e32 v9, v1
	v_mov_b32_e32 v0, v1
	;; [unrolled: 1-line block ×3, first 2 shown]
.LBB8_2:                                ; =>This Inner Loop Header: Depth=1
	global_load_b32 v14, v[2:3], off
	global_load_b32 v15, v[4:5], off
	v_add_co_u32 v2, vcc_lo, v2, 32
	v_add_co_ci_u32_e32 v3, vcc_lo, 0, v3, vcc_lo
	v_add_co_u32 v4, vcc_lo, v4, 32
	v_add_co_ci_u32_e32 v5, vcc_lo, 0, v5, vcc_lo
	s_add_i32 s14, s14, 8
	s_waitcnt vmcnt(1)
	ds_store_b32 v11, v14
	s_waitcnt vmcnt(0)
	ds_store_b32 v12, v15
	s_waitcnt lgkmcnt(0)
	s_barrier
	buffer_gl0_inv
	ds_load_2addr_b32 v[30:31], v10 offset1:16
	ds_load_b128 v[14:17], v13
	ds_load_b128 v[18:21], v13 offset:512
	ds_load_2addr_b32 v[32:33], v10 offset0:32 offset1:48
	ds_load_2addr_b32 v[34:35], v10 offset0:64 offset1:80
	ds_load_b128 v[22:25], v13 offset:16
	ds_load_2addr_b32 v[36:37], v10 offset0:96 offset1:112
	ds_load_2addr_b32 v[38:39], v10 offset0:128 offset1:144
	;; [unrolled: 3-line block ×3, first 2 shown]
	ds_load_2addr_b32 v[44:45], v10 offset0:224 offset1:240
	s_cmp_ge_i32 s14, s3
	s_waitcnt lgkmcnt(0)
	s_barrier
	buffer_gl0_inv
	v_fmac_f32_e32 v8, v31, v14
	v_fmac_f32_e32 v9, v30, v14
	;; [unrolled: 1-line block ×4, first 2 shown]
	s_delay_alu instid0(VALU_DEP_4) | instskip(NEXT) | instid1(VALU_DEP_4)
	v_fmac_f32_e32 v8, v33, v15
	v_fmac_f32_e32 v9, v32, v15
	s_delay_alu instid0(VALU_DEP_4) | instskip(NEXT) | instid1(VALU_DEP_4)
	v_fmac_f32_e32 v1, v33, v19
	v_fmac_f32_e32 v0, v32, v19
	;; [unrolled: 3-line block ×14, first 2 shown]
	s_cbranch_scc0 .LBB8_2
.LBB8_3:
	s_clause 0x1
	s_load_b32 s3, s[0:1], 0x40
	s_load_b64 s[4:5], s[0:1], 0x48
	v_add_nc_u32_e32 v7, s13, v7
	v_add_nc_u32_e32 v2, s12, v6
	s_delay_alu instid0(VALU_DEP_1)
	v_cmp_le_i32_e64 s0, v7, v2
	v_cmp_gt_i32_e32 vcc_lo, s2, v2
	s_waitcnt lgkmcnt(0)
	v_mad_i64_i32 v[3:4], null, v7, s3, 0
	s_mul_i32 s1, s15, s5
	s_mul_hi_u32 s5, s15, s4
	s_mul_i32 s4, s15, s4
	s_add_i32 s5, s5, s1
	s_delay_alu instid0(SALU_CYCLE_1) | instskip(NEXT) | instid1(VALU_DEP_1)
	s_lshl_b64 s[4:5], s[4:5], 2
	v_lshlrev_b64 v[3:4], 2, v[3:4]
	s_add_u32 s4, s6, s4
	s_addc_u32 s5, s7, s5
	s_and_b32 s0, s0, vcc_lo
	s_delay_alu instid0(VALU_DEP_1) | instskip(NEXT) | instid1(VALU_DEP_1)
	v_add_co_u32 v6, s1, s4, v3
	v_add_co_ci_u32_e64 v10, s1, s5, v4, s1
	s_and_saveexec_b32 s1, s0
	s_cbranch_execz .LBB8_5
; %bb.4:
	v_ashrrev_i32_e32 v3, 31, v2
	s_delay_alu instid0(VALU_DEP_1) | instskip(NEXT) | instid1(VALU_DEP_1)
	v_lshlrev_b64 v[3:4], 2, v[2:3]
	v_add_co_u32 v3, s0, v6, v3
	s_delay_alu instid0(VALU_DEP_1)
	v_add_co_ci_u32_e64 v4, s0, v10, v4, s0
	global_load_b32 v5, v[3:4], off
	s_waitcnt vmcnt(0)
	v_sub_f32_e32 v5, v9, v5
	global_store_b32 v[3:4], v5, off
.LBB8_5:
	s_or_b32 exec_lo, exec_lo, s1
	v_add_nc_u32_e32 v4, 16, v2
	s_delay_alu instid0(VALU_DEP_1) | instskip(SKIP_1) | instid1(VALU_DEP_1)
	v_cmp_le_i32_e64 s1, v7, v4
	v_cmp_gt_i32_e64 s0, s2, v4
	s_and_b32 s1, s1, s0
	s_delay_alu instid0(SALU_CYCLE_1)
	s_and_saveexec_b32 s2, s1
	s_cbranch_execz .LBB8_7
; %bb.6:
	v_ashrrev_i32_e32 v5, 31, v4
	s_delay_alu instid0(VALU_DEP_1) | instskip(NEXT) | instid1(VALU_DEP_1)
	v_lshlrev_b64 v[11:12], 2, v[4:5]
	v_add_co_u32 v5, s1, v6, v11
	s_delay_alu instid0(VALU_DEP_1)
	v_add_co_ci_u32_e64 v6, s1, v10, v12, s1
	global_load_b32 v3, v[5:6], off
	s_waitcnt vmcnt(0)
	v_sub_f32_e32 v3, v8, v3
	global_store_b32 v[5:6], v3, off
.LBB8_7:
	s_or_b32 exec_lo, exec_lo, s2
	v_add_nc_u32_e32 v5, 16, v7
	s_delay_alu instid0(VALU_DEP_1) | instskip(SKIP_1) | instid1(VALU_DEP_2)
	v_mad_i64_i32 v[6:7], null, v5, s3, 0
	v_cmp_le_i32_e64 s1, v5, v2
	v_lshlrev_b64 v[6:7], 2, v[6:7]
	s_delay_alu instid0(VALU_DEP_1) | instskip(NEXT) | instid1(VALU_DEP_1)
	v_add_co_u32 v6, s2, s4, v6
	v_add_co_ci_u32_e64 v7, s2, s5, v7, s2
	s_delay_alu instid0(VALU_DEP_4) | instskip(NEXT) | instid1(SALU_CYCLE_1)
	s_and_b32 s2, s1, vcc_lo
	s_and_saveexec_b32 s1, s2
	s_cbranch_execz .LBB8_9
; %bb.8:
	v_ashrrev_i32_e32 v3, 31, v2
	s_delay_alu instid0(VALU_DEP_1) | instskip(NEXT) | instid1(VALU_DEP_1)
	v_lshlrev_b64 v[2:3], 2, v[2:3]
	v_add_co_u32 v2, vcc_lo, v6, v2
	s_delay_alu instid0(VALU_DEP_2)
	v_add_co_ci_u32_e32 v3, vcc_lo, v7, v3, vcc_lo
	global_load_b32 v8, v[2:3], off
	s_waitcnt vmcnt(0)
	v_sub_f32_e32 v0, v0, v8
	global_store_b32 v[2:3], v0, off
.LBB8_9:
	s_or_b32 exec_lo, exec_lo, s1
	v_cmp_le_i32_e32 vcc_lo, v5, v4
	s_and_b32 s0, vcc_lo, s0
	s_delay_alu instid0(SALU_CYCLE_1)
	s_and_saveexec_b32 s1, s0
	s_cbranch_execz .LBB8_11
; %bb.10:
	v_ashrrev_i32_e32 v5, 31, v4
	s_delay_alu instid0(VALU_DEP_1) | instskip(NEXT) | instid1(VALU_DEP_1)
	v_lshlrev_b64 v[2:3], 2, v[4:5]
	v_add_co_u32 v2, vcc_lo, v6, v2
	s_delay_alu instid0(VALU_DEP_2)
	v_add_co_ci_u32_e32 v3, vcc_lo, v7, v3, vcc_lo
	global_load_b32 v0, v[2:3], off
	s_waitcnt vmcnt(0)
	v_sub_f32_e32 v0, v1, v0
	global_store_b32 v[2:3], v0, off
.LBB8_11:
	s_nop 0
	s_sendmsg sendmsg(MSG_DEALLOC_VGPRS)
	s_endpgm
	.section	.rodata,"a",@progbits
	.p2align	6, 0x0
	.amdhsa_kernel _ZL37rocblas_syrkx_herkx_restricted_kernelIifLi16ELi32ELi8ELi1ELin1ELb0ELc84ELc76EKffEviT_PT9_S1_lS3_S1_lPT10_S1_li
		.amdhsa_group_segment_fixed_size 2048
		.amdhsa_private_segment_fixed_size 0
		.amdhsa_kernarg_size 84
		.amdhsa_user_sgpr_count 13
		.amdhsa_user_sgpr_dispatch_ptr 0
		.amdhsa_user_sgpr_queue_ptr 0
		.amdhsa_user_sgpr_kernarg_segment_ptr 1
		.amdhsa_user_sgpr_dispatch_id 0
		.amdhsa_user_sgpr_private_segment_size 0
		.amdhsa_wavefront_size32 1
		.amdhsa_uses_dynamic_stack 0
		.amdhsa_enable_private_segment 0
		.amdhsa_system_sgpr_workgroup_id_x 1
		.amdhsa_system_sgpr_workgroup_id_y 1
		.amdhsa_system_sgpr_workgroup_id_z 1
		.amdhsa_system_sgpr_workgroup_info 0
		.amdhsa_system_vgpr_workitem_id 1
		.amdhsa_next_free_vgpr 46
		.amdhsa_next_free_sgpr 20
		.amdhsa_reserve_vcc 1
		.amdhsa_float_round_mode_32 0
		.amdhsa_float_round_mode_16_64 0
		.amdhsa_float_denorm_mode_32 3
		.amdhsa_float_denorm_mode_16_64 3
		.amdhsa_dx10_clamp 1
		.amdhsa_ieee_mode 1
		.amdhsa_fp16_overflow 0
		.amdhsa_workgroup_processor_mode 1
		.amdhsa_memory_ordered 1
		.amdhsa_forward_progress 0
		.amdhsa_shared_vgpr_count 0
		.amdhsa_exception_fp_ieee_invalid_op 0
		.amdhsa_exception_fp_denorm_src 0
		.amdhsa_exception_fp_ieee_div_zero 0
		.amdhsa_exception_fp_ieee_overflow 0
		.amdhsa_exception_fp_ieee_underflow 0
		.amdhsa_exception_fp_ieee_inexact 0
		.amdhsa_exception_int_div_zero 0
	.end_amdhsa_kernel
	.section	.text._ZL37rocblas_syrkx_herkx_restricted_kernelIifLi16ELi32ELi8ELi1ELin1ELb0ELc84ELc76EKffEviT_PT9_S1_lS3_S1_lPT10_S1_li,"axG",@progbits,_ZL37rocblas_syrkx_herkx_restricted_kernelIifLi16ELi32ELi8ELi1ELin1ELb0ELc84ELc76EKffEviT_PT9_S1_lS3_S1_lPT10_S1_li,comdat
.Lfunc_end8:
	.size	_ZL37rocblas_syrkx_herkx_restricted_kernelIifLi16ELi32ELi8ELi1ELin1ELb0ELc84ELc76EKffEviT_PT9_S1_lS3_S1_lPT10_S1_li, .Lfunc_end8-_ZL37rocblas_syrkx_herkx_restricted_kernelIifLi16ELi32ELi8ELi1ELin1ELb0ELc84ELc76EKffEviT_PT9_S1_lS3_S1_lPT10_S1_li
                                        ; -- End function
	.section	.AMDGPU.csdata,"",@progbits
; Kernel info:
; codeLenInByte = 1248
; NumSgprs: 22
; NumVgprs: 46
; ScratchSize: 0
; MemoryBound: 0
; FloatMode: 240
; IeeeMode: 1
; LDSByteSize: 2048 bytes/workgroup (compile time only)
; SGPRBlocks: 2
; VGPRBlocks: 5
; NumSGPRsForWavesPerEU: 22
; NumVGPRsForWavesPerEU: 46
; Occupancy: 16
; WaveLimiterHint : 0
; COMPUTE_PGM_RSRC2:SCRATCH_EN: 0
; COMPUTE_PGM_RSRC2:USER_SGPR: 13
; COMPUTE_PGM_RSRC2:TRAP_HANDLER: 0
; COMPUTE_PGM_RSRC2:TGID_X_EN: 1
; COMPUTE_PGM_RSRC2:TGID_Y_EN: 1
; COMPUTE_PGM_RSRC2:TGID_Z_EN: 1
; COMPUTE_PGM_RSRC2:TIDIG_COMP_CNT: 1
	.section	.text._ZL37rocblas_syrkx_herkx_restricted_kernelIifLi16ELi32ELi8ELi1ELin1ELb0ELc67ELc76EKffEviT_PT9_S1_lS3_S1_lPT10_S1_li,"axG",@progbits,_ZL37rocblas_syrkx_herkx_restricted_kernelIifLi16ELi32ELi8ELi1ELin1ELb0ELc67ELc76EKffEviT_PT9_S1_lS3_S1_lPT10_S1_li,comdat
	.globl	_ZL37rocblas_syrkx_herkx_restricted_kernelIifLi16ELi32ELi8ELi1ELin1ELb0ELc67ELc76EKffEviT_PT9_S1_lS3_S1_lPT10_S1_li ; -- Begin function _ZL37rocblas_syrkx_herkx_restricted_kernelIifLi16ELi32ELi8ELi1ELin1ELb0ELc67ELc76EKffEviT_PT9_S1_lS3_S1_lPT10_S1_li
	.p2align	8
	.type	_ZL37rocblas_syrkx_herkx_restricted_kernelIifLi16ELi32ELi8ELi1ELin1ELb0ELc67ELc76EKffEviT_PT9_S1_lS3_S1_lPT10_S1_li,@function
_ZL37rocblas_syrkx_herkx_restricted_kernelIifLi16ELi32ELi8ELi1ELin1ELb0ELc67ELc76EKffEviT_PT9_S1_lS3_S1_lPT10_S1_li: ; @_ZL37rocblas_syrkx_herkx_restricted_kernelIifLi16ELi32ELi8ELi1ELin1ELb0ELc67ELc76EKffEviT_PT9_S1_lS3_S1_lPT10_S1_li
; %bb.0:
	s_clause 0x1
	s_load_b64 s[2:3], s[0:1], 0x0
	s_load_b128 s[4:7], s[0:1], 0x30
	v_dual_mov_b32 v9, 0 :: v_dual_and_b32 v6, 0x3ff, v0
	v_bfe_u32 v7, v0, 10, 10
	v_dual_mov_b32 v8, 0 :: v_dual_mov_b32 v1, 0
	v_mov_b32_e32 v0, 0
	s_lshl_b32 s12, s13, 5
	s_lshl_b32 s13, s14, 5
	s_mov_b32 s14, 0
	s_waitcnt lgkmcnt(0)
	s_cmp_lt_i32 s3, 1
	s_cbranch_scc1 .LBB9_3
; %bb.1:
	s_clause 0x3
	s_load_b32 s18, s[0:1], 0x10
	s_load_b128 s[8:11], s[0:1], 0x18
	s_load_b64 s[16:17], s[0:1], 0x8
	s_load_b32 s19, s[0:1], 0x28
	v_lshl_add_u32 v2, v7, 4, v6
	v_dual_mov_b32 v1, 0 :: v_dual_and_b32 v0, 7, v6
	v_lshlrev_b32_e32 v10, 2, v6
	s_mul_i32 s5, s5, s15
	s_delay_alu instid0(VALU_DEP_3) | instskip(SKIP_3) | instid1(VALU_DEP_4)
	v_lshrrev_b32_e32 v4, 3, v2
	v_and_b32_e32 v5, 31, v2
	v_lshlrev_b32_e32 v3, 2, v0
	v_lshrrev_b32_e32 v2, 5, v2
	v_add_nc_u32_e32 v14, s13, v4
	s_delay_alu instid0(VALU_DEP_4) | instskip(NEXT) | instid1(VALU_DEP_4)
	v_add_nc_u32_e32 v13, s12, v5
	v_lshl_or_b32 v9, v4, 5, v3
	v_dual_mov_b32 v3, v1 :: v_dual_lshlrev_b32 v8, 2, v5
	s_delay_alu instid0(VALU_DEP_2) | instskip(SKIP_1) | instid1(VALU_DEP_2)
	v_add_nc_u32_e32 v12, 0x400, v9
	s_waitcnt lgkmcnt(0)
	v_mad_i64_i32 v[4:5], null, s18, v13, v[2:3]
	s_delay_alu instid0(VALU_DEP_3)
	v_lshl_or_b32 v11, v2, 7, v8
	s_mul_i32 s9, s9, s15
	s_mul_hi_u32 s18, s8, s15
	v_mad_i64_i32 v[2:3], null, s19, v14, v[0:1]
	s_mul_i32 s8, s8, s15
	s_add_i32 s9, s18, s9
	s_delay_alu instid0(VALU_DEP_3)
	v_lshlrev_b64 v[4:5], 2, v[4:5]
	s_lshl_b64 s[8:9], s[8:9], 2
	v_lshl_add_u32 v13, v7, 5, 0x400
	s_add_u32 s8, s16, s8
	s_mul_hi_u32 s16, s4, s15
	s_addc_u32 s9, s17, s9
	s_add_i32 s5, s16, s5
	s_mul_i32 s4, s4, s15
	v_lshlrev_b64 v[8:9], 2, v[2:3]
	s_lshl_b64 s[4:5], s[4:5], 2
	v_add_co_u32 v2, vcc_lo, s8, v4
	s_add_u32 s4, s10, s4
	v_add_co_ci_u32_e32 v3, vcc_lo, s9, v5, vcc_lo
	s_addc_u32 s5, s11, s5
	v_add_co_u32 v4, vcc_lo, s4, v8
	v_add_co_ci_u32_e32 v5, vcc_lo, s5, v9, vcc_lo
	v_mov_b32_e32 v9, v1
	v_mov_b32_e32 v0, v1
	;; [unrolled: 1-line block ×3, first 2 shown]
.LBB9_2:                                ; =>This Inner Loop Header: Depth=1
	global_load_b32 v14, v[2:3], off
	global_load_b32 v15, v[4:5], off
	v_add_co_u32 v2, vcc_lo, v2, 32
	v_add_co_ci_u32_e32 v3, vcc_lo, 0, v3, vcc_lo
	v_add_co_u32 v4, vcc_lo, v4, 32
	v_add_co_ci_u32_e32 v5, vcc_lo, 0, v5, vcc_lo
	s_add_i32 s14, s14, 8
	s_waitcnt vmcnt(1)
	ds_store_b32 v11, v14
	s_waitcnt vmcnt(0)
	ds_store_b32 v12, v15
	s_waitcnt lgkmcnt(0)
	s_barrier
	buffer_gl0_inv
	ds_load_2addr_b32 v[30:31], v10 offset1:16
	ds_load_b128 v[14:17], v13
	ds_load_b128 v[18:21], v13 offset:512
	ds_load_2addr_b32 v[32:33], v10 offset0:32 offset1:48
	ds_load_2addr_b32 v[34:35], v10 offset0:64 offset1:80
	ds_load_b128 v[22:25], v13 offset:16
	ds_load_2addr_b32 v[36:37], v10 offset0:96 offset1:112
	ds_load_2addr_b32 v[38:39], v10 offset0:128 offset1:144
	;; [unrolled: 3-line block ×3, first 2 shown]
	ds_load_2addr_b32 v[44:45], v10 offset0:224 offset1:240
	s_cmp_ge_i32 s14, s3
	s_waitcnt lgkmcnt(0)
	s_barrier
	buffer_gl0_inv
	v_fmac_f32_e32 v8, v31, v14
	v_fmac_f32_e32 v9, v30, v14
	v_fmac_f32_e32 v1, v31, v18
	v_fmac_f32_e32 v0, v30, v18
	s_delay_alu instid0(VALU_DEP_4) | instskip(NEXT) | instid1(VALU_DEP_4)
	v_fmac_f32_e32 v8, v33, v15
	v_fmac_f32_e32 v9, v32, v15
	s_delay_alu instid0(VALU_DEP_4) | instskip(NEXT) | instid1(VALU_DEP_4)
	v_fmac_f32_e32 v1, v33, v19
	v_fmac_f32_e32 v0, v32, v19
	;; [unrolled: 3-line block ×14, first 2 shown]
	s_cbranch_scc0 .LBB9_2
.LBB9_3:
	s_clause 0x1
	s_load_b32 s3, s[0:1], 0x40
	s_load_b64 s[4:5], s[0:1], 0x48
	v_add_nc_u32_e32 v7, s13, v7
	v_add_nc_u32_e32 v2, s12, v6
	s_delay_alu instid0(VALU_DEP_1)
	v_cmp_le_i32_e64 s0, v7, v2
	v_cmp_gt_i32_e32 vcc_lo, s2, v2
	s_waitcnt lgkmcnt(0)
	v_mad_i64_i32 v[3:4], null, v7, s3, 0
	s_mul_i32 s1, s15, s5
	s_mul_hi_u32 s5, s15, s4
	s_mul_i32 s4, s15, s4
	s_add_i32 s5, s5, s1
	s_delay_alu instid0(SALU_CYCLE_1) | instskip(NEXT) | instid1(VALU_DEP_1)
	s_lshl_b64 s[4:5], s[4:5], 2
	v_lshlrev_b64 v[3:4], 2, v[3:4]
	s_add_u32 s4, s6, s4
	s_addc_u32 s5, s7, s5
	s_and_b32 s0, s0, vcc_lo
	s_delay_alu instid0(VALU_DEP_1) | instskip(NEXT) | instid1(VALU_DEP_1)
	v_add_co_u32 v6, s1, s4, v3
	v_add_co_ci_u32_e64 v10, s1, s5, v4, s1
	s_and_saveexec_b32 s1, s0
	s_cbranch_execz .LBB9_5
; %bb.4:
	v_ashrrev_i32_e32 v3, 31, v2
	s_delay_alu instid0(VALU_DEP_1) | instskip(NEXT) | instid1(VALU_DEP_1)
	v_lshlrev_b64 v[3:4], 2, v[2:3]
	v_add_co_u32 v3, s0, v6, v3
	s_delay_alu instid0(VALU_DEP_1)
	v_add_co_ci_u32_e64 v4, s0, v10, v4, s0
	global_load_b32 v5, v[3:4], off
	s_waitcnt vmcnt(0)
	v_sub_f32_e32 v5, v9, v5
	global_store_b32 v[3:4], v5, off
.LBB9_5:
	s_or_b32 exec_lo, exec_lo, s1
	v_add_nc_u32_e32 v4, 16, v2
	s_delay_alu instid0(VALU_DEP_1) | instskip(SKIP_1) | instid1(VALU_DEP_1)
	v_cmp_le_i32_e64 s1, v7, v4
	v_cmp_gt_i32_e64 s0, s2, v4
	s_and_b32 s1, s1, s0
	s_delay_alu instid0(SALU_CYCLE_1)
	s_and_saveexec_b32 s2, s1
	s_cbranch_execz .LBB9_7
; %bb.6:
	v_ashrrev_i32_e32 v5, 31, v4
	s_delay_alu instid0(VALU_DEP_1) | instskip(NEXT) | instid1(VALU_DEP_1)
	v_lshlrev_b64 v[11:12], 2, v[4:5]
	v_add_co_u32 v5, s1, v6, v11
	s_delay_alu instid0(VALU_DEP_1)
	v_add_co_ci_u32_e64 v6, s1, v10, v12, s1
	global_load_b32 v3, v[5:6], off
	s_waitcnt vmcnt(0)
	v_sub_f32_e32 v3, v8, v3
	global_store_b32 v[5:6], v3, off
.LBB9_7:
	s_or_b32 exec_lo, exec_lo, s2
	v_add_nc_u32_e32 v5, 16, v7
	s_delay_alu instid0(VALU_DEP_1) | instskip(SKIP_1) | instid1(VALU_DEP_2)
	v_mad_i64_i32 v[6:7], null, v5, s3, 0
	v_cmp_le_i32_e64 s1, v5, v2
	v_lshlrev_b64 v[6:7], 2, v[6:7]
	s_delay_alu instid0(VALU_DEP_1) | instskip(NEXT) | instid1(VALU_DEP_1)
	v_add_co_u32 v6, s2, s4, v6
	v_add_co_ci_u32_e64 v7, s2, s5, v7, s2
	s_delay_alu instid0(VALU_DEP_4) | instskip(NEXT) | instid1(SALU_CYCLE_1)
	s_and_b32 s2, s1, vcc_lo
	s_and_saveexec_b32 s1, s2
	s_cbranch_execz .LBB9_9
; %bb.8:
	v_ashrrev_i32_e32 v3, 31, v2
	s_delay_alu instid0(VALU_DEP_1) | instskip(NEXT) | instid1(VALU_DEP_1)
	v_lshlrev_b64 v[2:3], 2, v[2:3]
	v_add_co_u32 v2, vcc_lo, v6, v2
	s_delay_alu instid0(VALU_DEP_2)
	v_add_co_ci_u32_e32 v3, vcc_lo, v7, v3, vcc_lo
	global_load_b32 v8, v[2:3], off
	s_waitcnt vmcnt(0)
	v_sub_f32_e32 v0, v0, v8
	global_store_b32 v[2:3], v0, off
.LBB9_9:
	s_or_b32 exec_lo, exec_lo, s1
	v_cmp_le_i32_e32 vcc_lo, v5, v4
	s_and_b32 s0, vcc_lo, s0
	s_delay_alu instid0(SALU_CYCLE_1)
	s_and_saveexec_b32 s1, s0
	s_cbranch_execz .LBB9_11
; %bb.10:
	v_ashrrev_i32_e32 v5, 31, v4
	s_delay_alu instid0(VALU_DEP_1) | instskip(NEXT) | instid1(VALU_DEP_1)
	v_lshlrev_b64 v[2:3], 2, v[4:5]
	v_add_co_u32 v2, vcc_lo, v6, v2
	s_delay_alu instid0(VALU_DEP_2)
	v_add_co_ci_u32_e32 v3, vcc_lo, v7, v3, vcc_lo
	global_load_b32 v0, v[2:3], off
	s_waitcnt vmcnt(0)
	v_sub_f32_e32 v0, v1, v0
	global_store_b32 v[2:3], v0, off
.LBB9_11:
	s_nop 0
	s_sendmsg sendmsg(MSG_DEALLOC_VGPRS)
	s_endpgm
	.section	.rodata,"a",@progbits
	.p2align	6, 0x0
	.amdhsa_kernel _ZL37rocblas_syrkx_herkx_restricted_kernelIifLi16ELi32ELi8ELi1ELin1ELb0ELc67ELc76EKffEviT_PT9_S1_lS3_S1_lPT10_S1_li
		.amdhsa_group_segment_fixed_size 2048
		.amdhsa_private_segment_fixed_size 0
		.amdhsa_kernarg_size 84
		.amdhsa_user_sgpr_count 13
		.amdhsa_user_sgpr_dispatch_ptr 0
		.amdhsa_user_sgpr_queue_ptr 0
		.amdhsa_user_sgpr_kernarg_segment_ptr 1
		.amdhsa_user_sgpr_dispatch_id 0
		.amdhsa_user_sgpr_private_segment_size 0
		.amdhsa_wavefront_size32 1
		.amdhsa_uses_dynamic_stack 0
		.amdhsa_enable_private_segment 0
		.amdhsa_system_sgpr_workgroup_id_x 1
		.amdhsa_system_sgpr_workgroup_id_y 1
		.amdhsa_system_sgpr_workgroup_id_z 1
		.amdhsa_system_sgpr_workgroup_info 0
		.amdhsa_system_vgpr_workitem_id 1
		.amdhsa_next_free_vgpr 46
		.amdhsa_next_free_sgpr 20
		.amdhsa_reserve_vcc 1
		.amdhsa_float_round_mode_32 0
		.amdhsa_float_round_mode_16_64 0
		.amdhsa_float_denorm_mode_32 3
		.amdhsa_float_denorm_mode_16_64 3
		.amdhsa_dx10_clamp 1
		.amdhsa_ieee_mode 1
		.amdhsa_fp16_overflow 0
		.amdhsa_workgroup_processor_mode 1
		.amdhsa_memory_ordered 1
		.amdhsa_forward_progress 0
		.amdhsa_shared_vgpr_count 0
		.amdhsa_exception_fp_ieee_invalid_op 0
		.amdhsa_exception_fp_denorm_src 0
		.amdhsa_exception_fp_ieee_div_zero 0
		.amdhsa_exception_fp_ieee_overflow 0
		.amdhsa_exception_fp_ieee_underflow 0
		.amdhsa_exception_fp_ieee_inexact 0
		.amdhsa_exception_int_div_zero 0
	.end_amdhsa_kernel
	.section	.text._ZL37rocblas_syrkx_herkx_restricted_kernelIifLi16ELi32ELi8ELi1ELin1ELb0ELc67ELc76EKffEviT_PT9_S1_lS3_S1_lPT10_S1_li,"axG",@progbits,_ZL37rocblas_syrkx_herkx_restricted_kernelIifLi16ELi32ELi8ELi1ELin1ELb0ELc67ELc76EKffEviT_PT9_S1_lS3_S1_lPT10_S1_li,comdat
.Lfunc_end9:
	.size	_ZL37rocblas_syrkx_herkx_restricted_kernelIifLi16ELi32ELi8ELi1ELin1ELb0ELc67ELc76EKffEviT_PT9_S1_lS3_S1_lPT10_S1_li, .Lfunc_end9-_ZL37rocblas_syrkx_herkx_restricted_kernelIifLi16ELi32ELi8ELi1ELin1ELb0ELc67ELc76EKffEviT_PT9_S1_lS3_S1_lPT10_S1_li
                                        ; -- End function
	.section	.AMDGPU.csdata,"",@progbits
; Kernel info:
; codeLenInByte = 1248
; NumSgprs: 22
; NumVgprs: 46
; ScratchSize: 0
; MemoryBound: 0
; FloatMode: 240
; IeeeMode: 1
; LDSByteSize: 2048 bytes/workgroup (compile time only)
; SGPRBlocks: 2
; VGPRBlocks: 5
; NumSGPRsForWavesPerEU: 22
; NumVGPRsForWavesPerEU: 46
; Occupancy: 16
; WaveLimiterHint : 0
; COMPUTE_PGM_RSRC2:SCRATCH_EN: 0
; COMPUTE_PGM_RSRC2:USER_SGPR: 13
; COMPUTE_PGM_RSRC2:TRAP_HANDLER: 0
; COMPUTE_PGM_RSRC2:TGID_X_EN: 1
; COMPUTE_PGM_RSRC2:TGID_Y_EN: 1
; COMPUTE_PGM_RSRC2:TGID_Z_EN: 1
; COMPUTE_PGM_RSRC2:TIDIG_COMP_CNT: 1
	.section	.text._ZL37rocblas_syrkx_herkx_restricted_kernelIifLi16ELi32ELi8ELi1ELin1ELb0ELc78ELc76EKffEviT_PT9_S1_lS3_S1_lPT10_S1_li,"axG",@progbits,_ZL37rocblas_syrkx_herkx_restricted_kernelIifLi16ELi32ELi8ELi1ELin1ELb0ELc78ELc76EKffEviT_PT9_S1_lS3_S1_lPT10_S1_li,comdat
	.globl	_ZL37rocblas_syrkx_herkx_restricted_kernelIifLi16ELi32ELi8ELi1ELin1ELb0ELc78ELc76EKffEviT_PT9_S1_lS3_S1_lPT10_S1_li ; -- Begin function _ZL37rocblas_syrkx_herkx_restricted_kernelIifLi16ELi32ELi8ELi1ELin1ELb0ELc78ELc76EKffEviT_PT9_S1_lS3_S1_lPT10_S1_li
	.p2align	8
	.type	_ZL37rocblas_syrkx_herkx_restricted_kernelIifLi16ELi32ELi8ELi1ELin1ELb0ELc78ELc76EKffEviT_PT9_S1_lS3_S1_lPT10_S1_li,@function
_ZL37rocblas_syrkx_herkx_restricted_kernelIifLi16ELi32ELi8ELi1ELin1ELb0ELc78ELc76EKffEviT_PT9_S1_lS3_S1_lPT10_S1_li: ; @_ZL37rocblas_syrkx_herkx_restricted_kernelIifLi16ELi32ELi8ELi1ELin1ELb0ELc78ELc76EKffEviT_PT9_S1_lS3_S1_lPT10_S1_li
; %bb.0:
	s_clause 0x1
	s_load_b64 s[2:3], s[0:1], 0x0
	s_load_b128 s[4:7], s[0:1], 0x30
	v_dual_mov_b32 v8, 0 :: v_dual_and_b32 v5, 0x3ff, v0
	v_bfe_u32 v6, v0, 10, 10
	v_dual_mov_b32 v9, 0 :: v_dual_mov_b32 v4, 0
	v_mov_b32_e32 v7, 0
	s_lshl_b32 s12, s13, 5
	s_lshl_b32 s13, s14, 5
	s_mov_b32 s14, 0
	s_waitcnt lgkmcnt(0)
	s_cmp_lt_i32 s3, 1
	s_cbranch_scc1 .LBB10_3
; %bb.1:
	s_clause 0x1
	s_load_b32 s16, s[0:1], 0x10
	s_load_b32 s18, s[0:1], 0x28
	v_lshl_add_u32 v0, v6, 4, v5
	v_and_b32_e32 v4, 7, v5
	s_clause 0x1
	s_load_b128 s[8:11], s[0:1], 0x18
	s_load_b64 s[20:21], s[0:1], 0x8
	s_mul_i32 s5, s5, s15
	v_lshrrev_b32_e32 v1, 3, v0
	v_and_b32_e32 v2, 31, v0
	v_lshrrev_b32_e32 v9, 5, v0
	v_lshlrev_b32_e32 v3, 2, v4
	v_lshlrev_b32_e32 v12, 2, v5
	v_add_nc_u32_e32 v0, s13, v1
	v_lshlrev_b32_e32 v7, 2, v2
	v_add_nc_u32_e32 v2, s12, v2
	v_lshl_or_b32 v11, v1, 5, v3
	v_lshl_add_u32 v13, v6, 5, 0x400
	v_ashrrev_i32_e32 v1, 31, v0
	v_lshl_or_b32 v10, v9, 7, v7
	v_ashrrev_i32_e32 v3, 31, v2
	s_waitcnt lgkmcnt(0)
	s_ashr_i32 s17, s16, 31
	s_ashr_i32 s19, s18, 31
	v_mad_i64_i32 v[7:8], null, s18, v4, v[0:1]
	v_mad_i64_i32 v[0:1], null, s16, v9, v[2:3]
	s_mul_i32 s9, s9, s15
	s_mul_hi_u32 s22, s8, s15
	s_mul_i32 s8, s8, s15
	s_add_i32 s9, s22, s9
	s_delay_alu instid0(VALU_DEP_2) | instskip(SKIP_1) | instid1(VALU_DEP_3)
	v_lshlrev_b64 v[2:3], 2, v[7:8]
	v_mov_b32_e32 v8, 0
	v_lshlrev_b64 v[0:1], 2, v[0:1]
	s_lshl_b64 s[8:9], s[8:9], 2
	v_add_nc_u32_e32 v11, 0x400, v11
	s_add_u32 s8, s20, s8
	s_mul_hi_u32 s20, s4, s15
	s_addc_u32 s9, s21, s9
	v_add_co_u32 v0, vcc_lo, s8, v0
	s_add_i32 s5, s20, s5
	s_mul_i32 s4, s4, s15
	v_add_co_ci_u32_e32 v1, vcc_lo, s9, v1, vcc_lo
	s_lshl_b64 s[8:9], s[4:5], 2
	s_lshl_b64 s[4:5], s[16:17], 5
	s_add_u32 s8, s10, s8
	s_addc_u32 s9, s11, s9
	v_add_co_u32 v2, vcc_lo, s8, v2
	v_add_co_ci_u32_e32 v3, vcc_lo, s9, v3, vcc_lo
	v_dual_mov_b32 v4, 0 :: v_dual_mov_b32 v7, 0
	v_mov_b32_e32 v9, 0
	s_lshl_b64 s[8:9], s[18:19], 5
.LBB10_2:                               ; =>This Inner Loop Header: Depth=1
	global_load_b32 v14, v[0:1], off
	global_load_b32 v15, v[2:3], off
	v_add_co_u32 v0, vcc_lo, v0, s4
	v_add_co_ci_u32_e32 v1, vcc_lo, s5, v1, vcc_lo
	v_add_co_u32 v2, vcc_lo, v2, s8
	v_add_co_ci_u32_e32 v3, vcc_lo, s9, v3, vcc_lo
	s_add_i32 s14, s14, 8
	s_waitcnt vmcnt(1)
	ds_store_b32 v10, v14
	s_waitcnt vmcnt(0)
	ds_store_b32 v11, v15
	s_waitcnt lgkmcnt(0)
	s_barrier
	buffer_gl0_inv
	ds_load_2addr_b32 v[30:31], v12 offset1:16
	ds_load_b128 v[14:17], v13
	ds_load_b128 v[18:21], v13 offset:512
	ds_load_2addr_b32 v[32:33], v12 offset0:32 offset1:48
	ds_load_2addr_b32 v[34:35], v12 offset0:64 offset1:80
	ds_load_b128 v[22:25], v13 offset:16
	ds_load_2addr_b32 v[36:37], v12 offset0:96 offset1:112
	ds_load_2addr_b32 v[38:39], v12 offset0:128 offset1:144
	;; [unrolled: 3-line block ×3, first 2 shown]
	ds_load_2addr_b32 v[44:45], v12 offset0:224 offset1:240
	s_cmp_ge_i32 s14, s3
	s_waitcnt lgkmcnt(0)
	s_barrier
	buffer_gl0_inv
	v_fmac_f32_e32 v8, v31, v14
	v_fmac_f32_e32 v9, v30, v14
	;; [unrolled: 1-line block ×3, first 2 shown]
	s_delay_alu instid0(VALU_DEP_3) | instskip(NEXT) | instid1(VALU_DEP_3)
	v_dual_fmac_f32 v7, v30, v18 :: v_dual_fmac_f32 v8, v33, v15
	v_fmac_f32_e32 v9, v32, v15
	s_delay_alu instid0(VALU_DEP_3) | instskip(NEXT) | instid1(VALU_DEP_3)
	v_fmac_f32_e32 v4, v33, v19
	v_dual_fmac_f32 v7, v32, v19 :: v_dual_fmac_f32 v8, v35, v16
	s_delay_alu instid0(VALU_DEP_3) | instskip(NEXT) | instid1(VALU_DEP_3)
	v_fmac_f32_e32 v9, v34, v16
	v_fmac_f32_e32 v4, v35, v20
	s_delay_alu instid0(VALU_DEP_3) | instskip(NEXT) | instid1(VALU_DEP_3)
	v_dual_fmac_f32 v7, v34, v20 :: v_dual_fmac_f32 v8, v37, v17
	v_fmac_f32_e32 v9, v36, v17
	s_delay_alu instid0(VALU_DEP_3) | instskip(NEXT) | instid1(VALU_DEP_3)
	v_fmac_f32_e32 v4, v37, v21
	v_dual_fmac_f32 v7, v36, v21 :: v_dual_fmac_f32 v8, v39, v22
	s_delay_alu instid0(VALU_DEP_3) | instskip(NEXT) | instid1(VALU_DEP_3)
	v_fmac_f32_e32 v9, v38, v22
	v_fmac_f32_e32 v4, v39, v26
	;; [unrolled: 9-line block ×3, first 2 shown]
	s_delay_alu instid0(VALU_DEP_3) | instskip(NEXT) | instid1(VALU_DEP_3)
	v_dual_fmac_f32 v7, v42, v28 :: v_dual_fmac_f32 v8, v45, v25
	v_fmac_f32_e32 v9, v44, v25
	s_delay_alu instid0(VALU_DEP_3) | instskip(NEXT) | instid1(VALU_DEP_3)
	v_fmac_f32_e32 v4, v45, v29
	v_fmac_f32_e32 v7, v44, v29
	s_cbranch_scc0 .LBB10_2
.LBB10_3:
	s_clause 0x1
	s_load_b32 s3, s[0:1], 0x40
	s_load_b64 s[4:5], s[0:1], 0x48
	v_add_nc_u32_e32 v6, s13, v6
	v_add_nc_u32_e32 v0, s12, v5
	s_delay_alu instid0(VALU_DEP_1)
	v_cmp_le_i32_e64 s0, v6, v0
	v_cmp_gt_i32_e32 vcc_lo, s2, v0
	s_waitcnt lgkmcnt(0)
	v_mad_i64_i32 v[1:2], null, v6, s3, 0
	s_mul_i32 s1, s15, s5
	s_mul_hi_u32 s5, s15, s4
	s_mul_i32 s4, s15, s4
	s_add_i32 s5, s5, s1
	s_delay_alu instid0(SALU_CYCLE_1) | instskip(NEXT) | instid1(VALU_DEP_1)
	s_lshl_b64 s[4:5], s[4:5], 2
	v_lshlrev_b64 v[1:2], 2, v[1:2]
	s_add_u32 s4, s6, s4
	s_addc_u32 s5, s7, s5
	s_and_b32 s0, s0, vcc_lo
	s_delay_alu instid0(VALU_DEP_1) | instskip(NEXT) | instid1(VALU_DEP_1)
	v_add_co_u32 v5, s1, s4, v1
	v_add_co_ci_u32_e64 v10, s1, s5, v2, s1
	s_and_saveexec_b32 s1, s0
	s_cbranch_execz .LBB10_5
; %bb.4:
	v_ashrrev_i32_e32 v1, 31, v0
	s_delay_alu instid0(VALU_DEP_1) | instskip(NEXT) | instid1(VALU_DEP_1)
	v_lshlrev_b64 v[1:2], 2, v[0:1]
	v_add_co_u32 v1, s0, v5, v1
	s_delay_alu instid0(VALU_DEP_1)
	v_add_co_ci_u32_e64 v2, s0, v10, v2, s0
	global_load_b32 v3, v[1:2], off
	s_waitcnt vmcnt(0)
	v_sub_f32_e32 v3, v9, v3
	global_store_b32 v[1:2], v3, off
.LBB10_5:
	s_or_b32 exec_lo, exec_lo, s1
	v_add_nc_u32_e32 v2, 16, v0
	s_delay_alu instid0(VALU_DEP_1) | instskip(SKIP_1) | instid1(VALU_DEP_1)
	v_cmp_le_i32_e64 s1, v6, v2
	v_cmp_gt_i32_e64 s0, s2, v2
	s_and_b32 s1, s1, s0
	s_delay_alu instid0(SALU_CYCLE_1)
	s_and_saveexec_b32 s2, s1
	s_cbranch_execz .LBB10_7
; %bb.6:
	v_ashrrev_i32_e32 v3, 31, v2
	s_delay_alu instid0(VALU_DEP_1) | instskip(NEXT) | instid1(VALU_DEP_1)
	v_lshlrev_b64 v[11:12], 2, v[2:3]
	v_add_co_u32 v9, s1, v5, v11
	s_delay_alu instid0(VALU_DEP_1)
	v_add_co_ci_u32_e64 v10, s1, v10, v12, s1
	global_load_b32 v1, v[9:10], off
	s_waitcnt vmcnt(0)
	v_sub_f32_e32 v1, v8, v1
	global_store_b32 v[9:10], v1, off
.LBB10_7:
	s_or_b32 exec_lo, exec_lo, s2
	v_add_nc_u32_e32 v3, 16, v6
	s_delay_alu instid0(VALU_DEP_1) | instskip(SKIP_1) | instid1(VALU_DEP_2)
	v_mad_i64_i32 v[5:6], null, v3, s3, 0
	v_cmp_le_i32_e64 s1, v3, v0
	v_lshlrev_b64 v[5:6], 2, v[5:6]
	s_delay_alu instid0(VALU_DEP_1) | instskip(NEXT) | instid1(VALU_DEP_1)
	v_add_co_u32 v5, s2, s4, v5
	v_add_co_ci_u32_e64 v6, s2, s5, v6, s2
	s_delay_alu instid0(VALU_DEP_4) | instskip(NEXT) | instid1(SALU_CYCLE_1)
	s_and_b32 s2, s1, vcc_lo
	s_and_saveexec_b32 s1, s2
	s_cbranch_execz .LBB10_9
; %bb.8:
	v_ashrrev_i32_e32 v1, 31, v0
	s_delay_alu instid0(VALU_DEP_1) | instskip(NEXT) | instid1(VALU_DEP_1)
	v_lshlrev_b64 v[0:1], 2, v[0:1]
	v_add_co_u32 v0, vcc_lo, v5, v0
	s_delay_alu instid0(VALU_DEP_2)
	v_add_co_ci_u32_e32 v1, vcc_lo, v6, v1, vcc_lo
	global_load_b32 v8, v[0:1], off
	s_waitcnt vmcnt(0)
	v_sub_f32_e32 v7, v7, v8
	global_store_b32 v[0:1], v7, off
.LBB10_9:
	s_or_b32 exec_lo, exec_lo, s1
	v_cmp_le_i32_e32 vcc_lo, v3, v2
	s_and_b32 s0, vcc_lo, s0
	s_delay_alu instid0(SALU_CYCLE_1)
	s_and_saveexec_b32 s1, s0
	s_cbranch_execz .LBB10_11
; %bb.10:
	v_ashrrev_i32_e32 v3, 31, v2
	s_delay_alu instid0(VALU_DEP_1) | instskip(NEXT) | instid1(VALU_DEP_1)
	v_lshlrev_b64 v[0:1], 2, v[2:3]
	v_add_co_u32 v0, vcc_lo, v5, v0
	s_delay_alu instid0(VALU_DEP_2)
	v_add_co_ci_u32_e32 v1, vcc_lo, v6, v1, vcc_lo
	global_load_b32 v2, v[0:1], off
	s_waitcnt vmcnt(0)
	v_sub_f32_e32 v2, v4, v2
	global_store_b32 v[0:1], v2, off
.LBB10_11:
	s_nop 0
	s_sendmsg sendmsg(MSG_DEALLOC_VGPRS)
	s_endpgm
	.section	.rodata,"a",@progbits
	.p2align	6, 0x0
	.amdhsa_kernel _ZL37rocblas_syrkx_herkx_restricted_kernelIifLi16ELi32ELi8ELi1ELin1ELb0ELc78ELc76EKffEviT_PT9_S1_lS3_S1_lPT10_S1_li
		.amdhsa_group_segment_fixed_size 2048
		.amdhsa_private_segment_fixed_size 0
		.amdhsa_kernarg_size 84
		.amdhsa_user_sgpr_count 13
		.amdhsa_user_sgpr_dispatch_ptr 0
		.amdhsa_user_sgpr_queue_ptr 0
		.amdhsa_user_sgpr_kernarg_segment_ptr 1
		.amdhsa_user_sgpr_dispatch_id 0
		.amdhsa_user_sgpr_private_segment_size 0
		.amdhsa_wavefront_size32 1
		.amdhsa_uses_dynamic_stack 0
		.amdhsa_enable_private_segment 0
		.amdhsa_system_sgpr_workgroup_id_x 1
		.amdhsa_system_sgpr_workgroup_id_y 1
		.amdhsa_system_sgpr_workgroup_id_z 1
		.amdhsa_system_sgpr_workgroup_info 0
		.amdhsa_system_vgpr_workitem_id 1
		.amdhsa_next_free_vgpr 46
		.amdhsa_next_free_sgpr 23
		.amdhsa_reserve_vcc 1
		.amdhsa_float_round_mode_32 0
		.amdhsa_float_round_mode_16_64 0
		.amdhsa_float_denorm_mode_32 3
		.amdhsa_float_denorm_mode_16_64 3
		.amdhsa_dx10_clamp 1
		.amdhsa_ieee_mode 1
		.amdhsa_fp16_overflow 0
		.amdhsa_workgroup_processor_mode 1
		.amdhsa_memory_ordered 1
		.amdhsa_forward_progress 0
		.amdhsa_shared_vgpr_count 0
		.amdhsa_exception_fp_ieee_invalid_op 0
		.amdhsa_exception_fp_denorm_src 0
		.amdhsa_exception_fp_ieee_div_zero 0
		.amdhsa_exception_fp_ieee_overflow 0
		.amdhsa_exception_fp_ieee_underflow 0
		.amdhsa_exception_fp_ieee_inexact 0
		.amdhsa_exception_int_div_zero 0
	.end_amdhsa_kernel
	.section	.text._ZL37rocblas_syrkx_herkx_restricted_kernelIifLi16ELi32ELi8ELi1ELin1ELb0ELc78ELc76EKffEviT_PT9_S1_lS3_S1_lPT10_S1_li,"axG",@progbits,_ZL37rocblas_syrkx_herkx_restricted_kernelIifLi16ELi32ELi8ELi1ELin1ELb0ELc78ELc76EKffEviT_PT9_S1_lS3_S1_lPT10_S1_li,comdat
.Lfunc_end10:
	.size	_ZL37rocblas_syrkx_herkx_restricted_kernelIifLi16ELi32ELi8ELi1ELin1ELb0ELc78ELc76EKffEviT_PT9_S1_lS3_S1_lPT10_S1_li, .Lfunc_end10-_ZL37rocblas_syrkx_herkx_restricted_kernelIifLi16ELi32ELi8ELi1ELin1ELb0ELc78ELc76EKffEviT_PT9_S1_lS3_S1_lPT10_S1_li
                                        ; -- End function
	.section	.AMDGPU.csdata,"",@progbits
; Kernel info:
; codeLenInByte = 1244
; NumSgprs: 25
; NumVgprs: 46
; ScratchSize: 0
; MemoryBound: 0
; FloatMode: 240
; IeeeMode: 1
; LDSByteSize: 2048 bytes/workgroup (compile time only)
; SGPRBlocks: 3
; VGPRBlocks: 5
; NumSGPRsForWavesPerEU: 25
; NumVGPRsForWavesPerEU: 46
; Occupancy: 16
; WaveLimiterHint : 0
; COMPUTE_PGM_RSRC2:SCRATCH_EN: 0
; COMPUTE_PGM_RSRC2:USER_SGPR: 13
; COMPUTE_PGM_RSRC2:TRAP_HANDLER: 0
; COMPUTE_PGM_RSRC2:TGID_X_EN: 1
; COMPUTE_PGM_RSRC2:TGID_Y_EN: 1
; COMPUTE_PGM_RSRC2:TGID_Z_EN: 1
; COMPUTE_PGM_RSRC2:TIDIG_COMP_CNT: 1
	.section	.text._ZL37rocblas_syrkx_herkx_restricted_kernelIifLi16ELi32ELi8ELi1ELin1ELb0ELc84ELc85EKffEviT_PT9_S1_lS3_S1_lPT10_S1_li,"axG",@progbits,_ZL37rocblas_syrkx_herkx_restricted_kernelIifLi16ELi32ELi8ELi1ELin1ELb0ELc84ELc85EKffEviT_PT9_S1_lS3_S1_lPT10_S1_li,comdat
	.globl	_ZL37rocblas_syrkx_herkx_restricted_kernelIifLi16ELi32ELi8ELi1ELin1ELb0ELc84ELc85EKffEviT_PT9_S1_lS3_S1_lPT10_S1_li ; -- Begin function _ZL37rocblas_syrkx_herkx_restricted_kernelIifLi16ELi32ELi8ELi1ELin1ELb0ELc84ELc85EKffEviT_PT9_S1_lS3_S1_lPT10_S1_li
	.p2align	8
	.type	_ZL37rocblas_syrkx_herkx_restricted_kernelIifLi16ELi32ELi8ELi1ELin1ELb0ELc84ELc85EKffEviT_PT9_S1_lS3_S1_lPT10_S1_li,@function
_ZL37rocblas_syrkx_herkx_restricted_kernelIifLi16ELi32ELi8ELi1ELin1ELb0ELc84ELc85EKffEviT_PT9_S1_lS3_S1_lPT10_S1_li: ; @_ZL37rocblas_syrkx_herkx_restricted_kernelIifLi16ELi32ELi8ELi1ELin1ELb0ELc84ELc85EKffEviT_PT9_S1_lS3_S1_lPT10_S1_li
; %bb.0:
	s_clause 0x1
	s_load_b64 s[2:3], s[0:1], 0x0
	s_load_b128 s[4:7], s[0:1], 0x30
	v_dual_mov_b32 v9, 0 :: v_dual_and_b32 v6, 0x3ff, v0
	v_bfe_u32 v7, v0, 10, 10
	v_dual_mov_b32 v8, 0 :: v_dual_mov_b32 v1, 0
	v_mov_b32_e32 v0, 0
	s_lshl_b32 s12, s13, 5
	s_lshl_b32 s13, s14, 5
	s_mov_b32 s14, 0
	s_waitcnt lgkmcnt(0)
	s_cmp_lt_i32 s3, 1
	s_cbranch_scc1 .LBB11_3
; %bb.1:
	s_clause 0x3
	s_load_b32 s18, s[0:1], 0x10
	s_load_b128 s[8:11], s[0:1], 0x18
	s_load_b64 s[16:17], s[0:1], 0x8
	s_load_b32 s19, s[0:1], 0x28
	v_lshl_add_u32 v2, v7, 4, v6
	v_dual_mov_b32 v1, 0 :: v_dual_and_b32 v0, 7, v6
	v_lshlrev_b32_e32 v10, 2, v6
	s_mul_i32 s5, s5, s15
	s_delay_alu instid0(VALU_DEP_3) | instskip(SKIP_3) | instid1(VALU_DEP_4)
	v_lshrrev_b32_e32 v4, 3, v2
	v_and_b32_e32 v5, 31, v2
	v_lshlrev_b32_e32 v3, 2, v0
	v_lshrrev_b32_e32 v2, 5, v2
	v_add_nc_u32_e32 v14, s13, v4
	s_delay_alu instid0(VALU_DEP_4) | instskip(NEXT) | instid1(VALU_DEP_4)
	v_add_nc_u32_e32 v13, s12, v5
	v_lshl_or_b32 v9, v4, 5, v3
	v_dual_mov_b32 v3, v1 :: v_dual_lshlrev_b32 v8, 2, v5
	s_delay_alu instid0(VALU_DEP_2) | instskip(SKIP_1) | instid1(VALU_DEP_2)
	v_add_nc_u32_e32 v12, 0x400, v9
	s_waitcnt lgkmcnt(0)
	v_mad_i64_i32 v[4:5], null, s18, v13, v[2:3]
	s_delay_alu instid0(VALU_DEP_3)
	v_lshl_or_b32 v11, v2, 7, v8
	s_mul_i32 s9, s9, s15
	s_mul_hi_u32 s18, s8, s15
	v_mad_i64_i32 v[2:3], null, s19, v14, v[0:1]
	s_mul_i32 s8, s8, s15
	s_add_i32 s9, s18, s9
	s_delay_alu instid0(VALU_DEP_3)
	v_lshlrev_b64 v[4:5], 2, v[4:5]
	s_lshl_b64 s[8:9], s[8:9], 2
	v_lshl_add_u32 v13, v7, 5, 0x400
	s_add_u32 s8, s16, s8
	s_mul_hi_u32 s16, s4, s15
	s_addc_u32 s9, s17, s9
	s_add_i32 s5, s16, s5
	s_mul_i32 s4, s4, s15
	v_lshlrev_b64 v[8:9], 2, v[2:3]
	s_lshl_b64 s[4:5], s[4:5], 2
	v_add_co_u32 v2, vcc_lo, s8, v4
	s_add_u32 s4, s10, s4
	v_add_co_ci_u32_e32 v3, vcc_lo, s9, v5, vcc_lo
	s_addc_u32 s5, s11, s5
	v_add_co_u32 v4, vcc_lo, s4, v8
	v_add_co_ci_u32_e32 v5, vcc_lo, s5, v9, vcc_lo
	v_mov_b32_e32 v9, v1
	v_mov_b32_e32 v0, v1
	v_mov_b32_e32 v8, v1
.LBB11_2:                               ; =>This Inner Loop Header: Depth=1
	global_load_b32 v14, v[2:3], off
	global_load_b32 v15, v[4:5], off
	v_add_co_u32 v2, vcc_lo, v2, 32
	v_add_co_ci_u32_e32 v3, vcc_lo, 0, v3, vcc_lo
	v_add_co_u32 v4, vcc_lo, v4, 32
	v_add_co_ci_u32_e32 v5, vcc_lo, 0, v5, vcc_lo
	s_add_i32 s14, s14, 8
	s_waitcnt vmcnt(1)
	ds_store_b32 v11, v14
	s_waitcnt vmcnt(0)
	ds_store_b32 v12, v15
	s_waitcnt lgkmcnt(0)
	s_barrier
	buffer_gl0_inv
	ds_load_2addr_b32 v[30:31], v10 offset1:16
	ds_load_b128 v[14:17], v13
	ds_load_b128 v[18:21], v13 offset:512
	ds_load_2addr_b32 v[32:33], v10 offset0:32 offset1:48
	ds_load_2addr_b32 v[34:35], v10 offset0:64 offset1:80
	ds_load_b128 v[22:25], v13 offset:16
	ds_load_2addr_b32 v[36:37], v10 offset0:96 offset1:112
	ds_load_2addr_b32 v[38:39], v10 offset0:128 offset1:144
	;; [unrolled: 3-line block ×3, first 2 shown]
	ds_load_2addr_b32 v[44:45], v10 offset0:224 offset1:240
	s_cmp_ge_i32 s14, s3
	s_waitcnt lgkmcnt(0)
	s_barrier
	buffer_gl0_inv
	v_fmac_f32_e32 v8, v31, v14
	v_fmac_f32_e32 v9, v30, v14
	;; [unrolled: 1-line block ×4, first 2 shown]
	s_delay_alu instid0(VALU_DEP_4) | instskip(NEXT) | instid1(VALU_DEP_4)
	v_fmac_f32_e32 v8, v33, v15
	v_fmac_f32_e32 v9, v32, v15
	s_delay_alu instid0(VALU_DEP_4) | instskip(NEXT) | instid1(VALU_DEP_4)
	v_fmac_f32_e32 v1, v33, v19
	v_fmac_f32_e32 v0, v32, v19
	;; [unrolled: 3-line block ×14, first 2 shown]
	s_cbranch_scc0 .LBB11_2
.LBB11_3:
	s_clause 0x1
	s_load_b32 s3, s[0:1], 0x40
	s_load_b64 s[0:1], s[0:1], 0x48
	v_add_nc_u32_e32 v7, s13, v7
	v_add_nc_u32_e32 v2, s12, v6
	s_delay_alu instid0(VALU_DEP_2)
	v_cmp_gt_i32_e32 vcc_lo, s2, v7
	s_waitcnt lgkmcnt(0)
	v_mad_i64_i32 v[3:4], null, v7, s3, 0
	s_mul_i32 s1, s15, s1
	s_mul_hi_u32 s4, s15, s0
	s_mul_i32 s0, s15, s0
	s_add_i32 s1, s4, s1
	s_delay_alu instid0(SALU_CYCLE_1) | instskip(NEXT) | instid1(VALU_DEP_1)
	s_lshl_b64 s[4:5], s[0:1], 2
	v_lshlrev_b64 v[3:4], 2, v[3:4]
	s_add_u32 s4, s6, s4
	v_cmp_le_i32_e64 s0, v2, v7
	s_addc_u32 s5, s7, s5
	s_delay_alu instid0(VALU_DEP_2) | instskip(NEXT) | instid1(VALU_DEP_1)
	v_add_co_u32 v6, s1, s4, v3
	v_add_co_ci_u32_e64 v10, s1, s5, v4, s1
	s_delay_alu instid0(VALU_DEP_3) | instskip(NEXT) | instid1(SALU_CYCLE_1)
	s_and_b32 s0, vcc_lo, s0
	s_and_saveexec_b32 s1, s0
	s_cbranch_execz .LBB11_5
; %bb.4:
	v_ashrrev_i32_e32 v3, 31, v2
	s_delay_alu instid0(VALU_DEP_1) | instskip(NEXT) | instid1(VALU_DEP_1)
	v_lshlrev_b64 v[3:4], 2, v[2:3]
	v_add_co_u32 v3, s0, v6, v3
	s_delay_alu instid0(VALU_DEP_1)
	v_add_co_ci_u32_e64 v4, s0, v10, v4, s0
	global_load_b32 v5, v[3:4], off
	s_waitcnt vmcnt(0)
	v_sub_f32_e32 v5, v9, v5
	global_store_b32 v[3:4], v5, off
.LBB11_5:
	s_or_b32 exec_lo, exec_lo, s1
	v_add_nc_u32_e32 v4, 16, v2
	s_delay_alu instid0(VALU_DEP_1) | instskip(NEXT) | instid1(VALU_DEP_1)
	v_cmp_le_i32_e64 s0, v4, v7
	s_and_b32 s1, vcc_lo, s0
	s_delay_alu instid0(SALU_CYCLE_1)
	s_and_saveexec_b32 s0, s1
	s_cbranch_execz .LBB11_7
; %bb.6:
	v_ashrrev_i32_e32 v5, 31, v4
	s_delay_alu instid0(VALU_DEP_1) | instskip(NEXT) | instid1(VALU_DEP_1)
	v_lshlrev_b64 v[11:12], 2, v[4:5]
	v_add_co_u32 v5, vcc_lo, v6, v11
	s_delay_alu instid0(VALU_DEP_2)
	v_add_co_ci_u32_e32 v6, vcc_lo, v10, v12, vcc_lo
	global_load_b32 v3, v[5:6], off
	s_waitcnt vmcnt(0)
	v_sub_f32_e32 v3, v8, v3
	global_store_b32 v[5:6], v3, off
.LBB11_7:
	s_or_b32 exec_lo, exec_lo, s0
	v_add_nc_u32_e32 v5, 16, v7
	s_delay_alu instid0(VALU_DEP_1) | instskip(SKIP_2) | instid1(VALU_DEP_1)
	v_mad_i64_i32 v[6:7], null, v5, s3, 0
	v_cmp_gt_i32_e32 vcc_lo, s2, v5
	v_cmp_le_i32_e64 s0, v2, v5
	s_and_b32 s0, vcc_lo, s0
	s_delay_alu instid0(VALU_DEP_3) | instskip(NEXT) | instid1(VALU_DEP_1)
	v_lshlrev_b64 v[6:7], 2, v[6:7]
	v_add_co_u32 v6, s1, s4, v6
	s_delay_alu instid0(VALU_DEP_1)
	v_add_co_ci_u32_e64 v7, s1, s5, v7, s1
	s_and_saveexec_b32 s1, s0
	s_cbranch_execz .LBB11_9
; %bb.8:
	v_ashrrev_i32_e32 v3, 31, v2
	s_delay_alu instid0(VALU_DEP_1) | instskip(NEXT) | instid1(VALU_DEP_1)
	v_lshlrev_b64 v[2:3], 2, v[2:3]
	v_add_co_u32 v2, s0, v6, v2
	s_delay_alu instid0(VALU_DEP_1)
	v_add_co_ci_u32_e64 v3, s0, v7, v3, s0
	global_load_b32 v8, v[2:3], off
	s_waitcnt vmcnt(0)
	v_sub_f32_e32 v0, v0, v8
	global_store_b32 v[2:3], v0, off
.LBB11_9:
	s_or_b32 exec_lo, exec_lo, s1
	v_cmp_le_i32_e64 s0, v4, v5
	s_delay_alu instid0(VALU_DEP_1) | instskip(NEXT) | instid1(SALU_CYCLE_1)
	s_and_b32 s0, vcc_lo, s0
	s_and_saveexec_b32 s1, s0
	s_cbranch_execz .LBB11_11
; %bb.10:
	v_ashrrev_i32_e32 v5, 31, v4
	s_delay_alu instid0(VALU_DEP_1) | instskip(NEXT) | instid1(VALU_DEP_1)
	v_lshlrev_b64 v[2:3], 2, v[4:5]
	v_add_co_u32 v2, vcc_lo, v6, v2
	s_delay_alu instid0(VALU_DEP_2)
	v_add_co_ci_u32_e32 v3, vcc_lo, v7, v3, vcc_lo
	global_load_b32 v0, v[2:3], off
	s_waitcnt vmcnt(0)
	v_sub_f32_e32 v0, v1, v0
	global_store_b32 v[2:3], v0, off
.LBB11_11:
	s_nop 0
	s_sendmsg sendmsg(MSG_DEALLOC_VGPRS)
	s_endpgm
	.section	.rodata,"a",@progbits
	.p2align	6, 0x0
	.amdhsa_kernel _ZL37rocblas_syrkx_herkx_restricted_kernelIifLi16ELi32ELi8ELi1ELin1ELb0ELc84ELc85EKffEviT_PT9_S1_lS3_S1_lPT10_S1_li
		.amdhsa_group_segment_fixed_size 2048
		.amdhsa_private_segment_fixed_size 0
		.amdhsa_kernarg_size 84
		.amdhsa_user_sgpr_count 13
		.amdhsa_user_sgpr_dispatch_ptr 0
		.amdhsa_user_sgpr_queue_ptr 0
		.amdhsa_user_sgpr_kernarg_segment_ptr 1
		.amdhsa_user_sgpr_dispatch_id 0
		.amdhsa_user_sgpr_private_segment_size 0
		.amdhsa_wavefront_size32 1
		.amdhsa_uses_dynamic_stack 0
		.amdhsa_enable_private_segment 0
		.amdhsa_system_sgpr_workgroup_id_x 1
		.amdhsa_system_sgpr_workgroup_id_y 1
		.amdhsa_system_sgpr_workgroup_id_z 1
		.amdhsa_system_sgpr_workgroup_info 0
		.amdhsa_system_vgpr_workitem_id 1
		.amdhsa_next_free_vgpr 46
		.amdhsa_next_free_sgpr 20
		.amdhsa_reserve_vcc 1
		.amdhsa_float_round_mode_32 0
		.amdhsa_float_round_mode_16_64 0
		.amdhsa_float_denorm_mode_32 3
		.amdhsa_float_denorm_mode_16_64 3
		.amdhsa_dx10_clamp 1
		.amdhsa_ieee_mode 1
		.amdhsa_fp16_overflow 0
		.amdhsa_workgroup_processor_mode 1
		.amdhsa_memory_ordered 1
		.amdhsa_forward_progress 0
		.amdhsa_shared_vgpr_count 0
		.amdhsa_exception_fp_ieee_invalid_op 0
		.amdhsa_exception_fp_denorm_src 0
		.amdhsa_exception_fp_ieee_div_zero 0
		.amdhsa_exception_fp_ieee_overflow 0
		.amdhsa_exception_fp_ieee_underflow 0
		.amdhsa_exception_fp_ieee_inexact 0
		.amdhsa_exception_int_div_zero 0
	.end_amdhsa_kernel
	.section	.text._ZL37rocblas_syrkx_herkx_restricted_kernelIifLi16ELi32ELi8ELi1ELin1ELb0ELc84ELc85EKffEviT_PT9_S1_lS3_S1_lPT10_S1_li,"axG",@progbits,_ZL37rocblas_syrkx_herkx_restricted_kernelIifLi16ELi32ELi8ELi1ELin1ELb0ELc84ELc85EKffEviT_PT9_S1_lS3_S1_lPT10_S1_li,comdat
.Lfunc_end11:
	.size	_ZL37rocblas_syrkx_herkx_restricted_kernelIifLi16ELi32ELi8ELi1ELin1ELb0ELc84ELc85EKffEviT_PT9_S1_lS3_S1_lPT10_S1_li, .Lfunc_end11-_ZL37rocblas_syrkx_herkx_restricted_kernelIifLi16ELi32ELi8ELi1ELin1ELb0ELc84ELc85EKffEviT_PT9_S1_lS3_S1_lPT10_S1_li
                                        ; -- End function
	.section	.AMDGPU.csdata,"",@progbits
; Kernel info:
; codeLenInByte = 1252
; NumSgprs: 22
; NumVgprs: 46
; ScratchSize: 0
; MemoryBound: 0
; FloatMode: 240
; IeeeMode: 1
; LDSByteSize: 2048 bytes/workgroup (compile time only)
; SGPRBlocks: 2
; VGPRBlocks: 5
; NumSGPRsForWavesPerEU: 22
; NumVGPRsForWavesPerEU: 46
; Occupancy: 16
; WaveLimiterHint : 0
; COMPUTE_PGM_RSRC2:SCRATCH_EN: 0
; COMPUTE_PGM_RSRC2:USER_SGPR: 13
; COMPUTE_PGM_RSRC2:TRAP_HANDLER: 0
; COMPUTE_PGM_RSRC2:TGID_X_EN: 1
; COMPUTE_PGM_RSRC2:TGID_Y_EN: 1
; COMPUTE_PGM_RSRC2:TGID_Z_EN: 1
; COMPUTE_PGM_RSRC2:TIDIG_COMP_CNT: 1
	.section	.text._ZL37rocblas_syrkx_herkx_restricted_kernelIifLi16ELi32ELi8ELi1ELin1ELb0ELc67ELc85EKffEviT_PT9_S1_lS3_S1_lPT10_S1_li,"axG",@progbits,_ZL37rocblas_syrkx_herkx_restricted_kernelIifLi16ELi32ELi8ELi1ELin1ELb0ELc67ELc85EKffEviT_PT9_S1_lS3_S1_lPT10_S1_li,comdat
	.globl	_ZL37rocblas_syrkx_herkx_restricted_kernelIifLi16ELi32ELi8ELi1ELin1ELb0ELc67ELc85EKffEviT_PT9_S1_lS3_S1_lPT10_S1_li ; -- Begin function _ZL37rocblas_syrkx_herkx_restricted_kernelIifLi16ELi32ELi8ELi1ELin1ELb0ELc67ELc85EKffEviT_PT9_S1_lS3_S1_lPT10_S1_li
	.p2align	8
	.type	_ZL37rocblas_syrkx_herkx_restricted_kernelIifLi16ELi32ELi8ELi1ELin1ELb0ELc67ELc85EKffEviT_PT9_S1_lS3_S1_lPT10_S1_li,@function
_ZL37rocblas_syrkx_herkx_restricted_kernelIifLi16ELi32ELi8ELi1ELin1ELb0ELc67ELc85EKffEviT_PT9_S1_lS3_S1_lPT10_S1_li: ; @_ZL37rocblas_syrkx_herkx_restricted_kernelIifLi16ELi32ELi8ELi1ELin1ELb0ELc67ELc85EKffEviT_PT9_S1_lS3_S1_lPT10_S1_li
; %bb.0:
	s_clause 0x1
	s_load_b64 s[2:3], s[0:1], 0x0
	s_load_b128 s[4:7], s[0:1], 0x30
	v_dual_mov_b32 v9, 0 :: v_dual_and_b32 v6, 0x3ff, v0
	v_bfe_u32 v7, v0, 10, 10
	v_dual_mov_b32 v8, 0 :: v_dual_mov_b32 v1, 0
	v_mov_b32_e32 v0, 0
	s_lshl_b32 s12, s13, 5
	s_lshl_b32 s13, s14, 5
	s_mov_b32 s14, 0
	s_waitcnt lgkmcnt(0)
	s_cmp_lt_i32 s3, 1
	s_cbranch_scc1 .LBB12_3
; %bb.1:
	s_clause 0x3
	s_load_b32 s18, s[0:1], 0x10
	s_load_b128 s[8:11], s[0:1], 0x18
	s_load_b64 s[16:17], s[0:1], 0x8
	s_load_b32 s19, s[0:1], 0x28
	v_lshl_add_u32 v2, v7, 4, v6
	v_dual_mov_b32 v1, 0 :: v_dual_and_b32 v0, 7, v6
	v_lshlrev_b32_e32 v10, 2, v6
	s_mul_i32 s5, s5, s15
	s_delay_alu instid0(VALU_DEP_3) | instskip(SKIP_3) | instid1(VALU_DEP_4)
	v_lshrrev_b32_e32 v4, 3, v2
	v_and_b32_e32 v5, 31, v2
	v_lshlrev_b32_e32 v3, 2, v0
	v_lshrrev_b32_e32 v2, 5, v2
	v_add_nc_u32_e32 v14, s13, v4
	s_delay_alu instid0(VALU_DEP_4) | instskip(NEXT) | instid1(VALU_DEP_4)
	v_add_nc_u32_e32 v13, s12, v5
	v_lshl_or_b32 v9, v4, 5, v3
	v_dual_mov_b32 v3, v1 :: v_dual_lshlrev_b32 v8, 2, v5
	s_delay_alu instid0(VALU_DEP_2) | instskip(SKIP_1) | instid1(VALU_DEP_2)
	v_add_nc_u32_e32 v12, 0x400, v9
	s_waitcnt lgkmcnt(0)
	v_mad_i64_i32 v[4:5], null, s18, v13, v[2:3]
	s_delay_alu instid0(VALU_DEP_3)
	v_lshl_or_b32 v11, v2, 7, v8
	s_mul_i32 s9, s9, s15
	s_mul_hi_u32 s18, s8, s15
	v_mad_i64_i32 v[2:3], null, s19, v14, v[0:1]
	s_mul_i32 s8, s8, s15
	s_add_i32 s9, s18, s9
	s_delay_alu instid0(VALU_DEP_3)
	v_lshlrev_b64 v[4:5], 2, v[4:5]
	s_lshl_b64 s[8:9], s[8:9], 2
	v_lshl_add_u32 v13, v7, 5, 0x400
	s_add_u32 s8, s16, s8
	s_mul_hi_u32 s16, s4, s15
	s_addc_u32 s9, s17, s9
	s_add_i32 s5, s16, s5
	s_mul_i32 s4, s4, s15
	v_lshlrev_b64 v[8:9], 2, v[2:3]
	s_lshl_b64 s[4:5], s[4:5], 2
	v_add_co_u32 v2, vcc_lo, s8, v4
	s_add_u32 s4, s10, s4
	v_add_co_ci_u32_e32 v3, vcc_lo, s9, v5, vcc_lo
	s_addc_u32 s5, s11, s5
	v_add_co_u32 v4, vcc_lo, s4, v8
	v_add_co_ci_u32_e32 v5, vcc_lo, s5, v9, vcc_lo
	v_mov_b32_e32 v9, v1
	v_mov_b32_e32 v0, v1
	;; [unrolled: 1-line block ×3, first 2 shown]
.LBB12_2:                               ; =>This Inner Loop Header: Depth=1
	global_load_b32 v14, v[2:3], off
	global_load_b32 v15, v[4:5], off
	v_add_co_u32 v2, vcc_lo, v2, 32
	v_add_co_ci_u32_e32 v3, vcc_lo, 0, v3, vcc_lo
	v_add_co_u32 v4, vcc_lo, v4, 32
	v_add_co_ci_u32_e32 v5, vcc_lo, 0, v5, vcc_lo
	s_add_i32 s14, s14, 8
	s_waitcnt vmcnt(1)
	ds_store_b32 v11, v14
	s_waitcnt vmcnt(0)
	ds_store_b32 v12, v15
	s_waitcnt lgkmcnt(0)
	s_barrier
	buffer_gl0_inv
	ds_load_2addr_b32 v[30:31], v10 offset1:16
	ds_load_b128 v[14:17], v13
	ds_load_b128 v[18:21], v13 offset:512
	ds_load_2addr_b32 v[32:33], v10 offset0:32 offset1:48
	ds_load_2addr_b32 v[34:35], v10 offset0:64 offset1:80
	ds_load_b128 v[22:25], v13 offset:16
	ds_load_2addr_b32 v[36:37], v10 offset0:96 offset1:112
	ds_load_2addr_b32 v[38:39], v10 offset0:128 offset1:144
	;; [unrolled: 3-line block ×3, first 2 shown]
	ds_load_2addr_b32 v[44:45], v10 offset0:224 offset1:240
	s_cmp_ge_i32 s14, s3
	s_waitcnt lgkmcnt(0)
	s_barrier
	buffer_gl0_inv
	v_fmac_f32_e32 v8, v31, v14
	v_fmac_f32_e32 v9, v30, v14
	v_fmac_f32_e32 v1, v31, v18
	v_fmac_f32_e32 v0, v30, v18
	s_delay_alu instid0(VALU_DEP_4) | instskip(NEXT) | instid1(VALU_DEP_4)
	v_fmac_f32_e32 v8, v33, v15
	v_fmac_f32_e32 v9, v32, v15
	s_delay_alu instid0(VALU_DEP_4) | instskip(NEXT) | instid1(VALU_DEP_4)
	v_fmac_f32_e32 v1, v33, v19
	v_fmac_f32_e32 v0, v32, v19
	s_delay_alu instid0(VALU_DEP_4) | instskip(NEXT) | instid1(VALU_DEP_4)
	v_fmac_f32_e32 v8, v35, v16
	v_fmac_f32_e32 v9, v34, v16
	s_delay_alu instid0(VALU_DEP_4) | instskip(NEXT) | instid1(VALU_DEP_4)
	v_fmac_f32_e32 v1, v35, v20
	v_fmac_f32_e32 v0, v34, v20
	s_delay_alu instid0(VALU_DEP_4) | instskip(NEXT) | instid1(VALU_DEP_4)
	v_fmac_f32_e32 v8, v37, v17
	v_fmac_f32_e32 v9, v36, v17
	s_delay_alu instid0(VALU_DEP_4) | instskip(NEXT) | instid1(VALU_DEP_4)
	v_fmac_f32_e32 v1, v37, v21
	v_fmac_f32_e32 v0, v36, v21
	s_delay_alu instid0(VALU_DEP_4) | instskip(NEXT) | instid1(VALU_DEP_4)
	v_fmac_f32_e32 v8, v39, v22
	v_fmac_f32_e32 v9, v38, v22
	s_delay_alu instid0(VALU_DEP_4) | instskip(NEXT) | instid1(VALU_DEP_4)
	v_fmac_f32_e32 v1, v39, v26
	v_fmac_f32_e32 v0, v38, v26
	s_delay_alu instid0(VALU_DEP_4) | instskip(NEXT) | instid1(VALU_DEP_4)
	v_fmac_f32_e32 v8, v41, v23
	v_fmac_f32_e32 v9, v40, v23
	s_delay_alu instid0(VALU_DEP_4) | instskip(NEXT) | instid1(VALU_DEP_4)
	v_fmac_f32_e32 v1, v41, v27
	v_fmac_f32_e32 v0, v40, v27
	s_delay_alu instid0(VALU_DEP_4) | instskip(NEXT) | instid1(VALU_DEP_4)
	v_fmac_f32_e32 v8, v43, v24
	v_fmac_f32_e32 v9, v42, v24
	s_delay_alu instid0(VALU_DEP_4) | instskip(NEXT) | instid1(VALU_DEP_4)
	v_fmac_f32_e32 v1, v43, v28
	v_fmac_f32_e32 v0, v42, v28
	s_delay_alu instid0(VALU_DEP_4) | instskip(NEXT) | instid1(VALU_DEP_4)
	v_fmac_f32_e32 v8, v45, v25
	v_fmac_f32_e32 v9, v44, v25
	s_delay_alu instid0(VALU_DEP_4) | instskip(NEXT) | instid1(VALU_DEP_4)
	v_fmac_f32_e32 v1, v45, v29
	v_fmac_f32_e32 v0, v44, v29
	s_cbranch_scc0 .LBB12_2
.LBB12_3:
	s_clause 0x1
	s_load_b32 s3, s[0:1], 0x40
	s_load_b64 s[0:1], s[0:1], 0x48
	v_add_nc_u32_e32 v7, s13, v7
	v_add_nc_u32_e32 v2, s12, v6
	s_delay_alu instid0(VALU_DEP_2)
	v_cmp_gt_i32_e32 vcc_lo, s2, v7
	s_waitcnt lgkmcnt(0)
	v_mad_i64_i32 v[3:4], null, v7, s3, 0
	s_mul_i32 s1, s15, s1
	s_mul_hi_u32 s4, s15, s0
	s_mul_i32 s0, s15, s0
	s_add_i32 s1, s4, s1
	s_delay_alu instid0(SALU_CYCLE_1) | instskip(NEXT) | instid1(VALU_DEP_1)
	s_lshl_b64 s[4:5], s[0:1], 2
	v_lshlrev_b64 v[3:4], 2, v[3:4]
	s_add_u32 s4, s6, s4
	v_cmp_le_i32_e64 s0, v2, v7
	s_addc_u32 s5, s7, s5
	s_delay_alu instid0(VALU_DEP_2) | instskip(NEXT) | instid1(VALU_DEP_1)
	v_add_co_u32 v6, s1, s4, v3
	v_add_co_ci_u32_e64 v10, s1, s5, v4, s1
	s_delay_alu instid0(VALU_DEP_3) | instskip(NEXT) | instid1(SALU_CYCLE_1)
	s_and_b32 s0, vcc_lo, s0
	s_and_saveexec_b32 s1, s0
	s_cbranch_execz .LBB12_5
; %bb.4:
	v_ashrrev_i32_e32 v3, 31, v2
	s_delay_alu instid0(VALU_DEP_1) | instskip(NEXT) | instid1(VALU_DEP_1)
	v_lshlrev_b64 v[3:4], 2, v[2:3]
	v_add_co_u32 v3, s0, v6, v3
	s_delay_alu instid0(VALU_DEP_1)
	v_add_co_ci_u32_e64 v4, s0, v10, v4, s0
	global_load_b32 v5, v[3:4], off
	s_waitcnt vmcnt(0)
	v_sub_f32_e32 v5, v9, v5
	global_store_b32 v[3:4], v5, off
.LBB12_5:
	s_or_b32 exec_lo, exec_lo, s1
	v_add_nc_u32_e32 v4, 16, v2
	s_delay_alu instid0(VALU_DEP_1) | instskip(NEXT) | instid1(VALU_DEP_1)
	v_cmp_le_i32_e64 s0, v4, v7
	s_and_b32 s1, vcc_lo, s0
	s_delay_alu instid0(SALU_CYCLE_1)
	s_and_saveexec_b32 s0, s1
	s_cbranch_execz .LBB12_7
; %bb.6:
	v_ashrrev_i32_e32 v5, 31, v4
	s_delay_alu instid0(VALU_DEP_1) | instskip(NEXT) | instid1(VALU_DEP_1)
	v_lshlrev_b64 v[11:12], 2, v[4:5]
	v_add_co_u32 v5, vcc_lo, v6, v11
	s_delay_alu instid0(VALU_DEP_2)
	v_add_co_ci_u32_e32 v6, vcc_lo, v10, v12, vcc_lo
	global_load_b32 v3, v[5:6], off
	s_waitcnt vmcnt(0)
	v_sub_f32_e32 v3, v8, v3
	global_store_b32 v[5:6], v3, off
.LBB12_7:
	s_or_b32 exec_lo, exec_lo, s0
	v_add_nc_u32_e32 v5, 16, v7
	s_delay_alu instid0(VALU_DEP_1) | instskip(SKIP_2) | instid1(VALU_DEP_1)
	v_mad_i64_i32 v[6:7], null, v5, s3, 0
	v_cmp_gt_i32_e32 vcc_lo, s2, v5
	v_cmp_le_i32_e64 s0, v2, v5
	s_and_b32 s0, vcc_lo, s0
	s_delay_alu instid0(VALU_DEP_3) | instskip(NEXT) | instid1(VALU_DEP_1)
	v_lshlrev_b64 v[6:7], 2, v[6:7]
	v_add_co_u32 v6, s1, s4, v6
	s_delay_alu instid0(VALU_DEP_1)
	v_add_co_ci_u32_e64 v7, s1, s5, v7, s1
	s_and_saveexec_b32 s1, s0
	s_cbranch_execz .LBB12_9
; %bb.8:
	v_ashrrev_i32_e32 v3, 31, v2
	s_delay_alu instid0(VALU_DEP_1) | instskip(NEXT) | instid1(VALU_DEP_1)
	v_lshlrev_b64 v[2:3], 2, v[2:3]
	v_add_co_u32 v2, s0, v6, v2
	s_delay_alu instid0(VALU_DEP_1)
	v_add_co_ci_u32_e64 v3, s0, v7, v3, s0
	global_load_b32 v8, v[2:3], off
	s_waitcnt vmcnt(0)
	v_sub_f32_e32 v0, v0, v8
	global_store_b32 v[2:3], v0, off
.LBB12_9:
	s_or_b32 exec_lo, exec_lo, s1
	v_cmp_le_i32_e64 s0, v4, v5
	s_delay_alu instid0(VALU_DEP_1) | instskip(NEXT) | instid1(SALU_CYCLE_1)
	s_and_b32 s0, vcc_lo, s0
	s_and_saveexec_b32 s1, s0
	s_cbranch_execz .LBB12_11
; %bb.10:
	v_ashrrev_i32_e32 v5, 31, v4
	s_delay_alu instid0(VALU_DEP_1) | instskip(NEXT) | instid1(VALU_DEP_1)
	v_lshlrev_b64 v[2:3], 2, v[4:5]
	v_add_co_u32 v2, vcc_lo, v6, v2
	s_delay_alu instid0(VALU_DEP_2)
	v_add_co_ci_u32_e32 v3, vcc_lo, v7, v3, vcc_lo
	global_load_b32 v0, v[2:3], off
	s_waitcnt vmcnt(0)
	v_sub_f32_e32 v0, v1, v0
	global_store_b32 v[2:3], v0, off
.LBB12_11:
	s_nop 0
	s_sendmsg sendmsg(MSG_DEALLOC_VGPRS)
	s_endpgm
	.section	.rodata,"a",@progbits
	.p2align	6, 0x0
	.amdhsa_kernel _ZL37rocblas_syrkx_herkx_restricted_kernelIifLi16ELi32ELi8ELi1ELin1ELb0ELc67ELc85EKffEviT_PT9_S1_lS3_S1_lPT10_S1_li
		.amdhsa_group_segment_fixed_size 2048
		.amdhsa_private_segment_fixed_size 0
		.amdhsa_kernarg_size 84
		.amdhsa_user_sgpr_count 13
		.amdhsa_user_sgpr_dispatch_ptr 0
		.amdhsa_user_sgpr_queue_ptr 0
		.amdhsa_user_sgpr_kernarg_segment_ptr 1
		.amdhsa_user_sgpr_dispatch_id 0
		.amdhsa_user_sgpr_private_segment_size 0
		.amdhsa_wavefront_size32 1
		.amdhsa_uses_dynamic_stack 0
		.amdhsa_enable_private_segment 0
		.amdhsa_system_sgpr_workgroup_id_x 1
		.amdhsa_system_sgpr_workgroup_id_y 1
		.amdhsa_system_sgpr_workgroup_id_z 1
		.amdhsa_system_sgpr_workgroup_info 0
		.amdhsa_system_vgpr_workitem_id 1
		.amdhsa_next_free_vgpr 46
		.amdhsa_next_free_sgpr 20
		.amdhsa_reserve_vcc 1
		.amdhsa_float_round_mode_32 0
		.amdhsa_float_round_mode_16_64 0
		.amdhsa_float_denorm_mode_32 3
		.amdhsa_float_denorm_mode_16_64 3
		.amdhsa_dx10_clamp 1
		.amdhsa_ieee_mode 1
		.amdhsa_fp16_overflow 0
		.amdhsa_workgroup_processor_mode 1
		.amdhsa_memory_ordered 1
		.amdhsa_forward_progress 0
		.amdhsa_shared_vgpr_count 0
		.amdhsa_exception_fp_ieee_invalid_op 0
		.amdhsa_exception_fp_denorm_src 0
		.amdhsa_exception_fp_ieee_div_zero 0
		.amdhsa_exception_fp_ieee_overflow 0
		.amdhsa_exception_fp_ieee_underflow 0
		.amdhsa_exception_fp_ieee_inexact 0
		.amdhsa_exception_int_div_zero 0
	.end_amdhsa_kernel
	.section	.text._ZL37rocblas_syrkx_herkx_restricted_kernelIifLi16ELi32ELi8ELi1ELin1ELb0ELc67ELc85EKffEviT_PT9_S1_lS3_S1_lPT10_S1_li,"axG",@progbits,_ZL37rocblas_syrkx_herkx_restricted_kernelIifLi16ELi32ELi8ELi1ELin1ELb0ELc67ELc85EKffEviT_PT9_S1_lS3_S1_lPT10_S1_li,comdat
.Lfunc_end12:
	.size	_ZL37rocblas_syrkx_herkx_restricted_kernelIifLi16ELi32ELi8ELi1ELin1ELb0ELc67ELc85EKffEviT_PT9_S1_lS3_S1_lPT10_S1_li, .Lfunc_end12-_ZL37rocblas_syrkx_herkx_restricted_kernelIifLi16ELi32ELi8ELi1ELin1ELb0ELc67ELc85EKffEviT_PT9_S1_lS3_S1_lPT10_S1_li
                                        ; -- End function
	.section	.AMDGPU.csdata,"",@progbits
; Kernel info:
; codeLenInByte = 1252
; NumSgprs: 22
; NumVgprs: 46
; ScratchSize: 0
; MemoryBound: 0
; FloatMode: 240
; IeeeMode: 1
; LDSByteSize: 2048 bytes/workgroup (compile time only)
; SGPRBlocks: 2
; VGPRBlocks: 5
; NumSGPRsForWavesPerEU: 22
; NumVGPRsForWavesPerEU: 46
; Occupancy: 16
; WaveLimiterHint : 0
; COMPUTE_PGM_RSRC2:SCRATCH_EN: 0
; COMPUTE_PGM_RSRC2:USER_SGPR: 13
; COMPUTE_PGM_RSRC2:TRAP_HANDLER: 0
; COMPUTE_PGM_RSRC2:TGID_X_EN: 1
; COMPUTE_PGM_RSRC2:TGID_Y_EN: 1
; COMPUTE_PGM_RSRC2:TGID_Z_EN: 1
; COMPUTE_PGM_RSRC2:TIDIG_COMP_CNT: 1
	.section	.text._ZL37rocblas_syrkx_herkx_restricted_kernelIifLi16ELi32ELi8ELi1ELin1ELb0ELc78ELc85EKffEviT_PT9_S1_lS3_S1_lPT10_S1_li,"axG",@progbits,_ZL37rocblas_syrkx_herkx_restricted_kernelIifLi16ELi32ELi8ELi1ELin1ELb0ELc78ELc85EKffEviT_PT9_S1_lS3_S1_lPT10_S1_li,comdat
	.globl	_ZL37rocblas_syrkx_herkx_restricted_kernelIifLi16ELi32ELi8ELi1ELin1ELb0ELc78ELc85EKffEviT_PT9_S1_lS3_S1_lPT10_S1_li ; -- Begin function _ZL37rocblas_syrkx_herkx_restricted_kernelIifLi16ELi32ELi8ELi1ELin1ELb0ELc78ELc85EKffEviT_PT9_S1_lS3_S1_lPT10_S1_li
	.p2align	8
	.type	_ZL37rocblas_syrkx_herkx_restricted_kernelIifLi16ELi32ELi8ELi1ELin1ELb0ELc78ELc85EKffEviT_PT9_S1_lS3_S1_lPT10_S1_li,@function
_ZL37rocblas_syrkx_herkx_restricted_kernelIifLi16ELi32ELi8ELi1ELin1ELb0ELc78ELc85EKffEviT_PT9_S1_lS3_S1_lPT10_S1_li: ; @_ZL37rocblas_syrkx_herkx_restricted_kernelIifLi16ELi32ELi8ELi1ELin1ELb0ELc78ELc85EKffEviT_PT9_S1_lS3_S1_lPT10_S1_li
; %bb.0:
	s_clause 0x1
	s_load_b64 s[2:3], s[0:1], 0x0
	s_load_b128 s[4:7], s[0:1], 0x30
	v_dual_mov_b32 v8, 0 :: v_dual_and_b32 v5, 0x3ff, v0
	v_bfe_u32 v6, v0, 10, 10
	v_dual_mov_b32 v9, 0 :: v_dual_mov_b32 v4, 0
	v_mov_b32_e32 v7, 0
	s_lshl_b32 s12, s13, 5
	s_lshl_b32 s13, s14, 5
	s_mov_b32 s14, 0
	s_waitcnt lgkmcnt(0)
	s_cmp_lt_i32 s3, 1
	s_cbranch_scc1 .LBB13_3
; %bb.1:
	s_clause 0x1
	s_load_b32 s16, s[0:1], 0x10
	s_load_b32 s18, s[0:1], 0x28
	v_lshl_add_u32 v0, v6, 4, v5
	v_and_b32_e32 v4, 7, v5
	s_clause 0x1
	s_load_b128 s[8:11], s[0:1], 0x18
	s_load_b64 s[20:21], s[0:1], 0x8
	s_mul_i32 s5, s5, s15
	v_lshrrev_b32_e32 v1, 3, v0
	v_and_b32_e32 v2, 31, v0
	v_lshrrev_b32_e32 v9, 5, v0
	v_lshlrev_b32_e32 v3, 2, v4
	v_lshlrev_b32_e32 v12, 2, v5
	v_add_nc_u32_e32 v0, s13, v1
	v_lshlrev_b32_e32 v7, 2, v2
	v_add_nc_u32_e32 v2, s12, v2
	v_lshl_or_b32 v11, v1, 5, v3
	v_lshl_add_u32 v13, v6, 5, 0x400
	v_ashrrev_i32_e32 v1, 31, v0
	v_lshl_or_b32 v10, v9, 7, v7
	v_ashrrev_i32_e32 v3, 31, v2
	s_waitcnt lgkmcnt(0)
	s_ashr_i32 s17, s16, 31
	s_ashr_i32 s19, s18, 31
	v_mad_i64_i32 v[7:8], null, s18, v4, v[0:1]
	v_mad_i64_i32 v[0:1], null, s16, v9, v[2:3]
	s_mul_i32 s9, s9, s15
	s_mul_hi_u32 s22, s8, s15
	s_mul_i32 s8, s8, s15
	s_add_i32 s9, s22, s9
	s_delay_alu instid0(VALU_DEP_2) | instskip(SKIP_1) | instid1(VALU_DEP_3)
	v_lshlrev_b64 v[2:3], 2, v[7:8]
	v_mov_b32_e32 v8, 0
	v_lshlrev_b64 v[0:1], 2, v[0:1]
	s_lshl_b64 s[8:9], s[8:9], 2
	v_add_nc_u32_e32 v11, 0x400, v11
	s_add_u32 s8, s20, s8
	s_mul_hi_u32 s20, s4, s15
	s_addc_u32 s9, s21, s9
	v_add_co_u32 v0, vcc_lo, s8, v0
	s_add_i32 s5, s20, s5
	s_mul_i32 s4, s4, s15
	v_add_co_ci_u32_e32 v1, vcc_lo, s9, v1, vcc_lo
	s_lshl_b64 s[8:9], s[4:5], 2
	s_lshl_b64 s[4:5], s[16:17], 5
	s_add_u32 s8, s10, s8
	s_addc_u32 s9, s11, s9
	v_add_co_u32 v2, vcc_lo, s8, v2
	v_add_co_ci_u32_e32 v3, vcc_lo, s9, v3, vcc_lo
	v_dual_mov_b32 v4, 0 :: v_dual_mov_b32 v7, 0
	v_mov_b32_e32 v9, 0
	s_lshl_b64 s[8:9], s[18:19], 5
.LBB13_2:                               ; =>This Inner Loop Header: Depth=1
	global_load_b32 v14, v[0:1], off
	global_load_b32 v15, v[2:3], off
	v_add_co_u32 v0, vcc_lo, v0, s4
	v_add_co_ci_u32_e32 v1, vcc_lo, s5, v1, vcc_lo
	v_add_co_u32 v2, vcc_lo, v2, s8
	v_add_co_ci_u32_e32 v3, vcc_lo, s9, v3, vcc_lo
	s_add_i32 s14, s14, 8
	s_waitcnt vmcnt(1)
	ds_store_b32 v10, v14
	s_waitcnt vmcnt(0)
	ds_store_b32 v11, v15
	s_waitcnt lgkmcnt(0)
	s_barrier
	buffer_gl0_inv
	ds_load_2addr_b32 v[30:31], v12 offset1:16
	ds_load_b128 v[14:17], v13
	ds_load_b128 v[18:21], v13 offset:512
	ds_load_2addr_b32 v[32:33], v12 offset0:32 offset1:48
	ds_load_2addr_b32 v[34:35], v12 offset0:64 offset1:80
	ds_load_b128 v[22:25], v13 offset:16
	ds_load_2addr_b32 v[36:37], v12 offset0:96 offset1:112
	ds_load_2addr_b32 v[38:39], v12 offset0:128 offset1:144
	;; [unrolled: 3-line block ×3, first 2 shown]
	ds_load_2addr_b32 v[44:45], v12 offset0:224 offset1:240
	s_cmp_ge_i32 s14, s3
	s_waitcnt lgkmcnt(0)
	s_barrier
	buffer_gl0_inv
	v_fmac_f32_e32 v8, v31, v14
	v_fmac_f32_e32 v9, v30, v14
	;; [unrolled: 1-line block ×3, first 2 shown]
	s_delay_alu instid0(VALU_DEP_3) | instskip(NEXT) | instid1(VALU_DEP_3)
	v_dual_fmac_f32 v7, v30, v18 :: v_dual_fmac_f32 v8, v33, v15
	v_fmac_f32_e32 v9, v32, v15
	s_delay_alu instid0(VALU_DEP_3) | instskip(NEXT) | instid1(VALU_DEP_3)
	v_fmac_f32_e32 v4, v33, v19
	v_dual_fmac_f32 v7, v32, v19 :: v_dual_fmac_f32 v8, v35, v16
	s_delay_alu instid0(VALU_DEP_3) | instskip(NEXT) | instid1(VALU_DEP_3)
	v_fmac_f32_e32 v9, v34, v16
	v_fmac_f32_e32 v4, v35, v20
	s_delay_alu instid0(VALU_DEP_3) | instskip(NEXT) | instid1(VALU_DEP_3)
	v_dual_fmac_f32 v7, v34, v20 :: v_dual_fmac_f32 v8, v37, v17
	v_fmac_f32_e32 v9, v36, v17
	s_delay_alu instid0(VALU_DEP_3) | instskip(NEXT) | instid1(VALU_DEP_3)
	v_fmac_f32_e32 v4, v37, v21
	v_dual_fmac_f32 v7, v36, v21 :: v_dual_fmac_f32 v8, v39, v22
	s_delay_alu instid0(VALU_DEP_3) | instskip(NEXT) | instid1(VALU_DEP_3)
	v_fmac_f32_e32 v9, v38, v22
	v_fmac_f32_e32 v4, v39, v26
	;; [unrolled: 9-line block ×3, first 2 shown]
	s_delay_alu instid0(VALU_DEP_3) | instskip(NEXT) | instid1(VALU_DEP_3)
	v_dual_fmac_f32 v7, v42, v28 :: v_dual_fmac_f32 v8, v45, v25
	v_fmac_f32_e32 v9, v44, v25
	s_delay_alu instid0(VALU_DEP_3) | instskip(NEXT) | instid1(VALU_DEP_3)
	v_fmac_f32_e32 v4, v45, v29
	v_fmac_f32_e32 v7, v44, v29
	s_cbranch_scc0 .LBB13_2
.LBB13_3:
	s_clause 0x1
	s_load_b32 s3, s[0:1], 0x40
	s_load_b64 s[0:1], s[0:1], 0x48
	v_add_nc_u32_e32 v6, s13, v6
	v_add_nc_u32_e32 v0, s12, v5
	s_delay_alu instid0(VALU_DEP_2)
	v_cmp_gt_i32_e32 vcc_lo, s2, v6
	s_waitcnt lgkmcnt(0)
	v_mad_i64_i32 v[1:2], null, v6, s3, 0
	s_mul_i32 s1, s15, s1
	s_mul_hi_u32 s4, s15, s0
	s_mul_i32 s0, s15, s0
	s_add_i32 s1, s4, s1
	s_delay_alu instid0(SALU_CYCLE_1) | instskip(NEXT) | instid1(VALU_DEP_1)
	s_lshl_b64 s[4:5], s[0:1], 2
	v_lshlrev_b64 v[1:2], 2, v[1:2]
	s_add_u32 s4, s6, s4
	v_cmp_le_i32_e64 s0, v0, v6
	s_addc_u32 s5, s7, s5
	s_delay_alu instid0(VALU_DEP_2) | instskip(NEXT) | instid1(VALU_DEP_1)
	v_add_co_u32 v5, s1, s4, v1
	v_add_co_ci_u32_e64 v10, s1, s5, v2, s1
	s_delay_alu instid0(VALU_DEP_3) | instskip(NEXT) | instid1(SALU_CYCLE_1)
	s_and_b32 s0, vcc_lo, s0
	s_and_saveexec_b32 s1, s0
	s_cbranch_execz .LBB13_5
; %bb.4:
	v_ashrrev_i32_e32 v1, 31, v0
	s_delay_alu instid0(VALU_DEP_1) | instskip(NEXT) | instid1(VALU_DEP_1)
	v_lshlrev_b64 v[1:2], 2, v[0:1]
	v_add_co_u32 v1, s0, v5, v1
	s_delay_alu instid0(VALU_DEP_1)
	v_add_co_ci_u32_e64 v2, s0, v10, v2, s0
	global_load_b32 v3, v[1:2], off
	s_waitcnt vmcnt(0)
	v_sub_f32_e32 v3, v9, v3
	global_store_b32 v[1:2], v3, off
.LBB13_5:
	s_or_b32 exec_lo, exec_lo, s1
	v_add_nc_u32_e32 v2, 16, v0
	s_delay_alu instid0(VALU_DEP_1) | instskip(NEXT) | instid1(VALU_DEP_1)
	v_cmp_le_i32_e64 s0, v2, v6
	s_and_b32 s1, vcc_lo, s0
	s_delay_alu instid0(SALU_CYCLE_1)
	s_and_saveexec_b32 s0, s1
	s_cbranch_execz .LBB13_7
; %bb.6:
	v_ashrrev_i32_e32 v3, 31, v2
	s_delay_alu instid0(VALU_DEP_1) | instskip(NEXT) | instid1(VALU_DEP_1)
	v_lshlrev_b64 v[11:12], 2, v[2:3]
	v_add_co_u32 v9, vcc_lo, v5, v11
	s_delay_alu instid0(VALU_DEP_2)
	v_add_co_ci_u32_e32 v10, vcc_lo, v10, v12, vcc_lo
	global_load_b32 v1, v[9:10], off
	s_waitcnt vmcnt(0)
	v_sub_f32_e32 v1, v8, v1
	global_store_b32 v[9:10], v1, off
.LBB13_7:
	s_or_b32 exec_lo, exec_lo, s0
	v_add_nc_u32_e32 v3, 16, v6
	s_delay_alu instid0(VALU_DEP_1) | instskip(SKIP_2) | instid1(VALU_DEP_1)
	v_mad_i64_i32 v[5:6], null, v3, s3, 0
	v_cmp_gt_i32_e32 vcc_lo, s2, v3
	v_cmp_le_i32_e64 s0, v0, v3
	s_and_b32 s0, vcc_lo, s0
	s_delay_alu instid0(VALU_DEP_3) | instskip(NEXT) | instid1(VALU_DEP_1)
	v_lshlrev_b64 v[5:6], 2, v[5:6]
	v_add_co_u32 v5, s1, s4, v5
	s_delay_alu instid0(VALU_DEP_1)
	v_add_co_ci_u32_e64 v6, s1, s5, v6, s1
	s_and_saveexec_b32 s1, s0
	s_cbranch_execz .LBB13_9
; %bb.8:
	v_ashrrev_i32_e32 v1, 31, v0
	s_delay_alu instid0(VALU_DEP_1) | instskip(NEXT) | instid1(VALU_DEP_1)
	v_lshlrev_b64 v[0:1], 2, v[0:1]
	v_add_co_u32 v0, s0, v5, v0
	s_delay_alu instid0(VALU_DEP_1)
	v_add_co_ci_u32_e64 v1, s0, v6, v1, s0
	global_load_b32 v8, v[0:1], off
	s_waitcnt vmcnt(0)
	v_sub_f32_e32 v7, v7, v8
	global_store_b32 v[0:1], v7, off
.LBB13_9:
	s_or_b32 exec_lo, exec_lo, s1
	v_cmp_le_i32_e64 s0, v2, v3
	s_delay_alu instid0(VALU_DEP_1) | instskip(NEXT) | instid1(SALU_CYCLE_1)
	s_and_b32 s0, vcc_lo, s0
	s_and_saveexec_b32 s1, s0
	s_cbranch_execz .LBB13_11
; %bb.10:
	v_ashrrev_i32_e32 v3, 31, v2
	s_delay_alu instid0(VALU_DEP_1) | instskip(NEXT) | instid1(VALU_DEP_1)
	v_lshlrev_b64 v[0:1], 2, v[2:3]
	v_add_co_u32 v0, vcc_lo, v5, v0
	s_delay_alu instid0(VALU_DEP_2)
	v_add_co_ci_u32_e32 v1, vcc_lo, v6, v1, vcc_lo
	global_load_b32 v2, v[0:1], off
	s_waitcnt vmcnt(0)
	v_sub_f32_e32 v2, v4, v2
	global_store_b32 v[0:1], v2, off
.LBB13_11:
	s_nop 0
	s_sendmsg sendmsg(MSG_DEALLOC_VGPRS)
	s_endpgm
	.section	.rodata,"a",@progbits
	.p2align	6, 0x0
	.amdhsa_kernel _ZL37rocblas_syrkx_herkx_restricted_kernelIifLi16ELi32ELi8ELi1ELin1ELb0ELc78ELc85EKffEviT_PT9_S1_lS3_S1_lPT10_S1_li
		.amdhsa_group_segment_fixed_size 2048
		.amdhsa_private_segment_fixed_size 0
		.amdhsa_kernarg_size 84
		.amdhsa_user_sgpr_count 13
		.amdhsa_user_sgpr_dispatch_ptr 0
		.amdhsa_user_sgpr_queue_ptr 0
		.amdhsa_user_sgpr_kernarg_segment_ptr 1
		.amdhsa_user_sgpr_dispatch_id 0
		.amdhsa_user_sgpr_private_segment_size 0
		.amdhsa_wavefront_size32 1
		.amdhsa_uses_dynamic_stack 0
		.amdhsa_enable_private_segment 0
		.amdhsa_system_sgpr_workgroup_id_x 1
		.amdhsa_system_sgpr_workgroup_id_y 1
		.amdhsa_system_sgpr_workgroup_id_z 1
		.amdhsa_system_sgpr_workgroup_info 0
		.amdhsa_system_vgpr_workitem_id 1
		.amdhsa_next_free_vgpr 46
		.amdhsa_next_free_sgpr 23
		.amdhsa_reserve_vcc 1
		.amdhsa_float_round_mode_32 0
		.amdhsa_float_round_mode_16_64 0
		.amdhsa_float_denorm_mode_32 3
		.amdhsa_float_denorm_mode_16_64 3
		.amdhsa_dx10_clamp 1
		.amdhsa_ieee_mode 1
		.amdhsa_fp16_overflow 0
		.amdhsa_workgroup_processor_mode 1
		.amdhsa_memory_ordered 1
		.amdhsa_forward_progress 0
		.amdhsa_shared_vgpr_count 0
		.amdhsa_exception_fp_ieee_invalid_op 0
		.amdhsa_exception_fp_denorm_src 0
		.amdhsa_exception_fp_ieee_div_zero 0
		.amdhsa_exception_fp_ieee_overflow 0
		.amdhsa_exception_fp_ieee_underflow 0
		.amdhsa_exception_fp_ieee_inexact 0
		.amdhsa_exception_int_div_zero 0
	.end_amdhsa_kernel
	.section	.text._ZL37rocblas_syrkx_herkx_restricted_kernelIifLi16ELi32ELi8ELi1ELin1ELb0ELc78ELc85EKffEviT_PT9_S1_lS3_S1_lPT10_S1_li,"axG",@progbits,_ZL37rocblas_syrkx_herkx_restricted_kernelIifLi16ELi32ELi8ELi1ELin1ELb0ELc78ELc85EKffEviT_PT9_S1_lS3_S1_lPT10_S1_li,comdat
.Lfunc_end13:
	.size	_ZL37rocblas_syrkx_herkx_restricted_kernelIifLi16ELi32ELi8ELi1ELin1ELb0ELc78ELc85EKffEviT_PT9_S1_lS3_S1_lPT10_S1_li, .Lfunc_end13-_ZL37rocblas_syrkx_herkx_restricted_kernelIifLi16ELi32ELi8ELi1ELin1ELb0ELc78ELc85EKffEviT_PT9_S1_lS3_S1_lPT10_S1_li
                                        ; -- End function
	.section	.AMDGPU.csdata,"",@progbits
; Kernel info:
; codeLenInByte = 1248
; NumSgprs: 25
; NumVgprs: 46
; ScratchSize: 0
; MemoryBound: 0
; FloatMode: 240
; IeeeMode: 1
; LDSByteSize: 2048 bytes/workgroup (compile time only)
; SGPRBlocks: 3
; VGPRBlocks: 5
; NumSGPRsForWavesPerEU: 25
; NumVGPRsForWavesPerEU: 46
; Occupancy: 16
; WaveLimiterHint : 0
; COMPUTE_PGM_RSRC2:SCRATCH_EN: 0
; COMPUTE_PGM_RSRC2:USER_SGPR: 13
; COMPUTE_PGM_RSRC2:TRAP_HANDLER: 0
; COMPUTE_PGM_RSRC2:TGID_X_EN: 1
; COMPUTE_PGM_RSRC2:TGID_Y_EN: 1
; COMPUTE_PGM_RSRC2:TGID_Z_EN: 1
; COMPUTE_PGM_RSRC2:TIDIG_COMP_CNT: 1
	.section	.text._ZL37rocblas_syrkx_herkx_restricted_kernelIifLi16ELi32ELi8ELi1ELi0ELb0ELc84ELc76EKffEviT_PT9_S1_lS3_S1_lPT10_S1_li,"axG",@progbits,_ZL37rocblas_syrkx_herkx_restricted_kernelIifLi16ELi32ELi8ELi1ELi0ELb0ELc84ELc76EKffEviT_PT9_S1_lS3_S1_lPT10_S1_li,comdat
	.globl	_ZL37rocblas_syrkx_herkx_restricted_kernelIifLi16ELi32ELi8ELi1ELi0ELb0ELc84ELc76EKffEviT_PT9_S1_lS3_S1_lPT10_S1_li ; -- Begin function _ZL37rocblas_syrkx_herkx_restricted_kernelIifLi16ELi32ELi8ELi1ELi0ELb0ELc84ELc76EKffEviT_PT9_S1_lS3_S1_lPT10_S1_li
	.p2align	8
	.type	_ZL37rocblas_syrkx_herkx_restricted_kernelIifLi16ELi32ELi8ELi1ELi0ELb0ELc84ELc76EKffEviT_PT9_S1_lS3_S1_lPT10_S1_li,@function
_ZL37rocblas_syrkx_herkx_restricted_kernelIifLi16ELi32ELi8ELi1ELi0ELb0ELc84ELc76EKffEviT_PT9_S1_lS3_S1_lPT10_S1_li: ; @_ZL37rocblas_syrkx_herkx_restricted_kernelIifLi16ELi32ELi8ELi1ELi0ELb0ELc84ELc76EKffEviT_PT9_S1_lS3_S1_lPT10_S1_li
; %bb.0:
	s_clause 0x1
	s_load_b64 s[2:3], s[0:1], 0x0
	s_load_b128 s[4:7], s[0:1], 0x30
	v_dual_mov_b32 v9, 0 :: v_dual_and_b32 v6, 0x3ff, v0
	v_bfe_u32 v7, v0, 10, 10
	v_dual_mov_b32 v8, 0 :: v_dual_mov_b32 v1, 0
	v_mov_b32_e32 v0, 0
	s_lshl_b32 s12, s13, 5
	s_lshl_b32 s13, s14, 5
	s_mov_b32 s14, 0
	s_waitcnt lgkmcnt(0)
	s_cmp_lt_i32 s3, 1
	s_cbranch_scc1 .LBB14_3
; %bb.1:
	s_clause 0x3
	s_load_b32 s18, s[0:1], 0x10
	s_load_b128 s[8:11], s[0:1], 0x18
	s_load_b64 s[16:17], s[0:1], 0x8
	s_load_b32 s19, s[0:1], 0x28
	v_lshl_add_u32 v2, v7, 4, v6
	v_dual_mov_b32 v1, 0 :: v_dual_and_b32 v0, 7, v6
	v_lshlrev_b32_e32 v10, 2, v6
	s_mul_i32 s5, s5, s15
	s_delay_alu instid0(VALU_DEP_3) | instskip(SKIP_3) | instid1(VALU_DEP_4)
	v_lshrrev_b32_e32 v4, 3, v2
	v_and_b32_e32 v5, 31, v2
	v_lshlrev_b32_e32 v3, 2, v0
	v_lshrrev_b32_e32 v2, 5, v2
	v_add_nc_u32_e32 v14, s13, v4
	s_delay_alu instid0(VALU_DEP_4) | instskip(NEXT) | instid1(VALU_DEP_4)
	v_add_nc_u32_e32 v13, s12, v5
	v_lshl_or_b32 v9, v4, 5, v3
	v_dual_mov_b32 v3, v1 :: v_dual_lshlrev_b32 v8, 2, v5
	s_delay_alu instid0(VALU_DEP_2) | instskip(SKIP_1) | instid1(VALU_DEP_2)
	v_add_nc_u32_e32 v12, 0x400, v9
	s_waitcnt lgkmcnt(0)
	v_mad_i64_i32 v[4:5], null, s18, v13, v[2:3]
	s_delay_alu instid0(VALU_DEP_3)
	v_lshl_or_b32 v11, v2, 7, v8
	s_mul_i32 s9, s9, s15
	s_mul_hi_u32 s18, s8, s15
	v_mad_i64_i32 v[2:3], null, s19, v14, v[0:1]
	s_mul_i32 s8, s8, s15
	s_add_i32 s9, s18, s9
	s_delay_alu instid0(VALU_DEP_3)
	v_lshlrev_b64 v[4:5], 2, v[4:5]
	s_lshl_b64 s[8:9], s[8:9], 2
	v_lshl_add_u32 v13, v7, 5, 0x400
	s_add_u32 s8, s16, s8
	s_mul_hi_u32 s16, s4, s15
	s_addc_u32 s9, s17, s9
	s_add_i32 s5, s16, s5
	s_mul_i32 s4, s4, s15
	v_lshlrev_b64 v[8:9], 2, v[2:3]
	s_lshl_b64 s[4:5], s[4:5], 2
	v_add_co_u32 v2, vcc_lo, s8, v4
	s_add_u32 s4, s10, s4
	v_add_co_ci_u32_e32 v3, vcc_lo, s9, v5, vcc_lo
	s_addc_u32 s5, s11, s5
	v_add_co_u32 v4, vcc_lo, s4, v8
	v_add_co_ci_u32_e32 v5, vcc_lo, s5, v9, vcc_lo
	v_mov_b32_e32 v9, v1
	v_mov_b32_e32 v0, v1
	;; [unrolled: 1-line block ×3, first 2 shown]
.LBB14_2:                               ; =>This Inner Loop Header: Depth=1
	global_load_b32 v14, v[2:3], off
	global_load_b32 v15, v[4:5], off
	v_add_co_u32 v2, vcc_lo, v2, 32
	v_add_co_ci_u32_e32 v3, vcc_lo, 0, v3, vcc_lo
	v_add_co_u32 v4, vcc_lo, v4, 32
	v_add_co_ci_u32_e32 v5, vcc_lo, 0, v5, vcc_lo
	s_add_i32 s14, s14, 8
	s_waitcnt vmcnt(1)
	ds_store_b32 v11, v14
	s_waitcnt vmcnt(0)
	ds_store_b32 v12, v15
	s_waitcnt lgkmcnt(0)
	s_barrier
	buffer_gl0_inv
	ds_load_2addr_b32 v[30:31], v10 offset1:16
	ds_load_b128 v[14:17], v13
	ds_load_b128 v[18:21], v13 offset:512
	ds_load_2addr_b32 v[32:33], v10 offset0:32 offset1:48
	ds_load_2addr_b32 v[34:35], v10 offset0:64 offset1:80
	ds_load_b128 v[22:25], v13 offset:16
	ds_load_2addr_b32 v[36:37], v10 offset0:96 offset1:112
	ds_load_2addr_b32 v[38:39], v10 offset0:128 offset1:144
	;; [unrolled: 3-line block ×3, first 2 shown]
	ds_load_2addr_b32 v[44:45], v10 offset0:224 offset1:240
	s_cmp_ge_i32 s14, s3
	s_waitcnt lgkmcnt(0)
	s_barrier
	buffer_gl0_inv
	v_fmac_f32_e32 v8, v31, v14
	v_fmac_f32_e32 v9, v30, v14
	;; [unrolled: 1-line block ×4, first 2 shown]
	s_delay_alu instid0(VALU_DEP_4) | instskip(NEXT) | instid1(VALU_DEP_4)
	v_fmac_f32_e32 v8, v33, v15
	v_fmac_f32_e32 v9, v32, v15
	s_delay_alu instid0(VALU_DEP_4) | instskip(NEXT) | instid1(VALU_DEP_4)
	v_fmac_f32_e32 v1, v33, v19
	v_fmac_f32_e32 v0, v32, v19
	;; [unrolled: 3-line block ×14, first 2 shown]
	s_cbranch_scc0 .LBB14_2
.LBB14_3:
	s_clause 0x1
	s_load_b32 s3, s[0:1], 0x40
	s_load_b64 s[4:5], s[0:1], 0x48
	v_add_nc_u32_e32 v7, s13, v7
	v_add_nc_u32_e32 v2, s12, v6
	s_delay_alu instid0(VALU_DEP_1)
	v_cmp_le_i32_e64 s0, v7, v2
	v_cmp_gt_i32_e32 vcc_lo, s2, v2
	s_waitcnt lgkmcnt(0)
	v_mad_i64_i32 v[3:4], null, v7, s3, 0
	s_mul_i32 s1, s15, s5
	s_mul_hi_u32 s5, s15, s4
	s_mul_i32 s4, s15, s4
	s_add_i32 s5, s5, s1
	s_delay_alu instid0(SALU_CYCLE_1) | instskip(NEXT) | instid1(VALU_DEP_1)
	s_lshl_b64 s[4:5], s[4:5], 2
	v_lshlrev_b64 v[3:4], 2, v[3:4]
	s_add_u32 s4, s6, s4
	s_addc_u32 s5, s7, s5
	s_and_b32 s0, s0, vcc_lo
	s_delay_alu instid0(VALU_DEP_1) | instskip(NEXT) | instid1(VALU_DEP_1)
	v_add_co_u32 v6, s1, s4, v3
	v_add_co_ci_u32_e64 v10, s1, s5, v4, s1
	s_and_saveexec_b32 s1, s0
	s_cbranch_execz .LBB14_5
; %bb.4:
	v_ashrrev_i32_e32 v3, 31, v2
	s_delay_alu instid0(VALU_DEP_1) | instskip(NEXT) | instid1(VALU_DEP_1)
	v_lshlrev_b64 v[3:4], 2, v[2:3]
	v_add_co_u32 v3, s0, v6, v3
	s_delay_alu instid0(VALU_DEP_1)
	v_add_co_ci_u32_e64 v4, s0, v10, v4, s0
	global_store_b32 v[3:4], v9, off
.LBB14_5:
	s_or_b32 exec_lo, exec_lo, s1
	v_add_nc_u32_e32 v4, 16, v2
	s_delay_alu instid0(VALU_DEP_1) | instskip(SKIP_1) | instid1(VALU_DEP_1)
	v_cmp_le_i32_e64 s1, v7, v4
	v_cmp_gt_i32_e64 s0, s2, v4
	s_and_b32 s1, s1, s0
	s_delay_alu instid0(SALU_CYCLE_1)
	s_and_saveexec_b32 s2, s1
	s_cbranch_execz .LBB14_7
; %bb.6:
	v_ashrrev_i32_e32 v5, 31, v4
	s_delay_alu instid0(VALU_DEP_1) | instskip(NEXT) | instid1(VALU_DEP_1)
	v_lshlrev_b64 v[11:12], 2, v[4:5]
	v_add_co_u32 v5, s1, v6, v11
	s_delay_alu instid0(VALU_DEP_1)
	v_add_co_ci_u32_e64 v6, s1, v10, v12, s1
	global_store_b32 v[5:6], v8, off
.LBB14_7:
	s_or_b32 exec_lo, exec_lo, s2
	v_add_nc_u32_e32 v5, 16, v7
	s_delay_alu instid0(VALU_DEP_1) | instskip(SKIP_1) | instid1(VALU_DEP_2)
	v_mad_i64_i32 v[6:7], null, v5, s3, 0
	v_cmp_le_i32_e64 s1, v5, v2
	v_lshlrev_b64 v[6:7], 2, v[6:7]
	s_delay_alu instid0(VALU_DEP_1) | instskip(NEXT) | instid1(VALU_DEP_1)
	v_add_co_u32 v6, s2, s4, v6
	v_add_co_ci_u32_e64 v7, s2, s5, v7, s2
	s_delay_alu instid0(VALU_DEP_4) | instskip(NEXT) | instid1(SALU_CYCLE_1)
	s_and_b32 s2, s1, vcc_lo
	s_and_saveexec_b32 s1, s2
	s_cbranch_execz .LBB14_9
; %bb.8:
	v_ashrrev_i32_e32 v3, 31, v2
	s_delay_alu instid0(VALU_DEP_1) | instskip(NEXT) | instid1(VALU_DEP_1)
	v_lshlrev_b64 v[2:3], 2, v[2:3]
	v_add_co_u32 v2, vcc_lo, v6, v2
	s_delay_alu instid0(VALU_DEP_2)
	v_add_co_ci_u32_e32 v3, vcc_lo, v7, v3, vcc_lo
	global_store_b32 v[2:3], v0, off
.LBB14_9:
	s_or_b32 exec_lo, exec_lo, s1
	v_cmp_le_i32_e32 vcc_lo, v5, v4
	s_and_b32 s0, vcc_lo, s0
	s_delay_alu instid0(SALU_CYCLE_1)
	s_and_saveexec_b32 s1, s0
	s_cbranch_execz .LBB14_11
; %bb.10:
	v_ashrrev_i32_e32 v5, 31, v4
	s_delay_alu instid0(VALU_DEP_1) | instskip(NEXT) | instid1(VALU_DEP_1)
	v_lshlrev_b64 v[2:3], 2, v[4:5]
	v_add_co_u32 v2, vcc_lo, v6, v2
	s_delay_alu instid0(VALU_DEP_2)
	v_add_co_ci_u32_e32 v3, vcc_lo, v7, v3, vcc_lo
	global_store_b32 v[2:3], v1, off
.LBB14_11:
	s_nop 0
	s_sendmsg sendmsg(MSG_DEALLOC_VGPRS)
	s_endpgm
	.section	.rodata,"a",@progbits
	.p2align	6, 0x0
	.amdhsa_kernel _ZL37rocblas_syrkx_herkx_restricted_kernelIifLi16ELi32ELi8ELi1ELi0ELb0ELc84ELc76EKffEviT_PT9_S1_lS3_S1_lPT10_S1_li
		.amdhsa_group_segment_fixed_size 2048
		.amdhsa_private_segment_fixed_size 0
		.amdhsa_kernarg_size 84
		.amdhsa_user_sgpr_count 13
		.amdhsa_user_sgpr_dispatch_ptr 0
		.amdhsa_user_sgpr_queue_ptr 0
		.amdhsa_user_sgpr_kernarg_segment_ptr 1
		.amdhsa_user_sgpr_dispatch_id 0
		.amdhsa_user_sgpr_private_segment_size 0
		.amdhsa_wavefront_size32 1
		.amdhsa_uses_dynamic_stack 0
		.amdhsa_enable_private_segment 0
		.amdhsa_system_sgpr_workgroup_id_x 1
		.amdhsa_system_sgpr_workgroup_id_y 1
		.amdhsa_system_sgpr_workgroup_id_z 1
		.amdhsa_system_sgpr_workgroup_info 0
		.amdhsa_system_vgpr_workitem_id 1
		.amdhsa_next_free_vgpr 46
		.amdhsa_next_free_sgpr 20
		.amdhsa_reserve_vcc 1
		.amdhsa_float_round_mode_32 0
		.amdhsa_float_round_mode_16_64 0
		.amdhsa_float_denorm_mode_32 3
		.amdhsa_float_denorm_mode_16_64 3
		.amdhsa_dx10_clamp 1
		.amdhsa_ieee_mode 1
		.amdhsa_fp16_overflow 0
		.amdhsa_workgroup_processor_mode 1
		.amdhsa_memory_ordered 1
		.amdhsa_forward_progress 0
		.amdhsa_shared_vgpr_count 0
		.amdhsa_exception_fp_ieee_invalid_op 0
		.amdhsa_exception_fp_denorm_src 0
		.amdhsa_exception_fp_ieee_div_zero 0
		.amdhsa_exception_fp_ieee_overflow 0
		.amdhsa_exception_fp_ieee_underflow 0
		.amdhsa_exception_fp_ieee_inexact 0
		.amdhsa_exception_int_div_zero 0
	.end_amdhsa_kernel
	.section	.text._ZL37rocblas_syrkx_herkx_restricted_kernelIifLi16ELi32ELi8ELi1ELi0ELb0ELc84ELc76EKffEviT_PT9_S1_lS3_S1_lPT10_S1_li,"axG",@progbits,_ZL37rocblas_syrkx_herkx_restricted_kernelIifLi16ELi32ELi8ELi1ELi0ELb0ELc84ELc76EKffEviT_PT9_S1_lS3_S1_lPT10_S1_li,comdat
.Lfunc_end14:
	.size	_ZL37rocblas_syrkx_herkx_restricted_kernelIifLi16ELi32ELi8ELi1ELi0ELb0ELc84ELc76EKffEviT_PT9_S1_lS3_S1_lPT10_S1_li, .Lfunc_end14-_ZL37rocblas_syrkx_herkx_restricted_kernelIifLi16ELi32ELi8ELi1ELi0ELb0ELc84ELc76EKffEviT_PT9_S1_lS3_S1_lPT10_S1_li
                                        ; -- End function
	.section	.AMDGPU.csdata,"",@progbits
; Kernel info:
; codeLenInByte = 1184
; NumSgprs: 22
; NumVgprs: 46
; ScratchSize: 0
; MemoryBound: 0
; FloatMode: 240
; IeeeMode: 1
; LDSByteSize: 2048 bytes/workgroup (compile time only)
; SGPRBlocks: 2
; VGPRBlocks: 5
; NumSGPRsForWavesPerEU: 22
; NumVGPRsForWavesPerEU: 46
; Occupancy: 16
; WaveLimiterHint : 0
; COMPUTE_PGM_RSRC2:SCRATCH_EN: 0
; COMPUTE_PGM_RSRC2:USER_SGPR: 13
; COMPUTE_PGM_RSRC2:TRAP_HANDLER: 0
; COMPUTE_PGM_RSRC2:TGID_X_EN: 1
; COMPUTE_PGM_RSRC2:TGID_Y_EN: 1
; COMPUTE_PGM_RSRC2:TGID_Z_EN: 1
; COMPUTE_PGM_RSRC2:TIDIG_COMP_CNT: 1
	.section	.text._ZL37rocblas_syrkx_herkx_restricted_kernelIifLi16ELi32ELi8ELi1ELi0ELb0ELc67ELc76EKffEviT_PT9_S1_lS3_S1_lPT10_S1_li,"axG",@progbits,_ZL37rocblas_syrkx_herkx_restricted_kernelIifLi16ELi32ELi8ELi1ELi0ELb0ELc67ELc76EKffEviT_PT9_S1_lS3_S1_lPT10_S1_li,comdat
	.globl	_ZL37rocblas_syrkx_herkx_restricted_kernelIifLi16ELi32ELi8ELi1ELi0ELb0ELc67ELc76EKffEviT_PT9_S1_lS3_S1_lPT10_S1_li ; -- Begin function _ZL37rocblas_syrkx_herkx_restricted_kernelIifLi16ELi32ELi8ELi1ELi0ELb0ELc67ELc76EKffEviT_PT9_S1_lS3_S1_lPT10_S1_li
	.p2align	8
	.type	_ZL37rocblas_syrkx_herkx_restricted_kernelIifLi16ELi32ELi8ELi1ELi0ELb0ELc67ELc76EKffEviT_PT9_S1_lS3_S1_lPT10_S1_li,@function
_ZL37rocblas_syrkx_herkx_restricted_kernelIifLi16ELi32ELi8ELi1ELi0ELb0ELc67ELc76EKffEviT_PT9_S1_lS3_S1_lPT10_S1_li: ; @_ZL37rocblas_syrkx_herkx_restricted_kernelIifLi16ELi32ELi8ELi1ELi0ELb0ELc67ELc76EKffEviT_PT9_S1_lS3_S1_lPT10_S1_li
; %bb.0:
	s_clause 0x1
	s_load_b64 s[2:3], s[0:1], 0x0
	s_load_b128 s[4:7], s[0:1], 0x30
	v_dual_mov_b32 v9, 0 :: v_dual_and_b32 v6, 0x3ff, v0
	v_bfe_u32 v7, v0, 10, 10
	v_dual_mov_b32 v8, 0 :: v_dual_mov_b32 v1, 0
	v_mov_b32_e32 v0, 0
	s_lshl_b32 s12, s13, 5
	s_lshl_b32 s13, s14, 5
	s_mov_b32 s14, 0
	s_waitcnt lgkmcnt(0)
	s_cmp_lt_i32 s3, 1
	s_cbranch_scc1 .LBB15_3
; %bb.1:
	s_clause 0x3
	s_load_b32 s18, s[0:1], 0x10
	s_load_b128 s[8:11], s[0:1], 0x18
	s_load_b64 s[16:17], s[0:1], 0x8
	s_load_b32 s19, s[0:1], 0x28
	v_lshl_add_u32 v2, v7, 4, v6
	v_dual_mov_b32 v1, 0 :: v_dual_and_b32 v0, 7, v6
	v_lshlrev_b32_e32 v10, 2, v6
	s_mul_i32 s5, s5, s15
	s_delay_alu instid0(VALU_DEP_3) | instskip(SKIP_3) | instid1(VALU_DEP_4)
	v_lshrrev_b32_e32 v4, 3, v2
	v_and_b32_e32 v5, 31, v2
	v_lshlrev_b32_e32 v3, 2, v0
	v_lshrrev_b32_e32 v2, 5, v2
	v_add_nc_u32_e32 v14, s13, v4
	s_delay_alu instid0(VALU_DEP_4) | instskip(NEXT) | instid1(VALU_DEP_4)
	v_add_nc_u32_e32 v13, s12, v5
	v_lshl_or_b32 v9, v4, 5, v3
	v_dual_mov_b32 v3, v1 :: v_dual_lshlrev_b32 v8, 2, v5
	s_delay_alu instid0(VALU_DEP_2) | instskip(SKIP_1) | instid1(VALU_DEP_2)
	v_add_nc_u32_e32 v12, 0x400, v9
	s_waitcnt lgkmcnt(0)
	v_mad_i64_i32 v[4:5], null, s18, v13, v[2:3]
	s_delay_alu instid0(VALU_DEP_3)
	v_lshl_or_b32 v11, v2, 7, v8
	s_mul_i32 s9, s9, s15
	s_mul_hi_u32 s18, s8, s15
	v_mad_i64_i32 v[2:3], null, s19, v14, v[0:1]
	s_mul_i32 s8, s8, s15
	s_add_i32 s9, s18, s9
	s_delay_alu instid0(VALU_DEP_3)
	v_lshlrev_b64 v[4:5], 2, v[4:5]
	s_lshl_b64 s[8:9], s[8:9], 2
	v_lshl_add_u32 v13, v7, 5, 0x400
	s_add_u32 s8, s16, s8
	s_mul_hi_u32 s16, s4, s15
	s_addc_u32 s9, s17, s9
	s_add_i32 s5, s16, s5
	s_mul_i32 s4, s4, s15
	v_lshlrev_b64 v[8:9], 2, v[2:3]
	s_lshl_b64 s[4:5], s[4:5], 2
	v_add_co_u32 v2, vcc_lo, s8, v4
	s_add_u32 s4, s10, s4
	v_add_co_ci_u32_e32 v3, vcc_lo, s9, v5, vcc_lo
	s_addc_u32 s5, s11, s5
	v_add_co_u32 v4, vcc_lo, s4, v8
	v_add_co_ci_u32_e32 v5, vcc_lo, s5, v9, vcc_lo
	v_mov_b32_e32 v9, v1
	v_mov_b32_e32 v0, v1
	;; [unrolled: 1-line block ×3, first 2 shown]
.LBB15_2:                               ; =>This Inner Loop Header: Depth=1
	global_load_b32 v14, v[2:3], off
	global_load_b32 v15, v[4:5], off
	v_add_co_u32 v2, vcc_lo, v2, 32
	v_add_co_ci_u32_e32 v3, vcc_lo, 0, v3, vcc_lo
	v_add_co_u32 v4, vcc_lo, v4, 32
	v_add_co_ci_u32_e32 v5, vcc_lo, 0, v5, vcc_lo
	s_add_i32 s14, s14, 8
	s_waitcnt vmcnt(1)
	ds_store_b32 v11, v14
	s_waitcnt vmcnt(0)
	ds_store_b32 v12, v15
	s_waitcnt lgkmcnt(0)
	s_barrier
	buffer_gl0_inv
	ds_load_2addr_b32 v[30:31], v10 offset1:16
	ds_load_b128 v[14:17], v13
	ds_load_b128 v[18:21], v13 offset:512
	ds_load_2addr_b32 v[32:33], v10 offset0:32 offset1:48
	ds_load_2addr_b32 v[34:35], v10 offset0:64 offset1:80
	ds_load_b128 v[22:25], v13 offset:16
	ds_load_2addr_b32 v[36:37], v10 offset0:96 offset1:112
	ds_load_2addr_b32 v[38:39], v10 offset0:128 offset1:144
	;; [unrolled: 3-line block ×3, first 2 shown]
	ds_load_2addr_b32 v[44:45], v10 offset0:224 offset1:240
	s_cmp_ge_i32 s14, s3
	s_waitcnt lgkmcnt(0)
	s_barrier
	buffer_gl0_inv
	v_fmac_f32_e32 v8, v31, v14
	v_fmac_f32_e32 v9, v30, v14
	;; [unrolled: 1-line block ×4, first 2 shown]
	s_delay_alu instid0(VALU_DEP_4) | instskip(NEXT) | instid1(VALU_DEP_4)
	v_fmac_f32_e32 v8, v33, v15
	v_fmac_f32_e32 v9, v32, v15
	s_delay_alu instid0(VALU_DEP_4) | instskip(NEXT) | instid1(VALU_DEP_4)
	v_fmac_f32_e32 v1, v33, v19
	v_fmac_f32_e32 v0, v32, v19
	;; [unrolled: 3-line block ×14, first 2 shown]
	s_cbranch_scc0 .LBB15_2
.LBB15_3:
	s_clause 0x1
	s_load_b32 s3, s[0:1], 0x40
	s_load_b64 s[4:5], s[0:1], 0x48
	v_add_nc_u32_e32 v7, s13, v7
	v_add_nc_u32_e32 v2, s12, v6
	s_delay_alu instid0(VALU_DEP_1)
	v_cmp_le_i32_e64 s0, v7, v2
	v_cmp_gt_i32_e32 vcc_lo, s2, v2
	s_waitcnt lgkmcnt(0)
	v_mad_i64_i32 v[3:4], null, v7, s3, 0
	s_mul_i32 s1, s15, s5
	s_mul_hi_u32 s5, s15, s4
	s_mul_i32 s4, s15, s4
	s_add_i32 s5, s5, s1
	s_delay_alu instid0(SALU_CYCLE_1) | instskip(NEXT) | instid1(VALU_DEP_1)
	s_lshl_b64 s[4:5], s[4:5], 2
	v_lshlrev_b64 v[3:4], 2, v[3:4]
	s_add_u32 s4, s6, s4
	s_addc_u32 s5, s7, s5
	s_and_b32 s0, s0, vcc_lo
	s_delay_alu instid0(VALU_DEP_1) | instskip(NEXT) | instid1(VALU_DEP_1)
	v_add_co_u32 v6, s1, s4, v3
	v_add_co_ci_u32_e64 v10, s1, s5, v4, s1
	s_and_saveexec_b32 s1, s0
	s_cbranch_execz .LBB15_5
; %bb.4:
	v_ashrrev_i32_e32 v3, 31, v2
	s_delay_alu instid0(VALU_DEP_1) | instskip(NEXT) | instid1(VALU_DEP_1)
	v_lshlrev_b64 v[3:4], 2, v[2:3]
	v_add_co_u32 v3, s0, v6, v3
	s_delay_alu instid0(VALU_DEP_1)
	v_add_co_ci_u32_e64 v4, s0, v10, v4, s0
	global_store_b32 v[3:4], v9, off
.LBB15_5:
	s_or_b32 exec_lo, exec_lo, s1
	v_add_nc_u32_e32 v4, 16, v2
	s_delay_alu instid0(VALU_DEP_1) | instskip(SKIP_1) | instid1(VALU_DEP_1)
	v_cmp_le_i32_e64 s1, v7, v4
	v_cmp_gt_i32_e64 s0, s2, v4
	s_and_b32 s1, s1, s0
	s_delay_alu instid0(SALU_CYCLE_1)
	s_and_saveexec_b32 s2, s1
	s_cbranch_execz .LBB15_7
; %bb.6:
	v_ashrrev_i32_e32 v5, 31, v4
	s_delay_alu instid0(VALU_DEP_1) | instskip(NEXT) | instid1(VALU_DEP_1)
	v_lshlrev_b64 v[11:12], 2, v[4:5]
	v_add_co_u32 v5, s1, v6, v11
	s_delay_alu instid0(VALU_DEP_1)
	v_add_co_ci_u32_e64 v6, s1, v10, v12, s1
	global_store_b32 v[5:6], v8, off
.LBB15_7:
	s_or_b32 exec_lo, exec_lo, s2
	v_add_nc_u32_e32 v5, 16, v7
	s_delay_alu instid0(VALU_DEP_1) | instskip(SKIP_1) | instid1(VALU_DEP_2)
	v_mad_i64_i32 v[6:7], null, v5, s3, 0
	v_cmp_le_i32_e64 s1, v5, v2
	v_lshlrev_b64 v[6:7], 2, v[6:7]
	s_delay_alu instid0(VALU_DEP_1) | instskip(NEXT) | instid1(VALU_DEP_1)
	v_add_co_u32 v6, s2, s4, v6
	v_add_co_ci_u32_e64 v7, s2, s5, v7, s2
	s_delay_alu instid0(VALU_DEP_4) | instskip(NEXT) | instid1(SALU_CYCLE_1)
	s_and_b32 s2, s1, vcc_lo
	s_and_saveexec_b32 s1, s2
	s_cbranch_execz .LBB15_9
; %bb.8:
	v_ashrrev_i32_e32 v3, 31, v2
	s_delay_alu instid0(VALU_DEP_1) | instskip(NEXT) | instid1(VALU_DEP_1)
	v_lshlrev_b64 v[2:3], 2, v[2:3]
	v_add_co_u32 v2, vcc_lo, v6, v2
	s_delay_alu instid0(VALU_DEP_2)
	v_add_co_ci_u32_e32 v3, vcc_lo, v7, v3, vcc_lo
	global_store_b32 v[2:3], v0, off
.LBB15_9:
	s_or_b32 exec_lo, exec_lo, s1
	v_cmp_le_i32_e32 vcc_lo, v5, v4
	s_and_b32 s0, vcc_lo, s0
	s_delay_alu instid0(SALU_CYCLE_1)
	s_and_saveexec_b32 s1, s0
	s_cbranch_execz .LBB15_11
; %bb.10:
	v_ashrrev_i32_e32 v5, 31, v4
	s_delay_alu instid0(VALU_DEP_1) | instskip(NEXT) | instid1(VALU_DEP_1)
	v_lshlrev_b64 v[2:3], 2, v[4:5]
	v_add_co_u32 v2, vcc_lo, v6, v2
	s_delay_alu instid0(VALU_DEP_2)
	v_add_co_ci_u32_e32 v3, vcc_lo, v7, v3, vcc_lo
	global_store_b32 v[2:3], v1, off
.LBB15_11:
	s_nop 0
	s_sendmsg sendmsg(MSG_DEALLOC_VGPRS)
	s_endpgm
	.section	.rodata,"a",@progbits
	.p2align	6, 0x0
	.amdhsa_kernel _ZL37rocblas_syrkx_herkx_restricted_kernelIifLi16ELi32ELi8ELi1ELi0ELb0ELc67ELc76EKffEviT_PT9_S1_lS3_S1_lPT10_S1_li
		.amdhsa_group_segment_fixed_size 2048
		.amdhsa_private_segment_fixed_size 0
		.amdhsa_kernarg_size 84
		.amdhsa_user_sgpr_count 13
		.amdhsa_user_sgpr_dispatch_ptr 0
		.amdhsa_user_sgpr_queue_ptr 0
		.amdhsa_user_sgpr_kernarg_segment_ptr 1
		.amdhsa_user_sgpr_dispatch_id 0
		.amdhsa_user_sgpr_private_segment_size 0
		.amdhsa_wavefront_size32 1
		.amdhsa_uses_dynamic_stack 0
		.amdhsa_enable_private_segment 0
		.amdhsa_system_sgpr_workgroup_id_x 1
		.amdhsa_system_sgpr_workgroup_id_y 1
		.amdhsa_system_sgpr_workgroup_id_z 1
		.amdhsa_system_sgpr_workgroup_info 0
		.amdhsa_system_vgpr_workitem_id 1
		.amdhsa_next_free_vgpr 46
		.amdhsa_next_free_sgpr 20
		.amdhsa_reserve_vcc 1
		.amdhsa_float_round_mode_32 0
		.amdhsa_float_round_mode_16_64 0
		.amdhsa_float_denorm_mode_32 3
		.amdhsa_float_denorm_mode_16_64 3
		.amdhsa_dx10_clamp 1
		.amdhsa_ieee_mode 1
		.amdhsa_fp16_overflow 0
		.amdhsa_workgroup_processor_mode 1
		.amdhsa_memory_ordered 1
		.amdhsa_forward_progress 0
		.amdhsa_shared_vgpr_count 0
		.amdhsa_exception_fp_ieee_invalid_op 0
		.amdhsa_exception_fp_denorm_src 0
		.amdhsa_exception_fp_ieee_div_zero 0
		.amdhsa_exception_fp_ieee_overflow 0
		.amdhsa_exception_fp_ieee_underflow 0
		.amdhsa_exception_fp_ieee_inexact 0
		.amdhsa_exception_int_div_zero 0
	.end_amdhsa_kernel
	.section	.text._ZL37rocblas_syrkx_herkx_restricted_kernelIifLi16ELi32ELi8ELi1ELi0ELb0ELc67ELc76EKffEviT_PT9_S1_lS3_S1_lPT10_S1_li,"axG",@progbits,_ZL37rocblas_syrkx_herkx_restricted_kernelIifLi16ELi32ELi8ELi1ELi0ELb0ELc67ELc76EKffEviT_PT9_S1_lS3_S1_lPT10_S1_li,comdat
.Lfunc_end15:
	.size	_ZL37rocblas_syrkx_herkx_restricted_kernelIifLi16ELi32ELi8ELi1ELi0ELb0ELc67ELc76EKffEviT_PT9_S1_lS3_S1_lPT10_S1_li, .Lfunc_end15-_ZL37rocblas_syrkx_herkx_restricted_kernelIifLi16ELi32ELi8ELi1ELi0ELb0ELc67ELc76EKffEviT_PT9_S1_lS3_S1_lPT10_S1_li
                                        ; -- End function
	.section	.AMDGPU.csdata,"",@progbits
; Kernel info:
; codeLenInByte = 1184
; NumSgprs: 22
; NumVgprs: 46
; ScratchSize: 0
; MemoryBound: 0
; FloatMode: 240
; IeeeMode: 1
; LDSByteSize: 2048 bytes/workgroup (compile time only)
; SGPRBlocks: 2
; VGPRBlocks: 5
; NumSGPRsForWavesPerEU: 22
; NumVGPRsForWavesPerEU: 46
; Occupancy: 16
; WaveLimiterHint : 0
; COMPUTE_PGM_RSRC2:SCRATCH_EN: 0
; COMPUTE_PGM_RSRC2:USER_SGPR: 13
; COMPUTE_PGM_RSRC2:TRAP_HANDLER: 0
; COMPUTE_PGM_RSRC2:TGID_X_EN: 1
; COMPUTE_PGM_RSRC2:TGID_Y_EN: 1
; COMPUTE_PGM_RSRC2:TGID_Z_EN: 1
; COMPUTE_PGM_RSRC2:TIDIG_COMP_CNT: 1
	.section	.text._ZL37rocblas_syrkx_herkx_restricted_kernelIifLi16ELi32ELi8ELi1ELi0ELb0ELc78ELc76EKffEviT_PT9_S1_lS3_S1_lPT10_S1_li,"axG",@progbits,_ZL37rocblas_syrkx_herkx_restricted_kernelIifLi16ELi32ELi8ELi1ELi0ELb0ELc78ELc76EKffEviT_PT9_S1_lS3_S1_lPT10_S1_li,comdat
	.globl	_ZL37rocblas_syrkx_herkx_restricted_kernelIifLi16ELi32ELi8ELi1ELi0ELb0ELc78ELc76EKffEviT_PT9_S1_lS3_S1_lPT10_S1_li ; -- Begin function _ZL37rocblas_syrkx_herkx_restricted_kernelIifLi16ELi32ELi8ELi1ELi0ELb0ELc78ELc76EKffEviT_PT9_S1_lS3_S1_lPT10_S1_li
	.p2align	8
	.type	_ZL37rocblas_syrkx_herkx_restricted_kernelIifLi16ELi32ELi8ELi1ELi0ELb0ELc78ELc76EKffEviT_PT9_S1_lS3_S1_lPT10_S1_li,@function
_ZL37rocblas_syrkx_herkx_restricted_kernelIifLi16ELi32ELi8ELi1ELi0ELb0ELc78ELc76EKffEviT_PT9_S1_lS3_S1_lPT10_S1_li: ; @_ZL37rocblas_syrkx_herkx_restricted_kernelIifLi16ELi32ELi8ELi1ELi0ELb0ELc78ELc76EKffEviT_PT9_S1_lS3_S1_lPT10_S1_li
; %bb.0:
	s_clause 0x1
	s_load_b64 s[2:3], s[0:1], 0x0
	s_load_b128 s[4:7], s[0:1], 0x30
	v_dual_mov_b32 v8, 0 :: v_dual_and_b32 v5, 0x3ff, v0
	v_bfe_u32 v6, v0, 10, 10
	v_dual_mov_b32 v9, 0 :: v_dual_mov_b32 v4, 0
	v_mov_b32_e32 v7, 0
	s_lshl_b32 s12, s13, 5
	s_lshl_b32 s13, s14, 5
	s_mov_b32 s14, 0
	s_waitcnt lgkmcnt(0)
	s_cmp_lt_i32 s3, 1
	s_cbranch_scc1 .LBB16_3
; %bb.1:
	s_clause 0x1
	s_load_b32 s16, s[0:1], 0x10
	s_load_b32 s18, s[0:1], 0x28
	v_lshl_add_u32 v0, v6, 4, v5
	v_and_b32_e32 v4, 7, v5
	s_clause 0x1
	s_load_b128 s[8:11], s[0:1], 0x18
	s_load_b64 s[20:21], s[0:1], 0x8
	s_mul_i32 s5, s5, s15
	v_lshrrev_b32_e32 v1, 3, v0
	v_and_b32_e32 v2, 31, v0
	v_lshrrev_b32_e32 v9, 5, v0
	v_lshlrev_b32_e32 v3, 2, v4
	v_lshlrev_b32_e32 v12, 2, v5
	v_add_nc_u32_e32 v0, s13, v1
	v_lshlrev_b32_e32 v7, 2, v2
	v_add_nc_u32_e32 v2, s12, v2
	v_lshl_or_b32 v11, v1, 5, v3
	v_lshl_add_u32 v13, v6, 5, 0x400
	v_ashrrev_i32_e32 v1, 31, v0
	v_lshl_or_b32 v10, v9, 7, v7
	v_ashrrev_i32_e32 v3, 31, v2
	s_waitcnt lgkmcnt(0)
	s_ashr_i32 s17, s16, 31
	s_ashr_i32 s19, s18, 31
	v_mad_i64_i32 v[7:8], null, s18, v4, v[0:1]
	v_mad_i64_i32 v[0:1], null, s16, v9, v[2:3]
	s_mul_i32 s9, s9, s15
	s_mul_hi_u32 s22, s8, s15
	s_mul_i32 s8, s8, s15
	s_add_i32 s9, s22, s9
	s_delay_alu instid0(VALU_DEP_2) | instskip(SKIP_1) | instid1(VALU_DEP_3)
	v_lshlrev_b64 v[2:3], 2, v[7:8]
	v_mov_b32_e32 v8, 0
	v_lshlrev_b64 v[0:1], 2, v[0:1]
	s_lshl_b64 s[8:9], s[8:9], 2
	v_add_nc_u32_e32 v11, 0x400, v11
	s_add_u32 s8, s20, s8
	s_mul_hi_u32 s20, s4, s15
	s_addc_u32 s9, s21, s9
	v_add_co_u32 v0, vcc_lo, s8, v0
	s_add_i32 s5, s20, s5
	s_mul_i32 s4, s4, s15
	v_add_co_ci_u32_e32 v1, vcc_lo, s9, v1, vcc_lo
	s_lshl_b64 s[8:9], s[4:5], 2
	s_lshl_b64 s[4:5], s[16:17], 5
	s_add_u32 s8, s10, s8
	s_addc_u32 s9, s11, s9
	v_add_co_u32 v2, vcc_lo, s8, v2
	v_add_co_ci_u32_e32 v3, vcc_lo, s9, v3, vcc_lo
	v_dual_mov_b32 v4, 0 :: v_dual_mov_b32 v7, 0
	v_mov_b32_e32 v9, 0
	s_lshl_b64 s[8:9], s[18:19], 5
.LBB16_2:                               ; =>This Inner Loop Header: Depth=1
	global_load_b32 v14, v[0:1], off
	global_load_b32 v15, v[2:3], off
	v_add_co_u32 v0, vcc_lo, v0, s4
	v_add_co_ci_u32_e32 v1, vcc_lo, s5, v1, vcc_lo
	v_add_co_u32 v2, vcc_lo, v2, s8
	v_add_co_ci_u32_e32 v3, vcc_lo, s9, v3, vcc_lo
	s_add_i32 s14, s14, 8
	s_waitcnt vmcnt(1)
	ds_store_b32 v10, v14
	s_waitcnt vmcnt(0)
	ds_store_b32 v11, v15
	s_waitcnt lgkmcnt(0)
	s_barrier
	buffer_gl0_inv
	ds_load_2addr_b32 v[30:31], v12 offset1:16
	ds_load_b128 v[14:17], v13
	ds_load_b128 v[18:21], v13 offset:512
	ds_load_2addr_b32 v[32:33], v12 offset0:32 offset1:48
	ds_load_2addr_b32 v[34:35], v12 offset0:64 offset1:80
	ds_load_b128 v[22:25], v13 offset:16
	ds_load_2addr_b32 v[36:37], v12 offset0:96 offset1:112
	ds_load_2addr_b32 v[38:39], v12 offset0:128 offset1:144
	ds_load_b128 v[26:29], v13 offset:528
	ds_load_2addr_b32 v[40:41], v12 offset0:160 offset1:176
	ds_load_2addr_b32 v[42:43], v12 offset0:192 offset1:208
	ds_load_2addr_b32 v[44:45], v12 offset0:224 offset1:240
	s_cmp_ge_i32 s14, s3
	s_waitcnt lgkmcnt(0)
	s_barrier
	buffer_gl0_inv
	v_fmac_f32_e32 v8, v31, v14
	v_fmac_f32_e32 v9, v30, v14
	;; [unrolled: 1-line block ×3, first 2 shown]
	s_delay_alu instid0(VALU_DEP_3) | instskip(NEXT) | instid1(VALU_DEP_3)
	v_dual_fmac_f32 v7, v30, v18 :: v_dual_fmac_f32 v8, v33, v15
	v_fmac_f32_e32 v9, v32, v15
	s_delay_alu instid0(VALU_DEP_3) | instskip(NEXT) | instid1(VALU_DEP_3)
	v_fmac_f32_e32 v4, v33, v19
	v_dual_fmac_f32 v7, v32, v19 :: v_dual_fmac_f32 v8, v35, v16
	s_delay_alu instid0(VALU_DEP_3) | instskip(NEXT) | instid1(VALU_DEP_3)
	v_fmac_f32_e32 v9, v34, v16
	v_fmac_f32_e32 v4, v35, v20
	s_delay_alu instid0(VALU_DEP_3) | instskip(NEXT) | instid1(VALU_DEP_3)
	v_dual_fmac_f32 v7, v34, v20 :: v_dual_fmac_f32 v8, v37, v17
	v_fmac_f32_e32 v9, v36, v17
	s_delay_alu instid0(VALU_DEP_3) | instskip(NEXT) | instid1(VALU_DEP_3)
	v_fmac_f32_e32 v4, v37, v21
	v_dual_fmac_f32 v7, v36, v21 :: v_dual_fmac_f32 v8, v39, v22
	s_delay_alu instid0(VALU_DEP_3) | instskip(NEXT) | instid1(VALU_DEP_3)
	v_fmac_f32_e32 v9, v38, v22
	v_fmac_f32_e32 v4, v39, v26
	;; [unrolled: 9-line block ×3, first 2 shown]
	s_delay_alu instid0(VALU_DEP_3) | instskip(NEXT) | instid1(VALU_DEP_3)
	v_dual_fmac_f32 v7, v42, v28 :: v_dual_fmac_f32 v8, v45, v25
	v_fmac_f32_e32 v9, v44, v25
	s_delay_alu instid0(VALU_DEP_3) | instskip(NEXT) | instid1(VALU_DEP_3)
	v_fmac_f32_e32 v4, v45, v29
	v_fmac_f32_e32 v7, v44, v29
	s_cbranch_scc0 .LBB16_2
.LBB16_3:
	s_clause 0x1
	s_load_b32 s3, s[0:1], 0x40
	s_load_b64 s[4:5], s[0:1], 0x48
	v_add_nc_u32_e32 v6, s13, v6
	v_add_nc_u32_e32 v0, s12, v5
	s_delay_alu instid0(VALU_DEP_1)
	v_cmp_le_i32_e64 s0, v6, v0
	v_cmp_gt_i32_e32 vcc_lo, s2, v0
	s_waitcnt lgkmcnt(0)
	v_mad_i64_i32 v[1:2], null, v6, s3, 0
	s_mul_i32 s1, s15, s5
	s_mul_hi_u32 s5, s15, s4
	s_mul_i32 s4, s15, s4
	s_add_i32 s5, s5, s1
	s_delay_alu instid0(SALU_CYCLE_1) | instskip(NEXT) | instid1(VALU_DEP_1)
	s_lshl_b64 s[4:5], s[4:5], 2
	v_lshlrev_b64 v[1:2], 2, v[1:2]
	s_add_u32 s4, s6, s4
	s_addc_u32 s5, s7, s5
	s_and_b32 s0, s0, vcc_lo
	s_delay_alu instid0(VALU_DEP_1) | instskip(NEXT) | instid1(VALU_DEP_1)
	v_add_co_u32 v5, s1, s4, v1
	v_add_co_ci_u32_e64 v10, s1, s5, v2, s1
	s_and_saveexec_b32 s1, s0
	s_cbranch_execz .LBB16_5
; %bb.4:
	v_ashrrev_i32_e32 v1, 31, v0
	s_delay_alu instid0(VALU_DEP_1) | instskip(NEXT) | instid1(VALU_DEP_1)
	v_lshlrev_b64 v[1:2], 2, v[0:1]
	v_add_co_u32 v1, s0, v5, v1
	s_delay_alu instid0(VALU_DEP_1)
	v_add_co_ci_u32_e64 v2, s0, v10, v2, s0
	global_store_b32 v[1:2], v9, off
.LBB16_5:
	s_or_b32 exec_lo, exec_lo, s1
	v_add_nc_u32_e32 v2, 16, v0
	s_delay_alu instid0(VALU_DEP_1) | instskip(SKIP_1) | instid1(VALU_DEP_1)
	v_cmp_le_i32_e64 s1, v6, v2
	v_cmp_gt_i32_e64 s0, s2, v2
	s_and_b32 s1, s1, s0
	s_delay_alu instid0(SALU_CYCLE_1)
	s_and_saveexec_b32 s2, s1
	s_cbranch_execz .LBB16_7
; %bb.6:
	v_ashrrev_i32_e32 v3, 31, v2
	s_delay_alu instid0(VALU_DEP_1) | instskip(NEXT) | instid1(VALU_DEP_1)
	v_lshlrev_b64 v[11:12], 2, v[2:3]
	v_add_co_u32 v9, s1, v5, v11
	s_delay_alu instid0(VALU_DEP_1)
	v_add_co_ci_u32_e64 v10, s1, v10, v12, s1
	global_store_b32 v[9:10], v8, off
.LBB16_7:
	s_or_b32 exec_lo, exec_lo, s2
	v_add_nc_u32_e32 v3, 16, v6
	s_delay_alu instid0(VALU_DEP_1) | instskip(SKIP_1) | instid1(VALU_DEP_2)
	v_mad_i64_i32 v[5:6], null, v3, s3, 0
	v_cmp_le_i32_e64 s1, v3, v0
	v_lshlrev_b64 v[5:6], 2, v[5:6]
	s_delay_alu instid0(VALU_DEP_1) | instskip(NEXT) | instid1(VALU_DEP_1)
	v_add_co_u32 v5, s2, s4, v5
	v_add_co_ci_u32_e64 v6, s2, s5, v6, s2
	s_delay_alu instid0(VALU_DEP_4) | instskip(NEXT) | instid1(SALU_CYCLE_1)
	s_and_b32 s2, s1, vcc_lo
	s_and_saveexec_b32 s1, s2
	s_cbranch_execz .LBB16_9
; %bb.8:
	v_ashrrev_i32_e32 v1, 31, v0
	s_delay_alu instid0(VALU_DEP_1) | instskip(NEXT) | instid1(VALU_DEP_1)
	v_lshlrev_b64 v[0:1], 2, v[0:1]
	v_add_co_u32 v0, vcc_lo, v5, v0
	s_delay_alu instid0(VALU_DEP_2)
	v_add_co_ci_u32_e32 v1, vcc_lo, v6, v1, vcc_lo
	global_store_b32 v[0:1], v7, off
.LBB16_9:
	s_or_b32 exec_lo, exec_lo, s1
	v_cmp_le_i32_e32 vcc_lo, v3, v2
	s_and_b32 s0, vcc_lo, s0
	s_delay_alu instid0(SALU_CYCLE_1)
	s_and_saveexec_b32 s1, s0
	s_cbranch_execz .LBB16_11
; %bb.10:
	v_ashrrev_i32_e32 v3, 31, v2
	s_delay_alu instid0(VALU_DEP_1) | instskip(NEXT) | instid1(VALU_DEP_1)
	v_lshlrev_b64 v[0:1], 2, v[2:3]
	v_add_co_u32 v0, vcc_lo, v5, v0
	s_delay_alu instid0(VALU_DEP_2)
	v_add_co_ci_u32_e32 v1, vcc_lo, v6, v1, vcc_lo
	global_store_b32 v[0:1], v4, off
.LBB16_11:
	s_nop 0
	s_sendmsg sendmsg(MSG_DEALLOC_VGPRS)
	s_endpgm
	.section	.rodata,"a",@progbits
	.p2align	6, 0x0
	.amdhsa_kernel _ZL37rocblas_syrkx_herkx_restricted_kernelIifLi16ELi32ELi8ELi1ELi0ELb0ELc78ELc76EKffEviT_PT9_S1_lS3_S1_lPT10_S1_li
		.amdhsa_group_segment_fixed_size 2048
		.amdhsa_private_segment_fixed_size 0
		.amdhsa_kernarg_size 84
		.amdhsa_user_sgpr_count 13
		.amdhsa_user_sgpr_dispatch_ptr 0
		.amdhsa_user_sgpr_queue_ptr 0
		.amdhsa_user_sgpr_kernarg_segment_ptr 1
		.amdhsa_user_sgpr_dispatch_id 0
		.amdhsa_user_sgpr_private_segment_size 0
		.amdhsa_wavefront_size32 1
		.amdhsa_uses_dynamic_stack 0
		.amdhsa_enable_private_segment 0
		.amdhsa_system_sgpr_workgroup_id_x 1
		.amdhsa_system_sgpr_workgroup_id_y 1
		.amdhsa_system_sgpr_workgroup_id_z 1
		.amdhsa_system_sgpr_workgroup_info 0
		.amdhsa_system_vgpr_workitem_id 1
		.amdhsa_next_free_vgpr 46
		.amdhsa_next_free_sgpr 23
		.amdhsa_reserve_vcc 1
		.amdhsa_float_round_mode_32 0
		.amdhsa_float_round_mode_16_64 0
		.amdhsa_float_denorm_mode_32 3
		.amdhsa_float_denorm_mode_16_64 3
		.amdhsa_dx10_clamp 1
		.amdhsa_ieee_mode 1
		.amdhsa_fp16_overflow 0
		.amdhsa_workgroup_processor_mode 1
		.amdhsa_memory_ordered 1
		.amdhsa_forward_progress 0
		.amdhsa_shared_vgpr_count 0
		.amdhsa_exception_fp_ieee_invalid_op 0
		.amdhsa_exception_fp_denorm_src 0
		.amdhsa_exception_fp_ieee_div_zero 0
		.amdhsa_exception_fp_ieee_overflow 0
		.amdhsa_exception_fp_ieee_underflow 0
		.amdhsa_exception_fp_ieee_inexact 0
		.amdhsa_exception_int_div_zero 0
	.end_amdhsa_kernel
	.section	.text._ZL37rocblas_syrkx_herkx_restricted_kernelIifLi16ELi32ELi8ELi1ELi0ELb0ELc78ELc76EKffEviT_PT9_S1_lS3_S1_lPT10_S1_li,"axG",@progbits,_ZL37rocblas_syrkx_herkx_restricted_kernelIifLi16ELi32ELi8ELi1ELi0ELb0ELc78ELc76EKffEviT_PT9_S1_lS3_S1_lPT10_S1_li,comdat
.Lfunc_end16:
	.size	_ZL37rocblas_syrkx_herkx_restricted_kernelIifLi16ELi32ELi8ELi1ELi0ELb0ELc78ELc76EKffEviT_PT9_S1_lS3_S1_lPT10_S1_li, .Lfunc_end16-_ZL37rocblas_syrkx_herkx_restricted_kernelIifLi16ELi32ELi8ELi1ELi0ELb0ELc78ELc76EKffEviT_PT9_S1_lS3_S1_lPT10_S1_li
                                        ; -- End function
	.section	.AMDGPU.csdata,"",@progbits
; Kernel info:
; codeLenInByte = 1180
; NumSgprs: 25
; NumVgprs: 46
; ScratchSize: 0
; MemoryBound: 0
; FloatMode: 240
; IeeeMode: 1
; LDSByteSize: 2048 bytes/workgroup (compile time only)
; SGPRBlocks: 3
; VGPRBlocks: 5
; NumSGPRsForWavesPerEU: 25
; NumVGPRsForWavesPerEU: 46
; Occupancy: 16
; WaveLimiterHint : 0
; COMPUTE_PGM_RSRC2:SCRATCH_EN: 0
; COMPUTE_PGM_RSRC2:USER_SGPR: 13
; COMPUTE_PGM_RSRC2:TRAP_HANDLER: 0
; COMPUTE_PGM_RSRC2:TGID_X_EN: 1
; COMPUTE_PGM_RSRC2:TGID_Y_EN: 1
; COMPUTE_PGM_RSRC2:TGID_Z_EN: 1
; COMPUTE_PGM_RSRC2:TIDIG_COMP_CNT: 1
	.section	.text._ZL37rocblas_syrkx_herkx_restricted_kernelIifLi16ELi32ELi8ELi1ELi0ELb0ELc84ELc85EKffEviT_PT9_S1_lS3_S1_lPT10_S1_li,"axG",@progbits,_ZL37rocblas_syrkx_herkx_restricted_kernelIifLi16ELi32ELi8ELi1ELi0ELb0ELc84ELc85EKffEviT_PT9_S1_lS3_S1_lPT10_S1_li,comdat
	.globl	_ZL37rocblas_syrkx_herkx_restricted_kernelIifLi16ELi32ELi8ELi1ELi0ELb0ELc84ELc85EKffEviT_PT9_S1_lS3_S1_lPT10_S1_li ; -- Begin function _ZL37rocblas_syrkx_herkx_restricted_kernelIifLi16ELi32ELi8ELi1ELi0ELb0ELc84ELc85EKffEviT_PT9_S1_lS3_S1_lPT10_S1_li
	.p2align	8
	.type	_ZL37rocblas_syrkx_herkx_restricted_kernelIifLi16ELi32ELi8ELi1ELi0ELb0ELc84ELc85EKffEviT_PT9_S1_lS3_S1_lPT10_S1_li,@function
_ZL37rocblas_syrkx_herkx_restricted_kernelIifLi16ELi32ELi8ELi1ELi0ELb0ELc84ELc85EKffEviT_PT9_S1_lS3_S1_lPT10_S1_li: ; @_ZL37rocblas_syrkx_herkx_restricted_kernelIifLi16ELi32ELi8ELi1ELi0ELb0ELc84ELc85EKffEviT_PT9_S1_lS3_S1_lPT10_S1_li
; %bb.0:
	s_clause 0x1
	s_load_b64 s[2:3], s[0:1], 0x0
	s_load_b128 s[4:7], s[0:1], 0x30
	v_dual_mov_b32 v9, 0 :: v_dual_and_b32 v6, 0x3ff, v0
	v_bfe_u32 v7, v0, 10, 10
	v_dual_mov_b32 v8, 0 :: v_dual_mov_b32 v1, 0
	v_mov_b32_e32 v0, 0
	s_lshl_b32 s12, s13, 5
	s_lshl_b32 s13, s14, 5
	s_mov_b32 s14, 0
	s_waitcnt lgkmcnt(0)
	s_cmp_lt_i32 s3, 1
	s_cbranch_scc1 .LBB17_3
; %bb.1:
	s_clause 0x3
	s_load_b32 s18, s[0:1], 0x10
	s_load_b128 s[8:11], s[0:1], 0x18
	s_load_b64 s[16:17], s[0:1], 0x8
	s_load_b32 s19, s[0:1], 0x28
	v_lshl_add_u32 v2, v7, 4, v6
	v_dual_mov_b32 v1, 0 :: v_dual_and_b32 v0, 7, v6
	v_lshlrev_b32_e32 v10, 2, v6
	s_mul_i32 s5, s5, s15
	s_delay_alu instid0(VALU_DEP_3) | instskip(SKIP_3) | instid1(VALU_DEP_4)
	v_lshrrev_b32_e32 v4, 3, v2
	v_and_b32_e32 v5, 31, v2
	v_lshlrev_b32_e32 v3, 2, v0
	v_lshrrev_b32_e32 v2, 5, v2
	v_add_nc_u32_e32 v14, s13, v4
	s_delay_alu instid0(VALU_DEP_4) | instskip(NEXT) | instid1(VALU_DEP_4)
	v_add_nc_u32_e32 v13, s12, v5
	v_lshl_or_b32 v9, v4, 5, v3
	v_dual_mov_b32 v3, v1 :: v_dual_lshlrev_b32 v8, 2, v5
	s_delay_alu instid0(VALU_DEP_2) | instskip(SKIP_1) | instid1(VALU_DEP_2)
	v_add_nc_u32_e32 v12, 0x400, v9
	s_waitcnt lgkmcnt(0)
	v_mad_i64_i32 v[4:5], null, s18, v13, v[2:3]
	s_delay_alu instid0(VALU_DEP_3)
	v_lshl_or_b32 v11, v2, 7, v8
	s_mul_i32 s9, s9, s15
	s_mul_hi_u32 s18, s8, s15
	v_mad_i64_i32 v[2:3], null, s19, v14, v[0:1]
	s_mul_i32 s8, s8, s15
	s_add_i32 s9, s18, s9
	s_delay_alu instid0(VALU_DEP_3)
	v_lshlrev_b64 v[4:5], 2, v[4:5]
	s_lshl_b64 s[8:9], s[8:9], 2
	v_lshl_add_u32 v13, v7, 5, 0x400
	s_add_u32 s8, s16, s8
	s_mul_hi_u32 s16, s4, s15
	s_addc_u32 s9, s17, s9
	s_add_i32 s5, s16, s5
	s_mul_i32 s4, s4, s15
	v_lshlrev_b64 v[8:9], 2, v[2:3]
	s_lshl_b64 s[4:5], s[4:5], 2
	v_add_co_u32 v2, vcc_lo, s8, v4
	s_add_u32 s4, s10, s4
	v_add_co_ci_u32_e32 v3, vcc_lo, s9, v5, vcc_lo
	s_addc_u32 s5, s11, s5
	v_add_co_u32 v4, vcc_lo, s4, v8
	v_add_co_ci_u32_e32 v5, vcc_lo, s5, v9, vcc_lo
	v_mov_b32_e32 v9, v1
	v_mov_b32_e32 v0, v1
	;; [unrolled: 1-line block ×3, first 2 shown]
.LBB17_2:                               ; =>This Inner Loop Header: Depth=1
	global_load_b32 v14, v[2:3], off
	global_load_b32 v15, v[4:5], off
	v_add_co_u32 v2, vcc_lo, v2, 32
	v_add_co_ci_u32_e32 v3, vcc_lo, 0, v3, vcc_lo
	v_add_co_u32 v4, vcc_lo, v4, 32
	v_add_co_ci_u32_e32 v5, vcc_lo, 0, v5, vcc_lo
	s_add_i32 s14, s14, 8
	s_waitcnt vmcnt(1)
	ds_store_b32 v11, v14
	s_waitcnt vmcnt(0)
	ds_store_b32 v12, v15
	s_waitcnt lgkmcnt(0)
	s_barrier
	buffer_gl0_inv
	ds_load_2addr_b32 v[30:31], v10 offset1:16
	ds_load_b128 v[14:17], v13
	ds_load_b128 v[18:21], v13 offset:512
	ds_load_2addr_b32 v[32:33], v10 offset0:32 offset1:48
	ds_load_2addr_b32 v[34:35], v10 offset0:64 offset1:80
	ds_load_b128 v[22:25], v13 offset:16
	ds_load_2addr_b32 v[36:37], v10 offset0:96 offset1:112
	ds_load_2addr_b32 v[38:39], v10 offset0:128 offset1:144
	;; [unrolled: 3-line block ×3, first 2 shown]
	ds_load_2addr_b32 v[44:45], v10 offset0:224 offset1:240
	s_cmp_ge_i32 s14, s3
	s_waitcnt lgkmcnt(0)
	s_barrier
	buffer_gl0_inv
	v_fmac_f32_e32 v8, v31, v14
	v_fmac_f32_e32 v9, v30, v14
	;; [unrolled: 1-line block ×4, first 2 shown]
	s_delay_alu instid0(VALU_DEP_4) | instskip(NEXT) | instid1(VALU_DEP_4)
	v_fmac_f32_e32 v8, v33, v15
	v_fmac_f32_e32 v9, v32, v15
	s_delay_alu instid0(VALU_DEP_4) | instskip(NEXT) | instid1(VALU_DEP_4)
	v_fmac_f32_e32 v1, v33, v19
	v_fmac_f32_e32 v0, v32, v19
	;; [unrolled: 3-line block ×14, first 2 shown]
	s_cbranch_scc0 .LBB17_2
.LBB17_3:
	s_clause 0x1
	s_load_b32 s3, s[0:1], 0x40
	s_load_b64 s[0:1], s[0:1], 0x48
	v_add_nc_u32_e32 v7, s13, v7
	v_add_nc_u32_e32 v2, s12, v6
	s_delay_alu instid0(VALU_DEP_2)
	v_cmp_gt_i32_e32 vcc_lo, s2, v7
	s_waitcnt lgkmcnt(0)
	v_mad_i64_i32 v[3:4], null, v7, s3, 0
	s_mul_i32 s1, s15, s1
	s_mul_hi_u32 s4, s15, s0
	s_mul_i32 s0, s15, s0
	s_add_i32 s1, s4, s1
	s_delay_alu instid0(SALU_CYCLE_1) | instskip(NEXT) | instid1(VALU_DEP_1)
	s_lshl_b64 s[4:5], s[0:1], 2
	v_lshlrev_b64 v[3:4], 2, v[3:4]
	s_add_u32 s4, s6, s4
	v_cmp_le_i32_e64 s0, v2, v7
	s_addc_u32 s5, s7, s5
	s_delay_alu instid0(VALU_DEP_2) | instskip(NEXT) | instid1(VALU_DEP_1)
	v_add_co_u32 v6, s1, s4, v3
	v_add_co_ci_u32_e64 v10, s1, s5, v4, s1
	s_delay_alu instid0(VALU_DEP_3) | instskip(NEXT) | instid1(SALU_CYCLE_1)
	s_and_b32 s0, vcc_lo, s0
	s_and_saveexec_b32 s1, s0
	s_cbranch_execz .LBB17_5
; %bb.4:
	v_ashrrev_i32_e32 v3, 31, v2
	s_delay_alu instid0(VALU_DEP_1) | instskip(NEXT) | instid1(VALU_DEP_1)
	v_lshlrev_b64 v[3:4], 2, v[2:3]
	v_add_co_u32 v3, s0, v6, v3
	s_delay_alu instid0(VALU_DEP_1)
	v_add_co_ci_u32_e64 v4, s0, v10, v4, s0
	global_store_b32 v[3:4], v9, off
.LBB17_5:
	s_or_b32 exec_lo, exec_lo, s1
	v_add_nc_u32_e32 v4, 16, v2
	s_delay_alu instid0(VALU_DEP_1) | instskip(NEXT) | instid1(VALU_DEP_1)
	v_cmp_le_i32_e64 s0, v4, v7
	s_and_b32 s1, vcc_lo, s0
	s_delay_alu instid0(SALU_CYCLE_1)
	s_and_saveexec_b32 s0, s1
	s_cbranch_execz .LBB17_7
; %bb.6:
	v_ashrrev_i32_e32 v5, 31, v4
	s_delay_alu instid0(VALU_DEP_1) | instskip(NEXT) | instid1(VALU_DEP_1)
	v_lshlrev_b64 v[11:12], 2, v[4:5]
	v_add_co_u32 v5, vcc_lo, v6, v11
	s_delay_alu instid0(VALU_DEP_2)
	v_add_co_ci_u32_e32 v6, vcc_lo, v10, v12, vcc_lo
	global_store_b32 v[5:6], v8, off
.LBB17_7:
	s_or_b32 exec_lo, exec_lo, s0
	v_add_nc_u32_e32 v5, 16, v7
	s_delay_alu instid0(VALU_DEP_1) | instskip(SKIP_2) | instid1(VALU_DEP_1)
	v_mad_i64_i32 v[6:7], null, v5, s3, 0
	v_cmp_gt_i32_e32 vcc_lo, s2, v5
	v_cmp_le_i32_e64 s0, v2, v5
	s_and_b32 s0, vcc_lo, s0
	s_delay_alu instid0(VALU_DEP_3) | instskip(NEXT) | instid1(VALU_DEP_1)
	v_lshlrev_b64 v[6:7], 2, v[6:7]
	v_add_co_u32 v6, s1, s4, v6
	s_delay_alu instid0(VALU_DEP_1)
	v_add_co_ci_u32_e64 v7, s1, s5, v7, s1
	s_and_saveexec_b32 s1, s0
	s_cbranch_execz .LBB17_9
; %bb.8:
	v_ashrrev_i32_e32 v3, 31, v2
	s_delay_alu instid0(VALU_DEP_1) | instskip(NEXT) | instid1(VALU_DEP_1)
	v_lshlrev_b64 v[2:3], 2, v[2:3]
	v_add_co_u32 v2, s0, v6, v2
	s_delay_alu instid0(VALU_DEP_1)
	v_add_co_ci_u32_e64 v3, s0, v7, v3, s0
	global_store_b32 v[2:3], v0, off
.LBB17_9:
	s_or_b32 exec_lo, exec_lo, s1
	v_cmp_le_i32_e64 s0, v4, v5
	s_delay_alu instid0(VALU_DEP_1) | instskip(NEXT) | instid1(SALU_CYCLE_1)
	s_and_b32 s0, vcc_lo, s0
	s_and_saveexec_b32 s1, s0
	s_cbranch_execz .LBB17_11
; %bb.10:
	v_ashrrev_i32_e32 v5, 31, v4
	s_delay_alu instid0(VALU_DEP_1) | instskip(NEXT) | instid1(VALU_DEP_1)
	v_lshlrev_b64 v[2:3], 2, v[4:5]
	v_add_co_u32 v2, vcc_lo, v6, v2
	s_delay_alu instid0(VALU_DEP_2)
	v_add_co_ci_u32_e32 v3, vcc_lo, v7, v3, vcc_lo
	global_store_b32 v[2:3], v1, off
.LBB17_11:
	s_nop 0
	s_sendmsg sendmsg(MSG_DEALLOC_VGPRS)
	s_endpgm
	.section	.rodata,"a",@progbits
	.p2align	6, 0x0
	.amdhsa_kernel _ZL37rocblas_syrkx_herkx_restricted_kernelIifLi16ELi32ELi8ELi1ELi0ELb0ELc84ELc85EKffEviT_PT9_S1_lS3_S1_lPT10_S1_li
		.amdhsa_group_segment_fixed_size 2048
		.amdhsa_private_segment_fixed_size 0
		.amdhsa_kernarg_size 84
		.amdhsa_user_sgpr_count 13
		.amdhsa_user_sgpr_dispatch_ptr 0
		.amdhsa_user_sgpr_queue_ptr 0
		.amdhsa_user_sgpr_kernarg_segment_ptr 1
		.amdhsa_user_sgpr_dispatch_id 0
		.amdhsa_user_sgpr_private_segment_size 0
		.amdhsa_wavefront_size32 1
		.amdhsa_uses_dynamic_stack 0
		.amdhsa_enable_private_segment 0
		.amdhsa_system_sgpr_workgroup_id_x 1
		.amdhsa_system_sgpr_workgroup_id_y 1
		.amdhsa_system_sgpr_workgroup_id_z 1
		.amdhsa_system_sgpr_workgroup_info 0
		.amdhsa_system_vgpr_workitem_id 1
		.amdhsa_next_free_vgpr 46
		.amdhsa_next_free_sgpr 20
		.amdhsa_reserve_vcc 1
		.amdhsa_float_round_mode_32 0
		.amdhsa_float_round_mode_16_64 0
		.amdhsa_float_denorm_mode_32 3
		.amdhsa_float_denorm_mode_16_64 3
		.amdhsa_dx10_clamp 1
		.amdhsa_ieee_mode 1
		.amdhsa_fp16_overflow 0
		.amdhsa_workgroup_processor_mode 1
		.amdhsa_memory_ordered 1
		.amdhsa_forward_progress 0
		.amdhsa_shared_vgpr_count 0
		.amdhsa_exception_fp_ieee_invalid_op 0
		.amdhsa_exception_fp_denorm_src 0
		.amdhsa_exception_fp_ieee_div_zero 0
		.amdhsa_exception_fp_ieee_overflow 0
		.amdhsa_exception_fp_ieee_underflow 0
		.amdhsa_exception_fp_ieee_inexact 0
		.amdhsa_exception_int_div_zero 0
	.end_amdhsa_kernel
	.section	.text._ZL37rocblas_syrkx_herkx_restricted_kernelIifLi16ELi32ELi8ELi1ELi0ELb0ELc84ELc85EKffEviT_PT9_S1_lS3_S1_lPT10_S1_li,"axG",@progbits,_ZL37rocblas_syrkx_herkx_restricted_kernelIifLi16ELi32ELi8ELi1ELi0ELb0ELc84ELc85EKffEviT_PT9_S1_lS3_S1_lPT10_S1_li,comdat
.Lfunc_end17:
	.size	_ZL37rocblas_syrkx_herkx_restricted_kernelIifLi16ELi32ELi8ELi1ELi0ELb0ELc84ELc85EKffEviT_PT9_S1_lS3_S1_lPT10_S1_li, .Lfunc_end17-_ZL37rocblas_syrkx_herkx_restricted_kernelIifLi16ELi32ELi8ELi1ELi0ELb0ELc84ELc85EKffEviT_PT9_S1_lS3_S1_lPT10_S1_li
                                        ; -- End function
	.section	.AMDGPU.csdata,"",@progbits
; Kernel info:
; codeLenInByte = 1188
; NumSgprs: 22
; NumVgprs: 46
; ScratchSize: 0
; MemoryBound: 0
; FloatMode: 240
; IeeeMode: 1
; LDSByteSize: 2048 bytes/workgroup (compile time only)
; SGPRBlocks: 2
; VGPRBlocks: 5
; NumSGPRsForWavesPerEU: 22
; NumVGPRsForWavesPerEU: 46
; Occupancy: 16
; WaveLimiterHint : 0
; COMPUTE_PGM_RSRC2:SCRATCH_EN: 0
; COMPUTE_PGM_RSRC2:USER_SGPR: 13
; COMPUTE_PGM_RSRC2:TRAP_HANDLER: 0
; COMPUTE_PGM_RSRC2:TGID_X_EN: 1
; COMPUTE_PGM_RSRC2:TGID_Y_EN: 1
; COMPUTE_PGM_RSRC2:TGID_Z_EN: 1
; COMPUTE_PGM_RSRC2:TIDIG_COMP_CNT: 1
	.section	.text._ZL37rocblas_syrkx_herkx_restricted_kernelIifLi16ELi32ELi8ELi1ELi0ELb0ELc67ELc85EKffEviT_PT9_S1_lS3_S1_lPT10_S1_li,"axG",@progbits,_ZL37rocblas_syrkx_herkx_restricted_kernelIifLi16ELi32ELi8ELi1ELi0ELb0ELc67ELc85EKffEviT_PT9_S1_lS3_S1_lPT10_S1_li,comdat
	.globl	_ZL37rocblas_syrkx_herkx_restricted_kernelIifLi16ELi32ELi8ELi1ELi0ELb0ELc67ELc85EKffEviT_PT9_S1_lS3_S1_lPT10_S1_li ; -- Begin function _ZL37rocblas_syrkx_herkx_restricted_kernelIifLi16ELi32ELi8ELi1ELi0ELb0ELc67ELc85EKffEviT_PT9_S1_lS3_S1_lPT10_S1_li
	.p2align	8
	.type	_ZL37rocblas_syrkx_herkx_restricted_kernelIifLi16ELi32ELi8ELi1ELi0ELb0ELc67ELc85EKffEviT_PT9_S1_lS3_S1_lPT10_S1_li,@function
_ZL37rocblas_syrkx_herkx_restricted_kernelIifLi16ELi32ELi8ELi1ELi0ELb0ELc67ELc85EKffEviT_PT9_S1_lS3_S1_lPT10_S1_li: ; @_ZL37rocblas_syrkx_herkx_restricted_kernelIifLi16ELi32ELi8ELi1ELi0ELb0ELc67ELc85EKffEviT_PT9_S1_lS3_S1_lPT10_S1_li
; %bb.0:
	s_clause 0x1
	s_load_b64 s[2:3], s[0:1], 0x0
	s_load_b128 s[4:7], s[0:1], 0x30
	v_dual_mov_b32 v9, 0 :: v_dual_and_b32 v6, 0x3ff, v0
	v_bfe_u32 v7, v0, 10, 10
	v_dual_mov_b32 v8, 0 :: v_dual_mov_b32 v1, 0
	v_mov_b32_e32 v0, 0
	s_lshl_b32 s12, s13, 5
	s_lshl_b32 s13, s14, 5
	s_mov_b32 s14, 0
	s_waitcnt lgkmcnt(0)
	s_cmp_lt_i32 s3, 1
	s_cbranch_scc1 .LBB18_3
; %bb.1:
	s_clause 0x3
	s_load_b32 s18, s[0:1], 0x10
	s_load_b128 s[8:11], s[0:1], 0x18
	s_load_b64 s[16:17], s[0:1], 0x8
	s_load_b32 s19, s[0:1], 0x28
	v_lshl_add_u32 v2, v7, 4, v6
	v_dual_mov_b32 v1, 0 :: v_dual_and_b32 v0, 7, v6
	v_lshlrev_b32_e32 v10, 2, v6
	s_mul_i32 s5, s5, s15
	s_delay_alu instid0(VALU_DEP_3) | instskip(SKIP_3) | instid1(VALU_DEP_4)
	v_lshrrev_b32_e32 v4, 3, v2
	v_and_b32_e32 v5, 31, v2
	v_lshlrev_b32_e32 v3, 2, v0
	v_lshrrev_b32_e32 v2, 5, v2
	v_add_nc_u32_e32 v14, s13, v4
	s_delay_alu instid0(VALU_DEP_4) | instskip(NEXT) | instid1(VALU_DEP_4)
	v_add_nc_u32_e32 v13, s12, v5
	v_lshl_or_b32 v9, v4, 5, v3
	v_dual_mov_b32 v3, v1 :: v_dual_lshlrev_b32 v8, 2, v5
	s_delay_alu instid0(VALU_DEP_2) | instskip(SKIP_1) | instid1(VALU_DEP_2)
	v_add_nc_u32_e32 v12, 0x400, v9
	s_waitcnt lgkmcnt(0)
	v_mad_i64_i32 v[4:5], null, s18, v13, v[2:3]
	s_delay_alu instid0(VALU_DEP_3)
	v_lshl_or_b32 v11, v2, 7, v8
	s_mul_i32 s9, s9, s15
	s_mul_hi_u32 s18, s8, s15
	v_mad_i64_i32 v[2:3], null, s19, v14, v[0:1]
	s_mul_i32 s8, s8, s15
	s_add_i32 s9, s18, s9
	s_delay_alu instid0(VALU_DEP_3)
	v_lshlrev_b64 v[4:5], 2, v[4:5]
	s_lshl_b64 s[8:9], s[8:9], 2
	v_lshl_add_u32 v13, v7, 5, 0x400
	s_add_u32 s8, s16, s8
	s_mul_hi_u32 s16, s4, s15
	s_addc_u32 s9, s17, s9
	s_add_i32 s5, s16, s5
	s_mul_i32 s4, s4, s15
	v_lshlrev_b64 v[8:9], 2, v[2:3]
	s_lshl_b64 s[4:5], s[4:5], 2
	v_add_co_u32 v2, vcc_lo, s8, v4
	s_add_u32 s4, s10, s4
	v_add_co_ci_u32_e32 v3, vcc_lo, s9, v5, vcc_lo
	s_addc_u32 s5, s11, s5
	v_add_co_u32 v4, vcc_lo, s4, v8
	v_add_co_ci_u32_e32 v5, vcc_lo, s5, v9, vcc_lo
	v_mov_b32_e32 v9, v1
	v_mov_b32_e32 v0, v1
	;; [unrolled: 1-line block ×3, first 2 shown]
.LBB18_2:                               ; =>This Inner Loop Header: Depth=1
	global_load_b32 v14, v[2:3], off
	global_load_b32 v15, v[4:5], off
	v_add_co_u32 v2, vcc_lo, v2, 32
	v_add_co_ci_u32_e32 v3, vcc_lo, 0, v3, vcc_lo
	v_add_co_u32 v4, vcc_lo, v4, 32
	v_add_co_ci_u32_e32 v5, vcc_lo, 0, v5, vcc_lo
	s_add_i32 s14, s14, 8
	s_waitcnt vmcnt(1)
	ds_store_b32 v11, v14
	s_waitcnt vmcnt(0)
	ds_store_b32 v12, v15
	s_waitcnt lgkmcnt(0)
	s_barrier
	buffer_gl0_inv
	ds_load_2addr_b32 v[30:31], v10 offset1:16
	ds_load_b128 v[14:17], v13
	ds_load_b128 v[18:21], v13 offset:512
	ds_load_2addr_b32 v[32:33], v10 offset0:32 offset1:48
	ds_load_2addr_b32 v[34:35], v10 offset0:64 offset1:80
	ds_load_b128 v[22:25], v13 offset:16
	ds_load_2addr_b32 v[36:37], v10 offset0:96 offset1:112
	ds_load_2addr_b32 v[38:39], v10 offset0:128 offset1:144
	;; [unrolled: 3-line block ×3, first 2 shown]
	ds_load_2addr_b32 v[44:45], v10 offset0:224 offset1:240
	s_cmp_ge_i32 s14, s3
	s_waitcnt lgkmcnt(0)
	s_barrier
	buffer_gl0_inv
	v_fmac_f32_e32 v8, v31, v14
	v_fmac_f32_e32 v9, v30, v14
	;; [unrolled: 1-line block ×4, first 2 shown]
	s_delay_alu instid0(VALU_DEP_4) | instskip(NEXT) | instid1(VALU_DEP_4)
	v_fmac_f32_e32 v8, v33, v15
	v_fmac_f32_e32 v9, v32, v15
	s_delay_alu instid0(VALU_DEP_4) | instskip(NEXT) | instid1(VALU_DEP_4)
	v_fmac_f32_e32 v1, v33, v19
	v_fmac_f32_e32 v0, v32, v19
	;; [unrolled: 3-line block ×14, first 2 shown]
	s_cbranch_scc0 .LBB18_2
.LBB18_3:
	s_clause 0x1
	s_load_b32 s3, s[0:1], 0x40
	s_load_b64 s[0:1], s[0:1], 0x48
	v_add_nc_u32_e32 v7, s13, v7
	v_add_nc_u32_e32 v2, s12, v6
	s_delay_alu instid0(VALU_DEP_2)
	v_cmp_gt_i32_e32 vcc_lo, s2, v7
	s_waitcnt lgkmcnt(0)
	v_mad_i64_i32 v[3:4], null, v7, s3, 0
	s_mul_i32 s1, s15, s1
	s_mul_hi_u32 s4, s15, s0
	s_mul_i32 s0, s15, s0
	s_add_i32 s1, s4, s1
	s_delay_alu instid0(SALU_CYCLE_1) | instskip(NEXT) | instid1(VALU_DEP_1)
	s_lshl_b64 s[4:5], s[0:1], 2
	v_lshlrev_b64 v[3:4], 2, v[3:4]
	s_add_u32 s4, s6, s4
	v_cmp_le_i32_e64 s0, v2, v7
	s_addc_u32 s5, s7, s5
	s_delay_alu instid0(VALU_DEP_2) | instskip(NEXT) | instid1(VALU_DEP_1)
	v_add_co_u32 v6, s1, s4, v3
	v_add_co_ci_u32_e64 v10, s1, s5, v4, s1
	s_delay_alu instid0(VALU_DEP_3) | instskip(NEXT) | instid1(SALU_CYCLE_1)
	s_and_b32 s0, vcc_lo, s0
	s_and_saveexec_b32 s1, s0
	s_cbranch_execz .LBB18_5
; %bb.4:
	v_ashrrev_i32_e32 v3, 31, v2
	s_delay_alu instid0(VALU_DEP_1) | instskip(NEXT) | instid1(VALU_DEP_1)
	v_lshlrev_b64 v[3:4], 2, v[2:3]
	v_add_co_u32 v3, s0, v6, v3
	s_delay_alu instid0(VALU_DEP_1)
	v_add_co_ci_u32_e64 v4, s0, v10, v4, s0
	global_store_b32 v[3:4], v9, off
.LBB18_5:
	s_or_b32 exec_lo, exec_lo, s1
	v_add_nc_u32_e32 v4, 16, v2
	s_delay_alu instid0(VALU_DEP_1) | instskip(NEXT) | instid1(VALU_DEP_1)
	v_cmp_le_i32_e64 s0, v4, v7
	s_and_b32 s1, vcc_lo, s0
	s_delay_alu instid0(SALU_CYCLE_1)
	s_and_saveexec_b32 s0, s1
	s_cbranch_execz .LBB18_7
; %bb.6:
	v_ashrrev_i32_e32 v5, 31, v4
	s_delay_alu instid0(VALU_DEP_1) | instskip(NEXT) | instid1(VALU_DEP_1)
	v_lshlrev_b64 v[11:12], 2, v[4:5]
	v_add_co_u32 v5, vcc_lo, v6, v11
	s_delay_alu instid0(VALU_DEP_2)
	v_add_co_ci_u32_e32 v6, vcc_lo, v10, v12, vcc_lo
	global_store_b32 v[5:6], v8, off
.LBB18_7:
	s_or_b32 exec_lo, exec_lo, s0
	v_add_nc_u32_e32 v5, 16, v7
	s_delay_alu instid0(VALU_DEP_1) | instskip(SKIP_2) | instid1(VALU_DEP_1)
	v_mad_i64_i32 v[6:7], null, v5, s3, 0
	v_cmp_gt_i32_e32 vcc_lo, s2, v5
	v_cmp_le_i32_e64 s0, v2, v5
	s_and_b32 s0, vcc_lo, s0
	s_delay_alu instid0(VALU_DEP_3) | instskip(NEXT) | instid1(VALU_DEP_1)
	v_lshlrev_b64 v[6:7], 2, v[6:7]
	v_add_co_u32 v6, s1, s4, v6
	s_delay_alu instid0(VALU_DEP_1)
	v_add_co_ci_u32_e64 v7, s1, s5, v7, s1
	s_and_saveexec_b32 s1, s0
	s_cbranch_execz .LBB18_9
; %bb.8:
	v_ashrrev_i32_e32 v3, 31, v2
	s_delay_alu instid0(VALU_DEP_1) | instskip(NEXT) | instid1(VALU_DEP_1)
	v_lshlrev_b64 v[2:3], 2, v[2:3]
	v_add_co_u32 v2, s0, v6, v2
	s_delay_alu instid0(VALU_DEP_1)
	v_add_co_ci_u32_e64 v3, s0, v7, v3, s0
	global_store_b32 v[2:3], v0, off
.LBB18_9:
	s_or_b32 exec_lo, exec_lo, s1
	v_cmp_le_i32_e64 s0, v4, v5
	s_delay_alu instid0(VALU_DEP_1) | instskip(NEXT) | instid1(SALU_CYCLE_1)
	s_and_b32 s0, vcc_lo, s0
	s_and_saveexec_b32 s1, s0
	s_cbranch_execz .LBB18_11
; %bb.10:
	v_ashrrev_i32_e32 v5, 31, v4
	s_delay_alu instid0(VALU_DEP_1) | instskip(NEXT) | instid1(VALU_DEP_1)
	v_lshlrev_b64 v[2:3], 2, v[4:5]
	v_add_co_u32 v2, vcc_lo, v6, v2
	s_delay_alu instid0(VALU_DEP_2)
	v_add_co_ci_u32_e32 v3, vcc_lo, v7, v3, vcc_lo
	global_store_b32 v[2:3], v1, off
.LBB18_11:
	s_nop 0
	s_sendmsg sendmsg(MSG_DEALLOC_VGPRS)
	s_endpgm
	.section	.rodata,"a",@progbits
	.p2align	6, 0x0
	.amdhsa_kernel _ZL37rocblas_syrkx_herkx_restricted_kernelIifLi16ELi32ELi8ELi1ELi0ELb0ELc67ELc85EKffEviT_PT9_S1_lS3_S1_lPT10_S1_li
		.amdhsa_group_segment_fixed_size 2048
		.amdhsa_private_segment_fixed_size 0
		.amdhsa_kernarg_size 84
		.amdhsa_user_sgpr_count 13
		.amdhsa_user_sgpr_dispatch_ptr 0
		.amdhsa_user_sgpr_queue_ptr 0
		.amdhsa_user_sgpr_kernarg_segment_ptr 1
		.amdhsa_user_sgpr_dispatch_id 0
		.amdhsa_user_sgpr_private_segment_size 0
		.amdhsa_wavefront_size32 1
		.amdhsa_uses_dynamic_stack 0
		.amdhsa_enable_private_segment 0
		.amdhsa_system_sgpr_workgroup_id_x 1
		.amdhsa_system_sgpr_workgroup_id_y 1
		.amdhsa_system_sgpr_workgroup_id_z 1
		.amdhsa_system_sgpr_workgroup_info 0
		.amdhsa_system_vgpr_workitem_id 1
		.amdhsa_next_free_vgpr 46
		.amdhsa_next_free_sgpr 20
		.amdhsa_reserve_vcc 1
		.amdhsa_float_round_mode_32 0
		.amdhsa_float_round_mode_16_64 0
		.amdhsa_float_denorm_mode_32 3
		.amdhsa_float_denorm_mode_16_64 3
		.amdhsa_dx10_clamp 1
		.amdhsa_ieee_mode 1
		.amdhsa_fp16_overflow 0
		.amdhsa_workgroup_processor_mode 1
		.amdhsa_memory_ordered 1
		.amdhsa_forward_progress 0
		.amdhsa_shared_vgpr_count 0
		.amdhsa_exception_fp_ieee_invalid_op 0
		.amdhsa_exception_fp_denorm_src 0
		.amdhsa_exception_fp_ieee_div_zero 0
		.amdhsa_exception_fp_ieee_overflow 0
		.amdhsa_exception_fp_ieee_underflow 0
		.amdhsa_exception_fp_ieee_inexact 0
		.amdhsa_exception_int_div_zero 0
	.end_amdhsa_kernel
	.section	.text._ZL37rocblas_syrkx_herkx_restricted_kernelIifLi16ELi32ELi8ELi1ELi0ELb0ELc67ELc85EKffEviT_PT9_S1_lS3_S1_lPT10_S1_li,"axG",@progbits,_ZL37rocblas_syrkx_herkx_restricted_kernelIifLi16ELi32ELi8ELi1ELi0ELb0ELc67ELc85EKffEviT_PT9_S1_lS3_S1_lPT10_S1_li,comdat
.Lfunc_end18:
	.size	_ZL37rocblas_syrkx_herkx_restricted_kernelIifLi16ELi32ELi8ELi1ELi0ELb0ELc67ELc85EKffEviT_PT9_S1_lS3_S1_lPT10_S1_li, .Lfunc_end18-_ZL37rocblas_syrkx_herkx_restricted_kernelIifLi16ELi32ELi8ELi1ELi0ELb0ELc67ELc85EKffEviT_PT9_S1_lS3_S1_lPT10_S1_li
                                        ; -- End function
	.section	.AMDGPU.csdata,"",@progbits
; Kernel info:
; codeLenInByte = 1188
; NumSgprs: 22
; NumVgprs: 46
; ScratchSize: 0
; MemoryBound: 0
; FloatMode: 240
; IeeeMode: 1
; LDSByteSize: 2048 bytes/workgroup (compile time only)
; SGPRBlocks: 2
; VGPRBlocks: 5
; NumSGPRsForWavesPerEU: 22
; NumVGPRsForWavesPerEU: 46
; Occupancy: 16
; WaveLimiterHint : 0
; COMPUTE_PGM_RSRC2:SCRATCH_EN: 0
; COMPUTE_PGM_RSRC2:USER_SGPR: 13
; COMPUTE_PGM_RSRC2:TRAP_HANDLER: 0
; COMPUTE_PGM_RSRC2:TGID_X_EN: 1
; COMPUTE_PGM_RSRC2:TGID_Y_EN: 1
; COMPUTE_PGM_RSRC2:TGID_Z_EN: 1
; COMPUTE_PGM_RSRC2:TIDIG_COMP_CNT: 1
	.section	.text._ZL37rocblas_syrkx_herkx_restricted_kernelIifLi16ELi32ELi8ELi1ELi0ELb0ELc78ELc85EKffEviT_PT9_S1_lS3_S1_lPT10_S1_li,"axG",@progbits,_ZL37rocblas_syrkx_herkx_restricted_kernelIifLi16ELi32ELi8ELi1ELi0ELb0ELc78ELc85EKffEviT_PT9_S1_lS3_S1_lPT10_S1_li,comdat
	.globl	_ZL37rocblas_syrkx_herkx_restricted_kernelIifLi16ELi32ELi8ELi1ELi0ELb0ELc78ELc85EKffEviT_PT9_S1_lS3_S1_lPT10_S1_li ; -- Begin function _ZL37rocblas_syrkx_herkx_restricted_kernelIifLi16ELi32ELi8ELi1ELi0ELb0ELc78ELc85EKffEviT_PT9_S1_lS3_S1_lPT10_S1_li
	.p2align	8
	.type	_ZL37rocblas_syrkx_herkx_restricted_kernelIifLi16ELi32ELi8ELi1ELi0ELb0ELc78ELc85EKffEviT_PT9_S1_lS3_S1_lPT10_S1_li,@function
_ZL37rocblas_syrkx_herkx_restricted_kernelIifLi16ELi32ELi8ELi1ELi0ELb0ELc78ELc85EKffEviT_PT9_S1_lS3_S1_lPT10_S1_li: ; @_ZL37rocblas_syrkx_herkx_restricted_kernelIifLi16ELi32ELi8ELi1ELi0ELb0ELc78ELc85EKffEviT_PT9_S1_lS3_S1_lPT10_S1_li
; %bb.0:
	s_clause 0x1
	s_load_b64 s[2:3], s[0:1], 0x0
	s_load_b128 s[4:7], s[0:1], 0x30
	v_dual_mov_b32 v8, 0 :: v_dual_and_b32 v5, 0x3ff, v0
	v_bfe_u32 v6, v0, 10, 10
	v_dual_mov_b32 v9, 0 :: v_dual_mov_b32 v4, 0
	v_mov_b32_e32 v7, 0
	s_lshl_b32 s12, s13, 5
	s_lshl_b32 s13, s14, 5
	s_mov_b32 s14, 0
	s_waitcnt lgkmcnt(0)
	s_cmp_lt_i32 s3, 1
	s_cbranch_scc1 .LBB19_3
; %bb.1:
	s_clause 0x1
	s_load_b32 s16, s[0:1], 0x10
	s_load_b32 s18, s[0:1], 0x28
	v_lshl_add_u32 v0, v6, 4, v5
	v_and_b32_e32 v4, 7, v5
	s_clause 0x1
	s_load_b128 s[8:11], s[0:1], 0x18
	s_load_b64 s[20:21], s[0:1], 0x8
	s_mul_i32 s5, s5, s15
	v_lshrrev_b32_e32 v1, 3, v0
	v_and_b32_e32 v2, 31, v0
	v_lshrrev_b32_e32 v9, 5, v0
	v_lshlrev_b32_e32 v3, 2, v4
	v_lshlrev_b32_e32 v12, 2, v5
	v_add_nc_u32_e32 v0, s13, v1
	v_lshlrev_b32_e32 v7, 2, v2
	v_add_nc_u32_e32 v2, s12, v2
	v_lshl_or_b32 v11, v1, 5, v3
	v_lshl_add_u32 v13, v6, 5, 0x400
	v_ashrrev_i32_e32 v1, 31, v0
	v_lshl_or_b32 v10, v9, 7, v7
	v_ashrrev_i32_e32 v3, 31, v2
	s_waitcnt lgkmcnt(0)
	s_ashr_i32 s17, s16, 31
	s_ashr_i32 s19, s18, 31
	v_mad_i64_i32 v[7:8], null, s18, v4, v[0:1]
	v_mad_i64_i32 v[0:1], null, s16, v9, v[2:3]
	s_mul_i32 s9, s9, s15
	s_mul_hi_u32 s22, s8, s15
	s_mul_i32 s8, s8, s15
	s_add_i32 s9, s22, s9
	s_delay_alu instid0(VALU_DEP_2) | instskip(SKIP_1) | instid1(VALU_DEP_3)
	v_lshlrev_b64 v[2:3], 2, v[7:8]
	v_mov_b32_e32 v8, 0
	v_lshlrev_b64 v[0:1], 2, v[0:1]
	s_lshl_b64 s[8:9], s[8:9], 2
	v_add_nc_u32_e32 v11, 0x400, v11
	s_add_u32 s8, s20, s8
	s_mul_hi_u32 s20, s4, s15
	s_addc_u32 s9, s21, s9
	v_add_co_u32 v0, vcc_lo, s8, v0
	s_add_i32 s5, s20, s5
	s_mul_i32 s4, s4, s15
	v_add_co_ci_u32_e32 v1, vcc_lo, s9, v1, vcc_lo
	s_lshl_b64 s[8:9], s[4:5], 2
	s_lshl_b64 s[4:5], s[16:17], 5
	s_add_u32 s8, s10, s8
	s_addc_u32 s9, s11, s9
	v_add_co_u32 v2, vcc_lo, s8, v2
	v_add_co_ci_u32_e32 v3, vcc_lo, s9, v3, vcc_lo
	v_dual_mov_b32 v4, 0 :: v_dual_mov_b32 v7, 0
	v_mov_b32_e32 v9, 0
	s_lshl_b64 s[8:9], s[18:19], 5
.LBB19_2:                               ; =>This Inner Loop Header: Depth=1
	global_load_b32 v14, v[0:1], off
	global_load_b32 v15, v[2:3], off
	v_add_co_u32 v0, vcc_lo, v0, s4
	v_add_co_ci_u32_e32 v1, vcc_lo, s5, v1, vcc_lo
	v_add_co_u32 v2, vcc_lo, v2, s8
	v_add_co_ci_u32_e32 v3, vcc_lo, s9, v3, vcc_lo
	s_add_i32 s14, s14, 8
	s_waitcnt vmcnt(1)
	ds_store_b32 v10, v14
	s_waitcnt vmcnt(0)
	ds_store_b32 v11, v15
	s_waitcnt lgkmcnt(0)
	s_barrier
	buffer_gl0_inv
	ds_load_2addr_b32 v[30:31], v12 offset1:16
	ds_load_b128 v[14:17], v13
	ds_load_b128 v[18:21], v13 offset:512
	ds_load_2addr_b32 v[32:33], v12 offset0:32 offset1:48
	ds_load_2addr_b32 v[34:35], v12 offset0:64 offset1:80
	ds_load_b128 v[22:25], v13 offset:16
	ds_load_2addr_b32 v[36:37], v12 offset0:96 offset1:112
	ds_load_2addr_b32 v[38:39], v12 offset0:128 offset1:144
	;; [unrolled: 3-line block ×3, first 2 shown]
	ds_load_2addr_b32 v[44:45], v12 offset0:224 offset1:240
	s_cmp_ge_i32 s14, s3
	s_waitcnt lgkmcnt(0)
	s_barrier
	buffer_gl0_inv
	v_fmac_f32_e32 v8, v31, v14
	v_fmac_f32_e32 v9, v30, v14
	;; [unrolled: 1-line block ×3, first 2 shown]
	s_delay_alu instid0(VALU_DEP_3) | instskip(NEXT) | instid1(VALU_DEP_3)
	v_dual_fmac_f32 v7, v30, v18 :: v_dual_fmac_f32 v8, v33, v15
	v_fmac_f32_e32 v9, v32, v15
	s_delay_alu instid0(VALU_DEP_3) | instskip(NEXT) | instid1(VALU_DEP_3)
	v_fmac_f32_e32 v4, v33, v19
	v_dual_fmac_f32 v7, v32, v19 :: v_dual_fmac_f32 v8, v35, v16
	s_delay_alu instid0(VALU_DEP_3) | instskip(NEXT) | instid1(VALU_DEP_3)
	v_fmac_f32_e32 v9, v34, v16
	v_fmac_f32_e32 v4, v35, v20
	s_delay_alu instid0(VALU_DEP_3) | instskip(NEXT) | instid1(VALU_DEP_3)
	v_dual_fmac_f32 v7, v34, v20 :: v_dual_fmac_f32 v8, v37, v17
	v_fmac_f32_e32 v9, v36, v17
	s_delay_alu instid0(VALU_DEP_3) | instskip(NEXT) | instid1(VALU_DEP_3)
	v_fmac_f32_e32 v4, v37, v21
	v_dual_fmac_f32 v7, v36, v21 :: v_dual_fmac_f32 v8, v39, v22
	s_delay_alu instid0(VALU_DEP_3) | instskip(NEXT) | instid1(VALU_DEP_3)
	v_fmac_f32_e32 v9, v38, v22
	v_fmac_f32_e32 v4, v39, v26
	;; [unrolled: 9-line block ×3, first 2 shown]
	s_delay_alu instid0(VALU_DEP_3) | instskip(NEXT) | instid1(VALU_DEP_3)
	v_dual_fmac_f32 v7, v42, v28 :: v_dual_fmac_f32 v8, v45, v25
	v_fmac_f32_e32 v9, v44, v25
	s_delay_alu instid0(VALU_DEP_3) | instskip(NEXT) | instid1(VALU_DEP_3)
	v_fmac_f32_e32 v4, v45, v29
	v_fmac_f32_e32 v7, v44, v29
	s_cbranch_scc0 .LBB19_2
.LBB19_3:
	s_clause 0x1
	s_load_b32 s3, s[0:1], 0x40
	s_load_b64 s[0:1], s[0:1], 0x48
	v_add_nc_u32_e32 v6, s13, v6
	v_add_nc_u32_e32 v0, s12, v5
	s_delay_alu instid0(VALU_DEP_2)
	v_cmp_gt_i32_e32 vcc_lo, s2, v6
	s_waitcnt lgkmcnt(0)
	v_mad_i64_i32 v[1:2], null, v6, s3, 0
	s_mul_i32 s1, s15, s1
	s_mul_hi_u32 s4, s15, s0
	s_mul_i32 s0, s15, s0
	s_add_i32 s1, s4, s1
	s_delay_alu instid0(SALU_CYCLE_1) | instskip(NEXT) | instid1(VALU_DEP_1)
	s_lshl_b64 s[4:5], s[0:1], 2
	v_lshlrev_b64 v[1:2], 2, v[1:2]
	s_add_u32 s4, s6, s4
	v_cmp_le_i32_e64 s0, v0, v6
	s_addc_u32 s5, s7, s5
	s_delay_alu instid0(VALU_DEP_2) | instskip(NEXT) | instid1(VALU_DEP_1)
	v_add_co_u32 v5, s1, s4, v1
	v_add_co_ci_u32_e64 v10, s1, s5, v2, s1
	s_delay_alu instid0(VALU_DEP_3) | instskip(NEXT) | instid1(SALU_CYCLE_1)
	s_and_b32 s0, vcc_lo, s0
	s_and_saveexec_b32 s1, s0
	s_cbranch_execz .LBB19_5
; %bb.4:
	v_ashrrev_i32_e32 v1, 31, v0
	s_delay_alu instid0(VALU_DEP_1) | instskip(NEXT) | instid1(VALU_DEP_1)
	v_lshlrev_b64 v[1:2], 2, v[0:1]
	v_add_co_u32 v1, s0, v5, v1
	s_delay_alu instid0(VALU_DEP_1)
	v_add_co_ci_u32_e64 v2, s0, v10, v2, s0
	global_store_b32 v[1:2], v9, off
.LBB19_5:
	s_or_b32 exec_lo, exec_lo, s1
	v_add_nc_u32_e32 v2, 16, v0
	s_delay_alu instid0(VALU_DEP_1) | instskip(NEXT) | instid1(VALU_DEP_1)
	v_cmp_le_i32_e64 s0, v2, v6
	s_and_b32 s1, vcc_lo, s0
	s_delay_alu instid0(SALU_CYCLE_1)
	s_and_saveexec_b32 s0, s1
	s_cbranch_execz .LBB19_7
; %bb.6:
	v_ashrrev_i32_e32 v3, 31, v2
	s_delay_alu instid0(VALU_DEP_1) | instskip(NEXT) | instid1(VALU_DEP_1)
	v_lshlrev_b64 v[11:12], 2, v[2:3]
	v_add_co_u32 v9, vcc_lo, v5, v11
	s_delay_alu instid0(VALU_DEP_2)
	v_add_co_ci_u32_e32 v10, vcc_lo, v10, v12, vcc_lo
	global_store_b32 v[9:10], v8, off
.LBB19_7:
	s_or_b32 exec_lo, exec_lo, s0
	v_add_nc_u32_e32 v3, 16, v6
	s_delay_alu instid0(VALU_DEP_1) | instskip(SKIP_2) | instid1(VALU_DEP_1)
	v_mad_i64_i32 v[5:6], null, v3, s3, 0
	v_cmp_gt_i32_e32 vcc_lo, s2, v3
	v_cmp_le_i32_e64 s0, v0, v3
	s_and_b32 s0, vcc_lo, s0
	s_delay_alu instid0(VALU_DEP_3) | instskip(NEXT) | instid1(VALU_DEP_1)
	v_lshlrev_b64 v[5:6], 2, v[5:6]
	v_add_co_u32 v5, s1, s4, v5
	s_delay_alu instid0(VALU_DEP_1)
	v_add_co_ci_u32_e64 v6, s1, s5, v6, s1
	s_and_saveexec_b32 s1, s0
	s_cbranch_execz .LBB19_9
; %bb.8:
	v_ashrrev_i32_e32 v1, 31, v0
	s_delay_alu instid0(VALU_DEP_1) | instskip(NEXT) | instid1(VALU_DEP_1)
	v_lshlrev_b64 v[0:1], 2, v[0:1]
	v_add_co_u32 v0, s0, v5, v0
	s_delay_alu instid0(VALU_DEP_1)
	v_add_co_ci_u32_e64 v1, s0, v6, v1, s0
	global_store_b32 v[0:1], v7, off
.LBB19_9:
	s_or_b32 exec_lo, exec_lo, s1
	v_cmp_le_i32_e64 s0, v2, v3
	s_delay_alu instid0(VALU_DEP_1) | instskip(NEXT) | instid1(SALU_CYCLE_1)
	s_and_b32 s0, vcc_lo, s0
	s_and_saveexec_b32 s1, s0
	s_cbranch_execz .LBB19_11
; %bb.10:
	v_ashrrev_i32_e32 v3, 31, v2
	s_delay_alu instid0(VALU_DEP_1) | instskip(NEXT) | instid1(VALU_DEP_1)
	v_lshlrev_b64 v[0:1], 2, v[2:3]
	v_add_co_u32 v0, vcc_lo, v5, v0
	s_delay_alu instid0(VALU_DEP_2)
	v_add_co_ci_u32_e32 v1, vcc_lo, v6, v1, vcc_lo
	global_store_b32 v[0:1], v4, off
.LBB19_11:
	s_nop 0
	s_sendmsg sendmsg(MSG_DEALLOC_VGPRS)
	s_endpgm
	.section	.rodata,"a",@progbits
	.p2align	6, 0x0
	.amdhsa_kernel _ZL37rocblas_syrkx_herkx_restricted_kernelIifLi16ELi32ELi8ELi1ELi0ELb0ELc78ELc85EKffEviT_PT9_S1_lS3_S1_lPT10_S1_li
		.amdhsa_group_segment_fixed_size 2048
		.amdhsa_private_segment_fixed_size 0
		.amdhsa_kernarg_size 84
		.amdhsa_user_sgpr_count 13
		.amdhsa_user_sgpr_dispatch_ptr 0
		.amdhsa_user_sgpr_queue_ptr 0
		.amdhsa_user_sgpr_kernarg_segment_ptr 1
		.amdhsa_user_sgpr_dispatch_id 0
		.amdhsa_user_sgpr_private_segment_size 0
		.amdhsa_wavefront_size32 1
		.amdhsa_uses_dynamic_stack 0
		.amdhsa_enable_private_segment 0
		.amdhsa_system_sgpr_workgroup_id_x 1
		.amdhsa_system_sgpr_workgroup_id_y 1
		.amdhsa_system_sgpr_workgroup_id_z 1
		.amdhsa_system_sgpr_workgroup_info 0
		.amdhsa_system_vgpr_workitem_id 1
		.amdhsa_next_free_vgpr 46
		.amdhsa_next_free_sgpr 23
		.amdhsa_reserve_vcc 1
		.amdhsa_float_round_mode_32 0
		.amdhsa_float_round_mode_16_64 0
		.amdhsa_float_denorm_mode_32 3
		.amdhsa_float_denorm_mode_16_64 3
		.amdhsa_dx10_clamp 1
		.amdhsa_ieee_mode 1
		.amdhsa_fp16_overflow 0
		.amdhsa_workgroup_processor_mode 1
		.amdhsa_memory_ordered 1
		.amdhsa_forward_progress 0
		.amdhsa_shared_vgpr_count 0
		.amdhsa_exception_fp_ieee_invalid_op 0
		.amdhsa_exception_fp_denorm_src 0
		.amdhsa_exception_fp_ieee_div_zero 0
		.amdhsa_exception_fp_ieee_overflow 0
		.amdhsa_exception_fp_ieee_underflow 0
		.amdhsa_exception_fp_ieee_inexact 0
		.amdhsa_exception_int_div_zero 0
	.end_amdhsa_kernel
	.section	.text._ZL37rocblas_syrkx_herkx_restricted_kernelIifLi16ELi32ELi8ELi1ELi0ELb0ELc78ELc85EKffEviT_PT9_S1_lS3_S1_lPT10_S1_li,"axG",@progbits,_ZL37rocblas_syrkx_herkx_restricted_kernelIifLi16ELi32ELi8ELi1ELi0ELb0ELc78ELc85EKffEviT_PT9_S1_lS3_S1_lPT10_S1_li,comdat
.Lfunc_end19:
	.size	_ZL37rocblas_syrkx_herkx_restricted_kernelIifLi16ELi32ELi8ELi1ELi0ELb0ELc78ELc85EKffEviT_PT9_S1_lS3_S1_lPT10_S1_li, .Lfunc_end19-_ZL37rocblas_syrkx_herkx_restricted_kernelIifLi16ELi32ELi8ELi1ELi0ELb0ELc78ELc85EKffEviT_PT9_S1_lS3_S1_lPT10_S1_li
                                        ; -- End function
	.section	.AMDGPU.csdata,"",@progbits
; Kernel info:
; codeLenInByte = 1184
; NumSgprs: 25
; NumVgprs: 46
; ScratchSize: 0
; MemoryBound: 0
; FloatMode: 240
; IeeeMode: 1
; LDSByteSize: 2048 bytes/workgroup (compile time only)
; SGPRBlocks: 3
; VGPRBlocks: 5
; NumSGPRsForWavesPerEU: 25
; NumVGPRsForWavesPerEU: 46
; Occupancy: 16
; WaveLimiterHint : 0
; COMPUTE_PGM_RSRC2:SCRATCH_EN: 0
; COMPUTE_PGM_RSRC2:USER_SGPR: 13
; COMPUTE_PGM_RSRC2:TRAP_HANDLER: 0
; COMPUTE_PGM_RSRC2:TGID_X_EN: 1
; COMPUTE_PGM_RSRC2:TGID_Y_EN: 1
; COMPUTE_PGM_RSRC2:TGID_Z_EN: 1
; COMPUTE_PGM_RSRC2:TIDIG_COMP_CNT: 1
	.section	.text._ZL37rocblas_syrkx_herkx_restricted_kernelIifLi16ELi32ELi8ELin1ELi0ELb0ELc84ELc76EKffEviT_PT9_S1_lS3_S1_lPT10_S1_li,"axG",@progbits,_ZL37rocblas_syrkx_herkx_restricted_kernelIifLi16ELi32ELi8ELin1ELi0ELb0ELc84ELc76EKffEviT_PT9_S1_lS3_S1_lPT10_S1_li,comdat
	.globl	_ZL37rocblas_syrkx_herkx_restricted_kernelIifLi16ELi32ELi8ELin1ELi0ELb0ELc84ELc76EKffEviT_PT9_S1_lS3_S1_lPT10_S1_li ; -- Begin function _ZL37rocblas_syrkx_herkx_restricted_kernelIifLi16ELi32ELi8ELin1ELi0ELb0ELc84ELc76EKffEviT_PT9_S1_lS3_S1_lPT10_S1_li
	.p2align	8
	.type	_ZL37rocblas_syrkx_herkx_restricted_kernelIifLi16ELi32ELi8ELin1ELi0ELb0ELc84ELc76EKffEviT_PT9_S1_lS3_S1_lPT10_S1_li,@function
_ZL37rocblas_syrkx_herkx_restricted_kernelIifLi16ELi32ELi8ELin1ELi0ELb0ELc84ELc76EKffEviT_PT9_S1_lS3_S1_lPT10_S1_li: ; @_ZL37rocblas_syrkx_herkx_restricted_kernelIifLi16ELi32ELi8ELin1ELi0ELb0ELc84ELc76EKffEviT_PT9_S1_lS3_S1_lPT10_S1_li
; %bb.0:
	s_clause 0x1
	s_load_b64 s[2:3], s[0:1], 0x0
	s_load_b128 s[4:7], s[0:1], 0x30
	v_dual_mov_b32 v9, 0 :: v_dual_and_b32 v6, 0x3ff, v0
	v_bfe_u32 v7, v0, 10, 10
	v_dual_mov_b32 v8, 0 :: v_dual_mov_b32 v1, 0
	v_mov_b32_e32 v0, 0
	s_lshl_b32 s12, s13, 5
	s_lshl_b32 s13, s14, 5
	s_mov_b32 s14, 0
	s_waitcnt lgkmcnt(0)
	s_cmp_lt_i32 s3, 1
	s_cbranch_scc1 .LBB20_3
; %bb.1:
	s_clause 0x3
	s_load_b32 s18, s[0:1], 0x10
	s_load_b128 s[8:11], s[0:1], 0x18
	s_load_b64 s[16:17], s[0:1], 0x8
	s_load_b32 s19, s[0:1], 0x28
	v_lshl_add_u32 v2, v7, 4, v6
	v_dual_mov_b32 v1, 0 :: v_dual_and_b32 v0, 7, v6
	v_lshlrev_b32_e32 v10, 2, v6
	s_mul_i32 s5, s5, s15
	s_delay_alu instid0(VALU_DEP_3) | instskip(SKIP_3) | instid1(VALU_DEP_4)
	v_lshrrev_b32_e32 v4, 3, v2
	v_and_b32_e32 v5, 31, v2
	v_lshlrev_b32_e32 v3, 2, v0
	v_lshrrev_b32_e32 v2, 5, v2
	v_add_nc_u32_e32 v14, s13, v4
	s_delay_alu instid0(VALU_DEP_4) | instskip(NEXT) | instid1(VALU_DEP_4)
	v_add_nc_u32_e32 v13, s12, v5
	v_lshl_or_b32 v9, v4, 5, v3
	v_dual_mov_b32 v3, v1 :: v_dual_lshlrev_b32 v8, 2, v5
	s_delay_alu instid0(VALU_DEP_2) | instskip(SKIP_1) | instid1(VALU_DEP_2)
	v_add_nc_u32_e32 v12, 0x400, v9
	s_waitcnt lgkmcnt(0)
	v_mad_i64_i32 v[4:5], null, s18, v13, v[2:3]
	s_delay_alu instid0(VALU_DEP_3)
	v_lshl_or_b32 v11, v2, 7, v8
	s_mul_i32 s9, s9, s15
	s_mul_hi_u32 s18, s8, s15
	v_mad_i64_i32 v[2:3], null, s19, v14, v[0:1]
	s_mul_i32 s8, s8, s15
	s_add_i32 s9, s18, s9
	s_delay_alu instid0(VALU_DEP_3)
	v_lshlrev_b64 v[4:5], 2, v[4:5]
	s_lshl_b64 s[8:9], s[8:9], 2
	v_lshl_add_u32 v13, v7, 5, 0x400
	s_add_u32 s8, s16, s8
	s_mul_hi_u32 s16, s4, s15
	s_addc_u32 s9, s17, s9
	s_add_i32 s5, s16, s5
	s_mul_i32 s4, s4, s15
	v_lshlrev_b64 v[8:9], 2, v[2:3]
	s_lshl_b64 s[4:5], s[4:5], 2
	v_add_co_u32 v2, vcc_lo, s8, v4
	s_add_u32 s4, s10, s4
	v_add_co_ci_u32_e32 v3, vcc_lo, s9, v5, vcc_lo
	s_addc_u32 s5, s11, s5
	v_add_co_u32 v4, vcc_lo, s4, v8
	v_add_co_ci_u32_e32 v5, vcc_lo, s5, v9, vcc_lo
	v_mov_b32_e32 v9, v1
	v_mov_b32_e32 v0, v1
	;; [unrolled: 1-line block ×3, first 2 shown]
.LBB20_2:                               ; =>This Inner Loop Header: Depth=1
	global_load_b32 v14, v[2:3], off
	global_load_b32 v15, v[4:5], off
	v_add_co_u32 v2, vcc_lo, v2, 32
	v_add_co_ci_u32_e32 v3, vcc_lo, 0, v3, vcc_lo
	v_add_co_u32 v4, vcc_lo, v4, 32
	v_add_co_ci_u32_e32 v5, vcc_lo, 0, v5, vcc_lo
	s_add_i32 s14, s14, 8
	s_waitcnt vmcnt(1)
	ds_store_b32 v11, v14
	s_waitcnt vmcnt(0)
	ds_store_b32 v12, v15
	s_waitcnt lgkmcnt(0)
	s_barrier
	buffer_gl0_inv
	ds_load_2addr_b32 v[30:31], v10 offset1:16
	ds_load_b128 v[14:17], v13
	ds_load_b128 v[18:21], v13 offset:512
	ds_load_2addr_b32 v[32:33], v10 offset0:32 offset1:48
	ds_load_2addr_b32 v[34:35], v10 offset0:64 offset1:80
	ds_load_b128 v[22:25], v13 offset:16
	ds_load_2addr_b32 v[36:37], v10 offset0:96 offset1:112
	ds_load_2addr_b32 v[38:39], v10 offset0:128 offset1:144
	;; [unrolled: 3-line block ×3, first 2 shown]
	ds_load_2addr_b32 v[44:45], v10 offset0:224 offset1:240
	s_cmp_ge_i32 s14, s3
	s_waitcnt lgkmcnt(0)
	s_barrier
	buffer_gl0_inv
	v_fmac_f32_e32 v8, v31, v14
	v_fmac_f32_e32 v9, v30, v14
	;; [unrolled: 1-line block ×4, first 2 shown]
	s_delay_alu instid0(VALU_DEP_4) | instskip(NEXT) | instid1(VALU_DEP_4)
	v_fmac_f32_e32 v8, v33, v15
	v_fmac_f32_e32 v9, v32, v15
	s_delay_alu instid0(VALU_DEP_4) | instskip(NEXT) | instid1(VALU_DEP_4)
	v_fmac_f32_e32 v1, v33, v19
	v_fmac_f32_e32 v0, v32, v19
	;; [unrolled: 3-line block ×14, first 2 shown]
	s_cbranch_scc0 .LBB20_2
.LBB20_3:
	s_clause 0x1
	s_load_b32 s3, s[0:1], 0x40
	s_load_b64 s[4:5], s[0:1], 0x48
	v_add_nc_u32_e32 v7, s13, v7
	v_add_nc_u32_e32 v2, s12, v6
	s_delay_alu instid0(VALU_DEP_1)
	v_cmp_le_i32_e64 s0, v7, v2
	v_cmp_gt_i32_e32 vcc_lo, s2, v2
	s_waitcnt lgkmcnt(0)
	v_mad_i64_i32 v[3:4], null, v7, s3, 0
	s_mul_i32 s1, s15, s5
	s_mul_hi_u32 s5, s15, s4
	s_mul_i32 s4, s15, s4
	s_add_i32 s5, s5, s1
	s_delay_alu instid0(SALU_CYCLE_1) | instskip(NEXT) | instid1(VALU_DEP_1)
	s_lshl_b64 s[4:5], s[4:5], 2
	v_lshlrev_b64 v[3:4], 2, v[3:4]
	s_add_u32 s4, s6, s4
	s_addc_u32 s5, s7, s5
	s_and_b32 s0, s0, vcc_lo
	s_delay_alu instid0(VALU_DEP_1) | instskip(NEXT) | instid1(VALU_DEP_1)
	v_add_co_u32 v6, s1, s4, v3
	v_add_co_ci_u32_e64 v10, s1, s5, v4, s1
	s_and_saveexec_b32 s1, s0
	s_cbranch_execz .LBB20_5
; %bb.4:
	v_ashrrev_i32_e32 v3, 31, v2
	v_xor_b32_e32 v5, 0x80000000, v9
	s_delay_alu instid0(VALU_DEP_2) | instskip(NEXT) | instid1(VALU_DEP_1)
	v_lshlrev_b64 v[3:4], 2, v[2:3]
	v_add_co_u32 v3, s0, v6, v3
	s_delay_alu instid0(VALU_DEP_1)
	v_add_co_ci_u32_e64 v4, s0, v10, v4, s0
	global_store_b32 v[3:4], v5, off
.LBB20_5:
	s_or_b32 exec_lo, exec_lo, s1
	v_add_nc_u32_e32 v4, 16, v2
	s_delay_alu instid0(VALU_DEP_1) | instskip(SKIP_1) | instid1(VALU_DEP_1)
	v_cmp_le_i32_e64 s1, v7, v4
	v_cmp_gt_i32_e64 s0, s2, v4
	s_and_b32 s1, s1, s0
	s_delay_alu instid0(SALU_CYCLE_1)
	s_and_saveexec_b32 s2, s1
	s_cbranch_execz .LBB20_7
; %bb.6:
	v_ashrrev_i32_e32 v5, 31, v4
	v_xor_b32_e32 v3, 0x80000000, v8
	s_delay_alu instid0(VALU_DEP_2) | instskip(NEXT) | instid1(VALU_DEP_1)
	v_lshlrev_b64 v[11:12], 2, v[4:5]
	v_add_co_u32 v5, s1, v6, v11
	s_delay_alu instid0(VALU_DEP_1)
	v_add_co_ci_u32_e64 v6, s1, v10, v12, s1
	global_store_b32 v[5:6], v3, off
.LBB20_7:
	s_or_b32 exec_lo, exec_lo, s2
	v_add_nc_u32_e32 v5, 16, v7
	s_delay_alu instid0(VALU_DEP_1) | instskip(SKIP_1) | instid1(VALU_DEP_2)
	v_mad_i64_i32 v[6:7], null, v5, s3, 0
	v_cmp_le_i32_e64 s1, v5, v2
	v_lshlrev_b64 v[6:7], 2, v[6:7]
	s_delay_alu instid0(VALU_DEP_1) | instskip(NEXT) | instid1(VALU_DEP_1)
	v_add_co_u32 v6, s2, s4, v6
	v_add_co_ci_u32_e64 v7, s2, s5, v7, s2
	s_delay_alu instid0(VALU_DEP_4) | instskip(NEXT) | instid1(SALU_CYCLE_1)
	s_and_b32 s2, s1, vcc_lo
	s_and_saveexec_b32 s1, s2
	s_cbranch_execz .LBB20_9
; %bb.8:
	v_ashrrev_i32_e32 v3, 31, v2
	v_xor_b32_e32 v0, 0x80000000, v0
	s_delay_alu instid0(VALU_DEP_2) | instskip(NEXT) | instid1(VALU_DEP_1)
	v_lshlrev_b64 v[2:3], 2, v[2:3]
	v_add_co_u32 v2, vcc_lo, v6, v2
	s_delay_alu instid0(VALU_DEP_2)
	v_add_co_ci_u32_e32 v3, vcc_lo, v7, v3, vcc_lo
	global_store_b32 v[2:3], v0, off
.LBB20_9:
	s_or_b32 exec_lo, exec_lo, s1
	v_cmp_le_i32_e32 vcc_lo, v5, v4
	s_and_b32 s0, vcc_lo, s0
	s_delay_alu instid0(SALU_CYCLE_1)
	s_and_saveexec_b32 s1, s0
	s_cbranch_execz .LBB20_11
; %bb.10:
	v_ashrrev_i32_e32 v5, 31, v4
	s_delay_alu instid0(VALU_DEP_1) | instskip(SKIP_1) | instid1(VALU_DEP_2)
	v_lshlrev_b64 v[2:3], 2, v[4:5]
	v_xor_b32_e32 v4, 0x80000000, v1
	v_add_co_u32 v0, vcc_lo, v6, v2
	s_delay_alu instid0(VALU_DEP_3)
	v_add_co_ci_u32_e32 v1, vcc_lo, v7, v3, vcc_lo
	global_store_b32 v[0:1], v4, off
.LBB20_11:
	s_nop 0
	s_sendmsg sendmsg(MSG_DEALLOC_VGPRS)
	s_endpgm
	.section	.rodata,"a",@progbits
	.p2align	6, 0x0
	.amdhsa_kernel _ZL37rocblas_syrkx_herkx_restricted_kernelIifLi16ELi32ELi8ELin1ELi0ELb0ELc84ELc76EKffEviT_PT9_S1_lS3_S1_lPT10_S1_li
		.amdhsa_group_segment_fixed_size 2048
		.amdhsa_private_segment_fixed_size 0
		.amdhsa_kernarg_size 84
		.amdhsa_user_sgpr_count 13
		.amdhsa_user_sgpr_dispatch_ptr 0
		.amdhsa_user_sgpr_queue_ptr 0
		.amdhsa_user_sgpr_kernarg_segment_ptr 1
		.amdhsa_user_sgpr_dispatch_id 0
		.amdhsa_user_sgpr_private_segment_size 0
		.amdhsa_wavefront_size32 1
		.amdhsa_uses_dynamic_stack 0
		.amdhsa_enable_private_segment 0
		.amdhsa_system_sgpr_workgroup_id_x 1
		.amdhsa_system_sgpr_workgroup_id_y 1
		.amdhsa_system_sgpr_workgroup_id_z 1
		.amdhsa_system_sgpr_workgroup_info 0
		.amdhsa_system_vgpr_workitem_id 1
		.amdhsa_next_free_vgpr 46
		.amdhsa_next_free_sgpr 20
		.amdhsa_reserve_vcc 1
		.amdhsa_float_round_mode_32 0
		.amdhsa_float_round_mode_16_64 0
		.amdhsa_float_denorm_mode_32 3
		.amdhsa_float_denorm_mode_16_64 3
		.amdhsa_dx10_clamp 1
		.amdhsa_ieee_mode 1
		.amdhsa_fp16_overflow 0
		.amdhsa_workgroup_processor_mode 1
		.amdhsa_memory_ordered 1
		.amdhsa_forward_progress 0
		.amdhsa_shared_vgpr_count 0
		.amdhsa_exception_fp_ieee_invalid_op 0
		.amdhsa_exception_fp_denorm_src 0
		.amdhsa_exception_fp_ieee_div_zero 0
		.amdhsa_exception_fp_ieee_overflow 0
		.amdhsa_exception_fp_ieee_underflow 0
		.amdhsa_exception_fp_ieee_inexact 0
		.amdhsa_exception_int_div_zero 0
	.end_amdhsa_kernel
	.section	.text._ZL37rocblas_syrkx_herkx_restricted_kernelIifLi16ELi32ELi8ELin1ELi0ELb0ELc84ELc76EKffEviT_PT9_S1_lS3_S1_lPT10_S1_li,"axG",@progbits,_ZL37rocblas_syrkx_herkx_restricted_kernelIifLi16ELi32ELi8ELin1ELi0ELb0ELc84ELc76EKffEviT_PT9_S1_lS3_S1_lPT10_S1_li,comdat
.Lfunc_end20:
	.size	_ZL37rocblas_syrkx_herkx_restricted_kernelIifLi16ELi32ELi8ELin1ELi0ELb0ELc84ELc76EKffEviT_PT9_S1_lS3_S1_lPT10_S1_li, .Lfunc_end20-_ZL37rocblas_syrkx_herkx_restricted_kernelIifLi16ELi32ELi8ELin1ELi0ELb0ELc84ELc76EKffEviT_PT9_S1_lS3_S1_lPT10_S1_li
                                        ; -- End function
	.section	.AMDGPU.csdata,"",@progbits
; Kernel info:
; codeLenInByte = 1216
; NumSgprs: 22
; NumVgprs: 46
; ScratchSize: 0
; MemoryBound: 0
; FloatMode: 240
; IeeeMode: 1
; LDSByteSize: 2048 bytes/workgroup (compile time only)
; SGPRBlocks: 2
; VGPRBlocks: 5
; NumSGPRsForWavesPerEU: 22
; NumVGPRsForWavesPerEU: 46
; Occupancy: 16
; WaveLimiterHint : 0
; COMPUTE_PGM_RSRC2:SCRATCH_EN: 0
; COMPUTE_PGM_RSRC2:USER_SGPR: 13
; COMPUTE_PGM_RSRC2:TRAP_HANDLER: 0
; COMPUTE_PGM_RSRC2:TGID_X_EN: 1
; COMPUTE_PGM_RSRC2:TGID_Y_EN: 1
; COMPUTE_PGM_RSRC2:TGID_Z_EN: 1
; COMPUTE_PGM_RSRC2:TIDIG_COMP_CNT: 1
	.section	.text._ZL37rocblas_syrkx_herkx_restricted_kernelIifLi16ELi32ELi8ELin1ELi0ELb0ELc67ELc76EKffEviT_PT9_S1_lS3_S1_lPT10_S1_li,"axG",@progbits,_ZL37rocblas_syrkx_herkx_restricted_kernelIifLi16ELi32ELi8ELin1ELi0ELb0ELc67ELc76EKffEviT_PT9_S1_lS3_S1_lPT10_S1_li,comdat
	.globl	_ZL37rocblas_syrkx_herkx_restricted_kernelIifLi16ELi32ELi8ELin1ELi0ELb0ELc67ELc76EKffEviT_PT9_S1_lS3_S1_lPT10_S1_li ; -- Begin function _ZL37rocblas_syrkx_herkx_restricted_kernelIifLi16ELi32ELi8ELin1ELi0ELb0ELc67ELc76EKffEviT_PT9_S1_lS3_S1_lPT10_S1_li
	.p2align	8
	.type	_ZL37rocblas_syrkx_herkx_restricted_kernelIifLi16ELi32ELi8ELin1ELi0ELb0ELc67ELc76EKffEviT_PT9_S1_lS3_S1_lPT10_S1_li,@function
_ZL37rocblas_syrkx_herkx_restricted_kernelIifLi16ELi32ELi8ELin1ELi0ELb0ELc67ELc76EKffEviT_PT9_S1_lS3_S1_lPT10_S1_li: ; @_ZL37rocblas_syrkx_herkx_restricted_kernelIifLi16ELi32ELi8ELin1ELi0ELb0ELc67ELc76EKffEviT_PT9_S1_lS3_S1_lPT10_S1_li
; %bb.0:
	s_clause 0x1
	s_load_b64 s[2:3], s[0:1], 0x0
	s_load_b128 s[4:7], s[0:1], 0x30
	v_dual_mov_b32 v9, 0 :: v_dual_and_b32 v6, 0x3ff, v0
	v_bfe_u32 v7, v0, 10, 10
	v_dual_mov_b32 v8, 0 :: v_dual_mov_b32 v1, 0
	v_mov_b32_e32 v0, 0
	s_lshl_b32 s12, s13, 5
	s_lshl_b32 s13, s14, 5
	s_mov_b32 s14, 0
	s_waitcnt lgkmcnt(0)
	s_cmp_lt_i32 s3, 1
	s_cbranch_scc1 .LBB21_3
; %bb.1:
	s_clause 0x3
	s_load_b32 s18, s[0:1], 0x10
	s_load_b128 s[8:11], s[0:1], 0x18
	s_load_b64 s[16:17], s[0:1], 0x8
	s_load_b32 s19, s[0:1], 0x28
	v_lshl_add_u32 v2, v7, 4, v6
	v_dual_mov_b32 v1, 0 :: v_dual_and_b32 v0, 7, v6
	v_lshlrev_b32_e32 v10, 2, v6
	s_mul_i32 s5, s5, s15
	s_delay_alu instid0(VALU_DEP_3) | instskip(SKIP_3) | instid1(VALU_DEP_4)
	v_lshrrev_b32_e32 v4, 3, v2
	v_and_b32_e32 v5, 31, v2
	v_lshlrev_b32_e32 v3, 2, v0
	v_lshrrev_b32_e32 v2, 5, v2
	v_add_nc_u32_e32 v14, s13, v4
	s_delay_alu instid0(VALU_DEP_4) | instskip(NEXT) | instid1(VALU_DEP_4)
	v_add_nc_u32_e32 v13, s12, v5
	v_lshl_or_b32 v9, v4, 5, v3
	v_dual_mov_b32 v3, v1 :: v_dual_lshlrev_b32 v8, 2, v5
	s_delay_alu instid0(VALU_DEP_2) | instskip(SKIP_1) | instid1(VALU_DEP_2)
	v_add_nc_u32_e32 v12, 0x400, v9
	s_waitcnt lgkmcnt(0)
	v_mad_i64_i32 v[4:5], null, s18, v13, v[2:3]
	s_delay_alu instid0(VALU_DEP_3)
	v_lshl_or_b32 v11, v2, 7, v8
	s_mul_i32 s9, s9, s15
	s_mul_hi_u32 s18, s8, s15
	v_mad_i64_i32 v[2:3], null, s19, v14, v[0:1]
	s_mul_i32 s8, s8, s15
	s_add_i32 s9, s18, s9
	s_delay_alu instid0(VALU_DEP_3)
	v_lshlrev_b64 v[4:5], 2, v[4:5]
	s_lshl_b64 s[8:9], s[8:9], 2
	v_lshl_add_u32 v13, v7, 5, 0x400
	s_add_u32 s8, s16, s8
	s_mul_hi_u32 s16, s4, s15
	s_addc_u32 s9, s17, s9
	s_add_i32 s5, s16, s5
	s_mul_i32 s4, s4, s15
	v_lshlrev_b64 v[8:9], 2, v[2:3]
	s_lshl_b64 s[4:5], s[4:5], 2
	v_add_co_u32 v2, vcc_lo, s8, v4
	s_add_u32 s4, s10, s4
	v_add_co_ci_u32_e32 v3, vcc_lo, s9, v5, vcc_lo
	s_addc_u32 s5, s11, s5
	v_add_co_u32 v4, vcc_lo, s4, v8
	v_add_co_ci_u32_e32 v5, vcc_lo, s5, v9, vcc_lo
	v_mov_b32_e32 v9, v1
	v_mov_b32_e32 v0, v1
	;; [unrolled: 1-line block ×3, first 2 shown]
.LBB21_2:                               ; =>This Inner Loop Header: Depth=1
	global_load_b32 v14, v[2:3], off
	global_load_b32 v15, v[4:5], off
	v_add_co_u32 v2, vcc_lo, v2, 32
	v_add_co_ci_u32_e32 v3, vcc_lo, 0, v3, vcc_lo
	v_add_co_u32 v4, vcc_lo, v4, 32
	v_add_co_ci_u32_e32 v5, vcc_lo, 0, v5, vcc_lo
	s_add_i32 s14, s14, 8
	s_waitcnt vmcnt(1)
	ds_store_b32 v11, v14
	s_waitcnt vmcnt(0)
	ds_store_b32 v12, v15
	s_waitcnt lgkmcnt(0)
	s_barrier
	buffer_gl0_inv
	ds_load_2addr_b32 v[30:31], v10 offset1:16
	ds_load_b128 v[14:17], v13
	ds_load_b128 v[18:21], v13 offset:512
	ds_load_2addr_b32 v[32:33], v10 offset0:32 offset1:48
	ds_load_2addr_b32 v[34:35], v10 offset0:64 offset1:80
	ds_load_b128 v[22:25], v13 offset:16
	ds_load_2addr_b32 v[36:37], v10 offset0:96 offset1:112
	ds_load_2addr_b32 v[38:39], v10 offset0:128 offset1:144
	;; [unrolled: 3-line block ×3, first 2 shown]
	ds_load_2addr_b32 v[44:45], v10 offset0:224 offset1:240
	s_cmp_ge_i32 s14, s3
	s_waitcnt lgkmcnt(0)
	s_barrier
	buffer_gl0_inv
	v_fmac_f32_e32 v8, v31, v14
	v_fmac_f32_e32 v9, v30, v14
	;; [unrolled: 1-line block ×4, first 2 shown]
	s_delay_alu instid0(VALU_DEP_4) | instskip(NEXT) | instid1(VALU_DEP_4)
	v_fmac_f32_e32 v8, v33, v15
	v_fmac_f32_e32 v9, v32, v15
	s_delay_alu instid0(VALU_DEP_4) | instskip(NEXT) | instid1(VALU_DEP_4)
	v_fmac_f32_e32 v1, v33, v19
	v_fmac_f32_e32 v0, v32, v19
	;; [unrolled: 3-line block ×14, first 2 shown]
	s_cbranch_scc0 .LBB21_2
.LBB21_3:
	s_clause 0x1
	s_load_b32 s3, s[0:1], 0x40
	s_load_b64 s[4:5], s[0:1], 0x48
	v_add_nc_u32_e32 v7, s13, v7
	v_add_nc_u32_e32 v2, s12, v6
	s_delay_alu instid0(VALU_DEP_1)
	v_cmp_le_i32_e64 s0, v7, v2
	v_cmp_gt_i32_e32 vcc_lo, s2, v2
	s_waitcnt lgkmcnt(0)
	v_mad_i64_i32 v[3:4], null, v7, s3, 0
	s_mul_i32 s1, s15, s5
	s_mul_hi_u32 s5, s15, s4
	s_mul_i32 s4, s15, s4
	s_add_i32 s5, s5, s1
	s_delay_alu instid0(SALU_CYCLE_1) | instskip(NEXT) | instid1(VALU_DEP_1)
	s_lshl_b64 s[4:5], s[4:5], 2
	v_lshlrev_b64 v[3:4], 2, v[3:4]
	s_add_u32 s4, s6, s4
	s_addc_u32 s5, s7, s5
	s_and_b32 s0, s0, vcc_lo
	s_delay_alu instid0(VALU_DEP_1) | instskip(NEXT) | instid1(VALU_DEP_1)
	v_add_co_u32 v6, s1, s4, v3
	v_add_co_ci_u32_e64 v10, s1, s5, v4, s1
	s_and_saveexec_b32 s1, s0
	s_cbranch_execz .LBB21_5
; %bb.4:
	v_ashrrev_i32_e32 v3, 31, v2
	v_xor_b32_e32 v5, 0x80000000, v9
	s_delay_alu instid0(VALU_DEP_2) | instskip(NEXT) | instid1(VALU_DEP_1)
	v_lshlrev_b64 v[3:4], 2, v[2:3]
	v_add_co_u32 v3, s0, v6, v3
	s_delay_alu instid0(VALU_DEP_1)
	v_add_co_ci_u32_e64 v4, s0, v10, v4, s0
	global_store_b32 v[3:4], v5, off
.LBB21_5:
	s_or_b32 exec_lo, exec_lo, s1
	v_add_nc_u32_e32 v4, 16, v2
	s_delay_alu instid0(VALU_DEP_1) | instskip(SKIP_1) | instid1(VALU_DEP_1)
	v_cmp_le_i32_e64 s1, v7, v4
	v_cmp_gt_i32_e64 s0, s2, v4
	s_and_b32 s1, s1, s0
	s_delay_alu instid0(SALU_CYCLE_1)
	s_and_saveexec_b32 s2, s1
	s_cbranch_execz .LBB21_7
; %bb.6:
	v_ashrrev_i32_e32 v5, 31, v4
	v_xor_b32_e32 v3, 0x80000000, v8
	s_delay_alu instid0(VALU_DEP_2) | instskip(NEXT) | instid1(VALU_DEP_1)
	v_lshlrev_b64 v[11:12], 2, v[4:5]
	v_add_co_u32 v5, s1, v6, v11
	s_delay_alu instid0(VALU_DEP_1)
	v_add_co_ci_u32_e64 v6, s1, v10, v12, s1
	global_store_b32 v[5:6], v3, off
.LBB21_7:
	s_or_b32 exec_lo, exec_lo, s2
	v_add_nc_u32_e32 v5, 16, v7
	s_delay_alu instid0(VALU_DEP_1) | instskip(SKIP_1) | instid1(VALU_DEP_2)
	v_mad_i64_i32 v[6:7], null, v5, s3, 0
	v_cmp_le_i32_e64 s1, v5, v2
	v_lshlrev_b64 v[6:7], 2, v[6:7]
	s_delay_alu instid0(VALU_DEP_1) | instskip(NEXT) | instid1(VALU_DEP_1)
	v_add_co_u32 v6, s2, s4, v6
	v_add_co_ci_u32_e64 v7, s2, s5, v7, s2
	s_delay_alu instid0(VALU_DEP_4) | instskip(NEXT) | instid1(SALU_CYCLE_1)
	s_and_b32 s2, s1, vcc_lo
	s_and_saveexec_b32 s1, s2
	s_cbranch_execz .LBB21_9
; %bb.8:
	v_ashrrev_i32_e32 v3, 31, v2
	v_xor_b32_e32 v0, 0x80000000, v0
	s_delay_alu instid0(VALU_DEP_2) | instskip(NEXT) | instid1(VALU_DEP_1)
	v_lshlrev_b64 v[2:3], 2, v[2:3]
	v_add_co_u32 v2, vcc_lo, v6, v2
	s_delay_alu instid0(VALU_DEP_2)
	v_add_co_ci_u32_e32 v3, vcc_lo, v7, v3, vcc_lo
	global_store_b32 v[2:3], v0, off
.LBB21_9:
	s_or_b32 exec_lo, exec_lo, s1
	v_cmp_le_i32_e32 vcc_lo, v5, v4
	s_and_b32 s0, vcc_lo, s0
	s_delay_alu instid0(SALU_CYCLE_1)
	s_and_saveexec_b32 s1, s0
	s_cbranch_execz .LBB21_11
; %bb.10:
	v_ashrrev_i32_e32 v5, 31, v4
	s_delay_alu instid0(VALU_DEP_1) | instskip(SKIP_1) | instid1(VALU_DEP_2)
	v_lshlrev_b64 v[2:3], 2, v[4:5]
	v_xor_b32_e32 v4, 0x80000000, v1
	v_add_co_u32 v0, vcc_lo, v6, v2
	s_delay_alu instid0(VALU_DEP_3)
	v_add_co_ci_u32_e32 v1, vcc_lo, v7, v3, vcc_lo
	global_store_b32 v[0:1], v4, off
.LBB21_11:
	s_nop 0
	s_sendmsg sendmsg(MSG_DEALLOC_VGPRS)
	s_endpgm
	.section	.rodata,"a",@progbits
	.p2align	6, 0x0
	.amdhsa_kernel _ZL37rocblas_syrkx_herkx_restricted_kernelIifLi16ELi32ELi8ELin1ELi0ELb0ELc67ELc76EKffEviT_PT9_S1_lS3_S1_lPT10_S1_li
		.amdhsa_group_segment_fixed_size 2048
		.amdhsa_private_segment_fixed_size 0
		.amdhsa_kernarg_size 84
		.amdhsa_user_sgpr_count 13
		.amdhsa_user_sgpr_dispatch_ptr 0
		.amdhsa_user_sgpr_queue_ptr 0
		.amdhsa_user_sgpr_kernarg_segment_ptr 1
		.amdhsa_user_sgpr_dispatch_id 0
		.amdhsa_user_sgpr_private_segment_size 0
		.amdhsa_wavefront_size32 1
		.amdhsa_uses_dynamic_stack 0
		.amdhsa_enable_private_segment 0
		.amdhsa_system_sgpr_workgroup_id_x 1
		.amdhsa_system_sgpr_workgroup_id_y 1
		.amdhsa_system_sgpr_workgroup_id_z 1
		.amdhsa_system_sgpr_workgroup_info 0
		.amdhsa_system_vgpr_workitem_id 1
		.amdhsa_next_free_vgpr 46
		.amdhsa_next_free_sgpr 20
		.amdhsa_reserve_vcc 1
		.amdhsa_float_round_mode_32 0
		.amdhsa_float_round_mode_16_64 0
		.amdhsa_float_denorm_mode_32 3
		.amdhsa_float_denorm_mode_16_64 3
		.amdhsa_dx10_clamp 1
		.amdhsa_ieee_mode 1
		.amdhsa_fp16_overflow 0
		.amdhsa_workgroup_processor_mode 1
		.amdhsa_memory_ordered 1
		.amdhsa_forward_progress 0
		.amdhsa_shared_vgpr_count 0
		.amdhsa_exception_fp_ieee_invalid_op 0
		.amdhsa_exception_fp_denorm_src 0
		.amdhsa_exception_fp_ieee_div_zero 0
		.amdhsa_exception_fp_ieee_overflow 0
		.amdhsa_exception_fp_ieee_underflow 0
		.amdhsa_exception_fp_ieee_inexact 0
		.amdhsa_exception_int_div_zero 0
	.end_amdhsa_kernel
	.section	.text._ZL37rocblas_syrkx_herkx_restricted_kernelIifLi16ELi32ELi8ELin1ELi0ELb0ELc67ELc76EKffEviT_PT9_S1_lS3_S1_lPT10_S1_li,"axG",@progbits,_ZL37rocblas_syrkx_herkx_restricted_kernelIifLi16ELi32ELi8ELin1ELi0ELb0ELc67ELc76EKffEviT_PT9_S1_lS3_S1_lPT10_S1_li,comdat
.Lfunc_end21:
	.size	_ZL37rocblas_syrkx_herkx_restricted_kernelIifLi16ELi32ELi8ELin1ELi0ELb0ELc67ELc76EKffEviT_PT9_S1_lS3_S1_lPT10_S1_li, .Lfunc_end21-_ZL37rocblas_syrkx_herkx_restricted_kernelIifLi16ELi32ELi8ELin1ELi0ELb0ELc67ELc76EKffEviT_PT9_S1_lS3_S1_lPT10_S1_li
                                        ; -- End function
	.section	.AMDGPU.csdata,"",@progbits
; Kernel info:
; codeLenInByte = 1216
; NumSgprs: 22
; NumVgprs: 46
; ScratchSize: 0
; MemoryBound: 0
; FloatMode: 240
; IeeeMode: 1
; LDSByteSize: 2048 bytes/workgroup (compile time only)
; SGPRBlocks: 2
; VGPRBlocks: 5
; NumSGPRsForWavesPerEU: 22
; NumVGPRsForWavesPerEU: 46
; Occupancy: 16
; WaveLimiterHint : 0
; COMPUTE_PGM_RSRC2:SCRATCH_EN: 0
; COMPUTE_PGM_RSRC2:USER_SGPR: 13
; COMPUTE_PGM_RSRC2:TRAP_HANDLER: 0
; COMPUTE_PGM_RSRC2:TGID_X_EN: 1
; COMPUTE_PGM_RSRC2:TGID_Y_EN: 1
; COMPUTE_PGM_RSRC2:TGID_Z_EN: 1
; COMPUTE_PGM_RSRC2:TIDIG_COMP_CNT: 1
	.section	.text._ZL37rocblas_syrkx_herkx_restricted_kernelIifLi16ELi32ELi8ELin1ELi0ELb0ELc78ELc76EKffEviT_PT9_S1_lS3_S1_lPT10_S1_li,"axG",@progbits,_ZL37rocblas_syrkx_herkx_restricted_kernelIifLi16ELi32ELi8ELin1ELi0ELb0ELc78ELc76EKffEviT_PT9_S1_lS3_S1_lPT10_S1_li,comdat
	.globl	_ZL37rocblas_syrkx_herkx_restricted_kernelIifLi16ELi32ELi8ELin1ELi0ELb0ELc78ELc76EKffEviT_PT9_S1_lS3_S1_lPT10_S1_li ; -- Begin function _ZL37rocblas_syrkx_herkx_restricted_kernelIifLi16ELi32ELi8ELin1ELi0ELb0ELc78ELc76EKffEviT_PT9_S1_lS3_S1_lPT10_S1_li
	.p2align	8
	.type	_ZL37rocblas_syrkx_herkx_restricted_kernelIifLi16ELi32ELi8ELin1ELi0ELb0ELc78ELc76EKffEviT_PT9_S1_lS3_S1_lPT10_S1_li,@function
_ZL37rocblas_syrkx_herkx_restricted_kernelIifLi16ELi32ELi8ELin1ELi0ELb0ELc78ELc76EKffEviT_PT9_S1_lS3_S1_lPT10_S1_li: ; @_ZL37rocblas_syrkx_herkx_restricted_kernelIifLi16ELi32ELi8ELin1ELi0ELb0ELc78ELc76EKffEviT_PT9_S1_lS3_S1_lPT10_S1_li
; %bb.0:
	s_clause 0x1
	s_load_b64 s[2:3], s[0:1], 0x0
	s_load_b128 s[4:7], s[0:1], 0x30
	v_dual_mov_b32 v8, 0 :: v_dual_and_b32 v5, 0x3ff, v0
	v_bfe_u32 v6, v0, 10, 10
	v_dual_mov_b32 v9, 0 :: v_dual_mov_b32 v4, 0
	v_mov_b32_e32 v7, 0
	s_lshl_b32 s12, s13, 5
	s_lshl_b32 s13, s14, 5
	s_mov_b32 s14, 0
	s_waitcnt lgkmcnt(0)
	s_cmp_lt_i32 s3, 1
	s_cbranch_scc1 .LBB22_3
; %bb.1:
	s_clause 0x1
	s_load_b32 s16, s[0:1], 0x10
	s_load_b32 s18, s[0:1], 0x28
	v_lshl_add_u32 v0, v6, 4, v5
	v_and_b32_e32 v4, 7, v5
	s_clause 0x1
	s_load_b128 s[8:11], s[0:1], 0x18
	s_load_b64 s[20:21], s[0:1], 0x8
	s_mul_i32 s5, s5, s15
	v_lshrrev_b32_e32 v1, 3, v0
	v_and_b32_e32 v2, 31, v0
	v_lshrrev_b32_e32 v9, 5, v0
	v_lshlrev_b32_e32 v3, 2, v4
	v_lshlrev_b32_e32 v12, 2, v5
	v_add_nc_u32_e32 v0, s13, v1
	v_lshlrev_b32_e32 v7, 2, v2
	v_add_nc_u32_e32 v2, s12, v2
	v_lshl_or_b32 v11, v1, 5, v3
	v_lshl_add_u32 v13, v6, 5, 0x400
	v_ashrrev_i32_e32 v1, 31, v0
	v_lshl_or_b32 v10, v9, 7, v7
	v_ashrrev_i32_e32 v3, 31, v2
	s_waitcnt lgkmcnt(0)
	s_ashr_i32 s17, s16, 31
	s_ashr_i32 s19, s18, 31
	v_mad_i64_i32 v[7:8], null, s18, v4, v[0:1]
	v_mad_i64_i32 v[0:1], null, s16, v9, v[2:3]
	s_mul_i32 s9, s9, s15
	s_mul_hi_u32 s22, s8, s15
	s_mul_i32 s8, s8, s15
	s_add_i32 s9, s22, s9
	s_delay_alu instid0(VALU_DEP_2) | instskip(SKIP_1) | instid1(VALU_DEP_3)
	v_lshlrev_b64 v[2:3], 2, v[7:8]
	v_mov_b32_e32 v8, 0
	v_lshlrev_b64 v[0:1], 2, v[0:1]
	s_lshl_b64 s[8:9], s[8:9], 2
	v_add_nc_u32_e32 v11, 0x400, v11
	s_add_u32 s8, s20, s8
	s_mul_hi_u32 s20, s4, s15
	s_addc_u32 s9, s21, s9
	v_add_co_u32 v0, vcc_lo, s8, v0
	s_add_i32 s5, s20, s5
	s_mul_i32 s4, s4, s15
	v_add_co_ci_u32_e32 v1, vcc_lo, s9, v1, vcc_lo
	s_lshl_b64 s[8:9], s[4:5], 2
	s_lshl_b64 s[4:5], s[16:17], 5
	s_add_u32 s8, s10, s8
	s_addc_u32 s9, s11, s9
	v_add_co_u32 v2, vcc_lo, s8, v2
	v_add_co_ci_u32_e32 v3, vcc_lo, s9, v3, vcc_lo
	v_dual_mov_b32 v4, 0 :: v_dual_mov_b32 v7, 0
	v_mov_b32_e32 v9, 0
	s_lshl_b64 s[8:9], s[18:19], 5
.LBB22_2:                               ; =>This Inner Loop Header: Depth=1
	global_load_b32 v14, v[0:1], off
	global_load_b32 v15, v[2:3], off
	v_add_co_u32 v0, vcc_lo, v0, s4
	v_add_co_ci_u32_e32 v1, vcc_lo, s5, v1, vcc_lo
	v_add_co_u32 v2, vcc_lo, v2, s8
	v_add_co_ci_u32_e32 v3, vcc_lo, s9, v3, vcc_lo
	s_add_i32 s14, s14, 8
	s_waitcnt vmcnt(1)
	ds_store_b32 v10, v14
	s_waitcnt vmcnt(0)
	ds_store_b32 v11, v15
	s_waitcnt lgkmcnt(0)
	s_barrier
	buffer_gl0_inv
	ds_load_2addr_b32 v[30:31], v12 offset1:16
	ds_load_b128 v[14:17], v13
	ds_load_b128 v[18:21], v13 offset:512
	ds_load_2addr_b32 v[32:33], v12 offset0:32 offset1:48
	ds_load_2addr_b32 v[34:35], v12 offset0:64 offset1:80
	ds_load_b128 v[22:25], v13 offset:16
	ds_load_2addr_b32 v[36:37], v12 offset0:96 offset1:112
	ds_load_2addr_b32 v[38:39], v12 offset0:128 offset1:144
	;; [unrolled: 3-line block ×3, first 2 shown]
	ds_load_2addr_b32 v[44:45], v12 offset0:224 offset1:240
	s_cmp_ge_i32 s14, s3
	s_waitcnt lgkmcnt(0)
	s_barrier
	buffer_gl0_inv
	v_fmac_f32_e32 v8, v31, v14
	v_fmac_f32_e32 v9, v30, v14
	;; [unrolled: 1-line block ×3, first 2 shown]
	s_delay_alu instid0(VALU_DEP_3) | instskip(NEXT) | instid1(VALU_DEP_3)
	v_dual_fmac_f32 v7, v30, v18 :: v_dual_fmac_f32 v8, v33, v15
	v_fmac_f32_e32 v9, v32, v15
	s_delay_alu instid0(VALU_DEP_3) | instskip(NEXT) | instid1(VALU_DEP_3)
	v_fmac_f32_e32 v4, v33, v19
	v_dual_fmac_f32 v7, v32, v19 :: v_dual_fmac_f32 v8, v35, v16
	s_delay_alu instid0(VALU_DEP_3) | instskip(NEXT) | instid1(VALU_DEP_3)
	v_fmac_f32_e32 v9, v34, v16
	v_fmac_f32_e32 v4, v35, v20
	s_delay_alu instid0(VALU_DEP_3) | instskip(NEXT) | instid1(VALU_DEP_3)
	v_dual_fmac_f32 v7, v34, v20 :: v_dual_fmac_f32 v8, v37, v17
	v_fmac_f32_e32 v9, v36, v17
	s_delay_alu instid0(VALU_DEP_3) | instskip(NEXT) | instid1(VALU_DEP_3)
	v_fmac_f32_e32 v4, v37, v21
	v_dual_fmac_f32 v7, v36, v21 :: v_dual_fmac_f32 v8, v39, v22
	s_delay_alu instid0(VALU_DEP_3) | instskip(NEXT) | instid1(VALU_DEP_3)
	v_fmac_f32_e32 v9, v38, v22
	v_fmac_f32_e32 v4, v39, v26
	;; [unrolled: 9-line block ×3, first 2 shown]
	s_delay_alu instid0(VALU_DEP_3) | instskip(NEXT) | instid1(VALU_DEP_3)
	v_dual_fmac_f32 v7, v42, v28 :: v_dual_fmac_f32 v8, v45, v25
	v_fmac_f32_e32 v9, v44, v25
	s_delay_alu instid0(VALU_DEP_3) | instskip(NEXT) | instid1(VALU_DEP_3)
	v_fmac_f32_e32 v4, v45, v29
	v_fmac_f32_e32 v7, v44, v29
	s_cbranch_scc0 .LBB22_2
.LBB22_3:
	s_clause 0x1
	s_load_b32 s3, s[0:1], 0x40
	s_load_b64 s[4:5], s[0:1], 0x48
	v_add_nc_u32_e32 v6, s13, v6
	v_add_nc_u32_e32 v0, s12, v5
	s_delay_alu instid0(VALU_DEP_1)
	v_cmp_le_i32_e64 s0, v6, v0
	v_cmp_gt_i32_e32 vcc_lo, s2, v0
	s_waitcnt lgkmcnt(0)
	v_mad_i64_i32 v[1:2], null, v6, s3, 0
	s_mul_i32 s1, s15, s5
	s_mul_hi_u32 s5, s15, s4
	s_mul_i32 s4, s15, s4
	s_add_i32 s5, s5, s1
	s_delay_alu instid0(SALU_CYCLE_1) | instskip(NEXT) | instid1(VALU_DEP_1)
	s_lshl_b64 s[4:5], s[4:5], 2
	v_lshlrev_b64 v[1:2], 2, v[1:2]
	s_add_u32 s4, s6, s4
	s_addc_u32 s5, s7, s5
	s_and_b32 s0, s0, vcc_lo
	s_delay_alu instid0(VALU_DEP_1) | instskip(NEXT) | instid1(VALU_DEP_1)
	v_add_co_u32 v5, s1, s4, v1
	v_add_co_ci_u32_e64 v10, s1, s5, v2, s1
	s_and_saveexec_b32 s1, s0
	s_cbranch_execz .LBB22_5
; %bb.4:
	v_ashrrev_i32_e32 v1, 31, v0
	v_xor_b32_e32 v3, 0x80000000, v9
	s_delay_alu instid0(VALU_DEP_2) | instskip(NEXT) | instid1(VALU_DEP_1)
	v_lshlrev_b64 v[1:2], 2, v[0:1]
	v_add_co_u32 v1, s0, v5, v1
	s_delay_alu instid0(VALU_DEP_1)
	v_add_co_ci_u32_e64 v2, s0, v10, v2, s0
	global_store_b32 v[1:2], v3, off
.LBB22_5:
	s_or_b32 exec_lo, exec_lo, s1
	v_add_nc_u32_e32 v2, 16, v0
	s_delay_alu instid0(VALU_DEP_1) | instskip(SKIP_1) | instid1(VALU_DEP_1)
	v_cmp_le_i32_e64 s1, v6, v2
	v_cmp_gt_i32_e64 s0, s2, v2
	s_and_b32 s1, s1, s0
	s_delay_alu instid0(SALU_CYCLE_1)
	s_and_saveexec_b32 s2, s1
	s_cbranch_execz .LBB22_7
; %bb.6:
	v_ashrrev_i32_e32 v3, 31, v2
	v_xor_b32_e32 v1, 0x80000000, v8
	s_delay_alu instid0(VALU_DEP_2) | instskip(NEXT) | instid1(VALU_DEP_1)
	v_lshlrev_b64 v[11:12], 2, v[2:3]
	v_add_co_u32 v8, s1, v5, v11
	s_delay_alu instid0(VALU_DEP_1)
	v_add_co_ci_u32_e64 v9, s1, v10, v12, s1
	global_store_b32 v[8:9], v1, off
.LBB22_7:
	s_or_b32 exec_lo, exec_lo, s2
	v_add_nc_u32_e32 v3, 16, v6
	s_delay_alu instid0(VALU_DEP_1) | instskip(SKIP_1) | instid1(VALU_DEP_2)
	v_mad_i64_i32 v[5:6], null, v3, s3, 0
	v_cmp_le_i32_e64 s1, v3, v0
	v_lshlrev_b64 v[5:6], 2, v[5:6]
	s_delay_alu instid0(VALU_DEP_1) | instskip(NEXT) | instid1(VALU_DEP_1)
	v_add_co_u32 v5, s2, s4, v5
	v_add_co_ci_u32_e64 v6, s2, s5, v6, s2
	s_delay_alu instid0(VALU_DEP_4) | instskip(NEXT) | instid1(SALU_CYCLE_1)
	s_and_b32 s2, s1, vcc_lo
	s_and_saveexec_b32 s1, s2
	s_cbranch_execz .LBB22_9
; %bb.8:
	v_ashrrev_i32_e32 v1, 31, v0
	v_xor_b32_e32 v7, 0x80000000, v7
	s_delay_alu instid0(VALU_DEP_2) | instskip(NEXT) | instid1(VALU_DEP_1)
	v_lshlrev_b64 v[0:1], 2, v[0:1]
	v_add_co_u32 v0, vcc_lo, v5, v0
	s_delay_alu instid0(VALU_DEP_2)
	v_add_co_ci_u32_e32 v1, vcc_lo, v6, v1, vcc_lo
	global_store_b32 v[0:1], v7, off
.LBB22_9:
	s_or_b32 exec_lo, exec_lo, s1
	v_cmp_le_i32_e32 vcc_lo, v3, v2
	s_and_b32 s0, vcc_lo, s0
	s_delay_alu instid0(SALU_CYCLE_1)
	s_and_saveexec_b32 s1, s0
	s_cbranch_execz .LBB22_11
; %bb.10:
	v_ashrrev_i32_e32 v3, 31, v2
	s_delay_alu instid0(VALU_DEP_1) | instskip(SKIP_1) | instid1(VALU_DEP_2)
	v_lshlrev_b64 v[0:1], 2, v[2:3]
	v_xor_b32_e32 v2, 0x80000000, v4
	v_add_co_u32 v0, vcc_lo, v5, v0
	s_delay_alu instid0(VALU_DEP_3)
	v_add_co_ci_u32_e32 v1, vcc_lo, v6, v1, vcc_lo
	global_store_b32 v[0:1], v2, off
.LBB22_11:
	s_nop 0
	s_sendmsg sendmsg(MSG_DEALLOC_VGPRS)
	s_endpgm
	.section	.rodata,"a",@progbits
	.p2align	6, 0x0
	.amdhsa_kernel _ZL37rocblas_syrkx_herkx_restricted_kernelIifLi16ELi32ELi8ELin1ELi0ELb0ELc78ELc76EKffEviT_PT9_S1_lS3_S1_lPT10_S1_li
		.amdhsa_group_segment_fixed_size 2048
		.amdhsa_private_segment_fixed_size 0
		.amdhsa_kernarg_size 84
		.amdhsa_user_sgpr_count 13
		.amdhsa_user_sgpr_dispatch_ptr 0
		.amdhsa_user_sgpr_queue_ptr 0
		.amdhsa_user_sgpr_kernarg_segment_ptr 1
		.amdhsa_user_sgpr_dispatch_id 0
		.amdhsa_user_sgpr_private_segment_size 0
		.amdhsa_wavefront_size32 1
		.amdhsa_uses_dynamic_stack 0
		.amdhsa_enable_private_segment 0
		.amdhsa_system_sgpr_workgroup_id_x 1
		.amdhsa_system_sgpr_workgroup_id_y 1
		.amdhsa_system_sgpr_workgroup_id_z 1
		.amdhsa_system_sgpr_workgroup_info 0
		.amdhsa_system_vgpr_workitem_id 1
		.amdhsa_next_free_vgpr 46
		.amdhsa_next_free_sgpr 23
		.amdhsa_reserve_vcc 1
		.amdhsa_float_round_mode_32 0
		.amdhsa_float_round_mode_16_64 0
		.amdhsa_float_denorm_mode_32 3
		.amdhsa_float_denorm_mode_16_64 3
		.amdhsa_dx10_clamp 1
		.amdhsa_ieee_mode 1
		.amdhsa_fp16_overflow 0
		.amdhsa_workgroup_processor_mode 1
		.amdhsa_memory_ordered 1
		.amdhsa_forward_progress 0
		.amdhsa_shared_vgpr_count 0
		.amdhsa_exception_fp_ieee_invalid_op 0
		.amdhsa_exception_fp_denorm_src 0
		.amdhsa_exception_fp_ieee_div_zero 0
		.amdhsa_exception_fp_ieee_overflow 0
		.amdhsa_exception_fp_ieee_underflow 0
		.amdhsa_exception_fp_ieee_inexact 0
		.amdhsa_exception_int_div_zero 0
	.end_amdhsa_kernel
	.section	.text._ZL37rocblas_syrkx_herkx_restricted_kernelIifLi16ELi32ELi8ELin1ELi0ELb0ELc78ELc76EKffEviT_PT9_S1_lS3_S1_lPT10_S1_li,"axG",@progbits,_ZL37rocblas_syrkx_herkx_restricted_kernelIifLi16ELi32ELi8ELin1ELi0ELb0ELc78ELc76EKffEviT_PT9_S1_lS3_S1_lPT10_S1_li,comdat
.Lfunc_end22:
	.size	_ZL37rocblas_syrkx_herkx_restricted_kernelIifLi16ELi32ELi8ELin1ELi0ELb0ELc78ELc76EKffEviT_PT9_S1_lS3_S1_lPT10_S1_li, .Lfunc_end22-_ZL37rocblas_syrkx_herkx_restricted_kernelIifLi16ELi32ELi8ELin1ELi0ELb0ELc78ELc76EKffEviT_PT9_S1_lS3_S1_lPT10_S1_li
                                        ; -- End function
	.section	.AMDGPU.csdata,"",@progbits
; Kernel info:
; codeLenInByte = 1212
; NumSgprs: 25
; NumVgprs: 46
; ScratchSize: 0
; MemoryBound: 0
; FloatMode: 240
; IeeeMode: 1
; LDSByteSize: 2048 bytes/workgroup (compile time only)
; SGPRBlocks: 3
; VGPRBlocks: 5
; NumSGPRsForWavesPerEU: 25
; NumVGPRsForWavesPerEU: 46
; Occupancy: 16
; WaveLimiterHint : 0
; COMPUTE_PGM_RSRC2:SCRATCH_EN: 0
; COMPUTE_PGM_RSRC2:USER_SGPR: 13
; COMPUTE_PGM_RSRC2:TRAP_HANDLER: 0
; COMPUTE_PGM_RSRC2:TGID_X_EN: 1
; COMPUTE_PGM_RSRC2:TGID_Y_EN: 1
; COMPUTE_PGM_RSRC2:TGID_Z_EN: 1
; COMPUTE_PGM_RSRC2:TIDIG_COMP_CNT: 1
	.section	.text._ZL37rocblas_syrkx_herkx_restricted_kernelIifLi16ELi32ELi8ELin1ELi0ELb0ELc84ELc85EKffEviT_PT9_S1_lS3_S1_lPT10_S1_li,"axG",@progbits,_ZL37rocblas_syrkx_herkx_restricted_kernelIifLi16ELi32ELi8ELin1ELi0ELb0ELc84ELc85EKffEviT_PT9_S1_lS3_S1_lPT10_S1_li,comdat
	.globl	_ZL37rocblas_syrkx_herkx_restricted_kernelIifLi16ELi32ELi8ELin1ELi0ELb0ELc84ELc85EKffEviT_PT9_S1_lS3_S1_lPT10_S1_li ; -- Begin function _ZL37rocblas_syrkx_herkx_restricted_kernelIifLi16ELi32ELi8ELin1ELi0ELb0ELc84ELc85EKffEviT_PT9_S1_lS3_S1_lPT10_S1_li
	.p2align	8
	.type	_ZL37rocblas_syrkx_herkx_restricted_kernelIifLi16ELi32ELi8ELin1ELi0ELb0ELc84ELc85EKffEviT_PT9_S1_lS3_S1_lPT10_S1_li,@function
_ZL37rocblas_syrkx_herkx_restricted_kernelIifLi16ELi32ELi8ELin1ELi0ELb0ELc84ELc85EKffEviT_PT9_S1_lS3_S1_lPT10_S1_li: ; @_ZL37rocblas_syrkx_herkx_restricted_kernelIifLi16ELi32ELi8ELin1ELi0ELb0ELc84ELc85EKffEviT_PT9_S1_lS3_S1_lPT10_S1_li
; %bb.0:
	s_clause 0x1
	s_load_b64 s[2:3], s[0:1], 0x0
	s_load_b128 s[4:7], s[0:1], 0x30
	v_dual_mov_b32 v9, 0 :: v_dual_and_b32 v6, 0x3ff, v0
	v_bfe_u32 v7, v0, 10, 10
	v_dual_mov_b32 v8, 0 :: v_dual_mov_b32 v1, 0
	v_mov_b32_e32 v0, 0
	s_lshl_b32 s12, s13, 5
	s_lshl_b32 s13, s14, 5
	s_mov_b32 s14, 0
	s_waitcnt lgkmcnt(0)
	s_cmp_lt_i32 s3, 1
	s_cbranch_scc1 .LBB23_3
; %bb.1:
	s_clause 0x3
	s_load_b32 s18, s[0:1], 0x10
	s_load_b128 s[8:11], s[0:1], 0x18
	s_load_b64 s[16:17], s[0:1], 0x8
	s_load_b32 s19, s[0:1], 0x28
	v_lshl_add_u32 v2, v7, 4, v6
	v_dual_mov_b32 v1, 0 :: v_dual_and_b32 v0, 7, v6
	v_lshlrev_b32_e32 v10, 2, v6
	s_mul_i32 s5, s5, s15
	s_delay_alu instid0(VALU_DEP_3) | instskip(SKIP_3) | instid1(VALU_DEP_4)
	v_lshrrev_b32_e32 v4, 3, v2
	v_and_b32_e32 v5, 31, v2
	v_lshlrev_b32_e32 v3, 2, v0
	v_lshrrev_b32_e32 v2, 5, v2
	v_add_nc_u32_e32 v14, s13, v4
	s_delay_alu instid0(VALU_DEP_4) | instskip(NEXT) | instid1(VALU_DEP_4)
	v_add_nc_u32_e32 v13, s12, v5
	v_lshl_or_b32 v9, v4, 5, v3
	v_dual_mov_b32 v3, v1 :: v_dual_lshlrev_b32 v8, 2, v5
	s_delay_alu instid0(VALU_DEP_2) | instskip(SKIP_1) | instid1(VALU_DEP_2)
	v_add_nc_u32_e32 v12, 0x400, v9
	s_waitcnt lgkmcnt(0)
	v_mad_i64_i32 v[4:5], null, s18, v13, v[2:3]
	s_delay_alu instid0(VALU_DEP_3)
	v_lshl_or_b32 v11, v2, 7, v8
	s_mul_i32 s9, s9, s15
	s_mul_hi_u32 s18, s8, s15
	v_mad_i64_i32 v[2:3], null, s19, v14, v[0:1]
	s_mul_i32 s8, s8, s15
	s_add_i32 s9, s18, s9
	s_delay_alu instid0(VALU_DEP_3)
	v_lshlrev_b64 v[4:5], 2, v[4:5]
	s_lshl_b64 s[8:9], s[8:9], 2
	v_lshl_add_u32 v13, v7, 5, 0x400
	s_add_u32 s8, s16, s8
	s_mul_hi_u32 s16, s4, s15
	s_addc_u32 s9, s17, s9
	s_add_i32 s5, s16, s5
	s_mul_i32 s4, s4, s15
	v_lshlrev_b64 v[8:9], 2, v[2:3]
	s_lshl_b64 s[4:5], s[4:5], 2
	v_add_co_u32 v2, vcc_lo, s8, v4
	s_add_u32 s4, s10, s4
	v_add_co_ci_u32_e32 v3, vcc_lo, s9, v5, vcc_lo
	s_addc_u32 s5, s11, s5
	v_add_co_u32 v4, vcc_lo, s4, v8
	v_add_co_ci_u32_e32 v5, vcc_lo, s5, v9, vcc_lo
	v_mov_b32_e32 v9, v1
	v_mov_b32_e32 v0, v1
	v_mov_b32_e32 v8, v1
.LBB23_2:                               ; =>This Inner Loop Header: Depth=1
	global_load_b32 v14, v[2:3], off
	global_load_b32 v15, v[4:5], off
	v_add_co_u32 v2, vcc_lo, v2, 32
	v_add_co_ci_u32_e32 v3, vcc_lo, 0, v3, vcc_lo
	v_add_co_u32 v4, vcc_lo, v4, 32
	v_add_co_ci_u32_e32 v5, vcc_lo, 0, v5, vcc_lo
	s_add_i32 s14, s14, 8
	s_waitcnt vmcnt(1)
	ds_store_b32 v11, v14
	s_waitcnt vmcnt(0)
	ds_store_b32 v12, v15
	s_waitcnt lgkmcnt(0)
	s_barrier
	buffer_gl0_inv
	ds_load_2addr_b32 v[30:31], v10 offset1:16
	ds_load_b128 v[14:17], v13
	ds_load_b128 v[18:21], v13 offset:512
	ds_load_2addr_b32 v[32:33], v10 offset0:32 offset1:48
	ds_load_2addr_b32 v[34:35], v10 offset0:64 offset1:80
	ds_load_b128 v[22:25], v13 offset:16
	ds_load_2addr_b32 v[36:37], v10 offset0:96 offset1:112
	ds_load_2addr_b32 v[38:39], v10 offset0:128 offset1:144
	;; [unrolled: 3-line block ×3, first 2 shown]
	ds_load_2addr_b32 v[44:45], v10 offset0:224 offset1:240
	s_cmp_ge_i32 s14, s3
	s_waitcnt lgkmcnt(0)
	s_barrier
	buffer_gl0_inv
	v_fmac_f32_e32 v8, v31, v14
	v_fmac_f32_e32 v9, v30, v14
	;; [unrolled: 1-line block ×4, first 2 shown]
	s_delay_alu instid0(VALU_DEP_4) | instskip(NEXT) | instid1(VALU_DEP_4)
	v_fmac_f32_e32 v8, v33, v15
	v_fmac_f32_e32 v9, v32, v15
	s_delay_alu instid0(VALU_DEP_4) | instskip(NEXT) | instid1(VALU_DEP_4)
	v_fmac_f32_e32 v1, v33, v19
	v_fmac_f32_e32 v0, v32, v19
	;; [unrolled: 3-line block ×14, first 2 shown]
	s_cbranch_scc0 .LBB23_2
.LBB23_3:
	s_clause 0x1
	s_load_b32 s3, s[0:1], 0x40
	s_load_b64 s[0:1], s[0:1], 0x48
	v_add_nc_u32_e32 v7, s13, v7
	v_add_nc_u32_e32 v2, s12, v6
	s_delay_alu instid0(VALU_DEP_2)
	v_cmp_gt_i32_e32 vcc_lo, s2, v7
	s_waitcnt lgkmcnt(0)
	v_mad_i64_i32 v[3:4], null, v7, s3, 0
	s_mul_i32 s1, s15, s1
	s_mul_hi_u32 s4, s15, s0
	s_mul_i32 s0, s15, s0
	s_add_i32 s1, s4, s1
	s_delay_alu instid0(SALU_CYCLE_1) | instskip(NEXT) | instid1(VALU_DEP_1)
	s_lshl_b64 s[4:5], s[0:1], 2
	v_lshlrev_b64 v[3:4], 2, v[3:4]
	s_add_u32 s4, s6, s4
	v_cmp_le_i32_e64 s0, v2, v7
	s_addc_u32 s5, s7, s5
	s_delay_alu instid0(VALU_DEP_2) | instskip(NEXT) | instid1(VALU_DEP_1)
	v_add_co_u32 v6, s1, s4, v3
	v_add_co_ci_u32_e64 v10, s1, s5, v4, s1
	s_delay_alu instid0(VALU_DEP_3) | instskip(NEXT) | instid1(SALU_CYCLE_1)
	s_and_b32 s0, vcc_lo, s0
	s_and_saveexec_b32 s1, s0
	s_cbranch_execz .LBB23_5
; %bb.4:
	v_ashrrev_i32_e32 v3, 31, v2
	v_xor_b32_e32 v5, 0x80000000, v9
	s_delay_alu instid0(VALU_DEP_2) | instskip(NEXT) | instid1(VALU_DEP_1)
	v_lshlrev_b64 v[3:4], 2, v[2:3]
	v_add_co_u32 v3, s0, v6, v3
	s_delay_alu instid0(VALU_DEP_1)
	v_add_co_ci_u32_e64 v4, s0, v10, v4, s0
	global_store_b32 v[3:4], v5, off
.LBB23_5:
	s_or_b32 exec_lo, exec_lo, s1
	v_add_nc_u32_e32 v4, 16, v2
	s_delay_alu instid0(VALU_DEP_1) | instskip(NEXT) | instid1(VALU_DEP_1)
	v_cmp_le_i32_e64 s0, v4, v7
	s_and_b32 s1, vcc_lo, s0
	s_delay_alu instid0(SALU_CYCLE_1)
	s_and_saveexec_b32 s0, s1
	s_cbranch_execz .LBB23_7
; %bb.6:
	v_ashrrev_i32_e32 v5, 31, v4
	v_xor_b32_e32 v3, 0x80000000, v8
	s_delay_alu instid0(VALU_DEP_2) | instskip(NEXT) | instid1(VALU_DEP_1)
	v_lshlrev_b64 v[11:12], 2, v[4:5]
	v_add_co_u32 v5, vcc_lo, v6, v11
	s_delay_alu instid0(VALU_DEP_2)
	v_add_co_ci_u32_e32 v6, vcc_lo, v10, v12, vcc_lo
	global_store_b32 v[5:6], v3, off
.LBB23_7:
	s_or_b32 exec_lo, exec_lo, s0
	v_add_nc_u32_e32 v5, 16, v7
	s_delay_alu instid0(VALU_DEP_1) | instskip(SKIP_2) | instid1(VALU_DEP_1)
	v_mad_i64_i32 v[6:7], null, v5, s3, 0
	v_cmp_gt_i32_e32 vcc_lo, s2, v5
	v_cmp_le_i32_e64 s0, v2, v5
	s_and_b32 s0, vcc_lo, s0
	s_delay_alu instid0(VALU_DEP_3) | instskip(NEXT) | instid1(VALU_DEP_1)
	v_lshlrev_b64 v[6:7], 2, v[6:7]
	v_add_co_u32 v6, s1, s4, v6
	s_delay_alu instid0(VALU_DEP_1)
	v_add_co_ci_u32_e64 v7, s1, s5, v7, s1
	s_and_saveexec_b32 s1, s0
	s_cbranch_execz .LBB23_9
; %bb.8:
	v_ashrrev_i32_e32 v3, 31, v2
	v_xor_b32_e32 v0, 0x80000000, v0
	s_delay_alu instid0(VALU_DEP_2) | instskip(NEXT) | instid1(VALU_DEP_1)
	v_lshlrev_b64 v[2:3], 2, v[2:3]
	v_add_co_u32 v2, s0, v6, v2
	s_delay_alu instid0(VALU_DEP_1)
	v_add_co_ci_u32_e64 v3, s0, v7, v3, s0
	global_store_b32 v[2:3], v0, off
.LBB23_9:
	s_or_b32 exec_lo, exec_lo, s1
	v_cmp_le_i32_e64 s0, v4, v5
	s_delay_alu instid0(VALU_DEP_1) | instskip(NEXT) | instid1(SALU_CYCLE_1)
	s_and_b32 s0, vcc_lo, s0
	s_and_saveexec_b32 s1, s0
	s_cbranch_execz .LBB23_11
; %bb.10:
	v_ashrrev_i32_e32 v5, 31, v4
	s_delay_alu instid0(VALU_DEP_1) | instskip(SKIP_1) | instid1(VALU_DEP_2)
	v_lshlrev_b64 v[2:3], 2, v[4:5]
	v_xor_b32_e32 v4, 0x80000000, v1
	v_add_co_u32 v0, vcc_lo, v6, v2
	s_delay_alu instid0(VALU_DEP_3)
	v_add_co_ci_u32_e32 v1, vcc_lo, v7, v3, vcc_lo
	global_store_b32 v[0:1], v4, off
.LBB23_11:
	s_nop 0
	s_sendmsg sendmsg(MSG_DEALLOC_VGPRS)
	s_endpgm
	.section	.rodata,"a",@progbits
	.p2align	6, 0x0
	.amdhsa_kernel _ZL37rocblas_syrkx_herkx_restricted_kernelIifLi16ELi32ELi8ELin1ELi0ELb0ELc84ELc85EKffEviT_PT9_S1_lS3_S1_lPT10_S1_li
		.amdhsa_group_segment_fixed_size 2048
		.amdhsa_private_segment_fixed_size 0
		.amdhsa_kernarg_size 84
		.amdhsa_user_sgpr_count 13
		.amdhsa_user_sgpr_dispatch_ptr 0
		.amdhsa_user_sgpr_queue_ptr 0
		.amdhsa_user_sgpr_kernarg_segment_ptr 1
		.amdhsa_user_sgpr_dispatch_id 0
		.amdhsa_user_sgpr_private_segment_size 0
		.amdhsa_wavefront_size32 1
		.amdhsa_uses_dynamic_stack 0
		.amdhsa_enable_private_segment 0
		.amdhsa_system_sgpr_workgroup_id_x 1
		.amdhsa_system_sgpr_workgroup_id_y 1
		.amdhsa_system_sgpr_workgroup_id_z 1
		.amdhsa_system_sgpr_workgroup_info 0
		.amdhsa_system_vgpr_workitem_id 1
		.amdhsa_next_free_vgpr 46
		.amdhsa_next_free_sgpr 20
		.amdhsa_reserve_vcc 1
		.amdhsa_float_round_mode_32 0
		.amdhsa_float_round_mode_16_64 0
		.amdhsa_float_denorm_mode_32 3
		.amdhsa_float_denorm_mode_16_64 3
		.amdhsa_dx10_clamp 1
		.amdhsa_ieee_mode 1
		.amdhsa_fp16_overflow 0
		.amdhsa_workgroup_processor_mode 1
		.amdhsa_memory_ordered 1
		.amdhsa_forward_progress 0
		.amdhsa_shared_vgpr_count 0
		.amdhsa_exception_fp_ieee_invalid_op 0
		.amdhsa_exception_fp_denorm_src 0
		.amdhsa_exception_fp_ieee_div_zero 0
		.amdhsa_exception_fp_ieee_overflow 0
		.amdhsa_exception_fp_ieee_underflow 0
		.amdhsa_exception_fp_ieee_inexact 0
		.amdhsa_exception_int_div_zero 0
	.end_amdhsa_kernel
	.section	.text._ZL37rocblas_syrkx_herkx_restricted_kernelIifLi16ELi32ELi8ELin1ELi0ELb0ELc84ELc85EKffEviT_PT9_S1_lS3_S1_lPT10_S1_li,"axG",@progbits,_ZL37rocblas_syrkx_herkx_restricted_kernelIifLi16ELi32ELi8ELin1ELi0ELb0ELc84ELc85EKffEviT_PT9_S1_lS3_S1_lPT10_S1_li,comdat
.Lfunc_end23:
	.size	_ZL37rocblas_syrkx_herkx_restricted_kernelIifLi16ELi32ELi8ELin1ELi0ELb0ELc84ELc85EKffEviT_PT9_S1_lS3_S1_lPT10_S1_li, .Lfunc_end23-_ZL37rocblas_syrkx_herkx_restricted_kernelIifLi16ELi32ELi8ELin1ELi0ELb0ELc84ELc85EKffEviT_PT9_S1_lS3_S1_lPT10_S1_li
                                        ; -- End function
	.section	.AMDGPU.csdata,"",@progbits
; Kernel info:
; codeLenInByte = 1220
; NumSgprs: 22
; NumVgprs: 46
; ScratchSize: 0
; MemoryBound: 0
; FloatMode: 240
; IeeeMode: 1
; LDSByteSize: 2048 bytes/workgroup (compile time only)
; SGPRBlocks: 2
; VGPRBlocks: 5
; NumSGPRsForWavesPerEU: 22
; NumVGPRsForWavesPerEU: 46
; Occupancy: 16
; WaveLimiterHint : 0
; COMPUTE_PGM_RSRC2:SCRATCH_EN: 0
; COMPUTE_PGM_RSRC2:USER_SGPR: 13
; COMPUTE_PGM_RSRC2:TRAP_HANDLER: 0
; COMPUTE_PGM_RSRC2:TGID_X_EN: 1
; COMPUTE_PGM_RSRC2:TGID_Y_EN: 1
; COMPUTE_PGM_RSRC2:TGID_Z_EN: 1
; COMPUTE_PGM_RSRC2:TIDIG_COMP_CNT: 1
	.section	.text._ZL37rocblas_syrkx_herkx_restricted_kernelIifLi16ELi32ELi8ELin1ELi0ELb0ELc67ELc85EKffEviT_PT9_S1_lS3_S1_lPT10_S1_li,"axG",@progbits,_ZL37rocblas_syrkx_herkx_restricted_kernelIifLi16ELi32ELi8ELin1ELi0ELb0ELc67ELc85EKffEviT_PT9_S1_lS3_S1_lPT10_S1_li,comdat
	.globl	_ZL37rocblas_syrkx_herkx_restricted_kernelIifLi16ELi32ELi8ELin1ELi0ELb0ELc67ELc85EKffEviT_PT9_S1_lS3_S1_lPT10_S1_li ; -- Begin function _ZL37rocblas_syrkx_herkx_restricted_kernelIifLi16ELi32ELi8ELin1ELi0ELb0ELc67ELc85EKffEviT_PT9_S1_lS3_S1_lPT10_S1_li
	.p2align	8
	.type	_ZL37rocblas_syrkx_herkx_restricted_kernelIifLi16ELi32ELi8ELin1ELi0ELb0ELc67ELc85EKffEviT_PT9_S1_lS3_S1_lPT10_S1_li,@function
_ZL37rocblas_syrkx_herkx_restricted_kernelIifLi16ELi32ELi8ELin1ELi0ELb0ELc67ELc85EKffEviT_PT9_S1_lS3_S1_lPT10_S1_li: ; @_ZL37rocblas_syrkx_herkx_restricted_kernelIifLi16ELi32ELi8ELin1ELi0ELb0ELc67ELc85EKffEviT_PT9_S1_lS3_S1_lPT10_S1_li
; %bb.0:
	s_clause 0x1
	s_load_b64 s[2:3], s[0:1], 0x0
	s_load_b128 s[4:7], s[0:1], 0x30
	v_dual_mov_b32 v9, 0 :: v_dual_and_b32 v6, 0x3ff, v0
	v_bfe_u32 v7, v0, 10, 10
	v_dual_mov_b32 v8, 0 :: v_dual_mov_b32 v1, 0
	v_mov_b32_e32 v0, 0
	s_lshl_b32 s12, s13, 5
	s_lshl_b32 s13, s14, 5
	s_mov_b32 s14, 0
	s_waitcnt lgkmcnt(0)
	s_cmp_lt_i32 s3, 1
	s_cbranch_scc1 .LBB24_3
; %bb.1:
	s_clause 0x3
	s_load_b32 s18, s[0:1], 0x10
	s_load_b128 s[8:11], s[0:1], 0x18
	s_load_b64 s[16:17], s[0:1], 0x8
	s_load_b32 s19, s[0:1], 0x28
	v_lshl_add_u32 v2, v7, 4, v6
	v_dual_mov_b32 v1, 0 :: v_dual_and_b32 v0, 7, v6
	v_lshlrev_b32_e32 v10, 2, v6
	s_mul_i32 s5, s5, s15
	s_delay_alu instid0(VALU_DEP_3) | instskip(SKIP_3) | instid1(VALU_DEP_4)
	v_lshrrev_b32_e32 v4, 3, v2
	v_and_b32_e32 v5, 31, v2
	v_lshlrev_b32_e32 v3, 2, v0
	v_lshrrev_b32_e32 v2, 5, v2
	v_add_nc_u32_e32 v14, s13, v4
	s_delay_alu instid0(VALU_DEP_4) | instskip(NEXT) | instid1(VALU_DEP_4)
	v_add_nc_u32_e32 v13, s12, v5
	v_lshl_or_b32 v9, v4, 5, v3
	v_dual_mov_b32 v3, v1 :: v_dual_lshlrev_b32 v8, 2, v5
	s_delay_alu instid0(VALU_DEP_2) | instskip(SKIP_1) | instid1(VALU_DEP_2)
	v_add_nc_u32_e32 v12, 0x400, v9
	s_waitcnt lgkmcnt(0)
	v_mad_i64_i32 v[4:5], null, s18, v13, v[2:3]
	s_delay_alu instid0(VALU_DEP_3)
	v_lshl_or_b32 v11, v2, 7, v8
	s_mul_i32 s9, s9, s15
	s_mul_hi_u32 s18, s8, s15
	v_mad_i64_i32 v[2:3], null, s19, v14, v[0:1]
	s_mul_i32 s8, s8, s15
	s_add_i32 s9, s18, s9
	s_delay_alu instid0(VALU_DEP_3)
	v_lshlrev_b64 v[4:5], 2, v[4:5]
	s_lshl_b64 s[8:9], s[8:9], 2
	v_lshl_add_u32 v13, v7, 5, 0x400
	s_add_u32 s8, s16, s8
	s_mul_hi_u32 s16, s4, s15
	s_addc_u32 s9, s17, s9
	s_add_i32 s5, s16, s5
	s_mul_i32 s4, s4, s15
	v_lshlrev_b64 v[8:9], 2, v[2:3]
	s_lshl_b64 s[4:5], s[4:5], 2
	v_add_co_u32 v2, vcc_lo, s8, v4
	s_add_u32 s4, s10, s4
	v_add_co_ci_u32_e32 v3, vcc_lo, s9, v5, vcc_lo
	s_addc_u32 s5, s11, s5
	v_add_co_u32 v4, vcc_lo, s4, v8
	v_add_co_ci_u32_e32 v5, vcc_lo, s5, v9, vcc_lo
	v_mov_b32_e32 v9, v1
	v_mov_b32_e32 v0, v1
	;; [unrolled: 1-line block ×3, first 2 shown]
.LBB24_2:                               ; =>This Inner Loop Header: Depth=1
	global_load_b32 v14, v[2:3], off
	global_load_b32 v15, v[4:5], off
	v_add_co_u32 v2, vcc_lo, v2, 32
	v_add_co_ci_u32_e32 v3, vcc_lo, 0, v3, vcc_lo
	v_add_co_u32 v4, vcc_lo, v4, 32
	v_add_co_ci_u32_e32 v5, vcc_lo, 0, v5, vcc_lo
	s_add_i32 s14, s14, 8
	s_waitcnt vmcnt(1)
	ds_store_b32 v11, v14
	s_waitcnt vmcnt(0)
	ds_store_b32 v12, v15
	s_waitcnt lgkmcnt(0)
	s_barrier
	buffer_gl0_inv
	ds_load_2addr_b32 v[30:31], v10 offset1:16
	ds_load_b128 v[14:17], v13
	ds_load_b128 v[18:21], v13 offset:512
	ds_load_2addr_b32 v[32:33], v10 offset0:32 offset1:48
	ds_load_2addr_b32 v[34:35], v10 offset0:64 offset1:80
	ds_load_b128 v[22:25], v13 offset:16
	ds_load_2addr_b32 v[36:37], v10 offset0:96 offset1:112
	ds_load_2addr_b32 v[38:39], v10 offset0:128 offset1:144
	;; [unrolled: 3-line block ×3, first 2 shown]
	ds_load_2addr_b32 v[44:45], v10 offset0:224 offset1:240
	s_cmp_ge_i32 s14, s3
	s_waitcnt lgkmcnt(0)
	s_barrier
	buffer_gl0_inv
	v_fmac_f32_e32 v8, v31, v14
	v_fmac_f32_e32 v9, v30, v14
	;; [unrolled: 1-line block ×4, first 2 shown]
	s_delay_alu instid0(VALU_DEP_4) | instskip(NEXT) | instid1(VALU_DEP_4)
	v_fmac_f32_e32 v8, v33, v15
	v_fmac_f32_e32 v9, v32, v15
	s_delay_alu instid0(VALU_DEP_4) | instskip(NEXT) | instid1(VALU_DEP_4)
	v_fmac_f32_e32 v1, v33, v19
	v_fmac_f32_e32 v0, v32, v19
	;; [unrolled: 3-line block ×14, first 2 shown]
	s_cbranch_scc0 .LBB24_2
.LBB24_3:
	s_clause 0x1
	s_load_b32 s3, s[0:1], 0x40
	s_load_b64 s[0:1], s[0:1], 0x48
	v_add_nc_u32_e32 v7, s13, v7
	v_add_nc_u32_e32 v2, s12, v6
	s_delay_alu instid0(VALU_DEP_2)
	v_cmp_gt_i32_e32 vcc_lo, s2, v7
	s_waitcnt lgkmcnt(0)
	v_mad_i64_i32 v[3:4], null, v7, s3, 0
	s_mul_i32 s1, s15, s1
	s_mul_hi_u32 s4, s15, s0
	s_mul_i32 s0, s15, s0
	s_add_i32 s1, s4, s1
	s_delay_alu instid0(SALU_CYCLE_1) | instskip(NEXT) | instid1(VALU_DEP_1)
	s_lshl_b64 s[4:5], s[0:1], 2
	v_lshlrev_b64 v[3:4], 2, v[3:4]
	s_add_u32 s4, s6, s4
	v_cmp_le_i32_e64 s0, v2, v7
	s_addc_u32 s5, s7, s5
	s_delay_alu instid0(VALU_DEP_2) | instskip(NEXT) | instid1(VALU_DEP_1)
	v_add_co_u32 v6, s1, s4, v3
	v_add_co_ci_u32_e64 v10, s1, s5, v4, s1
	s_delay_alu instid0(VALU_DEP_3) | instskip(NEXT) | instid1(SALU_CYCLE_1)
	s_and_b32 s0, vcc_lo, s0
	s_and_saveexec_b32 s1, s0
	s_cbranch_execz .LBB24_5
; %bb.4:
	v_ashrrev_i32_e32 v3, 31, v2
	v_xor_b32_e32 v5, 0x80000000, v9
	s_delay_alu instid0(VALU_DEP_2) | instskip(NEXT) | instid1(VALU_DEP_1)
	v_lshlrev_b64 v[3:4], 2, v[2:3]
	v_add_co_u32 v3, s0, v6, v3
	s_delay_alu instid0(VALU_DEP_1)
	v_add_co_ci_u32_e64 v4, s0, v10, v4, s0
	global_store_b32 v[3:4], v5, off
.LBB24_5:
	s_or_b32 exec_lo, exec_lo, s1
	v_add_nc_u32_e32 v4, 16, v2
	s_delay_alu instid0(VALU_DEP_1) | instskip(NEXT) | instid1(VALU_DEP_1)
	v_cmp_le_i32_e64 s0, v4, v7
	s_and_b32 s1, vcc_lo, s0
	s_delay_alu instid0(SALU_CYCLE_1)
	s_and_saveexec_b32 s0, s1
	s_cbranch_execz .LBB24_7
; %bb.6:
	v_ashrrev_i32_e32 v5, 31, v4
	v_xor_b32_e32 v3, 0x80000000, v8
	s_delay_alu instid0(VALU_DEP_2) | instskip(NEXT) | instid1(VALU_DEP_1)
	v_lshlrev_b64 v[11:12], 2, v[4:5]
	v_add_co_u32 v5, vcc_lo, v6, v11
	s_delay_alu instid0(VALU_DEP_2)
	v_add_co_ci_u32_e32 v6, vcc_lo, v10, v12, vcc_lo
	global_store_b32 v[5:6], v3, off
.LBB24_7:
	s_or_b32 exec_lo, exec_lo, s0
	v_add_nc_u32_e32 v5, 16, v7
	s_delay_alu instid0(VALU_DEP_1) | instskip(SKIP_2) | instid1(VALU_DEP_1)
	v_mad_i64_i32 v[6:7], null, v5, s3, 0
	v_cmp_gt_i32_e32 vcc_lo, s2, v5
	v_cmp_le_i32_e64 s0, v2, v5
	s_and_b32 s0, vcc_lo, s0
	s_delay_alu instid0(VALU_DEP_3) | instskip(NEXT) | instid1(VALU_DEP_1)
	v_lshlrev_b64 v[6:7], 2, v[6:7]
	v_add_co_u32 v6, s1, s4, v6
	s_delay_alu instid0(VALU_DEP_1)
	v_add_co_ci_u32_e64 v7, s1, s5, v7, s1
	s_and_saveexec_b32 s1, s0
	s_cbranch_execz .LBB24_9
; %bb.8:
	v_ashrrev_i32_e32 v3, 31, v2
	v_xor_b32_e32 v0, 0x80000000, v0
	s_delay_alu instid0(VALU_DEP_2) | instskip(NEXT) | instid1(VALU_DEP_1)
	v_lshlrev_b64 v[2:3], 2, v[2:3]
	v_add_co_u32 v2, s0, v6, v2
	s_delay_alu instid0(VALU_DEP_1)
	v_add_co_ci_u32_e64 v3, s0, v7, v3, s0
	global_store_b32 v[2:3], v0, off
.LBB24_9:
	s_or_b32 exec_lo, exec_lo, s1
	v_cmp_le_i32_e64 s0, v4, v5
	s_delay_alu instid0(VALU_DEP_1) | instskip(NEXT) | instid1(SALU_CYCLE_1)
	s_and_b32 s0, vcc_lo, s0
	s_and_saveexec_b32 s1, s0
	s_cbranch_execz .LBB24_11
; %bb.10:
	v_ashrrev_i32_e32 v5, 31, v4
	s_delay_alu instid0(VALU_DEP_1) | instskip(SKIP_1) | instid1(VALU_DEP_2)
	v_lshlrev_b64 v[2:3], 2, v[4:5]
	v_xor_b32_e32 v4, 0x80000000, v1
	v_add_co_u32 v0, vcc_lo, v6, v2
	s_delay_alu instid0(VALU_DEP_3)
	v_add_co_ci_u32_e32 v1, vcc_lo, v7, v3, vcc_lo
	global_store_b32 v[0:1], v4, off
.LBB24_11:
	s_nop 0
	s_sendmsg sendmsg(MSG_DEALLOC_VGPRS)
	s_endpgm
	.section	.rodata,"a",@progbits
	.p2align	6, 0x0
	.amdhsa_kernel _ZL37rocblas_syrkx_herkx_restricted_kernelIifLi16ELi32ELi8ELin1ELi0ELb0ELc67ELc85EKffEviT_PT9_S1_lS3_S1_lPT10_S1_li
		.amdhsa_group_segment_fixed_size 2048
		.amdhsa_private_segment_fixed_size 0
		.amdhsa_kernarg_size 84
		.amdhsa_user_sgpr_count 13
		.amdhsa_user_sgpr_dispatch_ptr 0
		.amdhsa_user_sgpr_queue_ptr 0
		.amdhsa_user_sgpr_kernarg_segment_ptr 1
		.amdhsa_user_sgpr_dispatch_id 0
		.amdhsa_user_sgpr_private_segment_size 0
		.amdhsa_wavefront_size32 1
		.amdhsa_uses_dynamic_stack 0
		.amdhsa_enable_private_segment 0
		.amdhsa_system_sgpr_workgroup_id_x 1
		.amdhsa_system_sgpr_workgroup_id_y 1
		.amdhsa_system_sgpr_workgroup_id_z 1
		.amdhsa_system_sgpr_workgroup_info 0
		.amdhsa_system_vgpr_workitem_id 1
		.amdhsa_next_free_vgpr 46
		.amdhsa_next_free_sgpr 20
		.amdhsa_reserve_vcc 1
		.amdhsa_float_round_mode_32 0
		.amdhsa_float_round_mode_16_64 0
		.amdhsa_float_denorm_mode_32 3
		.amdhsa_float_denorm_mode_16_64 3
		.amdhsa_dx10_clamp 1
		.amdhsa_ieee_mode 1
		.amdhsa_fp16_overflow 0
		.amdhsa_workgroup_processor_mode 1
		.amdhsa_memory_ordered 1
		.amdhsa_forward_progress 0
		.amdhsa_shared_vgpr_count 0
		.amdhsa_exception_fp_ieee_invalid_op 0
		.amdhsa_exception_fp_denorm_src 0
		.amdhsa_exception_fp_ieee_div_zero 0
		.amdhsa_exception_fp_ieee_overflow 0
		.amdhsa_exception_fp_ieee_underflow 0
		.amdhsa_exception_fp_ieee_inexact 0
		.amdhsa_exception_int_div_zero 0
	.end_amdhsa_kernel
	.section	.text._ZL37rocblas_syrkx_herkx_restricted_kernelIifLi16ELi32ELi8ELin1ELi0ELb0ELc67ELc85EKffEviT_PT9_S1_lS3_S1_lPT10_S1_li,"axG",@progbits,_ZL37rocblas_syrkx_herkx_restricted_kernelIifLi16ELi32ELi8ELin1ELi0ELb0ELc67ELc85EKffEviT_PT9_S1_lS3_S1_lPT10_S1_li,comdat
.Lfunc_end24:
	.size	_ZL37rocblas_syrkx_herkx_restricted_kernelIifLi16ELi32ELi8ELin1ELi0ELb0ELc67ELc85EKffEviT_PT9_S1_lS3_S1_lPT10_S1_li, .Lfunc_end24-_ZL37rocblas_syrkx_herkx_restricted_kernelIifLi16ELi32ELi8ELin1ELi0ELb0ELc67ELc85EKffEviT_PT9_S1_lS3_S1_lPT10_S1_li
                                        ; -- End function
	.section	.AMDGPU.csdata,"",@progbits
; Kernel info:
; codeLenInByte = 1220
; NumSgprs: 22
; NumVgprs: 46
; ScratchSize: 0
; MemoryBound: 0
; FloatMode: 240
; IeeeMode: 1
; LDSByteSize: 2048 bytes/workgroup (compile time only)
; SGPRBlocks: 2
; VGPRBlocks: 5
; NumSGPRsForWavesPerEU: 22
; NumVGPRsForWavesPerEU: 46
; Occupancy: 16
; WaveLimiterHint : 0
; COMPUTE_PGM_RSRC2:SCRATCH_EN: 0
; COMPUTE_PGM_RSRC2:USER_SGPR: 13
; COMPUTE_PGM_RSRC2:TRAP_HANDLER: 0
; COMPUTE_PGM_RSRC2:TGID_X_EN: 1
; COMPUTE_PGM_RSRC2:TGID_Y_EN: 1
; COMPUTE_PGM_RSRC2:TGID_Z_EN: 1
; COMPUTE_PGM_RSRC2:TIDIG_COMP_CNT: 1
	.section	.text._ZL37rocblas_syrkx_herkx_restricted_kernelIifLi16ELi32ELi8ELin1ELi0ELb0ELc78ELc85EKffEviT_PT9_S1_lS3_S1_lPT10_S1_li,"axG",@progbits,_ZL37rocblas_syrkx_herkx_restricted_kernelIifLi16ELi32ELi8ELin1ELi0ELb0ELc78ELc85EKffEviT_PT9_S1_lS3_S1_lPT10_S1_li,comdat
	.globl	_ZL37rocblas_syrkx_herkx_restricted_kernelIifLi16ELi32ELi8ELin1ELi0ELb0ELc78ELc85EKffEviT_PT9_S1_lS3_S1_lPT10_S1_li ; -- Begin function _ZL37rocblas_syrkx_herkx_restricted_kernelIifLi16ELi32ELi8ELin1ELi0ELb0ELc78ELc85EKffEviT_PT9_S1_lS3_S1_lPT10_S1_li
	.p2align	8
	.type	_ZL37rocblas_syrkx_herkx_restricted_kernelIifLi16ELi32ELi8ELin1ELi0ELb0ELc78ELc85EKffEviT_PT9_S1_lS3_S1_lPT10_S1_li,@function
_ZL37rocblas_syrkx_herkx_restricted_kernelIifLi16ELi32ELi8ELin1ELi0ELb0ELc78ELc85EKffEviT_PT9_S1_lS3_S1_lPT10_S1_li: ; @_ZL37rocblas_syrkx_herkx_restricted_kernelIifLi16ELi32ELi8ELin1ELi0ELb0ELc78ELc85EKffEviT_PT9_S1_lS3_S1_lPT10_S1_li
; %bb.0:
	s_clause 0x1
	s_load_b64 s[2:3], s[0:1], 0x0
	s_load_b128 s[4:7], s[0:1], 0x30
	v_dual_mov_b32 v8, 0 :: v_dual_and_b32 v5, 0x3ff, v0
	v_bfe_u32 v6, v0, 10, 10
	v_dual_mov_b32 v9, 0 :: v_dual_mov_b32 v4, 0
	v_mov_b32_e32 v7, 0
	s_lshl_b32 s12, s13, 5
	s_lshl_b32 s13, s14, 5
	s_mov_b32 s14, 0
	s_waitcnt lgkmcnt(0)
	s_cmp_lt_i32 s3, 1
	s_cbranch_scc1 .LBB25_3
; %bb.1:
	s_clause 0x1
	s_load_b32 s16, s[0:1], 0x10
	s_load_b32 s18, s[0:1], 0x28
	v_lshl_add_u32 v0, v6, 4, v5
	v_and_b32_e32 v4, 7, v5
	s_clause 0x1
	s_load_b128 s[8:11], s[0:1], 0x18
	s_load_b64 s[20:21], s[0:1], 0x8
	s_mul_i32 s5, s5, s15
	v_lshrrev_b32_e32 v1, 3, v0
	v_and_b32_e32 v2, 31, v0
	v_lshrrev_b32_e32 v9, 5, v0
	v_lshlrev_b32_e32 v3, 2, v4
	v_lshlrev_b32_e32 v12, 2, v5
	v_add_nc_u32_e32 v0, s13, v1
	v_lshlrev_b32_e32 v7, 2, v2
	v_add_nc_u32_e32 v2, s12, v2
	v_lshl_or_b32 v11, v1, 5, v3
	v_lshl_add_u32 v13, v6, 5, 0x400
	v_ashrrev_i32_e32 v1, 31, v0
	v_lshl_or_b32 v10, v9, 7, v7
	v_ashrrev_i32_e32 v3, 31, v2
	s_waitcnt lgkmcnt(0)
	s_ashr_i32 s17, s16, 31
	s_ashr_i32 s19, s18, 31
	v_mad_i64_i32 v[7:8], null, s18, v4, v[0:1]
	v_mad_i64_i32 v[0:1], null, s16, v9, v[2:3]
	s_mul_i32 s9, s9, s15
	s_mul_hi_u32 s22, s8, s15
	s_mul_i32 s8, s8, s15
	s_add_i32 s9, s22, s9
	s_delay_alu instid0(VALU_DEP_2) | instskip(SKIP_1) | instid1(VALU_DEP_3)
	v_lshlrev_b64 v[2:3], 2, v[7:8]
	v_mov_b32_e32 v8, 0
	v_lshlrev_b64 v[0:1], 2, v[0:1]
	s_lshl_b64 s[8:9], s[8:9], 2
	v_add_nc_u32_e32 v11, 0x400, v11
	s_add_u32 s8, s20, s8
	s_mul_hi_u32 s20, s4, s15
	s_addc_u32 s9, s21, s9
	v_add_co_u32 v0, vcc_lo, s8, v0
	s_add_i32 s5, s20, s5
	s_mul_i32 s4, s4, s15
	v_add_co_ci_u32_e32 v1, vcc_lo, s9, v1, vcc_lo
	s_lshl_b64 s[8:9], s[4:5], 2
	s_lshl_b64 s[4:5], s[16:17], 5
	s_add_u32 s8, s10, s8
	s_addc_u32 s9, s11, s9
	v_add_co_u32 v2, vcc_lo, s8, v2
	v_add_co_ci_u32_e32 v3, vcc_lo, s9, v3, vcc_lo
	v_dual_mov_b32 v4, 0 :: v_dual_mov_b32 v7, 0
	v_mov_b32_e32 v9, 0
	s_lshl_b64 s[8:9], s[18:19], 5
.LBB25_2:                               ; =>This Inner Loop Header: Depth=1
	global_load_b32 v14, v[0:1], off
	global_load_b32 v15, v[2:3], off
	v_add_co_u32 v0, vcc_lo, v0, s4
	v_add_co_ci_u32_e32 v1, vcc_lo, s5, v1, vcc_lo
	v_add_co_u32 v2, vcc_lo, v2, s8
	v_add_co_ci_u32_e32 v3, vcc_lo, s9, v3, vcc_lo
	s_add_i32 s14, s14, 8
	s_waitcnt vmcnt(1)
	ds_store_b32 v10, v14
	s_waitcnt vmcnt(0)
	ds_store_b32 v11, v15
	s_waitcnt lgkmcnt(0)
	s_barrier
	buffer_gl0_inv
	ds_load_2addr_b32 v[30:31], v12 offset1:16
	ds_load_b128 v[14:17], v13
	ds_load_b128 v[18:21], v13 offset:512
	ds_load_2addr_b32 v[32:33], v12 offset0:32 offset1:48
	ds_load_2addr_b32 v[34:35], v12 offset0:64 offset1:80
	ds_load_b128 v[22:25], v13 offset:16
	ds_load_2addr_b32 v[36:37], v12 offset0:96 offset1:112
	ds_load_2addr_b32 v[38:39], v12 offset0:128 offset1:144
	;; [unrolled: 3-line block ×3, first 2 shown]
	ds_load_2addr_b32 v[44:45], v12 offset0:224 offset1:240
	s_cmp_ge_i32 s14, s3
	s_waitcnt lgkmcnt(0)
	s_barrier
	buffer_gl0_inv
	v_fmac_f32_e32 v8, v31, v14
	v_fmac_f32_e32 v9, v30, v14
	;; [unrolled: 1-line block ×3, first 2 shown]
	s_delay_alu instid0(VALU_DEP_3) | instskip(NEXT) | instid1(VALU_DEP_3)
	v_dual_fmac_f32 v7, v30, v18 :: v_dual_fmac_f32 v8, v33, v15
	v_fmac_f32_e32 v9, v32, v15
	s_delay_alu instid0(VALU_DEP_3) | instskip(NEXT) | instid1(VALU_DEP_3)
	v_fmac_f32_e32 v4, v33, v19
	v_dual_fmac_f32 v7, v32, v19 :: v_dual_fmac_f32 v8, v35, v16
	s_delay_alu instid0(VALU_DEP_3) | instskip(NEXT) | instid1(VALU_DEP_3)
	v_fmac_f32_e32 v9, v34, v16
	v_fmac_f32_e32 v4, v35, v20
	s_delay_alu instid0(VALU_DEP_3) | instskip(NEXT) | instid1(VALU_DEP_3)
	v_dual_fmac_f32 v7, v34, v20 :: v_dual_fmac_f32 v8, v37, v17
	v_fmac_f32_e32 v9, v36, v17
	s_delay_alu instid0(VALU_DEP_3) | instskip(NEXT) | instid1(VALU_DEP_3)
	v_fmac_f32_e32 v4, v37, v21
	v_dual_fmac_f32 v7, v36, v21 :: v_dual_fmac_f32 v8, v39, v22
	s_delay_alu instid0(VALU_DEP_3) | instskip(NEXT) | instid1(VALU_DEP_3)
	v_fmac_f32_e32 v9, v38, v22
	v_fmac_f32_e32 v4, v39, v26
	;; [unrolled: 9-line block ×3, first 2 shown]
	s_delay_alu instid0(VALU_DEP_3) | instskip(NEXT) | instid1(VALU_DEP_3)
	v_dual_fmac_f32 v7, v42, v28 :: v_dual_fmac_f32 v8, v45, v25
	v_fmac_f32_e32 v9, v44, v25
	s_delay_alu instid0(VALU_DEP_3) | instskip(NEXT) | instid1(VALU_DEP_3)
	v_fmac_f32_e32 v4, v45, v29
	v_fmac_f32_e32 v7, v44, v29
	s_cbranch_scc0 .LBB25_2
.LBB25_3:
	s_clause 0x1
	s_load_b32 s3, s[0:1], 0x40
	s_load_b64 s[0:1], s[0:1], 0x48
	v_add_nc_u32_e32 v6, s13, v6
	v_add_nc_u32_e32 v0, s12, v5
	s_delay_alu instid0(VALU_DEP_2)
	v_cmp_gt_i32_e32 vcc_lo, s2, v6
	s_waitcnt lgkmcnt(0)
	v_mad_i64_i32 v[1:2], null, v6, s3, 0
	s_mul_i32 s1, s15, s1
	s_mul_hi_u32 s4, s15, s0
	s_mul_i32 s0, s15, s0
	s_add_i32 s1, s4, s1
	s_delay_alu instid0(SALU_CYCLE_1) | instskip(NEXT) | instid1(VALU_DEP_1)
	s_lshl_b64 s[4:5], s[0:1], 2
	v_lshlrev_b64 v[1:2], 2, v[1:2]
	s_add_u32 s4, s6, s4
	v_cmp_le_i32_e64 s0, v0, v6
	s_addc_u32 s5, s7, s5
	s_delay_alu instid0(VALU_DEP_2) | instskip(NEXT) | instid1(VALU_DEP_1)
	v_add_co_u32 v5, s1, s4, v1
	v_add_co_ci_u32_e64 v10, s1, s5, v2, s1
	s_delay_alu instid0(VALU_DEP_3) | instskip(NEXT) | instid1(SALU_CYCLE_1)
	s_and_b32 s0, vcc_lo, s0
	s_and_saveexec_b32 s1, s0
	s_cbranch_execz .LBB25_5
; %bb.4:
	v_ashrrev_i32_e32 v1, 31, v0
	v_xor_b32_e32 v3, 0x80000000, v9
	s_delay_alu instid0(VALU_DEP_2) | instskip(NEXT) | instid1(VALU_DEP_1)
	v_lshlrev_b64 v[1:2], 2, v[0:1]
	v_add_co_u32 v1, s0, v5, v1
	s_delay_alu instid0(VALU_DEP_1)
	v_add_co_ci_u32_e64 v2, s0, v10, v2, s0
	global_store_b32 v[1:2], v3, off
.LBB25_5:
	s_or_b32 exec_lo, exec_lo, s1
	v_add_nc_u32_e32 v2, 16, v0
	s_delay_alu instid0(VALU_DEP_1) | instskip(NEXT) | instid1(VALU_DEP_1)
	v_cmp_le_i32_e64 s0, v2, v6
	s_and_b32 s1, vcc_lo, s0
	s_delay_alu instid0(SALU_CYCLE_1)
	s_and_saveexec_b32 s0, s1
	s_cbranch_execz .LBB25_7
; %bb.6:
	v_ashrrev_i32_e32 v3, 31, v2
	v_xor_b32_e32 v1, 0x80000000, v8
	s_delay_alu instid0(VALU_DEP_2) | instskip(NEXT) | instid1(VALU_DEP_1)
	v_lshlrev_b64 v[11:12], 2, v[2:3]
	v_add_co_u32 v8, vcc_lo, v5, v11
	s_delay_alu instid0(VALU_DEP_2)
	v_add_co_ci_u32_e32 v9, vcc_lo, v10, v12, vcc_lo
	global_store_b32 v[8:9], v1, off
.LBB25_7:
	s_or_b32 exec_lo, exec_lo, s0
	v_add_nc_u32_e32 v3, 16, v6
	s_delay_alu instid0(VALU_DEP_1) | instskip(SKIP_2) | instid1(VALU_DEP_1)
	v_mad_i64_i32 v[5:6], null, v3, s3, 0
	v_cmp_gt_i32_e32 vcc_lo, s2, v3
	v_cmp_le_i32_e64 s0, v0, v3
	s_and_b32 s0, vcc_lo, s0
	s_delay_alu instid0(VALU_DEP_3) | instskip(NEXT) | instid1(VALU_DEP_1)
	v_lshlrev_b64 v[5:6], 2, v[5:6]
	v_add_co_u32 v5, s1, s4, v5
	s_delay_alu instid0(VALU_DEP_1)
	v_add_co_ci_u32_e64 v6, s1, s5, v6, s1
	s_and_saveexec_b32 s1, s0
	s_cbranch_execz .LBB25_9
; %bb.8:
	v_ashrrev_i32_e32 v1, 31, v0
	v_xor_b32_e32 v7, 0x80000000, v7
	s_delay_alu instid0(VALU_DEP_2) | instskip(NEXT) | instid1(VALU_DEP_1)
	v_lshlrev_b64 v[0:1], 2, v[0:1]
	v_add_co_u32 v0, s0, v5, v0
	s_delay_alu instid0(VALU_DEP_1)
	v_add_co_ci_u32_e64 v1, s0, v6, v1, s0
	global_store_b32 v[0:1], v7, off
.LBB25_9:
	s_or_b32 exec_lo, exec_lo, s1
	v_cmp_le_i32_e64 s0, v2, v3
	s_delay_alu instid0(VALU_DEP_1) | instskip(NEXT) | instid1(SALU_CYCLE_1)
	s_and_b32 s0, vcc_lo, s0
	s_and_saveexec_b32 s1, s0
	s_cbranch_execz .LBB25_11
; %bb.10:
	v_ashrrev_i32_e32 v3, 31, v2
	s_delay_alu instid0(VALU_DEP_1) | instskip(SKIP_1) | instid1(VALU_DEP_2)
	v_lshlrev_b64 v[0:1], 2, v[2:3]
	v_xor_b32_e32 v2, 0x80000000, v4
	v_add_co_u32 v0, vcc_lo, v5, v0
	s_delay_alu instid0(VALU_DEP_3)
	v_add_co_ci_u32_e32 v1, vcc_lo, v6, v1, vcc_lo
	global_store_b32 v[0:1], v2, off
.LBB25_11:
	s_nop 0
	s_sendmsg sendmsg(MSG_DEALLOC_VGPRS)
	s_endpgm
	.section	.rodata,"a",@progbits
	.p2align	6, 0x0
	.amdhsa_kernel _ZL37rocblas_syrkx_herkx_restricted_kernelIifLi16ELi32ELi8ELin1ELi0ELb0ELc78ELc85EKffEviT_PT9_S1_lS3_S1_lPT10_S1_li
		.amdhsa_group_segment_fixed_size 2048
		.amdhsa_private_segment_fixed_size 0
		.amdhsa_kernarg_size 84
		.amdhsa_user_sgpr_count 13
		.amdhsa_user_sgpr_dispatch_ptr 0
		.amdhsa_user_sgpr_queue_ptr 0
		.amdhsa_user_sgpr_kernarg_segment_ptr 1
		.amdhsa_user_sgpr_dispatch_id 0
		.amdhsa_user_sgpr_private_segment_size 0
		.amdhsa_wavefront_size32 1
		.amdhsa_uses_dynamic_stack 0
		.amdhsa_enable_private_segment 0
		.amdhsa_system_sgpr_workgroup_id_x 1
		.amdhsa_system_sgpr_workgroup_id_y 1
		.amdhsa_system_sgpr_workgroup_id_z 1
		.amdhsa_system_sgpr_workgroup_info 0
		.amdhsa_system_vgpr_workitem_id 1
		.amdhsa_next_free_vgpr 46
		.amdhsa_next_free_sgpr 23
		.amdhsa_reserve_vcc 1
		.amdhsa_float_round_mode_32 0
		.amdhsa_float_round_mode_16_64 0
		.amdhsa_float_denorm_mode_32 3
		.amdhsa_float_denorm_mode_16_64 3
		.amdhsa_dx10_clamp 1
		.amdhsa_ieee_mode 1
		.amdhsa_fp16_overflow 0
		.amdhsa_workgroup_processor_mode 1
		.amdhsa_memory_ordered 1
		.amdhsa_forward_progress 0
		.amdhsa_shared_vgpr_count 0
		.amdhsa_exception_fp_ieee_invalid_op 0
		.amdhsa_exception_fp_denorm_src 0
		.amdhsa_exception_fp_ieee_div_zero 0
		.amdhsa_exception_fp_ieee_overflow 0
		.amdhsa_exception_fp_ieee_underflow 0
		.amdhsa_exception_fp_ieee_inexact 0
		.amdhsa_exception_int_div_zero 0
	.end_amdhsa_kernel
	.section	.text._ZL37rocblas_syrkx_herkx_restricted_kernelIifLi16ELi32ELi8ELin1ELi0ELb0ELc78ELc85EKffEviT_PT9_S1_lS3_S1_lPT10_S1_li,"axG",@progbits,_ZL37rocblas_syrkx_herkx_restricted_kernelIifLi16ELi32ELi8ELin1ELi0ELb0ELc78ELc85EKffEviT_PT9_S1_lS3_S1_lPT10_S1_li,comdat
.Lfunc_end25:
	.size	_ZL37rocblas_syrkx_herkx_restricted_kernelIifLi16ELi32ELi8ELin1ELi0ELb0ELc78ELc85EKffEviT_PT9_S1_lS3_S1_lPT10_S1_li, .Lfunc_end25-_ZL37rocblas_syrkx_herkx_restricted_kernelIifLi16ELi32ELi8ELin1ELi0ELb0ELc78ELc85EKffEviT_PT9_S1_lS3_S1_lPT10_S1_li
                                        ; -- End function
	.section	.AMDGPU.csdata,"",@progbits
; Kernel info:
; codeLenInByte = 1216
; NumSgprs: 25
; NumVgprs: 46
; ScratchSize: 0
; MemoryBound: 0
; FloatMode: 240
; IeeeMode: 1
; LDSByteSize: 2048 bytes/workgroup (compile time only)
; SGPRBlocks: 3
; VGPRBlocks: 5
; NumSGPRsForWavesPerEU: 25
; NumVGPRsForWavesPerEU: 46
; Occupancy: 16
; WaveLimiterHint : 0
; COMPUTE_PGM_RSRC2:SCRATCH_EN: 0
; COMPUTE_PGM_RSRC2:USER_SGPR: 13
; COMPUTE_PGM_RSRC2:TRAP_HANDLER: 0
; COMPUTE_PGM_RSRC2:TGID_X_EN: 1
; COMPUTE_PGM_RSRC2:TGID_Y_EN: 1
; COMPUTE_PGM_RSRC2:TGID_Z_EN: 1
; COMPUTE_PGM_RSRC2:TIDIG_COMP_CNT: 1
	.section	.text._ZL37rocblas_syrkx_herkx_restricted_kernelIifLi16ELi32ELi8ELb1ELb0ELc84ELc76EKffEviT_T0_PT8_S1_lS4_S1_lS2_PT9_S1_li,"axG",@progbits,_ZL37rocblas_syrkx_herkx_restricted_kernelIifLi16ELi32ELi8ELb1ELb0ELc84ELc76EKffEviT_T0_PT8_S1_lS4_S1_lS2_PT9_S1_li,comdat
	.globl	_ZL37rocblas_syrkx_herkx_restricted_kernelIifLi16ELi32ELi8ELb1ELb0ELc84ELc76EKffEviT_T0_PT8_S1_lS4_S1_lS2_PT9_S1_li ; -- Begin function _ZL37rocblas_syrkx_herkx_restricted_kernelIifLi16ELi32ELi8ELb1ELb0ELc84ELc76EKffEviT_T0_PT8_S1_lS4_S1_lS2_PT9_S1_li
	.p2align	8
	.type	_ZL37rocblas_syrkx_herkx_restricted_kernelIifLi16ELi32ELi8ELb1ELb0ELc84ELc76EKffEviT_T0_PT8_S1_lS4_S1_lS2_PT9_S1_li,@function
_ZL37rocblas_syrkx_herkx_restricted_kernelIifLi16ELi32ELi8ELb1ELb0ELc84ELc76EKffEviT_T0_PT8_S1_lS4_S1_lS2_PT9_S1_li: ; @_ZL37rocblas_syrkx_herkx_restricted_kernelIifLi16ELi32ELi8ELb1ELb0ELc84ELc76EKffEviT_T0_PT8_S1_lS4_S1_lS2_PT9_S1_li
; %bb.0:
	s_load_b128 s[4:7], s[0:1], 0x0
	v_dual_mov_b32 v9, 0 :: v_dual_and_b32 v6, 0x3ff, v0
	v_bfe_u32 v7, v0, 10, 10
	v_dual_mov_b32 v8, 0 :: v_dual_mov_b32 v1, 0
	v_mov_b32_e32 v0, 0
	s_lshl_b32 s2, s13, 5
	s_lshl_b32 s3, s14, 5
	s_waitcnt lgkmcnt(0)
	s_mov_b32 s7, 0
	s_cmp_lt_i32 s5, 1
	s_cbranch_scc1 .LBB26_3
; %bb.1:
	s_clause 0x4
	s_load_b64 s[12:13], s[0:1], 0x38
	s_load_b32 s14, s[0:1], 0x30
	s_load_b128 s[8:11], s[0:1], 0x20
	s_load_b64 s[16:17], s[0:1], 0x10
	s_load_b32 s18, s[0:1], 0x18
	v_lshl_add_u32 v2, v7, 4, v6
	v_dual_mov_b32 v1, 0 :: v_dual_and_b32 v0, 7, v6
	v_lshlrev_b32_e32 v10, 2, v6
	s_delay_alu instid0(VALU_DEP_3) | instskip(SKIP_1) | instid1(VALU_DEP_4)
	v_lshrrev_b32_e32 v4, 3, v2
	v_and_b32_e32 v5, 31, v2
	v_lshlrev_b32_e32 v8, 2, v0
	v_lshrrev_b32_e32 v2, 5, v2
	v_mov_b32_e32 v3, v1
	v_add_nc_u32_e32 v9, s3, v4
	v_add_nc_u32_e32 v13, s2, v5
	v_lshl_or_b32 v8, v4, 5, v8
	v_lshlrev_b32_e32 v11, 2, v5
	s_waitcnt lgkmcnt(0)
	s_mul_i32 s13, s13, s15
	v_mad_i64_i32 v[4:5], null, s14, v9, v[0:1]
	s_mul_hi_u32 s14, s12, s15
	v_add_nc_u32_e32 v12, 0x400, v8
	v_mad_i64_i32 v[8:9], null, s18, v13, v[2:3]
	s_mul_i32 s12, s12, s15
	s_add_i32 s13, s14, s13
	s_delay_alu instid0(VALU_DEP_3)
	v_lshlrev_b64 v[4:5], 2, v[4:5]
	s_lshl_b64 s[12:13], s[12:13], 2
	s_mul_i32 s9, s9, s15
	s_add_u32 s10, s10, s12
	s_mul_hi_u32 s12, s8, s15
	s_addc_u32 s11, s11, s13
	s_add_i32 s9, s12, s9
	s_mul_i32 s8, s8, s15
	v_lshlrev_b64 v[8:9], 2, v[8:9]
	s_lshl_b64 s[8:9], s[8:9], 2
	v_lshl_or_b32 v11, v2, 7, v11
	v_add_co_u32 v2, vcc_lo, s10, v4
	s_add_u32 s8, s16, s8
	v_add_co_ci_u32_e32 v3, vcc_lo, s11, v5, vcc_lo
	s_addc_u32 s9, s17, s9
	v_add_co_u32 v4, vcc_lo, s8, v8
	v_mov_b32_e32 v8, v1
	v_lshl_add_u32 v13, v7, 5, 0x400
	v_add_co_ci_u32_e32 v5, vcc_lo, s9, v9, vcc_lo
	v_mov_b32_e32 v0, v1
	v_mov_b32_e32 v9, v1
.LBB26_2:                               ; =>This Inner Loop Header: Depth=1
	global_load_b32 v14, v[4:5], off
	global_load_b32 v15, v[2:3], off
	v_add_co_u32 v2, vcc_lo, v2, 32
	v_add_co_ci_u32_e32 v3, vcc_lo, 0, v3, vcc_lo
	v_add_co_u32 v4, vcc_lo, v4, 32
	v_add_co_ci_u32_e32 v5, vcc_lo, 0, v5, vcc_lo
	s_add_i32 s7, s7, 8
	s_waitcnt vmcnt(1)
	ds_store_b32 v11, v14
	s_waitcnt vmcnt(0)
	ds_store_b32 v12, v15
	s_waitcnt lgkmcnt(0)
	s_barrier
	buffer_gl0_inv
	ds_load_2addr_b32 v[30:31], v10 offset1:16
	ds_load_b128 v[14:17], v13
	ds_load_b128 v[18:21], v13 offset:512
	ds_load_2addr_b32 v[32:33], v10 offset0:32 offset1:48
	ds_load_2addr_b32 v[34:35], v10 offset0:64 offset1:80
	ds_load_b128 v[22:25], v13 offset:16
	ds_load_2addr_b32 v[36:37], v10 offset0:96 offset1:112
	ds_load_2addr_b32 v[38:39], v10 offset0:128 offset1:144
	;; [unrolled: 3-line block ×3, first 2 shown]
	ds_load_2addr_b32 v[44:45], v10 offset0:224 offset1:240
	s_cmp_ge_i32 s7, s5
	s_waitcnt lgkmcnt(0)
	s_barrier
	buffer_gl0_inv
	v_fmac_f32_e32 v8, v31, v14
	v_fmac_f32_e32 v9, v30, v14
	;; [unrolled: 1-line block ×4, first 2 shown]
	s_delay_alu instid0(VALU_DEP_4) | instskip(NEXT) | instid1(VALU_DEP_4)
	v_fmac_f32_e32 v8, v33, v15
	v_fmac_f32_e32 v9, v32, v15
	s_delay_alu instid0(VALU_DEP_4) | instskip(NEXT) | instid1(VALU_DEP_4)
	v_fmac_f32_e32 v1, v33, v19
	v_fmac_f32_e32 v0, v32, v19
	;; [unrolled: 3-line block ×14, first 2 shown]
	s_cbranch_scc0 .LBB26_2
.LBB26_3:
	s_clause 0x2
	s_load_b32 s5, s[0:1], 0x50
	s_load_b64 s[8:9], s[0:1], 0x58
	s_load_b64 s[10:11], s[0:1], 0x48
	v_add_nc_u32_e32 v7, s3, v7
	v_add_nc_u32_e32 v2, s2, v6
	s_delay_alu instid0(VALU_DEP_1)
	v_cmp_le_i32_e64 s0, v7, v2
	v_cmp_gt_i32_e32 vcc_lo, s4, v2
	s_waitcnt lgkmcnt(0)
	v_mad_i64_i32 v[3:4], null, v7, s5, 0
	s_mul_i32 s1, s15, s9
	s_mul_hi_u32 s3, s15, s8
	s_mul_i32 s2, s15, s8
	s_add_i32 s3, s3, s1
	s_delay_alu instid0(SALU_CYCLE_1) | instskip(NEXT) | instid1(VALU_DEP_1)
	s_lshl_b64 s[2:3], s[2:3], 2
	v_lshlrev_b64 v[3:4], 2, v[3:4]
	s_add_u32 s2, s10, s2
	s_addc_u32 s3, s11, s3
	s_and_b32 s0, s0, vcc_lo
	s_delay_alu instid0(VALU_DEP_1) | instskip(NEXT) | instid1(VALU_DEP_1)
	v_add_co_u32 v6, s1, s2, v3
	v_add_co_ci_u32_e64 v10, s1, s3, v4, s1
	s_and_saveexec_b32 s1, s0
	s_cbranch_execz .LBB26_5
; %bb.4:
	v_ashrrev_i32_e32 v3, 31, v2
	v_mul_f32_e32 v5, s6, v9
	s_delay_alu instid0(VALU_DEP_2) | instskip(NEXT) | instid1(VALU_DEP_1)
	v_lshlrev_b64 v[3:4], 2, v[2:3]
	v_add_co_u32 v3, s0, v6, v3
	s_delay_alu instid0(VALU_DEP_1)
	v_add_co_ci_u32_e64 v4, s0, v10, v4, s0
	global_store_b32 v[3:4], v5, off
.LBB26_5:
	s_or_b32 exec_lo, exec_lo, s1
	v_add_nc_u32_e32 v4, 16, v2
	s_delay_alu instid0(VALU_DEP_1) | instskip(SKIP_1) | instid1(VALU_DEP_1)
	v_cmp_le_i32_e64 s1, v7, v4
	v_cmp_gt_i32_e64 s0, s4, v4
	s_and_b32 s1, s1, s0
	s_delay_alu instid0(SALU_CYCLE_1)
	s_and_saveexec_b32 s4, s1
	s_cbranch_execz .LBB26_7
; %bb.6:
	v_ashrrev_i32_e32 v5, 31, v4
	v_mul_f32_e32 v3, s6, v8
	s_delay_alu instid0(VALU_DEP_2) | instskip(NEXT) | instid1(VALU_DEP_1)
	v_lshlrev_b64 v[11:12], 2, v[4:5]
	v_add_co_u32 v5, s1, v6, v11
	s_delay_alu instid0(VALU_DEP_1)
	v_add_co_ci_u32_e64 v6, s1, v10, v12, s1
	global_store_b32 v[5:6], v3, off
.LBB26_7:
	s_or_b32 exec_lo, exec_lo, s4
	v_add_nc_u32_e32 v5, 16, v7
	s_delay_alu instid0(VALU_DEP_1) | instskip(SKIP_1) | instid1(VALU_DEP_2)
	v_mad_i64_i32 v[6:7], null, v5, s5, 0
	v_cmp_le_i32_e64 s1, v5, v2
	v_lshlrev_b64 v[6:7], 2, v[6:7]
	s_delay_alu instid0(VALU_DEP_1) | instskip(NEXT) | instid1(VALU_DEP_1)
	v_add_co_u32 v6, s2, s2, v6
	v_add_co_ci_u32_e64 v7, s2, s3, v7, s2
	s_delay_alu instid0(VALU_DEP_4) | instskip(NEXT) | instid1(SALU_CYCLE_1)
	s_and_b32 s2, s1, vcc_lo
	s_and_saveexec_b32 s1, s2
	s_cbranch_execz .LBB26_9
; %bb.8:
	v_ashrrev_i32_e32 v3, 31, v2
	v_mul_f32_e32 v0, s6, v0
	s_delay_alu instid0(VALU_DEP_2) | instskip(NEXT) | instid1(VALU_DEP_1)
	v_lshlrev_b64 v[2:3], 2, v[2:3]
	v_add_co_u32 v2, vcc_lo, v6, v2
	s_delay_alu instid0(VALU_DEP_2)
	v_add_co_ci_u32_e32 v3, vcc_lo, v7, v3, vcc_lo
	global_store_b32 v[2:3], v0, off
.LBB26_9:
	s_or_b32 exec_lo, exec_lo, s1
	v_cmp_le_i32_e32 vcc_lo, v5, v4
	s_and_b32 s0, vcc_lo, s0
	s_delay_alu instid0(SALU_CYCLE_1)
	s_and_saveexec_b32 s1, s0
	s_cbranch_execz .LBB26_11
; %bb.10:
	v_ashrrev_i32_e32 v5, 31, v4
	s_delay_alu instid0(VALU_DEP_1) | instskip(SKIP_1) | instid1(VALU_DEP_2)
	v_lshlrev_b64 v[2:3], 2, v[4:5]
	v_mul_f32_e32 v4, s6, v1
	v_add_co_u32 v0, vcc_lo, v6, v2
	s_delay_alu instid0(VALU_DEP_3)
	v_add_co_ci_u32_e32 v1, vcc_lo, v7, v3, vcc_lo
	global_store_b32 v[0:1], v4, off
.LBB26_11:
	s_nop 0
	s_sendmsg sendmsg(MSG_DEALLOC_VGPRS)
	s_endpgm
	.section	.rodata,"a",@progbits
	.p2align	6, 0x0
	.amdhsa_kernel _ZL37rocblas_syrkx_herkx_restricted_kernelIifLi16ELi32ELi8ELb1ELb0ELc84ELc76EKffEviT_T0_PT8_S1_lS4_S1_lS2_PT9_S1_li
		.amdhsa_group_segment_fixed_size 2048
		.amdhsa_private_segment_fixed_size 0
		.amdhsa_kernarg_size 100
		.amdhsa_user_sgpr_count 13
		.amdhsa_user_sgpr_dispatch_ptr 0
		.amdhsa_user_sgpr_queue_ptr 0
		.amdhsa_user_sgpr_kernarg_segment_ptr 1
		.amdhsa_user_sgpr_dispatch_id 0
		.amdhsa_user_sgpr_private_segment_size 0
		.amdhsa_wavefront_size32 1
		.amdhsa_uses_dynamic_stack 0
		.amdhsa_enable_private_segment 0
		.amdhsa_system_sgpr_workgroup_id_x 1
		.amdhsa_system_sgpr_workgroup_id_y 1
		.amdhsa_system_sgpr_workgroup_id_z 1
		.amdhsa_system_sgpr_workgroup_info 0
		.amdhsa_system_vgpr_workitem_id 1
		.amdhsa_next_free_vgpr 46
		.amdhsa_next_free_sgpr 19
		.amdhsa_reserve_vcc 1
		.amdhsa_float_round_mode_32 0
		.amdhsa_float_round_mode_16_64 0
		.amdhsa_float_denorm_mode_32 3
		.amdhsa_float_denorm_mode_16_64 3
		.amdhsa_dx10_clamp 1
		.amdhsa_ieee_mode 1
		.amdhsa_fp16_overflow 0
		.amdhsa_workgroup_processor_mode 1
		.amdhsa_memory_ordered 1
		.amdhsa_forward_progress 0
		.amdhsa_shared_vgpr_count 0
		.amdhsa_exception_fp_ieee_invalid_op 0
		.amdhsa_exception_fp_denorm_src 0
		.amdhsa_exception_fp_ieee_div_zero 0
		.amdhsa_exception_fp_ieee_overflow 0
		.amdhsa_exception_fp_ieee_underflow 0
		.amdhsa_exception_fp_ieee_inexact 0
		.amdhsa_exception_int_div_zero 0
	.end_amdhsa_kernel
	.section	.text._ZL37rocblas_syrkx_herkx_restricted_kernelIifLi16ELi32ELi8ELb1ELb0ELc84ELc76EKffEviT_T0_PT8_S1_lS4_S1_lS2_PT9_S1_li,"axG",@progbits,_ZL37rocblas_syrkx_herkx_restricted_kernelIifLi16ELi32ELi8ELb1ELb0ELc84ELc76EKffEviT_T0_PT8_S1_lS4_S1_lS2_PT9_S1_li,comdat
.Lfunc_end26:
	.size	_ZL37rocblas_syrkx_herkx_restricted_kernelIifLi16ELi32ELi8ELb1ELb0ELc84ELc76EKffEviT_T0_PT8_S1_lS4_S1_lS2_PT9_S1_li, .Lfunc_end26-_ZL37rocblas_syrkx_herkx_restricted_kernelIifLi16ELi32ELi8ELb1ELb0ELc84ELc76EKffEviT_T0_PT8_S1_lS4_S1_lS2_PT9_S1_li
                                        ; -- End function
	.section	.AMDGPU.csdata,"",@progbits
; Kernel info:
; codeLenInByte = 1192
; NumSgprs: 21
; NumVgprs: 46
; ScratchSize: 0
; MemoryBound: 0
; FloatMode: 240
; IeeeMode: 1
; LDSByteSize: 2048 bytes/workgroup (compile time only)
; SGPRBlocks: 2
; VGPRBlocks: 5
; NumSGPRsForWavesPerEU: 21
; NumVGPRsForWavesPerEU: 46
; Occupancy: 16
; WaveLimiterHint : 0
; COMPUTE_PGM_RSRC2:SCRATCH_EN: 0
; COMPUTE_PGM_RSRC2:USER_SGPR: 13
; COMPUTE_PGM_RSRC2:TRAP_HANDLER: 0
; COMPUTE_PGM_RSRC2:TGID_X_EN: 1
; COMPUTE_PGM_RSRC2:TGID_Y_EN: 1
; COMPUTE_PGM_RSRC2:TGID_Z_EN: 1
; COMPUTE_PGM_RSRC2:TIDIG_COMP_CNT: 1
	.section	.text._ZL37rocblas_syrkx_herkx_restricted_kernelIifLi16ELi32ELi8ELb1ELb0ELc67ELc76EKffEviT_T0_PT8_S1_lS4_S1_lS2_PT9_S1_li,"axG",@progbits,_ZL37rocblas_syrkx_herkx_restricted_kernelIifLi16ELi32ELi8ELb1ELb0ELc67ELc76EKffEviT_T0_PT8_S1_lS4_S1_lS2_PT9_S1_li,comdat
	.globl	_ZL37rocblas_syrkx_herkx_restricted_kernelIifLi16ELi32ELi8ELb1ELb0ELc67ELc76EKffEviT_T0_PT8_S1_lS4_S1_lS2_PT9_S1_li ; -- Begin function _ZL37rocblas_syrkx_herkx_restricted_kernelIifLi16ELi32ELi8ELb1ELb0ELc67ELc76EKffEviT_T0_PT8_S1_lS4_S1_lS2_PT9_S1_li
	.p2align	8
	.type	_ZL37rocblas_syrkx_herkx_restricted_kernelIifLi16ELi32ELi8ELb1ELb0ELc67ELc76EKffEviT_T0_PT8_S1_lS4_S1_lS2_PT9_S1_li,@function
_ZL37rocblas_syrkx_herkx_restricted_kernelIifLi16ELi32ELi8ELb1ELb0ELc67ELc76EKffEviT_T0_PT8_S1_lS4_S1_lS2_PT9_S1_li: ; @_ZL37rocblas_syrkx_herkx_restricted_kernelIifLi16ELi32ELi8ELb1ELb0ELc67ELc76EKffEviT_T0_PT8_S1_lS4_S1_lS2_PT9_S1_li
; %bb.0:
	s_load_b128 s[4:7], s[0:1], 0x0
	v_dual_mov_b32 v9, 0 :: v_dual_and_b32 v6, 0x3ff, v0
	v_bfe_u32 v7, v0, 10, 10
	v_dual_mov_b32 v8, 0 :: v_dual_mov_b32 v1, 0
	v_mov_b32_e32 v0, 0
	s_lshl_b32 s2, s13, 5
	s_lshl_b32 s3, s14, 5
	s_waitcnt lgkmcnt(0)
	s_mov_b32 s7, 0
	s_cmp_lt_i32 s5, 1
	s_cbranch_scc1 .LBB27_3
; %bb.1:
	s_clause 0x4
	s_load_b64 s[12:13], s[0:1], 0x38
	s_load_b32 s14, s[0:1], 0x30
	s_load_b128 s[8:11], s[0:1], 0x20
	s_load_b64 s[16:17], s[0:1], 0x10
	s_load_b32 s18, s[0:1], 0x18
	v_lshl_add_u32 v2, v7, 4, v6
	v_dual_mov_b32 v1, 0 :: v_dual_and_b32 v0, 7, v6
	v_lshlrev_b32_e32 v10, 2, v6
	s_delay_alu instid0(VALU_DEP_3) | instskip(SKIP_1) | instid1(VALU_DEP_4)
	v_lshrrev_b32_e32 v4, 3, v2
	v_and_b32_e32 v5, 31, v2
	v_lshlrev_b32_e32 v8, 2, v0
	v_lshrrev_b32_e32 v2, 5, v2
	v_mov_b32_e32 v3, v1
	v_add_nc_u32_e32 v9, s3, v4
	v_add_nc_u32_e32 v13, s2, v5
	v_lshl_or_b32 v8, v4, 5, v8
	v_lshlrev_b32_e32 v11, 2, v5
	s_waitcnt lgkmcnt(0)
	s_mul_i32 s13, s13, s15
	v_mad_i64_i32 v[4:5], null, s14, v9, v[0:1]
	s_mul_hi_u32 s14, s12, s15
	v_add_nc_u32_e32 v12, 0x400, v8
	v_mad_i64_i32 v[8:9], null, s18, v13, v[2:3]
	s_mul_i32 s12, s12, s15
	s_add_i32 s13, s14, s13
	s_delay_alu instid0(VALU_DEP_3)
	v_lshlrev_b64 v[4:5], 2, v[4:5]
	s_lshl_b64 s[12:13], s[12:13], 2
	s_mul_i32 s9, s9, s15
	s_add_u32 s10, s10, s12
	s_mul_hi_u32 s12, s8, s15
	s_addc_u32 s11, s11, s13
	s_add_i32 s9, s12, s9
	s_mul_i32 s8, s8, s15
	v_lshlrev_b64 v[8:9], 2, v[8:9]
	s_lshl_b64 s[8:9], s[8:9], 2
	v_lshl_or_b32 v11, v2, 7, v11
	v_add_co_u32 v2, vcc_lo, s10, v4
	s_add_u32 s8, s16, s8
	v_add_co_ci_u32_e32 v3, vcc_lo, s11, v5, vcc_lo
	s_addc_u32 s9, s17, s9
	v_add_co_u32 v4, vcc_lo, s8, v8
	v_mov_b32_e32 v8, v1
	v_lshl_add_u32 v13, v7, 5, 0x400
	v_add_co_ci_u32_e32 v5, vcc_lo, s9, v9, vcc_lo
	v_mov_b32_e32 v0, v1
	v_mov_b32_e32 v9, v1
.LBB27_2:                               ; =>This Inner Loop Header: Depth=1
	global_load_b32 v14, v[4:5], off
	global_load_b32 v15, v[2:3], off
	v_add_co_u32 v2, vcc_lo, v2, 32
	v_add_co_ci_u32_e32 v3, vcc_lo, 0, v3, vcc_lo
	v_add_co_u32 v4, vcc_lo, v4, 32
	v_add_co_ci_u32_e32 v5, vcc_lo, 0, v5, vcc_lo
	s_add_i32 s7, s7, 8
	s_waitcnt vmcnt(1)
	ds_store_b32 v11, v14
	s_waitcnt vmcnt(0)
	ds_store_b32 v12, v15
	s_waitcnt lgkmcnt(0)
	s_barrier
	buffer_gl0_inv
	ds_load_2addr_b32 v[30:31], v10 offset1:16
	ds_load_b128 v[14:17], v13
	ds_load_b128 v[18:21], v13 offset:512
	ds_load_2addr_b32 v[32:33], v10 offset0:32 offset1:48
	ds_load_2addr_b32 v[34:35], v10 offset0:64 offset1:80
	ds_load_b128 v[22:25], v13 offset:16
	ds_load_2addr_b32 v[36:37], v10 offset0:96 offset1:112
	ds_load_2addr_b32 v[38:39], v10 offset0:128 offset1:144
	;; [unrolled: 3-line block ×3, first 2 shown]
	ds_load_2addr_b32 v[44:45], v10 offset0:224 offset1:240
	s_cmp_ge_i32 s7, s5
	s_waitcnt lgkmcnt(0)
	s_barrier
	buffer_gl0_inv
	v_fmac_f32_e32 v8, v31, v14
	v_fmac_f32_e32 v9, v30, v14
	;; [unrolled: 1-line block ×4, first 2 shown]
	s_delay_alu instid0(VALU_DEP_4) | instskip(NEXT) | instid1(VALU_DEP_4)
	v_fmac_f32_e32 v8, v33, v15
	v_fmac_f32_e32 v9, v32, v15
	s_delay_alu instid0(VALU_DEP_4) | instskip(NEXT) | instid1(VALU_DEP_4)
	v_fmac_f32_e32 v1, v33, v19
	v_fmac_f32_e32 v0, v32, v19
	s_delay_alu instid0(VALU_DEP_4) | instskip(NEXT) | instid1(VALU_DEP_4)
	v_fmac_f32_e32 v8, v35, v16
	v_fmac_f32_e32 v9, v34, v16
	s_delay_alu instid0(VALU_DEP_4) | instskip(NEXT) | instid1(VALU_DEP_4)
	v_fmac_f32_e32 v1, v35, v20
	v_fmac_f32_e32 v0, v34, v20
	s_delay_alu instid0(VALU_DEP_4) | instskip(NEXT) | instid1(VALU_DEP_4)
	v_fmac_f32_e32 v8, v37, v17
	v_fmac_f32_e32 v9, v36, v17
	s_delay_alu instid0(VALU_DEP_4) | instskip(NEXT) | instid1(VALU_DEP_4)
	v_fmac_f32_e32 v1, v37, v21
	v_fmac_f32_e32 v0, v36, v21
	s_delay_alu instid0(VALU_DEP_4) | instskip(NEXT) | instid1(VALU_DEP_4)
	v_fmac_f32_e32 v8, v39, v22
	v_fmac_f32_e32 v9, v38, v22
	s_delay_alu instid0(VALU_DEP_4) | instskip(NEXT) | instid1(VALU_DEP_4)
	v_fmac_f32_e32 v1, v39, v26
	v_fmac_f32_e32 v0, v38, v26
	s_delay_alu instid0(VALU_DEP_4) | instskip(NEXT) | instid1(VALU_DEP_4)
	v_fmac_f32_e32 v8, v41, v23
	v_fmac_f32_e32 v9, v40, v23
	s_delay_alu instid0(VALU_DEP_4) | instskip(NEXT) | instid1(VALU_DEP_4)
	v_fmac_f32_e32 v1, v41, v27
	v_fmac_f32_e32 v0, v40, v27
	s_delay_alu instid0(VALU_DEP_4) | instskip(NEXT) | instid1(VALU_DEP_4)
	v_fmac_f32_e32 v8, v43, v24
	v_fmac_f32_e32 v9, v42, v24
	s_delay_alu instid0(VALU_DEP_4) | instskip(NEXT) | instid1(VALU_DEP_4)
	v_fmac_f32_e32 v1, v43, v28
	v_fmac_f32_e32 v0, v42, v28
	s_delay_alu instid0(VALU_DEP_4) | instskip(NEXT) | instid1(VALU_DEP_4)
	v_fmac_f32_e32 v8, v45, v25
	v_fmac_f32_e32 v9, v44, v25
	s_delay_alu instid0(VALU_DEP_4) | instskip(NEXT) | instid1(VALU_DEP_4)
	v_fmac_f32_e32 v1, v45, v29
	v_fmac_f32_e32 v0, v44, v29
	s_cbranch_scc0 .LBB27_2
.LBB27_3:
	s_clause 0x2
	s_load_b32 s5, s[0:1], 0x50
	s_load_b64 s[8:9], s[0:1], 0x58
	s_load_b64 s[10:11], s[0:1], 0x48
	v_add_nc_u32_e32 v7, s3, v7
	v_add_nc_u32_e32 v2, s2, v6
	s_delay_alu instid0(VALU_DEP_1)
	v_cmp_le_i32_e64 s0, v7, v2
	v_cmp_gt_i32_e32 vcc_lo, s4, v2
	s_waitcnt lgkmcnt(0)
	v_mad_i64_i32 v[3:4], null, v7, s5, 0
	s_mul_i32 s1, s15, s9
	s_mul_hi_u32 s3, s15, s8
	s_mul_i32 s2, s15, s8
	s_add_i32 s3, s3, s1
	s_delay_alu instid0(SALU_CYCLE_1) | instskip(NEXT) | instid1(VALU_DEP_1)
	s_lshl_b64 s[2:3], s[2:3], 2
	v_lshlrev_b64 v[3:4], 2, v[3:4]
	s_add_u32 s2, s10, s2
	s_addc_u32 s3, s11, s3
	s_and_b32 s0, s0, vcc_lo
	s_delay_alu instid0(VALU_DEP_1) | instskip(NEXT) | instid1(VALU_DEP_1)
	v_add_co_u32 v6, s1, s2, v3
	v_add_co_ci_u32_e64 v10, s1, s3, v4, s1
	s_and_saveexec_b32 s1, s0
	s_cbranch_execz .LBB27_5
; %bb.4:
	v_ashrrev_i32_e32 v3, 31, v2
	v_mul_f32_e32 v5, s6, v9
	s_delay_alu instid0(VALU_DEP_2) | instskip(NEXT) | instid1(VALU_DEP_1)
	v_lshlrev_b64 v[3:4], 2, v[2:3]
	v_add_co_u32 v3, s0, v6, v3
	s_delay_alu instid0(VALU_DEP_1)
	v_add_co_ci_u32_e64 v4, s0, v10, v4, s0
	global_store_b32 v[3:4], v5, off
.LBB27_5:
	s_or_b32 exec_lo, exec_lo, s1
	v_add_nc_u32_e32 v4, 16, v2
	s_delay_alu instid0(VALU_DEP_1) | instskip(SKIP_1) | instid1(VALU_DEP_1)
	v_cmp_le_i32_e64 s1, v7, v4
	v_cmp_gt_i32_e64 s0, s4, v4
	s_and_b32 s1, s1, s0
	s_delay_alu instid0(SALU_CYCLE_1)
	s_and_saveexec_b32 s4, s1
	s_cbranch_execz .LBB27_7
; %bb.6:
	v_ashrrev_i32_e32 v5, 31, v4
	v_mul_f32_e32 v3, s6, v8
	s_delay_alu instid0(VALU_DEP_2) | instskip(NEXT) | instid1(VALU_DEP_1)
	v_lshlrev_b64 v[11:12], 2, v[4:5]
	v_add_co_u32 v5, s1, v6, v11
	s_delay_alu instid0(VALU_DEP_1)
	v_add_co_ci_u32_e64 v6, s1, v10, v12, s1
	global_store_b32 v[5:6], v3, off
.LBB27_7:
	s_or_b32 exec_lo, exec_lo, s4
	v_add_nc_u32_e32 v5, 16, v7
	s_delay_alu instid0(VALU_DEP_1) | instskip(SKIP_1) | instid1(VALU_DEP_2)
	v_mad_i64_i32 v[6:7], null, v5, s5, 0
	v_cmp_le_i32_e64 s1, v5, v2
	v_lshlrev_b64 v[6:7], 2, v[6:7]
	s_delay_alu instid0(VALU_DEP_1) | instskip(NEXT) | instid1(VALU_DEP_1)
	v_add_co_u32 v6, s2, s2, v6
	v_add_co_ci_u32_e64 v7, s2, s3, v7, s2
	s_delay_alu instid0(VALU_DEP_4) | instskip(NEXT) | instid1(SALU_CYCLE_1)
	s_and_b32 s2, s1, vcc_lo
	s_and_saveexec_b32 s1, s2
	s_cbranch_execz .LBB27_9
; %bb.8:
	v_ashrrev_i32_e32 v3, 31, v2
	v_mul_f32_e32 v0, s6, v0
	s_delay_alu instid0(VALU_DEP_2) | instskip(NEXT) | instid1(VALU_DEP_1)
	v_lshlrev_b64 v[2:3], 2, v[2:3]
	v_add_co_u32 v2, vcc_lo, v6, v2
	s_delay_alu instid0(VALU_DEP_2)
	v_add_co_ci_u32_e32 v3, vcc_lo, v7, v3, vcc_lo
	global_store_b32 v[2:3], v0, off
.LBB27_9:
	s_or_b32 exec_lo, exec_lo, s1
	v_cmp_le_i32_e32 vcc_lo, v5, v4
	s_and_b32 s0, vcc_lo, s0
	s_delay_alu instid0(SALU_CYCLE_1)
	s_and_saveexec_b32 s1, s0
	s_cbranch_execz .LBB27_11
; %bb.10:
	v_ashrrev_i32_e32 v5, 31, v4
	s_delay_alu instid0(VALU_DEP_1) | instskip(SKIP_1) | instid1(VALU_DEP_2)
	v_lshlrev_b64 v[2:3], 2, v[4:5]
	v_mul_f32_e32 v4, s6, v1
	v_add_co_u32 v0, vcc_lo, v6, v2
	s_delay_alu instid0(VALU_DEP_3)
	v_add_co_ci_u32_e32 v1, vcc_lo, v7, v3, vcc_lo
	global_store_b32 v[0:1], v4, off
.LBB27_11:
	s_nop 0
	s_sendmsg sendmsg(MSG_DEALLOC_VGPRS)
	s_endpgm
	.section	.rodata,"a",@progbits
	.p2align	6, 0x0
	.amdhsa_kernel _ZL37rocblas_syrkx_herkx_restricted_kernelIifLi16ELi32ELi8ELb1ELb0ELc67ELc76EKffEviT_T0_PT8_S1_lS4_S1_lS2_PT9_S1_li
		.amdhsa_group_segment_fixed_size 2048
		.amdhsa_private_segment_fixed_size 0
		.amdhsa_kernarg_size 100
		.amdhsa_user_sgpr_count 13
		.amdhsa_user_sgpr_dispatch_ptr 0
		.amdhsa_user_sgpr_queue_ptr 0
		.amdhsa_user_sgpr_kernarg_segment_ptr 1
		.amdhsa_user_sgpr_dispatch_id 0
		.amdhsa_user_sgpr_private_segment_size 0
		.amdhsa_wavefront_size32 1
		.amdhsa_uses_dynamic_stack 0
		.amdhsa_enable_private_segment 0
		.amdhsa_system_sgpr_workgroup_id_x 1
		.amdhsa_system_sgpr_workgroup_id_y 1
		.amdhsa_system_sgpr_workgroup_id_z 1
		.amdhsa_system_sgpr_workgroup_info 0
		.amdhsa_system_vgpr_workitem_id 1
		.amdhsa_next_free_vgpr 46
		.amdhsa_next_free_sgpr 19
		.amdhsa_reserve_vcc 1
		.amdhsa_float_round_mode_32 0
		.amdhsa_float_round_mode_16_64 0
		.amdhsa_float_denorm_mode_32 3
		.amdhsa_float_denorm_mode_16_64 3
		.amdhsa_dx10_clamp 1
		.amdhsa_ieee_mode 1
		.amdhsa_fp16_overflow 0
		.amdhsa_workgroup_processor_mode 1
		.amdhsa_memory_ordered 1
		.amdhsa_forward_progress 0
		.amdhsa_shared_vgpr_count 0
		.amdhsa_exception_fp_ieee_invalid_op 0
		.amdhsa_exception_fp_denorm_src 0
		.amdhsa_exception_fp_ieee_div_zero 0
		.amdhsa_exception_fp_ieee_overflow 0
		.amdhsa_exception_fp_ieee_underflow 0
		.amdhsa_exception_fp_ieee_inexact 0
		.amdhsa_exception_int_div_zero 0
	.end_amdhsa_kernel
	.section	.text._ZL37rocblas_syrkx_herkx_restricted_kernelIifLi16ELi32ELi8ELb1ELb0ELc67ELc76EKffEviT_T0_PT8_S1_lS4_S1_lS2_PT9_S1_li,"axG",@progbits,_ZL37rocblas_syrkx_herkx_restricted_kernelIifLi16ELi32ELi8ELb1ELb0ELc67ELc76EKffEviT_T0_PT8_S1_lS4_S1_lS2_PT9_S1_li,comdat
.Lfunc_end27:
	.size	_ZL37rocblas_syrkx_herkx_restricted_kernelIifLi16ELi32ELi8ELb1ELb0ELc67ELc76EKffEviT_T0_PT8_S1_lS4_S1_lS2_PT9_S1_li, .Lfunc_end27-_ZL37rocblas_syrkx_herkx_restricted_kernelIifLi16ELi32ELi8ELb1ELb0ELc67ELc76EKffEviT_T0_PT8_S1_lS4_S1_lS2_PT9_S1_li
                                        ; -- End function
	.section	.AMDGPU.csdata,"",@progbits
; Kernel info:
; codeLenInByte = 1192
; NumSgprs: 21
; NumVgprs: 46
; ScratchSize: 0
; MemoryBound: 0
; FloatMode: 240
; IeeeMode: 1
; LDSByteSize: 2048 bytes/workgroup (compile time only)
; SGPRBlocks: 2
; VGPRBlocks: 5
; NumSGPRsForWavesPerEU: 21
; NumVGPRsForWavesPerEU: 46
; Occupancy: 16
; WaveLimiterHint : 0
; COMPUTE_PGM_RSRC2:SCRATCH_EN: 0
; COMPUTE_PGM_RSRC2:USER_SGPR: 13
; COMPUTE_PGM_RSRC2:TRAP_HANDLER: 0
; COMPUTE_PGM_RSRC2:TGID_X_EN: 1
; COMPUTE_PGM_RSRC2:TGID_Y_EN: 1
; COMPUTE_PGM_RSRC2:TGID_Z_EN: 1
; COMPUTE_PGM_RSRC2:TIDIG_COMP_CNT: 1
	.section	.text._ZL37rocblas_syrkx_herkx_restricted_kernelIifLi16ELi32ELi8ELb1ELb0ELc78ELc76EKffEviT_T0_PT8_S1_lS4_S1_lS2_PT9_S1_li,"axG",@progbits,_ZL37rocblas_syrkx_herkx_restricted_kernelIifLi16ELi32ELi8ELb1ELb0ELc78ELc76EKffEviT_T0_PT8_S1_lS4_S1_lS2_PT9_S1_li,comdat
	.globl	_ZL37rocblas_syrkx_herkx_restricted_kernelIifLi16ELi32ELi8ELb1ELb0ELc78ELc76EKffEviT_T0_PT8_S1_lS4_S1_lS2_PT9_S1_li ; -- Begin function _ZL37rocblas_syrkx_herkx_restricted_kernelIifLi16ELi32ELi8ELb1ELb0ELc78ELc76EKffEviT_T0_PT8_S1_lS4_S1_lS2_PT9_S1_li
	.p2align	8
	.type	_ZL37rocblas_syrkx_herkx_restricted_kernelIifLi16ELi32ELi8ELb1ELb0ELc78ELc76EKffEviT_T0_PT8_S1_lS4_S1_lS2_PT9_S1_li,@function
_ZL37rocblas_syrkx_herkx_restricted_kernelIifLi16ELi32ELi8ELb1ELb0ELc78ELc76EKffEviT_T0_PT8_S1_lS4_S1_lS2_PT9_S1_li: ; @_ZL37rocblas_syrkx_herkx_restricted_kernelIifLi16ELi32ELi8ELb1ELb0ELc78ELc76EKffEviT_T0_PT8_S1_lS4_S1_lS2_PT9_S1_li
; %bb.0:
	s_load_b128 s[4:7], s[0:1], 0x0
	v_dual_mov_b32 v8, 0 :: v_dual_and_b32 v5, 0x3ff, v0
	v_bfe_u32 v6, v0, 10, 10
	v_dual_mov_b32 v9, 0 :: v_dual_mov_b32 v4, 0
	v_mov_b32_e32 v7, 0
	s_waitcnt lgkmcnt(0)
	s_lshl_b32 s7, s13, 5
	s_lshl_b32 s12, s14, 5
	s_mov_b32 s13, 0
	s_cmp_lt_i32 s5, 1
	s_cbranch_scc1 .LBB28_3
; %bb.1:
	v_lshl_add_u32 v0, v6, 4, v5
	s_clause 0x2
	s_load_b32 s16, s[0:1], 0x18
	s_load_b32 s2, s[0:1], 0x30
	s_load_b64 s[18:19], s[0:1], 0x38
	v_and_b32_e32 v4, 7, v5
	s_clause 0x1
	s_load_b128 s[8:11], s[0:1], 0x20
	s_load_b64 s[20:21], s[0:1], 0x10
	v_lshrrev_b32_e32 v1, 3, v0
	v_and_b32_e32 v7, 31, v0
	v_lshlrev_b32_e32 v2, 2, v4
	v_lshrrev_b32_e32 v9, 5, v0
	v_lshlrev_b32_e32 v12, 2, v5
	v_add_nc_u32_e32 v0, s12, v1
	v_lshlrev_b32_e32 v3, 2, v7
	v_lshl_or_b32 v2, v1, 5, v2
	v_lshl_add_u32 v13, v6, 5, 0x400
	s_delay_alu instid0(VALU_DEP_4) | instskip(NEXT) | instid1(VALU_DEP_4)
	v_ashrrev_i32_e32 v1, 31, v0
	v_lshl_or_b32 v10, v9, 7, v3
	s_delay_alu instid0(VALU_DEP_4)
	v_add_nc_u32_e32 v11, 0x400, v2
	s_waitcnt lgkmcnt(0)
	s_ashr_i32 s17, s16, 31
	v_mad_i64_i32 v[2:3], null, s2, v4, v[0:1]
	v_mov_b32_e32 v4, 0
	v_add_nc_u32_e32 v0, s7, v7
	s_mul_i32 s14, s19, s15
	s_mul_hi_u32 s19, s18, s15
	s_mul_i32 s18, s18, s15
	s_add_i32 s19, s19, s14
	v_ashrrev_i32_e32 v1, 31, v0
	v_lshlrev_b64 v[2:3], 2, v[2:3]
	s_lshl_b64 s[18:19], s[18:19], 2
	s_ashr_i32 s3, s2, 31
	s_add_u32 s10, s10, s18
	v_mad_i64_i32 v[7:8], null, s16, v9, v[0:1]
	s_addc_u32 s11, s11, s19
	s_mul_i32 s9, s9, s15
	s_mul_hi_u32 s14, s8, s15
	v_add_co_u32 v0, vcc_lo, s10, v2
	v_add_co_ci_u32_e32 v1, vcc_lo, s11, v3, vcc_lo
	s_add_i32 s9, s14, s9
	s_mul_i32 s8, s8, s15
	v_lshlrev_b64 v[2:3], 2, v[7:8]
	v_mov_b32_e32 v8, 0
	s_lshl_b64 s[8:9], s[8:9], 2
	s_lshl_b64 s[2:3], s[2:3], 5
	s_add_u32 s8, s20, s8
	s_addc_u32 s9, s21, s9
	v_add_co_u32 v2, vcc_lo, s8, v2
	v_add_co_ci_u32_e32 v3, vcc_lo, s9, v3, vcc_lo
	v_mov_b32_e32 v7, 0
	v_mov_b32_e32 v9, 0
	s_lshl_b64 s[8:9], s[16:17], 5
.LBB28_2:                               ; =>This Inner Loop Header: Depth=1
	global_load_b32 v14, v[2:3], off
	global_load_b32 v15, v[0:1], off
	v_add_co_u32 v0, vcc_lo, v0, s2
	v_add_co_ci_u32_e32 v1, vcc_lo, s3, v1, vcc_lo
	v_add_co_u32 v2, vcc_lo, v2, s8
	v_add_co_ci_u32_e32 v3, vcc_lo, s9, v3, vcc_lo
	s_add_i32 s13, s13, 8
	s_waitcnt vmcnt(1)
	ds_store_b32 v10, v14
	s_waitcnt vmcnt(0)
	ds_store_b32 v11, v15
	s_waitcnt lgkmcnt(0)
	s_barrier
	buffer_gl0_inv
	ds_load_2addr_b32 v[30:31], v12 offset1:16
	ds_load_b128 v[14:17], v13
	ds_load_b128 v[18:21], v13 offset:512
	ds_load_2addr_b32 v[32:33], v12 offset0:32 offset1:48
	ds_load_2addr_b32 v[34:35], v12 offset0:64 offset1:80
	ds_load_b128 v[22:25], v13 offset:16
	ds_load_2addr_b32 v[36:37], v12 offset0:96 offset1:112
	ds_load_2addr_b32 v[38:39], v12 offset0:128 offset1:144
	;; [unrolled: 3-line block ×3, first 2 shown]
	ds_load_2addr_b32 v[44:45], v12 offset0:224 offset1:240
	s_cmp_ge_i32 s13, s5
	s_waitcnt lgkmcnt(0)
	s_barrier
	buffer_gl0_inv
	v_fmac_f32_e32 v8, v31, v14
	v_fmac_f32_e32 v9, v30, v14
	;; [unrolled: 1-line block ×3, first 2 shown]
	s_delay_alu instid0(VALU_DEP_3) | instskip(NEXT) | instid1(VALU_DEP_3)
	v_dual_fmac_f32 v7, v30, v18 :: v_dual_fmac_f32 v8, v33, v15
	v_fmac_f32_e32 v9, v32, v15
	s_delay_alu instid0(VALU_DEP_3) | instskip(NEXT) | instid1(VALU_DEP_3)
	v_fmac_f32_e32 v4, v33, v19
	v_dual_fmac_f32 v7, v32, v19 :: v_dual_fmac_f32 v8, v35, v16
	s_delay_alu instid0(VALU_DEP_3) | instskip(NEXT) | instid1(VALU_DEP_3)
	v_fmac_f32_e32 v9, v34, v16
	v_fmac_f32_e32 v4, v35, v20
	s_delay_alu instid0(VALU_DEP_3) | instskip(NEXT) | instid1(VALU_DEP_3)
	v_dual_fmac_f32 v7, v34, v20 :: v_dual_fmac_f32 v8, v37, v17
	v_fmac_f32_e32 v9, v36, v17
	s_delay_alu instid0(VALU_DEP_3) | instskip(NEXT) | instid1(VALU_DEP_3)
	v_fmac_f32_e32 v4, v37, v21
	v_dual_fmac_f32 v7, v36, v21 :: v_dual_fmac_f32 v8, v39, v22
	s_delay_alu instid0(VALU_DEP_3) | instskip(NEXT) | instid1(VALU_DEP_3)
	v_fmac_f32_e32 v9, v38, v22
	v_fmac_f32_e32 v4, v39, v26
	;; [unrolled: 9-line block ×3, first 2 shown]
	s_delay_alu instid0(VALU_DEP_3) | instskip(NEXT) | instid1(VALU_DEP_3)
	v_dual_fmac_f32 v7, v42, v28 :: v_dual_fmac_f32 v8, v45, v25
	v_fmac_f32_e32 v9, v44, v25
	s_delay_alu instid0(VALU_DEP_3) | instskip(NEXT) | instid1(VALU_DEP_3)
	v_fmac_f32_e32 v4, v45, v29
	v_fmac_f32_e32 v7, v44, v29
	s_cbranch_scc0 .LBB28_2
.LBB28_3:
	s_clause 0x2
	s_load_b32 s2, s[0:1], 0x50
	s_load_b64 s[8:9], s[0:1], 0x58
	s_load_b64 s[10:11], s[0:1], 0x48
	v_add_nc_u32_e32 v6, s12, v6
	v_add_nc_u32_e32 v0, s7, v5
	s_delay_alu instid0(VALU_DEP_1)
	v_cmp_le_i32_e64 s0, v6, v0
	v_cmp_gt_i32_e32 vcc_lo, s4, v0
	s_waitcnt lgkmcnt(0)
	v_mad_i64_i32 v[1:2], null, v6, s2, 0
	s_mul_i32 s1, s15, s9
	s_mul_hi_u32 s3, s15, s8
	s_mul_i32 s8, s15, s8
	s_add_i32 s9, s3, s1
	s_delay_alu instid0(SALU_CYCLE_1) | instskip(NEXT) | instid1(VALU_DEP_1)
	s_lshl_b64 s[8:9], s[8:9], 2
	v_lshlrev_b64 v[1:2], 2, v[1:2]
	s_add_u32 s3, s10, s8
	s_addc_u32 s5, s11, s9
	s_and_b32 s0, s0, vcc_lo
	s_delay_alu instid0(VALU_DEP_1) | instskip(NEXT) | instid1(VALU_DEP_1)
	v_add_co_u32 v5, s1, s3, v1
	v_add_co_ci_u32_e64 v10, s1, s5, v2, s1
	s_and_saveexec_b32 s1, s0
	s_cbranch_execz .LBB28_5
; %bb.4:
	v_ashrrev_i32_e32 v1, 31, v0
	v_mul_f32_e32 v3, s6, v9
	s_delay_alu instid0(VALU_DEP_2) | instskip(NEXT) | instid1(VALU_DEP_1)
	v_lshlrev_b64 v[1:2], 2, v[0:1]
	v_add_co_u32 v1, s0, v5, v1
	s_delay_alu instid0(VALU_DEP_1)
	v_add_co_ci_u32_e64 v2, s0, v10, v2, s0
	global_store_b32 v[1:2], v3, off
.LBB28_5:
	s_or_b32 exec_lo, exec_lo, s1
	v_add_nc_u32_e32 v2, 16, v0
	s_delay_alu instid0(VALU_DEP_1) | instskip(SKIP_1) | instid1(VALU_DEP_1)
	v_cmp_le_i32_e64 s1, v6, v2
	v_cmp_gt_i32_e64 s0, s4, v2
	s_and_b32 s1, s1, s0
	s_delay_alu instid0(SALU_CYCLE_1)
	s_and_saveexec_b32 s4, s1
	s_cbranch_execz .LBB28_7
; %bb.6:
	v_ashrrev_i32_e32 v3, 31, v2
	v_mul_f32_e32 v1, s6, v8
	s_delay_alu instid0(VALU_DEP_2) | instskip(NEXT) | instid1(VALU_DEP_1)
	v_lshlrev_b64 v[11:12], 2, v[2:3]
	v_add_co_u32 v8, s1, v5, v11
	s_delay_alu instid0(VALU_DEP_1)
	v_add_co_ci_u32_e64 v9, s1, v10, v12, s1
	global_store_b32 v[8:9], v1, off
.LBB28_7:
	s_or_b32 exec_lo, exec_lo, s4
	v_add_nc_u32_e32 v3, 16, v6
	s_delay_alu instid0(VALU_DEP_1) | instskip(SKIP_1) | instid1(VALU_DEP_2)
	v_mad_i64_i32 v[5:6], null, v3, s2, 0
	v_cmp_le_i32_e64 s1, v3, v0
	v_lshlrev_b64 v[5:6], 2, v[5:6]
	s_delay_alu instid0(VALU_DEP_1) | instskip(NEXT) | instid1(VALU_DEP_1)
	v_add_co_u32 v5, s2, s3, v5
	v_add_co_ci_u32_e64 v6, s2, s5, v6, s2
	s_delay_alu instid0(VALU_DEP_4) | instskip(NEXT) | instid1(SALU_CYCLE_1)
	s_and_b32 s2, s1, vcc_lo
	s_and_saveexec_b32 s1, s2
	s_cbranch_execz .LBB28_9
; %bb.8:
	v_ashrrev_i32_e32 v1, 31, v0
	v_mul_f32_e32 v7, s6, v7
	s_delay_alu instid0(VALU_DEP_2) | instskip(NEXT) | instid1(VALU_DEP_1)
	v_lshlrev_b64 v[0:1], 2, v[0:1]
	v_add_co_u32 v0, vcc_lo, v5, v0
	s_delay_alu instid0(VALU_DEP_2)
	v_add_co_ci_u32_e32 v1, vcc_lo, v6, v1, vcc_lo
	global_store_b32 v[0:1], v7, off
.LBB28_9:
	s_or_b32 exec_lo, exec_lo, s1
	v_cmp_le_i32_e32 vcc_lo, v3, v2
	s_and_b32 s0, vcc_lo, s0
	s_delay_alu instid0(SALU_CYCLE_1)
	s_and_saveexec_b32 s1, s0
	s_cbranch_execz .LBB28_11
; %bb.10:
	v_ashrrev_i32_e32 v3, 31, v2
	s_delay_alu instid0(VALU_DEP_1) | instskip(SKIP_1) | instid1(VALU_DEP_2)
	v_lshlrev_b64 v[0:1], 2, v[2:3]
	v_mul_f32_e32 v2, s6, v4
	v_add_co_u32 v0, vcc_lo, v5, v0
	s_delay_alu instid0(VALU_DEP_3)
	v_add_co_ci_u32_e32 v1, vcc_lo, v6, v1, vcc_lo
	global_store_b32 v[0:1], v2, off
.LBB28_11:
	s_nop 0
	s_sendmsg sendmsg(MSG_DEALLOC_VGPRS)
	s_endpgm
	.section	.rodata,"a",@progbits
	.p2align	6, 0x0
	.amdhsa_kernel _ZL37rocblas_syrkx_herkx_restricted_kernelIifLi16ELi32ELi8ELb1ELb0ELc78ELc76EKffEviT_T0_PT8_S1_lS4_S1_lS2_PT9_S1_li
		.amdhsa_group_segment_fixed_size 2048
		.amdhsa_private_segment_fixed_size 0
		.amdhsa_kernarg_size 100
		.amdhsa_user_sgpr_count 13
		.amdhsa_user_sgpr_dispatch_ptr 0
		.amdhsa_user_sgpr_queue_ptr 0
		.amdhsa_user_sgpr_kernarg_segment_ptr 1
		.amdhsa_user_sgpr_dispatch_id 0
		.amdhsa_user_sgpr_private_segment_size 0
		.amdhsa_wavefront_size32 1
		.amdhsa_uses_dynamic_stack 0
		.amdhsa_enable_private_segment 0
		.amdhsa_system_sgpr_workgroup_id_x 1
		.amdhsa_system_sgpr_workgroup_id_y 1
		.amdhsa_system_sgpr_workgroup_id_z 1
		.amdhsa_system_sgpr_workgroup_info 0
		.amdhsa_system_vgpr_workitem_id 1
		.amdhsa_next_free_vgpr 46
		.amdhsa_next_free_sgpr 22
		.amdhsa_reserve_vcc 1
		.amdhsa_float_round_mode_32 0
		.amdhsa_float_round_mode_16_64 0
		.amdhsa_float_denorm_mode_32 3
		.amdhsa_float_denorm_mode_16_64 3
		.amdhsa_dx10_clamp 1
		.amdhsa_ieee_mode 1
		.amdhsa_fp16_overflow 0
		.amdhsa_workgroup_processor_mode 1
		.amdhsa_memory_ordered 1
		.amdhsa_forward_progress 0
		.amdhsa_shared_vgpr_count 0
		.amdhsa_exception_fp_ieee_invalid_op 0
		.amdhsa_exception_fp_denorm_src 0
		.amdhsa_exception_fp_ieee_div_zero 0
		.amdhsa_exception_fp_ieee_overflow 0
		.amdhsa_exception_fp_ieee_underflow 0
		.amdhsa_exception_fp_ieee_inexact 0
		.amdhsa_exception_int_div_zero 0
	.end_amdhsa_kernel
	.section	.text._ZL37rocblas_syrkx_herkx_restricted_kernelIifLi16ELi32ELi8ELb1ELb0ELc78ELc76EKffEviT_T0_PT8_S1_lS4_S1_lS2_PT9_S1_li,"axG",@progbits,_ZL37rocblas_syrkx_herkx_restricted_kernelIifLi16ELi32ELi8ELb1ELb0ELc78ELc76EKffEviT_T0_PT8_S1_lS4_S1_lS2_PT9_S1_li,comdat
.Lfunc_end28:
	.size	_ZL37rocblas_syrkx_herkx_restricted_kernelIifLi16ELi32ELi8ELb1ELb0ELc78ELc76EKffEviT_T0_PT8_S1_lS4_S1_lS2_PT9_S1_li, .Lfunc_end28-_ZL37rocblas_syrkx_herkx_restricted_kernelIifLi16ELi32ELi8ELb1ELb0ELc78ELc76EKffEviT_T0_PT8_S1_lS4_S1_lS2_PT9_S1_li
                                        ; -- End function
	.section	.AMDGPU.csdata,"",@progbits
; Kernel info:
; codeLenInByte = 1204
; NumSgprs: 24
; NumVgprs: 46
; ScratchSize: 0
; MemoryBound: 0
; FloatMode: 240
; IeeeMode: 1
; LDSByteSize: 2048 bytes/workgroup (compile time only)
; SGPRBlocks: 2
; VGPRBlocks: 5
; NumSGPRsForWavesPerEU: 24
; NumVGPRsForWavesPerEU: 46
; Occupancy: 16
; WaveLimiterHint : 0
; COMPUTE_PGM_RSRC2:SCRATCH_EN: 0
; COMPUTE_PGM_RSRC2:USER_SGPR: 13
; COMPUTE_PGM_RSRC2:TRAP_HANDLER: 0
; COMPUTE_PGM_RSRC2:TGID_X_EN: 1
; COMPUTE_PGM_RSRC2:TGID_Y_EN: 1
; COMPUTE_PGM_RSRC2:TGID_Z_EN: 1
; COMPUTE_PGM_RSRC2:TIDIG_COMP_CNT: 1
	.section	.text._ZL37rocblas_syrkx_herkx_restricted_kernelIifLi16ELi32ELi8ELb1ELb0ELc84ELc85EKffEviT_T0_PT8_S1_lS4_S1_lS2_PT9_S1_li,"axG",@progbits,_ZL37rocblas_syrkx_herkx_restricted_kernelIifLi16ELi32ELi8ELb1ELb0ELc84ELc85EKffEviT_T0_PT8_S1_lS4_S1_lS2_PT9_S1_li,comdat
	.globl	_ZL37rocblas_syrkx_herkx_restricted_kernelIifLi16ELi32ELi8ELb1ELb0ELc84ELc85EKffEviT_T0_PT8_S1_lS4_S1_lS2_PT9_S1_li ; -- Begin function _ZL37rocblas_syrkx_herkx_restricted_kernelIifLi16ELi32ELi8ELb1ELb0ELc84ELc85EKffEviT_T0_PT8_S1_lS4_S1_lS2_PT9_S1_li
	.p2align	8
	.type	_ZL37rocblas_syrkx_herkx_restricted_kernelIifLi16ELi32ELi8ELb1ELb0ELc84ELc85EKffEviT_T0_PT8_S1_lS4_S1_lS2_PT9_S1_li,@function
_ZL37rocblas_syrkx_herkx_restricted_kernelIifLi16ELi32ELi8ELb1ELb0ELc84ELc85EKffEviT_T0_PT8_S1_lS4_S1_lS2_PT9_S1_li: ; @_ZL37rocblas_syrkx_herkx_restricted_kernelIifLi16ELi32ELi8ELb1ELb0ELc84ELc85EKffEviT_T0_PT8_S1_lS4_S1_lS2_PT9_S1_li
; %bb.0:
	s_load_b128 s[4:7], s[0:1], 0x0
	v_dual_mov_b32 v9, 0 :: v_dual_and_b32 v6, 0x3ff, v0
	v_bfe_u32 v7, v0, 10, 10
	v_dual_mov_b32 v8, 0 :: v_dual_mov_b32 v1, 0
	v_mov_b32_e32 v0, 0
	s_lshl_b32 s2, s13, 5
	s_lshl_b32 s3, s14, 5
	s_waitcnt lgkmcnt(0)
	s_mov_b32 s7, 0
	s_cmp_lt_i32 s5, 1
	s_cbranch_scc1 .LBB29_3
; %bb.1:
	s_clause 0x4
	s_load_b64 s[12:13], s[0:1], 0x38
	s_load_b32 s14, s[0:1], 0x30
	s_load_b128 s[8:11], s[0:1], 0x20
	s_load_b64 s[16:17], s[0:1], 0x10
	s_load_b32 s18, s[0:1], 0x18
	v_lshl_add_u32 v2, v7, 4, v6
	v_dual_mov_b32 v1, 0 :: v_dual_and_b32 v0, 7, v6
	v_lshlrev_b32_e32 v10, 2, v6
	s_delay_alu instid0(VALU_DEP_3) | instskip(SKIP_1) | instid1(VALU_DEP_4)
	v_lshrrev_b32_e32 v4, 3, v2
	v_and_b32_e32 v5, 31, v2
	v_lshlrev_b32_e32 v8, 2, v0
	v_lshrrev_b32_e32 v2, 5, v2
	v_mov_b32_e32 v3, v1
	v_add_nc_u32_e32 v9, s3, v4
	v_add_nc_u32_e32 v13, s2, v5
	v_lshl_or_b32 v8, v4, 5, v8
	v_lshlrev_b32_e32 v11, 2, v5
	s_waitcnt lgkmcnt(0)
	s_mul_i32 s13, s13, s15
	v_mad_i64_i32 v[4:5], null, s14, v9, v[0:1]
	s_mul_hi_u32 s14, s12, s15
	v_add_nc_u32_e32 v12, 0x400, v8
	v_mad_i64_i32 v[8:9], null, s18, v13, v[2:3]
	s_mul_i32 s12, s12, s15
	s_add_i32 s13, s14, s13
	s_delay_alu instid0(VALU_DEP_3)
	v_lshlrev_b64 v[4:5], 2, v[4:5]
	s_lshl_b64 s[12:13], s[12:13], 2
	s_mul_i32 s9, s9, s15
	s_add_u32 s10, s10, s12
	s_mul_hi_u32 s12, s8, s15
	s_addc_u32 s11, s11, s13
	s_add_i32 s9, s12, s9
	s_mul_i32 s8, s8, s15
	v_lshlrev_b64 v[8:9], 2, v[8:9]
	s_lshl_b64 s[8:9], s[8:9], 2
	v_lshl_or_b32 v11, v2, 7, v11
	v_add_co_u32 v2, vcc_lo, s10, v4
	s_add_u32 s8, s16, s8
	v_add_co_ci_u32_e32 v3, vcc_lo, s11, v5, vcc_lo
	s_addc_u32 s9, s17, s9
	v_add_co_u32 v4, vcc_lo, s8, v8
	v_mov_b32_e32 v8, v1
	v_lshl_add_u32 v13, v7, 5, 0x400
	v_add_co_ci_u32_e32 v5, vcc_lo, s9, v9, vcc_lo
	v_mov_b32_e32 v0, v1
	v_mov_b32_e32 v9, v1
.LBB29_2:                               ; =>This Inner Loop Header: Depth=1
	global_load_b32 v14, v[4:5], off
	global_load_b32 v15, v[2:3], off
	v_add_co_u32 v2, vcc_lo, v2, 32
	v_add_co_ci_u32_e32 v3, vcc_lo, 0, v3, vcc_lo
	v_add_co_u32 v4, vcc_lo, v4, 32
	v_add_co_ci_u32_e32 v5, vcc_lo, 0, v5, vcc_lo
	s_add_i32 s7, s7, 8
	s_waitcnt vmcnt(1)
	ds_store_b32 v11, v14
	s_waitcnt vmcnt(0)
	ds_store_b32 v12, v15
	s_waitcnt lgkmcnt(0)
	s_barrier
	buffer_gl0_inv
	ds_load_2addr_b32 v[30:31], v10 offset1:16
	ds_load_b128 v[14:17], v13
	ds_load_b128 v[18:21], v13 offset:512
	ds_load_2addr_b32 v[32:33], v10 offset0:32 offset1:48
	ds_load_2addr_b32 v[34:35], v10 offset0:64 offset1:80
	ds_load_b128 v[22:25], v13 offset:16
	ds_load_2addr_b32 v[36:37], v10 offset0:96 offset1:112
	ds_load_2addr_b32 v[38:39], v10 offset0:128 offset1:144
	;; [unrolled: 3-line block ×3, first 2 shown]
	ds_load_2addr_b32 v[44:45], v10 offset0:224 offset1:240
	s_cmp_ge_i32 s7, s5
	s_waitcnt lgkmcnt(0)
	s_barrier
	buffer_gl0_inv
	v_fmac_f32_e32 v8, v31, v14
	v_fmac_f32_e32 v9, v30, v14
	;; [unrolled: 1-line block ×4, first 2 shown]
	s_delay_alu instid0(VALU_DEP_4) | instskip(NEXT) | instid1(VALU_DEP_4)
	v_fmac_f32_e32 v8, v33, v15
	v_fmac_f32_e32 v9, v32, v15
	s_delay_alu instid0(VALU_DEP_4) | instskip(NEXT) | instid1(VALU_DEP_4)
	v_fmac_f32_e32 v1, v33, v19
	v_fmac_f32_e32 v0, v32, v19
	;; [unrolled: 3-line block ×14, first 2 shown]
	s_cbranch_scc0 .LBB29_2
.LBB29_3:
	s_clause 0x2
	s_load_b32 s5, s[0:1], 0x50
	s_load_b64 s[8:9], s[0:1], 0x58
	s_load_b64 s[10:11], s[0:1], 0x48
	v_add_nc_u32_e32 v7, s3, v7
	v_add_nc_u32_e32 v2, s2, v6
	s_delay_alu instid0(VALU_DEP_2)
	v_cmp_gt_i32_e32 vcc_lo, s4, v7
	s_waitcnt lgkmcnt(0)
	v_mad_i64_i32 v[3:4], null, v7, s5, 0
	s_mul_i32 s1, s15, s9
	s_mul_hi_u32 s2, s15, s8
	s_mul_i32 s0, s15, s8
	s_add_i32 s1, s2, s1
	s_delay_alu instid0(SALU_CYCLE_1) | instskip(NEXT) | instid1(VALU_DEP_1)
	s_lshl_b64 s[2:3], s[0:1], 2
	v_lshlrev_b64 v[3:4], 2, v[3:4]
	s_add_u32 s2, s10, s2
	v_cmp_le_i32_e64 s0, v2, v7
	s_addc_u32 s3, s11, s3
	s_delay_alu instid0(VALU_DEP_2) | instskip(NEXT) | instid1(VALU_DEP_1)
	v_add_co_u32 v6, s1, s2, v3
	v_add_co_ci_u32_e64 v10, s1, s3, v4, s1
	s_delay_alu instid0(VALU_DEP_3) | instskip(NEXT) | instid1(SALU_CYCLE_1)
	s_and_b32 s0, vcc_lo, s0
	s_and_saveexec_b32 s1, s0
	s_cbranch_execz .LBB29_5
; %bb.4:
	v_ashrrev_i32_e32 v3, 31, v2
	v_mul_f32_e32 v5, s6, v9
	s_delay_alu instid0(VALU_DEP_2) | instskip(NEXT) | instid1(VALU_DEP_1)
	v_lshlrev_b64 v[3:4], 2, v[2:3]
	v_add_co_u32 v3, s0, v6, v3
	s_delay_alu instid0(VALU_DEP_1)
	v_add_co_ci_u32_e64 v4, s0, v10, v4, s0
	global_store_b32 v[3:4], v5, off
.LBB29_5:
	s_or_b32 exec_lo, exec_lo, s1
	v_add_nc_u32_e32 v4, 16, v2
	s_delay_alu instid0(VALU_DEP_1) | instskip(NEXT) | instid1(VALU_DEP_1)
	v_cmp_le_i32_e64 s0, v4, v7
	s_and_b32 s1, vcc_lo, s0
	s_delay_alu instid0(SALU_CYCLE_1)
	s_and_saveexec_b32 s0, s1
	s_cbranch_execz .LBB29_7
; %bb.6:
	v_ashrrev_i32_e32 v5, 31, v4
	v_mul_f32_e32 v3, s6, v8
	s_delay_alu instid0(VALU_DEP_2) | instskip(NEXT) | instid1(VALU_DEP_1)
	v_lshlrev_b64 v[11:12], 2, v[4:5]
	v_add_co_u32 v5, vcc_lo, v6, v11
	s_delay_alu instid0(VALU_DEP_2)
	v_add_co_ci_u32_e32 v6, vcc_lo, v10, v12, vcc_lo
	global_store_b32 v[5:6], v3, off
.LBB29_7:
	s_or_b32 exec_lo, exec_lo, s0
	v_add_nc_u32_e32 v5, 16, v7
	s_delay_alu instid0(VALU_DEP_1) | instskip(SKIP_2) | instid1(VALU_DEP_1)
	v_mad_i64_i32 v[6:7], null, v5, s5, 0
	v_cmp_gt_i32_e32 vcc_lo, s4, v5
	v_cmp_le_i32_e64 s0, v2, v5
	s_and_b32 s0, vcc_lo, s0
	s_delay_alu instid0(VALU_DEP_3) | instskip(NEXT) | instid1(VALU_DEP_1)
	v_lshlrev_b64 v[6:7], 2, v[6:7]
	v_add_co_u32 v6, s1, s2, v6
	s_delay_alu instid0(VALU_DEP_1)
	v_add_co_ci_u32_e64 v7, s1, s3, v7, s1
	s_and_saveexec_b32 s1, s0
	s_cbranch_execz .LBB29_9
; %bb.8:
	v_ashrrev_i32_e32 v3, 31, v2
	v_mul_f32_e32 v0, s6, v0
	s_delay_alu instid0(VALU_DEP_2) | instskip(NEXT) | instid1(VALU_DEP_1)
	v_lshlrev_b64 v[2:3], 2, v[2:3]
	v_add_co_u32 v2, s0, v6, v2
	s_delay_alu instid0(VALU_DEP_1)
	v_add_co_ci_u32_e64 v3, s0, v7, v3, s0
	global_store_b32 v[2:3], v0, off
.LBB29_9:
	s_or_b32 exec_lo, exec_lo, s1
	v_cmp_le_i32_e64 s0, v4, v5
	s_delay_alu instid0(VALU_DEP_1) | instskip(NEXT) | instid1(SALU_CYCLE_1)
	s_and_b32 s0, vcc_lo, s0
	s_and_saveexec_b32 s1, s0
	s_cbranch_execz .LBB29_11
; %bb.10:
	v_ashrrev_i32_e32 v5, 31, v4
	s_delay_alu instid0(VALU_DEP_1) | instskip(SKIP_1) | instid1(VALU_DEP_2)
	v_lshlrev_b64 v[2:3], 2, v[4:5]
	v_mul_f32_e32 v4, s6, v1
	v_add_co_u32 v0, vcc_lo, v6, v2
	s_delay_alu instid0(VALU_DEP_3)
	v_add_co_ci_u32_e32 v1, vcc_lo, v7, v3, vcc_lo
	global_store_b32 v[0:1], v4, off
.LBB29_11:
	s_nop 0
	s_sendmsg sendmsg(MSG_DEALLOC_VGPRS)
	s_endpgm
	.section	.rodata,"a",@progbits
	.p2align	6, 0x0
	.amdhsa_kernel _ZL37rocblas_syrkx_herkx_restricted_kernelIifLi16ELi32ELi8ELb1ELb0ELc84ELc85EKffEviT_T0_PT8_S1_lS4_S1_lS2_PT9_S1_li
		.amdhsa_group_segment_fixed_size 2048
		.amdhsa_private_segment_fixed_size 0
		.amdhsa_kernarg_size 100
		.amdhsa_user_sgpr_count 13
		.amdhsa_user_sgpr_dispatch_ptr 0
		.amdhsa_user_sgpr_queue_ptr 0
		.amdhsa_user_sgpr_kernarg_segment_ptr 1
		.amdhsa_user_sgpr_dispatch_id 0
		.amdhsa_user_sgpr_private_segment_size 0
		.amdhsa_wavefront_size32 1
		.amdhsa_uses_dynamic_stack 0
		.amdhsa_enable_private_segment 0
		.amdhsa_system_sgpr_workgroup_id_x 1
		.amdhsa_system_sgpr_workgroup_id_y 1
		.amdhsa_system_sgpr_workgroup_id_z 1
		.amdhsa_system_sgpr_workgroup_info 0
		.amdhsa_system_vgpr_workitem_id 1
		.amdhsa_next_free_vgpr 46
		.amdhsa_next_free_sgpr 19
		.amdhsa_reserve_vcc 1
		.amdhsa_float_round_mode_32 0
		.amdhsa_float_round_mode_16_64 0
		.amdhsa_float_denorm_mode_32 3
		.amdhsa_float_denorm_mode_16_64 3
		.amdhsa_dx10_clamp 1
		.amdhsa_ieee_mode 1
		.amdhsa_fp16_overflow 0
		.amdhsa_workgroup_processor_mode 1
		.amdhsa_memory_ordered 1
		.amdhsa_forward_progress 0
		.amdhsa_shared_vgpr_count 0
		.amdhsa_exception_fp_ieee_invalid_op 0
		.amdhsa_exception_fp_denorm_src 0
		.amdhsa_exception_fp_ieee_div_zero 0
		.amdhsa_exception_fp_ieee_overflow 0
		.amdhsa_exception_fp_ieee_underflow 0
		.amdhsa_exception_fp_ieee_inexact 0
		.amdhsa_exception_int_div_zero 0
	.end_amdhsa_kernel
	.section	.text._ZL37rocblas_syrkx_herkx_restricted_kernelIifLi16ELi32ELi8ELb1ELb0ELc84ELc85EKffEviT_T0_PT8_S1_lS4_S1_lS2_PT9_S1_li,"axG",@progbits,_ZL37rocblas_syrkx_herkx_restricted_kernelIifLi16ELi32ELi8ELb1ELb0ELc84ELc85EKffEviT_T0_PT8_S1_lS4_S1_lS2_PT9_S1_li,comdat
.Lfunc_end29:
	.size	_ZL37rocblas_syrkx_herkx_restricted_kernelIifLi16ELi32ELi8ELb1ELb0ELc84ELc85EKffEviT_T0_PT8_S1_lS4_S1_lS2_PT9_S1_li, .Lfunc_end29-_ZL37rocblas_syrkx_herkx_restricted_kernelIifLi16ELi32ELi8ELb1ELb0ELc84ELc85EKffEviT_T0_PT8_S1_lS4_S1_lS2_PT9_S1_li
                                        ; -- End function
	.section	.AMDGPU.csdata,"",@progbits
; Kernel info:
; codeLenInByte = 1196
; NumSgprs: 21
; NumVgprs: 46
; ScratchSize: 0
; MemoryBound: 0
; FloatMode: 240
; IeeeMode: 1
; LDSByteSize: 2048 bytes/workgroup (compile time only)
; SGPRBlocks: 2
; VGPRBlocks: 5
; NumSGPRsForWavesPerEU: 21
; NumVGPRsForWavesPerEU: 46
; Occupancy: 16
; WaveLimiterHint : 0
; COMPUTE_PGM_RSRC2:SCRATCH_EN: 0
; COMPUTE_PGM_RSRC2:USER_SGPR: 13
; COMPUTE_PGM_RSRC2:TRAP_HANDLER: 0
; COMPUTE_PGM_RSRC2:TGID_X_EN: 1
; COMPUTE_PGM_RSRC2:TGID_Y_EN: 1
; COMPUTE_PGM_RSRC2:TGID_Z_EN: 1
; COMPUTE_PGM_RSRC2:TIDIG_COMP_CNT: 1
	.section	.text._ZL37rocblas_syrkx_herkx_restricted_kernelIifLi16ELi32ELi8ELb1ELb0ELc67ELc85EKffEviT_T0_PT8_S1_lS4_S1_lS2_PT9_S1_li,"axG",@progbits,_ZL37rocblas_syrkx_herkx_restricted_kernelIifLi16ELi32ELi8ELb1ELb0ELc67ELc85EKffEviT_T0_PT8_S1_lS4_S1_lS2_PT9_S1_li,comdat
	.globl	_ZL37rocblas_syrkx_herkx_restricted_kernelIifLi16ELi32ELi8ELb1ELb0ELc67ELc85EKffEviT_T0_PT8_S1_lS4_S1_lS2_PT9_S1_li ; -- Begin function _ZL37rocblas_syrkx_herkx_restricted_kernelIifLi16ELi32ELi8ELb1ELb0ELc67ELc85EKffEviT_T0_PT8_S1_lS4_S1_lS2_PT9_S1_li
	.p2align	8
	.type	_ZL37rocblas_syrkx_herkx_restricted_kernelIifLi16ELi32ELi8ELb1ELb0ELc67ELc85EKffEviT_T0_PT8_S1_lS4_S1_lS2_PT9_S1_li,@function
_ZL37rocblas_syrkx_herkx_restricted_kernelIifLi16ELi32ELi8ELb1ELb0ELc67ELc85EKffEviT_T0_PT8_S1_lS4_S1_lS2_PT9_S1_li: ; @_ZL37rocblas_syrkx_herkx_restricted_kernelIifLi16ELi32ELi8ELb1ELb0ELc67ELc85EKffEviT_T0_PT8_S1_lS4_S1_lS2_PT9_S1_li
; %bb.0:
	s_load_b128 s[4:7], s[0:1], 0x0
	v_dual_mov_b32 v9, 0 :: v_dual_and_b32 v6, 0x3ff, v0
	v_bfe_u32 v7, v0, 10, 10
	v_dual_mov_b32 v8, 0 :: v_dual_mov_b32 v1, 0
	v_mov_b32_e32 v0, 0
	s_lshl_b32 s2, s13, 5
	s_lshl_b32 s3, s14, 5
	s_waitcnt lgkmcnt(0)
	s_mov_b32 s7, 0
	s_cmp_lt_i32 s5, 1
	s_cbranch_scc1 .LBB30_3
; %bb.1:
	s_clause 0x4
	s_load_b64 s[12:13], s[0:1], 0x38
	s_load_b32 s14, s[0:1], 0x30
	s_load_b128 s[8:11], s[0:1], 0x20
	s_load_b64 s[16:17], s[0:1], 0x10
	s_load_b32 s18, s[0:1], 0x18
	v_lshl_add_u32 v2, v7, 4, v6
	v_dual_mov_b32 v1, 0 :: v_dual_and_b32 v0, 7, v6
	v_lshlrev_b32_e32 v10, 2, v6
	s_delay_alu instid0(VALU_DEP_3) | instskip(SKIP_1) | instid1(VALU_DEP_4)
	v_lshrrev_b32_e32 v4, 3, v2
	v_and_b32_e32 v5, 31, v2
	v_lshlrev_b32_e32 v8, 2, v0
	v_lshrrev_b32_e32 v2, 5, v2
	v_mov_b32_e32 v3, v1
	v_add_nc_u32_e32 v9, s3, v4
	v_add_nc_u32_e32 v13, s2, v5
	v_lshl_or_b32 v8, v4, 5, v8
	v_lshlrev_b32_e32 v11, 2, v5
	s_waitcnt lgkmcnt(0)
	s_mul_i32 s13, s13, s15
	v_mad_i64_i32 v[4:5], null, s14, v9, v[0:1]
	s_mul_hi_u32 s14, s12, s15
	v_add_nc_u32_e32 v12, 0x400, v8
	v_mad_i64_i32 v[8:9], null, s18, v13, v[2:3]
	s_mul_i32 s12, s12, s15
	s_add_i32 s13, s14, s13
	s_delay_alu instid0(VALU_DEP_3)
	v_lshlrev_b64 v[4:5], 2, v[4:5]
	s_lshl_b64 s[12:13], s[12:13], 2
	s_mul_i32 s9, s9, s15
	s_add_u32 s10, s10, s12
	s_mul_hi_u32 s12, s8, s15
	s_addc_u32 s11, s11, s13
	s_add_i32 s9, s12, s9
	s_mul_i32 s8, s8, s15
	v_lshlrev_b64 v[8:9], 2, v[8:9]
	s_lshl_b64 s[8:9], s[8:9], 2
	v_lshl_or_b32 v11, v2, 7, v11
	v_add_co_u32 v2, vcc_lo, s10, v4
	s_add_u32 s8, s16, s8
	v_add_co_ci_u32_e32 v3, vcc_lo, s11, v5, vcc_lo
	s_addc_u32 s9, s17, s9
	v_add_co_u32 v4, vcc_lo, s8, v8
	v_mov_b32_e32 v8, v1
	v_lshl_add_u32 v13, v7, 5, 0x400
	v_add_co_ci_u32_e32 v5, vcc_lo, s9, v9, vcc_lo
	v_mov_b32_e32 v0, v1
	v_mov_b32_e32 v9, v1
.LBB30_2:                               ; =>This Inner Loop Header: Depth=1
	global_load_b32 v14, v[4:5], off
	global_load_b32 v15, v[2:3], off
	v_add_co_u32 v2, vcc_lo, v2, 32
	v_add_co_ci_u32_e32 v3, vcc_lo, 0, v3, vcc_lo
	v_add_co_u32 v4, vcc_lo, v4, 32
	v_add_co_ci_u32_e32 v5, vcc_lo, 0, v5, vcc_lo
	s_add_i32 s7, s7, 8
	s_waitcnt vmcnt(1)
	ds_store_b32 v11, v14
	s_waitcnt vmcnt(0)
	ds_store_b32 v12, v15
	s_waitcnt lgkmcnt(0)
	s_barrier
	buffer_gl0_inv
	ds_load_2addr_b32 v[30:31], v10 offset1:16
	ds_load_b128 v[14:17], v13
	ds_load_b128 v[18:21], v13 offset:512
	ds_load_2addr_b32 v[32:33], v10 offset0:32 offset1:48
	ds_load_2addr_b32 v[34:35], v10 offset0:64 offset1:80
	ds_load_b128 v[22:25], v13 offset:16
	ds_load_2addr_b32 v[36:37], v10 offset0:96 offset1:112
	ds_load_2addr_b32 v[38:39], v10 offset0:128 offset1:144
	;; [unrolled: 3-line block ×3, first 2 shown]
	ds_load_2addr_b32 v[44:45], v10 offset0:224 offset1:240
	s_cmp_ge_i32 s7, s5
	s_waitcnt lgkmcnt(0)
	s_barrier
	buffer_gl0_inv
	v_fmac_f32_e32 v8, v31, v14
	v_fmac_f32_e32 v9, v30, v14
	;; [unrolled: 1-line block ×4, first 2 shown]
	s_delay_alu instid0(VALU_DEP_4) | instskip(NEXT) | instid1(VALU_DEP_4)
	v_fmac_f32_e32 v8, v33, v15
	v_fmac_f32_e32 v9, v32, v15
	s_delay_alu instid0(VALU_DEP_4) | instskip(NEXT) | instid1(VALU_DEP_4)
	v_fmac_f32_e32 v1, v33, v19
	v_fmac_f32_e32 v0, v32, v19
	;; [unrolled: 3-line block ×14, first 2 shown]
	s_cbranch_scc0 .LBB30_2
.LBB30_3:
	s_clause 0x2
	s_load_b32 s5, s[0:1], 0x50
	s_load_b64 s[8:9], s[0:1], 0x58
	s_load_b64 s[10:11], s[0:1], 0x48
	v_add_nc_u32_e32 v7, s3, v7
	v_add_nc_u32_e32 v2, s2, v6
	s_delay_alu instid0(VALU_DEP_2)
	v_cmp_gt_i32_e32 vcc_lo, s4, v7
	s_waitcnt lgkmcnt(0)
	v_mad_i64_i32 v[3:4], null, v7, s5, 0
	s_mul_i32 s1, s15, s9
	s_mul_hi_u32 s2, s15, s8
	s_mul_i32 s0, s15, s8
	s_add_i32 s1, s2, s1
	s_delay_alu instid0(SALU_CYCLE_1) | instskip(NEXT) | instid1(VALU_DEP_1)
	s_lshl_b64 s[2:3], s[0:1], 2
	v_lshlrev_b64 v[3:4], 2, v[3:4]
	s_add_u32 s2, s10, s2
	v_cmp_le_i32_e64 s0, v2, v7
	s_addc_u32 s3, s11, s3
	s_delay_alu instid0(VALU_DEP_2) | instskip(NEXT) | instid1(VALU_DEP_1)
	v_add_co_u32 v6, s1, s2, v3
	v_add_co_ci_u32_e64 v10, s1, s3, v4, s1
	s_delay_alu instid0(VALU_DEP_3) | instskip(NEXT) | instid1(SALU_CYCLE_1)
	s_and_b32 s0, vcc_lo, s0
	s_and_saveexec_b32 s1, s0
	s_cbranch_execz .LBB30_5
; %bb.4:
	v_ashrrev_i32_e32 v3, 31, v2
	v_mul_f32_e32 v5, s6, v9
	s_delay_alu instid0(VALU_DEP_2) | instskip(NEXT) | instid1(VALU_DEP_1)
	v_lshlrev_b64 v[3:4], 2, v[2:3]
	v_add_co_u32 v3, s0, v6, v3
	s_delay_alu instid0(VALU_DEP_1)
	v_add_co_ci_u32_e64 v4, s0, v10, v4, s0
	global_store_b32 v[3:4], v5, off
.LBB30_5:
	s_or_b32 exec_lo, exec_lo, s1
	v_add_nc_u32_e32 v4, 16, v2
	s_delay_alu instid0(VALU_DEP_1) | instskip(NEXT) | instid1(VALU_DEP_1)
	v_cmp_le_i32_e64 s0, v4, v7
	s_and_b32 s1, vcc_lo, s0
	s_delay_alu instid0(SALU_CYCLE_1)
	s_and_saveexec_b32 s0, s1
	s_cbranch_execz .LBB30_7
; %bb.6:
	v_ashrrev_i32_e32 v5, 31, v4
	v_mul_f32_e32 v3, s6, v8
	s_delay_alu instid0(VALU_DEP_2) | instskip(NEXT) | instid1(VALU_DEP_1)
	v_lshlrev_b64 v[11:12], 2, v[4:5]
	v_add_co_u32 v5, vcc_lo, v6, v11
	s_delay_alu instid0(VALU_DEP_2)
	v_add_co_ci_u32_e32 v6, vcc_lo, v10, v12, vcc_lo
	global_store_b32 v[5:6], v3, off
.LBB30_7:
	s_or_b32 exec_lo, exec_lo, s0
	v_add_nc_u32_e32 v5, 16, v7
	s_delay_alu instid0(VALU_DEP_1) | instskip(SKIP_2) | instid1(VALU_DEP_1)
	v_mad_i64_i32 v[6:7], null, v5, s5, 0
	v_cmp_gt_i32_e32 vcc_lo, s4, v5
	v_cmp_le_i32_e64 s0, v2, v5
	s_and_b32 s0, vcc_lo, s0
	s_delay_alu instid0(VALU_DEP_3) | instskip(NEXT) | instid1(VALU_DEP_1)
	v_lshlrev_b64 v[6:7], 2, v[6:7]
	v_add_co_u32 v6, s1, s2, v6
	s_delay_alu instid0(VALU_DEP_1)
	v_add_co_ci_u32_e64 v7, s1, s3, v7, s1
	s_and_saveexec_b32 s1, s0
	s_cbranch_execz .LBB30_9
; %bb.8:
	v_ashrrev_i32_e32 v3, 31, v2
	v_mul_f32_e32 v0, s6, v0
	s_delay_alu instid0(VALU_DEP_2) | instskip(NEXT) | instid1(VALU_DEP_1)
	v_lshlrev_b64 v[2:3], 2, v[2:3]
	v_add_co_u32 v2, s0, v6, v2
	s_delay_alu instid0(VALU_DEP_1)
	v_add_co_ci_u32_e64 v3, s0, v7, v3, s0
	global_store_b32 v[2:3], v0, off
.LBB30_9:
	s_or_b32 exec_lo, exec_lo, s1
	v_cmp_le_i32_e64 s0, v4, v5
	s_delay_alu instid0(VALU_DEP_1) | instskip(NEXT) | instid1(SALU_CYCLE_1)
	s_and_b32 s0, vcc_lo, s0
	s_and_saveexec_b32 s1, s0
	s_cbranch_execz .LBB30_11
; %bb.10:
	v_ashrrev_i32_e32 v5, 31, v4
	s_delay_alu instid0(VALU_DEP_1) | instskip(SKIP_1) | instid1(VALU_DEP_2)
	v_lshlrev_b64 v[2:3], 2, v[4:5]
	v_mul_f32_e32 v4, s6, v1
	v_add_co_u32 v0, vcc_lo, v6, v2
	s_delay_alu instid0(VALU_DEP_3)
	v_add_co_ci_u32_e32 v1, vcc_lo, v7, v3, vcc_lo
	global_store_b32 v[0:1], v4, off
.LBB30_11:
	s_nop 0
	s_sendmsg sendmsg(MSG_DEALLOC_VGPRS)
	s_endpgm
	.section	.rodata,"a",@progbits
	.p2align	6, 0x0
	.amdhsa_kernel _ZL37rocblas_syrkx_herkx_restricted_kernelIifLi16ELi32ELi8ELb1ELb0ELc67ELc85EKffEviT_T0_PT8_S1_lS4_S1_lS2_PT9_S1_li
		.amdhsa_group_segment_fixed_size 2048
		.amdhsa_private_segment_fixed_size 0
		.amdhsa_kernarg_size 100
		.amdhsa_user_sgpr_count 13
		.amdhsa_user_sgpr_dispatch_ptr 0
		.amdhsa_user_sgpr_queue_ptr 0
		.amdhsa_user_sgpr_kernarg_segment_ptr 1
		.amdhsa_user_sgpr_dispatch_id 0
		.amdhsa_user_sgpr_private_segment_size 0
		.amdhsa_wavefront_size32 1
		.amdhsa_uses_dynamic_stack 0
		.amdhsa_enable_private_segment 0
		.amdhsa_system_sgpr_workgroup_id_x 1
		.amdhsa_system_sgpr_workgroup_id_y 1
		.amdhsa_system_sgpr_workgroup_id_z 1
		.amdhsa_system_sgpr_workgroup_info 0
		.amdhsa_system_vgpr_workitem_id 1
		.amdhsa_next_free_vgpr 46
		.amdhsa_next_free_sgpr 19
		.amdhsa_reserve_vcc 1
		.amdhsa_float_round_mode_32 0
		.amdhsa_float_round_mode_16_64 0
		.amdhsa_float_denorm_mode_32 3
		.amdhsa_float_denorm_mode_16_64 3
		.amdhsa_dx10_clamp 1
		.amdhsa_ieee_mode 1
		.amdhsa_fp16_overflow 0
		.amdhsa_workgroup_processor_mode 1
		.amdhsa_memory_ordered 1
		.amdhsa_forward_progress 0
		.amdhsa_shared_vgpr_count 0
		.amdhsa_exception_fp_ieee_invalid_op 0
		.amdhsa_exception_fp_denorm_src 0
		.amdhsa_exception_fp_ieee_div_zero 0
		.amdhsa_exception_fp_ieee_overflow 0
		.amdhsa_exception_fp_ieee_underflow 0
		.amdhsa_exception_fp_ieee_inexact 0
		.amdhsa_exception_int_div_zero 0
	.end_amdhsa_kernel
	.section	.text._ZL37rocblas_syrkx_herkx_restricted_kernelIifLi16ELi32ELi8ELb1ELb0ELc67ELc85EKffEviT_T0_PT8_S1_lS4_S1_lS2_PT9_S1_li,"axG",@progbits,_ZL37rocblas_syrkx_herkx_restricted_kernelIifLi16ELi32ELi8ELb1ELb0ELc67ELc85EKffEviT_T0_PT8_S1_lS4_S1_lS2_PT9_S1_li,comdat
.Lfunc_end30:
	.size	_ZL37rocblas_syrkx_herkx_restricted_kernelIifLi16ELi32ELi8ELb1ELb0ELc67ELc85EKffEviT_T0_PT8_S1_lS4_S1_lS2_PT9_S1_li, .Lfunc_end30-_ZL37rocblas_syrkx_herkx_restricted_kernelIifLi16ELi32ELi8ELb1ELb0ELc67ELc85EKffEviT_T0_PT8_S1_lS4_S1_lS2_PT9_S1_li
                                        ; -- End function
	.section	.AMDGPU.csdata,"",@progbits
; Kernel info:
; codeLenInByte = 1196
; NumSgprs: 21
; NumVgprs: 46
; ScratchSize: 0
; MemoryBound: 0
; FloatMode: 240
; IeeeMode: 1
; LDSByteSize: 2048 bytes/workgroup (compile time only)
; SGPRBlocks: 2
; VGPRBlocks: 5
; NumSGPRsForWavesPerEU: 21
; NumVGPRsForWavesPerEU: 46
; Occupancy: 16
; WaveLimiterHint : 0
; COMPUTE_PGM_RSRC2:SCRATCH_EN: 0
; COMPUTE_PGM_RSRC2:USER_SGPR: 13
; COMPUTE_PGM_RSRC2:TRAP_HANDLER: 0
; COMPUTE_PGM_RSRC2:TGID_X_EN: 1
; COMPUTE_PGM_RSRC2:TGID_Y_EN: 1
; COMPUTE_PGM_RSRC2:TGID_Z_EN: 1
; COMPUTE_PGM_RSRC2:TIDIG_COMP_CNT: 1
	.section	.text._ZL37rocblas_syrkx_herkx_restricted_kernelIifLi16ELi32ELi8ELb1ELb0ELc78ELc85EKffEviT_T0_PT8_S1_lS4_S1_lS2_PT9_S1_li,"axG",@progbits,_ZL37rocblas_syrkx_herkx_restricted_kernelIifLi16ELi32ELi8ELb1ELb0ELc78ELc85EKffEviT_T0_PT8_S1_lS4_S1_lS2_PT9_S1_li,comdat
	.globl	_ZL37rocblas_syrkx_herkx_restricted_kernelIifLi16ELi32ELi8ELb1ELb0ELc78ELc85EKffEviT_T0_PT8_S1_lS4_S1_lS2_PT9_S1_li ; -- Begin function _ZL37rocblas_syrkx_herkx_restricted_kernelIifLi16ELi32ELi8ELb1ELb0ELc78ELc85EKffEviT_T0_PT8_S1_lS4_S1_lS2_PT9_S1_li
	.p2align	8
	.type	_ZL37rocblas_syrkx_herkx_restricted_kernelIifLi16ELi32ELi8ELb1ELb0ELc78ELc85EKffEviT_T0_PT8_S1_lS4_S1_lS2_PT9_S1_li,@function
_ZL37rocblas_syrkx_herkx_restricted_kernelIifLi16ELi32ELi8ELb1ELb0ELc78ELc85EKffEviT_T0_PT8_S1_lS4_S1_lS2_PT9_S1_li: ; @_ZL37rocblas_syrkx_herkx_restricted_kernelIifLi16ELi32ELi8ELb1ELb0ELc78ELc85EKffEviT_T0_PT8_S1_lS4_S1_lS2_PT9_S1_li
; %bb.0:
	s_load_b128 s[4:7], s[0:1], 0x0
	v_dual_mov_b32 v8, 0 :: v_dual_and_b32 v5, 0x3ff, v0
	v_bfe_u32 v6, v0, 10, 10
	v_dual_mov_b32 v9, 0 :: v_dual_mov_b32 v4, 0
	v_mov_b32_e32 v7, 0
	s_waitcnt lgkmcnt(0)
	s_lshl_b32 s7, s13, 5
	s_lshl_b32 s12, s14, 5
	s_mov_b32 s13, 0
	s_cmp_lt_i32 s5, 1
	s_cbranch_scc1 .LBB31_3
; %bb.1:
	v_lshl_add_u32 v0, v6, 4, v5
	s_clause 0x2
	s_load_b32 s16, s[0:1], 0x18
	s_load_b32 s2, s[0:1], 0x30
	s_load_b64 s[18:19], s[0:1], 0x38
	v_and_b32_e32 v4, 7, v5
	s_clause 0x1
	s_load_b128 s[8:11], s[0:1], 0x20
	s_load_b64 s[20:21], s[0:1], 0x10
	v_lshrrev_b32_e32 v1, 3, v0
	v_and_b32_e32 v7, 31, v0
	v_lshlrev_b32_e32 v2, 2, v4
	v_lshrrev_b32_e32 v9, 5, v0
	v_lshlrev_b32_e32 v12, 2, v5
	v_add_nc_u32_e32 v0, s12, v1
	v_lshlrev_b32_e32 v3, 2, v7
	v_lshl_or_b32 v2, v1, 5, v2
	v_lshl_add_u32 v13, v6, 5, 0x400
	s_delay_alu instid0(VALU_DEP_4) | instskip(NEXT) | instid1(VALU_DEP_4)
	v_ashrrev_i32_e32 v1, 31, v0
	v_lshl_or_b32 v10, v9, 7, v3
	s_delay_alu instid0(VALU_DEP_4)
	v_add_nc_u32_e32 v11, 0x400, v2
	s_waitcnt lgkmcnt(0)
	s_ashr_i32 s17, s16, 31
	v_mad_i64_i32 v[2:3], null, s2, v4, v[0:1]
	v_mov_b32_e32 v4, 0
	v_add_nc_u32_e32 v0, s7, v7
	s_mul_i32 s14, s19, s15
	s_mul_hi_u32 s19, s18, s15
	s_mul_i32 s18, s18, s15
	s_add_i32 s19, s19, s14
	v_ashrrev_i32_e32 v1, 31, v0
	v_lshlrev_b64 v[2:3], 2, v[2:3]
	s_lshl_b64 s[18:19], s[18:19], 2
	s_ashr_i32 s3, s2, 31
	s_add_u32 s10, s10, s18
	v_mad_i64_i32 v[7:8], null, s16, v9, v[0:1]
	s_addc_u32 s11, s11, s19
	s_mul_i32 s9, s9, s15
	s_mul_hi_u32 s14, s8, s15
	v_add_co_u32 v0, vcc_lo, s10, v2
	v_add_co_ci_u32_e32 v1, vcc_lo, s11, v3, vcc_lo
	s_add_i32 s9, s14, s9
	s_mul_i32 s8, s8, s15
	v_lshlrev_b64 v[2:3], 2, v[7:8]
	v_mov_b32_e32 v8, 0
	s_lshl_b64 s[8:9], s[8:9], 2
	s_lshl_b64 s[2:3], s[2:3], 5
	s_add_u32 s8, s20, s8
	s_addc_u32 s9, s21, s9
	v_add_co_u32 v2, vcc_lo, s8, v2
	v_add_co_ci_u32_e32 v3, vcc_lo, s9, v3, vcc_lo
	v_mov_b32_e32 v7, 0
	v_mov_b32_e32 v9, 0
	s_lshl_b64 s[8:9], s[16:17], 5
.LBB31_2:                               ; =>This Inner Loop Header: Depth=1
	global_load_b32 v14, v[2:3], off
	global_load_b32 v15, v[0:1], off
	v_add_co_u32 v0, vcc_lo, v0, s2
	v_add_co_ci_u32_e32 v1, vcc_lo, s3, v1, vcc_lo
	v_add_co_u32 v2, vcc_lo, v2, s8
	v_add_co_ci_u32_e32 v3, vcc_lo, s9, v3, vcc_lo
	s_add_i32 s13, s13, 8
	s_waitcnt vmcnt(1)
	ds_store_b32 v10, v14
	s_waitcnt vmcnt(0)
	ds_store_b32 v11, v15
	s_waitcnt lgkmcnt(0)
	s_barrier
	buffer_gl0_inv
	ds_load_2addr_b32 v[30:31], v12 offset1:16
	ds_load_b128 v[14:17], v13
	ds_load_b128 v[18:21], v13 offset:512
	ds_load_2addr_b32 v[32:33], v12 offset0:32 offset1:48
	ds_load_2addr_b32 v[34:35], v12 offset0:64 offset1:80
	ds_load_b128 v[22:25], v13 offset:16
	ds_load_2addr_b32 v[36:37], v12 offset0:96 offset1:112
	ds_load_2addr_b32 v[38:39], v12 offset0:128 offset1:144
	;; [unrolled: 3-line block ×3, first 2 shown]
	ds_load_2addr_b32 v[44:45], v12 offset0:224 offset1:240
	s_cmp_ge_i32 s13, s5
	s_waitcnt lgkmcnt(0)
	s_barrier
	buffer_gl0_inv
	v_fmac_f32_e32 v8, v31, v14
	v_fmac_f32_e32 v9, v30, v14
	;; [unrolled: 1-line block ×3, first 2 shown]
	s_delay_alu instid0(VALU_DEP_3) | instskip(NEXT) | instid1(VALU_DEP_3)
	v_dual_fmac_f32 v7, v30, v18 :: v_dual_fmac_f32 v8, v33, v15
	v_fmac_f32_e32 v9, v32, v15
	s_delay_alu instid0(VALU_DEP_3) | instskip(NEXT) | instid1(VALU_DEP_3)
	v_fmac_f32_e32 v4, v33, v19
	v_dual_fmac_f32 v7, v32, v19 :: v_dual_fmac_f32 v8, v35, v16
	s_delay_alu instid0(VALU_DEP_3) | instskip(NEXT) | instid1(VALU_DEP_3)
	v_fmac_f32_e32 v9, v34, v16
	v_fmac_f32_e32 v4, v35, v20
	s_delay_alu instid0(VALU_DEP_3) | instskip(NEXT) | instid1(VALU_DEP_3)
	v_dual_fmac_f32 v7, v34, v20 :: v_dual_fmac_f32 v8, v37, v17
	v_fmac_f32_e32 v9, v36, v17
	s_delay_alu instid0(VALU_DEP_3) | instskip(NEXT) | instid1(VALU_DEP_3)
	v_fmac_f32_e32 v4, v37, v21
	v_dual_fmac_f32 v7, v36, v21 :: v_dual_fmac_f32 v8, v39, v22
	s_delay_alu instid0(VALU_DEP_3) | instskip(NEXT) | instid1(VALU_DEP_3)
	v_fmac_f32_e32 v9, v38, v22
	v_fmac_f32_e32 v4, v39, v26
	;; [unrolled: 9-line block ×3, first 2 shown]
	s_delay_alu instid0(VALU_DEP_3) | instskip(NEXT) | instid1(VALU_DEP_3)
	v_dual_fmac_f32 v7, v42, v28 :: v_dual_fmac_f32 v8, v45, v25
	v_fmac_f32_e32 v9, v44, v25
	s_delay_alu instid0(VALU_DEP_3) | instskip(NEXT) | instid1(VALU_DEP_3)
	v_fmac_f32_e32 v4, v45, v29
	v_fmac_f32_e32 v7, v44, v29
	s_cbranch_scc0 .LBB31_2
.LBB31_3:
	s_clause 0x2
	s_load_b32 s2, s[0:1], 0x50
	s_load_b64 s[8:9], s[0:1], 0x58
	s_load_b64 s[10:11], s[0:1], 0x48
	v_add_nc_u32_e32 v6, s12, v6
	v_add_nc_u32_e32 v0, s7, v5
	s_delay_alu instid0(VALU_DEP_2)
	v_cmp_gt_i32_e32 vcc_lo, s4, v6
	s_waitcnt lgkmcnt(0)
	v_mad_i64_i32 v[1:2], null, v6, s2, 0
	s_mul_i32 s1, s15, s9
	s_mul_hi_u32 s3, s15, s8
	s_mul_i32 s0, s15, s8
	s_add_i32 s1, s3, s1
	s_delay_alu instid0(SALU_CYCLE_1) | instskip(NEXT) | instid1(VALU_DEP_1)
	s_lshl_b64 s[8:9], s[0:1], 2
	v_lshlrev_b64 v[1:2], 2, v[1:2]
	s_add_u32 s3, s10, s8
	v_cmp_le_i32_e64 s0, v0, v6
	s_addc_u32 s5, s11, s9
	s_delay_alu instid0(VALU_DEP_2) | instskip(NEXT) | instid1(VALU_DEP_1)
	v_add_co_u32 v5, s1, s3, v1
	v_add_co_ci_u32_e64 v10, s1, s5, v2, s1
	s_delay_alu instid0(VALU_DEP_3) | instskip(NEXT) | instid1(SALU_CYCLE_1)
	s_and_b32 s0, vcc_lo, s0
	s_and_saveexec_b32 s1, s0
	s_cbranch_execz .LBB31_5
; %bb.4:
	v_ashrrev_i32_e32 v1, 31, v0
	v_mul_f32_e32 v3, s6, v9
	s_delay_alu instid0(VALU_DEP_2) | instskip(NEXT) | instid1(VALU_DEP_1)
	v_lshlrev_b64 v[1:2], 2, v[0:1]
	v_add_co_u32 v1, s0, v5, v1
	s_delay_alu instid0(VALU_DEP_1)
	v_add_co_ci_u32_e64 v2, s0, v10, v2, s0
	global_store_b32 v[1:2], v3, off
.LBB31_5:
	s_or_b32 exec_lo, exec_lo, s1
	v_add_nc_u32_e32 v2, 16, v0
	s_delay_alu instid0(VALU_DEP_1) | instskip(NEXT) | instid1(VALU_DEP_1)
	v_cmp_le_i32_e64 s0, v2, v6
	s_and_b32 s1, vcc_lo, s0
	s_delay_alu instid0(SALU_CYCLE_1)
	s_and_saveexec_b32 s0, s1
	s_cbranch_execz .LBB31_7
; %bb.6:
	v_ashrrev_i32_e32 v3, 31, v2
	v_mul_f32_e32 v1, s6, v8
	s_delay_alu instid0(VALU_DEP_2) | instskip(NEXT) | instid1(VALU_DEP_1)
	v_lshlrev_b64 v[11:12], 2, v[2:3]
	v_add_co_u32 v8, vcc_lo, v5, v11
	s_delay_alu instid0(VALU_DEP_2)
	v_add_co_ci_u32_e32 v9, vcc_lo, v10, v12, vcc_lo
	global_store_b32 v[8:9], v1, off
.LBB31_7:
	s_or_b32 exec_lo, exec_lo, s0
	v_add_nc_u32_e32 v3, 16, v6
	s_delay_alu instid0(VALU_DEP_1) | instskip(SKIP_2) | instid1(VALU_DEP_1)
	v_mad_i64_i32 v[5:6], null, v3, s2, 0
	v_cmp_gt_i32_e32 vcc_lo, s4, v3
	v_cmp_le_i32_e64 s0, v0, v3
	s_and_b32 s0, vcc_lo, s0
	s_delay_alu instid0(VALU_DEP_3) | instskip(NEXT) | instid1(VALU_DEP_1)
	v_lshlrev_b64 v[5:6], 2, v[5:6]
	v_add_co_u32 v5, s1, s3, v5
	s_delay_alu instid0(VALU_DEP_1)
	v_add_co_ci_u32_e64 v6, s1, s5, v6, s1
	s_and_saveexec_b32 s1, s0
	s_cbranch_execz .LBB31_9
; %bb.8:
	v_ashrrev_i32_e32 v1, 31, v0
	v_mul_f32_e32 v7, s6, v7
	s_delay_alu instid0(VALU_DEP_2) | instskip(NEXT) | instid1(VALU_DEP_1)
	v_lshlrev_b64 v[0:1], 2, v[0:1]
	v_add_co_u32 v0, s0, v5, v0
	s_delay_alu instid0(VALU_DEP_1)
	v_add_co_ci_u32_e64 v1, s0, v6, v1, s0
	global_store_b32 v[0:1], v7, off
.LBB31_9:
	s_or_b32 exec_lo, exec_lo, s1
	v_cmp_le_i32_e64 s0, v2, v3
	s_delay_alu instid0(VALU_DEP_1) | instskip(NEXT) | instid1(SALU_CYCLE_1)
	s_and_b32 s0, vcc_lo, s0
	s_and_saveexec_b32 s1, s0
	s_cbranch_execz .LBB31_11
; %bb.10:
	v_ashrrev_i32_e32 v3, 31, v2
	s_delay_alu instid0(VALU_DEP_1) | instskip(SKIP_1) | instid1(VALU_DEP_2)
	v_lshlrev_b64 v[0:1], 2, v[2:3]
	v_mul_f32_e32 v2, s6, v4
	v_add_co_u32 v0, vcc_lo, v5, v0
	s_delay_alu instid0(VALU_DEP_3)
	v_add_co_ci_u32_e32 v1, vcc_lo, v6, v1, vcc_lo
	global_store_b32 v[0:1], v2, off
.LBB31_11:
	s_nop 0
	s_sendmsg sendmsg(MSG_DEALLOC_VGPRS)
	s_endpgm
	.section	.rodata,"a",@progbits
	.p2align	6, 0x0
	.amdhsa_kernel _ZL37rocblas_syrkx_herkx_restricted_kernelIifLi16ELi32ELi8ELb1ELb0ELc78ELc85EKffEviT_T0_PT8_S1_lS4_S1_lS2_PT9_S1_li
		.amdhsa_group_segment_fixed_size 2048
		.amdhsa_private_segment_fixed_size 0
		.amdhsa_kernarg_size 100
		.amdhsa_user_sgpr_count 13
		.amdhsa_user_sgpr_dispatch_ptr 0
		.amdhsa_user_sgpr_queue_ptr 0
		.amdhsa_user_sgpr_kernarg_segment_ptr 1
		.amdhsa_user_sgpr_dispatch_id 0
		.amdhsa_user_sgpr_private_segment_size 0
		.amdhsa_wavefront_size32 1
		.amdhsa_uses_dynamic_stack 0
		.amdhsa_enable_private_segment 0
		.amdhsa_system_sgpr_workgroup_id_x 1
		.amdhsa_system_sgpr_workgroup_id_y 1
		.amdhsa_system_sgpr_workgroup_id_z 1
		.amdhsa_system_sgpr_workgroup_info 0
		.amdhsa_system_vgpr_workitem_id 1
		.amdhsa_next_free_vgpr 46
		.amdhsa_next_free_sgpr 22
		.amdhsa_reserve_vcc 1
		.amdhsa_float_round_mode_32 0
		.amdhsa_float_round_mode_16_64 0
		.amdhsa_float_denorm_mode_32 3
		.amdhsa_float_denorm_mode_16_64 3
		.amdhsa_dx10_clamp 1
		.amdhsa_ieee_mode 1
		.amdhsa_fp16_overflow 0
		.amdhsa_workgroup_processor_mode 1
		.amdhsa_memory_ordered 1
		.amdhsa_forward_progress 0
		.amdhsa_shared_vgpr_count 0
		.amdhsa_exception_fp_ieee_invalid_op 0
		.amdhsa_exception_fp_denorm_src 0
		.amdhsa_exception_fp_ieee_div_zero 0
		.amdhsa_exception_fp_ieee_overflow 0
		.amdhsa_exception_fp_ieee_underflow 0
		.amdhsa_exception_fp_ieee_inexact 0
		.amdhsa_exception_int_div_zero 0
	.end_amdhsa_kernel
	.section	.text._ZL37rocblas_syrkx_herkx_restricted_kernelIifLi16ELi32ELi8ELb1ELb0ELc78ELc85EKffEviT_T0_PT8_S1_lS4_S1_lS2_PT9_S1_li,"axG",@progbits,_ZL37rocblas_syrkx_herkx_restricted_kernelIifLi16ELi32ELi8ELb1ELb0ELc78ELc85EKffEviT_T0_PT8_S1_lS4_S1_lS2_PT9_S1_li,comdat
.Lfunc_end31:
	.size	_ZL37rocblas_syrkx_herkx_restricted_kernelIifLi16ELi32ELi8ELb1ELb0ELc78ELc85EKffEviT_T0_PT8_S1_lS4_S1_lS2_PT9_S1_li, .Lfunc_end31-_ZL37rocblas_syrkx_herkx_restricted_kernelIifLi16ELi32ELi8ELb1ELb0ELc78ELc85EKffEviT_T0_PT8_S1_lS4_S1_lS2_PT9_S1_li
                                        ; -- End function
	.section	.AMDGPU.csdata,"",@progbits
; Kernel info:
; codeLenInByte = 1208
; NumSgprs: 24
; NumVgprs: 46
; ScratchSize: 0
; MemoryBound: 0
; FloatMode: 240
; IeeeMode: 1
; LDSByteSize: 2048 bytes/workgroup (compile time only)
; SGPRBlocks: 2
; VGPRBlocks: 5
; NumSGPRsForWavesPerEU: 24
; NumVGPRsForWavesPerEU: 46
; Occupancy: 16
; WaveLimiterHint : 0
; COMPUTE_PGM_RSRC2:SCRATCH_EN: 0
; COMPUTE_PGM_RSRC2:USER_SGPR: 13
; COMPUTE_PGM_RSRC2:TRAP_HANDLER: 0
; COMPUTE_PGM_RSRC2:TGID_X_EN: 1
; COMPUTE_PGM_RSRC2:TGID_Y_EN: 1
; COMPUTE_PGM_RSRC2:TGID_Z_EN: 1
; COMPUTE_PGM_RSRC2:TIDIG_COMP_CNT: 1
	.section	.text._ZL37rocblas_syrkx_herkx_restricted_kernelIifLi16ELi32ELi8ELb0ELb0ELc84ELc76EKffEviT_T0_PT8_S1_lS4_S1_lS2_PT9_S1_li,"axG",@progbits,_ZL37rocblas_syrkx_herkx_restricted_kernelIifLi16ELi32ELi8ELb0ELb0ELc84ELc76EKffEviT_T0_PT8_S1_lS4_S1_lS2_PT9_S1_li,comdat
	.globl	_ZL37rocblas_syrkx_herkx_restricted_kernelIifLi16ELi32ELi8ELb0ELb0ELc84ELc76EKffEviT_T0_PT8_S1_lS4_S1_lS2_PT9_S1_li ; -- Begin function _ZL37rocblas_syrkx_herkx_restricted_kernelIifLi16ELi32ELi8ELb0ELb0ELc84ELc76EKffEviT_T0_PT8_S1_lS4_S1_lS2_PT9_S1_li
	.p2align	8
	.type	_ZL37rocblas_syrkx_herkx_restricted_kernelIifLi16ELi32ELi8ELb0ELb0ELc84ELc76EKffEviT_T0_PT8_S1_lS4_S1_lS2_PT9_S1_li,@function
_ZL37rocblas_syrkx_herkx_restricted_kernelIifLi16ELi32ELi8ELb0ELb0ELc84ELc76EKffEviT_T0_PT8_S1_lS4_S1_lS2_PT9_S1_li: ; @_ZL37rocblas_syrkx_herkx_restricted_kernelIifLi16ELi32ELi8ELb0ELb0ELc84ELc76EKffEviT_T0_PT8_S1_lS4_S1_lS2_PT9_S1_li
; %bb.0:
	s_load_b128 s[4:7], s[0:1], 0x0
	v_dual_mov_b32 v9, 0 :: v_dual_and_b32 v6, 0x3ff, v0
	v_bfe_u32 v7, v0, 10, 10
	v_dual_mov_b32 v8, 0 :: v_dual_mov_b32 v1, 0
	v_mov_b32_e32 v0, 0
	s_lshl_b32 s2, s13, 5
	s_lshl_b32 s3, s14, 5
	s_waitcnt lgkmcnt(0)
	s_mov_b32 s7, 0
	s_cmp_lt_i32 s5, 1
	s_cbranch_scc1 .LBB32_3
; %bb.1:
	s_clause 0x4
	s_load_b64 s[12:13], s[0:1], 0x38
	s_load_b32 s14, s[0:1], 0x30
	s_load_b128 s[8:11], s[0:1], 0x20
	s_load_b64 s[16:17], s[0:1], 0x10
	s_load_b32 s18, s[0:1], 0x18
	v_lshl_add_u32 v2, v7, 4, v6
	v_dual_mov_b32 v1, 0 :: v_dual_and_b32 v0, 7, v6
	v_lshlrev_b32_e32 v10, 2, v6
	s_delay_alu instid0(VALU_DEP_3) | instskip(SKIP_1) | instid1(VALU_DEP_4)
	v_lshrrev_b32_e32 v4, 3, v2
	v_and_b32_e32 v5, 31, v2
	v_lshlrev_b32_e32 v8, 2, v0
	v_lshrrev_b32_e32 v2, 5, v2
	v_mov_b32_e32 v3, v1
	v_add_nc_u32_e32 v9, s3, v4
	v_add_nc_u32_e32 v13, s2, v5
	v_lshl_or_b32 v8, v4, 5, v8
	v_lshlrev_b32_e32 v11, 2, v5
	s_waitcnt lgkmcnt(0)
	s_mul_i32 s13, s13, s15
	v_mad_i64_i32 v[4:5], null, s14, v9, v[0:1]
	s_mul_hi_u32 s14, s12, s15
	v_add_nc_u32_e32 v12, 0x400, v8
	v_mad_i64_i32 v[8:9], null, s18, v13, v[2:3]
	s_mul_i32 s12, s12, s15
	s_add_i32 s13, s14, s13
	s_delay_alu instid0(VALU_DEP_3)
	v_lshlrev_b64 v[4:5], 2, v[4:5]
	s_lshl_b64 s[12:13], s[12:13], 2
	s_mul_i32 s9, s9, s15
	s_add_u32 s10, s10, s12
	s_mul_hi_u32 s12, s8, s15
	s_addc_u32 s11, s11, s13
	s_add_i32 s9, s12, s9
	s_mul_i32 s8, s8, s15
	v_lshlrev_b64 v[8:9], 2, v[8:9]
	s_lshl_b64 s[8:9], s[8:9], 2
	v_lshl_or_b32 v11, v2, 7, v11
	v_add_co_u32 v2, vcc_lo, s10, v4
	s_add_u32 s8, s16, s8
	v_add_co_ci_u32_e32 v3, vcc_lo, s11, v5, vcc_lo
	s_addc_u32 s9, s17, s9
	v_add_co_u32 v4, vcc_lo, s8, v8
	v_mov_b32_e32 v8, v1
	v_lshl_add_u32 v13, v7, 5, 0x400
	v_add_co_ci_u32_e32 v5, vcc_lo, s9, v9, vcc_lo
	v_mov_b32_e32 v0, v1
	v_mov_b32_e32 v9, v1
.LBB32_2:                               ; =>This Inner Loop Header: Depth=1
	global_load_b32 v14, v[4:5], off
	global_load_b32 v15, v[2:3], off
	v_add_co_u32 v2, vcc_lo, v2, 32
	v_add_co_ci_u32_e32 v3, vcc_lo, 0, v3, vcc_lo
	v_add_co_u32 v4, vcc_lo, v4, 32
	v_add_co_ci_u32_e32 v5, vcc_lo, 0, v5, vcc_lo
	s_add_i32 s7, s7, 8
	s_waitcnt vmcnt(1)
	ds_store_b32 v11, v14
	s_waitcnt vmcnt(0)
	ds_store_b32 v12, v15
	s_waitcnt lgkmcnt(0)
	s_barrier
	buffer_gl0_inv
	ds_load_2addr_b32 v[30:31], v10 offset1:16
	ds_load_b128 v[14:17], v13
	ds_load_b128 v[18:21], v13 offset:512
	ds_load_2addr_b32 v[32:33], v10 offset0:32 offset1:48
	ds_load_2addr_b32 v[34:35], v10 offset0:64 offset1:80
	ds_load_b128 v[22:25], v13 offset:16
	ds_load_2addr_b32 v[36:37], v10 offset0:96 offset1:112
	ds_load_2addr_b32 v[38:39], v10 offset0:128 offset1:144
	;; [unrolled: 3-line block ×3, first 2 shown]
	ds_load_2addr_b32 v[44:45], v10 offset0:224 offset1:240
	s_cmp_ge_i32 s7, s5
	s_waitcnt lgkmcnt(0)
	s_barrier
	buffer_gl0_inv
	v_fmac_f32_e32 v8, v31, v14
	v_fmac_f32_e32 v9, v30, v14
	;; [unrolled: 1-line block ×4, first 2 shown]
	s_delay_alu instid0(VALU_DEP_4) | instskip(NEXT) | instid1(VALU_DEP_4)
	v_fmac_f32_e32 v8, v33, v15
	v_fmac_f32_e32 v9, v32, v15
	s_delay_alu instid0(VALU_DEP_4) | instskip(NEXT) | instid1(VALU_DEP_4)
	v_fmac_f32_e32 v1, v33, v19
	v_fmac_f32_e32 v0, v32, v19
	;; [unrolled: 3-line block ×14, first 2 shown]
	s_cbranch_scc0 .LBB32_2
.LBB32_3:
	s_clause 0x2
	s_load_b32 s5, s[0:1], 0x50
	s_load_b64 s[8:9], s[0:1], 0x58
	s_load_b64 s[10:11], s[0:1], 0x48
	v_add_nc_u32_e32 v7, s3, v7
	s_load_b32 s3, s[0:1], 0x40
	v_add_nc_u32_e32 v2, s2, v6
	s_delay_alu instid0(VALU_DEP_1)
	v_cmp_le_i32_e64 s0, v7, v2
	v_cmp_gt_i32_e32 vcc_lo, s4, v2
	s_waitcnt lgkmcnt(0)
	v_mad_i64_i32 v[3:4], null, v7, s5, 0
	s_mul_i32 s1, s15, s9
	s_mul_hi_u32 s2, s15, s8
	s_mul_i32 s8, s15, s8
	s_add_i32 s9, s2, s1
	s_delay_alu instid0(SALU_CYCLE_1) | instskip(NEXT) | instid1(VALU_DEP_1)
	s_lshl_b64 s[8:9], s[8:9], 2
	v_lshlrev_b64 v[3:4], 2, v[3:4]
	s_add_u32 s2, s10, s8
	s_addc_u32 s7, s11, s9
	s_and_b32 s0, s0, vcc_lo
	s_delay_alu instid0(VALU_DEP_1) | instskip(NEXT) | instid1(VALU_DEP_1)
	v_add_co_u32 v6, s1, s2, v3
	v_add_co_ci_u32_e64 v10, s1, s7, v4, s1
	s_and_saveexec_b32 s1, s0
	s_cbranch_execz .LBB32_5
; %bb.4:
	v_ashrrev_i32_e32 v3, 31, v2
	s_delay_alu instid0(VALU_DEP_1) | instskip(NEXT) | instid1(VALU_DEP_1)
	v_lshlrev_b64 v[3:4], 2, v[2:3]
	v_add_co_u32 v3, s0, v6, v3
	s_delay_alu instid0(VALU_DEP_1) | instskip(SKIP_3) | instid1(VALU_DEP_1)
	v_add_co_ci_u32_e64 v4, s0, v10, v4, s0
	global_load_b32 v5, v[3:4], off
	s_waitcnt vmcnt(0)
	v_mul_f32_e32 v5, s3, v5
	v_fmac_f32_e32 v5, s6, v9
	global_store_b32 v[3:4], v5, off
.LBB32_5:
	s_or_b32 exec_lo, exec_lo, s1
	v_add_nc_u32_e32 v4, 16, v2
	s_delay_alu instid0(VALU_DEP_1) | instskip(SKIP_1) | instid1(VALU_DEP_1)
	v_cmp_le_i32_e64 s1, v7, v4
	v_cmp_gt_i32_e64 s0, s4, v4
	s_and_b32 s1, s1, s0
	s_delay_alu instid0(SALU_CYCLE_1)
	s_and_saveexec_b32 s4, s1
	s_cbranch_execz .LBB32_7
; %bb.6:
	v_ashrrev_i32_e32 v5, 31, v4
	s_delay_alu instid0(VALU_DEP_1) | instskip(NEXT) | instid1(VALU_DEP_1)
	v_lshlrev_b64 v[11:12], 2, v[4:5]
	v_add_co_u32 v5, s1, v6, v11
	s_delay_alu instid0(VALU_DEP_1) | instskip(SKIP_3) | instid1(VALU_DEP_1)
	v_add_co_ci_u32_e64 v6, s1, v10, v12, s1
	global_load_b32 v3, v[5:6], off
	s_waitcnt vmcnt(0)
	v_mul_f32_e32 v3, s3, v3
	v_fmac_f32_e32 v3, s6, v8
	global_store_b32 v[5:6], v3, off
.LBB32_7:
	s_or_b32 exec_lo, exec_lo, s4
	v_add_nc_u32_e32 v5, 16, v7
	s_delay_alu instid0(VALU_DEP_1) | instskip(SKIP_1) | instid1(VALU_DEP_2)
	v_mad_i64_i32 v[6:7], null, v5, s5, 0
	v_cmp_le_i32_e64 s1, v5, v2
	v_lshlrev_b64 v[6:7], 2, v[6:7]
	s_delay_alu instid0(VALU_DEP_1) | instskip(NEXT) | instid1(VALU_DEP_1)
	v_add_co_u32 v6, s2, s2, v6
	v_add_co_ci_u32_e64 v7, s2, s7, v7, s2
	s_delay_alu instid0(VALU_DEP_4) | instskip(NEXT) | instid1(SALU_CYCLE_1)
	s_and_b32 s2, s1, vcc_lo
	s_and_saveexec_b32 s1, s2
	s_cbranch_execz .LBB32_9
; %bb.8:
	v_ashrrev_i32_e32 v3, 31, v2
	s_delay_alu instid0(VALU_DEP_1) | instskip(NEXT) | instid1(VALU_DEP_1)
	v_lshlrev_b64 v[2:3], 2, v[2:3]
	v_add_co_u32 v2, vcc_lo, v6, v2
	s_delay_alu instid0(VALU_DEP_2) | instskip(SKIP_3) | instid1(VALU_DEP_1)
	v_add_co_ci_u32_e32 v3, vcc_lo, v7, v3, vcc_lo
	global_load_b32 v8, v[2:3], off
	s_waitcnt vmcnt(0)
	v_mul_f32_e32 v8, s3, v8
	v_fmac_f32_e32 v8, s6, v0
	global_store_b32 v[2:3], v8, off
.LBB32_9:
	s_or_b32 exec_lo, exec_lo, s1
	v_cmp_le_i32_e32 vcc_lo, v5, v4
	s_and_b32 s0, vcc_lo, s0
	s_delay_alu instid0(SALU_CYCLE_1)
	s_and_saveexec_b32 s1, s0
	s_cbranch_execz .LBB32_11
; %bb.10:
	v_ashrrev_i32_e32 v5, 31, v4
	s_delay_alu instid0(VALU_DEP_1) | instskip(NEXT) | instid1(VALU_DEP_1)
	v_lshlrev_b64 v[2:3], 2, v[4:5]
	v_add_co_u32 v2, vcc_lo, v6, v2
	s_delay_alu instid0(VALU_DEP_2) | instskip(SKIP_3) | instid1(VALU_DEP_1)
	v_add_co_ci_u32_e32 v3, vcc_lo, v7, v3, vcc_lo
	global_load_b32 v0, v[2:3], off
	s_waitcnt vmcnt(0)
	v_mul_f32_e32 v0, s3, v0
	v_fmac_f32_e32 v0, s6, v1
	global_store_b32 v[2:3], v0, off
.LBB32_11:
	s_nop 0
	s_sendmsg sendmsg(MSG_DEALLOC_VGPRS)
	s_endpgm
	.section	.rodata,"a",@progbits
	.p2align	6, 0x0
	.amdhsa_kernel _ZL37rocblas_syrkx_herkx_restricted_kernelIifLi16ELi32ELi8ELb0ELb0ELc84ELc76EKffEviT_T0_PT8_S1_lS4_S1_lS2_PT9_S1_li
		.amdhsa_group_segment_fixed_size 2048
		.amdhsa_private_segment_fixed_size 0
		.amdhsa_kernarg_size 100
		.amdhsa_user_sgpr_count 13
		.amdhsa_user_sgpr_dispatch_ptr 0
		.amdhsa_user_sgpr_queue_ptr 0
		.amdhsa_user_sgpr_kernarg_segment_ptr 1
		.amdhsa_user_sgpr_dispatch_id 0
		.amdhsa_user_sgpr_private_segment_size 0
		.amdhsa_wavefront_size32 1
		.amdhsa_uses_dynamic_stack 0
		.amdhsa_enable_private_segment 0
		.amdhsa_system_sgpr_workgroup_id_x 1
		.amdhsa_system_sgpr_workgroup_id_y 1
		.amdhsa_system_sgpr_workgroup_id_z 1
		.amdhsa_system_sgpr_workgroup_info 0
		.amdhsa_system_vgpr_workitem_id 1
		.amdhsa_next_free_vgpr 46
		.amdhsa_next_free_sgpr 19
		.amdhsa_reserve_vcc 1
		.amdhsa_float_round_mode_32 0
		.amdhsa_float_round_mode_16_64 0
		.amdhsa_float_denorm_mode_32 3
		.amdhsa_float_denorm_mode_16_64 3
		.amdhsa_dx10_clamp 1
		.amdhsa_ieee_mode 1
		.amdhsa_fp16_overflow 0
		.amdhsa_workgroup_processor_mode 1
		.amdhsa_memory_ordered 1
		.amdhsa_forward_progress 0
		.amdhsa_shared_vgpr_count 0
		.amdhsa_exception_fp_ieee_invalid_op 0
		.amdhsa_exception_fp_denorm_src 0
		.amdhsa_exception_fp_ieee_div_zero 0
		.amdhsa_exception_fp_ieee_overflow 0
		.amdhsa_exception_fp_ieee_underflow 0
		.amdhsa_exception_fp_ieee_inexact 0
		.amdhsa_exception_int_div_zero 0
	.end_amdhsa_kernel
	.section	.text._ZL37rocblas_syrkx_herkx_restricted_kernelIifLi16ELi32ELi8ELb0ELb0ELc84ELc76EKffEviT_T0_PT8_S1_lS4_S1_lS2_PT9_S1_li,"axG",@progbits,_ZL37rocblas_syrkx_herkx_restricted_kernelIifLi16ELi32ELi8ELb0ELb0ELc84ELc76EKffEviT_T0_PT8_S1_lS4_S1_lS2_PT9_S1_li,comdat
.Lfunc_end32:
	.size	_ZL37rocblas_syrkx_herkx_restricted_kernelIifLi16ELi32ELi8ELb0ELb0ELc84ELc76EKffEviT_T0_PT8_S1_lS4_S1_lS2_PT9_S1_li, .Lfunc_end32-_ZL37rocblas_syrkx_herkx_restricted_kernelIifLi16ELi32ELi8ELb0ELb0ELc84ELc76EKffEviT_T0_PT8_S1_lS4_S1_lS2_PT9_S1_li
                                        ; -- End function
	.section	.AMDGPU.csdata,"",@progbits
; Kernel info:
; codeLenInByte = 1264
; NumSgprs: 21
; NumVgprs: 46
; ScratchSize: 0
; MemoryBound: 0
; FloatMode: 240
; IeeeMode: 1
; LDSByteSize: 2048 bytes/workgroup (compile time only)
; SGPRBlocks: 2
; VGPRBlocks: 5
; NumSGPRsForWavesPerEU: 21
; NumVGPRsForWavesPerEU: 46
; Occupancy: 16
; WaveLimiterHint : 0
; COMPUTE_PGM_RSRC2:SCRATCH_EN: 0
; COMPUTE_PGM_RSRC2:USER_SGPR: 13
; COMPUTE_PGM_RSRC2:TRAP_HANDLER: 0
; COMPUTE_PGM_RSRC2:TGID_X_EN: 1
; COMPUTE_PGM_RSRC2:TGID_Y_EN: 1
; COMPUTE_PGM_RSRC2:TGID_Z_EN: 1
; COMPUTE_PGM_RSRC2:TIDIG_COMP_CNT: 1
	.section	.text._ZL37rocblas_syrkx_herkx_restricted_kernelIifLi16ELi32ELi8ELb0ELb0ELc67ELc76EKffEviT_T0_PT8_S1_lS4_S1_lS2_PT9_S1_li,"axG",@progbits,_ZL37rocblas_syrkx_herkx_restricted_kernelIifLi16ELi32ELi8ELb0ELb0ELc67ELc76EKffEviT_T0_PT8_S1_lS4_S1_lS2_PT9_S1_li,comdat
	.globl	_ZL37rocblas_syrkx_herkx_restricted_kernelIifLi16ELi32ELi8ELb0ELb0ELc67ELc76EKffEviT_T0_PT8_S1_lS4_S1_lS2_PT9_S1_li ; -- Begin function _ZL37rocblas_syrkx_herkx_restricted_kernelIifLi16ELi32ELi8ELb0ELb0ELc67ELc76EKffEviT_T0_PT8_S1_lS4_S1_lS2_PT9_S1_li
	.p2align	8
	.type	_ZL37rocblas_syrkx_herkx_restricted_kernelIifLi16ELi32ELi8ELb0ELb0ELc67ELc76EKffEviT_T0_PT8_S1_lS4_S1_lS2_PT9_S1_li,@function
_ZL37rocblas_syrkx_herkx_restricted_kernelIifLi16ELi32ELi8ELb0ELb0ELc67ELc76EKffEviT_T0_PT8_S1_lS4_S1_lS2_PT9_S1_li: ; @_ZL37rocblas_syrkx_herkx_restricted_kernelIifLi16ELi32ELi8ELb0ELb0ELc67ELc76EKffEviT_T0_PT8_S1_lS4_S1_lS2_PT9_S1_li
; %bb.0:
	s_load_b128 s[4:7], s[0:1], 0x0
	v_dual_mov_b32 v9, 0 :: v_dual_and_b32 v6, 0x3ff, v0
	v_bfe_u32 v7, v0, 10, 10
	v_dual_mov_b32 v8, 0 :: v_dual_mov_b32 v1, 0
	v_mov_b32_e32 v0, 0
	s_lshl_b32 s2, s13, 5
	s_lshl_b32 s3, s14, 5
	s_waitcnt lgkmcnt(0)
	s_mov_b32 s7, 0
	s_cmp_lt_i32 s5, 1
	s_cbranch_scc1 .LBB33_3
; %bb.1:
	s_clause 0x4
	s_load_b64 s[12:13], s[0:1], 0x38
	s_load_b32 s14, s[0:1], 0x30
	s_load_b128 s[8:11], s[0:1], 0x20
	s_load_b64 s[16:17], s[0:1], 0x10
	s_load_b32 s18, s[0:1], 0x18
	v_lshl_add_u32 v2, v7, 4, v6
	v_dual_mov_b32 v1, 0 :: v_dual_and_b32 v0, 7, v6
	v_lshlrev_b32_e32 v10, 2, v6
	s_delay_alu instid0(VALU_DEP_3) | instskip(SKIP_1) | instid1(VALU_DEP_4)
	v_lshrrev_b32_e32 v4, 3, v2
	v_and_b32_e32 v5, 31, v2
	v_lshlrev_b32_e32 v8, 2, v0
	v_lshrrev_b32_e32 v2, 5, v2
	v_mov_b32_e32 v3, v1
	v_add_nc_u32_e32 v9, s3, v4
	v_add_nc_u32_e32 v13, s2, v5
	v_lshl_or_b32 v8, v4, 5, v8
	v_lshlrev_b32_e32 v11, 2, v5
	s_waitcnt lgkmcnt(0)
	s_mul_i32 s13, s13, s15
	v_mad_i64_i32 v[4:5], null, s14, v9, v[0:1]
	s_mul_hi_u32 s14, s12, s15
	v_add_nc_u32_e32 v12, 0x400, v8
	v_mad_i64_i32 v[8:9], null, s18, v13, v[2:3]
	s_mul_i32 s12, s12, s15
	s_add_i32 s13, s14, s13
	s_delay_alu instid0(VALU_DEP_3)
	v_lshlrev_b64 v[4:5], 2, v[4:5]
	s_lshl_b64 s[12:13], s[12:13], 2
	s_mul_i32 s9, s9, s15
	s_add_u32 s10, s10, s12
	s_mul_hi_u32 s12, s8, s15
	s_addc_u32 s11, s11, s13
	s_add_i32 s9, s12, s9
	s_mul_i32 s8, s8, s15
	v_lshlrev_b64 v[8:9], 2, v[8:9]
	s_lshl_b64 s[8:9], s[8:9], 2
	v_lshl_or_b32 v11, v2, 7, v11
	v_add_co_u32 v2, vcc_lo, s10, v4
	s_add_u32 s8, s16, s8
	v_add_co_ci_u32_e32 v3, vcc_lo, s11, v5, vcc_lo
	s_addc_u32 s9, s17, s9
	v_add_co_u32 v4, vcc_lo, s8, v8
	v_mov_b32_e32 v8, v1
	v_lshl_add_u32 v13, v7, 5, 0x400
	v_add_co_ci_u32_e32 v5, vcc_lo, s9, v9, vcc_lo
	v_mov_b32_e32 v0, v1
	v_mov_b32_e32 v9, v1
.LBB33_2:                               ; =>This Inner Loop Header: Depth=1
	global_load_b32 v14, v[4:5], off
	global_load_b32 v15, v[2:3], off
	v_add_co_u32 v2, vcc_lo, v2, 32
	v_add_co_ci_u32_e32 v3, vcc_lo, 0, v3, vcc_lo
	v_add_co_u32 v4, vcc_lo, v4, 32
	v_add_co_ci_u32_e32 v5, vcc_lo, 0, v5, vcc_lo
	s_add_i32 s7, s7, 8
	s_waitcnt vmcnt(1)
	ds_store_b32 v11, v14
	s_waitcnt vmcnt(0)
	ds_store_b32 v12, v15
	s_waitcnt lgkmcnt(0)
	s_barrier
	buffer_gl0_inv
	ds_load_2addr_b32 v[30:31], v10 offset1:16
	ds_load_b128 v[14:17], v13
	ds_load_b128 v[18:21], v13 offset:512
	ds_load_2addr_b32 v[32:33], v10 offset0:32 offset1:48
	ds_load_2addr_b32 v[34:35], v10 offset0:64 offset1:80
	ds_load_b128 v[22:25], v13 offset:16
	ds_load_2addr_b32 v[36:37], v10 offset0:96 offset1:112
	ds_load_2addr_b32 v[38:39], v10 offset0:128 offset1:144
	;; [unrolled: 3-line block ×3, first 2 shown]
	ds_load_2addr_b32 v[44:45], v10 offset0:224 offset1:240
	s_cmp_ge_i32 s7, s5
	s_waitcnt lgkmcnt(0)
	s_barrier
	buffer_gl0_inv
	v_fmac_f32_e32 v8, v31, v14
	v_fmac_f32_e32 v9, v30, v14
	;; [unrolled: 1-line block ×4, first 2 shown]
	s_delay_alu instid0(VALU_DEP_4) | instskip(NEXT) | instid1(VALU_DEP_4)
	v_fmac_f32_e32 v8, v33, v15
	v_fmac_f32_e32 v9, v32, v15
	s_delay_alu instid0(VALU_DEP_4) | instskip(NEXT) | instid1(VALU_DEP_4)
	v_fmac_f32_e32 v1, v33, v19
	v_fmac_f32_e32 v0, v32, v19
	s_delay_alu instid0(VALU_DEP_4) | instskip(NEXT) | instid1(VALU_DEP_4)
	v_fmac_f32_e32 v8, v35, v16
	v_fmac_f32_e32 v9, v34, v16
	s_delay_alu instid0(VALU_DEP_4) | instskip(NEXT) | instid1(VALU_DEP_4)
	v_fmac_f32_e32 v1, v35, v20
	v_fmac_f32_e32 v0, v34, v20
	s_delay_alu instid0(VALU_DEP_4) | instskip(NEXT) | instid1(VALU_DEP_4)
	v_fmac_f32_e32 v8, v37, v17
	v_fmac_f32_e32 v9, v36, v17
	s_delay_alu instid0(VALU_DEP_4) | instskip(NEXT) | instid1(VALU_DEP_4)
	v_fmac_f32_e32 v1, v37, v21
	v_fmac_f32_e32 v0, v36, v21
	s_delay_alu instid0(VALU_DEP_4) | instskip(NEXT) | instid1(VALU_DEP_4)
	v_fmac_f32_e32 v8, v39, v22
	v_fmac_f32_e32 v9, v38, v22
	s_delay_alu instid0(VALU_DEP_4) | instskip(NEXT) | instid1(VALU_DEP_4)
	v_fmac_f32_e32 v1, v39, v26
	v_fmac_f32_e32 v0, v38, v26
	s_delay_alu instid0(VALU_DEP_4) | instskip(NEXT) | instid1(VALU_DEP_4)
	v_fmac_f32_e32 v8, v41, v23
	v_fmac_f32_e32 v9, v40, v23
	s_delay_alu instid0(VALU_DEP_4) | instskip(NEXT) | instid1(VALU_DEP_4)
	v_fmac_f32_e32 v1, v41, v27
	v_fmac_f32_e32 v0, v40, v27
	s_delay_alu instid0(VALU_DEP_4) | instskip(NEXT) | instid1(VALU_DEP_4)
	v_fmac_f32_e32 v8, v43, v24
	v_fmac_f32_e32 v9, v42, v24
	s_delay_alu instid0(VALU_DEP_4) | instskip(NEXT) | instid1(VALU_DEP_4)
	v_fmac_f32_e32 v1, v43, v28
	v_fmac_f32_e32 v0, v42, v28
	s_delay_alu instid0(VALU_DEP_4) | instskip(NEXT) | instid1(VALU_DEP_4)
	v_fmac_f32_e32 v8, v45, v25
	v_fmac_f32_e32 v9, v44, v25
	s_delay_alu instid0(VALU_DEP_4) | instskip(NEXT) | instid1(VALU_DEP_4)
	v_fmac_f32_e32 v1, v45, v29
	v_fmac_f32_e32 v0, v44, v29
	s_cbranch_scc0 .LBB33_2
.LBB33_3:
	s_clause 0x2
	s_load_b32 s5, s[0:1], 0x50
	s_load_b64 s[8:9], s[0:1], 0x58
	s_load_b64 s[10:11], s[0:1], 0x48
	v_add_nc_u32_e32 v7, s3, v7
	s_load_b32 s3, s[0:1], 0x40
	v_add_nc_u32_e32 v2, s2, v6
	s_delay_alu instid0(VALU_DEP_1)
	v_cmp_le_i32_e64 s0, v7, v2
	v_cmp_gt_i32_e32 vcc_lo, s4, v2
	s_waitcnt lgkmcnt(0)
	v_mad_i64_i32 v[3:4], null, v7, s5, 0
	s_mul_i32 s1, s15, s9
	s_mul_hi_u32 s2, s15, s8
	s_mul_i32 s8, s15, s8
	s_add_i32 s9, s2, s1
	s_delay_alu instid0(SALU_CYCLE_1) | instskip(NEXT) | instid1(VALU_DEP_1)
	s_lshl_b64 s[8:9], s[8:9], 2
	v_lshlrev_b64 v[3:4], 2, v[3:4]
	s_add_u32 s2, s10, s8
	s_addc_u32 s7, s11, s9
	s_and_b32 s0, s0, vcc_lo
	s_delay_alu instid0(VALU_DEP_1) | instskip(NEXT) | instid1(VALU_DEP_1)
	v_add_co_u32 v6, s1, s2, v3
	v_add_co_ci_u32_e64 v10, s1, s7, v4, s1
	s_and_saveexec_b32 s1, s0
	s_cbranch_execz .LBB33_5
; %bb.4:
	v_ashrrev_i32_e32 v3, 31, v2
	s_delay_alu instid0(VALU_DEP_1) | instskip(NEXT) | instid1(VALU_DEP_1)
	v_lshlrev_b64 v[3:4], 2, v[2:3]
	v_add_co_u32 v3, s0, v6, v3
	s_delay_alu instid0(VALU_DEP_1) | instskip(SKIP_3) | instid1(VALU_DEP_1)
	v_add_co_ci_u32_e64 v4, s0, v10, v4, s0
	global_load_b32 v5, v[3:4], off
	s_waitcnt vmcnt(0)
	v_mul_f32_e32 v5, s3, v5
	v_fmac_f32_e32 v5, s6, v9
	global_store_b32 v[3:4], v5, off
.LBB33_5:
	s_or_b32 exec_lo, exec_lo, s1
	v_add_nc_u32_e32 v4, 16, v2
	s_delay_alu instid0(VALU_DEP_1) | instskip(SKIP_1) | instid1(VALU_DEP_1)
	v_cmp_le_i32_e64 s1, v7, v4
	v_cmp_gt_i32_e64 s0, s4, v4
	s_and_b32 s1, s1, s0
	s_delay_alu instid0(SALU_CYCLE_1)
	s_and_saveexec_b32 s4, s1
	s_cbranch_execz .LBB33_7
; %bb.6:
	v_ashrrev_i32_e32 v5, 31, v4
	s_delay_alu instid0(VALU_DEP_1) | instskip(NEXT) | instid1(VALU_DEP_1)
	v_lshlrev_b64 v[11:12], 2, v[4:5]
	v_add_co_u32 v5, s1, v6, v11
	s_delay_alu instid0(VALU_DEP_1) | instskip(SKIP_3) | instid1(VALU_DEP_1)
	v_add_co_ci_u32_e64 v6, s1, v10, v12, s1
	global_load_b32 v3, v[5:6], off
	s_waitcnt vmcnt(0)
	v_mul_f32_e32 v3, s3, v3
	v_fmac_f32_e32 v3, s6, v8
	global_store_b32 v[5:6], v3, off
.LBB33_7:
	s_or_b32 exec_lo, exec_lo, s4
	v_add_nc_u32_e32 v5, 16, v7
	s_delay_alu instid0(VALU_DEP_1) | instskip(SKIP_1) | instid1(VALU_DEP_2)
	v_mad_i64_i32 v[6:7], null, v5, s5, 0
	v_cmp_le_i32_e64 s1, v5, v2
	v_lshlrev_b64 v[6:7], 2, v[6:7]
	s_delay_alu instid0(VALU_DEP_1) | instskip(NEXT) | instid1(VALU_DEP_1)
	v_add_co_u32 v6, s2, s2, v6
	v_add_co_ci_u32_e64 v7, s2, s7, v7, s2
	s_delay_alu instid0(VALU_DEP_4) | instskip(NEXT) | instid1(SALU_CYCLE_1)
	s_and_b32 s2, s1, vcc_lo
	s_and_saveexec_b32 s1, s2
	s_cbranch_execz .LBB33_9
; %bb.8:
	v_ashrrev_i32_e32 v3, 31, v2
	s_delay_alu instid0(VALU_DEP_1) | instskip(NEXT) | instid1(VALU_DEP_1)
	v_lshlrev_b64 v[2:3], 2, v[2:3]
	v_add_co_u32 v2, vcc_lo, v6, v2
	s_delay_alu instid0(VALU_DEP_2) | instskip(SKIP_3) | instid1(VALU_DEP_1)
	v_add_co_ci_u32_e32 v3, vcc_lo, v7, v3, vcc_lo
	global_load_b32 v8, v[2:3], off
	s_waitcnt vmcnt(0)
	v_mul_f32_e32 v8, s3, v8
	v_fmac_f32_e32 v8, s6, v0
	global_store_b32 v[2:3], v8, off
.LBB33_9:
	s_or_b32 exec_lo, exec_lo, s1
	v_cmp_le_i32_e32 vcc_lo, v5, v4
	s_and_b32 s0, vcc_lo, s0
	s_delay_alu instid0(SALU_CYCLE_1)
	s_and_saveexec_b32 s1, s0
	s_cbranch_execz .LBB33_11
; %bb.10:
	v_ashrrev_i32_e32 v5, 31, v4
	s_delay_alu instid0(VALU_DEP_1) | instskip(NEXT) | instid1(VALU_DEP_1)
	v_lshlrev_b64 v[2:3], 2, v[4:5]
	v_add_co_u32 v2, vcc_lo, v6, v2
	s_delay_alu instid0(VALU_DEP_2) | instskip(SKIP_3) | instid1(VALU_DEP_1)
	v_add_co_ci_u32_e32 v3, vcc_lo, v7, v3, vcc_lo
	global_load_b32 v0, v[2:3], off
	s_waitcnt vmcnt(0)
	v_mul_f32_e32 v0, s3, v0
	v_fmac_f32_e32 v0, s6, v1
	global_store_b32 v[2:3], v0, off
.LBB33_11:
	s_nop 0
	s_sendmsg sendmsg(MSG_DEALLOC_VGPRS)
	s_endpgm
	.section	.rodata,"a",@progbits
	.p2align	6, 0x0
	.amdhsa_kernel _ZL37rocblas_syrkx_herkx_restricted_kernelIifLi16ELi32ELi8ELb0ELb0ELc67ELc76EKffEviT_T0_PT8_S1_lS4_S1_lS2_PT9_S1_li
		.amdhsa_group_segment_fixed_size 2048
		.amdhsa_private_segment_fixed_size 0
		.amdhsa_kernarg_size 100
		.amdhsa_user_sgpr_count 13
		.amdhsa_user_sgpr_dispatch_ptr 0
		.amdhsa_user_sgpr_queue_ptr 0
		.amdhsa_user_sgpr_kernarg_segment_ptr 1
		.amdhsa_user_sgpr_dispatch_id 0
		.amdhsa_user_sgpr_private_segment_size 0
		.amdhsa_wavefront_size32 1
		.amdhsa_uses_dynamic_stack 0
		.amdhsa_enable_private_segment 0
		.amdhsa_system_sgpr_workgroup_id_x 1
		.amdhsa_system_sgpr_workgroup_id_y 1
		.amdhsa_system_sgpr_workgroup_id_z 1
		.amdhsa_system_sgpr_workgroup_info 0
		.amdhsa_system_vgpr_workitem_id 1
		.amdhsa_next_free_vgpr 46
		.amdhsa_next_free_sgpr 19
		.amdhsa_reserve_vcc 1
		.amdhsa_float_round_mode_32 0
		.amdhsa_float_round_mode_16_64 0
		.amdhsa_float_denorm_mode_32 3
		.amdhsa_float_denorm_mode_16_64 3
		.amdhsa_dx10_clamp 1
		.amdhsa_ieee_mode 1
		.amdhsa_fp16_overflow 0
		.amdhsa_workgroup_processor_mode 1
		.amdhsa_memory_ordered 1
		.amdhsa_forward_progress 0
		.amdhsa_shared_vgpr_count 0
		.amdhsa_exception_fp_ieee_invalid_op 0
		.amdhsa_exception_fp_denorm_src 0
		.amdhsa_exception_fp_ieee_div_zero 0
		.amdhsa_exception_fp_ieee_overflow 0
		.amdhsa_exception_fp_ieee_underflow 0
		.amdhsa_exception_fp_ieee_inexact 0
		.amdhsa_exception_int_div_zero 0
	.end_amdhsa_kernel
	.section	.text._ZL37rocblas_syrkx_herkx_restricted_kernelIifLi16ELi32ELi8ELb0ELb0ELc67ELc76EKffEviT_T0_PT8_S1_lS4_S1_lS2_PT9_S1_li,"axG",@progbits,_ZL37rocblas_syrkx_herkx_restricted_kernelIifLi16ELi32ELi8ELb0ELb0ELc67ELc76EKffEviT_T0_PT8_S1_lS4_S1_lS2_PT9_S1_li,comdat
.Lfunc_end33:
	.size	_ZL37rocblas_syrkx_herkx_restricted_kernelIifLi16ELi32ELi8ELb0ELb0ELc67ELc76EKffEviT_T0_PT8_S1_lS4_S1_lS2_PT9_S1_li, .Lfunc_end33-_ZL37rocblas_syrkx_herkx_restricted_kernelIifLi16ELi32ELi8ELb0ELb0ELc67ELc76EKffEviT_T0_PT8_S1_lS4_S1_lS2_PT9_S1_li
                                        ; -- End function
	.section	.AMDGPU.csdata,"",@progbits
; Kernel info:
; codeLenInByte = 1264
; NumSgprs: 21
; NumVgprs: 46
; ScratchSize: 0
; MemoryBound: 0
; FloatMode: 240
; IeeeMode: 1
; LDSByteSize: 2048 bytes/workgroup (compile time only)
; SGPRBlocks: 2
; VGPRBlocks: 5
; NumSGPRsForWavesPerEU: 21
; NumVGPRsForWavesPerEU: 46
; Occupancy: 16
; WaveLimiterHint : 0
; COMPUTE_PGM_RSRC2:SCRATCH_EN: 0
; COMPUTE_PGM_RSRC2:USER_SGPR: 13
; COMPUTE_PGM_RSRC2:TRAP_HANDLER: 0
; COMPUTE_PGM_RSRC2:TGID_X_EN: 1
; COMPUTE_PGM_RSRC2:TGID_Y_EN: 1
; COMPUTE_PGM_RSRC2:TGID_Z_EN: 1
; COMPUTE_PGM_RSRC2:TIDIG_COMP_CNT: 1
	.section	.text._ZL37rocblas_syrkx_herkx_restricted_kernelIifLi16ELi32ELi8ELb0ELb0ELc78ELc76EKffEviT_T0_PT8_S1_lS4_S1_lS2_PT9_S1_li,"axG",@progbits,_ZL37rocblas_syrkx_herkx_restricted_kernelIifLi16ELi32ELi8ELb0ELb0ELc78ELc76EKffEviT_T0_PT8_S1_lS4_S1_lS2_PT9_S1_li,comdat
	.globl	_ZL37rocblas_syrkx_herkx_restricted_kernelIifLi16ELi32ELi8ELb0ELb0ELc78ELc76EKffEviT_T0_PT8_S1_lS4_S1_lS2_PT9_S1_li ; -- Begin function _ZL37rocblas_syrkx_herkx_restricted_kernelIifLi16ELi32ELi8ELb0ELb0ELc78ELc76EKffEviT_T0_PT8_S1_lS4_S1_lS2_PT9_S1_li
	.p2align	8
	.type	_ZL37rocblas_syrkx_herkx_restricted_kernelIifLi16ELi32ELi8ELb0ELb0ELc78ELc76EKffEviT_T0_PT8_S1_lS4_S1_lS2_PT9_S1_li,@function
_ZL37rocblas_syrkx_herkx_restricted_kernelIifLi16ELi32ELi8ELb0ELb0ELc78ELc76EKffEviT_T0_PT8_S1_lS4_S1_lS2_PT9_S1_li: ; @_ZL37rocblas_syrkx_herkx_restricted_kernelIifLi16ELi32ELi8ELb0ELb0ELc78ELc76EKffEviT_T0_PT8_S1_lS4_S1_lS2_PT9_S1_li
; %bb.0:
	s_load_b128 s[4:7], s[0:1], 0x0
	v_dual_mov_b32 v8, 0 :: v_dual_and_b32 v5, 0x3ff, v0
	v_bfe_u32 v6, v0, 10, 10
	v_dual_mov_b32 v9, 0 :: v_dual_mov_b32 v4, 0
	v_mov_b32_e32 v7, 0
	s_waitcnt lgkmcnt(0)
	s_lshl_b32 s7, s13, 5
	s_lshl_b32 s12, s14, 5
	s_mov_b32 s13, 0
	s_cmp_lt_i32 s5, 1
	s_cbranch_scc1 .LBB34_3
; %bb.1:
	v_lshl_add_u32 v0, v6, 4, v5
	s_clause 0x2
	s_load_b32 s16, s[0:1], 0x18
	s_load_b32 s2, s[0:1], 0x30
	s_load_b64 s[18:19], s[0:1], 0x38
	v_and_b32_e32 v4, 7, v5
	s_clause 0x1
	s_load_b128 s[8:11], s[0:1], 0x20
	s_load_b64 s[20:21], s[0:1], 0x10
	v_lshrrev_b32_e32 v1, 3, v0
	v_and_b32_e32 v7, 31, v0
	v_lshlrev_b32_e32 v2, 2, v4
	v_lshrrev_b32_e32 v9, 5, v0
	v_lshlrev_b32_e32 v12, 2, v5
	v_add_nc_u32_e32 v0, s12, v1
	v_lshlrev_b32_e32 v3, 2, v7
	v_lshl_or_b32 v2, v1, 5, v2
	v_lshl_add_u32 v13, v6, 5, 0x400
	s_delay_alu instid0(VALU_DEP_4) | instskip(NEXT) | instid1(VALU_DEP_4)
	v_ashrrev_i32_e32 v1, 31, v0
	v_lshl_or_b32 v10, v9, 7, v3
	s_delay_alu instid0(VALU_DEP_4)
	v_add_nc_u32_e32 v11, 0x400, v2
	s_waitcnt lgkmcnt(0)
	s_ashr_i32 s17, s16, 31
	v_mad_i64_i32 v[2:3], null, s2, v4, v[0:1]
	v_mov_b32_e32 v4, 0
	v_add_nc_u32_e32 v0, s7, v7
	s_mul_i32 s14, s19, s15
	s_mul_hi_u32 s19, s18, s15
	s_mul_i32 s18, s18, s15
	s_add_i32 s19, s19, s14
	v_ashrrev_i32_e32 v1, 31, v0
	v_lshlrev_b64 v[2:3], 2, v[2:3]
	s_lshl_b64 s[18:19], s[18:19], 2
	s_ashr_i32 s3, s2, 31
	s_add_u32 s10, s10, s18
	v_mad_i64_i32 v[7:8], null, s16, v9, v[0:1]
	s_addc_u32 s11, s11, s19
	s_mul_i32 s9, s9, s15
	s_mul_hi_u32 s14, s8, s15
	v_add_co_u32 v0, vcc_lo, s10, v2
	v_add_co_ci_u32_e32 v1, vcc_lo, s11, v3, vcc_lo
	s_add_i32 s9, s14, s9
	s_mul_i32 s8, s8, s15
	v_lshlrev_b64 v[2:3], 2, v[7:8]
	v_mov_b32_e32 v8, 0
	s_lshl_b64 s[8:9], s[8:9], 2
	s_lshl_b64 s[2:3], s[2:3], 5
	s_add_u32 s8, s20, s8
	s_addc_u32 s9, s21, s9
	v_add_co_u32 v2, vcc_lo, s8, v2
	v_add_co_ci_u32_e32 v3, vcc_lo, s9, v3, vcc_lo
	v_mov_b32_e32 v7, 0
	v_mov_b32_e32 v9, 0
	s_lshl_b64 s[8:9], s[16:17], 5
.LBB34_2:                               ; =>This Inner Loop Header: Depth=1
	global_load_b32 v14, v[2:3], off
	global_load_b32 v15, v[0:1], off
	v_add_co_u32 v0, vcc_lo, v0, s2
	v_add_co_ci_u32_e32 v1, vcc_lo, s3, v1, vcc_lo
	v_add_co_u32 v2, vcc_lo, v2, s8
	v_add_co_ci_u32_e32 v3, vcc_lo, s9, v3, vcc_lo
	s_add_i32 s13, s13, 8
	s_waitcnt vmcnt(1)
	ds_store_b32 v10, v14
	s_waitcnt vmcnt(0)
	ds_store_b32 v11, v15
	s_waitcnt lgkmcnt(0)
	s_barrier
	buffer_gl0_inv
	ds_load_2addr_b32 v[30:31], v12 offset1:16
	ds_load_b128 v[14:17], v13
	ds_load_b128 v[18:21], v13 offset:512
	ds_load_2addr_b32 v[32:33], v12 offset0:32 offset1:48
	ds_load_2addr_b32 v[34:35], v12 offset0:64 offset1:80
	ds_load_b128 v[22:25], v13 offset:16
	ds_load_2addr_b32 v[36:37], v12 offset0:96 offset1:112
	ds_load_2addr_b32 v[38:39], v12 offset0:128 offset1:144
	;; [unrolled: 3-line block ×3, first 2 shown]
	ds_load_2addr_b32 v[44:45], v12 offset0:224 offset1:240
	s_cmp_ge_i32 s13, s5
	s_waitcnt lgkmcnt(0)
	s_barrier
	buffer_gl0_inv
	v_fmac_f32_e32 v8, v31, v14
	v_fmac_f32_e32 v9, v30, v14
	;; [unrolled: 1-line block ×3, first 2 shown]
	s_delay_alu instid0(VALU_DEP_3) | instskip(NEXT) | instid1(VALU_DEP_3)
	v_dual_fmac_f32 v7, v30, v18 :: v_dual_fmac_f32 v8, v33, v15
	v_fmac_f32_e32 v9, v32, v15
	s_delay_alu instid0(VALU_DEP_3) | instskip(NEXT) | instid1(VALU_DEP_3)
	v_fmac_f32_e32 v4, v33, v19
	v_dual_fmac_f32 v7, v32, v19 :: v_dual_fmac_f32 v8, v35, v16
	s_delay_alu instid0(VALU_DEP_3) | instskip(NEXT) | instid1(VALU_DEP_3)
	v_fmac_f32_e32 v9, v34, v16
	v_fmac_f32_e32 v4, v35, v20
	s_delay_alu instid0(VALU_DEP_3) | instskip(NEXT) | instid1(VALU_DEP_3)
	v_dual_fmac_f32 v7, v34, v20 :: v_dual_fmac_f32 v8, v37, v17
	v_fmac_f32_e32 v9, v36, v17
	s_delay_alu instid0(VALU_DEP_3) | instskip(NEXT) | instid1(VALU_DEP_3)
	v_fmac_f32_e32 v4, v37, v21
	v_dual_fmac_f32 v7, v36, v21 :: v_dual_fmac_f32 v8, v39, v22
	s_delay_alu instid0(VALU_DEP_3) | instskip(NEXT) | instid1(VALU_DEP_3)
	v_fmac_f32_e32 v9, v38, v22
	v_fmac_f32_e32 v4, v39, v26
	;; [unrolled: 9-line block ×3, first 2 shown]
	s_delay_alu instid0(VALU_DEP_3) | instskip(NEXT) | instid1(VALU_DEP_3)
	v_dual_fmac_f32 v7, v42, v28 :: v_dual_fmac_f32 v8, v45, v25
	v_fmac_f32_e32 v9, v44, v25
	s_delay_alu instid0(VALU_DEP_3) | instskip(NEXT) | instid1(VALU_DEP_3)
	v_fmac_f32_e32 v4, v45, v29
	v_fmac_f32_e32 v7, v44, v29
	s_cbranch_scc0 .LBB34_2
.LBB34_3:
	s_clause 0x2
	s_load_b32 s2, s[0:1], 0x50
	s_load_b64 s[8:9], s[0:1], 0x58
	s_load_b64 s[10:11], s[0:1], 0x48
	v_add_nc_u32_e32 v6, s12, v6
	s_load_b32 s3, s[0:1], 0x40
	v_add_nc_u32_e32 v0, s7, v5
	s_delay_alu instid0(VALU_DEP_1)
	v_cmp_le_i32_e64 s0, v6, v0
	v_cmp_gt_i32_e32 vcc_lo, s4, v0
	s_waitcnt lgkmcnt(0)
	v_mad_i64_i32 v[1:2], null, v6, s2, 0
	s_mul_i32 s1, s15, s9
	s_mul_hi_u32 s5, s15, s8
	s_mul_i32 s8, s15, s8
	s_add_i32 s9, s5, s1
	s_delay_alu instid0(SALU_CYCLE_1) | instskip(NEXT) | instid1(VALU_DEP_1)
	s_lshl_b64 s[8:9], s[8:9], 2
	v_lshlrev_b64 v[1:2], 2, v[1:2]
	s_add_u32 s5, s10, s8
	s_addc_u32 s7, s11, s9
	s_and_b32 s0, s0, vcc_lo
	s_delay_alu instid0(VALU_DEP_1) | instskip(NEXT) | instid1(VALU_DEP_1)
	v_add_co_u32 v5, s1, s5, v1
	v_add_co_ci_u32_e64 v10, s1, s7, v2, s1
	s_and_saveexec_b32 s1, s0
	s_cbranch_execz .LBB34_5
; %bb.4:
	v_ashrrev_i32_e32 v1, 31, v0
	s_delay_alu instid0(VALU_DEP_1) | instskip(NEXT) | instid1(VALU_DEP_1)
	v_lshlrev_b64 v[1:2], 2, v[0:1]
	v_add_co_u32 v1, s0, v5, v1
	s_delay_alu instid0(VALU_DEP_1) | instskip(SKIP_3) | instid1(VALU_DEP_1)
	v_add_co_ci_u32_e64 v2, s0, v10, v2, s0
	global_load_b32 v3, v[1:2], off
	s_waitcnt vmcnt(0)
	v_mul_f32_e32 v3, s3, v3
	v_fmac_f32_e32 v3, s6, v9
	global_store_b32 v[1:2], v3, off
.LBB34_5:
	s_or_b32 exec_lo, exec_lo, s1
	v_add_nc_u32_e32 v2, 16, v0
	s_delay_alu instid0(VALU_DEP_1) | instskip(SKIP_1) | instid1(VALU_DEP_1)
	v_cmp_le_i32_e64 s1, v6, v2
	v_cmp_gt_i32_e64 s0, s4, v2
	s_and_b32 s1, s1, s0
	s_delay_alu instid0(SALU_CYCLE_1)
	s_and_saveexec_b32 s4, s1
	s_cbranch_execz .LBB34_7
; %bb.6:
	v_ashrrev_i32_e32 v3, 31, v2
	s_delay_alu instid0(VALU_DEP_1) | instskip(NEXT) | instid1(VALU_DEP_1)
	v_lshlrev_b64 v[11:12], 2, v[2:3]
	v_add_co_u32 v9, s1, v5, v11
	s_delay_alu instid0(VALU_DEP_1) | instskip(SKIP_3) | instid1(VALU_DEP_1)
	v_add_co_ci_u32_e64 v10, s1, v10, v12, s1
	global_load_b32 v1, v[9:10], off
	s_waitcnt vmcnt(0)
	v_mul_f32_e32 v1, s3, v1
	v_fmac_f32_e32 v1, s6, v8
	global_store_b32 v[9:10], v1, off
.LBB34_7:
	s_or_b32 exec_lo, exec_lo, s4
	v_add_nc_u32_e32 v3, 16, v6
	s_delay_alu instid0(VALU_DEP_1) | instskip(SKIP_1) | instid1(VALU_DEP_2)
	v_mad_i64_i32 v[5:6], null, v3, s2, 0
	v_cmp_le_i32_e64 s1, v3, v0
	v_lshlrev_b64 v[5:6], 2, v[5:6]
	s_delay_alu instid0(VALU_DEP_1) | instskip(NEXT) | instid1(VALU_DEP_1)
	v_add_co_u32 v5, s2, s5, v5
	v_add_co_ci_u32_e64 v6, s2, s7, v6, s2
	s_delay_alu instid0(VALU_DEP_4) | instskip(NEXT) | instid1(SALU_CYCLE_1)
	s_and_b32 s2, s1, vcc_lo
	s_and_saveexec_b32 s1, s2
	s_cbranch_execz .LBB34_9
; %bb.8:
	v_ashrrev_i32_e32 v1, 31, v0
	s_delay_alu instid0(VALU_DEP_1) | instskip(NEXT) | instid1(VALU_DEP_1)
	v_lshlrev_b64 v[0:1], 2, v[0:1]
	v_add_co_u32 v0, vcc_lo, v5, v0
	s_delay_alu instid0(VALU_DEP_2) | instskip(SKIP_3) | instid1(VALU_DEP_1)
	v_add_co_ci_u32_e32 v1, vcc_lo, v6, v1, vcc_lo
	global_load_b32 v8, v[0:1], off
	s_waitcnt vmcnt(0)
	v_mul_f32_e32 v8, s3, v8
	v_fmac_f32_e32 v8, s6, v7
	global_store_b32 v[0:1], v8, off
.LBB34_9:
	s_or_b32 exec_lo, exec_lo, s1
	v_cmp_le_i32_e32 vcc_lo, v3, v2
	s_and_b32 s0, vcc_lo, s0
	s_delay_alu instid0(SALU_CYCLE_1)
	s_and_saveexec_b32 s1, s0
	s_cbranch_execz .LBB34_11
; %bb.10:
	v_ashrrev_i32_e32 v3, 31, v2
	s_delay_alu instid0(VALU_DEP_1) | instskip(NEXT) | instid1(VALU_DEP_1)
	v_lshlrev_b64 v[0:1], 2, v[2:3]
	v_add_co_u32 v0, vcc_lo, v5, v0
	s_delay_alu instid0(VALU_DEP_2) | instskip(SKIP_3) | instid1(VALU_DEP_1)
	v_add_co_ci_u32_e32 v1, vcc_lo, v6, v1, vcc_lo
	global_load_b32 v2, v[0:1], off
	s_waitcnt vmcnt(0)
	v_mul_f32_e32 v2, s3, v2
	v_fmac_f32_e32 v2, s6, v4
	global_store_b32 v[0:1], v2, off
.LBB34_11:
	s_nop 0
	s_sendmsg sendmsg(MSG_DEALLOC_VGPRS)
	s_endpgm
	.section	.rodata,"a",@progbits
	.p2align	6, 0x0
	.amdhsa_kernel _ZL37rocblas_syrkx_herkx_restricted_kernelIifLi16ELi32ELi8ELb0ELb0ELc78ELc76EKffEviT_T0_PT8_S1_lS4_S1_lS2_PT9_S1_li
		.amdhsa_group_segment_fixed_size 2048
		.amdhsa_private_segment_fixed_size 0
		.amdhsa_kernarg_size 100
		.amdhsa_user_sgpr_count 13
		.amdhsa_user_sgpr_dispatch_ptr 0
		.amdhsa_user_sgpr_queue_ptr 0
		.amdhsa_user_sgpr_kernarg_segment_ptr 1
		.amdhsa_user_sgpr_dispatch_id 0
		.amdhsa_user_sgpr_private_segment_size 0
		.amdhsa_wavefront_size32 1
		.amdhsa_uses_dynamic_stack 0
		.amdhsa_enable_private_segment 0
		.amdhsa_system_sgpr_workgroup_id_x 1
		.amdhsa_system_sgpr_workgroup_id_y 1
		.amdhsa_system_sgpr_workgroup_id_z 1
		.amdhsa_system_sgpr_workgroup_info 0
		.amdhsa_system_vgpr_workitem_id 1
		.amdhsa_next_free_vgpr 46
		.amdhsa_next_free_sgpr 22
		.amdhsa_reserve_vcc 1
		.amdhsa_float_round_mode_32 0
		.amdhsa_float_round_mode_16_64 0
		.amdhsa_float_denorm_mode_32 3
		.amdhsa_float_denorm_mode_16_64 3
		.amdhsa_dx10_clamp 1
		.amdhsa_ieee_mode 1
		.amdhsa_fp16_overflow 0
		.amdhsa_workgroup_processor_mode 1
		.amdhsa_memory_ordered 1
		.amdhsa_forward_progress 0
		.amdhsa_shared_vgpr_count 0
		.amdhsa_exception_fp_ieee_invalid_op 0
		.amdhsa_exception_fp_denorm_src 0
		.amdhsa_exception_fp_ieee_div_zero 0
		.amdhsa_exception_fp_ieee_overflow 0
		.amdhsa_exception_fp_ieee_underflow 0
		.amdhsa_exception_fp_ieee_inexact 0
		.amdhsa_exception_int_div_zero 0
	.end_amdhsa_kernel
	.section	.text._ZL37rocblas_syrkx_herkx_restricted_kernelIifLi16ELi32ELi8ELb0ELb0ELc78ELc76EKffEviT_T0_PT8_S1_lS4_S1_lS2_PT9_S1_li,"axG",@progbits,_ZL37rocblas_syrkx_herkx_restricted_kernelIifLi16ELi32ELi8ELb0ELb0ELc78ELc76EKffEviT_T0_PT8_S1_lS4_S1_lS2_PT9_S1_li,comdat
.Lfunc_end34:
	.size	_ZL37rocblas_syrkx_herkx_restricted_kernelIifLi16ELi32ELi8ELb0ELb0ELc78ELc76EKffEviT_T0_PT8_S1_lS4_S1_lS2_PT9_S1_li, .Lfunc_end34-_ZL37rocblas_syrkx_herkx_restricted_kernelIifLi16ELi32ELi8ELb0ELb0ELc78ELc76EKffEviT_T0_PT8_S1_lS4_S1_lS2_PT9_S1_li
                                        ; -- End function
	.section	.AMDGPU.csdata,"",@progbits
; Kernel info:
; codeLenInByte = 1276
; NumSgprs: 24
; NumVgprs: 46
; ScratchSize: 0
; MemoryBound: 0
; FloatMode: 240
; IeeeMode: 1
; LDSByteSize: 2048 bytes/workgroup (compile time only)
; SGPRBlocks: 2
; VGPRBlocks: 5
; NumSGPRsForWavesPerEU: 24
; NumVGPRsForWavesPerEU: 46
; Occupancy: 16
; WaveLimiterHint : 0
; COMPUTE_PGM_RSRC2:SCRATCH_EN: 0
; COMPUTE_PGM_RSRC2:USER_SGPR: 13
; COMPUTE_PGM_RSRC2:TRAP_HANDLER: 0
; COMPUTE_PGM_RSRC2:TGID_X_EN: 1
; COMPUTE_PGM_RSRC2:TGID_Y_EN: 1
; COMPUTE_PGM_RSRC2:TGID_Z_EN: 1
; COMPUTE_PGM_RSRC2:TIDIG_COMP_CNT: 1
	.section	.text._ZL37rocblas_syrkx_herkx_restricted_kernelIifLi16ELi32ELi8ELb0ELb0ELc84ELc85EKffEviT_T0_PT8_S1_lS4_S1_lS2_PT9_S1_li,"axG",@progbits,_ZL37rocblas_syrkx_herkx_restricted_kernelIifLi16ELi32ELi8ELb0ELb0ELc84ELc85EKffEviT_T0_PT8_S1_lS4_S1_lS2_PT9_S1_li,comdat
	.globl	_ZL37rocblas_syrkx_herkx_restricted_kernelIifLi16ELi32ELi8ELb0ELb0ELc84ELc85EKffEviT_T0_PT8_S1_lS4_S1_lS2_PT9_S1_li ; -- Begin function _ZL37rocblas_syrkx_herkx_restricted_kernelIifLi16ELi32ELi8ELb0ELb0ELc84ELc85EKffEviT_T0_PT8_S1_lS4_S1_lS2_PT9_S1_li
	.p2align	8
	.type	_ZL37rocblas_syrkx_herkx_restricted_kernelIifLi16ELi32ELi8ELb0ELb0ELc84ELc85EKffEviT_T0_PT8_S1_lS4_S1_lS2_PT9_S1_li,@function
_ZL37rocblas_syrkx_herkx_restricted_kernelIifLi16ELi32ELi8ELb0ELb0ELc84ELc85EKffEviT_T0_PT8_S1_lS4_S1_lS2_PT9_S1_li: ; @_ZL37rocblas_syrkx_herkx_restricted_kernelIifLi16ELi32ELi8ELb0ELb0ELc84ELc85EKffEviT_T0_PT8_S1_lS4_S1_lS2_PT9_S1_li
; %bb.0:
	s_load_b128 s[4:7], s[0:1], 0x0
	v_dual_mov_b32 v9, 0 :: v_dual_and_b32 v6, 0x3ff, v0
	v_bfe_u32 v7, v0, 10, 10
	v_dual_mov_b32 v8, 0 :: v_dual_mov_b32 v1, 0
	v_mov_b32_e32 v0, 0
	s_lshl_b32 s2, s13, 5
	s_lshl_b32 s3, s14, 5
	s_waitcnt lgkmcnt(0)
	s_mov_b32 s7, 0
	s_cmp_lt_i32 s5, 1
	s_cbranch_scc1 .LBB35_3
; %bb.1:
	s_clause 0x4
	s_load_b64 s[12:13], s[0:1], 0x38
	s_load_b32 s14, s[0:1], 0x30
	s_load_b128 s[8:11], s[0:1], 0x20
	s_load_b64 s[16:17], s[0:1], 0x10
	s_load_b32 s18, s[0:1], 0x18
	v_lshl_add_u32 v2, v7, 4, v6
	v_dual_mov_b32 v1, 0 :: v_dual_and_b32 v0, 7, v6
	v_lshlrev_b32_e32 v10, 2, v6
	s_delay_alu instid0(VALU_DEP_3) | instskip(SKIP_1) | instid1(VALU_DEP_4)
	v_lshrrev_b32_e32 v4, 3, v2
	v_and_b32_e32 v5, 31, v2
	v_lshlrev_b32_e32 v8, 2, v0
	v_lshrrev_b32_e32 v2, 5, v2
	v_mov_b32_e32 v3, v1
	v_add_nc_u32_e32 v9, s3, v4
	v_add_nc_u32_e32 v13, s2, v5
	v_lshl_or_b32 v8, v4, 5, v8
	v_lshlrev_b32_e32 v11, 2, v5
	s_waitcnt lgkmcnt(0)
	s_mul_i32 s13, s13, s15
	v_mad_i64_i32 v[4:5], null, s14, v9, v[0:1]
	s_mul_hi_u32 s14, s12, s15
	v_add_nc_u32_e32 v12, 0x400, v8
	v_mad_i64_i32 v[8:9], null, s18, v13, v[2:3]
	s_mul_i32 s12, s12, s15
	s_add_i32 s13, s14, s13
	s_delay_alu instid0(VALU_DEP_3)
	v_lshlrev_b64 v[4:5], 2, v[4:5]
	s_lshl_b64 s[12:13], s[12:13], 2
	s_mul_i32 s9, s9, s15
	s_add_u32 s10, s10, s12
	s_mul_hi_u32 s12, s8, s15
	s_addc_u32 s11, s11, s13
	s_add_i32 s9, s12, s9
	s_mul_i32 s8, s8, s15
	v_lshlrev_b64 v[8:9], 2, v[8:9]
	s_lshl_b64 s[8:9], s[8:9], 2
	v_lshl_or_b32 v11, v2, 7, v11
	v_add_co_u32 v2, vcc_lo, s10, v4
	s_add_u32 s8, s16, s8
	v_add_co_ci_u32_e32 v3, vcc_lo, s11, v5, vcc_lo
	s_addc_u32 s9, s17, s9
	v_add_co_u32 v4, vcc_lo, s8, v8
	v_mov_b32_e32 v8, v1
	v_lshl_add_u32 v13, v7, 5, 0x400
	v_add_co_ci_u32_e32 v5, vcc_lo, s9, v9, vcc_lo
	v_mov_b32_e32 v0, v1
	v_mov_b32_e32 v9, v1
.LBB35_2:                               ; =>This Inner Loop Header: Depth=1
	global_load_b32 v14, v[4:5], off
	global_load_b32 v15, v[2:3], off
	v_add_co_u32 v2, vcc_lo, v2, 32
	v_add_co_ci_u32_e32 v3, vcc_lo, 0, v3, vcc_lo
	v_add_co_u32 v4, vcc_lo, v4, 32
	v_add_co_ci_u32_e32 v5, vcc_lo, 0, v5, vcc_lo
	s_add_i32 s7, s7, 8
	s_waitcnt vmcnt(1)
	ds_store_b32 v11, v14
	s_waitcnt vmcnt(0)
	ds_store_b32 v12, v15
	s_waitcnt lgkmcnt(0)
	s_barrier
	buffer_gl0_inv
	ds_load_2addr_b32 v[30:31], v10 offset1:16
	ds_load_b128 v[14:17], v13
	ds_load_b128 v[18:21], v13 offset:512
	ds_load_2addr_b32 v[32:33], v10 offset0:32 offset1:48
	ds_load_2addr_b32 v[34:35], v10 offset0:64 offset1:80
	ds_load_b128 v[22:25], v13 offset:16
	ds_load_2addr_b32 v[36:37], v10 offset0:96 offset1:112
	ds_load_2addr_b32 v[38:39], v10 offset0:128 offset1:144
	;; [unrolled: 3-line block ×3, first 2 shown]
	ds_load_2addr_b32 v[44:45], v10 offset0:224 offset1:240
	s_cmp_ge_i32 s7, s5
	s_waitcnt lgkmcnt(0)
	s_barrier
	buffer_gl0_inv
	v_fmac_f32_e32 v8, v31, v14
	v_fmac_f32_e32 v9, v30, v14
	;; [unrolled: 1-line block ×4, first 2 shown]
	s_delay_alu instid0(VALU_DEP_4) | instskip(NEXT) | instid1(VALU_DEP_4)
	v_fmac_f32_e32 v8, v33, v15
	v_fmac_f32_e32 v9, v32, v15
	s_delay_alu instid0(VALU_DEP_4) | instskip(NEXT) | instid1(VALU_DEP_4)
	v_fmac_f32_e32 v1, v33, v19
	v_fmac_f32_e32 v0, v32, v19
	;; [unrolled: 3-line block ×14, first 2 shown]
	s_cbranch_scc0 .LBB35_2
.LBB35_3:
	s_clause 0x2
	s_load_b32 s5, s[0:1], 0x50
	s_load_b64 s[8:9], s[0:1], 0x58
	s_load_b64 s[10:11], s[0:1], 0x48
	v_add_nc_u32_e32 v7, s3, v7
	s_load_b32 s3, s[0:1], 0x40
	v_add_nc_u32_e32 v2, s2, v6
	s_delay_alu instid0(VALU_DEP_2)
	v_cmp_gt_i32_e32 vcc_lo, s4, v7
	s_waitcnt lgkmcnt(0)
	v_mad_i64_i32 v[3:4], null, v7, s5, 0
	s_mul_i32 s1, s15, s9
	s_mul_hi_u32 s2, s15, s8
	s_mul_i32 s0, s15, s8
	s_add_i32 s1, s2, s1
	s_delay_alu instid0(SALU_CYCLE_1) | instskip(NEXT) | instid1(VALU_DEP_1)
	s_lshl_b64 s[8:9], s[0:1], 2
	v_lshlrev_b64 v[3:4], 2, v[3:4]
	s_add_u32 s2, s10, s8
	v_cmp_le_i32_e64 s0, v2, v7
	s_addc_u32 s7, s11, s9
	s_delay_alu instid0(VALU_DEP_2) | instskip(NEXT) | instid1(VALU_DEP_1)
	v_add_co_u32 v6, s1, s2, v3
	v_add_co_ci_u32_e64 v10, s1, s7, v4, s1
	s_delay_alu instid0(VALU_DEP_3) | instskip(NEXT) | instid1(SALU_CYCLE_1)
	s_and_b32 s0, vcc_lo, s0
	s_and_saveexec_b32 s1, s0
	s_cbranch_execz .LBB35_5
; %bb.4:
	v_ashrrev_i32_e32 v3, 31, v2
	s_delay_alu instid0(VALU_DEP_1) | instskip(NEXT) | instid1(VALU_DEP_1)
	v_lshlrev_b64 v[3:4], 2, v[2:3]
	v_add_co_u32 v3, s0, v6, v3
	s_delay_alu instid0(VALU_DEP_1) | instskip(SKIP_3) | instid1(VALU_DEP_1)
	v_add_co_ci_u32_e64 v4, s0, v10, v4, s0
	global_load_b32 v5, v[3:4], off
	s_waitcnt vmcnt(0)
	v_mul_f32_e32 v5, s3, v5
	v_fmac_f32_e32 v5, s6, v9
	global_store_b32 v[3:4], v5, off
.LBB35_5:
	s_or_b32 exec_lo, exec_lo, s1
	v_add_nc_u32_e32 v4, 16, v2
	s_delay_alu instid0(VALU_DEP_1) | instskip(NEXT) | instid1(VALU_DEP_1)
	v_cmp_le_i32_e64 s0, v4, v7
	s_and_b32 s1, vcc_lo, s0
	s_delay_alu instid0(SALU_CYCLE_1)
	s_and_saveexec_b32 s0, s1
	s_cbranch_execz .LBB35_7
; %bb.6:
	v_ashrrev_i32_e32 v5, 31, v4
	s_delay_alu instid0(VALU_DEP_1) | instskip(NEXT) | instid1(VALU_DEP_1)
	v_lshlrev_b64 v[11:12], 2, v[4:5]
	v_add_co_u32 v5, vcc_lo, v6, v11
	s_delay_alu instid0(VALU_DEP_2) | instskip(SKIP_3) | instid1(VALU_DEP_1)
	v_add_co_ci_u32_e32 v6, vcc_lo, v10, v12, vcc_lo
	global_load_b32 v3, v[5:6], off
	s_waitcnt vmcnt(0)
	v_mul_f32_e32 v3, s3, v3
	v_fmac_f32_e32 v3, s6, v8
	global_store_b32 v[5:6], v3, off
.LBB35_7:
	s_or_b32 exec_lo, exec_lo, s0
	v_add_nc_u32_e32 v5, 16, v7
	s_delay_alu instid0(VALU_DEP_1) | instskip(SKIP_2) | instid1(VALU_DEP_1)
	v_mad_i64_i32 v[6:7], null, v5, s5, 0
	v_cmp_gt_i32_e32 vcc_lo, s4, v5
	v_cmp_le_i32_e64 s0, v2, v5
	s_and_b32 s0, vcc_lo, s0
	s_delay_alu instid0(VALU_DEP_3) | instskip(NEXT) | instid1(VALU_DEP_1)
	v_lshlrev_b64 v[6:7], 2, v[6:7]
	v_add_co_u32 v6, s1, s2, v6
	s_delay_alu instid0(VALU_DEP_1)
	v_add_co_ci_u32_e64 v7, s1, s7, v7, s1
	s_and_saveexec_b32 s1, s0
	s_cbranch_execz .LBB35_9
; %bb.8:
	v_ashrrev_i32_e32 v3, 31, v2
	s_delay_alu instid0(VALU_DEP_1) | instskip(NEXT) | instid1(VALU_DEP_1)
	v_lshlrev_b64 v[2:3], 2, v[2:3]
	v_add_co_u32 v2, s0, v6, v2
	s_delay_alu instid0(VALU_DEP_1) | instskip(SKIP_3) | instid1(VALU_DEP_1)
	v_add_co_ci_u32_e64 v3, s0, v7, v3, s0
	global_load_b32 v8, v[2:3], off
	s_waitcnt vmcnt(0)
	v_mul_f32_e32 v8, s3, v8
	v_fmac_f32_e32 v8, s6, v0
	global_store_b32 v[2:3], v8, off
.LBB35_9:
	s_or_b32 exec_lo, exec_lo, s1
	v_cmp_le_i32_e64 s0, v4, v5
	s_delay_alu instid0(VALU_DEP_1) | instskip(NEXT) | instid1(SALU_CYCLE_1)
	s_and_b32 s0, vcc_lo, s0
	s_and_saveexec_b32 s1, s0
	s_cbranch_execz .LBB35_11
; %bb.10:
	v_ashrrev_i32_e32 v5, 31, v4
	s_delay_alu instid0(VALU_DEP_1) | instskip(NEXT) | instid1(VALU_DEP_1)
	v_lshlrev_b64 v[2:3], 2, v[4:5]
	v_add_co_u32 v2, vcc_lo, v6, v2
	s_delay_alu instid0(VALU_DEP_2) | instskip(SKIP_3) | instid1(VALU_DEP_1)
	v_add_co_ci_u32_e32 v3, vcc_lo, v7, v3, vcc_lo
	global_load_b32 v0, v[2:3], off
	s_waitcnt vmcnt(0)
	v_mul_f32_e32 v0, s3, v0
	v_fmac_f32_e32 v0, s6, v1
	global_store_b32 v[2:3], v0, off
.LBB35_11:
	s_nop 0
	s_sendmsg sendmsg(MSG_DEALLOC_VGPRS)
	s_endpgm
	.section	.rodata,"a",@progbits
	.p2align	6, 0x0
	.amdhsa_kernel _ZL37rocblas_syrkx_herkx_restricted_kernelIifLi16ELi32ELi8ELb0ELb0ELc84ELc85EKffEviT_T0_PT8_S1_lS4_S1_lS2_PT9_S1_li
		.amdhsa_group_segment_fixed_size 2048
		.amdhsa_private_segment_fixed_size 0
		.amdhsa_kernarg_size 100
		.amdhsa_user_sgpr_count 13
		.amdhsa_user_sgpr_dispatch_ptr 0
		.amdhsa_user_sgpr_queue_ptr 0
		.amdhsa_user_sgpr_kernarg_segment_ptr 1
		.amdhsa_user_sgpr_dispatch_id 0
		.amdhsa_user_sgpr_private_segment_size 0
		.amdhsa_wavefront_size32 1
		.amdhsa_uses_dynamic_stack 0
		.amdhsa_enable_private_segment 0
		.amdhsa_system_sgpr_workgroup_id_x 1
		.amdhsa_system_sgpr_workgroup_id_y 1
		.amdhsa_system_sgpr_workgroup_id_z 1
		.amdhsa_system_sgpr_workgroup_info 0
		.amdhsa_system_vgpr_workitem_id 1
		.amdhsa_next_free_vgpr 46
		.amdhsa_next_free_sgpr 19
		.amdhsa_reserve_vcc 1
		.amdhsa_float_round_mode_32 0
		.amdhsa_float_round_mode_16_64 0
		.amdhsa_float_denorm_mode_32 3
		.amdhsa_float_denorm_mode_16_64 3
		.amdhsa_dx10_clamp 1
		.amdhsa_ieee_mode 1
		.amdhsa_fp16_overflow 0
		.amdhsa_workgroup_processor_mode 1
		.amdhsa_memory_ordered 1
		.amdhsa_forward_progress 0
		.amdhsa_shared_vgpr_count 0
		.amdhsa_exception_fp_ieee_invalid_op 0
		.amdhsa_exception_fp_denorm_src 0
		.amdhsa_exception_fp_ieee_div_zero 0
		.amdhsa_exception_fp_ieee_overflow 0
		.amdhsa_exception_fp_ieee_underflow 0
		.amdhsa_exception_fp_ieee_inexact 0
		.amdhsa_exception_int_div_zero 0
	.end_amdhsa_kernel
	.section	.text._ZL37rocblas_syrkx_herkx_restricted_kernelIifLi16ELi32ELi8ELb0ELb0ELc84ELc85EKffEviT_T0_PT8_S1_lS4_S1_lS2_PT9_S1_li,"axG",@progbits,_ZL37rocblas_syrkx_herkx_restricted_kernelIifLi16ELi32ELi8ELb0ELb0ELc84ELc85EKffEviT_T0_PT8_S1_lS4_S1_lS2_PT9_S1_li,comdat
.Lfunc_end35:
	.size	_ZL37rocblas_syrkx_herkx_restricted_kernelIifLi16ELi32ELi8ELb0ELb0ELc84ELc85EKffEviT_T0_PT8_S1_lS4_S1_lS2_PT9_S1_li, .Lfunc_end35-_ZL37rocblas_syrkx_herkx_restricted_kernelIifLi16ELi32ELi8ELb0ELb0ELc84ELc85EKffEviT_T0_PT8_S1_lS4_S1_lS2_PT9_S1_li
                                        ; -- End function
	.section	.AMDGPU.csdata,"",@progbits
; Kernel info:
; codeLenInByte = 1268
; NumSgprs: 21
; NumVgprs: 46
; ScratchSize: 0
; MemoryBound: 0
; FloatMode: 240
; IeeeMode: 1
; LDSByteSize: 2048 bytes/workgroup (compile time only)
; SGPRBlocks: 2
; VGPRBlocks: 5
; NumSGPRsForWavesPerEU: 21
; NumVGPRsForWavesPerEU: 46
; Occupancy: 16
; WaveLimiterHint : 0
; COMPUTE_PGM_RSRC2:SCRATCH_EN: 0
; COMPUTE_PGM_RSRC2:USER_SGPR: 13
; COMPUTE_PGM_RSRC2:TRAP_HANDLER: 0
; COMPUTE_PGM_RSRC2:TGID_X_EN: 1
; COMPUTE_PGM_RSRC2:TGID_Y_EN: 1
; COMPUTE_PGM_RSRC2:TGID_Z_EN: 1
; COMPUTE_PGM_RSRC2:TIDIG_COMP_CNT: 1
	.section	.text._ZL37rocblas_syrkx_herkx_restricted_kernelIifLi16ELi32ELi8ELb0ELb0ELc67ELc85EKffEviT_T0_PT8_S1_lS4_S1_lS2_PT9_S1_li,"axG",@progbits,_ZL37rocblas_syrkx_herkx_restricted_kernelIifLi16ELi32ELi8ELb0ELb0ELc67ELc85EKffEviT_T0_PT8_S1_lS4_S1_lS2_PT9_S1_li,comdat
	.globl	_ZL37rocblas_syrkx_herkx_restricted_kernelIifLi16ELi32ELi8ELb0ELb0ELc67ELc85EKffEviT_T0_PT8_S1_lS4_S1_lS2_PT9_S1_li ; -- Begin function _ZL37rocblas_syrkx_herkx_restricted_kernelIifLi16ELi32ELi8ELb0ELb0ELc67ELc85EKffEviT_T0_PT8_S1_lS4_S1_lS2_PT9_S1_li
	.p2align	8
	.type	_ZL37rocblas_syrkx_herkx_restricted_kernelIifLi16ELi32ELi8ELb0ELb0ELc67ELc85EKffEviT_T0_PT8_S1_lS4_S1_lS2_PT9_S1_li,@function
_ZL37rocblas_syrkx_herkx_restricted_kernelIifLi16ELi32ELi8ELb0ELb0ELc67ELc85EKffEviT_T0_PT8_S1_lS4_S1_lS2_PT9_S1_li: ; @_ZL37rocblas_syrkx_herkx_restricted_kernelIifLi16ELi32ELi8ELb0ELb0ELc67ELc85EKffEviT_T0_PT8_S1_lS4_S1_lS2_PT9_S1_li
; %bb.0:
	s_load_b128 s[4:7], s[0:1], 0x0
	v_dual_mov_b32 v9, 0 :: v_dual_and_b32 v6, 0x3ff, v0
	v_bfe_u32 v7, v0, 10, 10
	v_dual_mov_b32 v8, 0 :: v_dual_mov_b32 v1, 0
	v_mov_b32_e32 v0, 0
	s_lshl_b32 s2, s13, 5
	s_lshl_b32 s3, s14, 5
	s_waitcnt lgkmcnt(0)
	s_mov_b32 s7, 0
	s_cmp_lt_i32 s5, 1
	s_cbranch_scc1 .LBB36_3
; %bb.1:
	s_clause 0x4
	s_load_b64 s[12:13], s[0:1], 0x38
	s_load_b32 s14, s[0:1], 0x30
	s_load_b128 s[8:11], s[0:1], 0x20
	s_load_b64 s[16:17], s[0:1], 0x10
	s_load_b32 s18, s[0:1], 0x18
	v_lshl_add_u32 v2, v7, 4, v6
	v_dual_mov_b32 v1, 0 :: v_dual_and_b32 v0, 7, v6
	v_lshlrev_b32_e32 v10, 2, v6
	s_delay_alu instid0(VALU_DEP_3) | instskip(SKIP_1) | instid1(VALU_DEP_4)
	v_lshrrev_b32_e32 v4, 3, v2
	v_and_b32_e32 v5, 31, v2
	v_lshlrev_b32_e32 v8, 2, v0
	v_lshrrev_b32_e32 v2, 5, v2
	v_mov_b32_e32 v3, v1
	v_add_nc_u32_e32 v9, s3, v4
	v_add_nc_u32_e32 v13, s2, v5
	v_lshl_or_b32 v8, v4, 5, v8
	v_lshlrev_b32_e32 v11, 2, v5
	s_waitcnt lgkmcnt(0)
	s_mul_i32 s13, s13, s15
	v_mad_i64_i32 v[4:5], null, s14, v9, v[0:1]
	s_mul_hi_u32 s14, s12, s15
	v_add_nc_u32_e32 v12, 0x400, v8
	v_mad_i64_i32 v[8:9], null, s18, v13, v[2:3]
	s_mul_i32 s12, s12, s15
	s_add_i32 s13, s14, s13
	s_delay_alu instid0(VALU_DEP_3)
	v_lshlrev_b64 v[4:5], 2, v[4:5]
	s_lshl_b64 s[12:13], s[12:13], 2
	s_mul_i32 s9, s9, s15
	s_add_u32 s10, s10, s12
	s_mul_hi_u32 s12, s8, s15
	s_addc_u32 s11, s11, s13
	s_add_i32 s9, s12, s9
	s_mul_i32 s8, s8, s15
	v_lshlrev_b64 v[8:9], 2, v[8:9]
	s_lshl_b64 s[8:9], s[8:9], 2
	v_lshl_or_b32 v11, v2, 7, v11
	v_add_co_u32 v2, vcc_lo, s10, v4
	s_add_u32 s8, s16, s8
	v_add_co_ci_u32_e32 v3, vcc_lo, s11, v5, vcc_lo
	s_addc_u32 s9, s17, s9
	v_add_co_u32 v4, vcc_lo, s8, v8
	v_mov_b32_e32 v8, v1
	v_lshl_add_u32 v13, v7, 5, 0x400
	v_add_co_ci_u32_e32 v5, vcc_lo, s9, v9, vcc_lo
	v_mov_b32_e32 v0, v1
	v_mov_b32_e32 v9, v1
.LBB36_2:                               ; =>This Inner Loop Header: Depth=1
	global_load_b32 v14, v[4:5], off
	global_load_b32 v15, v[2:3], off
	v_add_co_u32 v2, vcc_lo, v2, 32
	v_add_co_ci_u32_e32 v3, vcc_lo, 0, v3, vcc_lo
	v_add_co_u32 v4, vcc_lo, v4, 32
	v_add_co_ci_u32_e32 v5, vcc_lo, 0, v5, vcc_lo
	s_add_i32 s7, s7, 8
	s_waitcnt vmcnt(1)
	ds_store_b32 v11, v14
	s_waitcnt vmcnt(0)
	ds_store_b32 v12, v15
	s_waitcnt lgkmcnt(0)
	s_barrier
	buffer_gl0_inv
	ds_load_2addr_b32 v[30:31], v10 offset1:16
	ds_load_b128 v[14:17], v13
	ds_load_b128 v[18:21], v13 offset:512
	ds_load_2addr_b32 v[32:33], v10 offset0:32 offset1:48
	ds_load_2addr_b32 v[34:35], v10 offset0:64 offset1:80
	ds_load_b128 v[22:25], v13 offset:16
	ds_load_2addr_b32 v[36:37], v10 offset0:96 offset1:112
	ds_load_2addr_b32 v[38:39], v10 offset0:128 offset1:144
	;; [unrolled: 3-line block ×3, first 2 shown]
	ds_load_2addr_b32 v[44:45], v10 offset0:224 offset1:240
	s_cmp_ge_i32 s7, s5
	s_waitcnt lgkmcnt(0)
	s_barrier
	buffer_gl0_inv
	v_fmac_f32_e32 v8, v31, v14
	v_fmac_f32_e32 v9, v30, v14
	;; [unrolled: 1-line block ×4, first 2 shown]
	s_delay_alu instid0(VALU_DEP_4) | instskip(NEXT) | instid1(VALU_DEP_4)
	v_fmac_f32_e32 v8, v33, v15
	v_fmac_f32_e32 v9, v32, v15
	s_delay_alu instid0(VALU_DEP_4) | instskip(NEXT) | instid1(VALU_DEP_4)
	v_fmac_f32_e32 v1, v33, v19
	v_fmac_f32_e32 v0, v32, v19
	s_delay_alu instid0(VALU_DEP_4) | instskip(NEXT) | instid1(VALU_DEP_4)
	v_fmac_f32_e32 v8, v35, v16
	v_fmac_f32_e32 v9, v34, v16
	s_delay_alu instid0(VALU_DEP_4) | instskip(NEXT) | instid1(VALU_DEP_4)
	v_fmac_f32_e32 v1, v35, v20
	v_fmac_f32_e32 v0, v34, v20
	s_delay_alu instid0(VALU_DEP_4) | instskip(NEXT) | instid1(VALU_DEP_4)
	v_fmac_f32_e32 v8, v37, v17
	v_fmac_f32_e32 v9, v36, v17
	s_delay_alu instid0(VALU_DEP_4) | instskip(NEXT) | instid1(VALU_DEP_4)
	v_fmac_f32_e32 v1, v37, v21
	v_fmac_f32_e32 v0, v36, v21
	s_delay_alu instid0(VALU_DEP_4) | instskip(NEXT) | instid1(VALU_DEP_4)
	v_fmac_f32_e32 v8, v39, v22
	v_fmac_f32_e32 v9, v38, v22
	s_delay_alu instid0(VALU_DEP_4) | instskip(NEXT) | instid1(VALU_DEP_4)
	v_fmac_f32_e32 v1, v39, v26
	v_fmac_f32_e32 v0, v38, v26
	s_delay_alu instid0(VALU_DEP_4) | instskip(NEXT) | instid1(VALU_DEP_4)
	v_fmac_f32_e32 v8, v41, v23
	v_fmac_f32_e32 v9, v40, v23
	s_delay_alu instid0(VALU_DEP_4) | instskip(NEXT) | instid1(VALU_DEP_4)
	v_fmac_f32_e32 v1, v41, v27
	v_fmac_f32_e32 v0, v40, v27
	s_delay_alu instid0(VALU_DEP_4) | instskip(NEXT) | instid1(VALU_DEP_4)
	v_fmac_f32_e32 v8, v43, v24
	v_fmac_f32_e32 v9, v42, v24
	s_delay_alu instid0(VALU_DEP_4) | instskip(NEXT) | instid1(VALU_DEP_4)
	v_fmac_f32_e32 v1, v43, v28
	v_fmac_f32_e32 v0, v42, v28
	s_delay_alu instid0(VALU_DEP_4) | instskip(NEXT) | instid1(VALU_DEP_4)
	v_fmac_f32_e32 v8, v45, v25
	v_fmac_f32_e32 v9, v44, v25
	s_delay_alu instid0(VALU_DEP_4) | instskip(NEXT) | instid1(VALU_DEP_4)
	v_fmac_f32_e32 v1, v45, v29
	v_fmac_f32_e32 v0, v44, v29
	s_cbranch_scc0 .LBB36_2
.LBB36_3:
	s_clause 0x2
	s_load_b32 s5, s[0:1], 0x50
	s_load_b64 s[8:9], s[0:1], 0x58
	s_load_b64 s[10:11], s[0:1], 0x48
	v_add_nc_u32_e32 v7, s3, v7
	s_load_b32 s3, s[0:1], 0x40
	v_add_nc_u32_e32 v2, s2, v6
	s_delay_alu instid0(VALU_DEP_2)
	v_cmp_gt_i32_e32 vcc_lo, s4, v7
	s_waitcnt lgkmcnt(0)
	v_mad_i64_i32 v[3:4], null, v7, s5, 0
	s_mul_i32 s1, s15, s9
	s_mul_hi_u32 s2, s15, s8
	s_mul_i32 s0, s15, s8
	s_add_i32 s1, s2, s1
	s_delay_alu instid0(SALU_CYCLE_1) | instskip(NEXT) | instid1(VALU_DEP_1)
	s_lshl_b64 s[8:9], s[0:1], 2
	v_lshlrev_b64 v[3:4], 2, v[3:4]
	s_add_u32 s2, s10, s8
	v_cmp_le_i32_e64 s0, v2, v7
	s_addc_u32 s7, s11, s9
	s_delay_alu instid0(VALU_DEP_2) | instskip(NEXT) | instid1(VALU_DEP_1)
	v_add_co_u32 v6, s1, s2, v3
	v_add_co_ci_u32_e64 v10, s1, s7, v4, s1
	s_delay_alu instid0(VALU_DEP_3) | instskip(NEXT) | instid1(SALU_CYCLE_1)
	s_and_b32 s0, vcc_lo, s0
	s_and_saveexec_b32 s1, s0
	s_cbranch_execz .LBB36_5
; %bb.4:
	v_ashrrev_i32_e32 v3, 31, v2
	s_delay_alu instid0(VALU_DEP_1) | instskip(NEXT) | instid1(VALU_DEP_1)
	v_lshlrev_b64 v[3:4], 2, v[2:3]
	v_add_co_u32 v3, s0, v6, v3
	s_delay_alu instid0(VALU_DEP_1) | instskip(SKIP_3) | instid1(VALU_DEP_1)
	v_add_co_ci_u32_e64 v4, s0, v10, v4, s0
	global_load_b32 v5, v[3:4], off
	s_waitcnt vmcnt(0)
	v_mul_f32_e32 v5, s3, v5
	v_fmac_f32_e32 v5, s6, v9
	global_store_b32 v[3:4], v5, off
.LBB36_5:
	s_or_b32 exec_lo, exec_lo, s1
	v_add_nc_u32_e32 v4, 16, v2
	s_delay_alu instid0(VALU_DEP_1) | instskip(NEXT) | instid1(VALU_DEP_1)
	v_cmp_le_i32_e64 s0, v4, v7
	s_and_b32 s1, vcc_lo, s0
	s_delay_alu instid0(SALU_CYCLE_1)
	s_and_saveexec_b32 s0, s1
	s_cbranch_execz .LBB36_7
; %bb.6:
	v_ashrrev_i32_e32 v5, 31, v4
	s_delay_alu instid0(VALU_DEP_1) | instskip(NEXT) | instid1(VALU_DEP_1)
	v_lshlrev_b64 v[11:12], 2, v[4:5]
	v_add_co_u32 v5, vcc_lo, v6, v11
	s_delay_alu instid0(VALU_DEP_2) | instskip(SKIP_3) | instid1(VALU_DEP_1)
	v_add_co_ci_u32_e32 v6, vcc_lo, v10, v12, vcc_lo
	global_load_b32 v3, v[5:6], off
	s_waitcnt vmcnt(0)
	v_mul_f32_e32 v3, s3, v3
	v_fmac_f32_e32 v3, s6, v8
	global_store_b32 v[5:6], v3, off
.LBB36_7:
	s_or_b32 exec_lo, exec_lo, s0
	v_add_nc_u32_e32 v5, 16, v7
	s_delay_alu instid0(VALU_DEP_1) | instskip(SKIP_2) | instid1(VALU_DEP_1)
	v_mad_i64_i32 v[6:7], null, v5, s5, 0
	v_cmp_gt_i32_e32 vcc_lo, s4, v5
	v_cmp_le_i32_e64 s0, v2, v5
	s_and_b32 s0, vcc_lo, s0
	s_delay_alu instid0(VALU_DEP_3) | instskip(NEXT) | instid1(VALU_DEP_1)
	v_lshlrev_b64 v[6:7], 2, v[6:7]
	v_add_co_u32 v6, s1, s2, v6
	s_delay_alu instid0(VALU_DEP_1)
	v_add_co_ci_u32_e64 v7, s1, s7, v7, s1
	s_and_saveexec_b32 s1, s0
	s_cbranch_execz .LBB36_9
; %bb.8:
	v_ashrrev_i32_e32 v3, 31, v2
	s_delay_alu instid0(VALU_DEP_1) | instskip(NEXT) | instid1(VALU_DEP_1)
	v_lshlrev_b64 v[2:3], 2, v[2:3]
	v_add_co_u32 v2, s0, v6, v2
	s_delay_alu instid0(VALU_DEP_1) | instskip(SKIP_3) | instid1(VALU_DEP_1)
	v_add_co_ci_u32_e64 v3, s0, v7, v3, s0
	global_load_b32 v8, v[2:3], off
	s_waitcnt vmcnt(0)
	v_mul_f32_e32 v8, s3, v8
	v_fmac_f32_e32 v8, s6, v0
	global_store_b32 v[2:3], v8, off
.LBB36_9:
	s_or_b32 exec_lo, exec_lo, s1
	v_cmp_le_i32_e64 s0, v4, v5
	s_delay_alu instid0(VALU_DEP_1) | instskip(NEXT) | instid1(SALU_CYCLE_1)
	s_and_b32 s0, vcc_lo, s0
	s_and_saveexec_b32 s1, s0
	s_cbranch_execz .LBB36_11
; %bb.10:
	v_ashrrev_i32_e32 v5, 31, v4
	s_delay_alu instid0(VALU_DEP_1) | instskip(NEXT) | instid1(VALU_DEP_1)
	v_lshlrev_b64 v[2:3], 2, v[4:5]
	v_add_co_u32 v2, vcc_lo, v6, v2
	s_delay_alu instid0(VALU_DEP_2) | instskip(SKIP_3) | instid1(VALU_DEP_1)
	v_add_co_ci_u32_e32 v3, vcc_lo, v7, v3, vcc_lo
	global_load_b32 v0, v[2:3], off
	s_waitcnt vmcnt(0)
	v_mul_f32_e32 v0, s3, v0
	v_fmac_f32_e32 v0, s6, v1
	global_store_b32 v[2:3], v0, off
.LBB36_11:
	s_nop 0
	s_sendmsg sendmsg(MSG_DEALLOC_VGPRS)
	s_endpgm
	.section	.rodata,"a",@progbits
	.p2align	6, 0x0
	.amdhsa_kernel _ZL37rocblas_syrkx_herkx_restricted_kernelIifLi16ELi32ELi8ELb0ELb0ELc67ELc85EKffEviT_T0_PT8_S1_lS4_S1_lS2_PT9_S1_li
		.amdhsa_group_segment_fixed_size 2048
		.amdhsa_private_segment_fixed_size 0
		.amdhsa_kernarg_size 100
		.amdhsa_user_sgpr_count 13
		.amdhsa_user_sgpr_dispatch_ptr 0
		.amdhsa_user_sgpr_queue_ptr 0
		.amdhsa_user_sgpr_kernarg_segment_ptr 1
		.amdhsa_user_sgpr_dispatch_id 0
		.amdhsa_user_sgpr_private_segment_size 0
		.amdhsa_wavefront_size32 1
		.amdhsa_uses_dynamic_stack 0
		.amdhsa_enable_private_segment 0
		.amdhsa_system_sgpr_workgroup_id_x 1
		.amdhsa_system_sgpr_workgroup_id_y 1
		.amdhsa_system_sgpr_workgroup_id_z 1
		.amdhsa_system_sgpr_workgroup_info 0
		.amdhsa_system_vgpr_workitem_id 1
		.amdhsa_next_free_vgpr 46
		.amdhsa_next_free_sgpr 19
		.amdhsa_reserve_vcc 1
		.amdhsa_float_round_mode_32 0
		.amdhsa_float_round_mode_16_64 0
		.amdhsa_float_denorm_mode_32 3
		.amdhsa_float_denorm_mode_16_64 3
		.amdhsa_dx10_clamp 1
		.amdhsa_ieee_mode 1
		.amdhsa_fp16_overflow 0
		.amdhsa_workgroup_processor_mode 1
		.amdhsa_memory_ordered 1
		.amdhsa_forward_progress 0
		.amdhsa_shared_vgpr_count 0
		.amdhsa_exception_fp_ieee_invalid_op 0
		.amdhsa_exception_fp_denorm_src 0
		.amdhsa_exception_fp_ieee_div_zero 0
		.amdhsa_exception_fp_ieee_overflow 0
		.amdhsa_exception_fp_ieee_underflow 0
		.amdhsa_exception_fp_ieee_inexact 0
		.amdhsa_exception_int_div_zero 0
	.end_amdhsa_kernel
	.section	.text._ZL37rocblas_syrkx_herkx_restricted_kernelIifLi16ELi32ELi8ELb0ELb0ELc67ELc85EKffEviT_T0_PT8_S1_lS4_S1_lS2_PT9_S1_li,"axG",@progbits,_ZL37rocblas_syrkx_herkx_restricted_kernelIifLi16ELi32ELi8ELb0ELb0ELc67ELc85EKffEviT_T0_PT8_S1_lS4_S1_lS2_PT9_S1_li,comdat
.Lfunc_end36:
	.size	_ZL37rocblas_syrkx_herkx_restricted_kernelIifLi16ELi32ELi8ELb0ELb0ELc67ELc85EKffEviT_T0_PT8_S1_lS4_S1_lS2_PT9_S1_li, .Lfunc_end36-_ZL37rocblas_syrkx_herkx_restricted_kernelIifLi16ELi32ELi8ELb0ELb0ELc67ELc85EKffEviT_T0_PT8_S1_lS4_S1_lS2_PT9_S1_li
                                        ; -- End function
	.section	.AMDGPU.csdata,"",@progbits
; Kernel info:
; codeLenInByte = 1268
; NumSgprs: 21
; NumVgprs: 46
; ScratchSize: 0
; MemoryBound: 0
; FloatMode: 240
; IeeeMode: 1
; LDSByteSize: 2048 bytes/workgroup (compile time only)
; SGPRBlocks: 2
; VGPRBlocks: 5
; NumSGPRsForWavesPerEU: 21
; NumVGPRsForWavesPerEU: 46
; Occupancy: 16
; WaveLimiterHint : 0
; COMPUTE_PGM_RSRC2:SCRATCH_EN: 0
; COMPUTE_PGM_RSRC2:USER_SGPR: 13
; COMPUTE_PGM_RSRC2:TRAP_HANDLER: 0
; COMPUTE_PGM_RSRC2:TGID_X_EN: 1
; COMPUTE_PGM_RSRC2:TGID_Y_EN: 1
; COMPUTE_PGM_RSRC2:TGID_Z_EN: 1
; COMPUTE_PGM_RSRC2:TIDIG_COMP_CNT: 1
	.section	.text._ZL37rocblas_syrkx_herkx_restricted_kernelIifLi16ELi32ELi8ELb0ELb0ELc78ELc85EKffEviT_T0_PT8_S1_lS4_S1_lS2_PT9_S1_li,"axG",@progbits,_ZL37rocblas_syrkx_herkx_restricted_kernelIifLi16ELi32ELi8ELb0ELb0ELc78ELc85EKffEviT_T0_PT8_S1_lS4_S1_lS2_PT9_S1_li,comdat
	.globl	_ZL37rocblas_syrkx_herkx_restricted_kernelIifLi16ELi32ELi8ELb0ELb0ELc78ELc85EKffEviT_T0_PT8_S1_lS4_S1_lS2_PT9_S1_li ; -- Begin function _ZL37rocblas_syrkx_herkx_restricted_kernelIifLi16ELi32ELi8ELb0ELb0ELc78ELc85EKffEviT_T0_PT8_S1_lS4_S1_lS2_PT9_S1_li
	.p2align	8
	.type	_ZL37rocblas_syrkx_herkx_restricted_kernelIifLi16ELi32ELi8ELb0ELb0ELc78ELc85EKffEviT_T0_PT8_S1_lS4_S1_lS2_PT9_S1_li,@function
_ZL37rocblas_syrkx_herkx_restricted_kernelIifLi16ELi32ELi8ELb0ELb0ELc78ELc85EKffEviT_T0_PT8_S1_lS4_S1_lS2_PT9_S1_li: ; @_ZL37rocblas_syrkx_herkx_restricted_kernelIifLi16ELi32ELi8ELb0ELb0ELc78ELc85EKffEviT_T0_PT8_S1_lS4_S1_lS2_PT9_S1_li
; %bb.0:
	s_load_b128 s[4:7], s[0:1], 0x0
	v_dual_mov_b32 v8, 0 :: v_dual_and_b32 v5, 0x3ff, v0
	v_bfe_u32 v6, v0, 10, 10
	v_dual_mov_b32 v9, 0 :: v_dual_mov_b32 v4, 0
	v_mov_b32_e32 v7, 0
	s_waitcnt lgkmcnt(0)
	s_lshl_b32 s7, s13, 5
	s_lshl_b32 s12, s14, 5
	s_mov_b32 s13, 0
	s_cmp_lt_i32 s5, 1
	s_cbranch_scc1 .LBB37_3
; %bb.1:
	v_lshl_add_u32 v0, v6, 4, v5
	s_clause 0x2
	s_load_b32 s16, s[0:1], 0x18
	s_load_b32 s2, s[0:1], 0x30
	s_load_b64 s[18:19], s[0:1], 0x38
	v_and_b32_e32 v4, 7, v5
	s_clause 0x1
	s_load_b128 s[8:11], s[0:1], 0x20
	s_load_b64 s[20:21], s[0:1], 0x10
	v_lshrrev_b32_e32 v1, 3, v0
	v_and_b32_e32 v7, 31, v0
	v_lshlrev_b32_e32 v2, 2, v4
	v_lshrrev_b32_e32 v9, 5, v0
	v_lshlrev_b32_e32 v12, 2, v5
	v_add_nc_u32_e32 v0, s12, v1
	v_lshlrev_b32_e32 v3, 2, v7
	v_lshl_or_b32 v2, v1, 5, v2
	v_lshl_add_u32 v13, v6, 5, 0x400
	s_delay_alu instid0(VALU_DEP_4) | instskip(NEXT) | instid1(VALU_DEP_4)
	v_ashrrev_i32_e32 v1, 31, v0
	v_lshl_or_b32 v10, v9, 7, v3
	s_delay_alu instid0(VALU_DEP_4)
	v_add_nc_u32_e32 v11, 0x400, v2
	s_waitcnt lgkmcnt(0)
	s_ashr_i32 s17, s16, 31
	v_mad_i64_i32 v[2:3], null, s2, v4, v[0:1]
	v_mov_b32_e32 v4, 0
	v_add_nc_u32_e32 v0, s7, v7
	s_mul_i32 s14, s19, s15
	s_mul_hi_u32 s19, s18, s15
	s_mul_i32 s18, s18, s15
	s_add_i32 s19, s19, s14
	v_ashrrev_i32_e32 v1, 31, v0
	v_lshlrev_b64 v[2:3], 2, v[2:3]
	s_lshl_b64 s[18:19], s[18:19], 2
	s_ashr_i32 s3, s2, 31
	s_add_u32 s10, s10, s18
	v_mad_i64_i32 v[7:8], null, s16, v9, v[0:1]
	s_addc_u32 s11, s11, s19
	s_mul_i32 s9, s9, s15
	s_mul_hi_u32 s14, s8, s15
	v_add_co_u32 v0, vcc_lo, s10, v2
	v_add_co_ci_u32_e32 v1, vcc_lo, s11, v3, vcc_lo
	s_add_i32 s9, s14, s9
	s_mul_i32 s8, s8, s15
	v_lshlrev_b64 v[2:3], 2, v[7:8]
	v_mov_b32_e32 v8, 0
	s_lshl_b64 s[8:9], s[8:9], 2
	s_lshl_b64 s[2:3], s[2:3], 5
	s_add_u32 s8, s20, s8
	s_addc_u32 s9, s21, s9
	v_add_co_u32 v2, vcc_lo, s8, v2
	v_add_co_ci_u32_e32 v3, vcc_lo, s9, v3, vcc_lo
	v_mov_b32_e32 v7, 0
	v_mov_b32_e32 v9, 0
	s_lshl_b64 s[8:9], s[16:17], 5
.LBB37_2:                               ; =>This Inner Loop Header: Depth=1
	global_load_b32 v14, v[2:3], off
	global_load_b32 v15, v[0:1], off
	v_add_co_u32 v0, vcc_lo, v0, s2
	v_add_co_ci_u32_e32 v1, vcc_lo, s3, v1, vcc_lo
	v_add_co_u32 v2, vcc_lo, v2, s8
	v_add_co_ci_u32_e32 v3, vcc_lo, s9, v3, vcc_lo
	s_add_i32 s13, s13, 8
	s_waitcnt vmcnt(1)
	ds_store_b32 v10, v14
	s_waitcnt vmcnt(0)
	ds_store_b32 v11, v15
	s_waitcnt lgkmcnt(0)
	s_barrier
	buffer_gl0_inv
	ds_load_2addr_b32 v[30:31], v12 offset1:16
	ds_load_b128 v[14:17], v13
	ds_load_b128 v[18:21], v13 offset:512
	ds_load_2addr_b32 v[32:33], v12 offset0:32 offset1:48
	ds_load_2addr_b32 v[34:35], v12 offset0:64 offset1:80
	ds_load_b128 v[22:25], v13 offset:16
	ds_load_2addr_b32 v[36:37], v12 offset0:96 offset1:112
	ds_load_2addr_b32 v[38:39], v12 offset0:128 offset1:144
	;; [unrolled: 3-line block ×3, first 2 shown]
	ds_load_2addr_b32 v[44:45], v12 offset0:224 offset1:240
	s_cmp_ge_i32 s13, s5
	s_waitcnt lgkmcnt(0)
	s_barrier
	buffer_gl0_inv
	v_fmac_f32_e32 v8, v31, v14
	v_fmac_f32_e32 v9, v30, v14
	;; [unrolled: 1-line block ×3, first 2 shown]
	s_delay_alu instid0(VALU_DEP_3) | instskip(NEXT) | instid1(VALU_DEP_3)
	v_dual_fmac_f32 v7, v30, v18 :: v_dual_fmac_f32 v8, v33, v15
	v_fmac_f32_e32 v9, v32, v15
	s_delay_alu instid0(VALU_DEP_3) | instskip(NEXT) | instid1(VALU_DEP_3)
	v_fmac_f32_e32 v4, v33, v19
	v_dual_fmac_f32 v7, v32, v19 :: v_dual_fmac_f32 v8, v35, v16
	s_delay_alu instid0(VALU_DEP_3) | instskip(NEXT) | instid1(VALU_DEP_3)
	v_fmac_f32_e32 v9, v34, v16
	v_fmac_f32_e32 v4, v35, v20
	s_delay_alu instid0(VALU_DEP_3) | instskip(NEXT) | instid1(VALU_DEP_3)
	v_dual_fmac_f32 v7, v34, v20 :: v_dual_fmac_f32 v8, v37, v17
	v_fmac_f32_e32 v9, v36, v17
	s_delay_alu instid0(VALU_DEP_3) | instskip(NEXT) | instid1(VALU_DEP_3)
	v_fmac_f32_e32 v4, v37, v21
	v_dual_fmac_f32 v7, v36, v21 :: v_dual_fmac_f32 v8, v39, v22
	s_delay_alu instid0(VALU_DEP_3) | instskip(NEXT) | instid1(VALU_DEP_3)
	v_fmac_f32_e32 v9, v38, v22
	v_fmac_f32_e32 v4, v39, v26
	;; [unrolled: 9-line block ×3, first 2 shown]
	s_delay_alu instid0(VALU_DEP_3) | instskip(NEXT) | instid1(VALU_DEP_3)
	v_dual_fmac_f32 v7, v42, v28 :: v_dual_fmac_f32 v8, v45, v25
	v_fmac_f32_e32 v9, v44, v25
	s_delay_alu instid0(VALU_DEP_3) | instskip(NEXT) | instid1(VALU_DEP_3)
	v_fmac_f32_e32 v4, v45, v29
	v_fmac_f32_e32 v7, v44, v29
	s_cbranch_scc0 .LBB37_2
.LBB37_3:
	s_clause 0x2
	s_load_b32 s3, s[0:1], 0x50
	s_load_b64 s[8:9], s[0:1], 0x58
	s_load_b64 s[10:11], s[0:1], 0x48
	v_add_nc_u32_e32 v6, s12, v6
	s_load_b32 s2, s[0:1], 0x40
	v_add_nc_u32_e32 v0, s7, v5
	s_delay_alu instid0(VALU_DEP_2)
	v_cmp_gt_i32_e32 vcc_lo, s4, v6
	s_waitcnt lgkmcnt(0)
	v_mad_i64_i32 v[1:2], null, v6, s3, 0
	s_mul_i32 s1, s15, s9
	s_mul_hi_u32 s5, s15, s8
	s_mul_i32 s0, s15, s8
	s_add_i32 s1, s5, s1
	s_delay_alu instid0(SALU_CYCLE_1) | instskip(NEXT) | instid1(VALU_DEP_1)
	s_lshl_b64 s[8:9], s[0:1], 2
	v_lshlrev_b64 v[1:2], 2, v[1:2]
	s_add_u32 s5, s10, s8
	v_cmp_le_i32_e64 s0, v0, v6
	s_addc_u32 s7, s11, s9
	s_delay_alu instid0(VALU_DEP_2) | instskip(NEXT) | instid1(VALU_DEP_1)
	v_add_co_u32 v5, s1, s5, v1
	v_add_co_ci_u32_e64 v10, s1, s7, v2, s1
	s_delay_alu instid0(VALU_DEP_3) | instskip(NEXT) | instid1(SALU_CYCLE_1)
	s_and_b32 s0, vcc_lo, s0
	s_and_saveexec_b32 s1, s0
	s_cbranch_execz .LBB37_5
; %bb.4:
	v_ashrrev_i32_e32 v1, 31, v0
	s_delay_alu instid0(VALU_DEP_1) | instskip(NEXT) | instid1(VALU_DEP_1)
	v_lshlrev_b64 v[1:2], 2, v[0:1]
	v_add_co_u32 v1, s0, v5, v1
	s_delay_alu instid0(VALU_DEP_1) | instskip(SKIP_3) | instid1(VALU_DEP_1)
	v_add_co_ci_u32_e64 v2, s0, v10, v2, s0
	global_load_b32 v3, v[1:2], off
	s_waitcnt vmcnt(0)
	v_mul_f32_e32 v3, s2, v3
	v_fmac_f32_e32 v3, s6, v9
	global_store_b32 v[1:2], v3, off
.LBB37_5:
	s_or_b32 exec_lo, exec_lo, s1
	v_add_nc_u32_e32 v2, 16, v0
	s_delay_alu instid0(VALU_DEP_1) | instskip(NEXT) | instid1(VALU_DEP_1)
	v_cmp_le_i32_e64 s0, v2, v6
	s_and_b32 s1, vcc_lo, s0
	s_delay_alu instid0(SALU_CYCLE_1)
	s_and_saveexec_b32 s0, s1
	s_cbranch_execz .LBB37_7
; %bb.6:
	v_ashrrev_i32_e32 v3, 31, v2
	s_delay_alu instid0(VALU_DEP_1) | instskip(NEXT) | instid1(VALU_DEP_1)
	v_lshlrev_b64 v[11:12], 2, v[2:3]
	v_add_co_u32 v9, vcc_lo, v5, v11
	s_delay_alu instid0(VALU_DEP_2) | instskip(SKIP_3) | instid1(VALU_DEP_1)
	v_add_co_ci_u32_e32 v10, vcc_lo, v10, v12, vcc_lo
	global_load_b32 v1, v[9:10], off
	s_waitcnt vmcnt(0)
	v_mul_f32_e32 v1, s2, v1
	v_fmac_f32_e32 v1, s6, v8
	global_store_b32 v[9:10], v1, off
.LBB37_7:
	s_or_b32 exec_lo, exec_lo, s0
	v_add_nc_u32_e32 v3, 16, v6
	s_delay_alu instid0(VALU_DEP_1) | instskip(SKIP_2) | instid1(VALU_DEP_1)
	v_mad_i64_i32 v[5:6], null, v3, s3, 0
	v_cmp_gt_i32_e32 vcc_lo, s4, v3
	v_cmp_le_i32_e64 s0, v0, v3
	s_and_b32 s0, vcc_lo, s0
	s_delay_alu instid0(VALU_DEP_3) | instskip(NEXT) | instid1(VALU_DEP_1)
	v_lshlrev_b64 v[5:6], 2, v[5:6]
	v_add_co_u32 v5, s1, s5, v5
	s_delay_alu instid0(VALU_DEP_1)
	v_add_co_ci_u32_e64 v6, s1, s7, v6, s1
	s_and_saveexec_b32 s1, s0
	s_cbranch_execz .LBB37_9
; %bb.8:
	v_ashrrev_i32_e32 v1, 31, v0
	s_delay_alu instid0(VALU_DEP_1) | instskip(NEXT) | instid1(VALU_DEP_1)
	v_lshlrev_b64 v[0:1], 2, v[0:1]
	v_add_co_u32 v0, s0, v5, v0
	s_delay_alu instid0(VALU_DEP_1) | instskip(SKIP_3) | instid1(VALU_DEP_1)
	v_add_co_ci_u32_e64 v1, s0, v6, v1, s0
	global_load_b32 v8, v[0:1], off
	s_waitcnt vmcnt(0)
	v_mul_f32_e32 v8, s2, v8
	v_fmac_f32_e32 v8, s6, v7
	global_store_b32 v[0:1], v8, off
.LBB37_9:
	s_or_b32 exec_lo, exec_lo, s1
	v_cmp_le_i32_e64 s0, v2, v3
	s_delay_alu instid0(VALU_DEP_1) | instskip(NEXT) | instid1(SALU_CYCLE_1)
	s_and_b32 s0, vcc_lo, s0
	s_and_saveexec_b32 s1, s0
	s_cbranch_execz .LBB37_11
; %bb.10:
	v_ashrrev_i32_e32 v3, 31, v2
	s_delay_alu instid0(VALU_DEP_1) | instskip(NEXT) | instid1(VALU_DEP_1)
	v_lshlrev_b64 v[0:1], 2, v[2:3]
	v_add_co_u32 v0, vcc_lo, v5, v0
	s_delay_alu instid0(VALU_DEP_2) | instskip(SKIP_3) | instid1(VALU_DEP_1)
	v_add_co_ci_u32_e32 v1, vcc_lo, v6, v1, vcc_lo
	global_load_b32 v2, v[0:1], off
	s_waitcnt vmcnt(0)
	v_mul_f32_e32 v2, s2, v2
	v_fmac_f32_e32 v2, s6, v4
	global_store_b32 v[0:1], v2, off
.LBB37_11:
	s_nop 0
	s_sendmsg sendmsg(MSG_DEALLOC_VGPRS)
	s_endpgm
	.section	.rodata,"a",@progbits
	.p2align	6, 0x0
	.amdhsa_kernel _ZL37rocblas_syrkx_herkx_restricted_kernelIifLi16ELi32ELi8ELb0ELb0ELc78ELc85EKffEviT_T0_PT8_S1_lS4_S1_lS2_PT9_S1_li
		.amdhsa_group_segment_fixed_size 2048
		.amdhsa_private_segment_fixed_size 0
		.amdhsa_kernarg_size 100
		.amdhsa_user_sgpr_count 13
		.amdhsa_user_sgpr_dispatch_ptr 0
		.amdhsa_user_sgpr_queue_ptr 0
		.amdhsa_user_sgpr_kernarg_segment_ptr 1
		.amdhsa_user_sgpr_dispatch_id 0
		.amdhsa_user_sgpr_private_segment_size 0
		.amdhsa_wavefront_size32 1
		.amdhsa_uses_dynamic_stack 0
		.amdhsa_enable_private_segment 0
		.amdhsa_system_sgpr_workgroup_id_x 1
		.amdhsa_system_sgpr_workgroup_id_y 1
		.amdhsa_system_sgpr_workgroup_id_z 1
		.amdhsa_system_sgpr_workgroup_info 0
		.amdhsa_system_vgpr_workitem_id 1
		.amdhsa_next_free_vgpr 46
		.amdhsa_next_free_sgpr 22
		.amdhsa_reserve_vcc 1
		.amdhsa_float_round_mode_32 0
		.amdhsa_float_round_mode_16_64 0
		.amdhsa_float_denorm_mode_32 3
		.amdhsa_float_denorm_mode_16_64 3
		.amdhsa_dx10_clamp 1
		.amdhsa_ieee_mode 1
		.amdhsa_fp16_overflow 0
		.amdhsa_workgroup_processor_mode 1
		.amdhsa_memory_ordered 1
		.amdhsa_forward_progress 0
		.amdhsa_shared_vgpr_count 0
		.amdhsa_exception_fp_ieee_invalid_op 0
		.amdhsa_exception_fp_denorm_src 0
		.amdhsa_exception_fp_ieee_div_zero 0
		.amdhsa_exception_fp_ieee_overflow 0
		.amdhsa_exception_fp_ieee_underflow 0
		.amdhsa_exception_fp_ieee_inexact 0
		.amdhsa_exception_int_div_zero 0
	.end_amdhsa_kernel
	.section	.text._ZL37rocblas_syrkx_herkx_restricted_kernelIifLi16ELi32ELi8ELb0ELb0ELc78ELc85EKffEviT_T0_PT8_S1_lS4_S1_lS2_PT9_S1_li,"axG",@progbits,_ZL37rocblas_syrkx_herkx_restricted_kernelIifLi16ELi32ELi8ELb0ELb0ELc78ELc85EKffEviT_T0_PT8_S1_lS4_S1_lS2_PT9_S1_li,comdat
.Lfunc_end37:
	.size	_ZL37rocblas_syrkx_herkx_restricted_kernelIifLi16ELi32ELi8ELb0ELb0ELc78ELc85EKffEviT_T0_PT8_S1_lS4_S1_lS2_PT9_S1_li, .Lfunc_end37-_ZL37rocblas_syrkx_herkx_restricted_kernelIifLi16ELi32ELi8ELb0ELb0ELc78ELc85EKffEviT_T0_PT8_S1_lS4_S1_lS2_PT9_S1_li
                                        ; -- End function
	.section	.AMDGPU.csdata,"",@progbits
; Kernel info:
; codeLenInByte = 1280
; NumSgprs: 24
; NumVgprs: 46
; ScratchSize: 0
; MemoryBound: 0
; FloatMode: 240
; IeeeMode: 1
; LDSByteSize: 2048 bytes/workgroup (compile time only)
; SGPRBlocks: 2
; VGPRBlocks: 5
; NumSGPRsForWavesPerEU: 24
; NumVGPRsForWavesPerEU: 46
; Occupancy: 16
; WaveLimiterHint : 0
; COMPUTE_PGM_RSRC2:SCRATCH_EN: 0
; COMPUTE_PGM_RSRC2:USER_SGPR: 13
; COMPUTE_PGM_RSRC2:TRAP_HANDLER: 0
; COMPUTE_PGM_RSRC2:TGID_X_EN: 1
; COMPUTE_PGM_RSRC2:TGID_Y_EN: 1
; COMPUTE_PGM_RSRC2:TGID_Z_EN: 1
; COMPUTE_PGM_RSRC2:TIDIG_COMP_CNT: 1
	.section	.text._ZL41rocblas_syrkx_herkx_small_restrict_kernelIifLi16ELb1ELb0ELc84ELc76EKffEviT_T0_PT6_S1_lS4_S1_lS2_PT7_S1_li,"axG",@progbits,_ZL41rocblas_syrkx_herkx_small_restrict_kernelIifLi16ELb1ELb0ELc84ELc76EKffEviT_T0_PT6_S1_lS4_S1_lS2_PT7_S1_li,comdat
	.globl	_ZL41rocblas_syrkx_herkx_small_restrict_kernelIifLi16ELb1ELb0ELc84ELc76EKffEviT_T0_PT6_S1_lS4_S1_lS2_PT7_S1_li ; -- Begin function _ZL41rocblas_syrkx_herkx_small_restrict_kernelIifLi16ELb1ELb0ELc84ELc76EKffEviT_T0_PT6_S1_lS4_S1_lS2_PT7_S1_li
	.p2align	8
	.type	_ZL41rocblas_syrkx_herkx_small_restrict_kernelIifLi16ELb1ELb0ELc84ELc76EKffEviT_T0_PT6_S1_lS4_S1_lS2_PT7_S1_li,@function
_ZL41rocblas_syrkx_herkx_small_restrict_kernelIifLi16ELb1ELb0ELc84ELc76EKffEviT_T0_PT6_S1_lS4_S1_lS2_PT7_S1_li: ; @_ZL41rocblas_syrkx_herkx_small_restrict_kernelIifLi16ELb1ELb0ELc84ELc76EKffEviT_T0_PT6_S1_lS4_S1_lS2_PT7_S1_li
; %bb.0:
	s_load_b64 s[2:3], s[0:1], 0x4
	v_and_b32_e32 v2, 0x3ff, v0
	v_bfe_u32 v1, v0, 10, 10
	s_mov_b32 s8, 0
	s_delay_alu instid0(VALU_DEP_2) | instskip(NEXT) | instid1(VALU_DEP_2)
	v_lshl_add_u32 v0, s13, 4, v2
	v_lshl_add_u32 v5, s14, 4, v1
	s_waitcnt lgkmcnt(0)
	s_cmp_lt_i32 s2, 1
	s_cbranch_scc1 .LBB38_6
; %bb.1:
	s_clause 0x3
	s_load_b32 s9, s[0:1], 0x30
	s_load_b64 s[10:11], s[0:1], 0x38
	s_load_b32 s14, s[0:1], 0x18
	s_load_b128 s[4:7], s[0:1], 0x20
	v_lshlrev_b32_e32 v3, 6, v1
	v_lshlrev_b32_e32 v6, 2, v2
	;; [unrolled: 1-line block ×3, first 2 shown]
	s_load_b64 s[12:13], s[0:1], 0x10
	s_delay_alu instid0(VALU_DEP_3) | instskip(NEXT) | instid1(VALU_DEP_3)
	v_add_nc_u32_e32 v7, 0x400, v3
	v_add_nc_u32_e32 v9, v6, v3
	s_delay_alu instid0(VALU_DEP_2)
	v_add_nc_u32_e32 v10, v7, v6
	s_waitcnt lgkmcnt(0)
	v_mad_i64_i32 v[1:2], null, s9, v5, 0
	v_mad_i64_i32 v[3:4], null, s14, v0, 0
	s_mul_i32 s9, s11, s15
	s_mul_hi_u32 s11, s10, s15
	s_mul_i32 s10, s10, s15
	s_add_i32 s11, s11, s9
	s_delay_alu instid0(VALU_DEP_2)
	v_lshlrev_b64 v[1:2], 2, v[1:2]
	s_mul_i32 s5, s5, s15
	s_mul_hi_u32 s14, s4, s15
	v_lshlrev_b64 v[3:4], 2, v[3:4]
	s_lshl_b64 s[10:11], s[10:11], 2
	s_mul_i32 s4, s4, s15
	s_add_i32 s5, s14, s5
	v_add_co_u32 v1, vcc_lo, v1, s10
	s_lshl_b64 s[4:5], s[4:5], 2
	v_add_co_ci_u32_e32 v2, vcc_lo, s11, v2, vcc_lo
	v_add_co_u32 v3, vcc_lo, v3, s4
	v_add_co_ci_u32_e32 v4, vcc_lo, s5, v4, vcc_lo
	v_add_co_u32 v1, vcc_lo, v1, v6
	s_delay_alu instid0(VALU_DEP_4) | instskip(NEXT) | instid1(VALU_DEP_4)
	v_add_co_ci_u32_e32 v2, vcc_lo, 0, v2, vcc_lo
	v_add_co_u32 v3, vcc_lo, v3, v8
	v_mov_b32_e32 v8, 0
	v_add_co_ci_u32_e32 v4, vcc_lo, 0, v4, vcc_lo
	v_add_co_u32 v1, vcc_lo, s6, v1
	v_add_co_ci_u32_e32 v2, vcc_lo, s7, v2, vcc_lo
	v_add_co_u32 v3, vcc_lo, s12, v3
	s_delay_alu instid0(VALU_DEP_4)
	v_add_co_ci_u32_e32 v4, vcc_lo, s13, v4, vcc_lo
.LBB38_2:                               ; =>This Inner Loop Header: Depth=1
	global_load_b32 v11, v[3:4], off
	global_load_b32 v12, v[1:2], off
	v_add_co_u32 v1, vcc_lo, v1, 64
	v_add_co_ci_u32_e32 v2, vcc_lo, 0, v2, vcc_lo
	v_add_co_u32 v3, vcc_lo, v3, 64
	v_add_co_ci_u32_e32 v4, vcc_lo, 0, v4, vcc_lo
	s_add_i32 s8, s8, 16
	s_waitcnt vmcnt(1)
	ds_store_b32 v9, v11
	s_waitcnt vmcnt(0)
	ds_store_b32 v10, v12
	s_waitcnt lgkmcnt(0)
	s_barrier
	buffer_gl0_inv
	ds_load_2addr_b32 v[19:20], v6 offset1:16
	ds_load_b128 v[11:14], v7
	ds_load_2addr_b32 v[21:22], v6 offset0:32 offset1:48
	ds_load_b128 v[15:18], v7 offset:16
	ds_load_2addr_b32 v[23:24], v6 offset0:64 offset1:80
	s_cmp_lt_i32 s8, s2
	s_waitcnt lgkmcnt(3)
	v_fmac_f32_e32 v8, v19, v11
	s_delay_alu instid0(VALU_DEP_1) | instskip(SKIP_3) | instid1(VALU_DEP_1)
	v_fmac_f32_e32 v8, v20, v12
	ds_load_2addr_b32 v[19:20], v6 offset0:96 offset1:112
	s_waitcnt lgkmcnt(3)
	v_fmac_f32_e32 v8, v21, v13
	v_fmac_f32_e32 v8, v22, v14
	ds_load_2addr_b32 v[21:22], v6 offset0:128 offset1:144
	ds_load_b128 v[11:14], v7 offset:32
	s_waitcnt lgkmcnt(3)
	v_fmac_f32_e32 v8, v23, v15
	s_delay_alu instid0(VALU_DEP_1) | instskip(SKIP_3) | instid1(VALU_DEP_1)
	v_fmac_f32_e32 v8, v24, v16
	ds_load_2addr_b32 v[23:24], v6 offset0:160 offset1:176
	s_waitcnt lgkmcnt(3)
	v_fmac_f32_e32 v8, v19, v17
	v_fmac_f32_e32 v8, v20, v18
	ds_load_b128 v[15:18], v7 offset:48
	ds_load_2addr_b32 v[19:20], v6 offset0:192 offset1:208
	s_waitcnt lgkmcnt(3)
	v_fmac_f32_e32 v8, v21, v11
	s_delay_alu instid0(VALU_DEP_1)
	v_fmac_f32_e32 v8, v22, v12
	ds_load_2addr_b32 v[11:12], v6 offset0:224 offset1:240
	s_waitcnt lgkmcnt(0)
	s_barrier
	buffer_gl0_inv
	v_fmac_f32_e32 v8, v23, v13
	s_delay_alu instid0(VALU_DEP_1) | instskip(NEXT) | instid1(VALU_DEP_1)
	v_fmac_f32_e32 v8, v24, v14
	v_fmac_f32_e32 v8, v19, v15
	s_delay_alu instid0(VALU_DEP_1) | instskip(NEXT) | instid1(VALU_DEP_1)
	v_fmac_f32_e32 v8, v20, v16
	v_fmac_f32_e32 v8, v11, v17
	s_delay_alu instid0(VALU_DEP_1)
	v_fmac_f32_e32 v8, v12, v18
	s_cbranch_scc1 .LBB38_2
; %bb.3:
	s_mov_b32 s2, exec_lo
	v_cmpx_le_i32_e64 v5, v0
	s_cbranch_execz .LBB38_5
.LBB38_4:
	s_clause 0x2
	s_load_b32 s2, s[0:1], 0x50
	s_load_b64 s[4:5], s[0:1], 0x58
	s_load_b64 s[0:1], s[0:1], 0x48
	v_ashrrev_i32_e32 v1, 31, v0
	v_mul_f32_e32 v4, s3, v8
	s_delay_alu instid0(VALU_DEP_2)
	v_lshlrev_b64 v[0:1], 2, v[0:1]
	s_waitcnt lgkmcnt(0)
	v_mad_i64_i32 v[2:3], null, s2, v5, 0
	s_mul_i32 s2, s15, s5
	s_mul_hi_u32 s5, s15, s4
	s_mul_i32 s4, s15, s4
	s_add_i32 s5, s5, s2
	s_delay_alu instid0(SALU_CYCLE_1) | instskip(NEXT) | instid1(VALU_DEP_1)
	s_lshl_b64 s[4:5], s[4:5], 2
	v_lshlrev_b64 v[2:3], 2, v[2:3]
	s_add_u32 s0, s0, s4
	s_addc_u32 s1, s1, s5
	s_delay_alu instid0(VALU_DEP_1) | instskip(NEXT) | instid1(VALU_DEP_2)
	v_add_co_u32 v2, vcc_lo, s0, v2
	v_add_co_ci_u32_e32 v3, vcc_lo, s1, v3, vcc_lo
	s_delay_alu instid0(VALU_DEP_2) | instskip(NEXT) | instid1(VALU_DEP_2)
	v_add_co_u32 v0, vcc_lo, v2, v0
	v_add_co_ci_u32_e32 v1, vcc_lo, v3, v1, vcc_lo
	global_store_b32 v[0:1], v4, off
.LBB38_5:
	s_nop 0
	s_sendmsg sendmsg(MSG_DEALLOC_VGPRS)
	s_endpgm
.LBB38_6:
	v_mov_b32_e32 v8, 0
	s_mov_b32 s2, exec_lo
	v_cmpx_le_i32_e64 v5, v0
	s_cbranch_execnz .LBB38_4
	s_branch .LBB38_5
	.section	.rodata,"a",@progbits
	.p2align	6, 0x0
	.amdhsa_kernel _ZL41rocblas_syrkx_herkx_small_restrict_kernelIifLi16ELb1ELb0ELc84ELc76EKffEviT_T0_PT6_S1_lS4_S1_lS2_PT7_S1_li
		.amdhsa_group_segment_fixed_size 2048
		.amdhsa_private_segment_fixed_size 0
		.amdhsa_kernarg_size 100
		.amdhsa_user_sgpr_count 13
		.amdhsa_user_sgpr_dispatch_ptr 0
		.amdhsa_user_sgpr_queue_ptr 0
		.amdhsa_user_sgpr_kernarg_segment_ptr 1
		.amdhsa_user_sgpr_dispatch_id 0
		.amdhsa_user_sgpr_private_segment_size 0
		.amdhsa_wavefront_size32 1
		.amdhsa_uses_dynamic_stack 0
		.amdhsa_enable_private_segment 0
		.amdhsa_system_sgpr_workgroup_id_x 1
		.amdhsa_system_sgpr_workgroup_id_y 1
		.amdhsa_system_sgpr_workgroup_id_z 1
		.amdhsa_system_sgpr_workgroup_info 0
		.amdhsa_system_vgpr_workitem_id 1
		.amdhsa_next_free_vgpr 25
		.amdhsa_next_free_sgpr 16
		.amdhsa_reserve_vcc 1
		.amdhsa_float_round_mode_32 0
		.amdhsa_float_round_mode_16_64 0
		.amdhsa_float_denorm_mode_32 3
		.amdhsa_float_denorm_mode_16_64 3
		.amdhsa_dx10_clamp 1
		.amdhsa_ieee_mode 1
		.amdhsa_fp16_overflow 0
		.amdhsa_workgroup_processor_mode 1
		.amdhsa_memory_ordered 1
		.amdhsa_forward_progress 0
		.amdhsa_shared_vgpr_count 0
		.amdhsa_exception_fp_ieee_invalid_op 0
		.amdhsa_exception_fp_denorm_src 0
		.amdhsa_exception_fp_ieee_div_zero 0
		.amdhsa_exception_fp_ieee_overflow 0
		.amdhsa_exception_fp_ieee_underflow 0
		.amdhsa_exception_fp_ieee_inexact 0
		.amdhsa_exception_int_div_zero 0
	.end_amdhsa_kernel
	.section	.text._ZL41rocblas_syrkx_herkx_small_restrict_kernelIifLi16ELb1ELb0ELc84ELc76EKffEviT_T0_PT6_S1_lS4_S1_lS2_PT7_S1_li,"axG",@progbits,_ZL41rocblas_syrkx_herkx_small_restrict_kernelIifLi16ELb1ELb0ELc84ELc76EKffEviT_T0_PT6_S1_lS4_S1_lS2_PT7_S1_li,comdat
.Lfunc_end38:
	.size	_ZL41rocblas_syrkx_herkx_small_restrict_kernelIifLi16ELb1ELb0ELc84ELc76EKffEviT_T0_PT6_S1_lS4_S1_lS2_PT7_S1_li, .Lfunc_end38-_ZL41rocblas_syrkx_herkx_small_restrict_kernelIifLi16ELb1ELb0ELc84ELc76EKffEviT_T0_PT6_S1_lS4_S1_lS2_PT7_S1_li
                                        ; -- End function
	.section	.AMDGPU.csdata,"",@progbits
; Kernel info:
; codeLenInByte = 808
; NumSgprs: 18
; NumVgprs: 25
; ScratchSize: 0
; MemoryBound: 0
; FloatMode: 240
; IeeeMode: 1
; LDSByteSize: 2048 bytes/workgroup (compile time only)
; SGPRBlocks: 2
; VGPRBlocks: 3
; NumSGPRsForWavesPerEU: 18
; NumVGPRsForWavesPerEU: 25
; Occupancy: 16
; WaveLimiterHint : 0
; COMPUTE_PGM_RSRC2:SCRATCH_EN: 0
; COMPUTE_PGM_RSRC2:USER_SGPR: 13
; COMPUTE_PGM_RSRC2:TRAP_HANDLER: 0
; COMPUTE_PGM_RSRC2:TGID_X_EN: 1
; COMPUTE_PGM_RSRC2:TGID_Y_EN: 1
; COMPUTE_PGM_RSRC2:TGID_Z_EN: 1
; COMPUTE_PGM_RSRC2:TIDIG_COMP_CNT: 1
	.section	.text._ZL41rocblas_syrkx_herkx_small_restrict_kernelIifLi16ELb1ELb0ELc67ELc76EKffEviT_T0_PT6_S1_lS4_S1_lS2_PT7_S1_li,"axG",@progbits,_ZL41rocblas_syrkx_herkx_small_restrict_kernelIifLi16ELb1ELb0ELc67ELc76EKffEviT_T0_PT6_S1_lS4_S1_lS2_PT7_S1_li,comdat
	.globl	_ZL41rocblas_syrkx_herkx_small_restrict_kernelIifLi16ELb1ELb0ELc67ELc76EKffEviT_T0_PT6_S1_lS4_S1_lS2_PT7_S1_li ; -- Begin function _ZL41rocblas_syrkx_herkx_small_restrict_kernelIifLi16ELb1ELb0ELc67ELc76EKffEviT_T0_PT6_S1_lS4_S1_lS2_PT7_S1_li
	.p2align	8
	.type	_ZL41rocblas_syrkx_herkx_small_restrict_kernelIifLi16ELb1ELb0ELc67ELc76EKffEviT_T0_PT6_S1_lS4_S1_lS2_PT7_S1_li,@function
_ZL41rocblas_syrkx_herkx_small_restrict_kernelIifLi16ELb1ELb0ELc67ELc76EKffEviT_T0_PT6_S1_lS4_S1_lS2_PT7_S1_li: ; @_ZL41rocblas_syrkx_herkx_small_restrict_kernelIifLi16ELb1ELb0ELc67ELc76EKffEviT_T0_PT6_S1_lS4_S1_lS2_PT7_S1_li
; %bb.0:
	s_load_b64 s[2:3], s[0:1], 0x4
	v_and_b32_e32 v2, 0x3ff, v0
	v_bfe_u32 v1, v0, 10, 10
	s_mov_b32 s8, 0
	s_delay_alu instid0(VALU_DEP_2) | instskip(NEXT) | instid1(VALU_DEP_2)
	v_lshl_add_u32 v0, s13, 4, v2
	v_lshl_add_u32 v5, s14, 4, v1
	s_waitcnt lgkmcnt(0)
	s_cmp_lt_i32 s2, 1
	s_cbranch_scc1 .LBB39_6
; %bb.1:
	s_clause 0x3
	s_load_b32 s9, s[0:1], 0x30
	s_load_b64 s[10:11], s[0:1], 0x38
	s_load_b32 s14, s[0:1], 0x18
	s_load_b128 s[4:7], s[0:1], 0x20
	v_lshlrev_b32_e32 v3, 6, v1
	v_lshlrev_b32_e32 v6, 2, v2
	;; [unrolled: 1-line block ×3, first 2 shown]
	s_load_b64 s[12:13], s[0:1], 0x10
	s_delay_alu instid0(VALU_DEP_3) | instskip(NEXT) | instid1(VALU_DEP_3)
	v_add_nc_u32_e32 v7, 0x400, v3
	v_add_nc_u32_e32 v9, v6, v3
	s_delay_alu instid0(VALU_DEP_2)
	v_add_nc_u32_e32 v10, v7, v6
	s_waitcnt lgkmcnt(0)
	v_mad_i64_i32 v[1:2], null, s9, v5, 0
	v_mad_i64_i32 v[3:4], null, s14, v0, 0
	s_mul_i32 s9, s11, s15
	s_mul_hi_u32 s11, s10, s15
	s_mul_i32 s10, s10, s15
	s_add_i32 s11, s11, s9
	s_delay_alu instid0(VALU_DEP_2)
	v_lshlrev_b64 v[1:2], 2, v[1:2]
	s_mul_i32 s5, s5, s15
	s_mul_hi_u32 s14, s4, s15
	v_lshlrev_b64 v[3:4], 2, v[3:4]
	s_lshl_b64 s[10:11], s[10:11], 2
	s_mul_i32 s4, s4, s15
	s_add_i32 s5, s14, s5
	v_add_co_u32 v1, vcc_lo, v1, s10
	s_lshl_b64 s[4:5], s[4:5], 2
	v_add_co_ci_u32_e32 v2, vcc_lo, s11, v2, vcc_lo
	v_add_co_u32 v3, vcc_lo, v3, s4
	v_add_co_ci_u32_e32 v4, vcc_lo, s5, v4, vcc_lo
	v_add_co_u32 v1, vcc_lo, v1, v6
	s_delay_alu instid0(VALU_DEP_4) | instskip(NEXT) | instid1(VALU_DEP_4)
	v_add_co_ci_u32_e32 v2, vcc_lo, 0, v2, vcc_lo
	v_add_co_u32 v3, vcc_lo, v3, v8
	v_mov_b32_e32 v8, 0
	v_add_co_ci_u32_e32 v4, vcc_lo, 0, v4, vcc_lo
	v_add_co_u32 v1, vcc_lo, s6, v1
	v_add_co_ci_u32_e32 v2, vcc_lo, s7, v2, vcc_lo
	v_add_co_u32 v3, vcc_lo, s12, v3
	s_delay_alu instid0(VALU_DEP_4)
	v_add_co_ci_u32_e32 v4, vcc_lo, s13, v4, vcc_lo
.LBB39_2:                               ; =>This Inner Loop Header: Depth=1
	global_load_b32 v11, v[3:4], off
	global_load_b32 v12, v[1:2], off
	v_add_co_u32 v1, vcc_lo, v1, 64
	v_add_co_ci_u32_e32 v2, vcc_lo, 0, v2, vcc_lo
	v_add_co_u32 v3, vcc_lo, v3, 64
	v_add_co_ci_u32_e32 v4, vcc_lo, 0, v4, vcc_lo
	s_add_i32 s8, s8, 16
	s_waitcnt vmcnt(1)
	ds_store_b32 v9, v11
	s_waitcnt vmcnt(0)
	ds_store_b32 v10, v12
	s_waitcnt lgkmcnt(0)
	s_barrier
	buffer_gl0_inv
	ds_load_2addr_b32 v[19:20], v6 offset1:16
	ds_load_b128 v[11:14], v7
	ds_load_2addr_b32 v[21:22], v6 offset0:32 offset1:48
	ds_load_b128 v[15:18], v7 offset:16
	ds_load_2addr_b32 v[23:24], v6 offset0:64 offset1:80
	s_cmp_lt_i32 s8, s2
	s_waitcnt lgkmcnt(3)
	v_fmac_f32_e32 v8, v19, v11
	s_delay_alu instid0(VALU_DEP_1) | instskip(SKIP_3) | instid1(VALU_DEP_1)
	v_fmac_f32_e32 v8, v20, v12
	ds_load_2addr_b32 v[19:20], v6 offset0:96 offset1:112
	s_waitcnt lgkmcnt(3)
	v_fmac_f32_e32 v8, v21, v13
	v_fmac_f32_e32 v8, v22, v14
	ds_load_2addr_b32 v[21:22], v6 offset0:128 offset1:144
	ds_load_b128 v[11:14], v7 offset:32
	s_waitcnt lgkmcnt(3)
	v_fmac_f32_e32 v8, v23, v15
	s_delay_alu instid0(VALU_DEP_1) | instskip(SKIP_3) | instid1(VALU_DEP_1)
	v_fmac_f32_e32 v8, v24, v16
	ds_load_2addr_b32 v[23:24], v6 offset0:160 offset1:176
	s_waitcnt lgkmcnt(3)
	v_fmac_f32_e32 v8, v19, v17
	v_fmac_f32_e32 v8, v20, v18
	ds_load_b128 v[15:18], v7 offset:48
	ds_load_2addr_b32 v[19:20], v6 offset0:192 offset1:208
	s_waitcnt lgkmcnt(3)
	v_fmac_f32_e32 v8, v21, v11
	s_delay_alu instid0(VALU_DEP_1)
	v_fmac_f32_e32 v8, v22, v12
	ds_load_2addr_b32 v[11:12], v6 offset0:224 offset1:240
	s_waitcnt lgkmcnt(0)
	s_barrier
	buffer_gl0_inv
	v_fmac_f32_e32 v8, v23, v13
	s_delay_alu instid0(VALU_DEP_1) | instskip(NEXT) | instid1(VALU_DEP_1)
	v_fmac_f32_e32 v8, v24, v14
	v_fmac_f32_e32 v8, v19, v15
	s_delay_alu instid0(VALU_DEP_1) | instskip(NEXT) | instid1(VALU_DEP_1)
	v_fmac_f32_e32 v8, v20, v16
	v_fmac_f32_e32 v8, v11, v17
	s_delay_alu instid0(VALU_DEP_1)
	v_fmac_f32_e32 v8, v12, v18
	s_cbranch_scc1 .LBB39_2
; %bb.3:
	s_mov_b32 s2, exec_lo
	v_cmpx_le_i32_e64 v5, v0
	s_cbranch_execz .LBB39_5
.LBB39_4:
	s_clause 0x2
	s_load_b32 s2, s[0:1], 0x50
	s_load_b64 s[4:5], s[0:1], 0x58
	s_load_b64 s[0:1], s[0:1], 0x48
	v_ashrrev_i32_e32 v1, 31, v0
	v_mul_f32_e32 v4, s3, v8
	s_delay_alu instid0(VALU_DEP_2)
	v_lshlrev_b64 v[0:1], 2, v[0:1]
	s_waitcnt lgkmcnt(0)
	v_mad_i64_i32 v[2:3], null, s2, v5, 0
	s_mul_i32 s2, s15, s5
	s_mul_hi_u32 s5, s15, s4
	s_mul_i32 s4, s15, s4
	s_add_i32 s5, s5, s2
	s_delay_alu instid0(SALU_CYCLE_1) | instskip(NEXT) | instid1(VALU_DEP_1)
	s_lshl_b64 s[4:5], s[4:5], 2
	v_lshlrev_b64 v[2:3], 2, v[2:3]
	s_add_u32 s0, s0, s4
	s_addc_u32 s1, s1, s5
	s_delay_alu instid0(VALU_DEP_1) | instskip(NEXT) | instid1(VALU_DEP_2)
	v_add_co_u32 v2, vcc_lo, s0, v2
	v_add_co_ci_u32_e32 v3, vcc_lo, s1, v3, vcc_lo
	s_delay_alu instid0(VALU_DEP_2) | instskip(NEXT) | instid1(VALU_DEP_2)
	v_add_co_u32 v0, vcc_lo, v2, v0
	v_add_co_ci_u32_e32 v1, vcc_lo, v3, v1, vcc_lo
	global_store_b32 v[0:1], v4, off
.LBB39_5:
	s_nop 0
	s_sendmsg sendmsg(MSG_DEALLOC_VGPRS)
	s_endpgm
.LBB39_6:
	v_mov_b32_e32 v8, 0
	s_mov_b32 s2, exec_lo
	v_cmpx_le_i32_e64 v5, v0
	s_cbranch_execnz .LBB39_4
	s_branch .LBB39_5
	.section	.rodata,"a",@progbits
	.p2align	6, 0x0
	.amdhsa_kernel _ZL41rocblas_syrkx_herkx_small_restrict_kernelIifLi16ELb1ELb0ELc67ELc76EKffEviT_T0_PT6_S1_lS4_S1_lS2_PT7_S1_li
		.amdhsa_group_segment_fixed_size 2048
		.amdhsa_private_segment_fixed_size 0
		.amdhsa_kernarg_size 100
		.amdhsa_user_sgpr_count 13
		.amdhsa_user_sgpr_dispatch_ptr 0
		.amdhsa_user_sgpr_queue_ptr 0
		.amdhsa_user_sgpr_kernarg_segment_ptr 1
		.amdhsa_user_sgpr_dispatch_id 0
		.amdhsa_user_sgpr_private_segment_size 0
		.amdhsa_wavefront_size32 1
		.amdhsa_uses_dynamic_stack 0
		.amdhsa_enable_private_segment 0
		.amdhsa_system_sgpr_workgroup_id_x 1
		.amdhsa_system_sgpr_workgroup_id_y 1
		.amdhsa_system_sgpr_workgroup_id_z 1
		.amdhsa_system_sgpr_workgroup_info 0
		.amdhsa_system_vgpr_workitem_id 1
		.amdhsa_next_free_vgpr 25
		.amdhsa_next_free_sgpr 16
		.amdhsa_reserve_vcc 1
		.amdhsa_float_round_mode_32 0
		.amdhsa_float_round_mode_16_64 0
		.amdhsa_float_denorm_mode_32 3
		.amdhsa_float_denorm_mode_16_64 3
		.amdhsa_dx10_clamp 1
		.amdhsa_ieee_mode 1
		.amdhsa_fp16_overflow 0
		.amdhsa_workgroup_processor_mode 1
		.amdhsa_memory_ordered 1
		.amdhsa_forward_progress 0
		.amdhsa_shared_vgpr_count 0
		.amdhsa_exception_fp_ieee_invalid_op 0
		.amdhsa_exception_fp_denorm_src 0
		.amdhsa_exception_fp_ieee_div_zero 0
		.amdhsa_exception_fp_ieee_overflow 0
		.amdhsa_exception_fp_ieee_underflow 0
		.amdhsa_exception_fp_ieee_inexact 0
		.amdhsa_exception_int_div_zero 0
	.end_amdhsa_kernel
	.section	.text._ZL41rocblas_syrkx_herkx_small_restrict_kernelIifLi16ELb1ELb0ELc67ELc76EKffEviT_T0_PT6_S1_lS4_S1_lS2_PT7_S1_li,"axG",@progbits,_ZL41rocblas_syrkx_herkx_small_restrict_kernelIifLi16ELb1ELb0ELc67ELc76EKffEviT_T0_PT6_S1_lS4_S1_lS2_PT7_S1_li,comdat
.Lfunc_end39:
	.size	_ZL41rocblas_syrkx_herkx_small_restrict_kernelIifLi16ELb1ELb0ELc67ELc76EKffEviT_T0_PT6_S1_lS4_S1_lS2_PT7_S1_li, .Lfunc_end39-_ZL41rocblas_syrkx_herkx_small_restrict_kernelIifLi16ELb1ELb0ELc67ELc76EKffEviT_T0_PT6_S1_lS4_S1_lS2_PT7_S1_li
                                        ; -- End function
	.section	.AMDGPU.csdata,"",@progbits
; Kernel info:
; codeLenInByte = 808
; NumSgprs: 18
; NumVgprs: 25
; ScratchSize: 0
; MemoryBound: 0
; FloatMode: 240
; IeeeMode: 1
; LDSByteSize: 2048 bytes/workgroup (compile time only)
; SGPRBlocks: 2
; VGPRBlocks: 3
; NumSGPRsForWavesPerEU: 18
; NumVGPRsForWavesPerEU: 25
; Occupancy: 16
; WaveLimiterHint : 0
; COMPUTE_PGM_RSRC2:SCRATCH_EN: 0
; COMPUTE_PGM_RSRC2:USER_SGPR: 13
; COMPUTE_PGM_RSRC2:TRAP_HANDLER: 0
; COMPUTE_PGM_RSRC2:TGID_X_EN: 1
; COMPUTE_PGM_RSRC2:TGID_Y_EN: 1
; COMPUTE_PGM_RSRC2:TGID_Z_EN: 1
; COMPUTE_PGM_RSRC2:TIDIG_COMP_CNT: 1
	.section	.text._ZL41rocblas_syrkx_herkx_small_restrict_kernelIifLi16ELb1ELb0ELc78ELc76EKffEviT_T0_PT6_S1_lS4_S1_lS2_PT7_S1_li,"axG",@progbits,_ZL41rocblas_syrkx_herkx_small_restrict_kernelIifLi16ELb1ELb0ELc78ELc76EKffEviT_T0_PT6_S1_lS4_S1_lS2_PT7_S1_li,comdat
	.globl	_ZL41rocblas_syrkx_herkx_small_restrict_kernelIifLi16ELb1ELb0ELc78ELc76EKffEviT_T0_PT6_S1_lS4_S1_lS2_PT7_S1_li ; -- Begin function _ZL41rocblas_syrkx_herkx_small_restrict_kernelIifLi16ELb1ELb0ELc78ELc76EKffEviT_T0_PT6_S1_lS4_S1_lS2_PT7_S1_li
	.p2align	8
	.type	_ZL41rocblas_syrkx_herkx_small_restrict_kernelIifLi16ELb1ELb0ELc78ELc76EKffEviT_T0_PT6_S1_lS4_S1_lS2_PT7_S1_li,@function
_ZL41rocblas_syrkx_herkx_small_restrict_kernelIifLi16ELb1ELb0ELc78ELc76EKffEviT_T0_PT6_S1_lS4_S1_lS2_PT7_S1_li: ; @_ZL41rocblas_syrkx_herkx_small_restrict_kernelIifLi16ELb1ELb0ELc78ELc76EKffEviT_T0_PT6_S1_lS4_S1_lS2_PT7_S1_li
; %bb.0:
	s_load_b64 s[2:3], s[0:1], 0x4
	v_and_b32_e32 v5, 0x3ff, v0
	v_bfe_u32 v4, v0, 10, 10
	s_mov_b32 s8, 0
	s_delay_alu instid0(VALU_DEP_2) | instskip(NEXT) | instid1(VALU_DEP_2)
	v_lshl_add_u32 v0, s13, 4, v5
	v_lshl_add_u32 v2, s14, 4, v4
	s_delay_alu instid0(VALU_DEP_2)
	v_ashrrev_i32_e32 v1, 31, v0
	s_waitcnt lgkmcnt(0)
	s_cmp_lt_i32 s2, 1
	s_cbranch_scc1 .LBB40_6
; %bb.1:
	s_clause 0x3
	s_load_b32 s10, s[0:1], 0x30
	s_load_b64 s[12:13], s[0:1], 0x38
	s_load_b128 s[4:7], s[0:1], 0x20
	s_load_b32 s16, s[0:1], 0x18
	v_dual_mov_b32 v9, 0 :: v_dual_lshlrev_b32 v6, 6, v4
	v_lshlrev_b32_e32 v7, 2, v5
	v_ashrrev_i32_e32 v3, 31, v2
	s_load_b64 s[18:19], s[0:1], 0x10
	s_delay_alu instid0(VALU_DEP_3) | instskip(SKIP_3) | instid1(VALU_DEP_4)
	v_add_nc_u32_e32 v8, 0x400, v6
	v_lshlrev_b64 v[12:13], 2, v[0:1]
	v_add_nc_u32_e32 v10, v7, v6
	v_lshlrev_b64 v[14:15], 2, v[2:3]
	v_add_nc_u32_e32 v11, v8, v7
	s_waitcnt lgkmcnt(0)
	v_mad_i64_i32 v[16:17], null, s10, v5, 0
	s_mul_i32 s9, s13, s15
	v_mad_i64_i32 v[5:6], null, s16, v4, 0
	s_mul_hi_u32 s13, s12, s15
	s_mul_i32 s12, s12, s15
	s_add_i32 s13, s13, s9
	s_delay_alu instid0(VALU_DEP_2) | instskip(SKIP_2) | instid1(VALU_DEP_2)
	v_lshlrev_b64 v[3:4], 2, v[16:17]
	s_mul_i32 s5, s5, s15
	s_mul_hi_u32 s14, s4, s15
	v_lshlrev_b64 v[5:6], 2, v[5:6]
	s_lshl_b64 s[12:13], s[12:13], 2
	s_mul_i32 s4, s4, s15
	s_add_i32 s5, s14, s5
	v_add_co_u32 v3, vcc_lo, s12, v3
	s_lshl_b64 s[4:5], s[4:5], 2
	v_add_co_ci_u32_e32 v4, vcc_lo, s13, v4, vcc_lo
	v_add_co_u32 v5, vcc_lo, s4, v5
	v_add_co_ci_u32_e32 v6, vcc_lo, s5, v6, vcc_lo
	v_add_co_u32 v3, vcc_lo, v3, v14
	s_delay_alu instid0(VALU_DEP_4) | instskip(NEXT) | instid1(VALU_DEP_4)
	v_add_co_ci_u32_e32 v4, vcc_lo, v4, v15, vcc_lo
	v_add_co_u32 v5, vcc_lo, v5, v12
	s_delay_alu instid0(VALU_DEP_4) | instskip(NEXT) | instid1(VALU_DEP_4)
	;; [unrolled: 3-line block ×3, first 2 shown]
	v_add_co_ci_u32_e32 v4, vcc_lo, s7, v4, vcc_lo
	v_add_co_u32 v5, vcc_lo, s18, v5
	s_delay_alu instid0(VALU_DEP_4)
	v_add_co_ci_u32_e32 v6, vcc_lo, s19, v6, vcc_lo
	s_ashr_i32 s11, s10, 31
	s_ashr_i32 s17, s16, 31
	s_lshl_b64 s[4:5], s[10:11], 6
	s_lshl_b64 s[6:7], s[16:17], 6
.LBB40_2:                               ; =>This Inner Loop Header: Depth=1
	global_load_b32 v12, v[5:6], off
	global_load_b32 v13, v[3:4], off
	v_add_co_u32 v3, vcc_lo, v3, s4
	v_add_co_ci_u32_e32 v4, vcc_lo, s5, v4, vcc_lo
	v_add_co_u32 v5, vcc_lo, v5, s6
	v_add_co_ci_u32_e32 v6, vcc_lo, s7, v6, vcc_lo
	s_add_i32 s8, s8, 16
	s_waitcnt vmcnt(1)
	ds_store_b32 v10, v12
	s_waitcnt vmcnt(0)
	ds_store_b32 v11, v13
	s_waitcnt lgkmcnt(0)
	s_barrier
	buffer_gl0_inv
	ds_load_2addr_b32 v[20:21], v7 offset1:16
	ds_load_b128 v[12:15], v8
	ds_load_2addr_b32 v[22:23], v7 offset0:32 offset1:48
	ds_load_b128 v[16:19], v8 offset:16
	ds_load_2addr_b32 v[24:25], v7 offset0:64 offset1:80
	s_cmp_lt_i32 s8, s2
	s_waitcnt lgkmcnt(3)
	v_fmac_f32_e32 v9, v20, v12
	s_delay_alu instid0(VALU_DEP_1) | instskip(SKIP_3) | instid1(VALU_DEP_1)
	v_fmac_f32_e32 v9, v21, v13
	ds_load_2addr_b32 v[20:21], v7 offset0:96 offset1:112
	s_waitcnt lgkmcnt(3)
	v_fmac_f32_e32 v9, v22, v14
	v_fmac_f32_e32 v9, v23, v15
	ds_load_2addr_b32 v[22:23], v7 offset0:128 offset1:144
	ds_load_b128 v[12:15], v8 offset:32
	s_waitcnt lgkmcnt(3)
	v_fmac_f32_e32 v9, v24, v16
	s_delay_alu instid0(VALU_DEP_1) | instskip(SKIP_3) | instid1(VALU_DEP_1)
	v_fmac_f32_e32 v9, v25, v17
	ds_load_2addr_b32 v[24:25], v7 offset0:160 offset1:176
	s_waitcnt lgkmcnt(3)
	v_fmac_f32_e32 v9, v20, v18
	v_fmac_f32_e32 v9, v21, v19
	ds_load_b128 v[16:19], v8 offset:48
	ds_load_2addr_b32 v[20:21], v7 offset0:192 offset1:208
	s_waitcnt lgkmcnt(3)
	v_fmac_f32_e32 v9, v22, v12
	s_delay_alu instid0(VALU_DEP_1)
	v_fmac_f32_e32 v9, v23, v13
	ds_load_2addr_b32 v[12:13], v7 offset0:224 offset1:240
	s_waitcnt lgkmcnt(0)
	s_barrier
	buffer_gl0_inv
	v_fmac_f32_e32 v9, v24, v14
	s_delay_alu instid0(VALU_DEP_1) | instskip(NEXT) | instid1(VALU_DEP_1)
	v_fmac_f32_e32 v9, v25, v15
	v_fmac_f32_e32 v9, v20, v16
	s_delay_alu instid0(VALU_DEP_1) | instskip(NEXT) | instid1(VALU_DEP_1)
	v_fmac_f32_e32 v9, v21, v17
	v_fmac_f32_e32 v9, v12, v18
	s_delay_alu instid0(VALU_DEP_1)
	v_fmac_f32_e32 v9, v13, v19
	s_cbranch_scc1 .LBB40_2
; %bb.3:
	s_mov_b32 s2, exec_lo
	v_cmpx_le_i32_e64 v2, v0
	s_cbranch_execz .LBB40_5
.LBB40_4:
	s_clause 0x2
	s_load_b32 s2, s[0:1], 0x50
	s_load_b64 s[4:5], s[0:1], 0x58
	s_load_b64 s[0:1], s[0:1], 0x48
	v_lshlrev_b64 v[0:1], 2, v[0:1]
	s_waitcnt lgkmcnt(0)
	v_mad_i64_i32 v[3:4], null, s2, v2, 0
	s_mul_i32 s2, s15, s5
	s_mul_hi_u32 s5, s15, s4
	s_mul_i32 s4, s15, s4
	s_add_i32 s5, s5, s2
	s_delay_alu instid0(SALU_CYCLE_1) | instskip(NEXT) | instid1(VALU_DEP_1)
	s_lshl_b64 s[4:5], s[4:5], 2
	v_lshlrev_b64 v[2:3], 2, v[3:4]
	s_add_u32 s0, s0, s4
	s_addc_u32 s1, s1, s5
	v_mul_f32_e32 v4, s3, v9
	s_delay_alu instid0(VALU_DEP_2) | instskip(NEXT) | instid1(VALU_DEP_3)
	v_add_co_u32 v2, vcc_lo, s0, v2
	v_add_co_ci_u32_e32 v3, vcc_lo, s1, v3, vcc_lo
	s_delay_alu instid0(VALU_DEP_2) | instskip(NEXT) | instid1(VALU_DEP_2)
	v_add_co_u32 v0, vcc_lo, v2, v0
	v_add_co_ci_u32_e32 v1, vcc_lo, v3, v1, vcc_lo
	global_store_b32 v[0:1], v4, off
.LBB40_5:
	s_nop 0
	s_sendmsg sendmsg(MSG_DEALLOC_VGPRS)
	s_endpgm
.LBB40_6:
	v_mov_b32_e32 v9, 0
	s_mov_b32 s2, exec_lo
	v_cmpx_le_i32_e64 v2, v0
	s_cbranch_execnz .LBB40_4
	s_branch .LBB40_5
	.section	.rodata,"a",@progbits
	.p2align	6, 0x0
	.amdhsa_kernel _ZL41rocblas_syrkx_herkx_small_restrict_kernelIifLi16ELb1ELb0ELc78ELc76EKffEviT_T0_PT6_S1_lS4_S1_lS2_PT7_S1_li
		.amdhsa_group_segment_fixed_size 2048
		.amdhsa_private_segment_fixed_size 0
		.amdhsa_kernarg_size 100
		.amdhsa_user_sgpr_count 13
		.amdhsa_user_sgpr_dispatch_ptr 0
		.amdhsa_user_sgpr_queue_ptr 0
		.amdhsa_user_sgpr_kernarg_segment_ptr 1
		.amdhsa_user_sgpr_dispatch_id 0
		.amdhsa_user_sgpr_private_segment_size 0
		.amdhsa_wavefront_size32 1
		.amdhsa_uses_dynamic_stack 0
		.amdhsa_enable_private_segment 0
		.amdhsa_system_sgpr_workgroup_id_x 1
		.amdhsa_system_sgpr_workgroup_id_y 1
		.amdhsa_system_sgpr_workgroup_id_z 1
		.amdhsa_system_sgpr_workgroup_info 0
		.amdhsa_system_vgpr_workitem_id 1
		.amdhsa_next_free_vgpr 26
		.amdhsa_next_free_sgpr 20
		.amdhsa_reserve_vcc 1
		.amdhsa_float_round_mode_32 0
		.amdhsa_float_round_mode_16_64 0
		.amdhsa_float_denorm_mode_32 3
		.amdhsa_float_denorm_mode_16_64 3
		.amdhsa_dx10_clamp 1
		.amdhsa_ieee_mode 1
		.amdhsa_fp16_overflow 0
		.amdhsa_workgroup_processor_mode 1
		.amdhsa_memory_ordered 1
		.amdhsa_forward_progress 0
		.amdhsa_shared_vgpr_count 0
		.amdhsa_exception_fp_ieee_invalid_op 0
		.amdhsa_exception_fp_denorm_src 0
		.amdhsa_exception_fp_ieee_div_zero 0
		.amdhsa_exception_fp_ieee_overflow 0
		.amdhsa_exception_fp_ieee_underflow 0
		.amdhsa_exception_fp_ieee_inexact 0
		.amdhsa_exception_int_div_zero 0
	.end_amdhsa_kernel
	.section	.text._ZL41rocblas_syrkx_herkx_small_restrict_kernelIifLi16ELb1ELb0ELc78ELc76EKffEviT_T0_PT6_S1_lS4_S1_lS2_PT7_S1_li,"axG",@progbits,_ZL41rocblas_syrkx_herkx_small_restrict_kernelIifLi16ELb1ELb0ELc78ELc76EKffEviT_T0_PT6_S1_lS4_S1_lS2_PT7_S1_li,comdat
.Lfunc_end40:
	.size	_ZL41rocblas_syrkx_herkx_small_restrict_kernelIifLi16ELb1ELb0ELc78ELc76EKffEviT_T0_PT6_S1_lS4_S1_lS2_PT7_S1_li, .Lfunc_end40-_ZL41rocblas_syrkx_herkx_small_restrict_kernelIifLi16ELb1ELb0ELc78ELc76EKffEviT_T0_PT6_S1_lS4_S1_lS2_PT7_S1_li
                                        ; -- End function
	.section	.AMDGPU.csdata,"",@progbits
; Kernel info:
; codeLenInByte = 844
; NumSgprs: 22
; NumVgprs: 26
; ScratchSize: 0
; MemoryBound: 0
; FloatMode: 240
; IeeeMode: 1
; LDSByteSize: 2048 bytes/workgroup (compile time only)
; SGPRBlocks: 2
; VGPRBlocks: 3
; NumSGPRsForWavesPerEU: 22
; NumVGPRsForWavesPerEU: 26
; Occupancy: 16
; WaveLimiterHint : 0
; COMPUTE_PGM_RSRC2:SCRATCH_EN: 0
; COMPUTE_PGM_RSRC2:USER_SGPR: 13
; COMPUTE_PGM_RSRC2:TRAP_HANDLER: 0
; COMPUTE_PGM_RSRC2:TGID_X_EN: 1
; COMPUTE_PGM_RSRC2:TGID_Y_EN: 1
; COMPUTE_PGM_RSRC2:TGID_Z_EN: 1
; COMPUTE_PGM_RSRC2:TIDIG_COMP_CNT: 1
	.section	.text._ZL41rocblas_syrkx_herkx_small_restrict_kernelIifLi16ELb1ELb0ELc84ELc85EKffEviT_T0_PT6_S1_lS4_S1_lS2_PT7_S1_li,"axG",@progbits,_ZL41rocblas_syrkx_herkx_small_restrict_kernelIifLi16ELb1ELb0ELc84ELc85EKffEviT_T0_PT6_S1_lS4_S1_lS2_PT7_S1_li,comdat
	.globl	_ZL41rocblas_syrkx_herkx_small_restrict_kernelIifLi16ELb1ELb0ELc84ELc85EKffEviT_T0_PT6_S1_lS4_S1_lS2_PT7_S1_li ; -- Begin function _ZL41rocblas_syrkx_herkx_small_restrict_kernelIifLi16ELb1ELb0ELc84ELc85EKffEviT_T0_PT6_S1_lS4_S1_lS2_PT7_S1_li
	.p2align	8
	.type	_ZL41rocblas_syrkx_herkx_small_restrict_kernelIifLi16ELb1ELb0ELc84ELc85EKffEviT_T0_PT6_S1_lS4_S1_lS2_PT7_S1_li,@function
_ZL41rocblas_syrkx_herkx_small_restrict_kernelIifLi16ELb1ELb0ELc84ELc85EKffEviT_T0_PT6_S1_lS4_S1_lS2_PT7_S1_li: ; @_ZL41rocblas_syrkx_herkx_small_restrict_kernelIifLi16ELb1ELb0ELc84ELc85EKffEviT_T0_PT6_S1_lS4_S1_lS2_PT7_S1_li
; %bb.0:
	s_load_b64 s[2:3], s[0:1], 0x4
	v_and_b32_e32 v2, 0x3ff, v0
	v_bfe_u32 v1, v0, 10, 10
	s_mov_b32 s8, 0
	s_delay_alu instid0(VALU_DEP_2) | instskip(NEXT) | instid1(VALU_DEP_2)
	v_lshl_add_u32 v0, s13, 4, v2
	v_lshl_add_u32 v5, s14, 4, v1
	s_waitcnt lgkmcnt(0)
	s_cmp_lt_i32 s2, 1
	s_cbranch_scc1 .LBB41_6
; %bb.1:
	s_clause 0x3
	s_load_b32 s9, s[0:1], 0x30
	s_load_b64 s[10:11], s[0:1], 0x38
	s_load_b32 s14, s[0:1], 0x18
	s_load_b128 s[4:7], s[0:1], 0x20
	v_lshlrev_b32_e32 v3, 6, v1
	v_lshlrev_b32_e32 v6, 2, v2
	;; [unrolled: 1-line block ×3, first 2 shown]
	s_load_b64 s[12:13], s[0:1], 0x10
	s_delay_alu instid0(VALU_DEP_3) | instskip(NEXT) | instid1(VALU_DEP_3)
	v_add_nc_u32_e32 v7, 0x400, v3
	v_add_nc_u32_e32 v9, v6, v3
	s_delay_alu instid0(VALU_DEP_2)
	v_add_nc_u32_e32 v10, v7, v6
	s_waitcnt lgkmcnt(0)
	v_mad_i64_i32 v[1:2], null, s9, v5, 0
	v_mad_i64_i32 v[3:4], null, s14, v0, 0
	s_mul_i32 s9, s11, s15
	s_mul_hi_u32 s11, s10, s15
	s_mul_i32 s10, s10, s15
	s_add_i32 s11, s11, s9
	s_delay_alu instid0(VALU_DEP_2)
	v_lshlrev_b64 v[1:2], 2, v[1:2]
	s_mul_i32 s5, s5, s15
	s_mul_hi_u32 s14, s4, s15
	v_lshlrev_b64 v[3:4], 2, v[3:4]
	s_lshl_b64 s[10:11], s[10:11], 2
	s_mul_i32 s4, s4, s15
	s_add_i32 s5, s14, s5
	v_add_co_u32 v1, vcc_lo, v1, s10
	s_lshl_b64 s[4:5], s[4:5], 2
	v_add_co_ci_u32_e32 v2, vcc_lo, s11, v2, vcc_lo
	v_add_co_u32 v3, vcc_lo, v3, s4
	v_add_co_ci_u32_e32 v4, vcc_lo, s5, v4, vcc_lo
	v_add_co_u32 v1, vcc_lo, v1, v6
	s_delay_alu instid0(VALU_DEP_4) | instskip(NEXT) | instid1(VALU_DEP_4)
	v_add_co_ci_u32_e32 v2, vcc_lo, 0, v2, vcc_lo
	v_add_co_u32 v3, vcc_lo, v3, v8
	v_mov_b32_e32 v8, 0
	v_add_co_ci_u32_e32 v4, vcc_lo, 0, v4, vcc_lo
	v_add_co_u32 v1, vcc_lo, s6, v1
	v_add_co_ci_u32_e32 v2, vcc_lo, s7, v2, vcc_lo
	v_add_co_u32 v3, vcc_lo, s12, v3
	s_delay_alu instid0(VALU_DEP_4)
	v_add_co_ci_u32_e32 v4, vcc_lo, s13, v4, vcc_lo
.LBB41_2:                               ; =>This Inner Loop Header: Depth=1
	global_load_b32 v11, v[3:4], off
	global_load_b32 v12, v[1:2], off
	v_add_co_u32 v1, vcc_lo, v1, 64
	v_add_co_ci_u32_e32 v2, vcc_lo, 0, v2, vcc_lo
	v_add_co_u32 v3, vcc_lo, v3, 64
	v_add_co_ci_u32_e32 v4, vcc_lo, 0, v4, vcc_lo
	s_add_i32 s8, s8, 16
	s_waitcnt vmcnt(1)
	ds_store_b32 v9, v11
	s_waitcnt vmcnt(0)
	ds_store_b32 v10, v12
	s_waitcnt lgkmcnt(0)
	s_barrier
	buffer_gl0_inv
	ds_load_2addr_b32 v[19:20], v6 offset1:16
	ds_load_b128 v[11:14], v7
	ds_load_2addr_b32 v[21:22], v6 offset0:32 offset1:48
	ds_load_b128 v[15:18], v7 offset:16
	ds_load_2addr_b32 v[23:24], v6 offset0:64 offset1:80
	s_cmp_lt_i32 s8, s2
	s_waitcnt lgkmcnt(3)
	v_fmac_f32_e32 v8, v19, v11
	s_delay_alu instid0(VALU_DEP_1) | instskip(SKIP_3) | instid1(VALU_DEP_1)
	v_fmac_f32_e32 v8, v20, v12
	ds_load_2addr_b32 v[19:20], v6 offset0:96 offset1:112
	s_waitcnt lgkmcnt(3)
	v_fmac_f32_e32 v8, v21, v13
	v_fmac_f32_e32 v8, v22, v14
	ds_load_2addr_b32 v[21:22], v6 offset0:128 offset1:144
	ds_load_b128 v[11:14], v7 offset:32
	s_waitcnt lgkmcnt(3)
	v_fmac_f32_e32 v8, v23, v15
	s_delay_alu instid0(VALU_DEP_1) | instskip(SKIP_3) | instid1(VALU_DEP_1)
	v_fmac_f32_e32 v8, v24, v16
	ds_load_2addr_b32 v[23:24], v6 offset0:160 offset1:176
	s_waitcnt lgkmcnt(3)
	v_fmac_f32_e32 v8, v19, v17
	v_fmac_f32_e32 v8, v20, v18
	ds_load_b128 v[15:18], v7 offset:48
	ds_load_2addr_b32 v[19:20], v6 offset0:192 offset1:208
	s_waitcnt lgkmcnt(3)
	v_fmac_f32_e32 v8, v21, v11
	s_delay_alu instid0(VALU_DEP_1)
	v_fmac_f32_e32 v8, v22, v12
	ds_load_2addr_b32 v[11:12], v6 offset0:224 offset1:240
	s_waitcnt lgkmcnt(0)
	s_barrier
	buffer_gl0_inv
	v_fmac_f32_e32 v8, v23, v13
	s_delay_alu instid0(VALU_DEP_1) | instskip(NEXT) | instid1(VALU_DEP_1)
	v_fmac_f32_e32 v8, v24, v14
	v_fmac_f32_e32 v8, v19, v15
	s_delay_alu instid0(VALU_DEP_1) | instskip(NEXT) | instid1(VALU_DEP_1)
	v_fmac_f32_e32 v8, v20, v16
	v_fmac_f32_e32 v8, v11, v17
	s_delay_alu instid0(VALU_DEP_1)
	v_fmac_f32_e32 v8, v12, v18
	s_cbranch_scc1 .LBB41_2
; %bb.3:
	s_mov_b32 s2, exec_lo
	v_cmpx_le_i32_e64 v0, v5
	s_cbranch_execz .LBB41_5
.LBB41_4:
	s_clause 0x2
	s_load_b32 s2, s[0:1], 0x50
	s_load_b64 s[4:5], s[0:1], 0x58
	s_load_b64 s[0:1], s[0:1], 0x48
	v_ashrrev_i32_e32 v1, 31, v0
	v_mul_f32_e32 v4, s3, v8
	s_delay_alu instid0(VALU_DEP_2)
	v_lshlrev_b64 v[0:1], 2, v[0:1]
	s_waitcnt lgkmcnt(0)
	v_mad_i64_i32 v[2:3], null, s2, v5, 0
	s_mul_i32 s2, s15, s5
	s_mul_hi_u32 s5, s15, s4
	s_mul_i32 s4, s15, s4
	s_add_i32 s5, s5, s2
	s_delay_alu instid0(SALU_CYCLE_1) | instskip(NEXT) | instid1(VALU_DEP_1)
	s_lshl_b64 s[4:5], s[4:5], 2
	v_lshlrev_b64 v[2:3], 2, v[2:3]
	s_add_u32 s0, s0, s4
	s_addc_u32 s1, s1, s5
	s_delay_alu instid0(VALU_DEP_1) | instskip(NEXT) | instid1(VALU_DEP_2)
	v_add_co_u32 v2, vcc_lo, s0, v2
	v_add_co_ci_u32_e32 v3, vcc_lo, s1, v3, vcc_lo
	s_delay_alu instid0(VALU_DEP_2) | instskip(NEXT) | instid1(VALU_DEP_2)
	v_add_co_u32 v0, vcc_lo, v2, v0
	v_add_co_ci_u32_e32 v1, vcc_lo, v3, v1, vcc_lo
	global_store_b32 v[0:1], v4, off
.LBB41_5:
	s_nop 0
	s_sendmsg sendmsg(MSG_DEALLOC_VGPRS)
	s_endpgm
.LBB41_6:
	v_mov_b32_e32 v8, 0
	s_mov_b32 s2, exec_lo
	v_cmpx_le_i32_e64 v0, v5
	s_cbranch_execnz .LBB41_4
	s_branch .LBB41_5
	.section	.rodata,"a",@progbits
	.p2align	6, 0x0
	.amdhsa_kernel _ZL41rocblas_syrkx_herkx_small_restrict_kernelIifLi16ELb1ELb0ELc84ELc85EKffEviT_T0_PT6_S1_lS4_S1_lS2_PT7_S1_li
		.amdhsa_group_segment_fixed_size 2048
		.amdhsa_private_segment_fixed_size 0
		.amdhsa_kernarg_size 100
		.amdhsa_user_sgpr_count 13
		.amdhsa_user_sgpr_dispatch_ptr 0
		.amdhsa_user_sgpr_queue_ptr 0
		.amdhsa_user_sgpr_kernarg_segment_ptr 1
		.amdhsa_user_sgpr_dispatch_id 0
		.amdhsa_user_sgpr_private_segment_size 0
		.amdhsa_wavefront_size32 1
		.amdhsa_uses_dynamic_stack 0
		.amdhsa_enable_private_segment 0
		.amdhsa_system_sgpr_workgroup_id_x 1
		.amdhsa_system_sgpr_workgroup_id_y 1
		.amdhsa_system_sgpr_workgroup_id_z 1
		.amdhsa_system_sgpr_workgroup_info 0
		.amdhsa_system_vgpr_workitem_id 1
		.amdhsa_next_free_vgpr 25
		.amdhsa_next_free_sgpr 16
		.amdhsa_reserve_vcc 1
		.amdhsa_float_round_mode_32 0
		.amdhsa_float_round_mode_16_64 0
		.amdhsa_float_denorm_mode_32 3
		.amdhsa_float_denorm_mode_16_64 3
		.amdhsa_dx10_clamp 1
		.amdhsa_ieee_mode 1
		.amdhsa_fp16_overflow 0
		.amdhsa_workgroup_processor_mode 1
		.amdhsa_memory_ordered 1
		.amdhsa_forward_progress 0
		.amdhsa_shared_vgpr_count 0
		.amdhsa_exception_fp_ieee_invalid_op 0
		.amdhsa_exception_fp_denorm_src 0
		.amdhsa_exception_fp_ieee_div_zero 0
		.amdhsa_exception_fp_ieee_overflow 0
		.amdhsa_exception_fp_ieee_underflow 0
		.amdhsa_exception_fp_ieee_inexact 0
		.amdhsa_exception_int_div_zero 0
	.end_amdhsa_kernel
	.section	.text._ZL41rocblas_syrkx_herkx_small_restrict_kernelIifLi16ELb1ELb0ELc84ELc85EKffEviT_T0_PT6_S1_lS4_S1_lS2_PT7_S1_li,"axG",@progbits,_ZL41rocblas_syrkx_herkx_small_restrict_kernelIifLi16ELb1ELb0ELc84ELc85EKffEviT_T0_PT6_S1_lS4_S1_lS2_PT7_S1_li,comdat
.Lfunc_end41:
	.size	_ZL41rocblas_syrkx_herkx_small_restrict_kernelIifLi16ELb1ELb0ELc84ELc85EKffEviT_T0_PT6_S1_lS4_S1_lS2_PT7_S1_li, .Lfunc_end41-_ZL41rocblas_syrkx_herkx_small_restrict_kernelIifLi16ELb1ELb0ELc84ELc85EKffEviT_T0_PT6_S1_lS4_S1_lS2_PT7_S1_li
                                        ; -- End function
	.section	.AMDGPU.csdata,"",@progbits
; Kernel info:
; codeLenInByte = 808
; NumSgprs: 18
; NumVgprs: 25
; ScratchSize: 0
; MemoryBound: 0
; FloatMode: 240
; IeeeMode: 1
; LDSByteSize: 2048 bytes/workgroup (compile time only)
; SGPRBlocks: 2
; VGPRBlocks: 3
; NumSGPRsForWavesPerEU: 18
; NumVGPRsForWavesPerEU: 25
; Occupancy: 16
; WaveLimiterHint : 0
; COMPUTE_PGM_RSRC2:SCRATCH_EN: 0
; COMPUTE_PGM_RSRC2:USER_SGPR: 13
; COMPUTE_PGM_RSRC2:TRAP_HANDLER: 0
; COMPUTE_PGM_RSRC2:TGID_X_EN: 1
; COMPUTE_PGM_RSRC2:TGID_Y_EN: 1
; COMPUTE_PGM_RSRC2:TGID_Z_EN: 1
; COMPUTE_PGM_RSRC2:TIDIG_COMP_CNT: 1
	.section	.text._ZL41rocblas_syrkx_herkx_small_restrict_kernelIifLi16ELb1ELb0ELc67ELc85EKffEviT_T0_PT6_S1_lS4_S1_lS2_PT7_S1_li,"axG",@progbits,_ZL41rocblas_syrkx_herkx_small_restrict_kernelIifLi16ELb1ELb0ELc67ELc85EKffEviT_T0_PT6_S1_lS4_S1_lS2_PT7_S1_li,comdat
	.globl	_ZL41rocblas_syrkx_herkx_small_restrict_kernelIifLi16ELb1ELb0ELc67ELc85EKffEviT_T0_PT6_S1_lS4_S1_lS2_PT7_S1_li ; -- Begin function _ZL41rocblas_syrkx_herkx_small_restrict_kernelIifLi16ELb1ELb0ELc67ELc85EKffEviT_T0_PT6_S1_lS4_S1_lS2_PT7_S1_li
	.p2align	8
	.type	_ZL41rocblas_syrkx_herkx_small_restrict_kernelIifLi16ELb1ELb0ELc67ELc85EKffEviT_T0_PT6_S1_lS4_S1_lS2_PT7_S1_li,@function
_ZL41rocblas_syrkx_herkx_small_restrict_kernelIifLi16ELb1ELb0ELc67ELc85EKffEviT_T0_PT6_S1_lS4_S1_lS2_PT7_S1_li: ; @_ZL41rocblas_syrkx_herkx_small_restrict_kernelIifLi16ELb1ELb0ELc67ELc85EKffEviT_T0_PT6_S1_lS4_S1_lS2_PT7_S1_li
; %bb.0:
	s_load_b64 s[2:3], s[0:1], 0x4
	v_and_b32_e32 v2, 0x3ff, v0
	v_bfe_u32 v1, v0, 10, 10
	s_mov_b32 s8, 0
	s_delay_alu instid0(VALU_DEP_2) | instskip(NEXT) | instid1(VALU_DEP_2)
	v_lshl_add_u32 v0, s13, 4, v2
	v_lshl_add_u32 v5, s14, 4, v1
	s_waitcnt lgkmcnt(0)
	s_cmp_lt_i32 s2, 1
	s_cbranch_scc1 .LBB42_6
; %bb.1:
	s_clause 0x3
	s_load_b32 s9, s[0:1], 0x30
	s_load_b64 s[10:11], s[0:1], 0x38
	s_load_b32 s14, s[0:1], 0x18
	s_load_b128 s[4:7], s[0:1], 0x20
	v_lshlrev_b32_e32 v3, 6, v1
	v_lshlrev_b32_e32 v6, 2, v2
	;; [unrolled: 1-line block ×3, first 2 shown]
	s_load_b64 s[12:13], s[0:1], 0x10
	s_delay_alu instid0(VALU_DEP_3) | instskip(NEXT) | instid1(VALU_DEP_3)
	v_add_nc_u32_e32 v7, 0x400, v3
	v_add_nc_u32_e32 v9, v6, v3
	s_delay_alu instid0(VALU_DEP_2)
	v_add_nc_u32_e32 v10, v7, v6
	s_waitcnt lgkmcnt(0)
	v_mad_i64_i32 v[1:2], null, s9, v5, 0
	v_mad_i64_i32 v[3:4], null, s14, v0, 0
	s_mul_i32 s9, s11, s15
	s_mul_hi_u32 s11, s10, s15
	s_mul_i32 s10, s10, s15
	s_add_i32 s11, s11, s9
	s_delay_alu instid0(VALU_DEP_2)
	v_lshlrev_b64 v[1:2], 2, v[1:2]
	s_mul_i32 s5, s5, s15
	s_mul_hi_u32 s14, s4, s15
	v_lshlrev_b64 v[3:4], 2, v[3:4]
	s_lshl_b64 s[10:11], s[10:11], 2
	s_mul_i32 s4, s4, s15
	s_add_i32 s5, s14, s5
	v_add_co_u32 v1, vcc_lo, v1, s10
	s_lshl_b64 s[4:5], s[4:5], 2
	v_add_co_ci_u32_e32 v2, vcc_lo, s11, v2, vcc_lo
	v_add_co_u32 v3, vcc_lo, v3, s4
	v_add_co_ci_u32_e32 v4, vcc_lo, s5, v4, vcc_lo
	v_add_co_u32 v1, vcc_lo, v1, v6
	s_delay_alu instid0(VALU_DEP_4) | instskip(NEXT) | instid1(VALU_DEP_4)
	v_add_co_ci_u32_e32 v2, vcc_lo, 0, v2, vcc_lo
	v_add_co_u32 v3, vcc_lo, v3, v8
	v_mov_b32_e32 v8, 0
	v_add_co_ci_u32_e32 v4, vcc_lo, 0, v4, vcc_lo
	v_add_co_u32 v1, vcc_lo, s6, v1
	v_add_co_ci_u32_e32 v2, vcc_lo, s7, v2, vcc_lo
	v_add_co_u32 v3, vcc_lo, s12, v3
	s_delay_alu instid0(VALU_DEP_4)
	v_add_co_ci_u32_e32 v4, vcc_lo, s13, v4, vcc_lo
.LBB42_2:                               ; =>This Inner Loop Header: Depth=1
	global_load_b32 v11, v[3:4], off
	global_load_b32 v12, v[1:2], off
	v_add_co_u32 v1, vcc_lo, v1, 64
	v_add_co_ci_u32_e32 v2, vcc_lo, 0, v2, vcc_lo
	v_add_co_u32 v3, vcc_lo, v3, 64
	v_add_co_ci_u32_e32 v4, vcc_lo, 0, v4, vcc_lo
	s_add_i32 s8, s8, 16
	s_waitcnt vmcnt(1)
	ds_store_b32 v9, v11
	s_waitcnt vmcnt(0)
	ds_store_b32 v10, v12
	s_waitcnt lgkmcnt(0)
	s_barrier
	buffer_gl0_inv
	ds_load_2addr_b32 v[19:20], v6 offset1:16
	ds_load_b128 v[11:14], v7
	ds_load_2addr_b32 v[21:22], v6 offset0:32 offset1:48
	ds_load_b128 v[15:18], v7 offset:16
	ds_load_2addr_b32 v[23:24], v6 offset0:64 offset1:80
	s_cmp_lt_i32 s8, s2
	s_waitcnt lgkmcnt(3)
	v_fmac_f32_e32 v8, v19, v11
	s_delay_alu instid0(VALU_DEP_1) | instskip(SKIP_3) | instid1(VALU_DEP_1)
	v_fmac_f32_e32 v8, v20, v12
	ds_load_2addr_b32 v[19:20], v6 offset0:96 offset1:112
	s_waitcnt lgkmcnt(3)
	v_fmac_f32_e32 v8, v21, v13
	v_fmac_f32_e32 v8, v22, v14
	ds_load_2addr_b32 v[21:22], v6 offset0:128 offset1:144
	ds_load_b128 v[11:14], v7 offset:32
	s_waitcnt lgkmcnt(3)
	v_fmac_f32_e32 v8, v23, v15
	s_delay_alu instid0(VALU_DEP_1) | instskip(SKIP_3) | instid1(VALU_DEP_1)
	v_fmac_f32_e32 v8, v24, v16
	ds_load_2addr_b32 v[23:24], v6 offset0:160 offset1:176
	s_waitcnt lgkmcnt(3)
	v_fmac_f32_e32 v8, v19, v17
	v_fmac_f32_e32 v8, v20, v18
	ds_load_b128 v[15:18], v7 offset:48
	ds_load_2addr_b32 v[19:20], v6 offset0:192 offset1:208
	s_waitcnt lgkmcnt(3)
	v_fmac_f32_e32 v8, v21, v11
	s_delay_alu instid0(VALU_DEP_1)
	v_fmac_f32_e32 v8, v22, v12
	ds_load_2addr_b32 v[11:12], v6 offset0:224 offset1:240
	s_waitcnt lgkmcnt(0)
	s_barrier
	buffer_gl0_inv
	v_fmac_f32_e32 v8, v23, v13
	s_delay_alu instid0(VALU_DEP_1) | instskip(NEXT) | instid1(VALU_DEP_1)
	v_fmac_f32_e32 v8, v24, v14
	v_fmac_f32_e32 v8, v19, v15
	s_delay_alu instid0(VALU_DEP_1) | instskip(NEXT) | instid1(VALU_DEP_1)
	v_fmac_f32_e32 v8, v20, v16
	v_fmac_f32_e32 v8, v11, v17
	s_delay_alu instid0(VALU_DEP_1)
	v_fmac_f32_e32 v8, v12, v18
	s_cbranch_scc1 .LBB42_2
; %bb.3:
	s_mov_b32 s2, exec_lo
	v_cmpx_le_i32_e64 v0, v5
	s_cbranch_execz .LBB42_5
.LBB42_4:
	s_clause 0x2
	s_load_b32 s2, s[0:1], 0x50
	s_load_b64 s[4:5], s[0:1], 0x58
	s_load_b64 s[0:1], s[0:1], 0x48
	v_ashrrev_i32_e32 v1, 31, v0
	v_mul_f32_e32 v4, s3, v8
	s_delay_alu instid0(VALU_DEP_2)
	v_lshlrev_b64 v[0:1], 2, v[0:1]
	s_waitcnt lgkmcnt(0)
	v_mad_i64_i32 v[2:3], null, s2, v5, 0
	s_mul_i32 s2, s15, s5
	s_mul_hi_u32 s5, s15, s4
	s_mul_i32 s4, s15, s4
	s_add_i32 s5, s5, s2
	s_delay_alu instid0(SALU_CYCLE_1) | instskip(NEXT) | instid1(VALU_DEP_1)
	s_lshl_b64 s[4:5], s[4:5], 2
	v_lshlrev_b64 v[2:3], 2, v[2:3]
	s_add_u32 s0, s0, s4
	s_addc_u32 s1, s1, s5
	s_delay_alu instid0(VALU_DEP_1) | instskip(NEXT) | instid1(VALU_DEP_2)
	v_add_co_u32 v2, vcc_lo, s0, v2
	v_add_co_ci_u32_e32 v3, vcc_lo, s1, v3, vcc_lo
	s_delay_alu instid0(VALU_DEP_2) | instskip(NEXT) | instid1(VALU_DEP_2)
	v_add_co_u32 v0, vcc_lo, v2, v0
	v_add_co_ci_u32_e32 v1, vcc_lo, v3, v1, vcc_lo
	global_store_b32 v[0:1], v4, off
.LBB42_5:
	s_nop 0
	s_sendmsg sendmsg(MSG_DEALLOC_VGPRS)
	s_endpgm
.LBB42_6:
	v_mov_b32_e32 v8, 0
	s_mov_b32 s2, exec_lo
	v_cmpx_le_i32_e64 v0, v5
	s_cbranch_execnz .LBB42_4
	s_branch .LBB42_5
	.section	.rodata,"a",@progbits
	.p2align	6, 0x0
	.amdhsa_kernel _ZL41rocblas_syrkx_herkx_small_restrict_kernelIifLi16ELb1ELb0ELc67ELc85EKffEviT_T0_PT6_S1_lS4_S1_lS2_PT7_S1_li
		.amdhsa_group_segment_fixed_size 2048
		.amdhsa_private_segment_fixed_size 0
		.amdhsa_kernarg_size 100
		.amdhsa_user_sgpr_count 13
		.amdhsa_user_sgpr_dispatch_ptr 0
		.amdhsa_user_sgpr_queue_ptr 0
		.amdhsa_user_sgpr_kernarg_segment_ptr 1
		.amdhsa_user_sgpr_dispatch_id 0
		.amdhsa_user_sgpr_private_segment_size 0
		.amdhsa_wavefront_size32 1
		.amdhsa_uses_dynamic_stack 0
		.amdhsa_enable_private_segment 0
		.amdhsa_system_sgpr_workgroup_id_x 1
		.amdhsa_system_sgpr_workgroup_id_y 1
		.amdhsa_system_sgpr_workgroup_id_z 1
		.amdhsa_system_sgpr_workgroup_info 0
		.amdhsa_system_vgpr_workitem_id 1
		.amdhsa_next_free_vgpr 25
		.amdhsa_next_free_sgpr 16
		.amdhsa_reserve_vcc 1
		.amdhsa_float_round_mode_32 0
		.amdhsa_float_round_mode_16_64 0
		.amdhsa_float_denorm_mode_32 3
		.amdhsa_float_denorm_mode_16_64 3
		.amdhsa_dx10_clamp 1
		.amdhsa_ieee_mode 1
		.amdhsa_fp16_overflow 0
		.amdhsa_workgroup_processor_mode 1
		.amdhsa_memory_ordered 1
		.amdhsa_forward_progress 0
		.amdhsa_shared_vgpr_count 0
		.amdhsa_exception_fp_ieee_invalid_op 0
		.amdhsa_exception_fp_denorm_src 0
		.amdhsa_exception_fp_ieee_div_zero 0
		.amdhsa_exception_fp_ieee_overflow 0
		.amdhsa_exception_fp_ieee_underflow 0
		.amdhsa_exception_fp_ieee_inexact 0
		.amdhsa_exception_int_div_zero 0
	.end_amdhsa_kernel
	.section	.text._ZL41rocblas_syrkx_herkx_small_restrict_kernelIifLi16ELb1ELb0ELc67ELc85EKffEviT_T0_PT6_S1_lS4_S1_lS2_PT7_S1_li,"axG",@progbits,_ZL41rocblas_syrkx_herkx_small_restrict_kernelIifLi16ELb1ELb0ELc67ELc85EKffEviT_T0_PT6_S1_lS4_S1_lS2_PT7_S1_li,comdat
.Lfunc_end42:
	.size	_ZL41rocblas_syrkx_herkx_small_restrict_kernelIifLi16ELb1ELb0ELc67ELc85EKffEviT_T0_PT6_S1_lS4_S1_lS2_PT7_S1_li, .Lfunc_end42-_ZL41rocblas_syrkx_herkx_small_restrict_kernelIifLi16ELb1ELb0ELc67ELc85EKffEviT_T0_PT6_S1_lS4_S1_lS2_PT7_S1_li
                                        ; -- End function
	.section	.AMDGPU.csdata,"",@progbits
; Kernel info:
; codeLenInByte = 808
; NumSgprs: 18
; NumVgprs: 25
; ScratchSize: 0
; MemoryBound: 0
; FloatMode: 240
; IeeeMode: 1
; LDSByteSize: 2048 bytes/workgroup (compile time only)
; SGPRBlocks: 2
; VGPRBlocks: 3
; NumSGPRsForWavesPerEU: 18
; NumVGPRsForWavesPerEU: 25
; Occupancy: 16
; WaveLimiterHint : 0
; COMPUTE_PGM_RSRC2:SCRATCH_EN: 0
; COMPUTE_PGM_RSRC2:USER_SGPR: 13
; COMPUTE_PGM_RSRC2:TRAP_HANDLER: 0
; COMPUTE_PGM_RSRC2:TGID_X_EN: 1
; COMPUTE_PGM_RSRC2:TGID_Y_EN: 1
; COMPUTE_PGM_RSRC2:TGID_Z_EN: 1
; COMPUTE_PGM_RSRC2:TIDIG_COMP_CNT: 1
	.section	.text._ZL41rocblas_syrkx_herkx_small_restrict_kernelIifLi16ELb1ELb0ELc78ELc85EKffEviT_T0_PT6_S1_lS4_S1_lS2_PT7_S1_li,"axG",@progbits,_ZL41rocblas_syrkx_herkx_small_restrict_kernelIifLi16ELb1ELb0ELc78ELc85EKffEviT_T0_PT6_S1_lS4_S1_lS2_PT7_S1_li,comdat
	.globl	_ZL41rocblas_syrkx_herkx_small_restrict_kernelIifLi16ELb1ELb0ELc78ELc85EKffEviT_T0_PT6_S1_lS4_S1_lS2_PT7_S1_li ; -- Begin function _ZL41rocblas_syrkx_herkx_small_restrict_kernelIifLi16ELb1ELb0ELc78ELc85EKffEviT_T0_PT6_S1_lS4_S1_lS2_PT7_S1_li
	.p2align	8
	.type	_ZL41rocblas_syrkx_herkx_small_restrict_kernelIifLi16ELb1ELb0ELc78ELc85EKffEviT_T0_PT6_S1_lS4_S1_lS2_PT7_S1_li,@function
_ZL41rocblas_syrkx_herkx_small_restrict_kernelIifLi16ELb1ELb0ELc78ELc85EKffEviT_T0_PT6_S1_lS4_S1_lS2_PT7_S1_li: ; @_ZL41rocblas_syrkx_herkx_small_restrict_kernelIifLi16ELb1ELb0ELc78ELc85EKffEviT_T0_PT6_S1_lS4_S1_lS2_PT7_S1_li
; %bb.0:
	s_load_b64 s[2:3], s[0:1], 0x4
	v_and_b32_e32 v5, 0x3ff, v0
	v_bfe_u32 v4, v0, 10, 10
	s_mov_b32 s8, 0
	s_delay_alu instid0(VALU_DEP_2) | instskip(NEXT) | instid1(VALU_DEP_2)
	v_lshl_add_u32 v0, s13, 4, v5
	v_lshl_add_u32 v2, s14, 4, v4
	s_delay_alu instid0(VALU_DEP_2)
	v_ashrrev_i32_e32 v1, 31, v0
	s_waitcnt lgkmcnt(0)
	s_cmp_lt_i32 s2, 1
	s_cbranch_scc1 .LBB43_6
; %bb.1:
	s_clause 0x3
	s_load_b32 s10, s[0:1], 0x30
	s_load_b64 s[12:13], s[0:1], 0x38
	s_load_b128 s[4:7], s[0:1], 0x20
	s_load_b32 s16, s[0:1], 0x18
	v_dual_mov_b32 v9, 0 :: v_dual_lshlrev_b32 v6, 6, v4
	v_lshlrev_b32_e32 v7, 2, v5
	v_ashrrev_i32_e32 v3, 31, v2
	s_load_b64 s[18:19], s[0:1], 0x10
	s_delay_alu instid0(VALU_DEP_3) | instskip(SKIP_3) | instid1(VALU_DEP_4)
	v_add_nc_u32_e32 v8, 0x400, v6
	v_lshlrev_b64 v[12:13], 2, v[0:1]
	v_add_nc_u32_e32 v10, v7, v6
	v_lshlrev_b64 v[14:15], 2, v[2:3]
	v_add_nc_u32_e32 v11, v8, v7
	s_waitcnt lgkmcnt(0)
	v_mad_i64_i32 v[16:17], null, s10, v5, 0
	s_mul_i32 s9, s13, s15
	v_mad_i64_i32 v[5:6], null, s16, v4, 0
	s_mul_hi_u32 s13, s12, s15
	s_mul_i32 s12, s12, s15
	s_add_i32 s13, s13, s9
	s_delay_alu instid0(VALU_DEP_2) | instskip(SKIP_2) | instid1(VALU_DEP_2)
	v_lshlrev_b64 v[3:4], 2, v[16:17]
	s_mul_i32 s5, s5, s15
	s_mul_hi_u32 s14, s4, s15
	v_lshlrev_b64 v[5:6], 2, v[5:6]
	s_lshl_b64 s[12:13], s[12:13], 2
	s_mul_i32 s4, s4, s15
	s_add_i32 s5, s14, s5
	v_add_co_u32 v3, vcc_lo, s12, v3
	s_lshl_b64 s[4:5], s[4:5], 2
	v_add_co_ci_u32_e32 v4, vcc_lo, s13, v4, vcc_lo
	v_add_co_u32 v5, vcc_lo, s4, v5
	v_add_co_ci_u32_e32 v6, vcc_lo, s5, v6, vcc_lo
	v_add_co_u32 v3, vcc_lo, v3, v14
	s_delay_alu instid0(VALU_DEP_4) | instskip(NEXT) | instid1(VALU_DEP_4)
	v_add_co_ci_u32_e32 v4, vcc_lo, v4, v15, vcc_lo
	v_add_co_u32 v5, vcc_lo, v5, v12
	s_delay_alu instid0(VALU_DEP_4) | instskip(NEXT) | instid1(VALU_DEP_4)
	;; [unrolled: 3-line block ×3, first 2 shown]
	v_add_co_ci_u32_e32 v4, vcc_lo, s7, v4, vcc_lo
	v_add_co_u32 v5, vcc_lo, s18, v5
	s_delay_alu instid0(VALU_DEP_4)
	v_add_co_ci_u32_e32 v6, vcc_lo, s19, v6, vcc_lo
	s_ashr_i32 s11, s10, 31
	s_ashr_i32 s17, s16, 31
	s_lshl_b64 s[4:5], s[10:11], 6
	s_lshl_b64 s[6:7], s[16:17], 6
.LBB43_2:                               ; =>This Inner Loop Header: Depth=1
	global_load_b32 v12, v[5:6], off
	global_load_b32 v13, v[3:4], off
	v_add_co_u32 v3, vcc_lo, v3, s4
	v_add_co_ci_u32_e32 v4, vcc_lo, s5, v4, vcc_lo
	v_add_co_u32 v5, vcc_lo, v5, s6
	v_add_co_ci_u32_e32 v6, vcc_lo, s7, v6, vcc_lo
	s_add_i32 s8, s8, 16
	s_waitcnt vmcnt(1)
	ds_store_b32 v10, v12
	s_waitcnt vmcnt(0)
	ds_store_b32 v11, v13
	s_waitcnt lgkmcnt(0)
	s_barrier
	buffer_gl0_inv
	ds_load_2addr_b32 v[20:21], v7 offset1:16
	ds_load_b128 v[12:15], v8
	ds_load_2addr_b32 v[22:23], v7 offset0:32 offset1:48
	ds_load_b128 v[16:19], v8 offset:16
	ds_load_2addr_b32 v[24:25], v7 offset0:64 offset1:80
	s_cmp_lt_i32 s8, s2
	s_waitcnt lgkmcnt(3)
	v_fmac_f32_e32 v9, v20, v12
	s_delay_alu instid0(VALU_DEP_1) | instskip(SKIP_3) | instid1(VALU_DEP_1)
	v_fmac_f32_e32 v9, v21, v13
	ds_load_2addr_b32 v[20:21], v7 offset0:96 offset1:112
	s_waitcnt lgkmcnt(3)
	v_fmac_f32_e32 v9, v22, v14
	v_fmac_f32_e32 v9, v23, v15
	ds_load_2addr_b32 v[22:23], v7 offset0:128 offset1:144
	ds_load_b128 v[12:15], v8 offset:32
	s_waitcnt lgkmcnt(3)
	v_fmac_f32_e32 v9, v24, v16
	s_delay_alu instid0(VALU_DEP_1) | instskip(SKIP_3) | instid1(VALU_DEP_1)
	v_fmac_f32_e32 v9, v25, v17
	ds_load_2addr_b32 v[24:25], v7 offset0:160 offset1:176
	s_waitcnt lgkmcnt(3)
	v_fmac_f32_e32 v9, v20, v18
	v_fmac_f32_e32 v9, v21, v19
	ds_load_b128 v[16:19], v8 offset:48
	ds_load_2addr_b32 v[20:21], v7 offset0:192 offset1:208
	s_waitcnt lgkmcnt(3)
	v_fmac_f32_e32 v9, v22, v12
	s_delay_alu instid0(VALU_DEP_1)
	v_fmac_f32_e32 v9, v23, v13
	ds_load_2addr_b32 v[12:13], v7 offset0:224 offset1:240
	s_waitcnt lgkmcnt(0)
	s_barrier
	buffer_gl0_inv
	v_fmac_f32_e32 v9, v24, v14
	s_delay_alu instid0(VALU_DEP_1) | instskip(NEXT) | instid1(VALU_DEP_1)
	v_fmac_f32_e32 v9, v25, v15
	v_fmac_f32_e32 v9, v20, v16
	s_delay_alu instid0(VALU_DEP_1) | instskip(NEXT) | instid1(VALU_DEP_1)
	v_fmac_f32_e32 v9, v21, v17
	v_fmac_f32_e32 v9, v12, v18
	s_delay_alu instid0(VALU_DEP_1)
	v_fmac_f32_e32 v9, v13, v19
	s_cbranch_scc1 .LBB43_2
; %bb.3:
	s_mov_b32 s2, exec_lo
	v_cmpx_le_i32_e64 v0, v2
	s_cbranch_execz .LBB43_5
.LBB43_4:
	s_clause 0x2
	s_load_b32 s2, s[0:1], 0x50
	s_load_b64 s[4:5], s[0:1], 0x58
	s_load_b64 s[0:1], s[0:1], 0x48
	v_lshlrev_b64 v[0:1], 2, v[0:1]
	s_waitcnt lgkmcnt(0)
	v_mad_i64_i32 v[3:4], null, s2, v2, 0
	s_mul_i32 s2, s15, s5
	s_mul_hi_u32 s5, s15, s4
	s_mul_i32 s4, s15, s4
	s_add_i32 s5, s5, s2
	s_delay_alu instid0(SALU_CYCLE_1) | instskip(NEXT) | instid1(VALU_DEP_1)
	s_lshl_b64 s[4:5], s[4:5], 2
	v_lshlrev_b64 v[2:3], 2, v[3:4]
	s_add_u32 s0, s0, s4
	s_addc_u32 s1, s1, s5
	v_mul_f32_e32 v4, s3, v9
	s_delay_alu instid0(VALU_DEP_2) | instskip(NEXT) | instid1(VALU_DEP_3)
	v_add_co_u32 v2, vcc_lo, s0, v2
	v_add_co_ci_u32_e32 v3, vcc_lo, s1, v3, vcc_lo
	s_delay_alu instid0(VALU_DEP_2) | instskip(NEXT) | instid1(VALU_DEP_2)
	v_add_co_u32 v0, vcc_lo, v2, v0
	v_add_co_ci_u32_e32 v1, vcc_lo, v3, v1, vcc_lo
	global_store_b32 v[0:1], v4, off
.LBB43_5:
	s_nop 0
	s_sendmsg sendmsg(MSG_DEALLOC_VGPRS)
	s_endpgm
.LBB43_6:
	v_mov_b32_e32 v9, 0
	s_mov_b32 s2, exec_lo
	v_cmpx_le_i32_e64 v0, v2
	s_cbranch_execnz .LBB43_4
	s_branch .LBB43_5
	.section	.rodata,"a",@progbits
	.p2align	6, 0x0
	.amdhsa_kernel _ZL41rocblas_syrkx_herkx_small_restrict_kernelIifLi16ELb1ELb0ELc78ELc85EKffEviT_T0_PT6_S1_lS4_S1_lS2_PT7_S1_li
		.amdhsa_group_segment_fixed_size 2048
		.amdhsa_private_segment_fixed_size 0
		.amdhsa_kernarg_size 100
		.amdhsa_user_sgpr_count 13
		.amdhsa_user_sgpr_dispatch_ptr 0
		.amdhsa_user_sgpr_queue_ptr 0
		.amdhsa_user_sgpr_kernarg_segment_ptr 1
		.amdhsa_user_sgpr_dispatch_id 0
		.amdhsa_user_sgpr_private_segment_size 0
		.amdhsa_wavefront_size32 1
		.amdhsa_uses_dynamic_stack 0
		.amdhsa_enable_private_segment 0
		.amdhsa_system_sgpr_workgroup_id_x 1
		.amdhsa_system_sgpr_workgroup_id_y 1
		.amdhsa_system_sgpr_workgroup_id_z 1
		.amdhsa_system_sgpr_workgroup_info 0
		.amdhsa_system_vgpr_workitem_id 1
		.amdhsa_next_free_vgpr 26
		.amdhsa_next_free_sgpr 20
		.amdhsa_reserve_vcc 1
		.amdhsa_float_round_mode_32 0
		.amdhsa_float_round_mode_16_64 0
		.amdhsa_float_denorm_mode_32 3
		.amdhsa_float_denorm_mode_16_64 3
		.amdhsa_dx10_clamp 1
		.amdhsa_ieee_mode 1
		.amdhsa_fp16_overflow 0
		.amdhsa_workgroup_processor_mode 1
		.amdhsa_memory_ordered 1
		.amdhsa_forward_progress 0
		.amdhsa_shared_vgpr_count 0
		.amdhsa_exception_fp_ieee_invalid_op 0
		.amdhsa_exception_fp_denorm_src 0
		.amdhsa_exception_fp_ieee_div_zero 0
		.amdhsa_exception_fp_ieee_overflow 0
		.amdhsa_exception_fp_ieee_underflow 0
		.amdhsa_exception_fp_ieee_inexact 0
		.amdhsa_exception_int_div_zero 0
	.end_amdhsa_kernel
	.section	.text._ZL41rocblas_syrkx_herkx_small_restrict_kernelIifLi16ELb1ELb0ELc78ELc85EKffEviT_T0_PT6_S1_lS4_S1_lS2_PT7_S1_li,"axG",@progbits,_ZL41rocblas_syrkx_herkx_small_restrict_kernelIifLi16ELb1ELb0ELc78ELc85EKffEviT_T0_PT6_S1_lS4_S1_lS2_PT7_S1_li,comdat
.Lfunc_end43:
	.size	_ZL41rocblas_syrkx_herkx_small_restrict_kernelIifLi16ELb1ELb0ELc78ELc85EKffEviT_T0_PT6_S1_lS4_S1_lS2_PT7_S1_li, .Lfunc_end43-_ZL41rocblas_syrkx_herkx_small_restrict_kernelIifLi16ELb1ELb0ELc78ELc85EKffEviT_T0_PT6_S1_lS4_S1_lS2_PT7_S1_li
                                        ; -- End function
	.section	.AMDGPU.csdata,"",@progbits
; Kernel info:
; codeLenInByte = 844
; NumSgprs: 22
; NumVgprs: 26
; ScratchSize: 0
; MemoryBound: 0
; FloatMode: 240
; IeeeMode: 1
; LDSByteSize: 2048 bytes/workgroup (compile time only)
; SGPRBlocks: 2
; VGPRBlocks: 3
; NumSGPRsForWavesPerEU: 22
; NumVGPRsForWavesPerEU: 26
; Occupancy: 16
; WaveLimiterHint : 0
; COMPUTE_PGM_RSRC2:SCRATCH_EN: 0
; COMPUTE_PGM_RSRC2:USER_SGPR: 13
; COMPUTE_PGM_RSRC2:TRAP_HANDLER: 0
; COMPUTE_PGM_RSRC2:TGID_X_EN: 1
; COMPUTE_PGM_RSRC2:TGID_Y_EN: 1
; COMPUTE_PGM_RSRC2:TGID_Z_EN: 1
; COMPUTE_PGM_RSRC2:TIDIG_COMP_CNT: 1
	.section	.text._ZL41rocblas_syrkx_herkx_small_restrict_kernelIifLi16ELb0ELb0ELc84ELc76EKffEviT_T0_PT6_S1_lS4_S1_lS2_PT7_S1_li,"axG",@progbits,_ZL41rocblas_syrkx_herkx_small_restrict_kernelIifLi16ELb0ELb0ELc84ELc76EKffEviT_T0_PT6_S1_lS4_S1_lS2_PT7_S1_li,comdat
	.globl	_ZL41rocblas_syrkx_herkx_small_restrict_kernelIifLi16ELb0ELb0ELc84ELc76EKffEviT_T0_PT6_S1_lS4_S1_lS2_PT7_S1_li ; -- Begin function _ZL41rocblas_syrkx_herkx_small_restrict_kernelIifLi16ELb0ELb0ELc84ELc76EKffEviT_T0_PT6_S1_lS4_S1_lS2_PT7_S1_li
	.p2align	8
	.type	_ZL41rocblas_syrkx_herkx_small_restrict_kernelIifLi16ELb0ELb0ELc84ELc76EKffEviT_T0_PT6_S1_lS4_S1_lS2_PT7_S1_li,@function
_ZL41rocblas_syrkx_herkx_small_restrict_kernelIifLi16ELb0ELb0ELc84ELc76EKffEviT_T0_PT6_S1_lS4_S1_lS2_PT7_S1_li: ; @_ZL41rocblas_syrkx_herkx_small_restrict_kernelIifLi16ELb0ELb0ELc84ELc76EKffEviT_T0_PT6_S1_lS4_S1_lS2_PT7_S1_li
; %bb.0:
	s_load_b64 s[2:3], s[0:1], 0x4
	v_and_b32_e32 v2, 0x3ff, v0
	v_bfe_u32 v1, v0, 10, 10
	s_mov_b32 s8, 0
	s_delay_alu instid0(VALU_DEP_2) | instskip(NEXT) | instid1(VALU_DEP_2)
	v_lshl_add_u32 v0, s13, 4, v2
	v_lshl_add_u32 v5, s14, 4, v1
	s_waitcnt lgkmcnt(0)
	s_cmp_lt_i32 s2, 1
	s_cbranch_scc1 .LBB44_6
; %bb.1:
	s_clause 0x3
	s_load_b32 s9, s[0:1], 0x30
	s_load_b64 s[10:11], s[0:1], 0x38
	s_load_b32 s14, s[0:1], 0x18
	s_load_b128 s[4:7], s[0:1], 0x20
	v_lshlrev_b32_e32 v3, 6, v1
	v_lshlrev_b32_e32 v6, 2, v2
	;; [unrolled: 1-line block ×3, first 2 shown]
	s_load_b64 s[12:13], s[0:1], 0x10
	s_delay_alu instid0(VALU_DEP_3) | instskip(NEXT) | instid1(VALU_DEP_3)
	v_add_nc_u32_e32 v7, 0x400, v3
	v_add_nc_u32_e32 v9, v6, v3
	s_delay_alu instid0(VALU_DEP_2)
	v_add_nc_u32_e32 v10, v7, v6
	s_waitcnt lgkmcnt(0)
	v_mad_i64_i32 v[1:2], null, s9, v5, 0
	v_mad_i64_i32 v[3:4], null, s14, v0, 0
	s_mul_i32 s9, s11, s15
	s_mul_hi_u32 s11, s10, s15
	s_mul_i32 s10, s10, s15
	s_add_i32 s11, s11, s9
	s_delay_alu instid0(VALU_DEP_2)
	v_lshlrev_b64 v[1:2], 2, v[1:2]
	s_mul_i32 s5, s5, s15
	s_mul_hi_u32 s14, s4, s15
	v_lshlrev_b64 v[3:4], 2, v[3:4]
	s_lshl_b64 s[10:11], s[10:11], 2
	s_mul_i32 s4, s4, s15
	s_add_i32 s5, s14, s5
	v_add_co_u32 v1, vcc_lo, v1, s10
	s_lshl_b64 s[4:5], s[4:5], 2
	v_add_co_ci_u32_e32 v2, vcc_lo, s11, v2, vcc_lo
	v_add_co_u32 v3, vcc_lo, v3, s4
	v_add_co_ci_u32_e32 v4, vcc_lo, s5, v4, vcc_lo
	v_add_co_u32 v1, vcc_lo, v1, v6
	s_delay_alu instid0(VALU_DEP_4) | instskip(NEXT) | instid1(VALU_DEP_4)
	v_add_co_ci_u32_e32 v2, vcc_lo, 0, v2, vcc_lo
	v_add_co_u32 v3, vcc_lo, v3, v8
	v_mov_b32_e32 v8, 0
	v_add_co_ci_u32_e32 v4, vcc_lo, 0, v4, vcc_lo
	v_add_co_u32 v1, vcc_lo, s6, v1
	v_add_co_ci_u32_e32 v2, vcc_lo, s7, v2, vcc_lo
	v_add_co_u32 v3, vcc_lo, s12, v3
	s_delay_alu instid0(VALU_DEP_4)
	v_add_co_ci_u32_e32 v4, vcc_lo, s13, v4, vcc_lo
.LBB44_2:                               ; =>This Inner Loop Header: Depth=1
	global_load_b32 v11, v[3:4], off
	global_load_b32 v12, v[1:2], off
	v_add_co_u32 v1, vcc_lo, v1, 64
	v_add_co_ci_u32_e32 v2, vcc_lo, 0, v2, vcc_lo
	v_add_co_u32 v3, vcc_lo, v3, 64
	v_add_co_ci_u32_e32 v4, vcc_lo, 0, v4, vcc_lo
	s_add_i32 s8, s8, 16
	s_waitcnt vmcnt(1)
	ds_store_b32 v9, v11
	s_waitcnt vmcnt(0)
	ds_store_b32 v10, v12
	s_waitcnt lgkmcnt(0)
	s_barrier
	buffer_gl0_inv
	ds_load_2addr_b32 v[19:20], v6 offset1:16
	ds_load_b128 v[11:14], v7
	ds_load_2addr_b32 v[21:22], v6 offset0:32 offset1:48
	ds_load_b128 v[15:18], v7 offset:16
	ds_load_2addr_b32 v[23:24], v6 offset0:64 offset1:80
	s_cmp_lt_i32 s8, s2
	s_waitcnt lgkmcnt(3)
	v_fmac_f32_e32 v8, v19, v11
	s_delay_alu instid0(VALU_DEP_1) | instskip(SKIP_3) | instid1(VALU_DEP_1)
	v_fmac_f32_e32 v8, v20, v12
	ds_load_2addr_b32 v[19:20], v6 offset0:96 offset1:112
	s_waitcnt lgkmcnt(3)
	v_fmac_f32_e32 v8, v21, v13
	v_fmac_f32_e32 v8, v22, v14
	ds_load_2addr_b32 v[21:22], v6 offset0:128 offset1:144
	ds_load_b128 v[11:14], v7 offset:32
	s_waitcnt lgkmcnt(3)
	v_fmac_f32_e32 v8, v23, v15
	s_delay_alu instid0(VALU_DEP_1) | instskip(SKIP_3) | instid1(VALU_DEP_1)
	v_fmac_f32_e32 v8, v24, v16
	ds_load_2addr_b32 v[23:24], v6 offset0:160 offset1:176
	s_waitcnt lgkmcnt(3)
	v_fmac_f32_e32 v8, v19, v17
	v_fmac_f32_e32 v8, v20, v18
	ds_load_b128 v[15:18], v7 offset:48
	ds_load_2addr_b32 v[19:20], v6 offset0:192 offset1:208
	s_waitcnt lgkmcnt(3)
	v_fmac_f32_e32 v8, v21, v11
	s_delay_alu instid0(VALU_DEP_1)
	v_fmac_f32_e32 v8, v22, v12
	ds_load_2addr_b32 v[11:12], v6 offset0:224 offset1:240
	s_waitcnt lgkmcnt(0)
	s_barrier
	buffer_gl0_inv
	v_fmac_f32_e32 v8, v23, v13
	s_delay_alu instid0(VALU_DEP_1) | instskip(NEXT) | instid1(VALU_DEP_1)
	v_fmac_f32_e32 v8, v24, v14
	v_fmac_f32_e32 v8, v19, v15
	s_delay_alu instid0(VALU_DEP_1) | instskip(NEXT) | instid1(VALU_DEP_1)
	v_fmac_f32_e32 v8, v20, v16
	v_fmac_f32_e32 v8, v11, v17
	s_delay_alu instid0(VALU_DEP_1)
	v_fmac_f32_e32 v8, v12, v18
	s_cbranch_scc1 .LBB44_2
; %bb.3:
	s_mov_b32 s2, exec_lo
	v_cmpx_le_i32_e64 v5, v0
	s_cbranch_execz .LBB44_5
.LBB44_4:
	s_clause 0x2
	s_load_b32 s2, s[0:1], 0x50
	s_load_b64 s[4:5], s[0:1], 0x58
	s_load_b64 s[6:7], s[0:1], 0x48
	v_ashrrev_i32_e32 v1, 31, v0
	s_load_b32 s0, s[0:1], 0x40
	s_delay_alu instid0(VALU_DEP_1)
	v_lshlrev_b64 v[0:1], 2, v[0:1]
	s_waitcnt lgkmcnt(0)
	v_mad_i64_i32 v[2:3], null, s2, v5, 0
	s_mul_i32 s2, s15, s5
	s_mul_hi_u32 s5, s15, s4
	s_mul_i32 s4, s15, s4
	s_add_i32 s5, s5, s2
	s_delay_alu instid0(SALU_CYCLE_1) | instskip(NEXT) | instid1(VALU_DEP_1)
	s_lshl_b64 s[4:5], s[4:5], 2
	v_lshlrev_b64 v[2:3], 2, v[2:3]
	s_add_u32 s2, s6, s4
	s_addc_u32 s4, s7, s5
	s_delay_alu instid0(VALU_DEP_1) | instskip(NEXT) | instid1(VALU_DEP_2)
	v_add_co_u32 v2, vcc_lo, s2, v2
	v_add_co_ci_u32_e32 v3, vcc_lo, s4, v3, vcc_lo
	s_delay_alu instid0(VALU_DEP_2) | instskip(NEXT) | instid1(VALU_DEP_2)
	v_add_co_u32 v0, vcc_lo, v2, v0
	v_add_co_ci_u32_e32 v1, vcc_lo, v3, v1, vcc_lo
	global_load_b32 v2, v[0:1], off
	s_waitcnt vmcnt(0)
	v_mul_f32_e32 v2, s0, v2
	s_delay_alu instid0(VALU_DEP_1)
	v_fmac_f32_e32 v2, s3, v8
	global_store_b32 v[0:1], v2, off
.LBB44_5:
	s_nop 0
	s_sendmsg sendmsg(MSG_DEALLOC_VGPRS)
	s_endpgm
.LBB44_6:
	v_mov_b32_e32 v8, 0
	s_mov_b32 s2, exec_lo
	v_cmpx_le_i32_e64 v5, v0
	s_cbranch_execnz .LBB44_4
	s_branch .LBB44_5
	.section	.rodata,"a",@progbits
	.p2align	6, 0x0
	.amdhsa_kernel _ZL41rocblas_syrkx_herkx_small_restrict_kernelIifLi16ELb0ELb0ELc84ELc76EKffEviT_T0_PT6_S1_lS4_S1_lS2_PT7_S1_li
		.amdhsa_group_segment_fixed_size 2048
		.amdhsa_private_segment_fixed_size 0
		.amdhsa_kernarg_size 100
		.amdhsa_user_sgpr_count 13
		.amdhsa_user_sgpr_dispatch_ptr 0
		.amdhsa_user_sgpr_queue_ptr 0
		.amdhsa_user_sgpr_kernarg_segment_ptr 1
		.amdhsa_user_sgpr_dispatch_id 0
		.amdhsa_user_sgpr_private_segment_size 0
		.amdhsa_wavefront_size32 1
		.amdhsa_uses_dynamic_stack 0
		.amdhsa_enable_private_segment 0
		.amdhsa_system_sgpr_workgroup_id_x 1
		.amdhsa_system_sgpr_workgroup_id_y 1
		.amdhsa_system_sgpr_workgroup_id_z 1
		.amdhsa_system_sgpr_workgroup_info 0
		.amdhsa_system_vgpr_workitem_id 1
		.amdhsa_next_free_vgpr 25
		.amdhsa_next_free_sgpr 16
		.amdhsa_reserve_vcc 1
		.amdhsa_float_round_mode_32 0
		.amdhsa_float_round_mode_16_64 0
		.amdhsa_float_denorm_mode_32 3
		.amdhsa_float_denorm_mode_16_64 3
		.amdhsa_dx10_clamp 1
		.amdhsa_ieee_mode 1
		.amdhsa_fp16_overflow 0
		.amdhsa_workgroup_processor_mode 1
		.amdhsa_memory_ordered 1
		.amdhsa_forward_progress 0
		.amdhsa_shared_vgpr_count 0
		.amdhsa_exception_fp_ieee_invalid_op 0
		.amdhsa_exception_fp_denorm_src 0
		.amdhsa_exception_fp_ieee_div_zero 0
		.amdhsa_exception_fp_ieee_overflow 0
		.amdhsa_exception_fp_ieee_underflow 0
		.amdhsa_exception_fp_ieee_inexact 0
		.amdhsa_exception_int_div_zero 0
	.end_amdhsa_kernel
	.section	.text._ZL41rocblas_syrkx_herkx_small_restrict_kernelIifLi16ELb0ELb0ELc84ELc76EKffEviT_T0_PT6_S1_lS4_S1_lS2_PT7_S1_li,"axG",@progbits,_ZL41rocblas_syrkx_herkx_small_restrict_kernelIifLi16ELb0ELb0ELc84ELc76EKffEviT_T0_PT6_S1_lS4_S1_lS2_PT7_S1_li,comdat
.Lfunc_end44:
	.size	_ZL41rocblas_syrkx_herkx_small_restrict_kernelIifLi16ELb0ELb0ELc84ELc76EKffEviT_T0_PT6_S1_lS4_S1_lS2_PT7_S1_li, .Lfunc_end44-_ZL41rocblas_syrkx_herkx_small_restrict_kernelIifLi16ELb0ELb0ELc84ELc76EKffEviT_T0_PT6_S1_lS4_S1_lS2_PT7_S1_li
                                        ; -- End function
	.section	.AMDGPU.csdata,"",@progbits
; Kernel info:
; codeLenInByte = 836
; NumSgprs: 18
; NumVgprs: 25
; ScratchSize: 0
; MemoryBound: 0
; FloatMode: 240
; IeeeMode: 1
; LDSByteSize: 2048 bytes/workgroup (compile time only)
; SGPRBlocks: 2
; VGPRBlocks: 3
; NumSGPRsForWavesPerEU: 18
; NumVGPRsForWavesPerEU: 25
; Occupancy: 16
; WaveLimiterHint : 0
; COMPUTE_PGM_RSRC2:SCRATCH_EN: 0
; COMPUTE_PGM_RSRC2:USER_SGPR: 13
; COMPUTE_PGM_RSRC2:TRAP_HANDLER: 0
; COMPUTE_PGM_RSRC2:TGID_X_EN: 1
; COMPUTE_PGM_RSRC2:TGID_Y_EN: 1
; COMPUTE_PGM_RSRC2:TGID_Z_EN: 1
; COMPUTE_PGM_RSRC2:TIDIG_COMP_CNT: 1
	.section	.text._ZL41rocblas_syrkx_herkx_small_restrict_kernelIifLi16ELb0ELb0ELc67ELc76EKffEviT_T0_PT6_S1_lS4_S1_lS2_PT7_S1_li,"axG",@progbits,_ZL41rocblas_syrkx_herkx_small_restrict_kernelIifLi16ELb0ELb0ELc67ELc76EKffEviT_T0_PT6_S1_lS4_S1_lS2_PT7_S1_li,comdat
	.globl	_ZL41rocblas_syrkx_herkx_small_restrict_kernelIifLi16ELb0ELb0ELc67ELc76EKffEviT_T0_PT6_S1_lS4_S1_lS2_PT7_S1_li ; -- Begin function _ZL41rocblas_syrkx_herkx_small_restrict_kernelIifLi16ELb0ELb0ELc67ELc76EKffEviT_T0_PT6_S1_lS4_S1_lS2_PT7_S1_li
	.p2align	8
	.type	_ZL41rocblas_syrkx_herkx_small_restrict_kernelIifLi16ELb0ELb0ELc67ELc76EKffEviT_T0_PT6_S1_lS4_S1_lS2_PT7_S1_li,@function
_ZL41rocblas_syrkx_herkx_small_restrict_kernelIifLi16ELb0ELb0ELc67ELc76EKffEviT_T0_PT6_S1_lS4_S1_lS2_PT7_S1_li: ; @_ZL41rocblas_syrkx_herkx_small_restrict_kernelIifLi16ELb0ELb0ELc67ELc76EKffEviT_T0_PT6_S1_lS4_S1_lS2_PT7_S1_li
; %bb.0:
	s_load_b64 s[2:3], s[0:1], 0x4
	v_and_b32_e32 v2, 0x3ff, v0
	v_bfe_u32 v1, v0, 10, 10
	s_mov_b32 s8, 0
	s_delay_alu instid0(VALU_DEP_2) | instskip(NEXT) | instid1(VALU_DEP_2)
	v_lshl_add_u32 v0, s13, 4, v2
	v_lshl_add_u32 v5, s14, 4, v1
	s_waitcnt lgkmcnt(0)
	s_cmp_lt_i32 s2, 1
	s_cbranch_scc1 .LBB45_6
; %bb.1:
	s_clause 0x3
	s_load_b32 s9, s[0:1], 0x30
	s_load_b64 s[10:11], s[0:1], 0x38
	s_load_b32 s14, s[0:1], 0x18
	s_load_b128 s[4:7], s[0:1], 0x20
	v_lshlrev_b32_e32 v3, 6, v1
	v_lshlrev_b32_e32 v6, 2, v2
	;; [unrolled: 1-line block ×3, first 2 shown]
	s_load_b64 s[12:13], s[0:1], 0x10
	s_delay_alu instid0(VALU_DEP_3) | instskip(NEXT) | instid1(VALU_DEP_3)
	v_add_nc_u32_e32 v7, 0x400, v3
	v_add_nc_u32_e32 v9, v6, v3
	s_delay_alu instid0(VALU_DEP_2)
	v_add_nc_u32_e32 v10, v7, v6
	s_waitcnt lgkmcnt(0)
	v_mad_i64_i32 v[1:2], null, s9, v5, 0
	v_mad_i64_i32 v[3:4], null, s14, v0, 0
	s_mul_i32 s9, s11, s15
	s_mul_hi_u32 s11, s10, s15
	s_mul_i32 s10, s10, s15
	s_add_i32 s11, s11, s9
	s_delay_alu instid0(VALU_DEP_2)
	v_lshlrev_b64 v[1:2], 2, v[1:2]
	s_mul_i32 s5, s5, s15
	s_mul_hi_u32 s14, s4, s15
	v_lshlrev_b64 v[3:4], 2, v[3:4]
	s_lshl_b64 s[10:11], s[10:11], 2
	s_mul_i32 s4, s4, s15
	s_add_i32 s5, s14, s5
	v_add_co_u32 v1, vcc_lo, v1, s10
	s_lshl_b64 s[4:5], s[4:5], 2
	v_add_co_ci_u32_e32 v2, vcc_lo, s11, v2, vcc_lo
	v_add_co_u32 v3, vcc_lo, v3, s4
	v_add_co_ci_u32_e32 v4, vcc_lo, s5, v4, vcc_lo
	v_add_co_u32 v1, vcc_lo, v1, v6
	s_delay_alu instid0(VALU_DEP_4) | instskip(NEXT) | instid1(VALU_DEP_4)
	v_add_co_ci_u32_e32 v2, vcc_lo, 0, v2, vcc_lo
	v_add_co_u32 v3, vcc_lo, v3, v8
	v_mov_b32_e32 v8, 0
	v_add_co_ci_u32_e32 v4, vcc_lo, 0, v4, vcc_lo
	v_add_co_u32 v1, vcc_lo, s6, v1
	v_add_co_ci_u32_e32 v2, vcc_lo, s7, v2, vcc_lo
	v_add_co_u32 v3, vcc_lo, s12, v3
	s_delay_alu instid0(VALU_DEP_4)
	v_add_co_ci_u32_e32 v4, vcc_lo, s13, v4, vcc_lo
.LBB45_2:                               ; =>This Inner Loop Header: Depth=1
	global_load_b32 v11, v[3:4], off
	global_load_b32 v12, v[1:2], off
	v_add_co_u32 v1, vcc_lo, v1, 64
	v_add_co_ci_u32_e32 v2, vcc_lo, 0, v2, vcc_lo
	v_add_co_u32 v3, vcc_lo, v3, 64
	v_add_co_ci_u32_e32 v4, vcc_lo, 0, v4, vcc_lo
	s_add_i32 s8, s8, 16
	s_waitcnt vmcnt(1)
	ds_store_b32 v9, v11
	s_waitcnt vmcnt(0)
	ds_store_b32 v10, v12
	s_waitcnt lgkmcnt(0)
	s_barrier
	buffer_gl0_inv
	ds_load_2addr_b32 v[19:20], v6 offset1:16
	ds_load_b128 v[11:14], v7
	ds_load_2addr_b32 v[21:22], v6 offset0:32 offset1:48
	ds_load_b128 v[15:18], v7 offset:16
	ds_load_2addr_b32 v[23:24], v6 offset0:64 offset1:80
	s_cmp_lt_i32 s8, s2
	s_waitcnt lgkmcnt(3)
	v_fmac_f32_e32 v8, v19, v11
	s_delay_alu instid0(VALU_DEP_1) | instskip(SKIP_3) | instid1(VALU_DEP_1)
	v_fmac_f32_e32 v8, v20, v12
	ds_load_2addr_b32 v[19:20], v6 offset0:96 offset1:112
	s_waitcnt lgkmcnt(3)
	v_fmac_f32_e32 v8, v21, v13
	v_fmac_f32_e32 v8, v22, v14
	ds_load_2addr_b32 v[21:22], v6 offset0:128 offset1:144
	ds_load_b128 v[11:14], v7 offset:32
	s_waitcnt lgkmcnt(3)
	v_fmac_f32_e32 v8, v23, v15
	s_delay_alu instid0(VALU_DEP_1) | instskip(SKIP_3) | instid1(VALU_DEP_1)
	v_fmac_f32_e32 v8, v24, v16
	ds_load_2addr_b32 v[23:24], v6 offset0:160 offset1:176
	s_waitcnt lgkmcnt(3)
	v_fmac_f32_e32 v8, v19, v17
	v_fmac_f32_e32 v8, v20, v18
	ds_load_b128 v[15:18], v7 offset:48
	ds_load_2addr_b32 v[19:20], v6 offset0:192 offset1:208
	s_waitcnt lgkmcnt(3)
	v_fmac_f32_e32 v8, v21, v11
	s_delay_alu instid0(VALU_DEP_1)
	v_fmac_f32_e32 v8, v22, v12
	ds_load_2addr_b32 v[11:12], v6 offset0:224 offset1:240
	s_waitcnt lgkmcnt(0)
	s_barrier
	buffer_gl0_inv
	v_fmac_f32_e32 v8, v23, v13
	s_delay_alu instid0(VALU_DEP_1) | instskip(NEXT) | instid1(VALU_DEP_1)
	v_fmac_f32_e32 v8, v24, v14
	v_fmac_f32_e32 v8, v19, v15
	s_delay_alu instid0(VALU_DEP_1) | instskip(NEXT) | instid1(VALU_DEP_1)
	v_fmac_f32_e32 v8, v20, v16
	v_fmac_f32_e32 v8, v11, v17
	s_delay_alu instid0(VALU_DEP_1)
	v_fmac_f32_e32 v8, v12, v18
	s_cbranch_scc1 .LBB45_2
; %bb.3:
	s_mov_b32 s2, exec_lo
	v_cmpx_le_i32_e64 v5, v0
	s_cbranch_execz .LBB45_5
.LBB45_4:
	s_clause 0x2
	s_load_b32 s2, s[0:1], 0x50
	s_load_b64 s[4:5], s[0:1], 0x58
	s_load_b64 s[6:7], s[0:1], 0x48
	v_ashrrev_i32_e32 v1, 31, v0
	s_load_b32 s0, s[0:1], 0x40
	s_delay_alu instid0(VALU_DEP_1)
	v_lshlrev_b64 v[0:1], 2, v[0:1]
	s_waitcnt lgkmcnt(0)
	v_mad_i64_i32 v[2:3], null, s2, v5, 0
	s_mul_i32 s2, s15, s5
	s_mul_hi_u32 s5, s15, s4
	s_mul_i32 s4, s15, s4
	s_add_i32 s5, s5, s2
	s_delay_alu instid0(SALU_CYCLE_1) | instskip(NEXT) | instid1(VALU_DEP_1)
	s_lshl_b64 s[4:5], s[4:5], 2
	v_lshlrev_b64 v[2:3], 2, v[2:3]
	s_add_u32 s2, s6, s4
	s_addc_u32 s4, s7, s5
	s_delay_alu instid0(VALU_DEP_1) | instskip(NEXT) | instid1(VALU_DEP_2)
	v_add_co_u32 v2, vcc_lo, s2, v2
	v_add_co_ci_u32_e32 v3, vcc_lo, s4, v3, vcc_lo
	s_delay_alu instid0(VALU_DEP_2) | instskip(NEXT) | instid1(VALU_DEP_2)
	v_add_co_u32 v0, vcc_lo, v2, v0
	v_add_co_ci_u32_e32 v1, vcc_lo, v3, v1, vcc_lo
	global_load_b32 v2, v[0:1], off
	s_waitcnt vmcnt(0)
	v_mul_f32_e32 v2, s0, v2
	s_delay_alu instid0(VALU_DEP_1)
	v_fmac_f32_e32 v2, s3, v8
	global_store_b32 v[0:1], v2, off
.LBB45_5:
	s_nop 0
	s_sendmsg sendmsg(MSG_DEALLOC_VGPRS)
	s_endpgm
.LBB45_6:
	v_mov_b32_e32 v8, 0
	s_mov_b32 s2, exec_lo
	v_cmpx_le_i32_e64 v5, v0
	s_cbranch_execnz .LBB45_4
	s_branch .LBB45_5
	.section	.rodata,"a",@progbits
	.p2align	6, 0x0
	.amdhsa_kernel _ZL41rocblas_syrkx_herkx_small_restrict_kernelIifLi16ELb0ELb0ELc67ELc76EKffEviT_T0_PT6_S1_lS4_S1_lS2_PT7_S1_li
		.amdhsa_group_segment_fixed_size 2048
		.amdhsa_private_segment_fixed_size 0
		.amdhsa_kernarg_size 100
		.amdhsa_user_sgpr_count 13
		.amdhsa_user_sgpr_dispatch_ptr 0
		.amdhsa_user_sgpr_queue_ptr 0
		.amdhsa_user_sgpr_kernarg_segment_ptr 1
		.amdhsa_user_sgpr_dispatch_id 0
		.amdhsa_user_sgpr_private_segment_size 0
		.amdhsa_wavefront_size32 1
		.amdhsa_uses_dynamic_stack 0
		.amdhsa_enable_private_segment 0
		.amdhsa_system_sgpr_workgroup_id_x 1
		.amdhsa_system_sgpr_workgroup_id_y 1
		.amdhsa_system_sgpr_workgroup_id_z 1
		.amdhsa_system_sgpr_workgroup_info 0
		.amdhsa_system_vgpr_workitem_id 1
		.amdhsa_next_free_vgpr 25
		.amdhsa_next_free_sgpr 16
		.amdhsa_reserve_vcc 1
		.amdhsa_float_round_mode_32 0
		.amdhsa_float_round_mode_16_64 0
		.amdhsa_float_denorm_mode_32 3
		.amdhsa_float_denorm_mode_16_64 3
		.amdhsa_dx10_clamp 1
		.amdhsa_ieee_mode 1
		.amdhsa_fp16_overflow 0
		.amdhsa_workgroup_processor_mode 1
		.amdhsa_memory_ordered 1
		.amdhsa_forward_progress 0
		.amdhsa_shared_vgpr_count 0
		.amdhsa_exception_fp_ieee_invalid_op 0
		.amdhsa_exception_fp_denorm_src 0
		.amdhsa_exception_fp_ieee_div_zero 0
		.amdhsa_exception_fp_ieee_overflow 0
		.amdhsa_exception_fp_ieee_underflow 0
		.amdhsa_exception_fp_ieee_inexact 0
		.amdhsa_exception_int_div_zero 0
	.end_amdhsa_kernel
	.section	.text._ZL41rocblas_syrkx_herkx_small_restrict_kernelIifLi16ELb0ELb0ELc67ELc76EKffEviT_T0_PT6_S1_lS4_S1_lS2_PT7_S1_li,"axG",@progbits,_ZL41rocblas_syrkx_herkx_small_restrict_kernelIifLi16ELb0ELb0ELc67ELc76EKffEviT_T0_PT6_S1_lS4_S1_lS2_PT7_S1_li,comdat
.Lfunc_end45:
	.size	_ZL41rocblas_syrkx_herkx_small_restrict_kernelIifLi16ELb0ELb0ELc67ELc76EKffEviT_T0_PT6_S1_lS4_S1_lS2_PT7_S1_li, .Lfunc_end45-_ZL41rocblas_syrkx_herkx_small_restrict_kernelIifLi16ELb0ELb0ELc67ELc76EKffEviT_T0_PT6_S1_lS4_S1_lS2_PT7_S1_li
                                        ; -- End function
	.section	.AMDGPU.csdata,"",@progbits
; Kernel info:
; codeLenInByte = 836
; NumSgprs: 18
; NumVgprs: 25
; ScratchSize: 0
; MemoryBound: 0
; FloatMode: 240
; IeeeMode: 1
; LDSByteSize: 2048 bytes/workgroup (compile time only)
; SGPRBlocks: 2
; VGPRBlocks: 3
; NumSGPRsForWavesPerEU: 18
; NumVGPRsForWavesPerEU: 25
; Occupancy: 16
; WaveLimiterHint : 0
; COMPUTE_PGM_RSRC2:SCRATCH_EN: 0
; COMPUTE_PGM_RSRC2:USER_SGPR: 13
; COMPUTE_PGM_RSRC2:TRAP_HANDLER: 0
; COMPUTE_PGM_RSRC2:TGID_X_EN: 1
; COMPUTE_PGM_RSRC2:TGID_Y_EN: 1
; COMPUTE_PGM_RSRC2:TGID_Z_EN: 1
; COMPUTE_PGM_RSRC2:TIDIG_COMP_CNT: 1
	.section	.text._ZL41rocblas_syrkx_herkx_small_restrict_kernelIifLi16ELb0ELb0ELc78ELc76EKffEviT_T0_PT6_S1_lS4_S1_lS2_PT7_S1_li,"axG",@progbits,_ZL41rocblas_syrkx_herkx_small_restrict_kernelIifLi16ELb0ELb0ELc78ELc76EKffEviT_T0_PT6_S1_lS4_S1_lS2_PT7_S1_li,comdat
	.globl	_ZL41rocblas_syrkx_herkx_small_restrict_kernelIifLi16ELb0ELb0ELc78ELc76EKffEviT_T0_PT6_S1_lS4_S1_lS2_PT7_S1_li ; -- Begin function _ZL41rocblas_syrkx_herkx_small_restrict_kernelIifLi16ELb0ELb0ELc78ELc76EKffEviT_T0_PT6_S1_lS4_S1_lS2_PT7_S1_li
	.p2align	8
	.type	_ZL41rocblas_syrkx_herkx_small_restrict_kernelIifLi16ELb0ELb0ELc78ELc76EKffEviT_T0_PT6_S1_lS4_S1_lS2_PT7_S1_li,@function
_ZL41rocblas_syrkx_herkx_small_restrict_kernelIifLi16ELb0ELb0ELc78ELc76EKffEviT_T0_PT6_S1_lS4_S1_lS2_PT7_S1_li: ; @_ZL41rocblas_syrkx_herkx_small_restrict_kernelIifLi16ELb0ELb0ELc78ELc76EKffEviT_T0_PT6_S1_lS4_S1_lS2_PT7_S1_li
; %bb.0:
	s_load_b64 s[2:3], s[0:1], 0x4
	v_and_b32_e32 v5, 0x3ff, v0
	v_bfe_u32 v4, v0, 10, 10
	s_mov_b32 s8, 0
	s_delay_alu instid0(VALU_DEP_2) | instskip(NEXT) | instid1(VALU_DEP_2)
	v_lshl_add_u32 v0, s13, 4, v5
	v_lshl_add_u32 v2, s14, 4, v4
	s_delay_alu instid0(VALU_DEP_2)
	v_ashrrev_i32_e32 v1, 31, v0
	s_waitcnt lgkmcnt(0)
	s_cmp_lt_i32 s2, 1
	s_cbranch_scc1 .LBB46_6
; %bb.1:
	s_clause 0x3
	s_load_b32 s10, s[0:1], 0x30
	s_load_b64 s[12:13], s[0:1], 0x38
	s_load_b128 s[4:7], s[0:1], 0x20
	s_load_b32 s16, s[0:1], 0x18
	v_dual_mov_b32 v9, 0 :: v_dual_lshlrev_b32 v6, 6, v4
	v_lshlrev_b32_e32 v7, 2, v5
	v_ashrrev_i32_e32 v3, 31, v2
	s_load_b64 s[18:19], s[0:1], 0x10
	s_delay_alu instid0(VALU_DEP_3) | instskip(SKIP_3) | instid1(VALU_DEP_4)
	v_add_nc_u32_e32 v8, 0x400, v6
	v_lshlrev_b64 v[12:13], 2, v[0:1]
	v_add_nc_u32_e32 v10, v7, v6
	v_lshlrev_b64 v[14:15], 2, v[2:3]
	v_add_nc_u32_e32 v11, v8, v7
	s_waitcnt lgkmcnt(0)
	v_mad_i64_i32 v[16:17], null, s10, v5, 0
	s_mul_i32 s9, s13, s15
	v_mad_i64_i32 v[5:6], null, s16, v4, 0
	s_mul_hi_u32 s13, s12, s15
	s_mul_i32 s12, s12, s15
	s_add_i32 s13, s13, s9
	s_delay_alu instid0(VALU_DEP_2) | instskip(SKIP_2) | instid1(VALU_DEP_2)
	v_lshlrev_b64 v[3:4], 2, v[16:17]
	s_mul_i32 s5, s5, s15
	s_mul_hi_u32 s14, s4, s15
	v_lshlrev_b64 v[5:6], 2, v[5:6]
	s_lshl_b64 s[12:13], s[12:13], 2
	s_mul_i32 s4, s4, s15
	s_add_i32 s5, s14, s5
	v_add_co_u32 v3, vcc_lo, s12, v3
	s_lshl_b64 s[4:5], s[4:5], 2
	v_add_co_ci_u32_e32 v4, vcc_lo, s13, v4, vcc_lo
	v_add_co_u32 v5, vcc_lo, s4, v5
	v_add_co_ci_u32_e32 v6, vcc_lo, s5, v6, vcc_lo
	v_add_co_u32 v3, vcc_lo, v3, v14
	s_delay_alu instid0(VALU_DEP_4) | instskip(NEXT) | instid1(VALU_DEP_4)
	v_add_co_ci_u32_e32 v4, vcc_lo, v4, v15, vcc_lo
	v_add_co_u32 v5, vcc_lo, v5, v12
	s_delay_alu instid0(VALU_DEP_4) | instskip(NEXT) | instid1(VALU_DEP_4)
	;; [unrolled: 3-line block ×3, first 2 shown]
	v_add_co_ci_u32_e32 v4, vcc_lo, s7, v4, vcc_lo
	v_add_co_u32 v5, vcc_lo, s18, v5
	s_delay_alu instid0(VALU_DEP_4)
	v_add_co_ci_u32_e32 v6, vcc_lo, s19, v6, vcc_lo
	s_ashr_i32 s11, s10, 31
	s_ashr_i32 s17, s16, 31
	s_lshl_b64 s[4:5], s[10:11], 6
	s_lshl_b64 s[6:7], s[16:17], 6
.LBB46_2:                               ; =>This Inner Loop Header: Depth=1
	global_load_b32 v12, v[5:6], off
	global_load_b32 v13, v[3:4], off
	v_add_co_u32 v3, vcc_lo, v3, s4
	v_add_co_ci_u32_e32 v4, vcc_lo, s5, v4, vcc_lo
	v_add_co_u32 v5, vcc_lo, v5, s6
	v_add_co_ci_u32_e32 v6, vcc_lo, s7, v6, vcc_lo
	s_add_i32 s8, s8, 16
	s_waitcnt vmcnt(1)
	ds_store_b32 v10, v12
	s_waitcnt vmcnt(0)
	ds_store_b32 v11, v13
	s_waitcnt lgkmcnt(0)
	s_barrier
	buffer_gl0_inv
	ds_load_2addr_b32 v[20:21], v7 offset1:16
	ds_load_b128 v[12:15], v8
	ds_load_2addr_b32 v[22:23], v7 offset0:32 offset1:48
	ds_load_b128 v[16:19], v8 offset:16
	ds_load_2addr_b32 v[24:25], v7 offset0:64 offset1:80
	s_cmp_lt_i32 s8, s2
	s_waitcnt lgkmcnt(3)
	v_fmac_f32_e32 v9, v20, v12
	s_delay_alu instid0(VALU_DEP_1) | instskip(SKIP_3) | instid1(VALU_DEP_1)
	v_fmac_f32_e32 v9, v21, v13
	ds_load_2addr_b32 v[20:21], v7 offset0:96 offset1:112
	s_waitcnt lgkmcnt(3)
	v_fmac_f32_e32 v9, v22, v14
	v_fmac_f32_e32 v9, v23, v15
	ds_load_2addr_b32 v[22:23], v7 offset0:128 offset1:144
	ds_load_b128 v[12:15], v8 offset:32
	s_waitcnt lgkmcnt(3)
	v_fmac_f32_e32 v9, v24, v16
	s_delay_alu instid0(VALU_DEP_1) | instskip(SKIP_3) | instid1(VALU_DEP_1)
	v_fmac_f32_e32 v9, v25, v17
	ds_load_2addr_b32 v[24:25], v7 offset0:160 offset1:176
	s_waitcnt lgkmcnt(3)
	v_fmac_f32_e32 v9, v20, v18
	v_fmac_f32_e32 v9, v21, v19
	ds_load_b128 v[16:19], v8 offset:48
	ds_load_2addr_b32 v[20:21], v7 offset0:192 offset1:208
	s_waitcnt lgkmcnt(3)
	v_fmac_f32_e32 v9, v22, v12
	s_delay_alu instid0(VALU_DEP_1)
	v_fmac_f32_e32 v9, v23, v13
	ds_load_2addr_b32 v[12:13], v7 offset0:224 offset1:240
	s_waitcnt lgkmcnt(0)
	s_barrier
	buffer_gl0_inv
	v_fmac_f32_e32 v9, v24, v14
	s_delay_alu instid0(VALU_DEP_1) | instskip(NEXT) | instid1(VALU_DEP_1)
	v_fmac_f32_e32 v9, v25, v15
	v_fmac_f32_e32 v9, v20, v16
	s_delay_alu instid0(VALU_DEP_1) | instskip(NEXT) | instid1(VALU_DEP_1)
	v_fmac_f32_e32 v9, v21, v17
	v_fmac_f32_e32 v9, v12, v18
	s_delay_alu instid0(VALU_DEP_1)
	v_fmac_f32_e32 v9, v13, v19
	s_cbranch_scc1 .LBB46_2
; %bb.3:
	s_mov_b32 s2, exec_lo
	v_cmpx_le_i32_e64 v2, v0
	s_cbranch_execz .LBB46_5
.LBB46_4:
	s_clause 0x2
	s_load_b32 s2, s[0:1], 0x50
	s_load_b64 s[4:5], s[0:1], 0x58
	s_load_b64 s[6:7], s[0:1], 0x48
	v_lshlrev_b64 v[0:1], 2, v[0:1]
	s_load_b32 s0, s[0:1], 0x40
	s_waitcnt lgkmcnt(0)
	v_mad_i64_i32 v[3:4], null, s2, v2, 0
	s_mul_i32 s2, s15, s5
	s_mul_hi_u32 s5, s15, s4
	s_mul_i32 s4, s15, s4
	s_add_i32 s5, s5, s2
	s_delay_alu instid0(SALU_CYCLE_1) | instskip(NEXT) | instid1(VALU_DEP_1)
	s_lshl_b64 s[4:5], s[4:5], 2
	v_lshlrev_b64 v[2:3], 2, v[3:4]
	s_add_u32 s2, s6, s4
	s_addc_u32 s4, s7, s5
	s_delay_alu instid0(VALU_DEP_1) | instskip(NEXT) | instid1(VALU_DEP_2)
	v_add_co_u32 v2, vcc_lo, s2, v2
	v_add_co_ci_u32_e32 v3, vcc_lo, s4, v3, vcc_lo
	s_delay_alu instid0(VALU_DEP_2) | instskip(NEXT) | instid1(VALU_DEP_2)
	v_add_co_u32 v0, vcc_lo, v2, v0
	v_add_co_ci_u32_e32 v1, vcc_lo, v3, v1, vcc_lo
	global_load_b32 v2, v[0:1], off
	s_waitcnt vmcnt(0)
	v_mul_f32_e32 v2, s0, v2
	s_delay_alu instid0(VALU_DEP_1)
	v_fmac_f32_e32 v2, s3, v9
	global_store_b32 v[0:1], v2, off
.LBB46_5:
	s_nop 0
	s_sendmsg sendmsg(MSG_DEALLOC_VGPRS)
	s_endpgm
.LBB46_6:
	v_mov_b32_e32 v9, 0
	s_mov_b32 s2, exec_lo
	v_cmpx_le_i32_e64 v2, v0
	s_cbranch_execnz .LBB46_4
	s_branch .LBB46_5
	.section	.rodata,"a",@progbits
	.p2align	6, 0x0
	.amdhsa_kernel _ZL41rocblas_syrkx_herkx_small_restrict_kernelIifLi16ELb0ELb0ELc78ELc76EKffEviT_T0_PT6_S1_lS4_S1_lS2_PT7_S1_li
		.amdhsa_group_segment_fixed_size 2048
		.amdhsa_private_segment_fixed_size 0
		.amdhsa_kernarg_size 100
		.amdhsa_user_sgpr_count 13
		.amdhsa_user_sgpr_dispatch_ptr 0
		.amdhsa_user_sgpr_queue_ptr 0
		.amdhsa_user_sgpr_kernarg_segment_ptr 1
		.amdhsa_user_sgpr_dispatch_id 0
		.amdhsa_user_sgpr_private_segment_size 0
		.amdhsa_wavefront_size32 1
		.amdhsa_uses_dynamic_stack 0
		.amdhsa_enable_private_segment 0
		.amdhsa_system_sgpr_workgroup_id_x 1
		.amdhsa_system_sgpr_workgroup_id_y 1
		.amdhsa_system_sgpr_workgroup_id_z 1
		.amdhsa_system_sgpr_workgroup_info 0
		.amdhsa_system_vgpr_workitem_id 1
		.amdhsa_next_free_vgpr 26
		.amdhsa_next_free_sgpr 20
		.amdhsa_reserve_vcc 1
		.amdhsa_float_round_mode_32 0
		.amdhsa_float_round_mode_16_64 0
		.amdhsa_float_denorm_mode_32 3
		.amdhsa_float_denorm_mode_16_64 3
		.amdhsa_dx10_clamp 1
		.amdhsa_ieee_mode 1
		.amdhsa_fp16_overflow 0
		.amdhsa_workgroup_processor_mode 1
		.amdhsa_memory_ordered 1
		.amdhsa_forward_progress 0
		.amdhsa_shared_vgpr_count 0
		.amdhsa_exception_fp_ieee_invalid_op 0
		.amdhsa_exception_fp_denorm_src 0
		.amdhsa_exception_fp_ieee_div_zero 0
		.amdhsa_exception_fp_ieee_overflow 0
		.amdhsa_exception_fp_ieee_underflow 0
		.amdhsa_exception_fp_ieee_inexact 0
		.amdhsa_exception_int_div_zero 0
	.end_amdhsa_kernel
	.section	.text._ZL41rocblas_syrkx_herkx_small_restrict_kernelIifLi16ELb0ELb0ELc78ELc76EKffEviT_T0_PT6_S1_lS4_S1_lS2_PT7_S1_li,"axG",@progbits,_ZL41rocblas_syrkx_herkx_small_restrict_kernelIifLi16ELb0ELb0ELc78ELc76EKffEviT_T0_PT6_S1_lS4_S1_lS2_PT7_S1_li,comdat
.Lfunc_end46:
	.size	_ZL41rocblas_syrkx_herkx_small_restrict_kernelIifLi16ELb0ELb0ELc78ELc76EKffEviT_T0_PT6_S1_lS4_S1_lS2_PT7_S1_li, .Lfunc_end46-_ZL41rocblas_syrkx_herkx_small_restrict_kernelIifLi16ELb0ELb0ELc78ELc76EKffEviT_T0_PT6_S1_lS4_S1_lS2_PT7_S1_li
                                        ; -- End function
	.section	.AMDGPU.csdata,"",@progbits
; Kernel info:
; codeLenInByte = 872
; NumSgprs: 22
; NumVgprs: 26
; ScratchSize: 0
; MemoryBound: 0
; FloatMode: 240
; IeeeMode: 1
; LDSByteSize: 2048 bytes/workgroup (compile time only)
; SGPRBlocks: 2
; VGPRBlocks: 3
; NumSGPRsForWavesPerEU: 22
; NumVGPRsForWavesPerEU: 26
; Occupancy: 16
; WaveLimiterHint : 0
; COMPUTE_PGM_RSRC2:SCRATCH_EN: 0
; COMPUTE_PGM_RSRC2:USER_SGPR: 13
; COMPUTE_PGM_RSRC2:TRAP_HANDLER: 0
; COMPUTE_PGM_RSRC2:TGID_X_EN: 1
; COMPUTE_PGM_RSRC2:TGID_Y_EN: 1
; COMPUTE_PGM_RSRC2:TGID_Z_EN: 1
; COMPUTE_PGM_RSRC2:TIDIG_COMP_CNT: 1
	.section	.text._ZL41rocblas_syrkx_herkx_small_restrict_kernelIifLi16ELb0ELb0ELc84ELc85EKffEviT_T0_PT6_S1_lS4_S1_lS2_PT7_S1_li,"axG",@progbits,_ZL41rocblas_syrkx_herkx_small_restrict_kernelIifLi16ELb0ELb0ELc84ELc85EKffEviT_T0_PT6_S1_lS4_S1_lS2_PT7_S1_li,comdat
	.globl	_ZL41rocblas_syrkx_herkx_small_restrict_kernelIifLi16ELb0ELb0ELc84ELc85EKffEviT_T0_PT6_S1_lS4_S1_lS2_PT7_S1_li ; -- Begin function _ZL41rocblas_syrkx_herkx_small_restrict_kernelIifLi16ELb0ELb0ELc84ELc85EKffEviT_T0_PT6_S1_lS4_S1_lS2_PT7_S1_li
	.p2align	8
	.type	_ZL41rocblas_syrkx_herkx_small_restrict_kernelIifLi16ELb0ELb0ELc84ELc85EKffEviT_T0_PT6_S1_lS4_S1_lS2_PT7_S1_li,@function
_ZL41rocblas_syrkx_herkx_small_restrict_kernelIifLi16ELb0ELb0ELc84ELc85EKffEviT_T0_PT6_S1_lS4_S1_lS2_PT7_S1_li: ; @_ZL41rocblas_syrkx_herkx_small_restrict_kernelIifLi16ELb0ELb0ELc84ELc85EKffEviT_T0_PT6_S1_lS4_S1_lS2_PT7_S1_li
; %bb.0:
	s_load_b64 s[2:3], s[0:1], 0x4
	v_and_b32_e32 v2, 0x3ff, v0
	v_bfe_u32 v1, v0, 10, 10
	s_mov_b32 s8, 0
	s_delay_alu instid0(VALU_DEP_2) | instskip(NEXT) | instid1(VALU_DEP_2)
	v_lshl_add_u32 v0, s13, 4, v2
	v_lshl_add_u32 v5, s14, 4, v1
	s_waitcnt lgkmcnt(0)
	s_cmp_lt_i32 s2, 1
	s_cbranch_scc1 .LBB47_6
; %bb.1:
	s_clause 0x3
	s_load_b32 s9, s[0:1], 0x30
	s_load_b64 s[10:11], s[0:1], 0x38
	s_load_b32 s14, s[0:1], 0x18
	s_load_b128 s[4:7], s[0:1], 0x20
	v_lshlrev_b32_e32 v3, 6, v1
	v_lshlrev_b32_e32 v6, 2, v2
	;; [unrolled: 1-line block ×3, first 2 shown]
	s_load_b64 s[12:13], s[0:1], 0x10
	s_delay_alu instid0(VALU_DEP_3) | instskip(NEXT) | instid1(VALU_DEP_3)
	v_add_nc_u32_e32 v7, 0x400, v3
	v_add_nc_u32_e32 v9, v6, v3
	s_delay_alu instid0(VALU_DEP_2)
	v_add_nc_u32_e32 v10, v7, v6
	s_waitcnt lgkmcnt(0)
	v_mad_i64_i32 v[1:2], null, s9, v5, 0
	v_mad_i64_i32 v[3:4], null, s14, v0, 0
	s_mul_i32 s9, s11, s15
	s_mul_hi_u32 s11, s10, s15
	s_mul_i32 s10, s10, s15
	s_add_i32 s11, s11, s9
	s_delay_alu instid0(VALU_DEP_2)
	v_lshlrev_b64 v[1:2], 2, v[1:2]
	s_mul_i32 s5, s5, s15
	s_mul_hi_u32 s14, s4, s15
	v_lshlrev_b64 v[3:4], 2, v[3:4]
	s_lshl_b64 s[10:11], s[10:11], 2
	s_mul_i32 s4, s4, s15
	s_add_i32 s5, s14, s5
	v_add_co_u32 v1, vcc_lo, v1, s10
	s_lshl_b64 s[4:5], s[4:5], 2
	v_add_co_ci_u32_e32 v2, vcc_lo, s11, v2, vcc_lo
	v_add_co_u32 v3, vcc_lo, v3, s4
	v_add_co_ci_u32_e32 v4, vcc_lo, s5, v4, vcc_lo
	v_add_co_u32 v1, vcc_lo, v1, v6
	s_delay_alu instid0(VALU_DEP_4) | instskip(NEXT) | instid1(VALU_DEP_4)
	v_add_co_ci_u32_e32 v2, vcc_lo, 0, v2, vcc_lo
	v_add_co_u32 v3, vcc_lo, v3, v8
	v_mov_b32_e32 v8, 0
	v_add_co_ci_u32_e32 v4, vcc_lo, 0, v4, vcc_lo
	v_add_co_u32 v1, vcc_lo, s6, v1
	v_add_co_ci_u32_e32 v2, vcc_lo, s7, v2, vcc_lo
	v_add_co_u32 v3, vcc_lo, s12, v3
	s_delay_alu instid0(VALU_DEP_4)
	v_add_co_ci_u32_e32 v4, vcc_lo, s13, v4, vcc_lo
.LBB47_2:                               ; =>This Inner Loop Header: Depth=1
	global_load_b32 v11, v[3:4], off
	global_load_b32 v12, v[1:2], off
	v_add_co_u32 v1, vcc_lo, v1, 64
	v_add_co_ci_u32_e32 v2, vcc_lo, 0, v2, vcc_lo
	v_add_co_u32 v3, vcc_lo, v3, 64
	v_add_co_ci_u32_e32 v4, vcc_lo, 0, v4, vcc_lo
	s_add_i32 s8, s8, 16
	s_waitcnt vmcnt(1)
	ds_store_b32 v9, v11
	s_waitcnt vmcnt(0)
	ds_store_b32 v10, v12
	s_waitcnt lgkmcnt(0)
	s_barrier
	buffer_gl0_inv
	ds_load_2addr_b32 v[19:20], v6 offset1:16
	ds_load_b128 v[11:14], v7
	ds_load_2addr_b32 v[21:22], v6 offset0:32 offset1:48
	ds_load_b128 v[15:18], v7 offset:16
	ds_load_2addr_b32 v[23:24], v6 offset0:64 offset1:80
	s_cmp_lt_i32 s8, s2
	s_waitcnt lgkmcnt(3)
	v_fmac_f32_e32 v8, v19, v11
	s_delay_alu instid0(VALU_DEP_1) | instskip(SKIP_3) | instid1(VALU_DEP_1)
	v_fmac_f32_e32 v8, v20, v12
	ds_load_2addr_b32 v[19:20], v6 offset0:96 offset1:112
	s_waitcnt lgkmcnt(3)
	v_fmac_f32_e32 v8, v21, v13
	v_fmac_f32_e32 v8, v22, v14
	ds_load_2addr_b32 v[21:22], v6 offset0:128 offset1:144
	ds_load_b128 v[11:14], v7 offset:32
	s_waitcnt lgkmcnt(3)
	v_fmac_f32_e32 v8, v23, v15
	s_delay_alu instid0(VALU_DEP_1) | instskip(SKIP_3) | instid1(VALU_DEP_1)
	v_fmac_f32_e32 v8, v24, v16
	ds_load_2addr_b32 v[23:24], v6 offset0:160 offset1:176
	s_waitcnt lgkmcnt(3)
	v_fmac_f32_e32 v8, v19, v17
	v_fmac_f32_e32 v8, v20, v18
	ds_load_b128 v[15:18], v7 offset:48
	ds_load_2addr_b32 v[19:20], v6 offset0:192 offset1:208
	s_waitcnt lgkmcnt(3)
	v_fmac_f32_e32 v8, v21, v11
	s_delay_alu instid0(VALU_DEP_1)
	v_fmac_f32_e32 v8, v22, v12
	ds_load_2addr_b32 v[11:12], v6 offset0:224 offset1:240
	s_waitcnt lgkmcnt(0)
	s_barrier
	buffer_gl0_inv
	v_fmac_f32_e32 v8, v23, v13
	s_delay_alu instid0(VALU_DEP_1) | instskip(NEXT) | instid1(VALU_DEP_1)
	v_fmac_f32_e32 v8, v24, v14
	v_fmac_f32_e32 v8, v19, v15
	s_delay_alu instid0(VALU_DEP_1) | instskip(NEXT) | instid1(VALU_DEP_1)
	v_fmac_f32_e32 v8, v20, v16
	v_fmac_f32_e32 v8, v11, v17
	s_delay_alu instid0(VALU_DEP_1)
	v_fmac_f32_e32 v8, v12, v18
	s_cbranch_scc1 .LBB47_2
; %bb.3:
	s_mov_b32 s2, exec_lo
	v_cmpx_le_i32_e64 v0, v5
	s_cbranch_execz .LBB47_5
.LBB47_4:
	s_clause 0x2
	s_load_b32 s2, s[0:1], 0x50
	s_load_b64 s[4:5], s[0:1], 0x58
	s_load_b64 s[6:7], s[0:1], 0x48
	v_ashrrev_i32_e32 v1, 31, v0
	s_load_b32 s0, s[0:1], 0x40
	s_delay_alu instid0(VALU_DEP_1)
	v_lshlrev_b64 v[0:1], 2, v[0:1]
	s_waitcnt lgkmcnt(0)
	v_mad_i64_i32 v[2:3], null, s2, v5, 0
	s_mul_i32 s2, s15, s5
	s_mul_hi_u32 s5, s15, s4
	s_mul_i32 s4, s15, s4
	s_add_i32 s5, s5, s2
	s_delay_alu instid0(SALU_CYCLE_1) | instskip(NEXT) | instid1(VALU_DEP_1)
	s_lshl_b64 s[4:5], s[4:5], 2
	v_lshlrev_b64 v[2:3], 2, v[2:3]
	s_add_u32 s2, s6, s4
	s_addc_u32 s4, s7, s5
	s_delay_alu instid0(VALU_DEP_1) | instskip(NEXT) | instid1(VALU_DEP_2)
	v_add_co_u32 v2, vcc_lo, s2, v2
	v_add_co_ci_u32_e32 v3, vcc_lo, s4, v3, vcc_lo
	s_delay_alu instid0(VALU_DEP_2) | instskip(NEXT) | instid1(VALU_DEP_2)
	v_add_co_u32 v0, vcc_lo, v2, v0
	v_add_co_ci_u32_e32 v1, vcc_lo, v3, v1, vcc_lo
	global_load_b32 v2, v[0:1], off
	s_waitcnt vmcnt(0)
	v_mul_f32_e32 v2, s0, v2
	s_delay_alu instid0(VALU_DEP_1)
	v_fmac_f32_e32 v2, s3, v8
	global_store_b32 v[0:1], v2, off
.LBB47_5:
	s_nop 0
	s_sendmsg sendmsg(MSG_DEALLOC_VGPRS)
	s_endpgm
.LBB47_6:
	v_mov_b32_e32 v8, 0
	s_mov_b32 s2, exec_lo
	v_cmpx_le_i32_e64 v0, v5
	s_cbranch_execnz .LBB47_4
	s_branch .LBB47_5
	.section	.rodata,"a",@progbits
	.p2align	6, 0x0
	.amdhsa_kernel _ZL41rocblas_syrkx_herkx_small_restrict_kernelIifLi16ELb0ELb0ELc84ELc85EKffEviT_T0_PT6_S1_lS4_S1_lS2_PT7_S1_li
		.amdhsa_group_segment_fixed_size 2048
		.amdhsa_private_segment_fixed_size 0
		.amdhsa_kernarg_size 100
		.amdhsa_user_sgpr_count 13
		.amdhsa_user_sgpr_dispatch_ptr 0
		.amdhsa_user_sgpr_queue_ptr 0
		.amdhsa_user_sgpr_kernarg_segment_ptr 1
		.amdhsa_user_sgpr_dispatch_id 0
		.amdhsa_user_sgpr_private_segment_size 0
		.amdhsa_wavefront_size32 1
		.amdhsa_uses_dynamic_stack 0
		.amdhsa_enable_private_segment 0
		.amdhsa_system_sgpr_workgroup_id_x 1
		.amdhsa_system_sgpr_workgroup_id_y 1
		.amdhsa_system_sgpr_workgroup_id_z 1
		.amdhsa_system_sgpr_workgroup_info 0
		.amdhsa_system_vgpr_workitem_id 1
		.amdhsa_next_free_vgpr 25
		.amdhsa_next_free_sgpr 16
		.amdhsa_reserve_vcc 1
		.amdhsa_float_round_mode_32 0
		.amdhsa_float_round_mode_16_64 0
		.amdhsa_float_denorm_mode_32 3
		.amdhsa_float_denorm_mode_16_64 3
		.amdhsa_dx10_clamp 1
		.amdhsa_ieee_mode 1
		.amdhsa_fp16_overflow 0
		.amdhsa_workgroup_processor_mode 1
		.amdhsa_memory_ordered 1
		.amdhsa_forward_progress 0
		.amdhsa_shared_vgpr_count 0
		.amdhsa_exception_fp_ieee_invalid_op 0
		.amdhsa_exception_fp_denorm_src 0
		.amdhsa_exception_fp_ieee_div_zero 0
		.amdhsa_exception_fp_ieee_overflow 0
		.amdhsa_exception_fp_ieee_underflow 0
		.amdhsa_exception_fp_ieee_inexact 0
		.amdhsa_exception_int_div_zero 0
	.end_amdhsa_kernel
	.section	.text._ZL41rocblas_syrkx_herkx_small_restrict_kernelIifLi16ELb0ELb0ELc84ELc85EKffEviT_T0_PT6_S1_lS4_S1_lS2_PT7_S1_li,"axG",@progbits,_ZL41rocblas_syrkx_herkx_small_restrict_kernelIifLi16ELb0ELb0ELc84ELc85EKffEviT_T0_PT6_S1_lS4_S1_lS2_PT7_S1_li,comdat
.Lfunc_end47:
	.size	_ZL41rocblas_syrkx_herkx_small_restrict_kernelIifLi16ELb0ELb0ELc84ELc85EKffEviT_T0_PT6_S1_lS4_S1_lS2_PT7_S1_li, .Lfunc_end47-_ZL41rocblas_syrkx_herkx_small_restrict_kernelIifLi16ELb0ELb0ELc84ELc85EKffEviT_T0_PT6_S1_lS4_S1_lS2_PT7_S1_li
                                        ; -- End function
	.section	.AMDGPU.csdata,"",@progbits
; Kernel info:
; codeLenInByte = 836
; NumSgprs: 18
; NumVgprs: 25
; ScratchSize: 0
; MemoryBound: 0
; FloatMode: 240
; IeeeMode: 1
; LDSByteSize: 2048 bytes/workgroup (compile time only)
; SGPRBlocks: 2
; VGPRBlocks: 3
; NumSGPRsForWavesPerEU: 18
; NumVGPRsForWavesPerEU: 25
; Occupancy: 16
; WaveLimiterHint : 0
; COMPUTE_PGM_RSRC2:SCRATCH_EN: 0
; COMPUTE_PGM_RSRC2:USER_SGPR: 13
; COMPUTE_PGM_RSRC2:TRAP_HANDLER: 0
; COMPUTE_PGM_RSRC2:TGID_X_EN: 1
; COMPUTE_PGM_RSRC2:TGID_Y_EN: 1
; COMPUTE_PGM_RSRC2:TGID_Z_EN: 1
; COMPUTE_PGM_RSRC2:TIDIG_COMP_CNT: 1
	.section	.text._ZL41rocblas_syrkx_herkx_small_restrict_kernelIifLi16ELb0ELb0ELc67ELc85EKffEviT_T0_PT6_S1_lS4_S1_lS2_PT7_S1_li,"axG",@progbits,_ZL41rocblas_syrkx_herkx_small_restrict_kernelIifLi16ELb0ELb0ELc67ELc85EKffEviT_T0_PT6_S1_lS4_S1_lS2_PT7_S1_li,comdat
	.globl	_ZL41rocblas_syrkx_herkx_small_restrict_kernelIifLi16ELb0ELb0ELc67ELc85EKffEviT_T0_PT6_S1_lS4_S1_lS2_PT7_S1_li ; -- Begin function _ZL41rocblas_syrkx_herkx_small_restrict_kernelIifLi16ELb0ELb0ELc67ELc85EKffEviT_T0_PT6_S1_lS4_S1_lS2_PT7_S1_li
	.p2align	8
	.type	_ZL41rocblas_syrkx_herkx_small_restrict_kernelIifLi16ELb0ELb0ELc67ELc85EKffEviT_T0_PT6_S1_lS4_S1_lS2_PT7_S1_li,@function
_ZL41rocblas_syrkx_herkx_small_restrict_kernelIifLi16ELb0ELb0ELc67ELc85EKffEviT_T0_PT6_S1_lS4_S1_lS2_PT7_S1_li: ; @_ZL41rocblas_syrkx_herkx_small_restrict_kernelIifLi16ELb0ELb0ELc67ELc85EKffEviT_T0_PT6_S1_lS4_S1_lS2_PT7_S1_li
; %bb.0:
	s_load_b64 s[2:3], s[0:1], 0x4
	v_and_b32_e32 v2, 0x3ff, v0
	v_bfe_u32 v1, v0, 10, 10
	s_mov_b32 s8, 0
	s_delay_alu instid0(VALU_DEP_2) | instskip(NEXT) | instid1(VALU_DEP_2)
	v_lshl_add_u32 v0, s13, 4, v2
	v_lshl_add_u32 v5, s14, 4, v1
	s_waitcnt lgkmcnt(0)
	s_cmp_lt_i32 s2, 1
	s_cbranch_scc1 .LBB48_6
; %bb.1:
	s_clause 0x3
	s_load_b32 s9, s[0:1], 0x30
	s_load_b64 s[10:11], s[0:1], 0x38
	s_load_b32 s14, s[0:1], 0x18
	s_load_b128 s[4:7], s[0:1], 0x20
	v_lshlrev_b32_e32 v3, 6, v1
	v_lshlrev_b32_e32 v6, 2, v2
	;; [unrolled: 1-line block ×3, first 2 shown]
	s_load_b64 s[12:13], s[0:1], 0x10
	s_delay_alu instid0(VALU_DEP_3) | instskip(NEXT) | instid1(VALU_DEP_3)
	v_add_nc_u32_e32 v7, 0x400, v3
	v_add_nc_u32_e32 v9, v6, v3
	s_delay_alu instid0(VALU_DEP_2)
	v_add_nc_u32_e32 v10, v7, v6
	s_waitcnt lgkmcnt(0)
	v_mad_i64_i32 v[1:2], null, s9, v5, 0
	v_mad_i64_i32 v[3:4], null, s14, v0, 0
	s_mul_i32 s9, s11, s15
	s_mul_hi_u32 s11, s10, s15
	s_mul_i32 s10, s10, s15
	s_add_i32 s11, s11, s9
	s_delay_alu instid0(VALU_DEP_2)
	v_lshlrev_b64 v[1:2], 2, v[1:2]
	s_mul_i32 s5, s5, s15
	s_mul_hi_u32 s14, s4, s15
	v_lshlrev_b64 v[3:4], 2, v[3:4]
	s_lshl_b64 s[10:11], s[10:11], 2
	s_mul_i32 s4, s4, s15
	s_add_i32 s5, s14, s5
	v_add_co_u32 v1, vcc_lo, v1, s10
	s_lshl_b64 s[4:5], s[4:5], 2
	v_add_co_ci_u32_e32 v2, vcc_lo, s11, v2, vcc_lo
	v_add_co_u32 v3, vcc_lo, v3, s4
	v_add_co_ci_u32_e32 v4, vcc_lo, s5, v4, vcc_lo
	v_add_co_u32 v1, vcc_lo, v1, v6
	s_delay_alu instid0(VALU_DEP_4) | instskip(NEXT) | instid1(VALU_DEP_4)
	v_add_co_ci_u32_e32 v2, vcc_lo, 0, v2, vcc_lo
	v_add_co_u32 v3, vcc_lo, v3, v8
	v_mov_b32_e32 v8, 0
	v_add_co_ci_u32_e32 v4, vcc_lo, 0, v4, vcc_lo
	v_add_co_u32 v1, vcc_lo, s6, v1
	v_add_co_ci_u32_e32 v2, vcc_lo, s7, v2, vcc_lo
	v_add_co_u32 v3, vcc_lo, s12, v3
	s_delay_alu instid0(VALU_DEP_4)
	v_add_co_ci_u32_e32 v4, vcc_lo, s13, v4, vcc_lo
.LBB48_2:                               ; =>This Inner Loop Header: Depth=1
	global_load_b32 v11, v[3:4], off
	global_load_b32 v12, v[1:2], off
	v_add_co_u32 v1, vcc_lo, v1, 64
	v_add_co_ci_u32_e32 v2, vcc_lo, 0, v2, vcc_lo
	v_add_co_u32 v3, vcc_lo, v3, 64
	v_add_co_ci_u32_e32 v4, vcc_lo, 0, v4, vcc_lo
	s_add_i32 s8, s8, 16
	s_waitcnt vmcnt(1)
	ds_store_b32 v9, v11
	s_waitcnt vmcnt(0)
	ds_store_b32 v10, v12
	s_waitcnt lgkmcnt(0)
	s_barrier
	buffer_gl0_inv
	ds_load_2addr_b32 v[19:20], v6 offset1:16
	ds_load_b128 v[11:14], v7
	ds_load_2addr_b32 v[21:22], v6 offset0:32 offset1:48
	ds_load_b128 v[15:18], v7 offset:16
	ds_load_2addr_b32 v[23:24], v6 offset0:64 offset1:80
	s_cmp_lt_i32 s8, s2
	s_waitcnt lgkmcnt(3)
	v_fmac_f32_e32 v8, v19, v11
	s_delay_alu instid0(VALU_DEP_1) | instskip(SKIP_3) | instid1(VALU_DEP_1)
	v_fmac_f32_e32 v8, v20, v12
	ds_load_2addr_b32 v[19:20], v6 offset0:96 offset1:112
	s_waitcnt lgkmcnt(3)
	v_fmac_f32_e32 v8, v21, v13
	v_fmac_f32_e32 v8, v22, v14
	ds_load_2addr_b32 v[21:22], v6 offset0:128 offset1:144
	ds_load_b128 v[11:14], v7 offset:32
	s_waitcnt lgkmcnt(3)
	v_fmac_f32_e32 v8, v23, v15
	s_delay_alu instid0(VALU_DEP_1) | instskip(SKIP_3) | instid1(VALU_DEP_1)
	v_fmac_f32_e32 v8, v24, v16
	ds_load_2addr_b32 v[23:24], v6 offset0:160 offset1:176
	s_waitcnt lgkmcnt(3)
	v_fmac_f32_e32 v8, v19, v17
	v_fmac_f32_e32 v8, v20, v18
	ds_load_b128 v[15:18], v7 offset:48
	ds_load_2addr_b32 v[19:20], v6 offset0:192 offset1:208
	s_waitcnt lgkmcnt(3)
	v_fmac_f32_e32 v8, v21, v11
	s_delay_alu instid0(VALU_DEP_1)
	v_fmac_f32_e32 v8, v22, v12
	ds_load_2addr_b32 v[11:12], v6 offset0:224 offset1:240
	s_waitcnt lgkmcnt(0)
	s_barrier
	buffer_gl0_inv
	v_fmac_f32_e32 v8, v23, v13
	s_delay_alu instid0(VALU_DEP_1) | instskip(NEXT) | instid1(VALU_DEP_1)
	v_fmac_f32_e32 v8, v24, v14
	v_fmac_f32_e32 v8, v19, v15
	s_delay_alu instid0(VALU_DEP_1) | instskip(NEXT) | instid1(VALU_DEP_1)
	v_fmac_f32_e32 v8, v20, v16
	v_fmac_f32_e32 v8, v11, v17
	s_delay_alu instid0(VALU_DEP_1)
	v_fmac_f32_e32 v8, v12, v18
	s_cbranch_scc1 .LBB48_2
; %bb.3:
	s_mov_b32 s2, exec_lo
	v_cmpx_le_i32_e64 v0, v5
	s_cbranch_execz .LBB48_5
.LBB48_4:
	s_clause 0x2
	s_load_b32 s2, s[0:1], 0x50
	s_load_b64 s[4:5], s[0:1], 0x58
	s_load_b64 s[6:7], s[0:1], 0x48
	v_ashrrev_i32_e32 v1, 31, v0
	s_load_b32 s0, s[0:1], 0x40
	s_delay_alu instid0(VALU_DEP_1)
	v_lshlrev_b64 v[0:1], 2, v[0:1]
	s_waitcnt lgkmcnt(0)
	v_mad_i64_i32 v[2:3], null, s2, v5, 0
	s_mul_i32 s2, s15, s5
	s_mul_hi_u32 s5, s15, s4
	s_mul_i32 s4, s15, s4
	s_add_i32 s5, s5, s2
	s_delay_alu instid0(SALU_CYCLE_1) | instskip(NEXT) | instid1(VALU_DEP_1)
	s_lshl_b64 s[4:5], s[4:5], 2
	v_lshlrev_b64 v[2:3], 2, v[2:3]
	s_add_u32 s2, s6, s4
	s_addc_u32 s4, s7, s5
	s_delay_alu instid0(VALU_DEP_1) | instskip(NEXT) | instid1(VALU_DEP_2)
	v_add_co_u32 v2, vcc_lo, s2, v2
	v_add_co_ci_u32_e32 v3, vcc_lo, s4, v3, vcc_lo
	s_delay_alu instid0(VALU_DEP_2) | instskip(NEXT) | instid1(VALU_DEP_2)
	v_add_co_u32 v0, vcc_lo, v2, v0
	v_add_co_ci_u32_e32 v1, vcc_lo, v3, v1, vcc_lo
	global_load_b32 v2, v[0:1], off
	s_waitcnt vmcnt(0)
	v_mul_f32_e32 v2, s0, v2
	s_delay_alu instid0(VALU_DEP_1)
	v_fmac_f32_e32 v2, s3, v8
	global_store_b32 v[0:1], v2, off
.LBB48_5:
	s_nop 0
	s_sendmsg sendmsg(MSG_DEALLOC_VGPRS)
	s_endpgm
.LBB48_6:
	v_mov_b32_e32 v8, 0
	s_mov_b32 s2, exec_lo
	v_cmpx_le_i32_e64 v0, v5
	s_cbranch_execnz .LBB48_4
	s_branch .LBB48_5
	.section	.rodata,"a",@progbits
	.p2align	6, 0x0
	.amdhsa_kernel _ZL41rocblas_syrkx_herkx_small_restrict_kernelIifLi16ELb0ELb0ELc67ELc85EKffEviT_T0_PT6_S1_lS4_S1_lS2_PT7_S1_li
		.amdhsa_group_segment_fixed_size 2048
		.amdhsa_private_segment_fixed_size 0
		.amdhsa_kernarg_size 100
		.amdhsa_user_sgpr_count 13
		.amdhsa_user_sgpr_dispatch_ptr 0
		.amdhsa_user_sgpr_queue_ptr 0
		.amdhsa_user_sgpr_kernarg_segment_ptr 1
		.amdhsa_user_sgpr_dispatch_id 0
		.amdhsa_user_sgpr_private_segment_size 0
		.amdhsa_wavefront_size32 1
		.amdhsa_uses_dynamic_stack 0
		.amdhsa_enable_private_segment 0
		.amdhsa_system_sgpr_workgroup_id_x 1
		.amdhsa_system_sgpr_workgroup_id_y 1
		.amdhsa_system_sgpr_workgroup_id_z 1
		.amdhsa_system_sgpr_workgroup_info 0
		.amdhsa_system_vgpr_workitem_id 1
		.amdhsa_next_free_vgpr 25
		.amdhsa_next_free_sgpr 16
		.amdhsa_reserve_vcc 1
		.amdhsa_float_round_mode_32 0
		.amdhsa_float_round_mode_16_64 0
		.amdhsa_float_denorm_mode_32 3
		.amdhsa_float_denorm_mode_16_64 3
		.amdhsa_dx10_clamp 1
		.amdhsa_ieee_mode 1
		.amdhsa_fp16_overflow 0
		.amdhsa_workgroup_processor_mode 1
		.amdhsa_memory_ordered 1
		.amdhsa_forward_progress 0
		.amdhsa_shared_vgpr_count 0
		.amdhsa_exception_fp_ieee_invalid_op 0
		.amdhsa_exception_fp_denorm_src 0
		.amdhsa_exception_fp_ieee_div_zero 0
		.amdhsa_exception_fp_ieee_overflow 0
		.amdhsa_exception_fp_ieee_underflow 0
		.amdhsa_exception_fp_ieee_inexact 0
		.amdhsa_exception_int_div_zero 0
	.end_amdhsa_kernel
	.section	.text._ZL41rocblas_syrkx_herkx_small_restrict_kernelIifLi16ELb0ELb0ELc67ELc85EKffEviT_T0_PT6_S1_lS4_S1_lS2_PT7_S1_li,"axG",@progbits,_ZL41rocblas_syrkx_herkx_small_restrict_kernelIifLi16ELb0ELb0ELc67ELc85EKffEviT_T0_PT6_S1_lS4_S1_lS2_PT7_S1_li,comdat
.Lfunc_end48:
	.size	_ZL41rocblas_syrkx_herkx_small_restrict_kernelIifLi16ELb0ELb0ELc67ELc85EKffEviT_T0_PT6_S1_lS4_S1_lS2_PT7_S1_li, .Lfunc_end48-_ZL41rocblas_syrkx_herkx_small_restrict_kernelIifLi16ELb0ELb0ELc67ELc85EKffEviT_T0_PT6_S1_lS4_S1_lS2_PT7_S1_li
                                        ; -- End function
	.section	.AMDGPU.csdata,"",@progbits
; Kernel info:
; codeLenInByte = 836
; NumSgprs: 18
; NumVgprs: 25
; ScratchSize: 0
; MemoryBound: 0
; FloatMode: 240
; IeeeMode: 1
; LDSByteSize: 2048 bytes/workgroup (compile time only)
; SGPRBlocks: 2
; VGPRBlocks: 3
; NumSGPRsForWavesPerEU: 18
; NumVGPRsForWavesPerEU: 25
; Occupancy: 16
; WaveLimiterHint : 0
; COMPUTE_PGM_RSRC2:SCRATCH_EN: 0
; COMPUTE_PGM_RSRC2:USER_SGPR: 13
; COMPUTE_PGM_RSRC2:TRAP_HANDLER: 0
; COMPUTE_PGM_RSRC2:TGID_X_EN: 1
; COMPUTE_PGM_RSRC2:TGID_Y_EN: 1
; COMPUTE_PGM_RSRC2:TGID_Z_EN: 1
; COMPUTE_PGM_RSRC2:TIDIG_COMP_CNT: 1
	.section	.text._ZL41rocblas_syrkx_herkx_small_restrict_kernelIifLi16ELb0ELb0ELc78ELc85EKffEviT_T0_PT6_S1_lS4_S1_lS2_PT7_S1_li,"axG",@progbits,_ZL41rocblas_syrkx_herkx_small_restrict_kernelIifLi16ELb0ELb0ELc78ELc85EKffEviT_T0_PT6_S1_lS4_S1_lS2_PT7_S1_li,comdat
	.globl	_ZL41rocblas_syrkx_herkx_small_restrict_kernelIifLi16ELb0ELb0ELc78ELc85EKffEviT_T0_PT6_S1_lS4_S1_lS2_PT7_S1_li ; -- Begin function _ZL41rocblas_syrkx_herkx_small_restrict_kernelIifLi16ELb0ELb0ELc78ELc85EKffEviT_T0_PT6_S1_lS4_S1_lS2_PT7_S1_li
	.p2align	8
	.type	_ZL41rocblas_syrkx_herkx_small_restrict_kernelIifLi16ELb0ELb0ELc78ELc85EKffEviT_T0_PT6_S1_lS4_S1_lS2_PT7_S1_li,@function
_ZL41rocblas_syrkx_herkx_small_restrict_kernelIifLi16ELb0ELb0ELc78ELc85EKffEviT_T0_PT6_S1_lS4_S1_lS2_PT7_S1_li: ; @_ZL41rocblas_syrkx_herkx_small_restrict_kernelIifLi16ELb0ELb0ELc78ELc85EKffEviT_T0_PT6_S1_lS4_S1_lS2_PT7_S1_li
; %bb.0:
	s_load_b64 s[2:3], s[0:1], 0x4
	v_and_b32_e32 v5, 0x3ff, v0
	v_bfe_u32 v4, v0, 10, 10
	s_mov_b32 s8, 0
	s_delay_alu instid0(VALU_DEP_2) | instskip(NEXT) | instid1(VALU_DEP_2)
	v_lshl_add_u32 v0, s13, 4, v5
	v_lshl_add_u32 v2, s14, 4, v4
	s_delay_alu instid0(VALU_DEP_2)
	v_ashrrev_i32_e32 v1, 31, v0
	s_waitcnt lgkmcnt(0)
	s_cmp_lt_i32 s2, 1
	s_cbranch_scc1 .LBB49_6
; %bb.1:
	s_clause 0x3
	s_load_b32 s10, s[0:1], 0x30
	s_load_b64 s[12:13], s[0:1], 0x38
	s_load_b128 s[4:7], s[0:1], 0x20
	s_load_b32 s16, s[0:1], 0x18
	v_dual_mov_b32 v9, 0 :: v_dual_lshlrev_b32 v6, 6, v4
	v_lshlrev_b32_e32 v7, 2, v5
	v_ashrrev_i32_e32 v3, 31, v2
	s_load_b64 s[18:19], s[0:1], 0x10
	s_delay_alu instid0(VALU_DEP_3) | instskip(SKIP_3) | instid1(VALU_DEP_4)
	v_add_nc_u32_e32 v8, 0x400, v6
	v_lshlrev_b64 v[12:13], 2, v[0:1]
	v_add_nc_u32_e32 v10, v7, v6
	v_lshlrev_b64 v[14:15], 2, v[2:3]
	v_add_nc_u32_e32 v11, v8, v7
	s_waitcnt lgkmcnt(0)
	v_mad_i64_i32 v[16:17], null, s10, v5, 0
	s_mul_i32 s9, s13, s15
	v_mad_i64_i32 v[5:6], null, s16, v4, 0
	s_mul_hi_u32 s13, s12, s15
	s_mul_i32 s12, s12, s15
	s_add_i32 s13, s13, s9
	s_delay_alu instid0(VALU_DEP_2) | instskip(SKIP_2) | instid1(VALU_DEP_2)
	v_lshlrev_b64 v[3:4], 2, v[16:17]
	s_mul_i32 s5, s5, s15
	s_mul_hi_u32 s14, s4, s15
	v_lshlrev_b64 v[5:6], 2, v[5:6]
	s_lshl_b64 s[12:13], s[12:13], 2
	s_mul_i32 s4, s4, s15
	s_add_i32 s5, s14, s5
	v_add_co_u32 v3, vcc_lo, s12, v3
	s_lshl_b64 s[4:5], s[4:5], 2
	v_add_co_ci_u32_e32 v4, vcc_lo, s13, v4, vcc_lo
	v_add_co_u32 v5, vcc_lo, s4, v5
	v_add_co_ci_u32_e32 v6, vcc_lo, s5, v6, vcc_lo
	v_add_co_u32 v3, vcc_lo, v3, v14
	s_delay_alu instid0(VALU_DEP_4) | instskip(NEXT) | instid1(VALU_DEP_4)
	v_add_co_ci_u32_e32 v4, vcc_lo, v4, v15, vcc_lo
	v_add_co_u32 v5, vcc_lo, v5, v12
	s_delay_alu instid0(VALU_DEP_4) | instskip(NEXT) | instid1(VALU_DEP_4)
	;; [unrolled: 3-line block ×3, first 2 shown]
	v_add_co_ci_u32_e32 v4, vcc_lo, s7, v4, vcc_lo
	v_add_co_u32 v5, vcc_lo, s18, v5
	s_delay_alu instid0(VALU_DEP_4)
	v_add_co_ci_u32_e32 v6, vcc_lo, s19, v6, vcc_lo
	s_ashr_i32 s11, s10, 31
	s_ashr_i32 s17, s16, 31
	s_lshl_b64 s[4:5], s[10:11], 6
	s_lshl_b64 s[6:7], s[16:17], 6
.LBB49_2:                               ; =>This Inner Loop Header: Depth=1
	global_load_b32 v12, v[5:6], off
	global_load_b32 v13, v[3:4], off
	v_add_co_u32 v3, vcc_lo, v3, s4
	v_add_co_ci_u32_e32 v4, vcc_lo, s5, v4, vcc_lo
	v_add_co_u32 v5, vcc_lo, v5, s6
	v_add_co_ci_u32_e32 v6, vcc_lo, s7, v6, vcc_lo
	s_add_i32 s8, s8, 16
	s_waitcnt vmcnt(1)
	ds_store_b32 v10, v12
	s_waitcnt vmcnt(0)
	ds_store_b32 v11, v13
	s_waitcnt lgkmcnt(0)
	s_barrier
	buffer_gl0_inv
	ds_load_2addr_b32 v[20:21], v7 offset1:16
	ds_load_b128 v[12:15], v8
	ds_load_2addr_b32 v[22:23], v7 offset0:32 offset1:48
	ds_load_b128 v[16:19], v8 offset:16
	ds_load_2addr_b32 v[24:25], v7 offset0:64 offset1:80
	s_cmp_lt_i32 s8, s2
	s_waitcnt lgkmcnt(3)
	v_fmac_f32_e32 v9, v20, v12
	s_delay_alu instid0(VALU_DEP_1) | instskip(SKIP_3) | instid1(VALU_DEP_1)
	v_fmac_f32_e32 v9, v21, v13
	ds_load_2addr_b32 v[20:21], v7 offset0:96 offset1:112
	s_waitcnt lgkmcnt(3)
	v_fmac_f32_e32 v9, v22, v14
	v_fmac_f32_e32 v9, v23, v15
	ds_load_2addr_b32 v[22:23], v7 offset0:128 offset1:144
	ds_load_b128 v[12:15], v8 offset:32
	s_waitcnt lgkmcnt(3)
	v_fmac_f32_e32 v9, v24, v16
	s_delay_alu instid0(VALU_DEP_1) | instskip(SKIP_3) | instid1(VALU_DEP_1)
	v_fmac_f32_e32 v9, v25, v17
	ds_load_2addr_b32 v[24:25], v7 offset0:160 offset1:176
	s_waitcnt lgkmcnt(3)
	v_fmac_f32_e32 v9, v20, v18
	v_fmac_f32_e32 v9, v21, v19
	ds_load_b128 v[16:19], v8 offset:48
	ds_load_2addr_b32 v[20:21], v7 offset0:192 offset1:208
	s_waitcnt lgkmcnt(3)
	v_fmac_f32_e32 v9, v22, v12
	s_delay_alu instid0(VALU_DEP_1)
	v_fmac_f32_e32 v9, v23, v13
	ds_load_2addr_b32 v[12:13], v7 offset0:224 offset1:240
	s_waitcnt lgkmcnt(0)
	s_barrier
	buffer_gl0_inv
	v_fmac_f32_e32 v9, v24, v14
	s_delay_alu instid0(VALU_DEP_1) | instskip(NEXT) | instid1(VALU_DEP_1)
	v_fmac_f32_e32 v9, v25, v15
	v_fmac_f32_e32 v9, v20, v16
	s_delay_alu instid0(VALU_DEP_1) | instskip(NEXT) | instid1(VALU_DEP_1)
	v_fmac_f32_e32 v9, v21, v17
	v_fmac_f32_e32 v9, v12, v18
	s_delay_alu instid0(VALU_DEP_1)
	v_fmac_f32_e32 v9, v13, v19
	s_cbranch_scc1 .LBB49_2
; %bb.3:
	s_mov_b32 s2, exec_lo
	v_cmpx_le_i32_e64 v0, v2
	s_cbranch_execz .LBB49_5
.LBB49_4:
	s_clause 0x2
	s_load_b32 s2, s[0:1], 0x50
	s_load_b64 s[4:5], s[0:1], 0x58
	s_load_b64 s[6:7], s[0:1], 0x48
	v_lshlrev_b64 v[0:1], 2, v[0:1]
	s_load_b32 s0, s[0:1], 0x40
	s_waitcnt lgkmcnt(0)
	v_mad_i64_i32 v[3:4], null, s2, v2, 0
	s_mul_i32 s2, s15, s5
	s_mul_hi_u32 s5, s15, s4
	s_mul_i32 s4, s15, s4
	s_add_i32 s5, s5, s2
	s_delay_alu instid0(SALU_CYCLE_1) | instskip(NEXT) | instid1(VALU_DEP_1)
	s_lshl_b64 s[4:5], s[4:5], 2
	v_lshlrev_b64 v[2:3], 2, v[3:4]
	s_add_u32 s2, s6, s4
	s_addc_u32 s4, s7, s5
	s_delay_alu instid0(VALU_DEP_1) | instskip(NEXT) | instid1(VALU_DEP_2)
	v_add_co_u32 v2, vcc_lo, s2, v2
	v_add_co_ci_u32_e32 v3, vcc_lo, s4, v3, vcc_lo
	s_delay_alu instid0(VALU_DEP_2) | instskip(NEXT) | instid1(VALU_DEP_2)
	v_add_co_u32 v0, vcc_lo, v2, v0
	v_add_co_ci_u32_e32 v1, vcc_lo, v3, v1, vcc_lo
	global_load_b32 v2, v[0:1], off
	s_waitcnt vmcnt(0)
	v_mul_f32_e32 v2, s0, v2
	s_delay_alu instid0(VALU_DEP_1)
	v_fmac_f32_e32 v2, s3, v9
	global_store_b32 v[0:1], v2, off
.LBB49_5:
	s_nop 0
	s_sendmsg sendmsg(MSG_DEALLOC_VGPRS)
	s_endpgm
.LBB49_6:
	v_mov_b32_e32 v9, 0
	s_mov_b32 s2, exec_lo
	v_cmpx_le_i32_e64 v0, v2
	s_cbranch_execnz .LBB49_4
	s_branch .LBB49_5
	.section	.rodata,"a",@progbits
	.p2align	6, 0x0
	.amdhsa_kernel _ZL41rocblas_syrkx_herkx_small_restrict_kernelIifLi16ELb0ELb0ELc78ELc85EKffEviT_T0_PT6_S1_lS4_S1_lS2_PT7_S1_li
		.amdhsa_group_segment_fixed_size 2048
		.amdhsa_private_segment_fixed_size 0
		.amdhsa_kernarg_size 100
		.amdhsa_user_sgpr_count 13
		.amdhsa_user_sgpr_dispatch_ptr 0
		.amdhsa_user_sgpr_queue_ptr 0
		.amdhsa_user_sgpr_kernarg_segment_ptr 1
		.amdhsa_user_sgpr_dispatch_id 0
		.amdhsa_user_sgpr_private_segment_size 0
		.amdhsa_wavefront_size32 1
		.amdhsa_uses_dynamic_stack 0
		.amdhsa_enable_private_segment 0
		.amdhsa_system_sgpr_workgroup_id_x 1
		.amdhsa_system_sgpr_workgroup_id_y 1
		.amdhsa_system_sgpr_workgroup_id_z 1
		.amdhsa_system_sgpr_workgroup_info 0
		.amdhsa_system_vgpr_workitem_id 1
		.amdhsa_next_free_vgpr 26
		.amdhsa_next_free_sgpr 20
		.amdhsa_reserve_vcc 1
		.amdhsa_float_round_mode_32 0
		.amdhsa_float_round_mode_16_64 0
		.amdhsa_float_denorm_mode_32 3
		.amdhsa_float_denorm_mode_16_64 3
		.amdhsa_dx10_clamp 1
		.amdhsa_ieee_mode 1
		.amdhsa_fp16_overflow 0
		.amdhsa_workgroup_processor_mode 1
		.amdhsa_memory_ordered 1
		.amdhsa_forward_progress 0
		.amdhsa_shared_vgpr_count 0
		.amdhsa_exception_fp_ieee_invalid_op 0
		.amdhsa_exception_fp_denorm_src 0
		.amdhsa_exception_fp_ieee_div_zero 0
		.amdhsa_exception_fp_ieee_overflow 0
		.amdhsa_exception_fp_ieee_underflow 0
		.amdhsa_exception_fp_ieee_inexact 0
		.amdhsa_exception_int_div_zero 0
	.end_amdhsa_kernel
	.section	.text._ZL41rocblas_syrkx_herkx_small_restrict_kernelIifLi16ELb0ELb0ELc78ELc85EKffEviT_T0_PT6_S1_lS4_S1_lS2_PT7_S1_li,"axG",@progbits,_ZL41rocblas_syrkx_herkx_small_restrict_kernelIifLi16ELb0ELb0ELc78ELc85EKffEviT_T0_PT6_S1_lS4_S1_lS2_PT7_S1_li,comdat
.Lfunc_end49:
	.size	_ZL41rocblas_syrkx_herkx_small_restrict_kernelIifLi16ELb0ELb0ELc78ELc85EKffEviT_T0_PT6_S1_lS4_S1_lS2_PT7_S1_li, .Lfunc_end49-_ZL41rocblas_syrkx_herkx_small_restrict_kernelIifLi16ELb0ELb0ELc78ELc85EKffEviT_T0_PT6_S1_lS4_S1_lS2_PT7_S1_li
                                        ; -- End function
	.section	.AMDGPU.csdata,"",@progbits
; Kernel info:
; codeLenInByte = 872
; NumSgprs: 22
; NumVgprs: 26
; ScratchSize: 0
; MemoryBound: 0
; FloatMode: 240
; IeeeMode: 1
; LDSByteSize: 2048 bytes/workgroup (compile time only)
; SGPRBlocks: 2
; VGPRBlocks: 3
; NumSGPRsForWavesPerEU: 22
; NumVGPRsForWavesPerEU: 26
; Occupancy: 16
; WaveLimiterHint : 0
; COMPUTE_PGM_RSRC2:SCRATCH_EN: 0
; COMPUTE_PGM_RSRC2:USER_SGPR: 13
; COMPUTE_PGM_RSRC2:TRAP_HANDLER: 0
; COMPUTE_PGM_RSRC2:TGID_X_EN: 1
; COMPUTE_PGM_RSRC2:TGID_Y_EN: 1
; COMPUTE_PGM_RSRC2:TGID_Z_EN: 1
; COMPUTE_PGM_RSRC2:TIDIG_COMP_CNT: 1
	.section	.text._ZL32rocblas_syrkx_herkx_small_kernelIifLi16ELb1ELb0ELc84ELc76EKffEviT_T0_PT6_S1_lS4_S1_lS2_PT7_S1_li,"axG",@progbits,_ZL32rocblas_syrkx_herkx_small_kernelIifLi16ELb1ELb0ELc84ELc76EKffEviT_T0_PT6_S1_lS4_S1_lS2_PT7_S1_li,comdat
	.globl	_ZL32rocblas_syrkx_herkx_small_kernelIifLi16ELb1ELb0ELc84ELc76EKffEviT_T0_PT6_S1_lS4_S1_lS2_PT7_S1_li ; -- Begin function _ZL32rocblas_syrkx_herkx_small_kernelIifLi16ELb1ELb0ELc84ELc76EKffEviT_T0_PT6_S1_lS4_S1_lS2_PT7_S1_li
	.p2align	8
	.type	_ZL32rocblas_syrkx_herkx_small_kernelIifLi16ELb1ELb0ELc84ELc76EKffEviT_T0_PT6_S1_lS4_S1_lS2_PT7_S1_li,@function
_ZL32rocblas_syrkx_herkx_small_kernelIifLi16ELb1ELb0ELc84ELc76EKffEviT_T0_PT6_S1_lS4_S1_lS2_PT7_S1_li: ; @_ZL32rocblas_syrkx_herkx_small_kernelIifLi16ELb1ELb0ELc84ELc76EKffEviT_T0_PT6_S1_lS4_S1_lS2_PT7_S1_li
; %bb.0:
	s_load_b128 s[4:7], s[0:1], 0x0
	v_and_b32_e32 v6, 0x3ff, v0
	v_bfe_u32 v7, v0, 10, 10
	s_waitcnt lgkmcnt(0)
	s_mov_b32 s7, 0
	s_delay_alu instid0(VALU_DEP_2) | instskip(NEXT) | instid1(VALU_DEP_2)
	v_lshl_add_u32 v0, s13, 4, v6
	v_lshl_add_u32 v5, s14, 4, v7
	s_delay_alu instid0(VALU_DEP_2)
	v_cmp_gt_i32_e32 vcc_lo, s4, v0
	s_cmp_lt_i32 s5, 1
	s_cbranch_scc1 .LBB50_7
; %bb.1:
	s_clause 0x3
	s_load_b32 s3, s[0:1], 0x30
	s_load_b64 s[12:13], s[0:1], 0x38
	s_load_b32 s14, s[0:1], 0x18
	s_load_b128 s[8:11], s[0:1], 0x20
	v_lshlrev_b32_e32 v1, 6, v7
	v_lshlrev_b32_e32 v8, 2, v6
	s_load_b64 s[16:17], s[0:1], 0x10
	v_lshlrev_b32_e32 v10, 2, v7
	v_cmp_gt_i32_e64 s2, s4, v5
	v_add_nc_u32_e32 v9, 0x400, v1
	v_add_nc_u32_e32 v11, v8, v1
	s_delay_alu instid0(VALU_DEP_2)
	v_add_nc_u32_e32 v12, v9, v8
	s_waitcnt lgkmcnt(0)
	v_mad_i64_i32 v[1:2], null, s3, v5, 0
	v_mad_i64_i32 v[3:4], null, s14, v0, 0
	s_mul_i32 s3, s13, s15
	s_mul_hi_u32 s13, s12, s15
	s_mul_i32 s12, s12, s15
	s_add_i32 s13, s13, s3
	s_delay_alu instid0(VALU_DEP_2)
	v_lshlrev_b64 v[1:2], 2, v[1:2]
	s_mul_i32 s9, s9, s15
	s_mul_hi_u32 s14, s8, s15
	v_lshlrev_b64 v[3:4], 2, v[3:4]
	s_lshl_b64 s[12:13], s[12:13], 2
	s_mul_i32 s8, s8, s15
	s_add_i32 s9, s14, s9
	v_add_co_u32 v1, s3, v1, s12
	s_lshl_b64 s[8:9], s[8:9], 2
	v_add_co_ci_u32_e64 v2, s3, s13, v2, s3
	v_add_co_u32 v3, s3, v3, s8
	s_delay_alu instid0(VALU_DEP_1) | instskip(SKIP_1) | instid1(VALU_DEP_1)
	v_add_co_ci_u32_e64 v4, s3, s9, v4, s3
	v_add_co_u32 v1, s3, v1, v8
	v_add_co_ci_u32_e64 v2, s3, 0, v2, s3
	s_delay_alu instid0(VALU_DEP_4) | instskip(SKIP_3) | instid1(VALU_DEP_1)
	v_add_co_u32 v3, s3, v3, v10
	v_mov_b32_e32 v10, 0
	v_add_co_ci_u32_e64 v4, s3, 0, v4, s3
	v_add_co_u32 v1, s3, s10, v1
	v_add_co_ci_u32_e64 v2, s3, s11, v2, s3
	v_add_co_u32 v3, s3, s16, v3
	s_delay_alu instid0(VALU_DEP_1)
	v_add_co_ci_u32_e64 v4, s3, s17, v4, s3
	s_branch .LBB50_3
.LBB50_2:                               ;   in Loop: Header=BB50_3 Depth=1
	s_or_b32 exec_lo, exec_lo, s3
	s_waitcnt vmcnt(0)
	ds_store_b32 v12, v14
	s_waitcnt lgkmcnt(0)
	s_barrier
	buffer_gl0_inv
	ds_load_2addr_b32 v[21:22], v8 offset1:16
	ds_load_b128 v[13:16], v9
	ds_load_2addr_b32 v[23:24], v8 offset0:32 offset1:48
	ds_load_b128 v[17:20], v9 offset:16
	ds_load_2addr_b32 v[25:26], v8 offset0:64 offset1:80
	v_add_co_u32 v1, s3, v1, 64
	s_delay_alu instid0(VALU_DEP_1) | instskip(SKIP_1) | instid1(VALU_DEP_1)
	v_add_co_ci_u32_e64 v2, s3, 0, v2, s3
	v_add_co_u32 v3, s3, v3, 64
	v_add_co_ci_u32_e64 v4, s3, 0, v4, s3
	s_add_i32 s7, s7, 16
	s_delay_alu instid0(SALU_CYCLE_1) | instskip(SKIP_2) | instid1(VALU_DEP_1)
	s_cmp_ge_i32 s7, s5
	s_waitcnt lgkmcnt(3)
	v_fmac_f32_e32 v10, v21, v13
	v_fmac_f32_e32 v10, v22, v14
	ds_load_2addr_b32 v[21:22], v8 offset0:96 offset1:112
	s_waitcnt lgkmcnt(3)
	v_fmac_f32_e32 v10, v23, v15
	s_delay_alu instid0(VALU_DEP_1) | instskip(SKIP_4) | instid1(VALU_DEP_1)
	v_fmac_f32_e32 v10, v24, v16
	ds_load_2addr_b32 v[23:24], v8 offset0:128 offset1:144
	ds_load_b128 v[13:16], v9 offset:32
	s_waitcnt lgkmcnt(3)
	v_fmac_f32_e32 v10, v25, v17
	v_fmac_f32_e32 v10, v26, v18
	ds_load_2addr_b32 v[25:26], v8 offset0:160 offset1:176
	s_waitcnt lgkmcnt(3)
	v_fmac_f32_e32 v10, v21, v19
	s_delay_alu instid0(VALU_DEP_1) | instskip(SKIP_4) | instid1(VALU_DEP_1)
	v_fmac_f32_e32 v10, v22, v20
	ds_load_b128 v[17:20], v9 offset:48
	ds_load_2addr_b32 v[21:22], v8 offset0:192 offset1:208
	s_waitcnt lgkmcnt(3)
	v_fmac_f32_e32 v10, v23, v13
	v_fmac_f32_e32 v10, v24, v14
	ds_load_2addr_b32 v[13:14], v8 offset0:224 offset1:240
	s_waitcnt lgkmcnt(0)
	s_barrier
	buffer_gl0_inv
	v_fmac_f32_e32 v10, v25, v15
	s_delay_alu instid0(VALU_DEP_1) | instskip(NEXT) | instid1(VALU_DEP_1)
	v_fmac_f32_e32 v10, v26, v16
	v_fmac_f32_e32 v10, v21, v17
	s_delay_alu instid0(VALU_DEP_1) | instskip(NEXT) | instid1(VALU_DEP_1)
	v_fmac_f32_e32 v10, v22, v18
	v_fmac_f32_e32 v10, v13, v19
	s_delay_alu instid0(VALU_DEP_1)
	v_fmac_f32_e32 v10, v14, v20
	s_cbranch_scc1 .LBB50_8
.LBB50_3:                               ; =>This Inner Loop Header: Depth=1
	v_add_nc_u32_e32 v13, s7, v7
	s_delay_alu instid0(VALU_DEP_1) | instskip(SKIP_1) | instid1(VALU_DEP_2)
	v_cmp_gt_i32_e64 s3, s5, v13
	v_mov_b32_e32 v13, 0
	s_and_b32 s8, vcc_lo, s3
	s_delay_alu instid0(SALU_CYCLE_1)
	s_and_saveexec_b32 s3, s8
	s_cbranch_execz .LBB50_5
; %bb.4:                                ;   in Loop: Header=BB50_3 Depth=1
	global_load_b32 v13, v[3:4], off
.LBB50_5:                               ;   in Loop: Header=BB50_3 Depth=1
	s_or_b32 exec_lo, exec_lo, s3
	v_add_nc_u32_e32 v14, s7, v6
	s_waitcnt vmcnt(0)
	ds_store_b32 v11, v13
	v_cmp_gt_i32_e64 s3, s5, v14
	v_mov_b32_e32 v14, 0
	s_delay_alu instid0(VALU_DEP_2) | instskip(NEXT) | instid1(SALU_CYCLE_1)
	s_and_b32 s8, s2, s3
	s_and_saveexec_b32 s3, s8
	s_cbranch_execz .LBB50_2
; %bb.6:                                ;   in Loop: Header=BB50_3 Depth=1
	global_load_b32 v14, v[1:2], off
	s_branch .LBB50_2
.LBB50_7:
	v_mov_b32_e32 v10, 0
.LBB50_8:
	v_cmp_le_i32_e32 vcc_lo, v5, v0
	v_cmp_gt_i32_e64 s2, s4, v0
	s_delay_alu instid0(VALU_DEP_1) | instskip(NEXT) | instid1(SALU_CYCLE_1)
	s_and_b32 s2, vcc_lo, s2
	s_and_saveexec_b32 s3, s2
	s_cbranch_execz .LBB50_10
; %bb.9:
	s_clause 0x2
	s_load_b32 s4, s[0:1], 0x50
	s_load_b64 s[2:3], s[0:1], 0x58
	s_load_b64 s[0:1], s[0:1], 0x48
	v_ashrrev_i32_e32 v1, 31, v0
	v_mul_f32_e32 v4, s6, v10
	s_delay_alu instid0(VALU_DEP_2)
	v_lshlrev_b64 v[0:1], 2, v[0:1]
	s_waitcnt lgkmcnt(0)
	v_mad_i64_i32 v[2:3], null, s4, v5, 0
	s_mul_i32 s3, s15, s3
	s_mul_hi_u32 s4, s15, s2
	s_mul_i32 s2, s15, s2
	s_add_i32 s3, s4, s3
	s_delay_alu instid0(SALU_CYCLE_1) | instskip(NEXT) | instid1(VALU_DEP_1)
	s_lshl_b64 s[2:3], s[2:3], 2
	v_lshlrev_b64 v[2:3], 2, v[2:3]
	s_add_u32 s0, s0, s2
	s_addc_u32 s1, s1, s3
	s_delay_alu instid0(VALU_DEP_1) | instskip(NEXT) | instid1(VALU_DEP_2)
	v_add_co_u32 v2, vcc_lo, s0, v2
	v_add_co_ci_u32_e32 v3, vcc_lo, s1, v3, vcc_lo
	s_delay_alu instid0(VALU_DEP_2) | instskip(NEXT) | instid1(VALU_DEP_2)
	v_add_co_u32 v0, vcc_lo, v2, v0
	v_add_co_ci_u32_e32 v1, vcc_lo, v3, v1, vcc_lo
	global_store_b32 v[0:1], v4, off
.LBB50_10:
	s_nop 0
	s_sendmsg sendmsg(MSG_DEALLOC_VGPRS)
	s_endpgm
	.section	.rodata,"a",@progbits
	.p2align	6, 0x0
	.amdhsa_kernel _ZL32rocblas_syrkx_herkx_small_kernelIifLi16ELb1ELb0ELc84ELc76EKffEviT_T0_PT6_S1_lS4_S1_lS2_PT7_S1_li
		.amdhsa_group_segment_fixed_size 2048
		.amdhsa_private_segment_fixed_size 0
		.amdhsa_kernarg_size 100
		.amdhsa_user_sgpr_count 13
		.amdhsa_user_sgpr_dispatch_ptr 0
		.amdhsa_user_sgpr_queue_ptr 0
		.amdhsa_user_sgpr_kernarg_segment_ptr 1
		.amdhsa_user_sgpr_dispatch_id 0
		.amdhsa_user_sgpr_private_segment_size 0
		.amdhsa_wavefront_size32 1
		.amdhsa_uses_dynamic_stack 0
		.amdhsa_enable_private_segment 0
		.amdhsa_system_sgpr_workgroup_id_x 1
		.amdhsa_system_sgpr_workgroup_id_y 1
		.amdhsa_system_sgpr_workgroup_id_z 1
		.amdhsa_system_sgpr_workgroup_info 0
		.amdhsa_system_vgpr_workitem_id 1
		.amdhsa_next_free_vgpr 27
		.amdhsa_next_free_sgpr 18
		.amdhsa_reserve_vcc 1
		.amdhsa_float_round_mode_32 0
		.amdhsa_float_round_mode_16_64 0
		.amdhsa_float_denorm_mode_32 3
		.amdhsa_float_denorm_mode_16_64 3
		.amdhsa_dx10_clamp 1
		.amdhsa_ieee_mode 1
		.amdhsa_fp16_overflow 0
		.amdhsa_workgroup_processor_mode 1
		.amdhsa_memory_ordered 1
		.amdhsa_forward_progress 0
		.amdhsa_shared_vgpr_count 0
		.amdhsa_exception_fp_ieee_invalid_op 0
		.amdhsa_exception_fp_denorm_src 0
		.amdhsa_exception_fp_ieee_div_zero 0
		.amdhsa_exception_fp_ieee_overflow 0
		.amdhsa_exception_fp_ieee_underflow 0
		.amdhsa_exception_fp_ieee_inexact 0
		.amdhsa_exception_int_div_zero 0
	.end_amdhsa_kernel
	.section	.text._ZL32rocblas_syrkx_herkx_small_kernelIifLi16ELb1ELb0ELc84ELc76EKffEviT_T0_PT6_S1_lS4_S1_lS2_PT7_S1_li,"axG",@progbits,_ZL32rocblas_syrkx_herkx_small_kernelIifLi16ELb1ELb0ELc84ELc76EKffEviT_T0_PT6_S1_lS4_S1_lS2_PT7_S1_li,comdat
.Lfunc_end50:
	.size	_ZL32rocblas_syrkx_herkx_small_kernelIifLi16ELb1ELb0ELc84ELc76EKffEviT_T0_PT6_S1_lS4_S1_lS2_PT7_S1_li, .Lfunc_end50-_ZL32rocblas_syrkx_herkx_small_kernelIifLi16ELb1ELb0ELc84ELc76EKffEviT_T0_PT6_S1_lS4_S1_lS2_PT7_S1_li
                                        ; -- End function
	.section	.AMDGPU.csdata,"",@progbits
; Kernel info:
; codeLenInByte = 936
; NumSgprs: 20
; NumVgprs: 27
; ScratchSize: 0
; MemoryBound: 0
; FloatMode: 240
; IeeeMode: 1
; LDSByteSize: 2048 bytes/workgroup (compile time only)
; SGPRBlocks: 2
; VGPRBlocks: 3
; NumSGPRsForWavesPerEU: 20
; NumVGPRsForWavesPerEU: 27
; Occupancy: 16
; WaveLimiterHint : 0
; COMPUTE_PGM_RSRC2:SCRATCH_EN: 0
; COMPUTE_PGM_RSRC2:USER_SGPR: 13
; COMPUTE_PGM_RSRC2:TRAP_HANDLER: 0
; COMPUTE_PGM_RSRC2:TGID_X_EN: 1
; COMPUTE_PGM_RSRC2:TGID_Y_EN: 1
; COMPUTE_PGM_RSRC2:TGID_Z_EN: 1
; COMPUTE_PGM_RSRC2:TIDIG_COMP_CNT: 1
	.section	.text._ZL32rocblas_syrkx_herkx_small_kernelIifLi16ELb1ELb0ELc67ELc76EKffEviT_T0_PT6_S1_lS4_S1_lS2_PT7_S1_li,"axG",@progbits,_ZL32rocblas_syrkx_herkx_small_kernelIifLi16ELb1ELb0ELc67ELc76EKffEviT_T0_PT6_S1_lS4_S1_lS2_PT7_S1_li,comdat
	.globl	_ZL32rocblas_syrkx_herkx_small_kernelIifLi16ELb1ELb0ELc67ELc76EKffEviT_T0_PT6_S1_lS4_S1_lS2_PT7_S1_li ; -- Begin function _ZL32rocblas_syrkx_herkx_small_kernelIifLi16ELb1ELb0ELc67ELc76EKffEviT_T0_PT6_S1_lS4_S1_lS2_PT7_S1_li
	.p2align	8
	.type	_ZL32rocblas_syrkx_herkx_small_kernelIifLi16ELb1ELb0ELc67ELc76EKffEviT_T0_PT6_S1_lS4_S1_lS2_PT7_S1_li,@function
_ZL32rocblas_syrkx_herkx_small_kernelIifLi16ELb1ELb0ELc67ELc76EKffEviT_T0_PT6_S1_lS4_S1_lS2_PT7_S1_li: ; @_ZL32rocblas_syrkx_herkx_small_kernelIifLi16ELb1ELb0ELc67ELc76EKffEviT_T0_PT6_S1_lS4_S1_lS2_PT7_S1_li
; %bb.0:
	s_load_b128 s[4:7], s[0:1], 0x0
	v_and_b32_e32 v6, 0x3ff, v0
	v_bfe_u32 v7, v0, 10, 10
	s_waitcnt lgkmcnt(0)
	s_mov_b32 s7, 0
	s_delay_alu instid0(VALU_DEP_2) | instskip(NEXT) | instid1(VALU_DEP_2)
	v_lshl_add_u32 v0, s13, 4, v6
	v_lshl_add_u32 v5, s14, 4, v7
	s_delay_alu instid0(VALU_DEP_2)
	v_cmp_gt_i32_e32 vcc_lo, s4, v0
	s_cmp_lt_i32 s5, 1
	s_cbranch_scc1 .LBB51_7
; %bb.1:
	s_clause 0x3
	s_load_b32 s3, s[0:1], 0x30
	s_load_b64 s[12:13], s[0:1], 0x38
	s_load_b32 s14, s[0:1], 0x18
	s_load_b128 s[8:11], s[0:1], 0x20
	v_lshlrev_b32_e32 v1, 6, v7
	v_lshlrev_b32_e32 v8, 2, v6
	s_load_b64 s[16:17], s[0:1], 0x10
	v_lshlrev_b32_e32 v10, 2, v7
	v_cmp_gt_i32_e64 s2, s4, v5
	v_add_nc_u32_e32 v9, 0x400, v1
	v_add_nc_u32_e32 v11, v8, v1
	s_delay_alu instid0(VALU_DEP_2)
	v_add_nc_u32_e32 v12, v9, v8
	s_waitcnt lgkmcnt(0)
	v_mad_i64_i32 v[1:2], null, s3, v5, 0
	v_mad_i64_i32 v[3:4], null, s14, v0, 0
	s_mul_i32 s3, s13, s15
	s_mul_hi_u32 s13, s12, s15
	s_mul_i32 s12, s12, s15
	s_add_i32 s13, s13, s3
	s_delay_alu instid0(VALU_DEP_2)
	v_lshlrev_b64 v[1:2], 2, v[1:2]
	s_mul_i32 s9, s9, s15
	s_mul_hi_u32 s14, s8, s15
	v_lshlrev_b64 v[3:4], 2, v[3:4]
	s_lshl_b64 s[12:13], s[12:13], 2
	s_mul_i32 s8, s8, s15
	s_add_i32 s9, s14, s9
	v_add_co_u32 v1, s3, v1, s12
	s_lshl_b64 s[8:9], s[8:9], 2
	v_add_co_ci_u32_e64 v2, s3, s13, v2, s3
	v_add_co_u32 v3, s3, v3, s8
	s_delay_alu instid0(VALU_DEP_1) | instskip(SKIP_1) | instid1(VALU_DEP_1)
	v_add_co_ci_u32_e64 v4, s3, s9, v4, s3
	v_add_co_u32 v1, s3, v1, v8
	v_add_co_ci_u32_e64 v2, s3, 0, v2, s3
	s_delay_alu instid0(VALU_DEP_4) | instskip(SKIP_3) | instid1(VALU_DEP_1)
	v_add_co_u32 v3, s3, v3, v10
	v_mov_b32_e32 v10, 0
	v_add_co_ci_u32_e64 v4, s3, 0, v4, s3
	v_add_co_u32 v1, s3, s10, v1
	v_add_co_ci_u32_e64 v2, s3, s11, v2, s3
	v_add_co_u32 v3, s3, s16, v3
	s_delay_alu instid0(VALU_DEP_1)
	v_add_co_ci_u32_e64 v4, s3, s17, v4, s3
	s_branch .LBB51_3
.LBB51_2:                               ;   in Loop: Header=BB51_3 Depth=1
	s_or_b32 exec_lo, exec_lo, s3
	s_waitcnt vmcnt(0)
	ds_store_b32 v12, v14
	s_waitcnt lgkmcnt(0)
	s_barrier
	buffer_gl0_inv
	ds_load_2addr_b32 v[21:22], v8 offset1:16
	ds_load_b128 v[13:16], v9
	ds_load_2addr_b32 v[23:24], v8 offset0:32 offset1:48
	ds_load_b128 v[17:20], v9 offset:16
	ds_load_2addr_b32 v[25:26], v8 offset0:64 offset1:80
	v_add_co_u32 v1, s3, v1, 64
	s_delay_alu instid0(VALU_DEP_1) | instskip(SKIP_1) | instid1(VALU_DEP_1)
	v_add_co_ci_u32_e64 v2, s3, 0, v2, s3
	v_add_co_u32 v3, s3, v3, 64
	v_add_co_ci_u32_e64 v4, s3, 0, v4, s3
	s_add_i32 s7, s7, 16
	s_delay_alu instid0(SALU_CYCLE_1) | instskip(SKIP_2) | instid1(VALU_DEP_1)
	s_cmp_ge_i32 s7, s5
	s_waitcnt lgkmcnt(3)
	v_fmac_f32_e32 v10, v21, v13
	v_fmac_f32_e32 v10, v22, v14
	ds_load_2addr_b32 v[21:22], v8 offset0:96 offset1:112
	s_waitcnt lgkmcnt(3)
	v_fmac_f32_e32 v10, v23, v15
	s_delay_alu instid0(VALU_DEP_1) | instskip(SKIP_4) | instid1(VALU_DEP_1)
	v_fmac_f32_e32 v10, v24, v16
	ds_load_2addr_b32 v[23:24], v8 offset0:128 offset1:144
	ds_load_b128 v[13:16], v9 offset:32
	s_waitcnt lgkmcnt(3)
	v_fmac_f32_e32 v10, v25, v17
	v_fmac_f32_e32 v10, v26, v18
	ds_load_2addr_b32 v[25:26], v8 offset0:160 offset1:176
	s_waitcnt lgkmcnt(3)
	v_fmac_f32_e32 v10, v21, v19
	s_delay_alu instid0(VALU_DEP_1) | instskip(SKIP_4) | instid1(VALU_DEP_1)
	v_fmac_f32_e32 v10, v22, v20
	ds_load_b128 v[17:20], v9 offset:48
	ds_load_2addr_b32 v[21:22], v8 offset0:192 offset1:208
	s_waitcnt lgkmcnt(3)
	v_fmac_f32_e32 v10, v23, v13
	v_fmac_f32_e32 v10, v24, v14
	ds_load_2addr_b32 v[13:14], v8 offset0:224 offset1:240
	s_waitcnt lgkmcnt(0)
	s_barrier
	buffer_gl0_inv
	v_fmac_f32_e32 v10, v25, v15
	s_delay_alu instid0(VALU_DEP_1) | instskip(NEXT) | instid1(VALU_DEP_1)
	v_fmac_f32_e32 v10, v26, v16
	v_fmac_f32_e32 v10, v21, v17
	s_delay_alu instid0(VALU_DEP_1) | instskip(NEXT) | instid1(VALU_DEP_1)
	v_fmac_f32_e32 v10, v22, v18
	v_fmac_f32_e32 v10, v13, v19
	s_delay_alu instid0(VALU_DEP_1)
	v_fmac_f32_e32 v10, v14, v20
	s_cbranch_scc1 .LBB51_8
.LBB51_3:                               ; =>This Inner Loop Header: Depth=1
	v_add_nc_u32_e32 v13, s7, v7
	s_delay_alu instid0(VALU_DEP_1) | instskip(SKIP_1) | instid1(VALU_DEP_2)
	v_cmp_gt_i32_e64 s3, s5, v13
	v_mov_b32_e32 v13, 0
	s_and_b32 s8, vcc_lo, s3
	s_delay_alu instid0(SALU_CYCLE_1)
	s_and_saveexec_b32 s3, s8
	s_cbranch_execz .LBB51_5
; %bb.4:                                ;   in Loop: Header=BB51_3 Depth=1
	global_load_b32 v13, v[3:4], off
.LBB51_5:                               ;   in Loop: Header=BB51_3 Depth=1
	s_or_b32 exec_lo, exec_lo, s3
	v_add_nc_u32_e32 v14, s7, v6
	s_waitcnt vmcnt(0)
	ds_store_b32 v11, v13
	v_cmp_gt_i32_e64 s3, s5, v14
	v_mov_b32_e32 v14, 0
	s_delay_alu instid0(VALU_DEP_2) | instskip(NEXT) | instid1(SALU_CYCLE_1)
	s_and_b32 s8, s2, s3
	s_and_saveexec_b32 s3, s8
	s_cbranch_execz .LBB51_2
; %bb.6:                                ;   in Loop: Header=BB51_3 Depth=1
	global_load_b32 v14, v[1:2], off
	s_branch .LBB51_2
.LBB51_7:
	v_mov_b32_e32 v10, 0
.LBB51_8:
	v_cmp_le_i32_e32 vcc_lo, v5, v0
	v_cmp_gt_i32_e64 s2, s4, v0
	s_delay_alu instid0(VALU_DEP_1) | instskip(NEXT) | instid1(SALU_CYCLE_1)
	s_and_b32 s2, vcc_lo, s2
	s_and_saveexec_b32 s3, s2
	s_cbranch_execz .LBB51_10
; %bb.9:
	s_clause 0x2
	s_load_b32 s4, s[0:1], 0x50
	s_load_b64 s[2:3], s[0:1], 0x58
	s_load_b64 s[0:1], s[0:1], 0x48
	v_ashrrev_i32_e32 v1, 31, v0
	v_mul_f32_e32 v4, s6, v10
	s_delay_alu instid0(VALU_DEP_2)
	v_lshlrev_b64 v[0:1], 2, v[0:1]
	s_waitcnt lgkmcnt(0)
	v_mad_i64_i32 v[2:3], null, s4, v5, 0
	s_mul_i32 s3, s15, s3
	s_mul_hi_u32 s4, s15, s2
	s_mul_i32 s2, s15, s2
	s_add_i32 s3, s4, s3
	s_delay_alu instid0(SALU_CYCLE_1) | instskip(NEXT) | instid1(VALU_DEP_1)
	s_lshl_b64 s[2:3], s[2:3], 2
	v_lshlrev_b64 v[2:3], 2, v[2:3]
	s_add_u32 s0, s0, s2
	s_addc_u32 s1, s1, s3
	s_delay_alu instid0(VALU_DEP_1) | instskip(NEXT) | instid1(VALU_DEP_2)
	v_add_co_u32 v2, vcc_lo, s0, v2
	v_add_co_ci_u32_e32 v3, vcc_lo, s1, v3, vcc_lo
	s_delay_alu instid0(VALU_DEP_2) | instskip(NEXT) | instid1(VALU_DEP_2)
	v_add_co_u32 v0, vcc_lo, v2, v0
	v_add_co_ci_u32_e32 v1, vcc_lo, v3, v1, vcc_lo
	global_store_b32 v[0:1], v4, off
.LBB51_10:
	s_nop 0
	s_sendmsg sendmsg(MSG_DEALLOC_VGPRS)
	s_endpgm
	.section	.rodata,"a",@progbits
	.p2align	6, 0x0
	.amdhsa_kernel _ZL32rocblas_syrkx_herkx_small_kernelIifLi16ELb1ELb0ELc67ELc76EKffEviT_T0_PT6_S1_lS4_S1_lS2_PT7_S1_li
		.amdhsa_group_segment_fixed_size 2048
		.amdhsa_private_segment_fixed_size 0
		.amdhsa_kernarg_size 100
		.amdhsa_user_sgpr_count 13
		.amdhsa_user_sgpr_dispatch_ptr 0
		.amdhsa_user_sgpr_queue_ptr 0
		.amdhsa_user_sgpr_kernarg_segment_ptr 1
		.amdhsa_user_sgpr_dispatch_id 0
		.amdhsa_user_sgpr_private_segment_size 0
		.amdhsa_wavefront_size32 1
		.amdhsa_uses_dynamic_stack 0
		.amdhsa_enable_private_segment 0
		.amdhsa_system_sgpr_workgroup_id_x 1
		.amdhsa_system_sgpr_workgroup_id_y 1
		.amdhsa_system_sgpr_workgroup_id_z 1
		.amdhsa_system_sgpr_workgroup_info 0
		.amdhsa_system_vgpr_workitem_id 1
		.amdhsa_next_free_vgpr 27
		.amdhsa_next_free_sgpr 18
		.amdhsa_reserve_vcc 1
		.amdhsa_float_round_mode_32 0
		.amdhsa_float_round_mode_16_64 0
		.amdhsa_float_denorm_mode_32 3
		.amdhsa_float_denorm_mode_16_64 3
		.amdhsa_dx10_clamp 1
		.amdhsa_ieee_mode 1
		.amdhsa_fp16_overflow 0
		.amdhsa_workgroup_processor_mode 1
		.amdhsa_memory_ordered 1
		.amdhsa_forward_progress 0
		.amdhsa_shared_vgpr_count 0
		.amdhsa_exception_fp_ieee_invalid_op 0
		.amdhsa_exception_fp_denorm_src 0
		.amdhsa_exception_fp_ieee_div_zero 0
		.amdhsa_exception_fp_ieee_overflow 0
		.amdhsa_exception_fp_ieee_underflow 0
		.amdhsa_exception_fp_ieee_inexact 0
		.amdhsa_exception_int_div_zero 0
	.end_amdhsa_kernel
	.section	.text._ZL32rocblas_syrkx_herkx_small_kernelIifLi16ELb1ELb0ELc67ELc76EKffEviT_T0_PT6_S1_lS4_S1_lS2_PT7_S1_li,"axG",@progbits,_ZL32rocblas_syrkx_herkx_small_kernelIifLi16ELb1ELb0ELc67ELc76EKffEviT_T0_PT6_S1_lS4_S1_lS2_PT7_S1_li,comdat
.Lfunc_end51:
	.size	_ZL32rocblas_syrkx_herkx_small_kernelIifLi16ELb1ELb0ELc67ELc76EKffEviT_T0_PT6_S1_lS4_S1_lS2_PT7_S1_li, .Lfunc_end51-_ZL32rocblas_syrkx_herkx_small_kernelIifLi16ELb1ELb0ELc67ELc76EKffEviT_T0_PT6_S1_lS4_S1_lS2_PT7_S1_li
                                        ; -- End function
	.section	.AMDGPU.csdata,"",@progbits
; Kernel info:
; codeLenInByte = 936
; NumSgprs: 20
; NumVgprs: 27
; ScratchSize: 0
; MemoryBound: 0
; FloatMode: 240
; IeeeMode: 1
; LDSByteSize: 2048 bytes/workgroup (compile time only)
; SGPRBlocks: 2
; VGPRBlocks: 3
; NumSGPRsForWavesPerEU: 20
; NumVGPRsForWavesPerEU: 27
; Occupancy: 16
; WaveLimiterHint : 0
; COMPUTE_PGM_RSRC2:SCRATCH_EN: 0
; COMPUTE_PGM_RSRC2:USER_SGPR: 13
; COMPUTE_PGM_RSRC2:TRAP_HANDLER: 0
; COMPUTE_PGM_RSRC2:TGID_X_EN: 1
; COMPUTE_PGM_RSRC2:TGID_Y_EN: 1
; COMPUTE_PGM_RSRC2:TGID_Z_EN: 1
; COMPUTE_PGM_RSRC2:TIDIG_COMP_CNT: 1
	.section	.text._ZL32rocblas_syrkx_herkx_small_kernelIifLi16ELb1ELb0ELc78ELc76EKffEviT_T0_PT6_S1_lS4_S1_lS2_PT7_S1_li,"axG",@progbits,_ZL32rocblas_syrkx_herkx_small_kernelIifLi16ELb1ELb0ELc78ELc76EKffEviT_T0_PT6_S1_lS4_S1_lS2_PT7_S1_li,comdat
	.globl	_ZL32rocblas_syrkx_herkx_small_kernelIifLi16ELb1ELb0ELc78ELc76EKffEviT_T0_PT6_S1_lS4_S1_lS2_PT7_S1_li ; -- Begin function _ZL32rocblas_syrkx_herkx_small_kernelIifLi16ELb1ELb0ELc78ELc76EKffEviT_T0_PT6_S1_lS4_S1_lS2_PT7_S1_li
	.p2align	8
	.type	_ZL32rocblas_syrkx_herkx_small_kernelIifLi16ELb1ELb0ELc78ELc76EKffEviT_T0_PT6_S1_lS4_S1_lS2_PT7_S1_li,@function
_ZL32rocblas_syrkx_herkx_small_kernelIifLi16ELb1ELb0ELc78ELc76EKffEviT_T0_PT6_S1_lS4_S1_lS2_PT7_S1_li: ; @_ZL32rocblas_syrkx_herkx_small_kernelIifLi16ELb1ELb0ELc78ELc76EKffEviT_T0_PT6_S1_lS4_S1_lS2_PT7_S1_li
; %bb.0:
	s_load_b128 s[4:7], s[0:1], 0x0
	v_and_b32_e32 v7, 0x3ff, v0
	v_bfe_u32 v8, v0, 10, 10
	s_waitcnt lgkmcnt(0)
	s_mov_b32 s7, 0
	s_delay_alu instid0(VALU_DEP_2) | instskip(NEXT) | instid1(VALU_DEP_2)
	v_lshl_add_u32 v0, s13, 4, v7
	v_lshl_add_u32 v2, s14, 4, v8
	s_delay_alu instid0(VALU_DEP_2)
	v_ashrrev_i32_e32 v1, 31, v0
	v_cmp_gt_i32_e32 vcc_lo, s4, v0
	s_cmp_lt_i32 s5, 1
	s_cbranch_scc1 .LBB52_7
; %bb.1:
	s_clause 0x3
	s_load_b32 s12, s[0:1], 0x30
	s_load_b64 s[16:17], s[0:1], 0x38
	s_load_b128 s[8:11], s[0:1], 0x20
	s_load_b32 s18, s[0:1], 0x18
	v_lshlrev_b32_e32 v4, 6, v8
	v_lshlrev_b32_e32 v9, 2, v7
	v_ashrrev_i32_e32 v3, 31, v2
	s_load_b64 s[20:21], s[0:1], 0x10
	v_cmp_gt_i32_e64 s2, s4, v2
	v_add_nc_u32_e32 v10, 0x400, v4
	v_add_nc_u32_e32 v11, v9, v4
	v_lshlrev_b64 v[3:4], 2, v[2:3]
	s_waitcnt lgkmcnt(0)
	v_mad_i64_i32 v[5:6], null, s12, v7, 0
	s_mul_i32 s3, s17, s15
	v_mad_i64_i32 v[14:15], null, s18, v8, 0
	s_mul_hi_u32 s14, s16, s15
	s_mul_i32 s16, s16, s15
	s_add_i32 s17, s14, s3
	s_delay_alu instid0(VALU_DEP_2) | instskip(SKIP_2) | instid1(VALU_DEP_2)
	v_lshlrev_b64 v[5:6], 2, v[5:6]
	s_mul_i32 s9, s9, s15
	s_mul_hi_u32 s19, s8, s15
	v_lshlrev_b64 v[14:15], 2, v[14:15]
	s_lshl_b64 s[16:17], s[16:17], 2
	s_mul_i32 s8, s8, s15
	s_add_i32 s9, s19, s9
	v_add_co_u32 v12, s3, s16, v5
	s_lshl_b64 s[8:9], s[8:9], 2
	v_add_co_ci_u32_e64 v16, s3, s17, v6, s3
	v_add_co_u32 v14, s3, s8, v14
	v_lshlrev_b64 v[5:6], 2, v[0:1]
	v_add_co_ci_u32_e64 v15, s3, s9, v15, s3
	v_add_co_u32 v3, s3, v12, v3
	v_mov_b32_e32 v12, 0
	v_add_co_ci_u32_e64 v4, s3, v16, v4, s3
	v_add_co_u32 v5, s3, v14, v5
	s_delay_alu instid0(VALU_DEP_1) | instskip(SKIP_1) | instid1(VALU_DEP_1)
	v_add_co_ci_u32_e64 v6, s3, v15, v6, s3
	v_add_co_u32 v3, s3, s10, v3
	v_add_co_ci_u32_e64 v4, s3, s11, v4, s3
	s_delay_alu instid0(VALU_DEP_4)
	v_add_co_u32 v5, s3, s20, v5
	v_add_nc_u32_e32 v13, v10, v9
	v_add_co_ci_u32_e64 v6, s3, s21, v6, s3
	s_ashr_i32 s13, s12, 31
	s_ashr_i32 s19, s18, 31
	s_lshl_b64 s[8:9], s[12:13], 6
	s_lshl_b64 s[10:11], s[18:19], 6
	s_branch .LBB52_3
.LBB52_2:                               ;   in Loop: Header=BB52_3 Depth=1
	s_or_b32 exec_lo, exec_lo, s3
	s_waitcnt vmcnt(0)
	ds_store_b32 v13, v15
	s_waitcnt lgkmcnt(0)
	s_barrier
	buffer_gl0_inv
	ds_load_2addr_b32 v[22:23], v9 offset1:16
	ds_load_b128 v[14:17], v10
	ds_load_2addr_b32 v[24:25], v9 offset0:32 offset1:48
	ds_load_b128 v[18:21], v10 offset:16
	ds_load_2addr_b32 v[26:27], v9 offset0:64 offset1:80
	v_add_co_u32 v3, s3, v3, s8
	s_delay_alu instid0(VALU_DEP_1) | instskip(SKIP_1) | instid1(VALU_DEP_1)
	v_add_co_ci_u32_e64 v4, s3, s9, v4, s3
	v_add_co_u32 v5, s3, v5, s10
	v_add_co_ci_u32_e64 v6, s3, s11, v6, s3
	s_add_i32 s7, s7, 16
	s_delay_alu instid0(SALU_CYCLE_1) | instskip(SKIP_2) | instid1(VALU_DEP_1)
	s_cmp_ge_i32 s7, s5
	s_waitcnt lgkmcnt(3)
	v_fmac_f32_e32 v12, v22, v14
	v_fmac_f32_e32 v12, v23, v15
	ds_load_2addr_b32 v[22:23], v9 offset0:96 offset1:112
	s_waitcnt lgkmcnt(3)
	v_fmac_f32_e32 v12, v24, v16
	s_delay_alu instid0(VALU_DEP_1) | instskip(SKIP_4) | instid1(VALU_DEP_1)
	v_fmac_f32_e32 v12, v25, v17
	ds_load_2addr_b32 v[24:25], v9 offset0:128 offset1:144
	ds_load_b128 v[14:17], v10 offset:32
	s_waitcnt lgkmcnt(3)
	v_fmac_f32_e32 v12, v26, v18
	v_fmac_f32_e32 v12, v27, v19
	ds_load_2addr_b32 v[26:27], v9 offset0:160 offset1:176
	s_waitcnt lgkmcnt(3)
	v_fmac_f32_e32 v12, v22, v20
	s_delay_alu instid0(VALU_DEP_1) | instskip(SKIP_4) | instid1(VALU_DEP_1)
	v_fmac_f32_e32 v12, v23, v21
	ds_load_b128 v[18:21], v10 offset:48
	ds_load_2addr_b32 v[22:23], v9 offset0:192 offset1:208
	s_waitcnt lgkmcnt(3)
	v_fmac_f32_e32 v12, v24, v14
	v_fmac_f32_e32 v12, v25, v15
	ds_load_2addr_b32 v[14:15], v9 offset0:224 offset1:240
	s_waitcnt lgkmcnt(0)
	s_barrier
	buffer_gl0_inv
	v_fmac_f32_e32 v12, v26, v16
	s_delay_alu instid0(VALU_DEP_1) | instskip(NEXT) | instid1(VALU_DEP_1)
	v_fmac_f32_e32 v12, v27, v17
	v_fmac_f32_e32 v12, v22, v18
	s_delay_alu instid0(VALU_DEP_1) | instskip(NEXT) | instid1(VALU_DEP_1)
	v_fmac_f32_e32 v12, v23, v19
	v_fmac_f32_e32 v12, v14, v20
	s_delay_alu instid0(VALU_DEP_1)
	v_fmac_f32_e32 v12, v15, v21
	s_cbranch_scc1 .LBB52_8
.LBB52_3:                               ; =>This Inner Loop Header: Depth=1
	v_add_nc_u32_e32 v14, s7, v8
	s_delay_alu instid0(VALU_DEP_1) | instskip(SKIP_1) | instid1(VALU_DEP_2)
	v_cmp_gt_i32_e64 s3, s5, v14
	v_mov_b32_e32 v14, 0
	s_and_b32 s12, vcc_lo, s3
	s_delay_alu instid0(SALU_CYCLE_1)
	s_and_saveexec_b32 s3, s12
	s_cbranch_execz .LBB52_5
; %bb.4:                                ;   in Loop: Header=BB52_3 Depth=1
	global_load_b32 v14, v[5:6], off
.LBB52_5:                               ;   in Loop: Header=BB52_3 Depth=1
	s_or_b32 exec_lo, exec_lo, s3
	v_add_nc_u32_e32 v15, s7, v7
	s_waitcnt vmcnt(0)
	ds_store_b32 v11, v14
	v_cmp_gt_i32_e64 s3, s5, v15
	v_mov_b32_e32 v15, 0
	s_delay_alu instid0(VALU_DEP_2) | instskip(NEXT) | instid1(SALU_CYCLE_1)
	s_and_b32 s12, s2, s3
	s_and_saveexec_b32 s3, s12
	s_cbranch_execz .LBB52_2
; %bb.6:                                ;   in Loop: Header=BB52_3 Depth=1
	global_load_b32 v15, v[3:4], off
	s_branch .LBB52_2
.LBB52_7:
	v_mov_b32_e32 v12, 0
.LBB52_8:
	v_cmp_le_i32_e32 vcc_lo, v2, v0
	v_cmp_gt_i32_e64 s2, s4, v0
	s_delay_alu instid0(VALU_DEP_1) | instskip(NEXT) | instid1(SALU_CYCLE_1)
	s_and_b32 s2, vcc_lo, s2
	s_and_saveexec_b32 s3, s2
	s_cbranch_execz .LBB52_10
; %bb.9:
	s_clause 0x2
	s_load_b32 s4, s[0:1], 0x50
	s_load_b64 s[2:3], s[0:1], 0x58
	s_load_b64 s[0:1], s[0:1], 0x48
	v_lshlrev_b64 v[0:1], 2, v[0:1]
	s_waitcnt lgkmcnt(0)
	v_mad_i64_i32 v[3:4], null, s4, v2, 0
	s_mul_i32 s3, s15, s3
	s_mul_hi_u32 s4, s15, s2
	s_mul_i32 s2, s15, s2
	s_add_i32 s3, s4, s3
	s_delay_alu instid0(SALU_CYCLE_1) | instskip(NEXT) | instid1(VALU_DEP_1)
	s_lshl_b64 s[2:3], s[2:3], 2
	v_lshlrev_b64 v[2:3], 2, v[3:4]
	s_add_u32 s0, s0, s2
	s_addc_u32 s1, s1, s3
	v_mul_f32_e32 v4, s6, v12
	s_delay_alu instid0(VALU_DEP_2) | instskip(NEXT) | instid1(VALU_DEP_3)
	v_add_co_u32 v2, vcc_lo, s0, v2
	v_add_co_ci_u32_e32 v3, vcc_lo, s1, v3, vcc_lo
	s_delay_alu instid0(VALU_DEP_2) | instskip(NEXT) | instid1(VALU_DEP_2)
	v_add_co_u32 v0, vcc_lo, v2, v0
	v_add_co_ci_u32_e32 v1, vcc_lo, v3, v1, vcc_lo
	global_store_b32 v[0:1], v4, off
.LBB52_10:
	s_nop 0
	s_sendmsg sendmsg(MSG_DEALLOC_VGPRS)
	s_endpgm
	.section	.rodata,"a",@progbits
	.p2align	6, 0x0
	.amdhsa_kernel _ZL32rocblas_syrkx_herkx_small_kernelIifLi16ELb1ELb0ELc78ELc76EKffEviT_T0_PT6_S1_lS4_S1_lS2_PT7_S1_li
		.amdhsa_group_segment_fixed_size 2048
		.amdhsa_private_segment_fixed_size 0
		.amdhsa_kernarg_size 100
		.amdhsa_user_sgpr_count 13
		.amdhsa_user_sgpr_dispatch_ptr 0
		.amdhsa_user_sgpr_queue_ptr 0
		.amdhsa_user_sgpr_kernarg_segment_ptr 1
		.amdhsa_user_sgpr_dispatch_id 0
		.amdhsa_user_sgpr_private_segment_size 0
		.amdhsa_wavefront_size32 1
		.amdhsa_uses_dynamic_stack 0
		.amdhsa_enable_private_segment 0
		.amdhsa_system_sgpr_workgroup_id_x 1
		.amdhsa_system_sgpr_workgroup_id_y 1
		.amdhsa_system_sgpr_workgroup_id_z 1
		.amdhsa_system_sgpr_workgroup_info 0
		.amdhsa_system_vgpr_workitem_id 1
		.amdhsa_next_free_vgpr 28
		.amdhsa_next_free_sgpr 22
		.amdhsa_reserve_vcc 1
		.amdhsa_float_round_mode_32 0
		.amdhsa_float_round_mode_16_64 0
		.amdhsa_float_denorm_mode_32 3
		.amdhsa_float_denorm_mode_16_64 3
		.amdhsa_dx10_clamp 1
		.amdhsa_ieee_mode 1
		.amdhsa_fp16_overflow 0
		.amdhsa_workgroup_processor_mode 1
		.amdhsa_memory_ordered 1
		.amdhsa_forward_progress 0
		.amdhsa_shared_vgpr_count 0
		.amdhsa_exception_fp_ieee_invalid_op 0
		.amdhsa_exception_fp_denorm_src 0
		.amdhsa_exception_fp_ieee_div_zero 0
		.amdhsa_exception_fp_ieee_overflow 0
		.amdhsa_exception_fp_ieee_underflow 0
		.amdhsa_exception_fp_ieee_inexact 0
		.amdhsa_exception_int_div_zero 0
	.end_amdhsa_kernel
	.section	.text._ZL32rocblas_syrkx_herkx_small_kernelIifLi16ELb1ELb0ELc78ELc76EKffEviT_T0_PT6_S1_lS4_S1_lS2_PT7_S1_li,"axG",@progbits,_ZL32rocblas_syrkx_herkx_small_kernelIifLi16ELb1ELb0ELc78ELc76EKffEviT_T0_PT6_S1_lS4_S1_lS2_PT7_S1_li,comdat
.Lfunc_end52:
	.size	_ZL32rocblas_syrkx_herkx_small_kernelIifLi16ELb1ELb0ELc78ELc76EKffEviT_T0_PT6_S1_lS4_S1_lS2_PT7_S1_li, .Lfunc_end52-_ZL32rocblas_syrkx_herkx_small_kernelIifLi16ELb1ELb0ELc78ELc76EKffEviT_T0_PT6_S1_lS4_S1_lS2_PT7_S1_li
                                        ; -- End function
	.section	.AMDGPU.csdata,"",@progbits
; Kernel info:
; codeLenInByte = 956
; NumSgprs: 24
; NumVgprs: 28
; ScratchSize: 0
; MemoryBound: 0
; FloatMode: 240
; IeeeMode: 1
; LDSByteSize: 2048 bytes/workgroup (compile time only)
; SGPRBlocks: 2
; VGPRBlocks: 3
; NumSGPRsForWavesPerEU: 24
; NumVGPRsForWavesPerEU: 28
; Occupancy: 16
; WaveLimiterHint : 0
; COMPUTE_PGM_RSRC2:SCRATCH_EN: 0
; COMPUTE_PGM_RSRC2:USER_SGPR: 13
; COMPUTE_PGM_RSRC2:TRAP_HANDLER: 0
; COMPUTE_PGM_RSRC2:TGID_X_EN: 1
; COMPUTE_PGM_RSRC2:TGID_Y_EN: 1
; COMPUTE_PGM_RSRC2:TGID_Z_EN: 1
; COMPUTE_PGM_RSRC2:TIDIG_COMP_CNT: 1
	.section	.text._ZL32rocblas_syrkx_herkx_small_kernelIifLi16ELb1ELb0ELc84ELc85EKffEviT_T0_PT6_S1_lS4_S1_lS2_PT7_S1_li,"axG",@progbits,_ZL32rocblas_syrkx_herkx_small_kernelIifLi16ELb1ELb0ELc84ELc85EKffEviT_T0_PT6_S1_lS4_S1_lS2_PT7_S1_li,comdat
	.globl	_ZL32rocblas_syrkx_herkx_small_kernelIifLi16ELb1ELb0ELc84ELc85EKffEviT_T0_PT6_S1_lS4_S1_lS2_PT7_S1_li ; -- Begin function _ZL32rocblas_syrkx_herkx_small_kernelIifLi16ELb1ELb0ELc84ELc85EKffEviT_T0_PT6_S1_lS4_S1_lS2_PT7_S1_li
	.p2align	8
	.type	_ZL32rocblas_syrkx_herkx_small_kernelIifLi16ELb1ELb0ELc84ELc85EKffEviT_T0_PT6_S1_lS4_S1_lS2_PT7_S1_li,@function
_ZL32rocblas_syrkx_herkx_small_kernelIifLi16ELb1ELb0ELc84ELc85EKffEviT_T0_PT6_S1_lS4_S1_lS2_PT7_S1_li: ; @_ZL32rocblas_syrkx_herkx_small_kernelIifLi16ELb1ELb0ELc84ELc85EKffEviT_T0_PT6_S1_lS4_S1_lS2_PT7_S1_li
; %bb.0:
	s_load_b128 s[4:7], s[0:1], 0x0
	v_bfe_u32 v6, v0, 10, 10
	v_and_b32_e32 v7, 0x3ff, v0
	s_waitcnt lgkmcnt(0)
	s_mov_b32 s7, 0
	s_delay_alu instid0(VALU_DEP_2) | instskip(NEXT) | instid1(VALU_DEP_2)
	v_lshl_add_u32 v5, s14, 4, v6
	v_lshl_add_u32 v0, s13, 4, v7
	s_delay_alu instid0(VALU_DEP_2)
	v_cmp_gt_i32_e32 vcc_lo, s4, v5
	s_cmp_lt_i32 s5, 1
	s_cbranch_scc1 .LBB53_7
; %bb.1:
	s_clause 0x3
	s_load_b32 s3, s[0:1], 0x30
	s_load_b64 s[12:13], s[0:1], 0x38
	s_load_b32 s14, s[0:1], 0x18
	s_load_b128 s[8:11], s[0:1], 0x20
	v_lshlrev_b32_e32 v1, 6, v6
	v_lshlrev_b32_e32 v8, 2, v7
	s_load_b64 s[16:17], s[0:1], 0x10
	v_lshlrev_b32_e32 v10, 2, v6
	v_cmp_gt_i32_e64 s2, s4, v0
	v_add_nc_u32_e32 v9, 0x400, v1
	v_add_nc_u32_e32 v11, v8, v1
	s_delay_alu instid0(VALU_DEP_2)
	v_add_nc_u32_e32 v12, v9, v8
	s_waitcnt lgkmcnt(0)
	v_mad_i64_i32 v[1:2], null, s3, v5, 0
	v_mad_i64_i32 v[3:4], null, s14, v0, 0
	s_mul_i32 s3, s13, s15
	s_mul_hi_u32 s13, s12, s15
	s_mul_i32 s12, s12, s15
	s_add_i32 s13, s13, s3
	s_delay_alu instid0(VALU_DEP_2)
	v_lshlrev_b64 v[1:2], 2, v[1:2]
	s_mul_i32 s9, s9, s15
	s_mul_hi_u32 s14, s8, s15
	v_lshlrev_b64 v[3:4], 2, v[3:4]
	s_lshl_b64 s[12:13], s[12:13], 2
	s_mul_i32 s8, s8, s15
	s_add_i32 s9, s14, s9
	v_add_co_u32 v1, s3, v1, s12
	s_lshl_b64 s[8:9], s[8:9], 2
	v_add_co_ci_u32_e64 v2, s3, s13, v2, s3
	v_add_co_u32 v3, s3, v3, s8
	s_delay_alu instid0(VALU_DEP_1) | instskip(SKIP_1) | instid1(VALU_DEP_1)
	v_add_co_ci_u32_e64 v4, s3, s9, v4, s3
	v_add_co_u32 v1, s3, v1, v8
	v_add_co_ci_u32_e64 v2, s3, 0, v2, s3
	s_delay_alu instid0(VALU_DEP_4) | instskip(SKIP_3) | instid1(VALU_DEP_1)
	v_add_co_u32 v3, s3, v3, v10
	v_mov_b32_e32 v10, 0
	v_add_co_ci_u32_e64 v4, s3, 0, v4, s3
	v_add_co_u32 v1, s3, s10, v1
	v_add_co_ci_u32_e64 v2, s3, s11, v2, s3
	v_add_co_u32 v3, s3, s16, v3
	s_delay_alu instid0(VALU_DEP_1)
	v_add_co_ci_u32_e64 v4, s3, s17, v4, s3
	s_branch .LBB53_3
.LBB53_2:                               ;   in Loop: Header=BB53_3 Depth=1
	s_or_b32 exec_lo, exec_lo, s3
	s_waitcnt vmcnt(0)
	ds_store_b32 v12, v14
	s_waitcnt lgkmcnt(0)
	s_barrier
	buffer_gl0_inv
	ds_load_2addr_b32 v[21:22], v8 offset1:16
	ds_load_b128 v[13:16], v9
	ds_load_2addr_b32 v[23:24], v8 offset0:32 offset1:48
	ds_load_b128 v[17:20], v9 offset:16
	ds_load_2addr_b32 v[25:26], v8 offset0:64 offset1:80
	v_add_co_u32 v1, s3, v1, 64
	s_delay_alu instid0(VALU_DEP_1) | instskip(SKIP_1) | instid1(VALU_DEP_1)
	v_add_co_ci_u32_e64 v2, s3, 0, v2, s3
	v_add_co_u32 v3, s3, v3, 64
	v_add_co_ci_u32_e64 v4, s3, 0, v4, s3
	s_add_i32 s7, s7, 16
	s_delay_alu instid0(SALU_CYCLE_1) | instskip(SKIP_2) | instid1(VALU_DEP_1)
	s_cmp_ge_i32 s7, s5
	s_waitcnt lgkmcnt(3)
	v_fmac_f32_e32 v10, v21, v13
	v_fmac_f32_e32 v10, v22, v14
	ds_load_2addr_b32 v[21:22], v8 offset0:96 offset1:112
	s_waitcnt lgkmcnt(3)
	v_fmac_f32_e32 v10, v23, v15
	s_delay_alu instid0(VALU_DEP_1) | instskip(SKIP_4) | instid1(VALU_DEP_1)
	v_fmac_f32_e32 v10, v24, v16
	ds_load_2addr_b32 v[23:24], v8 offset0:128 offset1:144
	ds_load_b128 v[13:16], v9 offset:32
	s_waitcnt lgkmcnt(3)
	v_fmac_f32_e32 v10, v25, v17
	v_fmac_f32_e32 v10, v26, v18
	ds_load_2addr_b32 v[25:26], v8 offset0:160 offset1:176
	s_waitcnt lgkmcnt(3)
	v_fmac_f32_e32 v10, v21, v19
	s_delay_alu instid0(VALU_DEP_1) | instskip(SKIP_4) | instid1(VALU_DEP_1)
	v_fmac_f32_e32 v10, v22, v20
	ds_load_b128 v[17:20], v9 offset:48
	ds_load_2addr_b32 v[21:22], v8 offset0:192 offset1:208
	s_waitcnt lgkmcnt(3)
	v_fmac_f32_e32 v10, v23, v13
	v_fmac_f32_e32 v10, v24, v14
	ds_load_2addr_b32 v[13:14], v8 offset0:224 offset1:240
	s_waitcnt lgkmcnt(0)
	s_barrier
	buffer_gl0_inv
	v_fmac_f32_e32 v10, v25, v15
	s_delay_alu instid0(VALU_DEP_1) | instskip(NEXT) | instid1(VALU_DEP_1)
	v_fmac_f32_e32 v10, v26, v16
	v_fmac_f32_e32 v10, v21, v17
	s_delay_alu instid0(VALU_DEP_1) | instskip(NEXT) | instid1(VALU_DEP_1)
	v_fmac_f32_e32 v10, v22, v18
	v_fmac_f32_e32 v10, v13, v19
	s_delay_alu instid0(VALU_DEP_1)
	v_fmac_f32_e32 v10, v14, v20
	s_cbranch_scc1 .LBB53_8
.LBB53_3:                               ; =>This Inner Loop Header: Depth=1
	v_add_nc_u32_e32 v13, s7, v6
	s_delay_alu instid0(VALU_DEP_1) | instskip(SKIP_1) | instid1(VALU_DEP_2)
	v_cmp_gt_i32_e64 s3, s5, v13
	v_mov_b32_e32 v13, 0
	s_and_b32 s8, s2, s3
	s_delay_alu instid0(SALU_CYCLE_1)
	s_and_saveexec_b32 s3, s8
	s_cbranch_execz .LBB53_5
; %bb.4:                                ;   in Loop: Header=BB53_3 Depth=1
	global_load_b32 v13, v[3:4], off
.LBB53_5:                               ;   in Loop: Header=BB53_3 Depth=1
	s_or_b32 exec_lo, exec_lo, s3
	v_add_nc_u32_e32 v14, s7, v7
	s_waitcnt vmcnt(0)
	ds_store_b32 v11, v13
	v_cmp_gt_i32_e64 s3, s5, v14
	v_mov_b32_e32 v14, 0
	s_delay_alu instid0(VALU_DEP_2) | instskip(NEXT) | instid1(SALU_CYCLE_1)
	s_and_b32 s8, vcc_lo, s3
	s_and_saveexec_b32 s3, s8
	s_cbranch_execz .LBB53_2
; %bb.6:                                ;   in Loop: Header=BB53_3 Depth=1
	global_load_b32 v14, v[1:2], off
	s_branch .LBB53_2
.LBB53_7:
	v_mov_b32_e32 v10, 0
.LBB53_8:
	v_cmp_le_i32_e32 vcc_lo, v0, v5
	v_cmp_gt_i32_e64 s2, s4, v5
	s_delay_alu instid0(VALU_DEP_1) | instskip(NEXT) | instid1(SALU_CYCLE_1)
	s_and_b32 s2, vcc_lo, s2
	s_and_saveexec_b32 s3, s2
	s_cbranch_execz .LBB53_10
; %bb.9:
	s_clause 0x2
	s_load_b32 s4, s[0:1], 0x50
	s_load_b64 s[2:3], s[0:1], 0x58
	s_load_b64 s[0:1], s[0:1], 0x48
	v_ashrrev_i32_e32 v1, 31, v0
	v_mul_f32_e32 v4, s6, v10
	s_delay_alu instid0(VALU_DEP_2)
	v_lshlrev_b64 v[0:1], 2, v[0:1]
	s_waitcnt lgkmcnt(0)
	v_mad_i64_i32 v[2:3], null, s4, v5, 0
	s_mul_i32 s3, s15, s3
	s_mul_hi_u32 s4, s15, s2
	s_mul_i32 s2, s15, s2
	s_add_i32 s3, s4, s3
	s_delay_alu instid0(SALU_CYCLE_1) | instskip(NEXT) | instid1(VALU_DEP_1)
	s_lshl_b64 s[2:3], s[2:3], 2
	v_lshlrev_b64 v[2:3], 2, v[2:3]
	s_add_u32 s0, s0, s2
	s_addc_u32 s1, s1, s3
	s_delay_alu instid0(VALU_DEP_1) | instskip(NEXT) | instid1(VALU_DEP_2)
	v_add_co_u32 v2, vcc_lo, s0, v2
	v_add_co_ci_u32_e32 v3, vcc_lo, s1, v3, vcc_lo
	s_delay_alu instid0(VALU_DEP_2) | instskip(NEXT) | instid1(VALU_DEP_2)
	v_add_co_u32 v0, vcc_lo, v2, v0
	v_add_co_ci_u32_e32 v1, vcc_lo, v3, v1, vcc_lo
	global_store_b32 v[0:1], v4, off
.LBB53_10:
	s_nop 0
	s_sendmsg sendmsg(MSG_DEALLOC_VGPRS)
	s_endpgm
	.section	.rodata,"a",@progbits
	.p2align	6, 0x0
	.amdhsa_kernel _ZL32rocblas_syrkx_herkx_small_kernelIifLi16ELb1ELb0ELc84ELc85EKffEviT_T0_PT6_S1_lS4_S1_lS2_PT7_S1_li
		.amdhsa_group_segment_fixed_size 2048
		.amdhsa_private_segment_fixed_size 0
		.amdhsa_kernarg_size 100
		.amdhsa_user_sgpr_count 13
		.amdhsa_user_sgpr_dispatch_ptr 0
		.amdhsa_user_sgpr_queue_ptr 0
		.amdhsa_user_sgpr_kernarg_segment_ptr 1
		.amdhsa_user_sgpr_dispatch_id 0
		.amdhsa_user_sgpr_private_segment_size 0
		.amdhsa_wavefront_size32 1
		.amdhsa_uses_dynamic_stack 0
		.amdhsa_enable_private_segment 0
		.amdhsa_system_sgpr_workgroup_id_x 1
		.amdhsa_system_sgpr_workgroup_id_y 1
		.amdhsa_system_sgpr_workgroup_id_z 1
		.amdhsa_system_sgpr_workgroup_info 0
		.amdhsa_system_vgpr_workitem_id 1
		.amdhsa_next_free_vgpr 27
		.amdhsa_next_free_sgpr 18
		.amdhsa_reserve_vcc 1
		.amdhsa_float_round_mode_32 0
		.amdhsa_float_round_mode_16_64 0
		.amdhsa_float_denorm_mode_32 3
		.amdhsa_float_denorm_mode_16_64 3
		.amdhsa_dx10_clamp 1
		.amdhsa_ieee_mode 1
		.amdhsa_fp16_overflow 0
		.amdhsa_workgroup_processor_mode 1
		.amdhsa_memory_ordered 1
		.amdhsa_forward_progress 0
		.amdhsa_shared_vgpr_count 0
		.amdhsa_exception_fp_ieee_invalid_op 0
		.amdhsa_exception_fp_denorm_src 0
		.amdhsa_exception_fp_ieee_div_zero 0
		.amdhsa_exception_fp_ieee_overflow 0
		.amdhsa_exception_fp_ieee_underflow 0
		.amdhsa_exception_fp_ieee_inexact 0
		.amdhsa_exception_int_div_zero 0
	.end_amdhsa_kernel
	.section	.text._ZL32rocblas_syrkx_herkx_small_kernelIifLi16ELb1ELb0ELc84ELc85EKffEviT_T0_PT6_S1_lS4_S1_lS2_PT7_S1_li,"axG",@progbits,_ZL32rocblas_syrkx_herkx_small_kernelIifLi16ELb1ELb0ELc84ELc85EKffEviT_T0_PT6_S1_lS4_S1_lS2_PT7_S1_li,comdat
.Lfunc_end53:
	.size	_ZL32rocblas_syrkx_herkx_small_kernelIifLi16ELb1ELb0ELc84ELc85EKffEviT_T0_PT6_S1_lS4_S1_lS2_PT7_S1_li, .Lfunc_end53-_ZL32rocblas_syrkx_herkx_small_kernelIifLi16ELb1ELb0ELc84ELc85EKffEviT_T0_PT6_S1_lS4_S1_lS2_PT7_S1_li
                                        ; -- End function
	.section	.AMDGPU.csdata,"",@progbits
; Kernel info:
; codeLenInByte = 936
; NumSgprs: 20
; NumVgprs: 27
; ScratchSize: 0
; MemoryBound: 0
; FloatMode: 240
; IeeeMode: 1
; LDSByteSize: 2048 bytes/workgroup (compile time only)
; SGPRBlocks: 2
; VGPRBlocks: 3
; NumSGPRsForWavesPerEU: 20
; NumVGPRsForWavesPerEU: 27
; Occupancy: 16
; WaveLimiterHint : 0
; COMPUTE_PGM_RSRC2:SCRATCH_EN: 0
; COMPUTE_PGM_RSRC2:USER_SGPR: 13
; COMPUTE_PGM_RSRC2:TRAP_HANDLER: 0
; COMPUTE_PGM_RSRC2:TGID_X_EN: 1
; COMPUTE_PGM_RSRC2:TGID_Y_EN: 1
; COMPUTE_PGM_RSRC2:TGID_Z_EN: 1
; COMPUTE_PGM_RSRC2:TIDIG_COMP_CNT: 1
	.section	.text._ZL32rocblas_syrkx_herkx_small_kernelIifLi16ELb1ELb0ELc67ELc85EKffEviT_T0_PT6_S1_lS4_S1_lS2_PT7_S1_li,"axG",@progbits,_ZL32rocblas_syrkx_herkx_small_kernelIifLi16ELb1ELb0ELc67ELc85EKffEviT_T0_PT6_S1_lS4_S1_lS2_PT7_S1_li,comdat
	.globl	_ZL32rocblas_syrkx_herkx_small_kernelIifLi16ELb1ELb0ELc67ELc85EKffEviT_T0_PT6_S1_lS4_S1_lS2_PT7_S1_li ; -- Begin function _ZL32rocblas_syrkx_herkx_small_kernelIifLi16ELb1ELb0ELc67ELc85EKffEviT_T0_PT6_S1_lS4_S1_lS2_PT7_S1_li
	.p2align	8
	.type	_ZL32rocblas_syrkx_herkx_small_kernelIifLi16ELb1ELb0ELc67ELc85EKffEviT_T0_PT6_S1_lS4_S1_lS2_PT7_S1_li,@function
_ZL32rocblas_syrkx_herkx_small_kernelIifLi16ELb1ELb0ELc67ELc85EKffEviT_T0_PT6_S1_lS4_S1_lS2_PT7_S1_li: ; @_ZL32rocblas_syrkx_herkx_small_kernelIifLi16ELb1ELb0ELc67ELc85EKffEviT_T0_PT6_S1_lS4_S1_lS2_PT7_S1_li
; %bb.0:
	s_load_b128 s[4:7], s[0:1], 0x0
	v_bfe_u32 v6, v0, 10, 10
	v_and_b32_e32 v7, 0x3ff, v0
	s_waitcnt lgkmcnt(0)
	s_mov_b32 s7, 0
	s_delay_alu instid0(VALU_DEP_2) | instskip(NEXT) | instid1(VALU_DEP_2)
	v_lshl_add_u32 v5, s14, 4, v6
	v_lshl_add_u32 v0, s13, 4, v7
	s_delay_alu instid0(VALU_DEP_2)
	v_cmp_gt_i32_e32 vcc_lo, s4, v5
	s_cmp_lt_i32 s5, 1
	s_cbranch_scc1 .LBB54_7
; %bb.1:
	s_clause 0x3
	s_load_b32 s3, s[0:1], 0x30
	s_load_b64 s[12:13], s[0:1], 0x38
	s_load_b32 s14, s[0:1], 0x18
	s_load_b128 s[8:11], s[0:1], 0x20
	v_lshlrev_b32_e32 v1, 6, v6
	v_lshlrev_b32_e32 v8, 2, v7
	s_load_b64 s[16:17], s[0:1], 0x10
	v_lshlrev_b32_e32 v10, 2, v6
	v_cmp_gt_i32_e64 s2, s4, v0
	v_add_nc_u32_e32 v9, 0x400, v1
	v_add_nc_u32_e32 v11, v8, v1
	s_delay_alu instid0(VALU_DEP_2)
	v_add_nc_u32_e32 v12, v9, v8
	s_waitcnt lgkmcnt(0)
	v_mad_i64_i32 v[1:2], null, s3, v5, 0
	v_mad_i64_i32 v[3:4], null, s14, v0, 0
	s_mul_i32 s3, s13, s15
	s_mul_hi_u32 s13, s12, s15
	s_mul_i32 s12, s12, s15
	s_add_i32 s13, s13, s3
	s_delay_alu instid0(VALU_DEP_2)
	v_lshlrev_b64 v[1:2], 2, v[1:2]
	s_mul_i32 s9, s9, s15
	s_mul_hi_u32 s14, s8, s15
	v_lshlrev_b64 v[3:4], 2, v[3:4]
	s_lshl_b64 s[12:13], s[12:13], 2
	s_mul_i32 s8, s8, s15
	s_add_i32 s9, s14, s9
	v_add_co_u32 v1, s3, v1, s12
	s_lshl_b64 s[8:9], s[8:9], 2
	v_add_co_ci_u32_e64 v2, s3, s13, v2, s3
	v_add_co_u32 v3, s3, v3, s8
	s_delay_alu instid0(VALU_DEP_1) | instskip(SKIP_1) | instid1(VALU_DEP_1)
	v_add_co_ci_u32_e64 v4, s3, s9, v4, s3
	v_add_co_u32 v1, s3, v1, v8
	v_add_co_ci_u32_e64 v2, s3, 0, v2, s3
	s_delay_alu instid0(VALU_DEP_4) | instskip(SKIP_3) | instid1(VALU_DEP_1)
	v_add_co_u32 v3, s3, v3, v10
	v_mov_b32_e32 v10, 0
	v_add_co_ci_u32_e64 v4, s3, 0, v4, s3
	v_add_co_u32 v1, s3, s10, v1
	v_add_co_ci_u32_e64 v2, s3, s11, v2, s3
	v_add_co_u32 v3, s3, s16, v3
	s_delay_alu instid0(VALU_DEP_1)
	v_add_co_ci_u32_e64 v4, s3, s17, v4, s3
	s_branch .LBB54_3
.LBB54_2:                               ;   in Loop: Header=BB54_3 Depth=1
	s_or_b32 exec_lo, exec_lo, s3
	s_waitcnt vmcnt(0)
	ds_store_b32 v12, v14
	s_waitcnt lgkmcnt(0)
	s_barrier
	buffer_gl0_inv
	ds_load_2addr_b32 v[21:22], v8 offset1:16
	ds_load_b128 v[13:16], v9
	ds_load_2addr_b32 v[23:24], v8 offset0:32 offset1:48
	ds_load_b128 v[17:20], v9 offset:16
	ds_load_2addr_b32 v[25:26], v8 offset0:64 offset1:80
	v_add_co_u32 v1, s3, v1, 64
	s_delay_alu instid0(VALU_DEP_1) | instskip(SKIP_1) | instid1(VALU_DEP_1)
	v_add_co_ci_u32_e64 v2, s3, 0, v2, s3
	v_add_co_u32 v3, s3, v3, 64
	v_add_co_ci_u32_e64 v4, s3, 0, v4, s3
	s_add_i32 s7, s7, 16
	s_delay_alu instid0(SALU_CYCLE_1) | instskip(SKIP_2) | instid1(VALU_DEP_1)
	s_cmp_ge_i32 s7, s5
	s_waitcnt lgkmcnt(3)
	v_fmac_f32_e32 v10, v21, v13
	v_fmac_f32_e32 v10, v22, v14
	ds_load_2addr_b32 v[21:22], v8 offset0:96 offset1:112
	s_waitcnt lgkmcnt(3)
	v_fmac_f32_e32 v10, v23, v15
	s_delay_alu instid0(VALU_DEP_1) | instskip(SKIP_4) | instid1(VALU_DEP_1)
	v_fmac_f32_e32 v10, v24, v16
	ds_load_2addr_b32 v[23:24], v8 offset0:128 offset1:144
	ds_load_b128 v[13:16], v9 offset:32
	s_waitcnt lgkmcnt(3)
	v_fmac_f32_e32 v10, v25, v17
	v_fmac_f32_e32 v10, v26, v18
	ds_load_2addr_b32 v[25:26], v8 offset0:160 offset1:176
	s_waitcnt lgkmcnt(3)
	v_fmac_f32_e32 v10, v21, v19
	s_delay_alu instid0(VALU_DEP_1) | instskip(SKIP_4) | instid1(VALU_DEP_1)
	v_fmac_f32_e32 v10, v22, v20
	ds_load_b128 v[17:20], v9 offset:48
	ds_load_2addr_b32 v[21:22], v8 offset0:192 offset1:208
	s_waitcnt lgkmcnt(3)
	v_fmac_f32_e32 v10, v23, v13
	v_fmac_f32_e32 v10, v24, v14
	ds_load_2addr_b32 v[13:14], v8 offset0:224 offset1:240
	s_waitcnt lgkmcnt(0)
	s_barrier
	buffer_gl0_inv
	v_fmac_f32_e32 v10, v25, v15
	s_delay_alu instid0(VALU_DEP_1) | instskip(NEXT) | instid1(VALU_DEP_1)
	v_fmac_f32_e32 v10, v26, v16
	v_fmac_f32_e32 v10, v21, v17
	s_delay_alu instid0(VALU_DEP_1) | instskip(NEXT) | instid1(VALU_DEP_1)
	v_fmac_f32_e32 v10, v22, v18
	v_fmac_f32_e32 v10, v13, v19
	s_delay_alu instid0(VALU_DEP_1)
	v_fmac_f32_e32 v10, v14, v20
	s_cbranch_scc1 .LBB54_8
.LBB54_3:                               ; =>This Inner Loop Header: Depth=1
	v_add_nc_u32_e32 v13, s7, v6
	s_delay_alu instid0(VALU_DEP_1) | instskip(SKIP_1) | instid1(VALU_DEP_2)
	v_cmp_gt_i32_e64 s3, s5, v13
	v_mov_b32_e32 v13, 0
	s_and_b32 s8, s2, s3
	s_delay_alu instid0(SALU_CYCLE_1)
	s_and_saveexec_b32 s3, s8
	s_cbranch_execz .LBB54_5
; %bb.4:                                ;   in Loop: Header=BB54_3 Depth=1
	global_load_b32 v13, v[3:4], off
.LBB54_5:                               ;   in Loop: Header=BB54_3 Depth=1
	s_or_b32 exec_lo, exec_lo, s3
	v_add_nc_u32_e32 v14, s7, v7
	s_waitcnt vmcnt(0)
	ds_store_b32 v11, v13
	v_cmp_gt_i32_e64 s3, s5, v14
	v_mov_b32_e32 v14, 0
	s_delay_alu instid0(VALU_DEP_2) | instskip(NEXT) | instid1(SALU_CYCLE_1)
	s_and_b32 s8, vcc_lo, s3
	s_and_saveexec_b32 s3, s8
	s_cbranch_execz .LBB54_2
; %bb.6:                                ;   in Loop: Header=BB54_3 Depth=1
	global_load_b32 v14, v[1:2], off
	s_branch .LBB54_2
.LBB54_7:
	v_mov_b32_e32 v10, 0
.LBB54_8:
	v_cmp_le_i32_e32 vcc_lo, v0, v5
	v_cmp_gt_i32_e64 s2, s4, v5
	s_delay_alu instid0(VALU_DEP_1) | instskip(NEXT) | instid1(SALU_CYCLE_1)
	s_and_b32 s2, vcc_lo, s2
	s_and_saveexec_b32 s3, s2
	s_cbranch_execz .LBB54_10
; %bb.9:
	s_clause 0x2
	s_load_b32 s4, s[0:1], 0x50
	s_load_b64 s[2:3], s[0:1], 0x58
	s_load_b64 s[0:1], s[0:1], 0x48
	v_ashrrev_i32_e32 v1, 31, v0
	v_mul_f32_e32 v4, s6, v10
	s_delay_alu instid0(VALU_DEP_2)
	v_lshlrev_b64 v[0:1], 2, v[0:1]
	s_waitcnt lgkmcnt(0)
	v_mad_i64_i32 v[2:3], null, s4, v5, 0
	s_mul_i32 s3, s15, s3
	s_mul_hi_u32 s4, s15, s2
	s_mul_i32 s2, s15, s2
	s_add_i32 s3, s4, s3
	s_delay_alu instid0(SALU_CYCLE_1) | instskip(NEXT) | instid1(VALU_DEP_1)
	s_lshl_b64 s[2:3], s[2:3], 2
	v_lshlrev_b64 v[2:3], 2, v[2:3]
	s_add_u32 s0, s0, s2
	s_addc_u32 s1, s1, s3
	s_delay_alu instid0(VALU_DEP_1) | instskip(NEXT) | instid1(VALU_DEP_2)
	v_add_co_u32 v2, vcc_lo, s0, v2
	v_add_co_ci_u32_e32 v3, vcc_lo, s1, v3, vcc_lo
	s_delay_alu instid0(VALU_DEP_2) | instskip(NEXT) | instid1(VALU_DEP_2)
	v_add_co_u32 v0, vcc_lo, v2, v0
	v_add_co_ci_u32_e32 v1, vcc_lo, v3, v1, vcc_lo
	global_store_b32 v[0:1], v4, off
.LBB54_10:
	s_nop 0
	s_sendmsg sendmsg(MSG_DEALLOC_VGPRS)
	s_endpgm
	.section	.rodata,"a",@progbits
	.p2align	6, 0x0
	.amdhsa_kernel _ZL32rocblas_syrkx_herkx_small_kernelIifLi16ELb1ELb0ELc67ELc85EKffEviT_T0_PT6_S1_lS4_S1_lS2_PT7_S1_li
		.amdhsa_group_segment_fixed_size 2048
		.amdhsa_private_segment_fixed_size 0
		.amdhsa_kernarg_size 100
		.amdhsa_user_sgpr_count 13
		.amdhsa_user_sgpr_dispatch_ptr 0
		.amdhsa_user_sgpr_queue_ptr 0
		.amdhsa_user_sgpr_kernarg_segment_ptr 1
		.amdhsa_user_sgpr_dispatch_id 0
		.amdhsa_user_sgpr_private_segment_size 0
		.amdhsa_wavefront_size32 1
		.amdhsa_uses_dynamic_stack 0
		.amdhsa_enable_private_segment 0
		.amdhsa_system_sgpr_workgroup_id_x 1
		.amdhsa_system_sgpr_workgroup_id_y 1
		.amdhsa_system_sgpr_workgroup_id_z 1
		.amdhsa_system_sgpr_workgroup_info 0
		.amdhsa_system_vgpr_workitem_id 1
		.amdhsa_next_free_vgpr 27
		.amdhsa_next_free_sgpr 18
		.amdhsa_reserve_vcc 1
		.amdhsa_float_round_mode_32 0
		.amdhsa_float_round_mode_16_64 0
		.amdhsa_float_denorm_mode_32 3
		.amdhsa_float_denorm_mode_16_64 3
		.amdhsa_dx10_clamp 1
		.amdhsa_ieee_mode 1
		.amdhsa_fp16_overflow 0
		.amdhsa_workgroup_processor_mode 1
		.amdhsa_memory_ordered 1
		.amdhsa_forward_progress 0
		.amdhsa_shared_vgpr_count 0
		.amdhsa_exception_fp_ieee_invalid_op 0
		.amdhsa_exception_fp_denorm_src 0
		.amdhsa_exception_fp_ieee_div_zero 0
		.amdhsa_exception_fp_ieee_overflow 0
		.amdhsa_exception_fp_ieee_underflow 0
		.amdhsa_exception_fp_ieee_inexact 0
		.amdhsa_exception_int_div_zero 0
	.end_amdhsa_kernel
	.section	.text._ZL32rocblas_syrkx_herkx_small_kernelIifLi16ELb1ELb0ELc67ELc85EKffEviT_T0_PT6_S1_lS4_S1_lS2_PT7_S1_li,"axG",@progbits,_ZL32rocblas_syrkx_herkx_small_kernelIifLi16ELb1ELb0ELc67ELc85EKffEviT_T0_PT6_S1_lS4_S1_lS2_PT7_S1_li,comdat
.Lfunc_end54:
	.size	_ZL32rocblas_syrkx_herkx_small_kernelIifLi16ELb1ELb0ELc67ELc85EKffEviT_T0_PT6_S1_lS4_S1_lS2_PT7_S1_li, .Lfunc_end54-_ZL32rocblas_syrkx_herkx_small_kernelIifLi16ELb1ELb0ELc67ELc85EKffEviT_T0_PT6_S1_lS4_S1_lS2_PT7_S1_li
                                        ; -- End function
	.section	.AMDGPU.csdata,"",@progbits
; Kernel info:
; codeLenInByte = 936
; NumSgprs: 20
; NumVgprs: 27
; ScratchSize: 0
; MemoryBound: 0
; FloatMode: 240
; IeeeMode: 1
; LDSByteSize: 2048 bytes/workgroup (compile time only)
; SGPRBlocks: 2
; VGPRBlocks: 3
; NumSGPRsForWavesPerEU: 20
; NumVGPRsForWavesPerEU: 27
; Occupancy: 16
; WaveLimiterHint : 0
; COMPUTE_PGM_RSRC2:SCRATCH_EN: 0
; COMPUTE_PGM_RSRC2:USER_SGPR: 13
; COMPUTE_PGM_RSRC2:TRAP_HANDLER: 0
; COMPUTE_PGM_RSRC2:TGID_X_EN: 1
; COMPUTE_PGM_RSRC2:TGID_Y_EN: 1
; COMPUTE_PGM_RSRC2:TGID_Z_EN: 1
; COMPUTE_PGM_RSRC2:TIDIG_COMP_CNT: 1
	.section	.text._ZL32rocblas_syrkx_herkx_small_kernelIifLi16ELb1ELb0ELc78ELc85EKffEviT_T0_PT6_S1_lS4_S1_lS2_PT7_S1_li,"axG",@progbits,_ZL32rocblas_syrkx_herkx_small_kernelIifLi16ELb1ELb0ELc78ELc85EKffEviT_T0_PT6_S1_lS4_S1_lS2_PT7_S1_li,comdat
	.globl	_ZL32rocblas_syrkx_herkx_small_kernelIifLi16ELb1ELb0ELc78ELc85EKffEviT_T0_PT6_S1_lS4_S1_lS2_PT7_S1_li ; -- Begin function _ZL32rocblas_syrkx_herkx_small_kernelIifLi16ELb1ELb0ELc78ELc85EKffEviT_T0_PT6_S1_lS4_S1_lS2_PT7_S1_li
	.p2align	8
	.type	_ZL32rocblas_syrkx_herkx_small_kernelIifLi16ELb1ELb0ELc78ELc85EKffEviT_T0_PT6_S1_lS4_S1_lS2_PT7_S1_li,@function
_ZL32rocblas_syrkx_herkx_small_kernelIifLi16ELb1ELb0ELc78ELc85EKffEviT_T0_PT6_S1_lS4_S1_lS2_PT7_S1_li: ; @_ZL32rocblas_syrkx_herkx_small_kernelIifLi16ELb1ELb0ELc78ELc85EKffEviT_T0_PT6_S1_lS4_S1_lS2_PT7_S1_li
; %bb.0:
	s_load_b128 s[4:7], s[0:1], 0x0
	v_and_b32_e32 v7, 0x3ff, v0
	v_bfe_u32 v8, v0, 10, 10
	s_waitcnt lgkmcnt(0)
	s_mov_b32 s7, 0
	s_delay_alu instid0(VALU_DEP_2) | instskip(NEXT) | instid1(VALU_DEP_2)
	v_lshl_add_u32 v0, s13, 4, v7
	v_lshl_add_u32 v2, s14, 4, v8
	s_delay_alu instid0(VALU_DEP_2) | instskip(NEXT) | instid1(VALU_DEP_2)
	v_ashrrev_i32_e32 v1, 31, v0
	v_cmp_gt_i32_e32 vcc_lo, s4, v2
	s_cmp_lt_i32 s5, 1
	s_cbranch_scc1 .LBB55_7
; %bb.1:
	s_clause 0x3
	s_load_b32 s12, s[0:1], 0x30
	s_load_b64 s[16:17], s[0:1], 0x38
	s_load_b128 s[8:11], s[0:1], 0x20
	s_load_b32 s18, s[0:1], 0x18
	v_lshlrev_b32_e32 v4, 6, v8
	v_lshlrev_b32_e32 v9, 2, v7
	v_ashrrev_i32_e32 v3, 31, v2
	s_load_b64 s[20:21], s[0:1], 0x10
	v_cmp_gt_i32_e64 s2, s4, v0
	v_add_nc_u32_e32 v10, 0x400, v4
	v_add_nc_u32_e32 v11, v9, v4
	v_lshlrev_b64 v[3:4], 2, v[2:3]
	s_waitcnt lgkmcnt(0)
	v_mad_i64_i32 v[5:6], null, s12, v7, 0
	s_mul_i32 s3, s17, s15
	v_mad_i64_i32 v[14:15], null, s18, v8, 0
	s_mul_hi_u32 s14, s16, s15
	s_mul_i32 s16, s16, s15
	s_add_i32 s17, s14, s3
	s_delay_alu instid0(VALU_DEP_2) | instskip(SKIP_2) | instid1(VALU_DEP_2)
	v_lshlrev_b64 v[5:6], 2, v[5:6]
	s_mul_i32 s9, s9, s15
	s_mul_hi_u32 s19, s8, s15
	v_lshlrev_b64 v[14:15], 2, v[14:15]
	s_lshl_b64 s[16:17], s[16:17], 2
	s_mul_i32 s8, s8, s15
	s_add_i32 s9, s19, s9
	v_add_co_u32 v12, s3, s16, v5
	s_lshl_b64 s[8:9], s[8:9], 2
	v_add_co_ci_u32_e64 v16, s3, s17, v6, s3
	v_add_co_u32 v14, s3, s8, v14
	v_lshlrev_b64 v[5:6], 2, v[0:1]
	v_add_co_ci_u32_e64 v15, s3, s9, v15, s3
	v_add_co_u32 v3, s3, v12, v3
	v_mov_b32_e32 v12, 0
	v_add_co_ci_u32_e64 v4, s3, v16, v4, s3
	v_add_co_u32 v5, s3, v14, v5
	s_delay_alu instid0(VALU_DEP_1) | instskip(SKIP_1) | instid1(VALU_DEP_1)
	v_add_co_ci_u32_e64 v6, s3, v15, v6, s3
	v_add_co_u32 v3, s3, s10, v3
	v_add_co_ci_u32_e64 v4, s3, s11, v4, s3
	s_delay_alu instid0(VALU_DEP_4)
	v_add_co_u32 v5, s3, s20, v5
	v_add_nc_u32_e32 v13, v10, v9
	v_add_co_ci_u32_e64 v6, s3, s21, v6, s3
	s_ashr_i32 s13, s12, 31
	s_ashr_i32 s19, s18, 31
	s_lshl_b64 s[8:9], s[12:13], 6
	s_lshl_b64 s[10:11], s[18:19], 6
	s_branch .LBB55_3
.LBB55_2:                               ;   in Loop: Header=BB55_3 Depth=1
	s_or_b32 exec_lo, exec_lo, s3
	s_waitcnt vmcnt(0)
	ds_store_b32 v13, v15
	s_waitcnt lgkmcnt(0)
	s_barrier
	buffer_gl0_inv
	ds_load_2addr_b32 v[22:23], v9 offset1:16
	ds_load_b128 v[14:17], v10
	ds_load_2addr_b32 v[24:25], v9 offset0:32 offset1:48
	ds_load_b128 v[18:21], v10 offset:16
	ds_load_2addr_b32 v[26:27], v9 offset0:64 offset1:80
	v_add_co_u32 v3, s3, v3, s8
	s_delay_alu instid0(VALU_DEP_1) | instskip(SKIP_1) | instid1(VALU_DEP_1)
	v_add_co_ci_u32_e64 v4, s3, s9, v4, s3
	v_add_co_u32 v5, s3, v5, s10
	v_add_co_ci_u32_e64 v6, s3, s11, v6, s3
	s_add_i32 s7, s7, 16
	s_delay_alu instid0(SALU_CYCLE_1) | instskip(SKIP_2) | instid1(VALU_DEP_1)
	s_cmp_ge_i32 s7, s5
	s_waitcnt lgkmcnt(3)
	v_fmac_f32_e32 v12, v22, v14
	v_fmac_f32_e32 v12, v23, v15
	ds_load_2addr_b32 v[22:23], v9 offset0:96 offset1:112
	s_waitcnt lgkmcnt(3)
	v_fmac_f32_e32 v12, v24, v16
	s_delay_alu instid0(VALU_DEP_1) | instskip(SKIP_4) | instid1(VALU_DEP_1)
	v_fmac_f32_e32 v12, v25, v17
	ds_load_2addr_b32 v[24:25], v9 offset0:128 offset1:144
	ds_load_b128 v[14:17], v10 offset:32
	s_waitcnt lgkmcnt(3)
	v_fmac_f32_e32 v12, v26, v18
	v_fmac_f32_e32 v12, v27, v19
	ds_load_2addr_b32 v[26:27], v9 offset0:160 offset1:176
	s_waitcnt lgkmcnt(3)
	v_fmac_f32_e32 v12, v22, v20
	s_delay_alu instid0(VALU_DEP_1) | instskip(SKIP_4) | instid1(VALU_DEP_1)
	v_fmac_f32_e32 v12, v23, v21
	ds_load_b128 v[18:21], v10 offset:48
	ds_load_2addr_b32 v[22:23], v9 offset0:192 offset1:208
	s_waitcnt lgkmcnt(3)
	v_fmac_f32_e32 v12, v24, v14
	v_fmac_f32_e32 v12, v25, v15
	ds_load_2addr_b32 v[14:15], v9 offset0:224 offset1:240
	s_waitcnt lgkmcnt(0)
	s_barrier
	buffer_gl0_inv
	v_fmac_f32_e32 v12, v26, v16
	s_delay_alu instid0(VALU_DEP_1) | instskip(NEXT) | instid1(VALU_DEP_1)
	v_fmac_f32_e32 v12, v27, v17
	v_fmac_f32_e32 v12, v22, v18
	s_delay_alu instid0(VALU_DEP_1) | instskip(NEXT) | instid1(VALU_DEP_1)
	v_fmac_f32_e32 v12, v23, v19
	v_fmac_f32_e32 v12, v14, v20
	s_delay_alu instid0(VALU_DEP_1)
	v_fmac_f32_e32 v12, v15, v21
	s_cbranch_scc1 .LBB55_8
.LBB55_3:                               ; =>This Inner Loop Header: Depth=1
	v_add_nc_u32_e32 v14, s7, v8
	s_delay_alu instid0(VALU_DEP_1) | instskip(SKIP_1) | instid1(VALU_DEP_2)
	v_cmp_gt_i32_e64 s3, s5, v14
	v_mov_b32_e32 v14, 0
	s_and_b32 s12, s2, s3
	s_delay_alu instid0(SALU_CYCLE_1)
	s_and_saveexec_b32 s3, s12
	s_cbranch_execz .LBB55_5
; %bb.4:                                ;   in Loop: Header=BB55_3 Depth=1
	global_load_b32 v14, v[5:6], off
.LBB55_5:                               ;   in Loop: Header=BB55_3 Depth=1
	s_or_b32 exec_lo, exec_lo, s3
	v_add_nc_u32_e32 v15, s7, v7
	s_waitcnt vmcnt(0)
	ds_store_b32 v11, v14
	v_cmp_gt_i32_e64 s3, s5, v15
	v_mov_b32_e32 v15, 0
	s_delay_alu instid0(VALU_DEP_2) | instskip(NEXT) | instid1(SALU_CYCLE_1)
	s_and_b32 s12, vcc_lo, s3
	s_and_saveexec_b32 s3, s12
	s_cbranch_execz .LBB55_2
; %bb.6:                                ;   in Loop: Header=BB55_3 Depth=1
	global_load_b32 v15, v[3:4], off
	s_branch .LBB55_2
.LBB55_7:
	v_mov_b32_e32 v12, 0
.LBB55_8:
	v_cmp_le_i32_e32 vcc_lo, v0, v2
	v_cmp_gt_i32_e64 s2, s4, v2
	s_delay_alu instid0(VALU_DEP_1) | instskip(NEXT) | instid1(SALU_CYCLE_1)
	s_and_b32 s2, vcc_lo, s2
	s_and_saveexec_b32 s3, s2
	s_cbranch_execz .LBB55_10
; %bb.9:
	s_clause 0x2
	s_load_b32 s4, s[0:1], 0x50
	s_load_b64 s[2:3], s[0:1], 0x58
	s_load_b64 s[0:1], s[0:1], 0x48
	v_lshlrev_b64 v[0:1], 2, v[0:1]
	s_waitcnt lgkmcnt(0)
	v_mad_i64_i32 v[3:4], null, s4, v2, 0
	s_mul_i32 s3, s15, s3
	s_mul_hi_u32 s4, s15, s2
	s_mul_i32 s2, s15, s2
	s_add_i32 s3, s4, s3
	s_delay_alu instid0(SALU_CYCLE_1) | instskip(NEXT) | instid1(VALU_DEP_1)
	s_lshl_b64 s[2:3], s[2:3], 2
	v_lshlrev_b64 v[2:3], 2, v[3:4]
	s_add_u32 s0, s0, s2
	s_addc_u32 s1, s1, s3
	v_mul_f32_e32 v4, s6, v12
	s_delay_alu instid0(VALU_DEP_2) | instskip(NEXT) | instid1(VALU_DEP_3)
	v_add_co_u32 v2, vcc_lo, s0, v2
	v_add_co_ci_u32_e32 v3, vcc_lo, s1, v3, vcc_lo
	s_delay_alu instid0(VALU_DEP_2) | instskip(NEXT) | instid1(VALU_DEP_2)
	v_add_co_u32 v0, vcc_lo, v2, v0
	v_add_co_ci_u32_e32 v1, vcc_lo, v3, v1, vcc_lo
	global_store_b32 v[0:1], v4, off
.LBB55_10:
	s_nop 0
	s_sendmsg sendmsg(MSG_DEALLOC_VGPRS)
	s_endpgm
	.section	.rodata,"a",@progbits
	.p2align	6, 0x0
	.amdhsa_kernel _ZL32rocblas_syrkx_herkx_small_kernelIifLi16ELb1ELb0ELc78ELc85EKffEviT_T0_PT6_S1_lS4_S1_lS2_PT7_S1_li
		.amdhsa_group_segment_fixed_size 2048
		.amdhsa_private_segment_fixed_size 0
		.amdhsa_kernarg_size 100
		.amdhsa_user_sgpr_count 13
		.amdhsa_user_sgpr_dispatch_ptr 0
		.amdhsa_user_sgpr_queue_ptr 0
		.amdhsa_user_sgpr_kernarg_segment_ptr 1
		.amdhsa_user_sgpr_dispatch_id 0
		.amdhsa_user_sgpr_private_segment_size 0
		.amdhsa_wavefront_size32 1
		.amdhsa_uses_dynamic_stack 0
		.amdhsa_enable_private_segment 0
		.amdhsa_system_sgpr_workgroup_id_x 1
		.amdhsa_system_sgpr_workgroup_id_y 1
		.amdhsa_system_sgpr_workgroup_id_z 1
		.amdhsa_system_sgpr_workgroup_info 0
		.amdhsa_system_vgpr_workitem_id 1
		.amdhsa_next_free_vgpr 28
		.amdhsa_next_free_sgpr 22
		.amdhsa_reserve_vcc 1
		.amdhsa_float_round_mode_32 0
		.amdhsa_float_round_mode_16_64 0
		.amdhsa_float_denorm_mode_32 3
		.amdhsa_float_denorm_mode_16_64 3
		.amdhsa_dx10_clamp 1
		.amdhsa_ieee_mode 1
		.amdhsa_fp16_overflow 0
		.amdhsa_workgroup_processor_mode 1
		.amdhsa_memory_ordered 1
		.amdhsa_forward_progress 0
		.amdhsa_shared_vgpr_count 0
		.amdhsa_exception_fp_ieee_invalid_op 0
		.amdhsa_exception_fp_denorm_src 0
		.amdhsa_exception_fp_ieee_div_zero 0
		.amdhsa_exception_fp_ieee_overflow 0
		.amdhsa_exception_fp_ieee_underflow 0
		.amdhsa_exception_fp_ieee_inexact 0
		.amdhsa_exception_int_div_zero 0
	.end_amdhsa_kernel
	.section	.text._ZL32rocblas_syrkx_herkx_small_kernelIifLi16ELb1ELb0ELc78ELc85EKffEviT_T0_PT6_S1_lS4_S1_lS2_PT7_S1_li,"axG",@progbits,_ZL32rocblas_syrkx_herkx_small_kernelIifLi16ELb1ELb0ELc78ELc85EKffEviT_T0_PT6_S1_lS4_S1_lS2_PT7_S1_li,comdat
.Lfunc_end55:
	.size	_ZL32rocblas_syrkx_herkx_small_kernelIifLi16ELb1ELb0ELc78ELc85EKffEviT_T0_PT6_S1_lS4_S1_lS2_PT7_S1_li, .Lfunc_end55-_ZL32rocblas_syrkx_herkx_small_kernelIifLi16ELb1ELb0ELc78ELc85EKffEviT_T0_PT6_S1_lS4_S1_lS2_PT7_S1_li
                                        ; -- End function
	.section	.AMDGPU.csdata,"",@progbits
; Kernel info:
; codeLenInByte = 956
; NumSgprs: 24
; NumVgprs: 28
; ScratchSize: 0
; MemoryBound: 0
; FloatMode: 240
; IeeeMode: 1
; LDSByteSize: 2048 bytes/workgroup (compile time only)
; SGPRBlocks: 2
; VGPRBlocks: 3
; NumSGPRsForWavesPerEU: 24
; NumVGPRsForWavesPerEU: 28
; Occupancy: 16
; WaveLimiterHint : 0
; COMPUTE_PGM_RSRC2:SCRATCH_EN: 0
; COMPUTE_PGM_RSRC2:USER_SGPR: 13
; COMPUTE_PGM_RSRC2:TRAP_HANDLER: 0
; COMPUTE_PGM_RSRC2:TGID_X_EN: 1
; COMPUTE_PGM_RSRC2:TGID_Y_EN: 1
; COMPUTE_PGM_RSRC2:TGID_Z_EN: 1
; COMPUTE_PGM_RSRC2:TIDIG_COMP_CNT: 1
	.section	.text._ZL32rocblas_syrkx_herkx_small_kernelIifLi16ELb0ELb0ELc84ELc76EKffEviT_T0_PT6_S1_lS4_S1_lS2_PT7_S1_li,"axG",@progbits,_ZL32rocblas_syrkx_herkx_small_kernelIifLi16ELb0ELb0ELc84ELc76EKffEviT_T0_PT6_S1_lS4_S1_lS2_PT7_S1_li,comdat
	.globl	_ZL32rocblas_syrkx_herkx_small_kernelIifLi16ELb0ELb0ELc84ELc76EKffEviT_T0_PT6_S1_lS4_S1_lS2_PT7_S1_li ; -- Begin function _ZL32rocblas_syrkx_herkx_small_kernelIifLi16ELb0ELb0ELc84ELc76EKffEviT_T0_PT6_S1_lS4_S1_lS2_PT7_S1_li
	.p2align	8
	.type	_ZL32rocblas_syrkx_herkx_small_kernelIifLi16ELb0ELb0ELc84ELc76EKffEviT_T0_PT6_S1_lS4_S1_lS2_PT7_S1_li,@function
_ZL32rocblas_syrkx_herkx_small_kernelIifLi16ELb0ELb0ELc84ELc76EKffEviT_T0_PT6_S1_lS4_S1_lS2_PT7_S1_li: ; @_ZL32rocblas_syrkx_herkx_small_kernelIifLi16ELb0ELb0ELc84ELc76EKffEviT_T0_PT6_S1_lS4_S1_lS2_PT7_S1_li
; %bb.0:
	s_load_b128 s[4:7], s[0:1], 0x0
	v_and_b32_e32 v6, 0x3ff, v0
	v_bfe_u32 v7, v0, 10, 10
	s_waitcnt lgkmcnt(0)
	s_mov_b32 s7, 0
	s_delay_alu instid0(VALU_DEP_2) | instskip(NEXT) | instid1(VALU_DEP_2)
	v_lshl_add_u32 v0, s13, 4, v6
	v_lshl_add_u32 v5, s14, 4, v7
	s_delay_alu instid0(VALU_DEP_2)
	v_cmp_gt_i32_e32 vcc_lo, s4, v0
	s_cmp_lt_i32 s5, 1
	s_cbranch_scc1 .LBB56_7
; %bb.1:
	s_clause 0x3
	s_load_b32 s3, s[0:1], 0x30
	s_load_b64 s[12:13], s[0:1], 0x38
	s_load_b32 s14, s[0:1], 0x18
	s_load_b128 s[8:11], s[0:1], 0x20
	v_lshlrev_b32_e32 v1, 6, v7
	v_lshlrev_b32_e32 v8, 2, v6
	s_load_b64 s[16:17], s[0:1], 0x10
	v_lshlrev_b32_e32 v10, 2, v7
	v_cmp_gt_i32_e64 s2, s4, v5
	v_add_nc_u32_e32 v9, 0x400, v1
	v_add_nc_u32_e32 v11, v8, v1
	s_delay_alu instid0(VALU_DEP_2)
	v_add_nc_u32_e32 v12, v9, v8
	s_waitcnt lgkmcnt(0)
	v_mad_i64_i32 v[1:2], null, s3, v5, 0
	v_mad_i64_i32 v[3:4], null, s14, v0, 0
	s_mul_i32 s3, s13, s15
	s_mul_hi_u32 s13, s12, s15
	s_mul_i32 s12, s12, s15
	s_add_i32 s13, s13, s3
	s_delay_alu instid0(VALU_DEP_2)
	v_lshlrev_b64 v[1:2], 2, v[1:2]
	s_mul_i32 s9, s9, s15
	s_mul_hi_u32 s14, s8, s15
	v_lshlrev_b64 v[3:4], 2, v[3:4]
	s_lshl_b64 s[12:13], s[12:13], 2
	s_mul_i32 s8, s8, s15
	s_add_i32 s9, s14, s9
	v_add_co_u32 v1, s3, v1, s12
	s_lshl_b64 s[8:9], s[8:9], 2
	v_add_co_ci_u32_e64 v2, s3, s13, v2, s3
	v_add_co_u32 v3, s3, v3, s8
	s_delay_alu instid0(VALU_DEP_1) | instskip(SKIP_1) | instid1(VALU_DEP_1)
	v_add_co_ci_u32_e64 v4, s3, s9, v4, s3
	v_add_co_u32 v1, s3, v1, v8
	v_add_co_ci_u32_e64 v2, s3, 0, v2, s3
	s_delay_alu instid0(VALU_DEP_4) | instskip(SKIP_3) | instid1(VALU_DEP_1)
	v_add_co_u32 v3, s3, v3, v10
	v_mov_b32_e32 v10, 0
	v_add_co_ci_u32_e64 v4, s3, 0, v4, s3
	v_add_co_u32 v1, s3, s10, v1
	v_add_co_ci_u32_e64 v2, s3, s11, v2, s3
	v_add_co_u32 v3, s3, s16, v3
	s_delay_alu instid0(VALU_DEP_1)
	v_add_co_ci_u32_e64 v4, s3, s17, v4, s3
	s_branch .LBB56_3
.LBB56_2:                               ;   in Loop: Header=BB56_3 Depth=1
	s_or_b32 exec_lo, exec_lo, s3
	s_waitcnt vmcnt(0)
	ds_store_b32 v12, v14
	s_waitcnt lgkmcnt(0)
	s_barrier
	buffer_gl0_inv
	ds_load_2addr_b32 v[21:22], v8 offset1:16
	ds_load_b128 v[13:16], v9
	ds_load_2addr_b32 v[23:24], v8 offset0:32 offset1:48
	ds_load_b128 v[17:20], v9 offset:16
	ds_load_2addr_b32 v[25:26], v8 offset0:64 offset1:80
	v_add_co_u32 v1, s3, v1, 64
	s_delay_alu instid0(VALU_DEP_1) | instskip(SKIP_1) | instid1(VALU_DEP_1)
	v_add_co_ci_u32_e64 v2, s3, 0, v2, s3
	v_add_co_u32 v3, s3, v3, 64
	v_add_co_ci_u32_e64 v4, s3, 0, v4, s3
	s_add_i32 s7, s7, 16
	s_delay_alu instid0(SALU_CYCLE_1) | instskip(SKIP_2) | instid1(VALU_DEP_1)
	s_cmp_ge_i32 s7, s5
	s_waitcnt lgkmcnt(3)
	v_fmac_f32_e32 v10, v21, v13
	v_fmac_f32_e32 v10, v22, v14
	ds_load_2addr_b32 v[21:22], v8 offset0:96 offset1:112
	s_waitcnt lgkmcnt(3)
	v_fmac_f32_e32 v10, v23, v15
	s_delay_alu instid0(VALU_DEP_1) | instskip(SKIP_4) | instid1(VALU_DEP_1)
	v_fmac_f32_e32 v10, v24, v16
	ds_load_2addr_b32 v[23:24], v8 offset0:128 offset1:144
	ds_load_b128 v[13:16], v9 offset:32
	s_waitcnt lgkmcnt(3)
	v_fmac_f32_e32 v10, v25, v17
	v_fmac_f32_e32 v10, v26, v18
	ds_load_2addr_b32 v[25:26], v8 offset0:160 offset1:176
	s_waitcnt lgkmcnt(3)
	v_fmac_f32_e32 v10, v21, v19
	s_delay_alu instid0(VALU_DEP_1) | instskip(SKIP_4) | instid1(VALU_DEP_1)
	v_fmac_f32_e32 v10, v22, v20
	ds_load_b128 v[17:20], v9 offset:48
	ds_load_2addr_b32 v[21:22], v8 offset0:192 offset1:208
	s_waitcnt lgkmcnt(3)
	v_fmac_f32_e32 v10, v23, v13
	v_fmac_f32_e32 v10, v24, v14
	ds_load_2addr_b32 v[13:14], v8 offset0:224 offset1:240
	s_waitcnt lgkmcnt(0)
	s_barrier
	buffer_gl0_inv
	v_fmac_f32_e32 v10, v25, v15
	s_delay_alu instid0(VALU_DEP_1) | instskip(NEXT) | instid1(VALU_DEP_1)
	v_fmac_f32_e32 v10, v26, v16
	v_fmac_f32_e32 v10, v21, v17
	s_delay_alu instid0(VALU_DEP_1) | instskip(NEXT) | instid1(VALU_DEP_1)
	v_fmac_f32_e32 v10, v22, v18
	v_fmac_f32_e32 v10, v13, v19
	s_delay_alu instid0(VALU_DEP_1)
	v_fmac_f32_e32 v10, v14, v20
	s_cbranch_scc1 .LBB56_8
.LBB56_3:                               ; =>This Inner Loop Header: Depth=1
	v_add_nc_u32_e32 v13, s7, v7
	s_delay_alu instid0(VALU_DEP_1) | instskip(SKIP_1) | instid1(VALU_DEP_2)
	v_cmp_gt_i32_e64 s3, s5, v13
	v_mov_b32_e32 v13, 0
	s_and_b32 s8, vcc_lo, s3
	s_delay_alu instid0(SALU_CYCLE_1)
	s_and_saveexec_b32 s3, s8
	s_cbranch_execz .LBB56_5
; %bb.4:                                ;   in Loop: Header=BB56_3 Depth=1
	global_load_b32 v13, v[3:4], off
.LBB56_5:                               ;   in Loop: Header=BB56_3 Depth=1
	s_or_b32 exec_lo, exec_lo, s3
	v_add_nc_u32_e32 v14, s7, v6
	s_waitcnt vmcnt(0)
	ds_store_b32 v11, v13
	v_cmp_gt_i32_e64 s3, s5, v14
	v_mov_b32_e32 v14, 0
	s_delay_alu instid0(VALU_DEP_2) | instskip(NEXT) | instid1(SALU_CYCLE_1)
	s_and_b32 s8, s2, s3
	s_and_saveexec_b32 s3, s8
	s_cbranch_execz .LBB56_2
; %bb.6:                                ;   in Loop: Header=BB56_3 Depth=1
	global_load_b32 v14, v[1:2], off
	s_branch .LBB56_2
.LBB56_7:
	v_mov_b32_e32 v10, 0
.LBB56_8:
	v_cmp_le_i32_e32 vcc_lo, v5, v0
	v_cmp_gt_i32_e64 s2, s4, v0
	s_delay_alu instid0(VALU_DEP_1) | instskip(NEXT) | instid1(SALU_CYCLE_1)
	s_and_b32 s2, vcc_lo, s2
	s_and_saveexec_b32 s3, s2
	s_cbranch_execz .LBB56_10
; %bb.9:
	s_clause 0x2
	s_load_b32 s7, s[0:1], 0x50
	s_load_b64 s[2:3], s[0:1], 0x58
	s_load_b64 s[4:5], s[0:1], 0x48
	v_ashrrev_i32_e32 v1, 31, v0
	s_load_b32 s0, s[0:1], 0x40
	s_delay_alu instid0(VALU_DEP_1)
	v_lshlrev_b64 v[0:1], 2, v[0:1]
	s_waitcnt lgkmcnt(0)
	v_mad_i64_i32 v[2:3], null, s7, v5, 0
	s_mul_i32 s3, s15, s3
	s_mul_hi_u32 s7, s15, s2
	s_mul_i32 s2, s15, s2
	s_add_i32 s3, s7, s3
	s_delay_alu instid0(SALU_CYCLE_1) | instskip(NEXT) | instid1(VALU_DEP_1)
	s_lshl_b64 s[2:3], s[2:3], 2
	v_lshlrev_b64 v[2:3], 2, v[2:3]
	s_add_u32 s2, s4, s2
	s_addc_u32 s3, s5, s3
	s_delay_alu instid0(VALU_DEP_1) | instskip(NEXT) | instid1(VALU_DEP_2)
	v_add_co_u32 v2, vcc_lo, s2, v2
	v_add_co_ci_u32_e32 v3, vcc_lo, s3, v3, vcc_lo
	s_delay_alu instid0(VALU_DEP_2) | instskip(NEXT) | instid1(VALU_DEP_2)
	v_add_co_u32 v0, vcc_lo, v2, v0
	v_add_co_ci_u32_e32 v1, vcc_lo, v3, v1, vcc_lo
	global_load_b32 v2, v[0:1], off
	s_waitcnt vmcnt(0)
	v_mul_f32_e32 v2, s0, v2
	s_delay_alu instid0(VALU_DEP_1)
	v_fmac_f32_e32 v2, s6, v10
	global_store_b32 v[0:1], v2, off
.LBB56_10:
	s_nop 0
	s_sendmsg sendmsg(MSG_DEALLOC_VGPRS)
	s_endpgm
	.section	.rodata,"a",@progbits
	.p2align	6, 0x0
	.amdhsa_kernel _ZL32rocblas_syrkx_herkx_small_kernelIifLi16ELb0ELb0ELc84ELc76EKffEviT_T0_PT6_S1_lS4_S1_lS2_PT7_S1_li
		.amdhsa_group_segment_fixed_size 2048
		.amdhsa_private_segment_fixed_size 0
		.amdhsa_kernarg_size 100
		.amdhsa_user_sgpr_count 13
		.amdhsa_user_sgpr_dispatch_ptr 0
		.amdhsa_user_sgpr_queue_ptr 0
		.amdhsa_user_sgpr_kernarg_segment_ptr 1
		.amdhsa_user_sgpr_dispatch_id 0
		.amdhsa_user_sgpr_private_segment_size 0
		.amdhsa_wavefront_size32 1
		.amdhsa_uses_dynamic_stack 0
		.amdhsa_enable_private_segment 0
		.amdhsa_system_sgpr_workgroup_id_x 1
		.amdhsa_system_sgpr_workgroup_id_y 1
		.amdhsa_system_sgpr_workgroup_id_z 1
		.amdhsa_system_sgpr_workgroup_info 0
		.amdhsa_system_vgpr_workitem_id 1
		.amdhsa_next_free_vgpr 27
		.amdhsa_next_free_sgpr 18
		.amdhsa_reserve_vcc 1
		.amdhsa_float_round_mode_32 0
		.amdhsa_float_round_mode_16_64 0
		.amdhsa_float_denorm_mode_32 3
		.amdhsa_float_denorm_mode_16_64 3
		.amdhsa_dx10_clamp 1
		.amdhsa_ieee_mode 1
		.amdhsa_fp16_overflow 0
		.amdhsa_workgroup_processor_mode 1
		.amdhsa_memory_ordered 1
		.amdhsa_forward_progress 0
		.amdhsa_shared_vgpr_count 0
		.amdhsa_exception_fp_ieee_invalid_op 0
		.amdhsa_exception_fp_denorm_src 0
		.amdhsa_exception_fp_ieee_div_zero 0
		.amdhsa_exception_fp_ieee_overflow 0
		.amdhsa_exception_fp_ieee_underflow 0
		.amdhsa_exception_fp_ieee_inexact 0
		.amdhsa_exception_int_div_zero 0
	.end_amdhsa_kernel
	.section	.text._ZL32rocblas_syrkx_herkx_small_kernelIifLi16ELb0ELb0ELc84ELc76EKffEviT_T0_PT6_S1_lS4_S1_lS2_PT7_S1_li,"axG",@progbits,_ZL32rocblas_syrkx_herkx_small_kernelIifLi16ELb0ELb0ELc84ELc76EKffEviT_T0_PT6_S1_lS4_S1_lS2_PT7_S1_li,comdat
.Lfunc_end56:
	.size	_ZL32rocblas_syrkx_herkx_small_kernelIifLi16ELb0ELb0ELc84ELc76EKffEviT_T0_PT6_S1_lS4_S1_lS2_PT7_S1_li, .Lfunc_end56-_ZL32rocblas_syrkx_herkx_small_kernelIifLi16ELb0ELb0ELc84ELc76EKffEviT_T0_PT6_S1_lS4_S1_lS2_PT7_S1_li
                                        ; -- End function
	.section	.AMDGPU.csdata,"",@progbits
; Kernel info:
; codeLenInByte = 964
; NumSgprs: 20
; NumVgprs: 27
; ScratchSize: 0
; MemoryBound: 0
; FloatMode: 240
; IeeeMode: 1
; LDSByteSize: 2048 bytes/workgroup (compile time only)
; SGPRBlocks: 2
; VGPRBlocks: 3
; NumSGPRsForWavesPerEU: 20
; NumVGPRsForWavesPerEU: 27
; Occupancy: 16
; WaveLimiterHint : 0
; COMPUTE_PGM_RSRC2:SCRATCH_EN: 0
; COMPUTE_PGM_RSRC2:USER_SGPR: 13
; COMPUTE_PGM_RSRC2:TRAP_HANDLER: 0
; COMPUTE_PGM_RSRC2:TGID_X_EN: 1
; COMPUTE_PGM_RSRC2:TGID_Y_EN: 1
; COMPUTE_PGM_RSRC2:TGID_Z_EN: 1
; COMPUTE_PGM_RSRC2:TIDIG_COMP_CNT: 1
	.section	.text._ZL32rocblas_syrkx_herkx_small_kernelIifLi16ELb0ELb0ELc67ELc76EKffEviT_T0_PT6_S1_lS4_S1_lS2_PT7_S1_li,"axG",@progbits,_ZL32rocblas_syrkx_herkx_small_kernelIifLi16ELb0ELb0ELc67ELc76EKffEviT_T0_PT6_S1_lS4_S1_lS2_PT7_S1_li,comdat
	.globl	_ZL32rocblas_syrkx_herkx_small_kernelIifLi16ELb0ELb0ELc67ELc76EKffEviT_T0_PT6_S1_lS4_S1_lS2_PT7_S1_li ; -- Begin function _ZL32rocblas_syrkx_herkx_small_kernelIifLi16ELb0ELb0ELc67ELc76EKffEviT_T0_PT6_S1_lS4_S1_lS2_PT7_S1_li
	.p2align	8
	.type	_ZL32rocblas_syrkx_herkx_small_kernelIifLi16ELb0ELb0ELc67ELc76EKffEviT_T0_PT6_S1_lS4_S1_lS2_PT7_S1_li,@function
_ZL32rocblas_syrkx_herkx_small_kernelIifLi16ELb0ELb0ELc67ELc76EKffEviT_T0_PT6_S1_lS4_S1_lS2_PT7_S1_li: ; @_ZL32rocblas_syrkx_herkx_small_kernelIifLi16ELb0ELb0ELc67ELc76EKffEviT_T0_PT6_S1_lS4_S1_lS2_PT7_S1_li
; %bb.0:
	s_load_b128 s[4:7], s[0:1], 0x0
	v_and_b32_e32 v6, 0x3ff, v0
	v_bfe_u32 v7, v0, 10, 10
	s_waitcnt lgkmcnt(0)
	s_mov_b32 s7, 0
	s_delay_alu instid0(VALU_DEP_2) | instskip(NEXT) | instid1(VALU_DEP_2)
	v_lshl_add_u32 v0, s13, 4, v6
	v_lshl_add_u32 v5, s14, 4, v7
	s_delay_alu instid0(VALU_DEP_2)
	v_cmp_gt_i32_e32 vcc_lo, s4, v0
	s_cmp_lt_i32 s5, 1
	s_cbranch_scc1 .LBB57_7
; %bb.1:
	s_clause 0x3
	s_load_b32 s3, s[0:1], 0x30
	s_load_b64 s[12:13], s[0:1], 0x38
	s_load_b32 s14, s[0:1], 0x18
	s_load_b128 s[8:11], s[0:1], 0x20
	v_lshlrev_b32_e32 v1, 6, v7
	v_lshlrev_b32_e32 v8, 2, v6
	s_load_b64 s[16:17], s[0:1], 0x10
	v_lshlrev_b32_e32 v10, 2, v7
	v_cmp_gt_i32_e64 s2, s4, v5
	v_add_nc_u32_e32 v9, 0x400, v1
	v_add_nc_u32_e32 v11, v8, v1
	s_delay_alu instid0(VALU_DEP_2)
	v_add_nc_u32_e32 v12, v9, v8
	s_waitcnt lgkmcnt(0)
	v_mad_i64_i32 v[1:2], null, s3, v5, 0
	v_mad_i64_i32 v[3:4], null, s14, v0, 0
	s_mul_i32 s3, s13, s15
	s_mul_hi_u32 s13, s12, s15
	s_mul_i32 s12, s12, s15
	s_add_i32 s13, s13, s3
	s_delay_alu instid0(VALU_DEP_2)
	v_lshlrev_b64 v[1:2], 2, v[1:2]
	s_mul_i32 s9, s9, s15
	s_mul_hi_u32 s14, s8, s15
	v_lshlrev_b64 v[3:4], 2, v[3:4]
	s_lshl_b64 s[12:13], s[12:13], 2
	s_mul_i32 s8, s8, s15
	s_add_i32 s9, s14, s9
	v_add_co_u32 v1, s3, v1, s12
	s_lshl_b64 s[8:9], s[8:9], 2
	v_add_co_ci_u32_e64 v2, s3, s13, v2, s3
	v_add_co_u32 v3, s3, v3, s8
	s_delay_alu instid0(VALU_DEP_1) | instskip(SKIP_1) | instid1(VALU_DEP_1)
	v_add_co_ci_u32_e64 v4, s3, s9, v4, s3
	v_add_co_u32 v1, s3, v1, v8
	v_add_co_ci_u32_e64 v2, s3, 0, v2, s3
	s_delay_alu instid0(VALU_DEP_4) | instskip(SKIP_3) | instid1(VALU_DEP_1)
	v_add_co_u32 v3, s3, v3, v10
	v_mov_b32_e32 v10, 0
	v_add_co_ci_u32_e64 v4, s3, 0, v4, s3
	v_add_co_u32 v1, s3, s10, v1
	v_add_co_ci_u32_e64 v2, s3, s11, v2, s3
	v_add_co_u32 v3, s3, s16, v3
	s_delay_alu instid0(VALU_DEP_1)
	v_add_co_ci_u32_e64 v4, s3, s17, v4, s3
	s_branch .LBB57_3
.LBB57_2:                               ;   in Loop: Header=BB57_3 Depth=1
	s_or_b32 exec_lo, exec_lo, s3
	s_waitcnt vmcnt(0)
	ds_store_b32 v12, v14
	s_waitcnt lgkmcnt(0)
	s_barrier
	buffer_gl0_inv
	ds_load_2addr_b32 v[21:22], v8 offset1:16
	ds_load_b128 v[13:16], v9
	ds_load_2addr_b32 v[23:24], v8 offset0:32 offset1:48
	ds_load_b128 v[17:20], v9 offset:16
	ds_load_2addr_b32 v[25:26], v8 offset0:64 offset1:80
	v_add_co_u32 v1, s3, v1, 64
	s_delay_alu instid0(VALU_DEP_1) | instskip(SKIP_1) | instid1(VALU_DEP_1)
	v_add_co_ci_u32_e64 v2, s3, 0, v2, s3
	v_add_co_u32 v3, s3, v3, 64
	v_add_co_ci_u32_e64 v4, s3, 0, v4, s3
	s_add_i32 s7, s7, 16
	s_delay_alu instid0(SALU_CYCLE_1) | instskip(SKIP_2) | instid1(VALU_DEP_1)
	s_cmp_ge_i32 s7, s5
	s_waitcnt lgkmcnt(3)
	v_fmac_f32_e32 v10, v21, v13
	v_fmac_f32_e32 v10, v22, v14
	ds_load_2addr_b32 v[21:22], v8 offset0:96 offset1:112
	s_waitcnt lgkmcnt(3)
	v_fmac_f32_e32 v10, v23, v15
	s_delay_alu instid0(VALU_DEP_1) | instskip(SKIP_4) | instid1(VALU_DEP_1)
	v_fmac_f32_e32 v10, v24, v16
	ds_load_2addr_b32 v[23:24], v8 offset0:128 offset1:144
	ds_load_b128 v[13:16], v9 offset:32
	s_waitcnt lgkmcnt(3)
	v_fmac_f32_e32 v10, v25, v17
	v_fmac_f32_e32 v10, v26, v18
	ds_load_2addr_b32 v[25:26], v8 offset0:160 offset1:176
	s_waitcnt lgkmcnt(3)
	v_fmac_f32_e32 v10, v21, v19
	s_delay_alu instid0(VALU_DEP_1) | instskip(SKIP_4) | instid1(VALU_DEP_1)
	v_fmac_f32_e32 v10, v22, v20
	ds_load_b128 v[17:20], v9 offset:48
	ds_load_2addr_b32 v[21:22], v8 offset0:192 offset1:208
	s_waitcnt lgkmcnt(3)
	v_fmac_f32_e32 v10, v23, v13
	v_fmac_f32_e32 v10, v24, v14
	ds_load_2addr_b32 v[13:14], v8 offset0:224 offset1:240
	s_waitcnt lgkmcnt(0)
	s_barrier
	buffer_gl0_inv
	v_fmac_f32_e32 v10, v25, v15
	s_delay_alu instid0(VALU_DEP_1) | instskip(NEXT) | instid1(VALU_DEP_1)
	v_fmac_f32_e32 v10, v26, v16
	v_fmac_f32_e32 v10, v21, v17
	s_delay_alu instid0(VALU_DEP_1) | instskip(NEXT) | instid1(VALU_DEP_1)
	v_fmac_f32_e32 v10, v22, v18
	v_fmac_f32_e32 v10, v13, v19
	s_delay_alu instid0(VALU_DEP_1)
	v_fmac_f32_e32 v10, v14, v20
	s_cbranch_scc1 .LBB57_8
.LBB57_3:                               ; =>This Inner Loop Header: Depth=1
	v_add_nc_u32_e32 v13, s7, v7
	s_delay_alu instid0(VALU_DEP_1) | instskip(SKIP_1) | instid1(VALU_DEP_2)
	v_cmp_gt_i32_e64 s3, s5, v13
	v_mov_b32_e32 v13, 0
	s_and_b32 s8, vcc_lo, s3
	s_delay_alu instid0(SALU_CYCLE_1)
	s_and_saveexec_b32 s3, s8
	s_cbranch_execz .LBB57_5
; %bb.4:                                ;   in Loop: Header=BB57_3 Depth=1
	global_load_b32 v13, v[3:4], off
.LBB57_5:                               ;   in Loop: Header=BB57_3 Depth=1
	s_or_b32 exec_lo, exec_lo, s3
	v_add_nc_u32_e32 v14, s7, v6
	s_waitcnt vmcnt(0)
	ds_store_b32 v11, v13
	v_cmp_gt_i32_e64 s3, s5, v14
	v_mov_b32_e32 v14, 0
	s_delay_alu instid0(VALU_DEP_2) | instskip(NEXT) | instid1(SALU_CYCLE_1)
	s_and_b32 s8, s2, s3
	s_and_saveexec_b32 s3, s8
	s_cbranch_execz .LBB57_2
; %bb.6:                                ;   in Loop: Header=BB57_3 Depth=1
	global_load_b32 v14, v[1:2], off
	s_branch .LBB57_2
.LBB57_7:
	v_mov_b32_e32 v10, 0
.LBB57_8:
	v_cmp_le_i32_e32 vcc_lo, v5, v0
	v_cmp_gt_i32_e64 s2, s4, v0
	s_delay_alu instid0(VALU_DEP_1) | instskip(NEXT) | instid1(SALU_CYCLE_1)
	s_and_b32 s2, vcc_lo, s2
	s_and_saveexec_b32 s3, s2
	s_cbranch_execz .LBB57_10
; %bb.9:
	s_clause 0x2
	s_load_b32 s7, s[0:1], 0x50
	s_load_b64 s[2:3], s[0:1], 0x58
	s_load_b64 s[4:5], s[0:1], 0x48
	v_ashrrev_i32_e32 v1, 31, v0
	s_load_b32 s0, s[0:1], 0x40
	s_delay_alu instid0(VALU_DEP_1)
	v_lshlrev_b64 v[0:1], 2, v[0:1]
	s_waitcnt lgkmcnt(0)
	v_mad_i64_i32 v[2:3], null, s7, v5, 0
	s_mul_i32 s3, s15, s3
	s_mul_hi_u32 s7, s15, s2
	s_mul_i32 s2, s15, s2
	s_add_i32 s3, s7, s3
	s_delay_alu instid0(SALU_CYCLE_1) | instskip(NEXT) | instid1(VALU_DEP_1)
	s_lshl_b64 s[2:3], s[2:3], 2
	v_lshlrev_b64 v[2:3], 2, v[2:3]
	s_add_u32 s2, s4, s2
	s_addc_u32 s3, s5, s3
	s_delay_alu instid0(VALU_DEP_1) | instskip(NEXT) | instid1(VALU_DEP_2)
	v_add_co_u32 v2, vcc_lo, s2, v2
	v_add_co_ci_u32_e32 v3, vcc_lo, s3, v3, vcc_lo
	s_delay_alu instid0(VALU_DEP_2) | instskip(NEXT) | instid1(VALU_DEP_2)
	v_add_co_u32 v0, vcc_lo, v2, v0
	v_add_co_ci_u32_e32 v1, vcc_lo, v3, v1, vcc_lo
	global_load_b32 v2, v[0:1], off
	s_waitcnt vmcnt(0)
	v_mul_f32_e32 v2, s0, v2
	s_delay_alu instid0(VALU_DEP_1)
	v_fmac_f32_e32 v2, s6, v10
	global_store_b32 v[0:1], v2, off
.LBB57_10:
	s_nop 0
	s_sendmsg sendmsg(MSG_DEALLOC_VGPRS)
	s_endpgm
	.section	.rodata,"a",@progbits
	.p2align	6, 0x0
	.amdhsa_kernel _ZL32rocblas_syrkx_herkx_small_kernelIifLi16ELb0ELb0ELc67ELc76EKffEviT_T0_PT6_S1_lS4_S1_lS2_PT7_S1_li
		.amdhsa_group_segment_fixed_size 2048
		.amdhsa_private_segment_fixed_size 0
		.amdhsa_kernarg_size 100
		.amdhsa_user_sgpr_count 13
		.amdhsa_user_sgpr_dispatch_ptr 0
		.amdhsa_user_sgpr_queue_ptr 0
		.amdhsa_user_sgpr_kernarg_segment_ptr 1
		.amdhsa_user_sgpr_dispatch_id 0
		.amdhsa_user_sgpr_private_segment_size 0
		.amdhsa_wavefront_size32 1
		.amdhsa_uses_dynamic_stack 0
		.amdhsa_enable_private_segment 0
		.amdhsa_system_sgpr_workgroup_id_x 1
		.amdhsa_system_sgpr_workgroup_id_y 1
		.amdhsa_system_sgpr_workgroup_id_z 1
		.amdhsa_system_sgpr_workgroup_info 0
		.amdhsa_system_vgpr_workitem_id 1
		.amdhsa_next_free_vgpr 27
		.amdhsa_next_free_sgpr 18
		.amdhsa_reserve_vcc 1
		.amdhsa_float_round_mode_32 0
		.amdhsa_float_round_mode_16_64 0
		.amdhsa_float_denorm_mode_32 3
		.amdhsa_float_denorm_mode_16_64 3
		.amdhsa_dx10_clamp 1
		.amdhsa_ieee_mode 1
		.amdhsa_fp16_overflow 0
		.amdhsa_workgroup_processor_mode 1
		.amdhsa_memory_ordered 1
		.amdhsa_forward_progress 0
		.amdhsa_shared_vgpr_count 0
		.amdhsa_exception_fp_ieee_invalid_op 0
		.amdhsa_exception_fp_denorm_src 0
		.amdhsa_exception_fp_ieee_div_zero 0
		.amdhsa_exception_fp_ieee_overflow 0
		.amdhsa_exception_fp_ieee_underflow 0
		.amdhsa_exception_fp_ieee_inexact 0
		.amdhsa_exception_int_div_zero 0
	.end_amdhsa_kernel
	.section	.text._ZL32rocblas_syrkx_herkx_small_kernelIifLi16ELb0ELb0ELc67ELc76EKffEviT_T0_PT6_S1_lS4_S1_lS2_PT7_S1_li,"axG",@progbits,_ZL32rocblas_syrkx_herkx_small_kernelIifLi16ELb0ELb0ELc67ELc76EKffEviT_T0_PT6_S1_lS4_S1_lS2_PT7_S1_li,comdat
.Lfunc_end57:
	.size	_ZL32rocblas_syrkx_herkx_small_kernelIifLi16ELb0ELb0ELc67ELc76EKffEviT_T0_PT6_S1_lS4_S1_lS2_PT7_S1_li, .Lfunc_end57-_ZL32rocblas_syrkx_herkx_small_kernelIifLi16ELb0ELb0ELc67ELc76EKffEviT_T0_PT6_S1_lS4_S1_lS2_PT7_S1_li
                                        ; -- End function
	.section	.AMDGPU.csdata,"",@progbits
; Kernel info:
; codeLenInByte = 964
; NumSgprs: 20
; NumVgprs: 27
; ScratchSize: 0
; MemoryBound: 0
; FloatMode: 240
; IeeeMode: 1
; LDSByteSize: 2048 bytes/workgroup (compile time only)
; SGPRBlocks: 2
; VGPRBlocks: 3
; NumSGPRsForWavesPerEU: 20
; NumVGPRsForWavesPerEU: 27
; Occupancy: 16
; WaveLimiterHint : 0
; COMPUTE_PGM_RSRC2:SCRATCH_EN: 0
; COMPUTE_PGM_RSRC2:USER_SGPR: 13
; COMPUTE_PGM_RSRC2:TRAP_HANDLER: 0
; COMPUTE_PGM_RSRC2:TGID_X_EN: 1
; COMPUTE_PGM_RSRC2:TGID_Y_EN: 1
; COMPUTE_PGM_RSRC2:TGID_Z_EN: 1
; COMPUTE_PGM_RSRC2:TIDIG_COMP_CNT: 1
	.section	.text._ZL32rocblas_syrkx_herkx_small_kernelIifLi16ELb0ELb0ELc78ELc76EKffEviT_T0_PT6_S1_lS4_S1_lS2_PT7_S1_li,"axG",@progbits,_ZL32rocblas_syrkx_herkx_small_kernelIifLi16ELb0ELb0ELc78ELc76EKffEviT_T0_PT6_S1_lS4_S1_lS2_PT7_S1_li,comdat
	.globl	_ZL32rocblas_syrkx_herkx_small_kernelIifLi16ELb0ELb0ELc78ELc76EKffEviT_T0_PT6_S1_lS4_S1_lS2_PT7_S1_li ; -- Begin function _ZL32rocblas_syrkx_herkx_small_kernelIifLi16ELb0ELb0ELc78ELc76EKffEviT_T0_PT6_S1_lS4_S1_lS2_PT7_S1_li
	.p2align	8
	.type	_ZL32rocblas_syrkx_herkx_small_kernelIifLi16ELb0ELb0ELc78ELc76EKffEviT_T0_PT6_S1_lS4_S1_lS2_PT7_S1_li,@function
_ZL32rocblas_syrkx_herkx_small_kernelIifLi16ELb0ELb0ELc78ELc76EKffEviT_T0_PT6_S1_lS4_S1_lS2_PT7_S1_li: ; @_ZL32rocblas_syrkx_herkx_small_kernelIifLi16ELb0ELb0ELc78ELc76EKffEviT_T0_PT6_S1_lS4_S1_lS2_PT7_S1_li
; %bb.0:
	s_load_b128 s[4:7], s[0:1], 0x0
	v_and_b32_e32 v7, 0x3ff, v0
	v_bfe_u32 v8, v0, 10, 10
	s_waitcnt lgkmcnt(0)
	s_mov_b32 s7, 0
	s_delay_alu instid0(VALU_DEP_2) | instskip(NEXT) | instid1(VALU_DEP_2)
	v_lshl_add_u32 v0, s13, 4, v7
	v_lshl_add_u32 v2, s14, 4, v8
	s_delay_alu instid0(VALU_DEP_2)
	v_ashrrev_i32_e32 v1, 31, v0
	v_cmp_gt_i32_e32 vcc_lo, s4, v0
	s_cmp_lt_i32 s5, 1
	s_cbranch_scc1 .LBB58_7
; %bb.1:
	s_clause 0x3
	s_load_b32 s12, s[0:1], 0x30
	s_load_b64 s[16:17], s[0:1], 0x38
	s_load_b128 s[8:11], s[0:1], 0x20
	s_load_b32 s18, s[0:1], 0x18
	v_lshlrev_b32_e32 v4, 6, v8
	v_lshlrev_b32_e32 v9, 2, v7
	v_ashrrev_i32_e32 v3, 31, v2
	s_load_b64 s[20:21], s[0:1], 0x10
	v_cmp_gt_i32_e64 s2, s4, v2
	v_add_nc_u32_e32 v10, 0x400, v4
	v_add_nc_u32_e32 v11, v9, v4
	v_lshlrev_b64 v[3:4], 2, v[2:3]
	s_waitcnt lgkmcnt(0)
	v_mad_i64_i32 v[5:6], null, s12, v7, 0
	s_mul_i32 s3, s17, s15
	v_mad_i64_i32 v[14:15], null, s18, v8, 0
	s_mul_hi_u32 s14, s16, s15
	s_mul_i32 s16, s16, s15
	s_add_i32 s17, s14, s3
	s_delay_alu instid0(VALU_DEP_2) | instskip(SKIP_2) | instid1(VALU_DEP_2)
	v_lshlrev_b64 v[5:6], 2, v[5:6]
	s_mul_i32 s9, s9, s15
	s_mul_hi_u32 s19, s8, s15
	v_lshlrev_b64 v[14:15], 2, v[14:15]
	s_lshl_b64 s[16:17], s[16:17], 2
	s_mul_i32 s8, s8, s15
	s_add_i32 s9, s19, s9
	v_add_co_u32 v12, s3, s16, v5
	s_lshl_b64 s[8:9], s[8:9], 2
	v_add_co_ci_u32_e64 v16, s3, s17, v6, s3
	v_add_co_u32 v14, s3, s8, v14
	v_lshlrev_b64 v[5:6], 2, v[0:1]
	v_add_co_ci_u32_e64 v15, s3, s9, v15, s3
	v_add_co_u32 v3, s3, v12, v3
	v_mov_b32_e32 v12, 0
	v_add_co_ci_u32_e64 v4, s3, v16, v4, s3
	v_add_co_u32 v5, s3, v14, v5
	s_delay_alu instid0(VALU_DEP_1) | instskip(SKIP_1) | instid1(VALU_DEP_1)
	v_add_co_ci_u32_e64 v6, s3, v15, v6, s3
	v_add_co_u32 v3, s3, s10, v3
	v_add_co_ci_u32_e64 v4, s3, s11, v4, s3
	s_delay_alu instid0(VALU_DEP_4)
	v_add_co_u32 v5, s3, s20, v5
	v_add_nc_u32_e32 v13, v10, v9
	v_add_co_ci_u32_e64 v6, s3, s21, v6, s3
	s_ashr_i32 s13, s12, 31
	s_ashr_i32 s19, s18, 31
	s_lshl_b64 s[8:9], s[12:13], 6
	s_lshl_b64 s[10:11], s[18:19], 6
	s_branch .LBB58_3
.LBB58_2:                               ;   in Loop: Header=BB58_3 Depth=1
	s_or_b32 exec_lo, exec_lo, s3
	s_waitcnt vmcnt(0)
	ds_store_b32 v13, v15
	s_waitcnt lgkmcnt(0)
	s_barrier
	buffer_gl0_inv
	ds_load_2addr_b32 v[22:23], v9 offset1:16
	ds_load_b128 v[14:17], v10
	ds_load_2addr_b32 v[24:25], v9 offset0:32 offset1:48
	ds_load_b128 v[18:21], v10 offset:16
	ds_load_2addr_b32 v[26:27], v9 offset0:64 offset1:80
	v_add_co_u32 v3, s3, v3, s8
	s_delay_alu instid0(VALU_DEP_1) | instskip(SKIP_1) | instid1(VALU_DEP_1)
	v_add_co_ci_u32_e64 v4, s3, s9, v4, s3
	v_add_co_u32 v5, s3, v5, s10
	v_add_co_ci_u32_e64 v6, s3, s11, v6, s3
	s_add_i32 s7, s7, 16
	s_delay_alu instid0(SALU_CYCLE_1) | instskip(SKIP_2) | instid1(VALU_DEP_1)
	s_cmp_ge_i32 s7, s5
	s_waitcnt lgkmcnt(3)
	v_fmac_f32_e32 v12, v22, v14
	v_fmac_f32_e32 v12, v23, v15
	ds_load_2addr_b32 v[22:23], v9 offset0:96 offset1:112
	s_waitcnt lgkmcnt(3)
	v_fmac_f32_e32 v12, v24, v16
	s_delay_alu instid0(VALU_DEP_1) | instskip(SKIP_4) | instid1(VALU_DEP_1)
	v_fmac_f32_e32 v12, v25, v17
	ds_load_2addr_b32 v[24:25], v9 offset0:128 offset1:144
	ds_load_b128 v[14:17], v10 offset:32
	s_waitcnt lgkmcnt(3)
	v_fmac_f32_e32 v12, v26, v18
	v_fmac_f32_e32 v12, v27, v19
	ds_load_2addr_b32 v[26:27], v9 offset0:160 offset1:176
	s_waitcnt lgkmcnt(3)
	v_fmac_f32_e32 v12, v22, v20
	s_delay_alu instid0(VALU_DEP_1) | instskip(SKIP_4) | instid1(VALU_DEP_1)
	v_fmac_f32_e32 v12, v23, v21
	ds_load_b128 v[18:21], v10 offset:48
	ds_load_2addr_b32 v[22:23], v9 offset0:192 offset1:208
	s_waitcnt lgkmcnt(3)
	v_fmac_f32_e32 v12, v24, v14
	v_fmac_f32_e32 v12, v25, v15
	ds_load_2addr_b32 v[14:15], v9 offset0:224 offset1:240
	s_waitcnt lgkmcnt(0)
	s_barrier
	buffer_gl0_inv
	v_fmac_f32_e32 v12, v26, v16
	s_delay_alu instid0(VALU_DEP_1) | instskip(NEXT) | instid1(VALU_DEP_1)
	v_fmac_f32_e32 v12, v27, v17
	v_fmac_f32_e32 v12, v22, v18
	s_delay_alu instid0(VALU_DEP_1) | instskip(NEXT) | instid1(VALU_DEP_1)
	v_fmac_f32_e32 v12, v23, v19
	v_fmac_f32_e32 v12, v14, v20
	s_delay_alu instid0(VALU_DEP_1)
	v_fmac_f32_e32 v12, v15, v21
	s_cbranch_scc1 .LBB58_8
.LBB58_3:                               ; =>This Inner Loop Header: Depth=1
	v_add_nc_u32_e32 v14, s7, v8
	s_delay_alu instid0(VALU_DEP_1) | instskip(SKIP_1) | instid1(VALU_DEP_2)
	v_cmp_gt_i32_e64 s3, s5, v14
	v_mov_b32_e32 v14, 0
	s_and_b32 s12, vcc_lo, s3
	s_delay_alu instid0(SALU_CYCLE_1)
	s_and_saveexec_b32 s3, s12
	s_cbranch_execz .LBB58_5
; %bb.4:                                ;   in Loop: Header=BB58_3 Depth=1
	global_load_b32 v14, v[5:6], off
.LBB58_5:                               ;   in Loop: Header=BB58_3 Depth=1
	s_or_b32 exec_lo, exec_lo, s3
	v_add_nc_u32_e32 v15, s7, v7
	s_waitcnt vmcnt(0)
	ds_store_b32 v11, v14
	v_cmp_gt_i32_e64 s3, s5, v15
	v_mov_b32_e32 v15, 0
	s_delay_alu instid0(VALU_DEP_2) | instskip(NEXT) | instid1(SALU_CYCLE_1)
	s_and_b32 s12, s2, s3
	s_and_saveexec_b32 s3, s12
	s_cbranch_execz .LBB58_2
; %bb.6:                                ;   in Loop: Header=BB58_3 Depth=1
	global_load_b32 v15, v[3:4], off
	s_branch .LBB58_2
.LBB58_7:
	v_mov_b32_e32 v12, 0
.LBB58_8:
	v_cmp_le_i32_e32 vcc_lo, v2, v0
	v_cmp_gt_i32_e64 s2, s4, v0
	s_delay_alu instid0(VALU_DEP_1) | instskip(NEXT) | instid1(SALU_CYCLE_1)
	s_and_b32 s2, vcc_lo, s2
	s_and_saveexec_b32 s3, s2
	s_cbranch_execz .LBB58_10
; %bb.9:
	s_clause 0x2
	s_load_b32 s7, s[0:1], 0x50
	s_load_b64 s[2:3], s[0:1], 0x58
	s_load_b64 s[4:5], s[0:1], 0x48
	v_lshlrev_b64 v[0:1], 2, v[0:1]
	s_load_b32 s0, s[0:1], 0x40
	s_waitcnt lgkmcnt(0)
	v_mad_i64_i32 v[3:4], null, s7, v2, 0
	s_mul_i32 s3, s15, s3
	s_mul_hi_u32 s7, s15, s2
	s_mul_i32 s2, s15, s2
	s_add_i32 s3, s7, s3
	s_delay_alu instid0(SALU_CYCLE_1) | instskip(NEXT) | instid1(VALU_DEP_1)
	s_lshl_b64 s[2:3], s[2:3], 2
	v_lshlrev_b64 v[2:3], 2, v[3:4]
	s_add_u32 s2, s4, s2
	s_addc_u32 s3, s5, s3
	s_delay_alu instid0(VALU_DEP_1) | instskip(NEXT) | instid1(VALU_DEP_2)
	v_add_co_u32 v2, vcc_lo, s2, v2
	v_add_co_ci_u32_e32 v3, vcc_lo, s3, v3, vcc_lo
	s_delay_alu instid0(VALU_DEP_2) | instskip(NEXT) | instid1(VALU_DEP_2)
	v_add_co_u32 v0, vcc_lo, v2, v0
	v_add_co_ci_u32_e32 v1, vcc_lo, v3, v1, vcc_lo
	global_load_b32 v2, v[0:1], off
	s_waitcnt vmcnt(0)
	v_mul_f32_e32 v2, s0, v2
	s_delay_alu instid0(VALU_DEP_1)
	v_fmac_f32_e32 v2, s6, v12
	global_store_b32 v[0:1], v2, off
.LBB58_10:
	s_nop 0
	s_sendmsg sendmsg(MSG_DEALLOC_VGPRS)
	s_endpgm
	.section	.rodata,"a",@progbits
	.p2align	6, 0x0
	.amdhsa_kernel _ZL32rocblas_syrkx_herkx_small_kernelIifLi16ELb0ELb0ELc78ELc76EKffEviT_T0_PT6_S1_lS4_S1_lS2_PT7_S1_li
		.amdhsa_group_segment_fixed_size 2048
		.amdhsa_private_segment_fixed_size 0
		.amdhsa_kernarg_size 100
		.amdhsa_user_sgpr_count 13
		.amdhsa_user_sgpr_dispatch_ptr 0
		.amdhsa_user_sgpr_queue_ptr 0
		.amdhsa_user_sgpr_kernarg_segment_ptr 1
		.amdhsa_user_sgpr_dispatch_id 0
		.amdhsa_user_sgpr_private_segment_size 0
		.amdhsa_wavefront_size32 1
		.amdhsa_uses_dynamic_stack 0
		.amdhsa_enable_private_segment 0
		.amdhsa_system_sgpr_workgroup_id_x 1
		.amdhsa_system_sgpr_workgroup_id_y 1
		.amdhsa_system_sgpr_workgroup_id_z 1
		.amdhsa_system_sgpr_workgroup_info 0
		.amdhsa_system_vgpr_workitem_id 1
		.amdhsa_next_free_vgpr 28
		.amdhsa_next_free_sgpr 22
		.amdhsa_reserve_vcc 1
		.amdhsa_float_round_mode_32 0
		.amdhsa_float_round_mode_16_64 0
		.amdhsa_float_denorm_mode_32 3
		.amdhsa_float_denorm_mode_16_64 3
		.amdhsa_dx10_clamp 1
		.amdhsa_ieee_mode 1
		.amdhsa_fp16_overflow 0
		.amdhsa_workgroup_processor_mode 1
		.amdhsa_memory_ordered 1
		.amdhsa_forward_progress 0
		.amdhsa_shared_vgpr_count 0
		.amdhsa_exception_fp_ieee_invalid_op 0
		.amdhsa_exception_fp_denorm_src 0
		.amdhsa_exception_fp_ieee_div_zero 0
		.amdhsa_exception_fp_ieee_overflow 0
		.amdhsa_exception_fp_ieee_underflow 0
		.amdhsa_exception_fp_ieee_inexact 0
		.amdhsa_exception_int_div_zero 0
	.end_amdhsa_kernel
	.section	.text._ZL32rocblas_syrkx_herkx_small_kernelIifLi16ELb0ELb0ELc78ELc76EKffEviT_T0_PT6_S1_lS4_S1_lS2_PT7_S1_li,"axG",@progbits,_ZL32rocblas_syrkx_herkx_small_kernelIifLi16ELb0ELb0ELc78ELc76EKffEviT_T0_PT6_S1_lS4_S1_lS2_PT7_S1_li,comdat
.Lfunc_end58:
	.size	_ZL32rocblas_syrkx_herkx_small_kernelIifLi16ELb0ELb0ELc78ELc76EKffEviT_T0_PT6_S1_lS4_S1_lS2_PT7_S1_li, .Lfunc_end58-_ZL32rocblas_syrkx_herkx_small_kernelIifLi16ELb0ELb0ELc78ELc76EKffEviT_T0_PT6_S1_lS4_S1_lS2_PT7_S1_li
                                        ; -- End function
	.section	.AMDGPU.csdata,"",@progbits
; Kernel info:
; codeLenInByte = 984
; NumSgprs: 24
; NumVgprs: 28
; ScratchSize: 0
; MemoryBound: 0
; FloatMode: 240
; IeeeMode: 1
; LDSByteSize: 2048 bytes/workgroup (compile time only)
; SGPRBlocks: 2
; VGPRBlocks: 3
; NumSGPRsForWavesPerEU: 24
; NumVGPRsForWavesPerEU: 28
; Occupancy: 16
; WaveLimiterHint : 0
; COMPUTE_PGM_RSRC2:SCRATCH_EN: 0
; COMPUTE_PGM_RSRC2:USER_SGPR: 13
; COMPUTE_PGM_RSRC2:TRAP_HANDLER: 0
; COMPUTE_PGM_RSRC2:TGID_X_EN: 1
; COMPUTE_PGM_RSRC2:TGID_Y_EN: 1
; COMPUTE_PGM_RSRC2:TGID_Z_EN: 1
; COMPUTE_PGM_RSRC2:TIDIG_COMP_CNT: 1
	.section	.text._ZL32rocblas_syrkx_herkx_small_kernelIifLi16ELb0ELb0ELc84ELc85EKffEviT_T0_PT6_S1_lS4_S1_lS2_PT7_S1_li,"axG",@progbits,_ZL32rocblas_syrkx_herkx_small_kernelIifLi16ELb0ELb0ELc84ELc85EKffEviT_T0_PT6_S1_lS4_S1_lS2_PT7_S1_li,comdat
	.globl	_ZL32rocblas_syrkx_herkx_small_kernelIifLi16ELb0ELb0ELc84ELc85EKffEviT_T0_PT6_S1_lS4_S1_lS2_PT7_S1_li ; -- Begin function _ZL32rocblas_syrkx_herkx_small_kernelIifLi16ELb0ELb0ELc84ELc85EKffEviT_T0_PT6_S1_lS4_S1_lS2_PT7_S1_li
	.p2align	8
	.type	_ZL32rocblas_syrkx_herkx_small_kernelIifLi16ELb0ELb0ELc84ELc85EKffEviT_T0_PT6_S1_lS4_S1_lS2_PT7_S1_li,@function
_ZL32rocblas_syrkx_herkx_small_kernelIifLi16ELb0ELb0ELc84ELc85EKffEviT_T0_PT6_S1_lS4_S1_lS2_PT7_S1_li: ; @_ZL32rocblas_syrkx_herkx_small_kernelIifLi16ELb0ELb0ELc84ELc85EKffEviT_T0_PT6_S1_lS4_S1_lS2_PT7_S1_li
; %bb.0:
	s_load_b128 s[4:7], s[0:1], 0x0
	v_bfe_u32 v6, v0, 10, 10
	v_and_b32_e32 v7, 0x3ff, v0
	s_waitcnt lgkmcnt(0)
	s_mov_b32 s7, 0
	s_delay_alu instid0(VALU_DEP_2) | instskip(NEXT) | instid1(VALU_DEP_2)
	v_lshl_add_u32 v5, s14, 4, v6
	v_lshl_add_u32 v0, s13, 4, v7
	s_delay_alu instid0(VALU_DEP_2)
	v_cmp_gt_i32_e32 vcc_lo, s4, v5
	s_cmp_lt_i32 s5, 1
	s_cbranch_scc1 .LBB59_7
; %bb.1:
	s_clause 0x3
	s_load_b32 s3, s[0:1], 0x30
	s_load_b64 s[12:13], s[0:1], 0x38
	s_load_b32 s14, s[0:1], 0x18
	s_load_b128 s[8:11], s[0:1], 0x20
	v_lshlrev_b32_e32 v1, 6, v6
	v_lshlrev_b32_e32 v8, 2, v7
	s_load_b64 s[16:17], s[0:1], 0x10
	v_lshlrev_b32_e32 v10, 2, v6
	v_cmp_gt_i32_e64 s2, s4, v0
	v_add_nc_u32_e32 v9, 0x400, v1
	v_add_nc_u32_e32 v11, v8, v1
	s_delay_alu instid0(VALU_DEP_2)
	v_add_nc_u32_e32 v12, v9, v8
	s_waitcnt lgkmcnt(0)
	v_mad_i64_i32 v[1:2], null, s3, v5, 0
	v_mad_i64_i32 v[3:4], null, s14, v0, 0
	s_mul_i32 s3, s13, s15
	s_mul_hi_u32 s13, s12, s15
	s_mul_i32 s12, s12, s15
	s_add_i32 s13, s13, s3
	s_delay_alu instid0(VALU_DEP_2)
	v_lshlrev_b64 v[1:2], 2, v[1:2]
	s_mul_i32 s9, s9, s15
	s_mul_hi_u32 s14, s8, s15
	v_lshlrev_b64 v[3:4], 2, v[3:4]
	s_lshl_b64 s[12:13], s[12:13], 2
	s_mul_i32 s8, s8, s15
	s_add_i32 s9, s14, s9
	v_add_co_u32 v1, s3, v1, s12
	s_lshl_b64 s[8:9], s[8:9], 2
	v_add_co_ci_u32_e64 v2, s3, s13, v2, s3
	v_add_co_u32 v3, s3, v3, s8
	s_delay_alu instid0(VALU_DEP_1) | instskip(SKIP_1) | instid1(VALU_DEP_1)
	v_add_co_ci_u32_e64 v4, s3, s9, v4, s3
	v_add_co_u32 v1, s3, v1, v8
	v_add_co_ci_u32_e64 v2, s3, 0, v2, s3
	s_delay_alu instid0(VALU_DEP_4) | instskip(SKIP_3) | instid1(VALU_DEP_1)
	v_add_co_u32 v3, s3, v3, v10
	v_mov_b32_e32 v10, 0
	v_add_co_ci_u32_e64 v4, s3, 0, v4, s3
	v_add_co_u32 v1, s3, s10, v1
	v_add_co_ci_u32_e64 v2, s3, s11, v2, s3
	v_add_co_u32 v3, s3, s16, v3
	s_delay_alu instid0(VALU_DEP_1)
	v_add_co_ci_u32_e64 v4, s3, s17, v4, s3
	s_branch .LBB59_3
.LBB59_2:                               ;   in Loop: Header=BB59_3 Depth=1
	s_or_b32 exec_lo, exec_lo, s3
	s_waitcnt vmcnt(0)
	ds_store_b32 v12, v14
	s_waitcnt lgkmcnt(0)
	s_barrier
	buffer_gl0_inv
	ds_load_2addr_b32 v[21:22], v8 offset1:16
	ds_load_b128 v[13:16], v9
	ds_load_2addr_b32 v[23:24], v8 offset0:32 offset1:48
	ds_load_b128 v[17:20], v9 offset:16
	ds_load_2addr_b32 v[25:26], v8 offset0:64 offset1:80
	v_add_co_u32 v1, s3, v1, 64
	s_delay_alu instid0(VALU_DEP_1) | instskip(SKIP_1) | instid1(VALU_DEP_1)
	v_add_co_ci_u32_e64 v2, s3, 0, v2, s3
	v_add_co_u32 v3, s3, v3, 64
	v_add_co_ci_u32_e64 v4, s3, 0, v4, s3
	s_add_i32 s7, s7, 16
	s_delay_alu instid0(SALU_CYCLE_1) | instskip(SKIP_2) | instid1(VALU_DEP_1)
	s_cmp_ge_i32 s7, s5
	s_waitcnt lgkmcnt(3)
	v_fmac_f32_e32 v10, v21, v13
	v_fmac_f32_e32 v10, v22, v14
	ds_load_2addr_b32 v[21:22], v8 offset0:96 offset1:112
	s_waitcnt lgkmcnt(3)
	v_fmac_f32_e32 v10, v23, v15
	s_delay_alu instid0(VALU_DEP_1) | instskip(SKIP_4) | instid1(VALU_DEP_1)
	v_fmac_f32_e32 v10, v24, v16
	ds_load_2addr_b32 v[23:24], v8 offset0:128 offset1:144
	ds_load_b128 v[13:16], v9 offset:32
	s_waitcnt lgkmcnt(3)
	v_fmac_f32_e32 v10, v25, v17
	v_fmac_f32_e32 v10, v26, v18
	ds_load_2addr_b32 v[25:26], v8 offset0:160 offset1:176
	s_waitcnt lgkmcnt(3)
	v_fmac_f32_e32 v10, v21, v19
	s_delay_alu instid0(VALU_DEP_1) | instskip(SKIP_4) | instid1(VALU_DEP_1)
	v_fmac_f32_e32 v10, v22, v20
	ds_load_b128 v[17:20], v9 offset:48
	ds_load_2addr_b32 v[21:22], v8 offset0:192 offset1:208
	s_waitcnt lgkmcnt(3)
	v_fmac_f32_e32 v10, v23, v13
	v_fmac_f32_e32 v10, v24, v14
	ds_load_2addr_b32 v[13:14], v8 offset0:224 offset1:240
	s_waitcnt lgkmcnt(0)
	s_barrier
	buffer_gl0_inv
	v_fmac_f32_e32 v10, v25, v15
	s_delay_alu instid0(VALU_DEP_1) | instskip(NEXT) | instid1(VALU_DEP_1)
	v_fmac_f32_e32 v10, v26, v16
	v_fmac_f32_e32 v10, v21, v17
	s_delay_alu instid0(VALU_DEP_1) | instskip(NEXT) | instid1(VALU_DEP_1)
	v_fmac_f32_e32 v10, v22, v18
	v_fmac_f32_e32 v10, v13, v19
	s_delay_alu instid0(VALU_DEP_1)
	v_fmac_f32_e32 v10, v14, v20
	s_cbranch_scc1 .LBB59_8
.LBB59_3:                               ; =>This Inner Loop Header: Depth=1
	v_add_nc_u32_e32 v13, s7, v6
	s_delay_alu instid0(VALU_DEP_1) | instskip(SKIP_1) | instid1(VALU_DEP_2)
	v_cmp_gt_i32_e64 s3, s5, v13
	v_mov_b32_e32 v13, 0
	s_and_b32 s8, s2, s3
	s_delay_alu instid0(SALU_CYCLE_1)
	s_and_saveexec_b32 s3, s8
	s_cbranch_execz .LBB59_5
; %bb.4:                                ;   in Loop: Header=BB59_3 Depth=1
	global_load_b32 v13, v[3:4], off
.LBB59_5:                               ;   in Loop: Header=BB59_3 Depth=1
	s_or_b32 exec_lo, exec_lo, s3
	v_add_nc_u32_e32 v14, s7, v7
	s_waitcnt vmcnt(0)
	ds_store_b32 v11, v13
	v_cmp_gt_i32_e64 s3, s5, v14
	v_mov_b32_e32 v14, 0
	s_delay_alu instid0(VALU_DEP_2) | instskip(NEXT) | instid1(SALU_CYCLE_1)
	s_and_b32 s8, vcc_lo, s3
	s_and_saveexec_b32 s3, s8
	s_cbranch_execz .LBB59_2
; %bb.6:                                ;   in Loop: Header=BB59_3 Depth=1
	global_load_b32 v14, v[1:2], off
	s_branch .LBB59_2
.LBB59_7:
	v_mov_b32_e32 v10, 0
.LBB59_8:
	v_cmp_le_i32_e32 vcc_lo, v0, v5
	v_cmp_gt_i32_e64 s2, s4, v5
	s_delay_alu instid0(VALU_DEP_1) | instskip(NEXT) | instid1(SALU_CYCLE_1)
	s_and_b32 s2, vcc_lo, s2
	s_and_saveexec_b32 s3, s2
	s_cbranch_execz .LBB59_10
; %bb.9:
	s_clause 0x2
	s_load_b32 s7, s[0:1], 0x50
	s_load_b64 s[2:3], s[0:1], 0x58
	s_load_b64 s[4:5], s[0:1], 0x48
	v_ashrrev_i32_e32 v1, 31, v0
	s_load_b32 s0, s[0:1], 0x40
	s_delay_alu instid0(VALU_DEP_1)
	v_lshlrev_b64 v[0:1], 2, v[0:1]
	s_waitcnt lgkmcnt(0)
	v_mad_i64_i32 v[2:3], null, s7, v5, 0
	s_mul_i32 s3, s15, s3
	s_mul_hi_u32 s7, s15, s2
	s_mul_i32 s2, s15, s2
	s_add_i32 s3, s7, s3
	s_delay_alu instid0(SALU_CYCLE_1) | instskip(NEXT) | instid1(VALU_DEP_1)
	s_lshl_b64 s[2:3], s[2:3], 2
	v_lshlrev_b64 v[2:3], 2, v[2:3]
	s_add_u32 s2, s4, s2
	s_addc_u32 s3, s5, s3
	s_delay_alu instid0(VALU_DEP_1) | instskip(NEXT) | instid1(VALU_DEP_2)
	v_add_co_u32 v2, vcc_lo, s2, v2
	v_add_co_ci_u32_e32 v3, vcc_lo, s3, v3, vcc_lo
	s_delay_alu instid0(VALU_DEP_2) | instskip(NEXT) | instid1(VALU_DEP_2)
	v_add_co_u32 v0, vcc_lo, v2, v0
	v_add_co_ci_u32_e32 v1, vcc_lo, v3, v1, vcc_lo
	global_load_b32 v2, v[0:1], off
	s_waitcnt vmcnt(0)
	v_mul_f32_e32 v2, s0, v2
	s_delay_alu instid0(VALU_DEP_1)
	v_fmac_f32_e32 v2, s6, v10
	global_store_b32 v[0:1], v2, off
.LBB59_10:
	s_nop 0
	s_sendmsg sendmsg(MSG_DEALLOC_VGPRS)
	s_endpgm
	.section	.rodata,"a",@progbits
	.p2align	6, 0x0
	.amdhsa_kernel _ZL32rocblas_syrkx_herkx_small_kernelIifLi16ELb0ELb0ELc84ELc85EKffEviT_T0_PT6_S1_lS4_S1_lS2_PT7_S1_li
		.amdhsa_group_segment_fixed_size 2048
		.amdhsa_private_segment_fixed_size 0
		.amdhsa_kernarg_size 100
		.amdhsa_user_sgpr_count 13
		.amdhsa_user_sgpr_dispatch_ptr 0
		.amdhsa_user_sgpr_queue_ptr 0
		.amdhsa_user_sgpr_kernarg_segment_ptr 1
		.amdhsa_user_sgpr_dispatch_id 0
		.amdhsa_user_sgpr_private_segment_size 0
		.amdhsa_wavefront_size32 1
		.amdhsa_uses_dynamic_stack 0
		.amdhsa_enable_private_segment 0
		.amdhsa_system_sgpr_workgroup_id_x 1
		.amdhsa_system_sgpr_workgroup_id_y 1
		.amdhsa_system_sgpr_workgroup_id_z 1
		.amdhsa_system_sgpr_workgroup_info 0
		.amdhsa_system_vgpr_workitem_id 1
		.amdhsa_next_free_vgpr 27
		.amdhsa_next_free_sgpr 18
		.amdhsa_reserve_vcc 1
		.amdhsa_float_round_mode_32 0
		.amdhsa_float_round_mode_16_64 0
		.amdhsa_float_denorm_mode_32 3
		.amdhsa_float_denorm_mode_16_64 3
		.amdhsa_dx10_clamp 1
		.amdhsa_ieee_mode 1
		.amdhsa_fp16_overflow 0
		.amdhsa_workgroup_processor_mode 1
		.amdhsa_memory_ordered 1
		.amdhsa_forward_progress 0
		.amdhsa_shared_vgpr_count 0
		.amdhsa_exception_fp_ieee_invalid_op 0
		.amdhsa_exception_fp_denorm_src 0
		.amdhsa_exception_fp_ieee_div_zero 0
		.amdhsa_exception_fp_ieee_overflow 0
		.amdhsa_exception_fp_ieee_underflow 0
		.amdhsa_exception_fp_ieee_inexact 0
		.amdhsa_exception_int_div_zero 0
	.end_amdhsa_kernel
	.section	.text._ZL32rocblas_syrkx_herkx_small_kernelIifLi16ELb0ELb0ELc84ELc85EKffEviT_T0_PT6_S1_lS4_S1_lS2_PT7_S1_li,"axG",@progbits,_ZL32rocblas_syrkx_herkx_small_kernelIifLi16ELb0ELb0ELc84ELc85EKffEviT_T0_PT6_S1_lS4_S1_lS2_PT7_S1_li,comdat
.Lfunc_end59:
	.size	_ZL32rocblas_syrkx_herkx_small_kernelIifLi16ELb0ELb0ELc84ELc85EKffEviT_T0_PT6_S1_lS4_S1_lS2_PT7_S1_li, .Lfunc_end59-_ZL32rocblas_syrkx_herkx_small_kernelIifLi16ELb0ELb0ELc84ELc85EKffEviT_T0_PT6_S1_lS4_S1_lS2_PT7_S1_li
                                        ; -- End function
	.section	.AMDGPU.csdata,"",@progbits
; Kernel info:
; codeLenInByte = 964
; NumSgprs: 20
; NumVgprs: 27
; ScratchSize: 0
; MemoryBound: 0
; FloatMode: 240
; IeeeMode: 1
; LDSByteSize: 2048 bytes/workgroup (compile time only)
; SGPRBlocks: 2
; VGPRBlocks: 3
; NumSGPRsForWavesPerEU: 20
; NumVGPRsForWavesPerEU: 27
; Occupancy: 16
; WaveLimiterHint : 0
; COMPUTE_PGM_RSRC2:SCRATCH_EN: 0
; COMPUTE_PGM_RSRC2:USER_SGPR: 13
; COMPUTE_PGM_RSRC2:TRAP_HANDLER: 0
; COMPUTE_PGM_RSRC2:TGID_X_EN: 1
; COMPUTE_PGM_RSRC2:TGID_Y_EN: 1
; COMPUTE_PGM_RSRC2:TGID_Z_EN: 1
; COMPUTE_PGM_RSRC2:TIDIG_COMP_CNT: 1
	.section	.text._ZL32rocblas_syrkx_herkx_small_kernelIifLi16ELb0ELb0ELc67ELc85EKffEviT_T0_PT6_S1_lS4_S1_lS2_PT7_S1_li,"axG",@progbits,_ZL32rocblas_syrkx_herkx_small_kernelIifLi16ELb0ELb0ELc67ELc85EKffEviT_T0_PT6_S1_lS4_S1_lS2_PT7_S1_li,comdat
	.globl	_ZL32rocblas_syrkx_herkx_small_kernelIifLi16ELb0ELb0ELc67ELc85EKffEviT_T0_PT6_S1_lS4_S1_lS2_PT7_S1_li ; -- Begin function _ZL32rocblas_syrkx_herkx_small_kernelIifLi16ELb0ELb0ELc67ELc85EKffEviT_T0_PT6_S1_lS4_S1_lS2_PT7_S1_li
	.p2align	8
	.type	_ZL32rocblas_syrkx_herkx_small_kernelIifLi16ELb0ELb0ELc67ELc85EKffEviT_T0_PT6_S1_lS4_S1_lS2_PT7_S1_li,@function
_ZL32rocblas_syrkx_herkx_small_kernelIifLi16ELb0ELb0ELc67ELc85EKffEviT_T0_PT6_S1_lS4_S1_lS2_PT7_S1_li: ; @_ZL32rocblas_syrkx_herkx_small_kernelIifLi16ELb0ELb0ELc67ELc85EKffEviT_T0_PT6_S1_lS4_S1_lS2_PT7_S1_li
; %bb.0:
	s_load_b128 s[4:7], s[0:1], 0x0
	v_bfe_u32 v6, v0, 10, 10
	v_and_b32_e32 v7, 0x3ff, v0
	s_waitcnt lgkmcnt(0)
	s_mov_b32 s7, 0
	s_delay_alu instid0(VALU_DEP_2) | instskip(NEXT) | instid1(VALU_DEP_2)
	v_lshl_add_u32 v5, s14, 4, v6
	v_lshl_add_u32 v0, s13, 4, v7
	s_delay_alu instid0(VALU_DEP_2)
	v_cmp_gt_i32_e32 vcc_lo, s4, v5
	s_cmp_lt_i32 s5, 1
	s_cbranch_scc1 .LBB60_7
; %bb.1:
	s_clause 0x3
	s_load_b32 s3, s[0:1], 0x30
	s_load_b64 s[12:13], s[0:1], 0x38
	s_load_b32 s14, s[0:1], 0x18
	s_load_b128 s[8:11], s[0:1], 0x20
	v_lshlrev_b32_e32 v1, 6, v6
	v_lshlrev_b32_e32 v8, 2, v7
	s_load_b64 s[16:17], s[0:1], 0x10
	v_lshlrev_b32_e32 v10, 2, v6
	v_cmp_gt_i32_e64 s2, s4, v0
	v_add_nc_u32_e32 v9, 0x400, v1
	v_add_nc_u32_e32 v11, v8, v1
	s_delay_alu instid0(VALU_DEP_2)
	v_add_nc_u32_e32 v12, v9, v8
	s_waitcnt lgkmcnt(0)
	v_mad_i64_i32 v[1:2], null, s3, v5, 0
	v_mad_i64_i32 v[3:4], null, s14, v0, 0
	s_mul_i32 s3, s13, s15
	s_mul_hi_u32 s13, s12, s15
	s_mul_i32 s12, s12, s15
	s_add_i32 s13, s13, s3
	s_delay_alu instid0(VALU_DEP_2)
	v_lshlrev_b64 v[1:2], 2, v[1:2]
	s_mul_i32 s9, s9, s15
	s_mul_hi_u32 s14, s8, s15
	v_lshlrev_b64 v[3:4], 2, v[3:4]
	s_lshl_b64 s[12:13], s[12:13], 2
	s_mul_i32 s8, s8, s15
	s_add_i32 s9, s14, s9
	v_add_co_u32 v1, s3, v1, s12
	s_lshl_b64 s[8:9], s[8:9], 2
	v_add_co_ci_u32_e64 v2, s3, s13, v2, s3
	v_add_co_u32 v3, s3, v3, s8
	s_delay_alu instid0(VALU_DEP_1) | instskip(SKIP_1) | instid1(VALU_DEP_1)
	v_add_co_ci_u32_e64 v4, s3, s9, v4, s3
	v_add_co_u32 v1, s3, v1, v8
	v_add_co_ci_u32_e64 v2, s3, 0, v2, s3
	s_delay_alu instid0(VALU_DEP_4) | instskip(SKIP_3) | instid1(VALU_DEP_1)
	v_add_co_u32 v3, s3, v3, v10
	v_mov_b32_e32 v10, 0
	v_add_co_ci_u32_e64 v4, s3, 0, v4, s3
	v_add_co_u32 v1, s3, s10, v1
	v_add_co_ci_u32_e64 v2, s3, s11, v2, s3
	v_add_co_u32 v3, s3, s16, v3
	s_delay_alu instid0(VALU_DEP_1)
	v_add_co_ci_u32_e64 v4, s3, s17, v4, s3
	s_branch .LBB60_3
.LBB60_2:                               ;   in Loop: Header=BB60_3 Depth=1
	s_or_b32 exec_lo, exec_lo, s3
	s_waitcnt vmcnt(0)
	ds_store_b32 v12, v14
	s_waitcnt lgkmcnt(0)
	s_barrier
	buffer_gl0_inv
	ds_load_2addr_b32 v[21:22], v8 offset1:16
	ds_load_b128 v[13:16], v9
	ds_load_2addr_b32 v[23:24], v8 offset0:32 offset1:48
	ds_load_b128 v[17:20], v9 offset:16
	ds_load_2addr_b32 v[25:26], v8 offset0:64 offset1:80
	v_add_co_u32 v1, s3, v1, 64
	s_delay_alu instid0(VALU_DEP_1) | instskip(SKIP_1) | instid1(VALU_DEP_1)
	v_add_co_ci_u32_e64 v2, s3, 0, v2, s3
	v_add_co_u32 v3, s3, v3, 64
	v_add_co_ci_u32_e64 v4, s3, 0, v4, s3
	s_add_i32 s7, s7, 16
	s_delay_alu instid0(SALU_CYCLE_1) | instskip(SKIP_2) | instid1(VALU_DEP_1)
	s_cmp_ge_i32 s7, s5
	s_waitcnt lgkmcnt(3)
	v_fmac_f32_e32 v10, v21, v13
	v_fmac_f32_e32 v10, v22, v14
	ds_load_2addr_b32 v[21:22], v8 offset0:96 offset1:112
	s_waitcnt lgkmcnt(3)
	v_fmac_f32_e32 v10, v23, v15
	s_delay_alu instid0(VALU_DEP_1) | instskip(SKIP_4) | instid1(VALU_DEP_1)
	v_fmac_f32_e32 v10, v24, v16
	ds_load_2addr_b32 v[23:24], v8 offset0:128 offset1:144
	ds_load_b128 v[13:16], v9 offset:32
	s_waitcnt lgkmcnt(3)
	v_fmac_f32_e32 v10, v25, v17
	v_fmac_f32_e32 v10, v26, v18
	ds_load_2addr_b32 v[25:26], v8 offset0:160 offset1:176
	s_waitcnt lgkmcnt(3)
	v_fmac_f32_e32 v10, v21, v19
	s_delay_alu instid0(VALU_DEP_1) | instskip(SKIP_4) | instid1(VALU_DEP_1)
	v_fmac_f32_e32 v10, v22, v20
	ds_load_b128 v[17:20], v9 offset:48
	ds_load_2addr_b32 v[21:22], v8 offset0:192 offset1:208
	s_waitcnt lgkmcnt(3)
	v_fmac_f32_e32 v10, v23, v13
	v_fmac_f32_e32 v10, v24, v14
	ds_load_2addr_b32 v[13:14], v8 offset0:224 offset1:240
	s_waitcnt lgkmcnt(0)
	s_barrier
	buffer_gl0_inv
	v_fmac_f32_e32 v10, v25, v15
	s_delay_alu instid0(VALU_DEP_1) | instskip(NEXT) | instid1(VALU_DEP_1)
	v_fmac_f32_e32 v10, v26, v16
	v_fmac_f32_e32 v10, v21, v17
	s_delay_alu instid0(VALU_DEP_1) | instskip(NEXT) | instid1(VALU_DEP_1)
	v_fmac_f32_e32 v10, v22, v18
	v_fmac_f32_e32 v10, v13, v19
	s_delay_alu instid0(VALU_DEP_1)
	v_fmac_f32_e32 v10, v14, v20
	s_cbranch_scc1 .LBB60_8
.LBB60_3:                               ; =>This Inner Loop Header: Depth=1
	v_add_nc_u32_e32 v13, s7, v6
	s_delay_alu instid0(VALU_DEP_1) | instskip(SKIP_1) | instid1(VALU_DEP_2)
	v_cmp_gt_i32_e64 s3, s5, v13
	v_mov_b32_e32 v13, 0
	s_and_b32 s8, s2, s3
	s_delay_alu instid0(SALU_CYCLE_1)
	s_and_saveexec_b32 s3, s8
	s_cbranch_execz .LBB60_5
; %bb.4:                                ;   in Loop: Header=BB60_3 Depth=1
	global_load_b32 v13, v[3:4], off
.LBB60_5:                               ;   in Loop: Header=BB60_3 Depth=1
	s_or_b32 exec_lo, exec_lo, s3
	v_add_nc_u32_e32 v14, s7, v7
	s_waitcnt vmcnt(0)
	ds_store_b32 v11, v13
	v_cmp_gt_i32_e64 s3, s5, v14
	v_mov_b32_e32 v14, 0
	s_delay_alu instid0(VALU_DEP_2) | instskip(NEXT) | instid1(SALU_CYCLE_1)
	s_and_b32 s8, vcc_lo, s3
	s_and_saveexec_b32 s3, s8
	s_cbranch_execz .LBB60_2
; %bb.6:                                ;   in Loop: Header=BB60_3 Depth=1
	global_load_b32 v14, v[1:2], off
	s_branch .LBB60_2
.LBB60_7:
	v_mov_b32_e32 v10, 0
.LBB60_8:
	v_cmp_le_i32_e32 vcc_lo, v0, v5
	v_cmp_gt_i32_e64 s2, s4, v5
	s_delay_alu instid0(VALU_DEP_1) | instskip(NEXT) | instid1(SALU_CYCLE_1)
	s_and_b32 s2, vcc_lo, s2
	s_and_saveexec_b32 s3, s2
	s_cbranch_execz .LBB60_10
; %bb.9:
	s_clause 0x2
	s_load_b32 s7, s[0:1], 0x50
	s_load_b64 s[2:3], s[0:1], 0x58
	s_load_b64 s[4:5], s[0:1], 0x48
	v_ashrrev_i32_e32 v1, 31, v0
	s_load_b32 s0, s[0:1], 0x40
	s_delay_alu instid0(VALU_DEP_1)
	v_lshlrev_b64 v[0:1], 2, v[0:1]
	s_waitcnt lgkmcnt(0)
	v_mad_i64_i32 v[2:3], null, s7, v5, 0
	s_mul_i32 s3, s15, s3
	s_mul_hi_u32 s7, s15, s2
	s_mul_i32 s2, s15, s2
	s_add_i32 s3, s7, s3
	s_delay_alu instid0(SALU_CYCLE_1) | instskip(NEXT) | instid1(VALU_DEP_1)
	s_lshl_b64 s[2:3], s[2:3], 2
	v_lshlrev_b64 v[2:3], 2, v[2:3]
	s_add_u32 s2, s4, s2
	s_addc_u32 s3, s5, s3
	s_delay_alu instid0(VALU_DEP_1) | instskip(NEXT) | instid1(VALU_DEP_2)
	v_add_co_u32 v2, vcc_lo, s2, v2
	v_add_co_ci_u32_e32 v3, vcc_lo, s3, v3, vcc_lo
	s_delay_alu instid0(VALU_DEP_2) | instskip(NEXT) | instid1(VALU_DEP_2)
	v_add_co_u32 v0, vcc_lo, v2, v0
	v_add_co_ci_u32_e32 v1, vcc_lo, v3, v1, vcc_lo
	global_load_b32 v2, v[0:1], off
	s_waitcnt vmcnt(0)
	v_mul_f32_e32 v2, s0, v2
	s_delay_alu instid0(VALU_DEP_1)
	v_fmac_f32_e32 v2, s6, v10
	global_store_b32 v[0:1], v2, off
.LBB60_10:
	s_nop 0
	s_sendmsg sendmsg(MSG_DEALLOC_VGPRS)
	s_endpgm
	.section	.rodata,"a",@progbits
	.p2align	6, 0x0
	.amdhsa_kernel _ZL32rocblas_syrkx_herkx_small_kernelIifLi16ELb0ELb0ELc67ELc85EKffEviT_T0_PT6_S1_lS4_S1_lS2_PT7_S1_li
		.amdhsa_group_segment_fixed_size 2048
		.amdhsa_private_segment_fixed_size 0
		.amdhsa_kernarg_size 100
		.amdhsa_user_sgpr_count 13
		.amdhsa_user_sgpr_dispatch_ptr 0
		.amdhsa_user_sgpr_queue_ptr 0
		.amdhsa_user_sgpr_kernarg_segment_ptr 1
		.amdhsa_user_sgpr_dispatch_id 0
		.amdhsa_user_sgpr_private_segment_size 0
		.amdhsa_wavefront_size32 1
		.amdhsa_uses_dynamic_stack 0
		.amdhsa_enable_private_segment 0
		.amdhsa_system_sgpr_workgroup_id_x 1
		.amdhsa_system_sgpr_workgroup_id_y 1
		.amdhsa_system_sgpr_workgroup_id_z 1
		.amdhsa_system_sgpr_workgroup_info 0
		.amdhsa_system_vgpr_workitem_id 1
		.amdhsa_next_free_vgpr 27
		.amdhsa_next_free_sgpr 18
		.amdhsa_reserve_vcc 1
		.amdhsa_float_round_mode_32 0
		.amdhsa_float_round_mode_16_64 0
		.amdhsa_float_denorm_mode_32 3
		.amdhsa_float_denorm_mode_16_64 3
		.amdhsa_dx10_clamp 1
		.amdhsa_ieee_mode 1
		.amdhsa_fp16_overflow 0
		.amdhsa_workgroup_processor_mode 1
		.amdhsa_memory_ordered 1
		.amdhsa_forward_progress 0
		.amdhsa_shared_vgpr_count 0
		.amdhsa_exception_fp_ieee_invalid_op 0
		.amdhsa_exception_fp_denorm_src 0
		.amdhsa_exception_fp_ieee_div_zero 0
		.amdhsa_exception_fp_ieee_overflow 0
		.amdhsa_exception_fp_ieee_underflow 0
		.amdhsa_exception_fp_ieee_inexact 0
		.amdhsa_exception_int_div_zero 0
	.end_amdhsa_kernel
	.section	.text._ZL32rocblas_syrkx_herkx_small_kernelIifLi16ELb0ELb0ELc67ELc85EKffEviT_T0_PT6_S1_lS4_S1_lS2_PT7_S1_li,"axG",@progbits,_ZL32rocblas_syrkx_herkx_small_kernelIifLi16ELb0ELb0ELc67ELc85EKffEviT_T0_PT6_S1_lS4_S1_lS2_PT7_S1_li,comdat
.Lfunc_end60:
	.size	_ZL32rocblas_syrkx_herkx_small_kernelIifLi16ELb0ELb0ELc67ELc85EKffEviT_T0_PT6_S1_lS4_S1_lS2_PT7_S1_li, .Lfunc_end60-_ZL32rocblas_syrkx_herkx_small_kernelIifLi16ELb0ELb0ELc67ELc85EKffEviT_T0_PT6_S1_lS4_S1_lS2_PT7_S1_li
                                        ; -- End function
	.section	.AMDGPU.csdata,"",@progbits
; Kernel info:
; codeLenInByte = 964
; NumSgprs: 20
; NumVgprs: 27
; ScratchSize: 0
; MemoryBound: 0
; FloatMode: 240
; IeeeMode: 1
; LDSByteSize: 2048 bytes/workgroup (compile time only)
; SGPRBlocks: 2
; VGPRBlocks: 3
; NumSGPRsForWavesPerEU: 20
; NumVGPRsForWavesPerEU: 27
; Occupancy: 16
; WaveLimiterHint : 0
; COMPUTE_PGM_RSRC2:SCRATCH_EN: 0
; COMPUTE_PGM_RSRC2:USER_SGPR: 13
; COMPUTE_PGM_RSRC2:TRAP_HANDLER: 0
; COMPUTE_PGM_RSRC2:TGID_X_EN: 1
; COMPUTE_PGM_RSRC2:TGID_Y_EN: 1
; COMPUTE_PGM_RSRC2:TGID_Z_EN: 1
; COMPUTE_PGM_RSRC2:TIDIG_COMP_CNT: 1
	.section	.text._ZL32rocblas_syrkx_herkx_small_kernelIifLi16ELb0ELb0ELc78ELc85EKffEviT_T0_PT6_S1_lS4_S1_lS2_PT7_S1_li,"axG",@progbits,_ZL32rocblas_syrkx_herkx_small_kernelIifLi16ELb0ELb0ELc78ELc85EKffEviT_T0_PT6_S1_lS4_S1_lS2_PT7_S1_li,comdat
	.globl	_ZL32rocblas_syrkx_herkx_small_kernelIifLi16ELb0ELb0ELc78ELc85EKffEviT_T0_PT6_S1_lS4_S1_lS2_PT7_S1_li ; -- Begin function _ZL32rocblas_syrkx_herkx_small_kernelIifLi16ELb0ELb0ELc78ELc85EKffEviT_T0_PT6_S1_lS4_S1_lS2_PT7_S1_li
	.p2align	8
	.type	_ZL32rocblas_syrkx_herkx_small_kernelIifLi16ELb0ELb0ELc78ELc85EKffEviT_T0_PT6_S1_lS4_S1_lS2_PT7_S1_li,@function
_ZL32rocblas_syrkx_herkx_small_kernelIifLi16ELb0ELb0ELc78ELc85EKffEviT_T0_PT6_S1_lS4_S1_lS2_PT7_S1_li: ; @_ZL32rocblas_syrkx_herkx_small_kernelIifLi16ELb0ELb0ELc78ELc85EKffEviT_T0_PT6_S1_lS4_S1_lS2_PT7_S1_li
; %bb.0:
	s_load_b128 s[4:7], s[0:1], 0x0
	v_and_b32_e32 v7, 0x3ff, v0
	v_bfe_u32 v8, v0, 10, 10
	s_waitcnt lgkmcnt(0)
	s_mov_b32 s7, 0
	s_delay_alu instid0(VALU_DEP_2) | instskip(NEXT) | instid1(VALU_DEP_2)
	v_lshl_add_u32 v0, s13, 4, v7
	v_lshl_add_u32 v2, s14, 4, v8
	s_delay_alu instid0(VALU_DEP_2) | instskip(NEXT) | instid1(VALU_DEP_2)
	v_ashrrev_i32_e32 v1, 31, v0
	v_cmp_gt_i32_e32 vcc_lo, s4, v2
	s_cmp_lt_i32 s5, 1
	s_cbranch_scc1 .LBB61_7
; %bb.1:
	s_clause 0x3
	s_load_b32 s12, s[0:1], 0x30
	s_load_b64 s[16:17], s[0:1], 0x38
	s_load_b128 s[8:11], s[0:1], 0x20
	s_load_b32 s18, s[0:1], 0x18
	v_lshlrev_b32_e32 v4, 6, v8
	v_lshlrev_b32_e32 v9, 2, v7
	v_ashrrev_i32_e32 v3, 31, v2
	s_load_b64 s[20:21], s[0:1], 0x10
	v_cmp_gt_i32_e64 s2, s4, v0
	v_add_nc_u32_e32 v10, 0x400, v4
	v_add_nc_u32_e32 v11, v9, v4
	v_lshlrev_b64 v[3:4], 2, v[2:3]
	s_waitcnt lgkmcnt(0)
	v_mad_i64_i32 v[5:6], null, s12, v7, 0
	s_mul_i32 s3, s17, s15
	v_mad_i64_i32 v[14:15], null, s18, v8, 0
	s_mul_hi_u32 s14, s16, s15
	s_mul_i32 s16, s16, s15
	s_add_i32 s17, s14, s3
	s_delay_alu instid0(VALU_DEP_2) | instskip(SKIP_2) | instid1(VALU_DEP_2)
	v_lshlrev_b64 v[5:6], 2, v[5:6]
	s_mul_i32 s9, s9, s15
	s_mul_hi_u32 s19, s8, s15
	v_lshlrev_b64 v[14:15], 2, v[14:15]
	s_lshl_b64 s[16:17], s[16:17], 2
	s_mul_i32 s8, s8, s15
	s_add_i32 s9, s19, s9
	v_add_co_u32 v12, s3, s16, v5
	s_lshl_b64 s[8:9], s[8:9], 2
	v_add_co_ci_u32_e64 v16, s3, s17, v6, s3
	v_add_co_u32 v14, s3, s8, v14
	v_lshlrev_b64 v[5:6], 2, v[0:1]
	v_add_co_ci_u32_e64 v15, s3, s9, v15, s3
	v_add_co_u32 v3, s3, v12, v3
	v_mov_b32_e32 v12, 0
	v_add_co_ci_u32_e64 v4, s3, v16, v4, s3
	v_add_co_u32 v5, s3, v14, v5
	s_delay_alu instid0(VALU_DEP_1) | instskip(SKIP_1) | instid1(VALU_DEP_1)
	v_add_co_ci_u32_e64 v6, s3, v15, v6, s3
	v_add_co_u32 v3, s3, s10, v3
	v_add_co_ci_u32_e64 v4, s3, s11, v4, s3
	s_delay_alu instid0(VALU_DEP_4)
	v_add_co_u32 v5, s3, s20, v5
	v_add_nc_u32_e32 v13, v10, v9
	v_add_co_ci_u32_e64 v6, s3, s21, v6, s3
	s_ashr_i32 s13, s12, 31
	s_ashr_i32 s19, s18, 31
	s_lshl_b64 s[8:9], s[12:13], 6
	s_lshl_b64 s[10:11], s[18:19], 6
	s_branch .LBB61_3
.LBB61_2:                               ;   in Loop: Header=BB61_3 Depth=1
	s_or_b32 exec_lo, exec_lo, s3
	s_waitcnt vmcnt(0)
	ds_store_b32 v13, v15
	s_waitcnt lgkmcnt(0)
	s_barrier
	buffer_gl0_inv
	ds_load_2addr_b32 v[22:23], v9 offset1:16
	ds_load_b128 v[14:17], v10
	ds_load_2addr_b32 v[24:25], v9 offset0:32 offset1:48
	ds_load_b128 v[18:21], v10 offset:16
	ds_load_2addr_b32 v[26:27], v9 offset0:64 offset1:80
	v_add_co_u32 v3, s3, v3, s8
	s_delay_alu instid0(VALU_DEP_1) | instskip(SKIP_1) | instid1(VALU_DEP_1)
	v_add_co_ci_u32_e64 v4, s3, s9, v4, s3
	v_add_co_u32 v5, s3, v5, s10
	v_add_co_ci_u32_e64 v6, s3, s11, v6, s3
	s_add_i32 s7, s7, 16
	s_delay_alu instid0(SALU_CYCLE_1) | instskip(SKIP_2) | instid1(VALU_DEP_1)
	s_cmp_ge_i32 s7, s5
	s_waitcnt lgkmcnt(3)
	v_fmac_f32_e32 v12, v22, v14
	v_fmac_f32_e32 v12, v23, v15
	ds_load_2addr_b32 v[22:23], v9 offset0:96 offset1:112
	s_waitcnt lgkmcnt(3)
	v_fmac_f32_e32 v12, v24, v16
	s_delay_alu instid0(VALU_DEP_1) | instskip(SKIP_4) | instid1(VALU_DEP_1)
	v_fmac_f32_e32 v12, v25, v17
	ds_load_2addr_b32 v[24:25], v9 offset0:128 offset1:144
	ds_load_b128 v[14:17], v10 offset:32
	s_waitcnt lgkmcnt(3)
	v_fmac_f32_e32 v12, v26, v18
	v_fmac_f32_e32 v12, v27, v19
	ds_load_2addr_b32 v[26:27], v9 offset0:160 offset1:176
	s_waitcnt lgkmcnt(3)
	v_fmac_f32_e32 v12, v22, v20
	s_delay_alu instid0(VALU_DEP_1) | instskip(SKIP_4) | instid1(VALU_DEP_1)
	v_fmac_f32_e32 v12, v23, v21
	ds_load_b128 v[18:21], v10 offset:48
	ds_load_2addr_b32 v[22:23], v9 offset0:192 offset1:208
	s_waitcnt lgkmcnt(3)
	v_fmac_f32_e32 v12, v24, v14
	v_fmac_f32_e32 v12, v25, v15
	ds_load_2addr_b32 v[14:15], v9 offset0:224 offset1:240
	s_waitcnt lgkmcnt(0)
	s_barrier
	buffer_gl0_inv
	v_fmac_f32_e32 v12, v26, v16
	s_delay_alu instid0(VALU_DEP_1) | instskip(NEXT) | instid1(VALU_DEP_1)
	v_fmac_f32_e32 v12, v27, v17
	v_fmac_f32_e32 v12, v22, v18
	s_delay_alu instid0(VALU_DEP_1) | instskip(NEXT) | instid1(VALU_DEP_1)
	v_fmac_f32_e32 v12, v23, v19
	v_fmac_f32_e32 v12, v14, v20
	s_delay_alu instid0(VALU_DEP_1)
	v_fmac_f32_e32 v12, v15, v21
	s_cbranch_scc1 .LBB61_8
.LBB61_3:                               ; =>This Inner Loop Header: Depth=1
	v_add_nc_u32_e32 v14, s7, v8
	s_delay_alu instid0(VALU_DEP_1) | instskip(SKIP_1) | instid1(VALU_DEP_2)
	v_cmp_gt_i32_e64 s3, s5, v14
	v_mov_b32_e32 v14, 0
	s_and_b32 s12, s2, s3
	s_delay_alu instid0(SALU_CYCLE_1)
	s_and_saveexec_b32 s3, s12
	s_cbranch_execz .LBB61_5
; %bb.4:                                ;   in Loop: Header=BB61_3 Depth=1
	global_load_b32 v14, v[5:6], off
.LBB61_5:                               ;   in Loop: Header=BB61_3 Depth=1
	s_or_b32 exec_lo, exec_lo, s3
	v_add_nc_u32_e32 v15, s7, v7
	s_waitcnt vmcnt(0)
	ds_store_b32 v11, v14
	v_cmp_gt_i32_e64 s3, s5, v15
	v_mov_b32_e32 v15, 0
	s_delay_alu instid0(VALU_DEP_2) | instskip(NEXT) | instid1(SALU_CYCLE_1)
	s_and_b32 s12, vcc_lo, s3
	s_and_saveexec_b32 s3, s12
	s_cbranch_execz .LBB61_2
; %bb.6:                                ;   in Loop: Header=BB61_3 Depth=1
	global_load_b32 v15, v[3:4], off
	s_branch .LBB61_2
.LBB61_7:
	v_mov_b32_e32 v12, 0
.LBB61_8:
	v_cmp_le_i32_e32 vcc_lo, v0, v2
	v_cmp_gt_i32_e64 s2, s4, v2
	s_delay_alu instid0(VALU_DEP_1) | instskip(NEXT) | instid1(SALU_CYCLE_1)
	s_and_b32 s2, vcc_lo, s2
	s_and_saveexec_b32 s3, s2
	s_cbranch_execz .LBB61_10
; %bb.9:
	s_clause 0x2
	s_load_b32 s7, s[0:1], 0x50
	s_load_b64 s[2:3], s[0:1], 0x58
	s_load_b64 s[4:5], s[0:1], 0x48
	v_lshlrev_b64 v[0:1], 2, v[0:1]
	s_load_b32 s0, s[0:1], 0x40
	s_waitcnt lgkmcnt(0)
	v_mad_i64_i32 v[3:4], null, s7, v2, 0
	s_mul_i32 s3, s15, s3
	s_mul_hi_u32 s7, s15, s2
	s_mul_i32 s2, s15, s2
	s_add_i32 s3, s7, s3
	s_delay_alu instid0(SALU_CYCLE_1) | instskip(NEXT) | instid1(VALU_DEP_1)
	s_lshl_b64 s[2:3], s[2:3], 2
	v_lshlrev_b64 v[2:3], 2, v[3:4]
	s_add_u32 s2, s4, s2
	s_addc_u32 s3, s5, s3
	s_delay_alu instid0(VALU_DEP_1) | instskip(NEXT) | instid1(VALU_DEP_2)
	v_add_co_u32 v2, vcc_lo, s2, v2
	v_add_co_ci_u32_e32 v3, vcc_lo, s3, v3, vcc_lo
	s_delay_alu instid0(VALU_DEP_2) | instskip(NEXT) | instid1(VALU_DEP_2)
	v_add_co_u32 v0, vcc_lo, v2, v0
	v_add_co_ci_u32_e32 v1, vcc_lo, v3, v1, vcc_lo
	global_load_b32 v2, v[0:1], off
	s_waitcnt vmcnt(0)
	v_mul_f32_e32 v2, s0, v2
	s_delay_alu instid0(VALU_DEP_1)
	v_fmac_f32_e32 v2, s6, v12
	global_store_b32 v[0:1], v2, off
.LBB61_10:
	s_nop 0
	s_sendmsg sendmsg(MSG_DEALLOC_VGPRS)
	s_endpgm
	.section	.rodata,"a",@progbits
	.p2align	6, 0x0
	.amdhsa_kernel _ZL32rocblas_syrkx_herkx_small_kernelIifLi16ELb0ELb0ELc78ELc85EKffEviT_T0_PT6_S1_lS4_S1_lS2_PT7_S1_li
		.amdhsa_group_segment_fixed_size 2048
		.amdhsa_private_segment_fixed_size 0
		.amdhsa_kernarg_size 100
		.amdhsa_user_sgpr_count 13
		.amdhsa_user_sgpr_dispatch_ptr 0
		.amdhsa_user_sgpr_queue_ptr 0
		.amdhsa_user_sgpr_kernarg_segment_ptr 1
		.amdhsa_user_sgpr_dispatch_id 0
		.amdhsa_user_sgpr_private_segment_size 0
		.amdhsa_wavefront_size32 1
		.amdhsa_uses_dynamic_stack 0
		.amdhsa_enable_private_segment 0
		.amdhsa_system_sgpr_workgroup_id_x 1
		.amdhsa_system_sgpr_workgroup_id_y 1
		.amdhsa_system_sgpr_workgroup_id_z 1
		.amdhsa_system_sgpr_workgroup_info 0
		.amdhsa_system_vgpr_workitem_id 1
		.amdhsa_next_free_vgpr 28
		.amdhsa_next_free_sgpr 22
		.amdhsa_reserve_vcc 1
		.amdhsa_float_round_mode_32 0
		.amdhsa_float_round_mode_16_64 0
		.amdhsa_float_denorm_mode_32 3
		.amdhsa_float_denorm_mode_16_64 3
		.amdhsa_dx10_clamp 1
		.amdhsa_ieee_mode 1
		.amdhsa_fp16_overflow 0
		.amdhsa_workgroup_processor_mode 1
		.amdhsa_memory_ordered 1
		.amdhsa_forward_progress 0
		.amdhsa_shared_vgpr_count 0
		.amdhsa_exception_fp_ieee_invalid_op 0
		.amdhsa_exception_fp_denorm_src 0
		.amdhsa_exception_fp_ieee_div_zero 0
		.amdhsa_exception_fp_ieee_overflow 0
		.amdhsa_exception_fp_ieee_underflow 0
		.amdhsa_exception_fp_ieee_inexact 0
		.amdhsa_exception_int_div_zero 0
	.end_amdhsa_kernel
	.section	.text._ZL32rocblas_syrkx_herkx_small_kernelIifLi16ELb0ELb0ELc78ELc85EKffEviT_T0_PT6_S1_lS4_S1_lS2_PT7_S1_li,"axG",@progbits,_ZL32rocblas_syrkx_herkx_small_kernelIifLi16ELb0ELb0ELc78ELc85EKffEviT_T0_PT6_S1_lS4_S1_lS2_PT7_S1_li,comdat
.Lfunc_end61:
	.size	_ZL32rocblas_syrkx_herkx_small_kernelIifLi16ELb0ELb0ELc78ELc85EKffEviT_T0_PT6_S1_lS4_S1_lS2_PT7_S1_li, .Lfunc_end61-_ZL32rocblas_syrkx_herkx_small_kernelIifLi16ELb0ELb0ELc78ELc85EKffEviT_T0_PT6_S1_lS4_S1_lS2_PT7_S1_li
                                        ; -- End function
	.section	.AMDGPU.csdata,"",@progbits
; Kernel info:
; codeLenInByte = 984
; NumSgprs: 24
; NumVgprs: 28
; ScratchSize: 0
; MemoryBound: 0
; FloatMode: 240
; IeeeMode: 1
; LDSByteSize: 2048 bytes/workgroup (compile time only)
; SGPRBlocks: 2
; VGPRBlocks: 3
; NumSGPRsForWavesPerEU: 24
; NumVGPRsForWavesPerEU: 28
; Occupancy: 16
; WaveLimiterHint : 0
; COMPUTE_PGM_RSRC2:SCRATCH_EN: 0
; COMPUTE_PGM_RSRC2:USER_SGPR: 13
; COMPUTE_PGM_RSRC2:TRAP_HANDLER: 0
; COMPUTE_PGM_RSRC2:TGID_X_EN: 1
; COMPUTE_PGM_RSRC2:TGID_Y_EN: 1
; COMPUTE_PGM_RSRC2:TGID_Z_EN: 1
; COMPUTE_PGM_RSRC2:TIDIG_COMP_CNT: 1
	.section	.text._ZL34rocblas_syrkx_herkx_general_kernelIifLi16ELi32ELi8ELb1ELb0ELc84ELc76EKffEviT_T0_PT8_S1_lS4_S1_lS2_PT9_S1_li,"axG",@progbits,_ZL34rocblas_syrkx_herkx_general_kernelIifLi16ELi32ELi8ELb1ELb0ELc84ELc76EKffEviT_T0_PT8_S1_lS4_S1_lS2_PT9_S1_li,comdat
	.globl	_ZL34rocblas_syrkx_herkx_general_kernelIifLi16ELi32ELi8ELb1ELb0ELc84ELc76EKffEviT_T0_PT8_S1_lS4_S1_lS2_PT9_S1_li ; -- Begin function _ZL34rocblas_syrkx_herkx_general_kernelIifLi16ELi32ELi8ELb1ELb0ELc84ELc76EKffEviT_T0_PT8_S1_lS4_S1_lS2_PT9_S1_li
	.p2align	8
	.type	_ZL34rocblas_syrkx_herkx_general_kernelIifLi16ELi32ELi8ELb1ELb0ELc84ELc76EKffEviT_T0_PT8_S1_lS4_S1_lS2_PT9_S1_li,@function
_ZL34rocblas_syrkx_herkx_general_kernelIifLi16ELi32ELi8ELb1ELb0ELc84ELc76EKffEviT_T0_PT8_S1_lS4_S1_lS2_PT9_S1_li: ; @_ZL34rocblas_syrkx_herkx_general_kernelIifLi16ELi32ELi8ELb1ELb0ELc84ELc76EKffEviT_T0_PT8_S1_lS4_S1_lS2_PT9_S1_li
; %bb.0:
	s_load_b128 s[4:7], s[0:1], 0x0
	v_dual_mov_b32 v8, 0 :: v_dual_and_b32 v5, 0x3ff, v0
	v_bfe_u32 v6, v0, 10, 10
	v_dual_mov_b32 v11, 0 :: v_dual_mov_b32 v4, 0
	v_mov_b32_e32 v7, 0
	s_waitcnt lgkmcnt(0)
	s_lshl_b32 s7, s13, 5
	s_lshl_b32 s12, s14, 5
	s_mov_b32 s13, 0
	s_cmp_lt_i32 s5, 1
	s_cbranch_scc1 .LBB62_7
; %bb.1:
	v_lshl_add_u32 v0, v6, 4, v5
	v_and_b32_e32 v9, 7, v5
	s_clause 0x4
	s_load_b32 s2, s[0:1], 0x18
	s_load_b64 s[16:17], s[0:1], 0x10
	s_load_b128 s[8:11], s[0:1], 0x20
	s_load_b32 s3, s[0:1], 0x30
	s_load_b64 s[18:19], s[0:1], 0x38
	v_lshlrev_b32_e32 v10, 2, v5
	v_lshrrev_b32_e32 v1, 3, v0
	v_lshlrev_b32_e32 v4, 2, v9
	v_and_b32_e32 v2, 31, v0
	v_lshrrev_b32_e32 v13, 5, v0
	v_lshl_add_u32 v12, v6, 5, 0x400
	v_add_nc_u32_e32 v7, s12, v1
	v_lshl_or_b32 v11, v1, 5, v4
	s_delay_alu instid0(VALU_DEP_1)
	v_add_nc_u32_e32 v15, 0x400, v11
	v_mov_b32_e32 v11, 0
	v_add_nc_u32_e32 v3, s7, v2
	v_or_b32_e32 v8, s7, v2
	v_lshlrev_b32_e32 v2, 2, v2
	s_waitcnt lgkmcnt(0)
	s_mul_i32 s9, s9, s15
	s_mul_hi_u32 s14, s8, s15
	v_mad_i64_i32 v[0:1], null, s2, v3, 0
	v_lshl_or_b32 v14, v13, 7, v2
	v_mad_i64_i32 v[2:3], null, s3, v7, 0
	s_mul_i32 s8, s8, s15
	s_add_i32 s9, s14, s9
	v_cmp_gt_i32_e64 s2, s4, v7
	s_delay_alu instid0(VALU_DEP_4) | instskip(SKIP_2) | instid1(VALU_DEP_2)
	v_lshlrev_b64 v[0:1], 2, v[0:1]
	s_lshl_b64 s[8:9], s[8:9], 2
	v_cmp_gt_i32_e32 vcc_lo, s4, v8
	v_add_co_u32 v7, s3, v0, s8
	s_delay_alu instid0(VALU_DEP_1)
	v_add_co_ci_u32_e64 v8, s3, s9, v1, s3
	s_mul_i32 s3, s19, s15
	s_mul_hi_u32 s8, s18, s15
	v_lshlrev_b64 v[0:1], 2, v[2:3]
	s_add_i32 s9, s8, s3
	s_mul_i32 s8, s18, s15
	v_lshlrev_b32_e32 v2, 2, v13
	s_lshl_b64 s[8:9], s[8:9], 2
	s_delay_alu instid0(VALU_DEP_2) | instid1(SALU_CYCLE_1)
	v_add_co_u32 v0, s3, v0, s8
	s_delay_alu instid0(VALU_DEP_1) | instskip(NEXT) | instid1(VALU_DEP_3)
	v_add_co_ci_u32_e64 v1, s3, s9, v1, s3
	v_add_co_u32 v2, s3, v7, v2
	s_delay_alu instid0(VALU_DEP_1) | instskip(SKIP_2) | instid1(VALU_DEP_1)
	v_add_co_ci_u32_e64 v3, s3, 0, v8, s3
	v_mov_b32_e32 v8, 0
	v_add_co_u32 v4, s3, v0, v4
	v_add_co_ci_u32_e64 v7, s3, 0, v1, s3
	v_add_co_u32 v0, s3, s16, v2
	s_delay_alu instid0(VALU_DEP_1) | instskip(NEXT) | instid1(VALU_DEP_4)
	v_add_co_ci_u32_e64 v1, s3, s17, v3, s3
	v_add_co_u32 v2, s3, s10, v4
	s_delay_alu instid0(VALU_DEP_1)
	v_add_co_ci_u32_e64 v3, s3, s11, v7, s3
	v_dual_mov_b32 v4, 0 :: v_dual_mov_b32 v7, 0
	s_branch .LBB62_3
.LBB62_2:                               ;   in Loop: Header=BB62_3 Depth=1
	s_or_b32 exec_lo, exec_lo, s3
	s_waitcnt vmcnt(0)
	ds_store_b32 v15, v17
	s_waitcnt lgkmcnt(0)
	s_barrier
	buffer_gl0_inv
	ds_load_2addr_b32 v[32:33], v10 offset1:16
	ds_load_b128 v[16:19], v12
	ds_load_b128 v[20:23], v12 offset:512
	ds_load_2addr_b32 v[34:35], v10 offset0:32 offset1:48
	ds_load_2addr_b32 v[36:37], v10 offset0:64 offset1:80
	;; [unrolled: 1-line block ×3, first 2 shown]
	ds_load_b128 v[24:27], v12 offset:16
	ds_load_2addr_b32 v[40:41], v10 offset0:128 offset1:144
	ds_load_b128 v[28:31], v12 offset:528
	v_add_co_u32 v0, s3, v0, 32
	s_delay_alu instid0(VALU_DEP_1) | instskip(SKIP_1) | instid1(VALU_DEP_1)
	v_add_co_ci_u32_e64 v1, s3, 0, v1, s3
	v_add_co_u32 v2, s3, v2, 32
	v_add_co_ci_u32_e64 v3, s3, 0, v3, s3
	s_add_i32 s13, s13, 8
	s_delay_alu instid0(SALU_CYCLE_1)
	s_cmp_ge_i32 s13, s5
	s_waitcnt lgkmcnt(7)
	v_fmac_f32_e32 v8, v33, v16
	v_fmac_f32_e32 v11, v32, v16
	s_waitcnt lgkmcnt(6)
	v_fmac_f32_e32 v4, v33, v20
	v_fmac_f32_e32 v7, v32, v20
	ds_load_2addr_b32 v[32:33], v10 offset0:160 offset1:176
	s_waitcnt lgkmcnt(6)
	v_fmac_f32_e32 v8, v35, v17
	v_fmac_f32_e32 v11, v34, v17
	v_fmac_f32_e32 v4, v35, v21
	v_fmac_f32_e32 v7, v34, v21
	ds_load_2addr_b32 v[16:17], v10 offset0:192 offset1:208
	s_waitcnt lgkmcnt(6)
	v_fmac_f32_e32 v8, v37, v18
	v_fmac_f32_e32 v11, v36, v18
	;; [unrolled: 6-line block ×3, first 2 shown]
	v_fmac_f32_e32 v4, v39, v23
	v_fmac_f32_e32 v7, v38, v23
	s_waitcnt lgkmcnt(0)
	v_fmac_f32_e32 v8, v41, v24
	v_fmac_f32_e32 v11, v40, v24
	;; [unrolled: 1-line block ×4, first 2 shown]
	s_barrier
	v_fmac_f32_e32 v8, v33, v25
	v_fmac_f32_e32 v11, v32, v25
	;; [unrolled: 1-line block ×4, first 2 shown]
	buffer_gl0_inv
	v_fmac_f32_e32 v8, v17, v26
	v_fmac_f32_e32 v11, v16, v26
	;; [unrolled: 1-line block ×3, first 2 shown]
	s_delay_alu instid0(VALU_DEP_3) | instskip(NEXT) | instid1(VALU_DEP_3)
	v_dual_fmac_f32 v7, v16, v30 :: v_dual_fmac_f32 v8, v21, v27
	v_fmac_f32_e32 v11, v20, v27
	s_delay_alu instid0(VALU_DEP_3) | instskip(NEXT) | instid1(VALU_DEP_3)
	v_fmac_f32_e32 v4, v21, v31
	v_fmac_f32_e32 v7, v20, v31
	s_cbranch_scc1 .LBB62_7
.LBB62_3:                               ; =>This Inner Loop Header: Depth=1
	v_add_nc_u32_e32 v16, s13, v13
	s_delay_alu instid0(VALU_DEP_1) | instskip(SKIP_1) | instid1(VALU_DEP_2)
	v_cmp_gt_i32_e64 s3, s5, v16
	v_mov_b32_e32 v16, 0
	s_and_b32 s8, vcc_lo, s3
	s_delay_alu instid0(SALU_CYCLE_1)
	s_and_saveexec_b32 s3, s8
	s_cbranch_execz .LBB62_5
; %bb.4:                                ;   in Loop: Header=BB62_3 Depth=1
	global_load_b32 v16, v[0:1], off
.LBB62_5:                               ;   in Loop: Header=BB62_3 Depth=1
	s_or_b32 exec_lo, exec_lo, s3
	v_add_nc_u32_e32 v17, s13, v9
	s_waitcnt vmcnt(0)
	ds_store_b32 v14, v16
	v_cmp_gt_i32_e64 s3, s5, v17
	v_mov_b32_e32 v17, 0
	s_delay_alu instid0(VALU_DEP_2) | instskip(NEXT) | instid1(SALU_CYCLE_1)
	s_and_b32 s8, s3, s2
	s_and_saveexec_b32 s3, s8
	s_cbranch_execz .LBB62_2
; %bb.6:                                ;   in Loop: Header=BB62_3 Depth=1
	global_load_b32 v17, v[2:3], off
	s_branch .LBB62_2
.LBB62_7:
	s_clause 0x2
	s_load_b32 s2, s[0:1], 0x50
	s_load_b64 s[8:9], s[0:1], 0x58
	s_load_b64 s[10:11], s[0:1], 0x48
	v_add_nc_u32_e32 v6, s12, v6
	v_add_nc_u32_e32 v0, s7, v5
	s_delay_alu instid0(VALU_DEP_1)
	v_cmp_le_i32_e64 s0, v6, v0
	v_cmp_gt_i32_e32 vcc_lo, s4, v0
	s_waitcnt lgkmcnt(0)
	v_mad_i64_i32 v[1:2], null, v6, s2, 0
	s_mul_i32 s1, s15, s9
	s_mul_hi_u32 s3, s15, s8
	s_mul_i32 s8, s15, s8
	s_add_i32 s9, s3, s1
	s_delay_alu instid0(SALU_CYCLE_1) | instskip(NEXT) | instid1(VALU_DEP_1)
	s_lshl_b64 s[8:9], s[8:9], 2
	v_lshlrev_b64 v[1:2], 2, v[1:2]
	s_add_u32 s3, s10, s8
	s_addc_u32 s5, s11, s9
	s_and_b32 s0, s0, vcc_lo
	s_delay_alu instid0(VALU_DEP_1) | instskip(NEXT) | instid1(VALU_DEP_1)
	v_add_co_u32 v5, s1, s3, v1
	v_add_co_ci_u32_e64 v9, s1, s5, v2, s1
	s_and_saveexec_b32 s1, s0
	s_cbranch_execz .LBB62_9
; %bb.8:
	v_ashrrev_i32_e32 v1, 31, v0
	v_mul_f32_e32 v3, s6, v11
	s_delay_alu instid0(VALU_DEP_2) | instskip(NEXT) | instid1(VALU_DEP_1)
	v_lshlrev_b64 v[1:2], 2, v[0:1]
	v_add_co_u32 v1, s0, v5, v1
	s_delay_alu instid0(VALU_DEP_1)
	v_add_co_ci_u32_e64 v2, s0, v9, v2, s0
	global_store_b32 v[1:2], v3, off
.LBB62_9:
	s_or_b32 exec_lo, exec_lo, s1
	v_add_nc_u32_e32 v2, 16, v0
	s_delay_alu instid0(VALU_DEP_1) | instskip(SKIP_1) | instid1(VALU_DEP_1)
	v_cmp_le_i32_e64 s1, v6, v2
	v_cmp_gt_i32_e64 s0, s4, v2
	s_and_b32 s1, s1, s0
	s_delay_alu instid0(SALU_CYCLE_1)
	s_and_saveexec_b32 s4, s1
	s_cbranch_execz .LBB62_11
; %bb.10:
	v_ashrrev_i32_e32 v3, 31, v2
	v_mul_f32_e32 v1, s6, v8
	s_delay_alu instid0(VALU_DEP_2) | instskip(NEXT) | instid1(VALU_DEP_1)
	v_lshlrev_b64 v[10:11], 2, v[2:3]
	v_add_co_u32 v8, s1, v5, v10
	s_delay_alu instid0(VALU_DEP_1)
	v_add_co_ci_u32_e64 v9, s1, v9, v11, s1
	global_store_b32 v[8:9], v1, off
.LBB62_11:
	s_or_b32 exec_lo, exec_lo, s4
	v_add_nc_u32_e32 v3, 16, v6
	s_delay_alu instid0(VALU_DEP_1) | instskip(SKIP_1) | instid1(VALU_DEP_2)
	v_mad_i64_i32 v[5:6], null, v3, s2, 0
	v_cmp_le_i32_e64 s1, v3, v0
	v_lshlrev_b64 v[5:6], 2, v[5:6]
	s_delay_alu instid0(VALU_DEP_1) | instskip(NEXT) | instid1(VALU_DEP_1)
	v_add_co_u32 v5, s2, s3, v5
	v_add_co_ci_u32_e64 v6, s2, s5, v6, s2
	s_delay_alu instid0(VALU_DEP_4) | instskip(NEXT) | instid1(SALU_CYCLE_1)
	s_and_b32 s2, s1, vcc_lo
	s_and_saveexec_b32 s1, s2
	s_cbranch_execz .LBB62_13
; %bb.12:
	v_ashrrev_i32_e32 v1, 31, v0
	v_mul_f32_e32 v7, s6, v7
	s_delay_alu instid0(VALU_DEP_2) | instskip(NEXT) | instid1(VALU_DEP_1)
	v_lshlrev_b64 v[0:1], 2, v[0:1]
	v_add_co_u32 v0, vcc_lo, v5, v0
	s_delay_alu instid0(VALU_DEP_2)
	v_add_co_ci_u32_e32 v1, vcc_lo, v6, v1, vcc_lo
	global_store_b32 v[0:1], v7, off
.LBB62_13:
	s_or_b32 exec_lo, exec_lo, s1
	v_cmp_le_i32_e32 vcc_lo, v3, v2
	s_and_b32 s0, vcc_lo, s0
	s_delay_alu instid0(SALU_CYCLE_1)
	s_and_saveexec_b32 s1, s0
	s_cbranch_execz .LBB62_15
; %bb.14:
	v_ashrrev_i32_e32 v3, 31, v2
	s_delay_alu instid0(VALU_DEP_1) | instskip(SKIP_1) | instid1(VALU_DEP_2)
	v_lshlrev_b64 v[0:1], 2, v[2:3]
	v_mul_f32_e32 v2, s6, v4
	v_add_co_u32 v0, vcc_lo, v5, v0
	s_delay_alu instid0(VALU_DEP_3)
	v_add_co_ci_u32_e32 v1, vcc_lo, v6, v1, vcc_lo
	global_store_b32 v[0:1], v2, off
.LBB62_15:
	s_nop 0
	s_sendmsg sendmsg(MSG_DEALLOC_VGPRS)
	s_endpgm
	.section	.rodata,"a",@progbits
	.p2align	6, 0x0
	.amdhsa_kernel _ZL34rocblas_syrkx_herkx_general_kernelIifLi16ELi32ELi8ELb1ELb0ELc84ELc76EKffEviT_T0_PT8_S1_lS4_S1_lS2_PT9_S1_li
		.amdhsa_group_segment_fixed_size 2048
		.amdhsa_private_segment_fixed_size 0
		.amdhsa_kernarg_size 100
		.amdhsa_user_sgpr_count 13
		.amdhsa_user_sgpr_dispatch_ptr 0
		.amdhsa_user_sgpr_queue_ptr 0
		.amdhsa_user_sgpr_kernarg_segment_ptr 1
		.amdhsa_user_sgpr_dispatch_id 0
		.amdhsa_user_sgpr_private_segment_size 0
		.amdhsa_wavefront_size32 1
		.amdhsa_uses_dynamic_stack 0
		.amdhsa_enable_private_segment 0
		.amdhsa_system_sgpr_workgroup_id_x 1
		.amdhsa_system_sgpr_workgroup_id_y 1
		.amdhsa_system_sgpr_workgroup_id_z 1
		.amdhsa_system_sgpr_workgroup_info 0
		.amdhsa_system_vgpr_workitem_id 1
		.amdhsa_next_free_vgpr 42
		.amdhsa_next_free_sgpr 20
		.amdhsa_reserve_vcc 1
		.amdhsa_float_round_mode_32 0
		.amdhsa_float_round_mode_16_64 0
		.amdhsa_float_denorm_mode_32 3
		.amdhsa_float_denorm_mode_16_64 3
		.amdhsa_dx10_clamp 1
		.amdhsa_ieee_mode 1
		.amdhsa_fp16_overflow 0
		.amdhsa_workgroup_processor_mode 1
		.amdhsa_memory_ordered 1
		.amdhsa_forward_progress 0
		.amdhsa_shared_vgpr_count 0
		.amdhsa_exception_fp_ieee_invalid_op 0
		.amdhsa_exception_fp_denorm_src 0
		.amdhsa_exception_fp_ieee_div_zero 0
		.amdhsa_exception_fp_ieee_overflow 0
		.amdhsa_exception_fp_ieee_underflow 0
		.amdhsa_exception_fp_ieee_inexact 0
		.amdhsa_exception_int_div_zero 0
	.end_amdhsa_kernel
	.section	.text._ZL34rocblas_syrkx_herkx_general_kernelIifLi16ELi32ELi8ELb1ELb0ELc84ELc76EKffEviT_T0_PT8_S1_lS4_S1_lS2_PT9_S1_li,"axG",@progbits,_ZL34rocblas_syrkx_herkx_general_kernelIifLi16ELi32ELi8ELb1ELb0ELc84ELc76EKffEviT_T0_PT8_S1_lS4_S1_lS2_PT9_S1_li,comdat
.Lfunc_end62:
	.size	_ZL34rocblas_syrkx_herkx_general_kernelIifLi16ELi32ELi8ELb1ELb0ELc84ELc76EKffEviT_T0_PT8_S1_lS4_S1_lS2_PT9_S1_li, .Lfunc_end62-_ZL34rocblas_syrkx_herkx_general_kernelIifLi16ELi32ELi8ELb1ELb0ELc84ELc76EKffEviT_T0_PT8_S1_lS4_S1_lS2_PT9_S1_li
                                        ; -- End function
	.section	.AMDGPU.csdata,"",@progbits
; Kernel info:
; codeLenInByte = 1360
; NumSgprs: 22
; NumVgprs: 42
; ScratchSize: 0
; MemoryBound: 0
; FloatMode: 240
; IeeeMode: 1
; LDSByteSize: 2048 bytes/workgroup (compile time only)
; SGPRBlocks: 2
; VGPRBlocks: 5
; NumSGPRsForWavesPerEU: 22
; NumVGPRsForWavesPerEU: 42
; Occupancy: 16
; WaveLimiterHint : 0
; COMPUTE_PGM_RSRC2:SCRATCH_EN: 0
; COMPUTE_PGM_RSRC2:USER_SGPR: 13
; COMPUTE_PGM_RSRC2:TRAP_HANDLER: 0
; COMPUTE_PGM_RSRC2:TGID_X_EN: 1
; COMPUTE_PGM_RSRC2:TGID_Y_EN: 1
; COMPUTE_PGM_RSRC2:TGID_Z_EN: 1
; COMPUTE_PGM_RSRC2:TIDIG_COMP_CNT: 1
	.section	.text._ZL34rocblas_syrkx_herkx_general_kernelIifLi16ELi32ELi8ELb1ELb0ELc67ELc76EKffEviT_T0_PT8_S1_lS4_S1_lS2_PT9_S1_li,"axG",@progbits,_ZL34rocblas_syrkx_herkx_general_kernelIifLi16ELi32ELi8ELb1ELb0ELc67ELc76EKffEviT_T0_PT8_S1_lS4_S1_lS2_PT9_S1_li,comdat
	.globl	_ZL34rocblas_syrkx_herkx_general_kernelIifLi16ELi32ELi8ELb1ELb0ELc67ELc76EKffEviT_T0_PT8_S1_lS4_S1_lS2_PT9_S1_li ; -- Begin function _ZL34rocblas_syrkx_herkx_general_kernelIifLi16ELi32ELi8ELb1ELb0ELc67ELc76EKffEviT_T0_PT8_S1_lS4_S1_lS2_PT9_S1_li
	.p2align	8
	.type	_ZL34rocblas_syrkx_herkx_general_kernelIifLi16ELi32ELi8ELb1ELb0ELc67ELc76EKffEviT_T0_PT8_S1_lS4_S1_lS2_PT9_S1_li,@function
_ZL34rocblas_syrkx_herkx_general_kernelIifLi16ELi32ELi8ELb1ELb0ELc67ELc76EKffEviT_T0_PT8_S1_lS4_S1_lS2_PT9_S1_li: ; @_ZL34rocblas_syrkx_herkx_general_kernelIifLi16ELi32ELi8ELb1ELb0ELc67ELc76EKffEviT_T0_PT8_S1_lS4_S1_lS2_PT9_S1_li
; %bb.0:
	s_load_b128 s[4:7], s[0:1], 0x0
	v_dual_mov_b32 v8, 0 :: v_dual_and_b32 v5, 0x3ff, v0
	v_bfe_u32 v6, v0, 10, 10
	v_dual_mov_b32 v11, 0 :: v_dual_mov_b32 v4, 0
	v_mov_b32_e32 v7, 0
	s_waitcnt lgkmcnt(0)
	s_lshl_b32 s7, s13, 5
	s_lshl_b32 s12, s14, 5
	s_mov_b32 s13, 0
	s_cmp_lt_i32 s5, 1
	s_cbranch_scc1 .LBB63_7
; %bb.1:
	v_lshl_add_u32 v0, v6, 4, v5
	v_and_b32_e32 v9, 7, v5
	s_clause 0x4
	s_load_b32 s2, s[0:1], 0x18
	s_load_b64 s[16:17], s[0:1], 0x10
	s_load_b128 s[8:11], s[0:1], 0x20
	s_load_b32 s3, s[0:1], 0x30
	s_load_b64 s[18:19], s[0:1], 0x38
	v_lshlrev_b32_e32 v10, 2, v5
	v_lshrrev_b32_e32 v1, 3, v0
	v_lshlrev_b32_e32 v4, 2, v9
	v_and_b32_e32 v2, 31, v0
	v_lshrrev_b32_e32 v13, 5, v0
	v_lshl_add_u32 v12, v6, 5, 0x400
	v_add_nc_u32_e32 v7, s12, v1
	v_lshl_or_b32 v11, v1, 5, v4
	s_delay_alu instid0(VALU_DEP_1)
	v_add_nc_u32_e32 v15, 0x400, v11
	v_mov_b32_e32 v11, 0
	v_add_nc_u32_e32 v3, s7, v2
	v_or_b32_e32 v8, s7, v2
	v_lshlrev_b32_e32 v2, 2, v2
	s_waitcnt lgkmcnt(0)
	s_mul_i32 s9, s9, s15
	s_mul_hi_u32 s14, s8, s15
	v_mad_i64_i32 v[0:1], null, s2, v3, 0
	v_lshl_or_b32 v14, v13, 7, v2
	v_mad_i64_i32 v[2:3], null, s3, v7, 0
	s_mul_i32 s8, s8, s15
	s_add_i32 s9, s14, s9
	v_cmp_gt_i32_e64 s2, s4, v7
	s_delay_alu instid0(VALU_DEP_4) | instskip(SKIP_2) | instid1(VALU_DEP_2)
	v_lshlrev_b64 v[0:1], 2, v[0:1]
	s_lshl_b64 s[8:9], s[8:9], 2
	v_cmp_gt_i32_e32 vcc_lo, s4, v8
	v_add_co_u32 v7, s3, v0, s8
	s_delay_alu instid0(VALU_DEP_1)
	v_add_co_ci_u32_e64 v8, s3, s9, v1, s3
	s_mul_i32 s3, s19, s15
	s_mul_hi_u32 s8, s18, s15
	v_lshlrev_b64 v[0:1], 2, v[2:3]
	s_add_i32 s9, s8, s3
	s_mul_i32 s8, s18, s15
	v_lshlrev_b32_e32 v2, 2, v13
	s_lshl_b64 s[8:9], s[8:9], 2
	s_delay_alu instid0(VALU_DEP_2) | instid1(SALU_CYCLE_1)
	v_add_co_u32 v0, s3, v0, s8
	s_delay_alu instid0(VALU_DEP_1) | instskip(NEXT) | instid1(VALU_DEP_3)
	v_add_co_ci_u32_e64 v1, s3, s9, v1, s3
	v_add_co_u32 v2, s3, v7, v2
	s_delay_alu instid0(VALU_DEP_1) | instskip(SKIP_2) | instid1(VALU_DEP_1)
	v_add_co_ci_u32_e64 v3, s3, 0, v8, s3
	v_mov_b32_e32 v8, 0
	v_add_co_u32 v4, s3, v0, v4
	v_add_co_ci_u32_e64 v7, s3, 0, v1, s3
	v_add_co_u32 v0, s3, s16, v2
	s_delay_alu instid0(VALU_DEP_1) | instskip(NEXT) | instid1(VALU_DEP_4)
	v_add_co_ci_u32_e64 v1, s3, s17, v3, s3
	v_add_co_u32 v2, s3, s10, v4
	s_delay_alu instid0(VALU_DEP_1)
	v_add_co_ci_u32_e64 v3, s3, s11, v7, s3
	v_dual_mov_b32 v4, 0 :: v_dual_mov_b32 v7, 0
	s_branch .LBB63_3
.LBB63_2:                               ;   in Loop: Header=BB63_3 Depth=1
	s_or_b32 exec_lo, exec_lo, s3
	s_waitcnt vmcnt(0)
	ds_store_b32 v15, v17
	s_waitcnt lgkmcnt(0)
	s_barrier
	buffer_gl0_inv
	ds_load_2addr_b32 v[32:33], v10 offset1:16
	ds_load_b128 v[16:19], v12
	ds_load_b128 v[20:23], v12 offset:512
	ds_load_2addr_b32 v[34:35], v10 offset0:32 offset1:48
	ds_load_2addr_b32 v[36:37], v10 offset0:64 offset1:80
	;; [unrolled: 1-line block ×3, first 2 shown]
	ds_load_b128 v[24:27], v12 offset:16
	ds_load_2addr_b32 v[40:41], v10 offset0:128 offset1:144
	ds_load_b128 v[28:31], v12 offset:528
	v_add_co_u32 v0, s3, v0, 32
	s_delay_alu instid0(VALU_DEP_1) | instskip(SKIP_1) | instid1(VALU_DEP_1)
	v_add_co_ci_u32_e64 v1, s3, 0, v1, s3
	v_add_co_u32 v2, s3, v2, 32
	v_add_co_ci_u32_e64 v3, s3, 0, v3, s3
	s_add_i32 s13, s13, 8
	s_delay_alu instid0(SALU_CYCLE_1)
	s_cmp_ge_i32 s13, s5
	s_waitcnt lgkmcnt(7)
	v_fmac_f32_e32 v8, v33, v16
	v_fmac_f32_e32 v11, v32, v16
	s_waitcnt lgkmcnt(6)
	v_fmac_f32_e32 v4, v33, v20
	v_fmac_f32_e32 v7, v32, v20
	ds_load_2addr_b32 v[32:33], v10 offset0:160 offset1:176
	s_waitcnt lgkmcnt(6)
	v_fmac_f32_e32 v8, v35, v17
	v_fmac_f32_e32 v11, v34, v17
	v_fmac_f32_e32 v4, v35, v21
	v_fmac_f32_e32 v7, v34, v21
	ds_load_2addr_b32 v[16:17], v10 offset0:192 offset1:208
	s_waitcnt lgkmcnt(6)
	v_fmac_f32_e32 v8, v37, v18
	v_fmac_f32_e32 v11, v36, v18
	;; [unrolled: 6-line block ×3, first 2 shown]
	v_fmac_f32_e32 v4, v39, v23
	v_fmac_f32_e32 v7, v38, v23
	s_waitcnt lgkmcnt(0)
	v_fmac_f32_e32 v8, v41, v24
	v_fmac_f32_e32 v11, v40, v24
	;; [unrolled: 1-line block ×4, first 2 shown]
	s_barrier
	v_fmac_f32_e32 v8, v33, v25
	v_fmac_f32_e32 v11, v32, v25
	;; [unrolled: 1-line block ×4, first 2 shown]
	buffer_gl0_inv
	v_fmac_f32_e32 v8, v17, v26
	v_fmac_f32_e32 v11, v16, v26
	;; [unrolled: 1-line block ×3, first 2 shown]
	s_delay_alu instid0(VALU_DEP_3) | instskip(NEXT) | instid1(VALU_DEP_3)
	v_dual_fmac_f32 v7, v16, v30 :: v_dual_fmac_f32 v8, v21, v27
	v_fmac_f32_e32 v11, v20, v27
	s_delay_alu instid0(VALU_DEP_3) | instskip(NEXT) | instid1(VALU_DEP_3)
	v_fmac_f32_e32 v4, v21, v31
	v_fmac_f32_e32 v7, v20, v31
	s_cbranch_scc1 .LBB63_7
.LBB63_3:                               ; =>This Inner Loop Header: Depth=1
	v_add_nc_u32_e32 v16, s13, v13
	s_delay_alu instid0(VALU_DEP_1) | instskip(SKIP_1) | instid1(VALU_DEP_2)
	v_cmp_gt_i32_e64 s3, s5, v16
	v_mov_b32_e32 v16, 0
	s_and_b32 s8, vcc_lo, s3
	s_delay_alu instid0(SALU_CYCLE_1)
	s_and_saveexec_b32 s3, s8
	s_cbranch_execz .LBB63_5
; %bb.4:                                ;   in Loop: Header=BB63_3 Depth=1
	global_load_b32 v16, v[0:1], off
.LBB63_5:                               ;   in Loop: Header=BB63_3 Depth=1
	s_or_b32 exec_lo, exec_lo, s3
	v_add_nc_u32_e32 v17, s13, v9
	s_waitcnt vmcnt(0)
	ds_store_b32 v14, v16
	v_cmp_gt_i32_e64 s3, s5, v17
	v_mov_b32_e32 v17, 0
	s_delay_alu instid0(VALU_DEP_2) | instskip(NEXT) | instid1(SALU_CYCLE_1)
	s_and_b32 s8, s3, s2
	s_and_saveexec_b32 s3, s8
	s_cbranch_execz .LBB63_2
; %bb.6:                                ;   in Loop: Header=BB63_3 Depth=1
	global_load_b32 v17, v[2:3], off
	s_branch .LBB63_2
.LBB63_7:
	s_clause 0x2
	s_load_b32 s2, s[0:1], 0x50
	s_load_b64 s[8:9], s[0:1], 0x58
	s_load_b64 s[10:11], s[0:1], 0x48
	v_add_nc_u32_e32 v6, s12, v6
	v_add_nc_u32_e32 v0, s7, v5
	s_delay_alu instid0(VALU_DEP_1)
	v_cmp_le_i32_e64 s0, v6, v0
	v_cmp_gt_i32_e32 vcc_lo, s4, v0
	s_waitcnt lgkmcnt(0)
	v_mad_i64_i32 v[1:2], null, v6, s2, 0
	s_mul_i32 s1, s15, s9
	s_mul_hi_u32 s3, s15, s8
	s_mul_i32 s8, s15, s8
	s_add_i32 s9, s3, s1
	s_delay_alu instid0(SALU_CYCLE_1) | instskip(NEXT) | instid1(VALU_DEP_1)
	s_lshl_b64 s[8:9], s[8:9], 2
	v_lshlrev_b64 v[1:2], 2, v[1:2]
	s_add_u32 s3, s10, s8
	s_addc_u32 s5, s11, s9
	s_and_b32 s0, s0, vcc_lo
	s_delay_alu instid0(VALU_DEP_1) | instskip(NEXT) | instid1(VALU_DEP_1)
	v_add_co_u32 v5, s1, s3, v1
	v_add_co_ci_u32_e64 v9, s1, s5, v2, s1
	s_and_saveexec_b32 s1, s0
	s_cbranch_execz .LBB63_9
; %bb.8:
	v_ashrrev_i32_e32 v1, 31, v0
	v_mul_f32_e32 v3, s6, v11
	s_delay_alu instid0(VALU_DEP_2) | instskip(NEXT) | instid1(VALU_DEP_1)
	v_lshlrev_b64 v[1:2], 2, v[0:1]
	v_add_co_u32 v1, s0, v5, v1
	s_delay_alu instid0(VALU_DEP_1)
	v_add_co_ci_u32_e64 v2, s0, v9, v2, s0
	global_store_b32 v[1:2], v3, off
.LBB63_9:
	s_or_b32 exec_lo, exec_lo, s1
	v_add_nc_u32_e32 v2, 16, v0
	s_delay_alu instid0(VALU_DEP_1) | instskip(SKIP_1) | instid1(VALU_DEP_1)
	v_cmp_le_i32_e64 s1, v6, v2
	v_cmp_gt_i32_e64 s0, s4, v2
	s_and_b32 s1, s1, s0
	s_delay_alu instid0(SALU_CYCLE_1)
	s_and_saveexec_b32 s4, s1
	s_cbranch_execz .LBB63_11
; %bb.10:
	v_ashrrev_i32_e32 v3, 31, v2
	v_mul_f32_e32 v1, s6, v8
	s_delay_alu instid0(VALU_DEP_2) | instskip(NEXT) | instid1(VALU_DEP_1)
	v_lshlrev_b64 v[10:11], 2, v[2:3]
	v_add_co_u32 v8, s1, v5, v10
	s_delay_alu instid0(VALU_DEP_1)
	v_add_co_ci_u32_e64 v9, s1, v9, v11, s1
	global_store_b32 v[8:9], v1, off
.LBB63_11:
	s_or_b32 exec_lo, exec_lo, s4
	v_add_nc_u32_e32 v3, 16, v6
	s_delay_alu instid0(VALU_DEP_1) | instskip(SKIP_1) | instid1(VALU_DEP_2)
	v_mad_i64_i32 v[5:6], null, v3, s2, 0
	v_cmp_le_i32_e64 s1, v3, v0
	v_lshlrev_b64 v[5:6], 2, v[5:6]
	s_delay_alu instid0(VALU_DEP_1) | instskip(NEXT) | instid1(VALU_DEP_1)
	v_add_co_u32 v5, s2, s3, v5
	v_add_co_ci_u32_e64 v6, s2, s5, v6, s2
	s_delay_alu instid0(VALU_DEP_4) | instskip(NEXT) | instid1(SALU_CYCLE_1)
	s_and_b32 s2, s1, vcc_lo
	s_and_saveexec_b32 s1, s2
	s_cbranch_execz .LBB63_13
; %bb.12:
	v_ashrrev_i32_e32 v1, 31, v0
	v_mul_f32_e32 v7, s6, v7
	s_delay_alu instid0(VALU_DEP_2) | instskip(NEXT) | instid1(VALU_DEP_1)
	v_lshlrev_b64 v[0:1], 2, v[0:1]
	v_add_co_u32 v0, vcc_lo, v5, v0
	s_delay_alu instid0(VALU_DEP_2)
	v_add_co_ci_u32_e32 v1, vcc_lo, v6, v1, vcc_lo
	global_store_b32 v[0:1], v7, off
.LBB63_13:
	s_or_b32 exec_lo, exec_lo, s1
	v_cmp_le_i32_e32 vcc_lo, v3, v2
	s_and_b32 s0, vcc_lo, s0
	s_delay_alu instid0(SALU_CYCLE_1)
	s_and_saveexec_b32 s1, s0
	s_cbranch_execz .LBB63_15
; %bb.14:
	v_ashrrev_i32_e32 v3, 31, v2
	s_delay_alu instid0(VALU_DEP_1) | instskip(SKIP_1) | instid1(VALU_DEP_2)
	v_lshlrev_b64 v[0:1], 2, v[2:3]
	v_mul_f32_e32 v2, s6, v4
	v_add_co_u32 v0, vcc_lo, v5, v0
	s_delay_alu instid0(VALU_DEP_3)
	v_add_co_ci_u32_e32 v1, vcc_lo, v6, v1, vcc_lo
	global_store_b32 v[0:1], v2, off
.LBB63_15:
	s_nop 0
	s_sendmsg sendmsg(MSG_DEALLOC_VGPRS)
	s_endpgm
	.section	.rodata,"a",@progbits
	.p2align	6, 0x0
	.amdhsa_kernel _ZL34rocblas_syrkx_herkx_general_kernelIifLi16ELi32ELi8ELb1ELb0ELc67ELc76EKffEviT_T0_PT8_S1_lS4_S1_lS2_PT9_S1_li
		.amdhsa_group_segment_fixed_size 2048
		.amdhsa_private_segment_fixed_size 0
		.amdhsa_kernarg_size 100
		.amdhsa_user_sgpr_count 13
		.amdhsa_user_sgpr_dispatch_ptr 0
		.amdhsa_user_sgpr_queue_ptr 0
		.amdhsa_user_sgpr_kernarg_segment_ptr 1
		.amdhsa_user_sgpr_dispatch_id 0
		.amdhsa_user_sgpr_private_segment_size 0
		.amdhsa_wavefront_size32 1
		.amdhsa_uses_dynamic_stack 0
		.amdhsa_enable_private_segment 0
		.amdhsa_system_sgpr_workgroup_id_x 1
		.amdhsa_system_sgpr_workgroup_id_y 1
		.amdhsa_system_sgpr_workgroup_id_z 1
		.amdhsa_system_sgpr_workgroup_info 0
		.amdhsa_system_vgpr_workitem_id 1
		.amdhsa_next_free_vgpr 42
		.amdhsa_next_free_sgpr 20
		.amdhsa_reserve_vcc 1
		.amdhsa_float_round_mode_32 0
		.amdhsa_float_round_mode_16_64 0
		.amdhsa_float_denorm_mode_32 3
		.amdhsa_float_denorm_mode_16_64 3
		.amdhsa_dx10_clamp 1
		.amdhsa_ieee_mode 1
		.amdhsa_fp16_overflow 0
		.amdhsa_workgroup_processor_mode 1
		.amdhsa_memory_ordered 1
		.amdhsa_forward_progress 0
		.amdhsa_shared_vgpr_count 0
		.amdhsa_exception_fp_ieee_invalid_op 0
		.amdhsa_exception_fp_denorm_src 0
		.amdhsa_exception_fp_ieee_div_zero 0
		.amdhsa_exception_fp_ieee_overflow 0
		.amdhsa_exception_fp_ieee_underflow 0
		.amdhsa_exception_fp_ieee_inexact 0
		.amdhsa_exception_int_div_zero 0
	.end_amdhsa_kernel
	.section	.text._ZL34rocblas_syrkx_herkx_general_kernelIifLi16ELi32ELi8ELb1ELb0ELc67ELc76EKffEviT_T0_PT8_S1_lS4_S1_lS2_PT9_S1_li,"axG",@progbits,_ZL34rocblas_syrkx_herkx_general_kernelIifLi16ELi32ELi8ELb1ELb0ELc67ELc76EKffEviT_T0_PT8_S1_lS4_S1_lS2_PT9_S1_li,comdat
.Lfunc_end63:
	.size	_ZL34rocblas_syrkx_herkx_general_kernelIifLi16ELi32ELi8ELb1ELb0ELc67ELc76EKffEviT_T0_PT8_S1_lS4_S1_lS2_PT9_S1_li, .Lfunc_end63-_ZL34rocblas_syrkx_herkx_general_kernelIifLi16ELi32ELi8ELb1ELb0ELc67ELc76EKffEviT_T0_PT8_S1_lS4_S1_lS2_PT9_S1_li
                                        ; -- End function
	.section	.AMDGPU.csdata,"",@progbits
; Kernel info:
; codeLenInByte = 1360
; NumSgprs: 22
; NumVgprs: 42
; ScratchSize: 0
; MemoryBound: 0
; FloatMode: 240
; IeeeMode: 1
; LDSByteSize: 2048 bytes/workgroup (compile time only)
; SGPRBlocks: 2
; VGPRBlocks: 5
; NumSGPRsForWavesPerEU: 22
; NumVGPRsForWavesPerEU: 42
; Occupancy: 16
; WaveLimiterHint : 0
; COMPUTE_PGM_RSRC2:SCRATCH_EN: 0
; COMPUTE_PGM_RSRC2:USER_SGPR: 13
; COMPUTE_PGM_RSRC2:TRAP_HANDLER: 0
; COMPUTE_PGM_RSRC2:TGID_X_EN: 1
; COMPUTE_PGM_RSRC2:TGID_Y_EN: 1
; COMPUTE_PGM_RSRC2:TGID_Z_EN: 1
; COMPUTE_PGM_RSRC2:TIDIG_COMP_CNT: 1
	.section	.text._ZL34rocblas_syrkx_herkx_general_kernelIifLi16ELi32ELi8ELb1ELb0ELc78ELc76EKffEviT_T0_PT8_S1_lS4_S1_lS2_PT9_S1_li,"axG",@progbits,_ZL34rocblas_syrkx_herkx_general_kernelIifLi16ELi32ELi8ELb1ELb0ELc78ELc76EKffEviT_T0_PT8_S1_lS4_S1_lS2_PT9_S1_li,comdat
	.globl	_ZL34rocblas_syrkx_herkx_general_kernelIifLi16ELi32ELi8ELb1ELb0ELc78ELc76EKffEviT_T0_PT8_S1_lS4_S1_lS2_PT9_S1_li ; -- Begin function _ZL34rocblas_syrkx_herkx_general_kernelIifLi16ELi32ELi8ELb1ELb0ELc78ELc76EKffEviT_T0_PT8_S1_lS4_S1_lS2_PT9_S1_li
	.p2align	8
	.type	_ZL34rocblas_syrkx_herkx_general_kernelIifLi16ELi32ELi8ELb1ELb0ELc78ELc76EKffEviT_T0_PT8_S1_lS4_S1_lS2_PT9_S1_li,@function
_ZL34rocblas_syrkx_herkx_general_kernelIifLi16ELi32ELi8ELb1ELb0ELc78ELc76EKffEviT_T0_PT8_S1_lS4_S1_lS2_PT9_S1_li: ; @_ZL34rocblas_syrkx_herkx_general_kernelIifLi16ELi32ELi8ELb1ELb0ELc78ELc76EKffEviT_T0_PT8_S1_lS4_S1_lS2_PT9_S1_li
; %bb.0:
	s_load_b128 s[4:7], s[0:1], 0x0
	v_dual_mov_b32 v13, 0 :: v_dual_and_b32 v4, 0x3ff, v0
	v_bfe_u32 v5, v0, 10, 10
	v_dual_mov_b32 v9, 0 :: v_dual_mov_b32 v6, 0
	v_mov_b32_e32 v7, 0
	s_waitcnt lgkmcnt(0)
	s_lshl_b32 s7, s13, 5
	s_lshl_b32 s14, s14, 5
	s_mov_b32 s16, 0
	s_cmp_lt_i32 s5, 1
	s_cbranch_scc1 .LBB64_7
; %bb.1:
	s_clause 0x1
	s_load_b32 s12, s[0:1], 0x18
	s_load_b64 s[18:19], s[0:1], 0x10
	v_lshl_add_u32 v0, v5, 4, v4
	s_clause 0x1
	s_load_b128 s[8:11], s[0:1], 0x20
	s_load_b32 s20, s[0:1], 0x30
	v_and_b32_e32 v8, 7, v4
	s_load_b64 s[22:23], s[0:1], 0x38
	v_and_b32_e32 v6, 31, v0
	v_lshrrev_b32_e32 v1, 3, v0
	v_lshrrev_b32_e32 v10, 5, v0
	v_lshlrev_b32_e32 v2, 2, v8
	v_lshlrev_b32_e32 v14, 2, v4
	v_or_b32_e32 v3, s7, v6
	v_add_nc_u32_e32 v0, s14, v1
	v_lshlrev_b32_e32 v7, 2, v6
	v_lshl_or_b32 v1, v1, 5, v2
	v_add_nc_u32_e32 v6, s7, v6
	v_cmp_gt_i32_e32 vcc_lo, s4, v3
	v_cmp_gt_i32_e64 s2, s4, v0
	v_lshl_or_b32 v11, v10, 7, v7
	s_waitcnt lgkmcnt(0)
	v_mad_i64_i32 v[2:3], null, v10, s12, 0
	v_ashrrev_i32_e32 v7, 31, v6
	s_mul_i32 s3, s9, s15
	s_mul_hi_u32 s9, s8, s15
	v_mad_i64_i32 v[16:17], null, s20, v8, 0
	s_add_i32 s9, s9, s3
	s_delay_alu instid0(VALU_DEP_3)
	v_lshlrev_b64 v[2:3], 2, v[2:3]
	s_mul_i32 s8, s8, s15
	v_add_nc_u32_e32 v12, 0x400, v1
	s_lshl_b64 s[8:9], s[8:9], 2
	v_ashrrev_i32_e32 v1, 31, v0
	v_lshlrev_b64 v[6:7], 2, v[6:7]
	v_add_co_u32 v9, s3, v2, s8
	s_delay_alu instid0(VALU_DEP_1)
	v_add_co_ci_u32_e64 v13, s3, s9, v3, s3
	s_mul_i32 s3, s23, s15
	s_mul_hi_u32 s8, s22, s15
	v_lshlrev_b64 v[2:3], 2, v[16:17]
	s_add_i32 s9, s8, s3
	s_mul_i32 s8, s22, s15
	v_lshlrev_b64 v[0:1], 2, v[0:1]
	s_lshl_b64 s[8:9], s[8:9], 2
	v_lshl_add_u32 v15, v5, 5, 0x400
	v_add_co_u32 v2, s3, s8, v2
	s_delay_alu instid0(VALU_DEP_1) | instskip(SKIP_1) | instid1(VALU_DEP_1)
	v_add_co_ci_u32_e64 v3, s3, s9, v3, s3
	v_add_co_u32 v6, s3, v9, v6
	v_add_co_ci_u32_e64 v7, s3, v13, v7, s3
	s_delay_alu instid0(VALU_DEP_4) | instskip(NEXT) | instid1(VALU_DEP_1)
	v_add_co_u32 v2, s3, v2, v0
	v_add_co_ci_u32_e64 v3, s3, v3, v1, s3
	s_delay_alu instid0(VALU_DEP_4) | instskip(SKIP_3) | instid1(VALU_DEP_1)
	v_add_co_u32 v0, s3, s18, v6
	v_mov_b32_e32 v6, 0
	v_add_co_ci_u32_e64 v1, s3, s19, v7, s3
	v_add_co_u32 v2, s3, s10, v2
	v_add_co_ci_u32_e64 v3, s3, s11, v3, s3
	v_mov_b32_e32 v7, 0
	v_mov_b32_e32 v9, 0
	;; [unrolled: 1-line block ×3, first 2 shown]
	s_ashr_i32 s13, s12, 31
	s_ashr_i32 s21, s20, 31
	s_lshl_b64 s[8:9], s[12:13], 5
	s_lshl_b64 s[10:11], s[20:21], 5
	s_branch .LBB64_3
.LBB64_2:                               ;   in Loop: Header=BB64_3 Depth=1
	s_or_b32 exec_lo, exec_lo, s3
	s_waitcnt vmcnt(0)
	ds_store_b32 v12, v17
	s_waitcnt lgkmcnt(0)
	s_barrier
	buffer_gl0_inv
	ds_load_2addr_b32 v[32:33], v14 offset1:16
	ds_load_b128 v[16:19], v15
	ds_load_b128 v[20:23], v15 offset:512
	ds_load_2addr_b32 v[34:35], v14 offset0:32 offset1:48
	ds_load_2addr_b32 v[36:37], v14 offset0:64 offset1:80
	;; [unrolled: 1-line block ×3, first 2 shown]
	ds_load_b128 v[24:27], v15 offset:16
	ds_load_2addr_b32 v[40:41], v14 offset0:128 offset1:144
	ds_load_b128 v[28:31], v15 offset:528
	v_add_co_u32 v0, s3, v0, s8
	s_delay_alu instid0(VALU_DEP_1) | instskip(SKIP_1) | instid1(VALU_DEP_1)
	v_add_co_ci_u32_e64 v1, s3, s9, v1, s3
	v_add_co_u32 v2, s3, v2, s10
	v_add_co_ci_u32_e64 v3, s3, s11, v3, s3
	s_add_i32 s16, s16, 8
	s_delay_alu instid0(SALU_CYCLE_1) | instskip(SKIP_3) | instid1(VALU_DEP_1)
	s_cmp_ge_i32 s16, s5
	s_waitcnt lgkmcnt(6)
	v_fmac_f32_e32 v6, v33, v20
	s_waitcnt lgkmcnt(5)
	v_dual_fmac_f32 v13, v32, v16 :: v_dual_fmac_f32 v6, v35, v21
	v_fmac_f32_e32 v7, v32, v20
	s_waitcnt lgkmcnt(4)
	s_delay_alu instid0(VALU_DEP_2)
	v_dual_fmac_f32 v13, v34, v17 :: v_dual_fmac_f32 v6, v37, v22
	v_fmac_f32_e32 v9, v33, v16
	ds_load_2addr_b32 v[32:33], v14 offset0:160 offset1:176
	s_waitcnt lgkmcnt(4)
	v_fmac_f32_e32 v6, v39, v23
	v_fmac_f32_e32 v9, v35, v17
	ds_load_2addr_b32 v[16:17], v14 offset0:192 offset1:208
	s_waitcnt lgkmcnt(2)
	v_dual_fmac_f32 v6, v41, v28 :: v_dual_fmac_f32 v13, v36, v18
	v_fmac_f32_e32 v9, v37, v18
	s_waitcnt lgkmcnt(1)
	s_delay_alu instid0(VALU_DEP_1)
	v_dual_fmac_f32 v9, v39, v19 :: v_dual_fmac_f32 v6, v33, v29
	v_fmac_f32_e32 v7, v34, v21
	ds_load_2addr_b32 v[20:21], v14 offset0:224 offset1:240
	v_fmac_f32_e32 v13, v38, v19
	v_fmac_f32_e32 v9, v41, v24
	s_waitcnt lgkmcnt(1)
	v_fmac_f32_e32 v6, v17, v30
	v_fmac_f32_e32 v7, v36, v22
	s_waitcnt lgkmcnt(0)
	v_fmac_f32_e32 v13, v40, v24
	v_fmac_f32_e32 v9, v33, v25
	s_barrier
	buffer_gl0_inv
	v_fmac_f32_e32 v13, v32, v25
	v_fmac_f32_e32 v9, v17, v26
	s_delay_alu instid0(VALU_DEP_2) | instskip(SKIP_1) | instid1(VALU_DEP_2)
	v_dual_fmac_f32 v13, v16, v26 :: v_dual_fmac_f32 v6, v21, v31
	v_fmac_f32_e32 v7, v38, v23
	v_fmac_f32_e32 v13, v20, v27
	s_delay_alu instid0(VALU_DEP_4) | instskip(NEXT) | instid1(VALU_DEP_3)
	v_fmac_f32_e32 v9, v21, v27
	v_fmac_f32_e32 v7, v40, v28
	s_delay_alu instid0(VALU_DEP_1) | instskip(NEXT) | instid1(VALU_DEP_1)
	v_fmac_f32_e32 v7, v32, v29
	v_fmac_f32_e32 v7, v16, v30
	s_delay_alu instid0(VALU_DEP_1)
	v_fmac_f32_e32 v7, v20, v31
	s_cbranch_scc1 .LBB64_7
.LBB64_3:                               ; =>This Inner Loop Header: Depth=1
	v_add_nc_u32_e32 v16, s16, v10
	s_delay_alu instid0(VALU_DEP_1) | instskip(SKIP_1) | instid1(VALU_DEP_2)
	v_cmp_gt_i32_e64 s3, s5, v16
	v_mov_b32_e32 v16, 0
	s_and_b32 s12, vcc_lo, s3
	s_delay_alu instid0(SALU_CYCLE_1)
	s_and_saveexec_b32 s3, s12
	s_cbranch_execz .LBB64_5
; %bb.4:                                ;   in Loop: Header=BB64_3 Depth=1
	global_load_b32 v16, v[0:1], off
.LBB64_5:                               ;   in Loop: Header=BB64_3 Depth=1
	s_or_b32 exec_lo, exec_lo, s3
	v_add_nc_u32_e32 v17, s16, v8
	s_waitcnt vmcnt(0)
	ds_store_b32 v11, v16
	v_cmp_gt_i32_e64 s3, s5, v17
	v_mov_b32_e32 v17, 0
	s_delay_alu instid0(VALU_DEP_2) | instskip(NEXT) | instid1(SALU_CYCLE_1)
	s_and_b32 s12, s3, s2
	s_and_saveexec_b32 s3, s12
	s_cbranch_execz .LBB64_2
; %bb.6:                                ;   in Loop: Header=BB64_3 Depth=1
	global_load_b32 v17, v[2:3], off
	s_branch .LBB64_2
.LBB64_7:
	s_clause 0x2
	s_load_b32 s2, s[0:1], 0x50
	s_load_b64 s[8:9], s[0:1], 0x58
	s_load_b64 s[10:11], s[0:1], 0x48
	v_add_nc_u32_e32 v5, s14, v5
	v_add_nc_u32_e32 v0, s7, v4
	s_delay_alu instid0(VALU_DEP_1)
	v_cmp_le_i32_e64 s0, v5, v0
	v_cmp_gt_i32_e32 vcc_lo, s4, v0
	s_waitcnt lgkmcnt(0)
	v_mad_i64_i32 v[1:2], null, v5, s2, 0
	s_mul_i32 s1, s15, s9
	s_mul_hi_u32 s3, s15, s8
	s_mul_i32 s8, s15, s8
	s_add_i32 s9, s3, s1
	s_delay_alu instid0(SALU_CYCLE_1) | instskip(NEXT) | instid1(VALU_DEP_1)
	s_lshl_b64 s[8:9], s[8:9], 2
	v_lshlrev_b64 v[1:2], 2, v[1:2]
	s_add_u32 s3, s10, s8
	s_addc_u32 s5, s11, s9
	s_and_b32 s0, s0, vcc_lo
	s_delay_alu instid0(VALU_DEP_1) | instskip(NEXT) | instid1(VALU_DEP_1)
	v_add_co_u32 v4, s1, s3, v1
	v_add_co_ci_u32_e64 v8, s1, s5, v2, s1
	s_and_saveexec_b32 s1, s0
	s_cbranch_execz .LBB64_9
; %bb.8:
	v_ashrrev_i32_e32 v1, 31, v0
	v_mul_f32_e32 v3, s6, v13
	s_delay_alu instid0(VALU_DEP_2) | instskip(NEXT) | instid1(VALU_DEP_1)
	v_lshlrev_b64 v[1:2], 2, v[0:1]
	v_add_co_u32 v1, s0, v4, v1
	s_delay_alu instid0(VALU_DEP_1)
	v_add_co_ci_u32_e64 v2, s0, v8, v2, s0
	global_store_b32 v[1:2], v3, off
.LBB64_9:
	s_or_b32 exec_lo, exec_lo, s1
	v_add_nc_u32_e32 v2, 16, v0
	s_delay_alu instid0(VALU_DEP_1) | instskip(SKIP_1) | instid1(VALU_DEP_1)
	v_cmp_le_i32_e64 s1, v5, v2
	v_cmp_gt_i32_e64 s0, s4, v2
	s_and_b32 s1, s1, s0
	s_delay_alu instid0(SALU_CYCLE_1)
	s_and_saveexec_b32 s4, s1
	s_cbranch_execz .LBB64_11
; %bb.10:
	v_ashrrev_i32_e32 v3, 31, v2
	v_mul_f32_e32 v1, s6, v9
	s_delay_alu instid0(VALU_DEP_2) | instskip(NEXT) | instid1(VALU_DEP_1)
	v_lshlrev_b64 v[10:11], 2, v[2:3]
	v_add_co_u32 v3, s1, v4, v10
	s_delay_alu instid0(VALU_DEP_1)
	v_add_co_ci_u32_e64 v4, s1, v8, v11, s1
	global_store_b32 v[3:4], v1, off
.LBB64_11:
	s_or_b32 exec_lo, exec_lo, s4
	v_add_nc_u32_e32 v3, 16, v5
	s_delay_alu instid0(VALU_DEP_1) | instskip(SKIP_1) | instid1(VALU_DEP_2)
	v_mad_i64_i32 v[4:5], null, v3, s2, 0
	v_cmp_le_i32_e64 s1, v3, v0
	v_lshlrev_b64 v[4:5], 2, v[4:5]
	s_delay_alu instid0(VALU_DEP_1) | instskip(NEXT) | instid1(VALU_DEP_1)
	v_add_co_u32 v4, s2, s3, v4
	v_add_co_ci_u32_e64 v5, s2, s5, v5, s2
	s_delay_alu instid0(VALU_DEP_4) | instskip(NEXT) | instid1(SALU_CYCLE_1)
	s_and_b32 s2, s1, vcc_lo
	s_and_saveexec_b32 s1, s2
	s_cbranch_execz .LBB64_13
; %bb.12:
	v_ashrrev_i32_e32 v1, 31, v0
	v_mul_f32_e32 v7, s6, v7
	s_delay_alu instid0(VALU_DEP_2) | instskip(NEXT) | instid1(VALU_DEP_1)
	v_lshlrev_b64 v[0:1], 2, v[0:1]
	v_add_co_u32 v0, vcc_lo, v4, v0
	s_delay_alu instid0(VALU_DEP_2)
	v_add_co_ci_u32_e32 v1, vcc_lo, v5, v1, vcc_lo
	global_store_b32 v[0:1], v7, off
.LBB64_13:
	s_or_b32 exec_lo, exec_lo, s1
	v_cmp_le_i32_e32 vcc_lo, v3, v2
	s_and_b32 s0, vcc_lo, s0
	s_delay_alu instid0(SALU_CYCLE_1)
	s_and_saveexec_b32 s1, s0
	s_cbranch_execz .LBB64_15
; %bb.14:
	v_ashrrev_i32_e32 v3, 31, v2
	s_delay_alu instid0(VALU_DEP_1) | instskip(SKIP_1) | instid1(VALU_DEP_2)
	v_lshlrev_b64 v[0:1], 2, v[2:3]
	v_mul_f32_e32 v2, s6, v6
	v_add_co_u32 v0, vcc_lo, v4, v0
	s_delay_alu instid0(VALU_DEP_3)
	v_add_co_ci_u32_e32 v1, vcc_lo, v5, v1, vcc_lo
	global_store_b32 v[0:1], v2, off
.LBB64_15:
	s_nop 0
	s_sendmsg sendmsg(MSG_DEALLOC_VGPRS)
	s_endpgm
	.section	.rodata,"a",@progbits
	.p2align	6, 0x0
	.amdhsa_kernel _ZL34rocblas_syrkx_herkx_general_kernelIifLi16ELi32ELi8ELb1ELb0ELc78ELc76EKffEviT_T0_PT8_S1_lS4_S1_lS2_PT9_S1_li
		.amdhsa_group_segment_fixed_size 2048
		.amdhsa_private_segment_fixed_size 0
		.amdhsa_kernarg_size 100
		.amdhsa_user_sgpr_count 13
		.amdhsa_user_sgpr_dispatch_ptr 0
		.amdhsa_user_sgpr_queue_ptr 0
		.amdhsa_user_sgpr_kernarg_segment_ptr 1
		.amdhsa_user_sgpr_dispatch_id 0
		.amdhsa_user_sgpr_private_segment_size 0
		.amdhsa_wavefront_size32 1
		.amdhsa_uses_dynamic_stack 0
		.amdhsa_enable_private_segment 0
		.amdhsa_system_sgpr_workgroup_id_x 1
		.amdhsa_system_sgpr_workgroup_id_y 1
		.amdhsa_system_sgpr_workgroup_id_z 1
		.amdhsa_system_sgpr_workgroup_info 0
		.amdhsa_system_vgpr_workitem_id 1
		.amdhsa_next_free_vgpr 42
		.amdhsa_next_free_sgpr 24
		.amdhsa_reserve_vcc 1
		.amdhsa_float_round_mode_32 0
		.amdhsa_float_round_mode_16_64 0
		.amdhsa_float_denorm_mode_32 3
		.amdhsa_float_denorm_mode_16_64 3
		.amdhsa_dx10_clamp 1
		.amdhsa_ieee_mode 1
		.amdhsa_fp16_overflow 0
		.amdhsa_workgroup_processor_mode 1
		.amdhsa_memory_ordered 1
		.amdhsa_forward_progress 0
		.amdhsa_shared_vgpr_count 0
		.amdhsa_exception_fp_ieee_invalid_op 0
		.amdhsa_exception_fp_denorm_src 0
		.amdhsa_exception_fp_ieee_div_zero 0
		.amdhsa_exception_fp_ieee_overflow 0
		.amdhsa_exception_fp_ieee_underflow 0
		.amdhsa_exception_fp_ieee_inexact 0
		.amdhsa_exception_int_div_zero 0
	.end_amdhsa_kernel
	.section	.text._ZL34rocblas_syrkx_herkx_general_kernelIifLi16ELi32ELi8ELb1ELb0ELc78ELc76EKffEviT_T0_PT8_S1_lS4_S1_lS2_PT9_S1_li,"axG",@progbits,_ZL34rocblas_syrkx_herkx_general_kernelIifLi16ELi32ELi8ELb1ELb0ELc78ELc76EKffEviT_T0_PT8_S1_lS4_S1_lS2_PT9_S1_li,comdat
.Lfunc_end64:
	.size	_ZL34rocblas_syrkx_herkx_general_kernelIifLi16ELi32ELi8ELb1ELb0ELc78ELc76EKffEviT_T0_PT8_S1_lS4_S1_lS2_PT9_S1_li, .Lfunc_end64-_ZL34rocblas_syrkx_herkx_general_kernelIifLi16ELi32ELi8ELb1ELb0ELc78ELc76EKffEviT_T0_PT8_S1_lS4_S1_lS2_PT9_S1_li
                                        ; -- End function
	.section	.AMDGPU.csdata,"",@progbits
; Kernel info:
; codeLenInByte = 1412
; NumSgprs: 26
; NumVgprs: 42
; ScratchSize: 0
; MemoryBound: 0
; FloatMode: 240
; IeeeMode: 1
; LDSByteSize: 2048 bytes/workgroup (compile time only)
; SGPRBlocks: 3
; VGPRBlocks: 5
; NumSGPRsForWavesPerEU: 26
; NumVGPRsForWavesPerEU: 42
; Occupancy: 16
; WaveLimiterHint : 0
; COMPUTE_PGM_RSRC2:SCRATCH_EN: 0
; COMPUTE_PGM_RSRC2:USER_SGPR: 13
; COMPUTE_PGM_RSRC2:TRAP_HANDLER: 0
; COMPUTE_PGM_RSRC2:TGID_X_EN: 1
; COMPUTE_PGM_RSRC2:TGID_Y_EN: 1
; COMPUTE_PGM_RSRC2:TGID_Z_EN: 1
; COMPUTE_PGM_RSRC2:TIDIG_COMP_CNT: 1
	.section	.text._ZL34rocblas_syrkx_herkx_general_kernelIifLi16ELi32ELi8ELb1ELb0ELc84ELc85EKffEviT_T0_PT8_S1_lS4_S1_lS2_PT9_S1_li,"axG",@progbits,_ZL34rocblas_syrkx_herkx_general_kernelIifLi16ELi32ELi8ELb1ELb0ELc84ELc85EKffEviT_T0_PT8_S1_lS4_S1_lS2_PT9_S1_li,comdat
	.globl	_ZL34rocblas_syrkx_herkx_general_kernelIifLi16ELi32ELi8ELb1ELb0ELc84ELc85EKffEviT_T0_PT8_S1_lS4_S1_lS2_PT9_S1_li ; -- Begin function _ZL34rocblas_syrkx_herkx_general_kernelIifLi16ELi32ELi8ELb1ELb0ELc84ELc85EKffEviT_T0_PT8_S1_lS4_S1_lS2_PT9_S1_li
	.p2align	8
	.type	_ZL34rocblas_syrkx_herkx_general_kernelIifLi16ELi32ELi8ELb1ELb0ELc84ELc85EKffEviT_T0_PT8_S1_lS4_S1_lS2_PT9_S1_li,@function
_ZL34rocblas_syrkx_herkx_general_kernelIifLi16ELi32ELi8ELb1ELb0ELc84ELc85EKffEviT_T0_PT8_S1_lS4_S1_lS2_PT9_S1_li: ; @_ZL34rocblas_syrkx_herkx_general_kernelIifLi16ELi32ELi8ELb1ELb0ELc84ELc85EKffEviT_T0_PT8_S1_lS4_S1_lS2_PT9_S1_li
; %bb.0:
	s_load_b128 s[4:7], s[0:1], 0x0
	v_dual_mov_b32 v8, 0 :: v_dual_and_b32 v5, 0x3ff, v0
	v_bfe_u32 v6, v0, 10, 10
	v_dual_mov_b32 v11, 0 :: v_dual_mov_b32 v4, 0
	v_mov_b32_e32 v7, 0
	s_waitcnt lgkmcnt(0)
	s_lshl_b32 s7, s13, 5
	s_lshl_b32 s12, s14, 5
	s_mov_b32 s13, 0
	s_cmp_lt_i32 s5, 1
	s_cbranch_scc1 .LBB65_7
; %bb.1:
	v_lshl_add_u32 v0, v6, 4, v5
	v_and_b32_e32 v9, 7, v5
	s_clause 0x4
	s_load_b32 s2, s[0:1], 0x18
	s_load_b64 s[16:17], s[0:1], 0x10
	s_load_b128 s[8:11], s[0:1], 0x20
	s_load_b32 s3, s[0:1], 0x30
	s_load_b64 s[18:19], s[0:1], 0x38
	v_lshlrev_b32_e32 v10, 2, v5
	v_lshrrev_b32_e32 v1, 3, v0
	v_lshlrev_b32_e32 v4, 2, v9
	v_and_b32_e32 v2, 31, v0
	v_lshrrev_b32_e32 v13, 5, v0
	v_lshl_add_u32 v12, v6, 5, 0x400
	v_add_nc_u32_e32 v7, s12, v1
	v_lshl_or_b32 v11, v1, 5, v4
	s_delay_alu instid0(VALU_DEP_1)
	v_add_nc_u32_e32 v15, 0x400, v11
	v_mov_b32_e32 v11, 0
	v_add_nc_u32_e32 v3, s7, v2
	v_or_b32_e32 v8, s7, v2
	v_lshlrev_b32_e32 v2, 2, v2
	s_waitcnt lgkmcnt(0)
	s_mul_i32 s9, s9, s15
	s_mul_hi_u32 s14, s8, s15
	v_mad_i64_i32 v[0:1], null, s2, v3, 0
	v_lshl_or_b32 v14, v13, 7, v2
	v_mad_i64_i32 v[2:3], null, s3, v7, 0
	s_mul_i32 s8, s8, s15
	s_add_i32 s9, s14, s9
	v_cmp_gt_i32_e64 s2, s4, v7
	s_delay_alu instid0(VALU_DEP_4) | instskip(SKIP_2) | instid1(VALU_DEP_2)
	v_lshlrev_b64 v[0:1], 2, v[0:1]
	s_lshl_b64 s[8:9], s[8:9], 2
	v_cmp_gt_i32_e32 vcc_lo, s4, v8
	v_add_co_u32 v7, s3, v0, s8
	s_delay_alu instid0(VALU_DEP_1)
	v_add_co_ci_u32_e64 v8, s3, s9, v1, s3
	s_mul_i32 s3, s19, s15
	s_mul_hi_u32 s8, s18, s15
	v_lshlrev_b64 v[0:1], 2, v[2:3]
	s_add_i32 s9, s8, s3
	s_mul_i32 s8, s18, s15
	v_lshlrev_b32_e32 v2, 2, v13
	s_lshl_b64 s[8:9], s[8:9], 2
	s_delay_alu instid0(VALU_DEP_2) | instid1(SALU_CYCLE_1)
	v_add_co_u32 v0, s3, v0, s8
	s_delay_alu instid0(VALU_DEP_1) | instskip(NEXT) | instid1(VALU_DEP_3)
	v_add_co_ci_u32_e64 v1, s3, s9, v1, s3
	v_add_co_u32 v2, s3, v7, v2
	s_delay_alu instid0(VALU_DEP_1) | instskip(SKIP_2) | instid1(VALU_DEP_1)
	v_add_co_ci_u32_e64 v3, s3, 0, v8, s3
	v_mov_b32_e32 v8, 0
	v_add_co_u32 v4, s3, v0, v4
	v_add_co_ci_u32_e64 v7, s3, 0, v1, s3
	v_add_co_u32 v0, s3, s16, v2
	s_delay_alu instid0(VALU_DEP_1) | instskip(NEXT) | instid1(VALU_DEP_4)
	v_add_co_ci_u32_e64 v1, s3, s17, v3, s3
	v_add_co_u32 v2, s3, s10, v4
	s_delay_alu instid0(VALU_DEP_1)
	v_add_co_ci_u32_e64 v3, s3, s11, v7, s3
	v_dual_mov_b32 v4, 0 :: v_dual_mov_b32 v7, 0
	s_branch .LBB65_3
.LBB65_2:                               ;   in Loop: Header=BB65_3 Depth=1
	s_or_b32 exec_lo, exec_lo, s3
	s_waitcnt vmcnt(0)
	ds_store_b32 v15, v17
	s_waitcnt lgkmcnt(0)
	s_barrier
	buffer_gl0_inv
	ds_load_2addr_b32 v[32:33], v10 offset1:16
	ds_load_b128 v[16:19], v12
	ds_load_b128 v[20:23], v12 offset:512
	ds_load_2addr_b32 v[34:35], v10 offset0:32 offset1:48
	ds_load_2addr_b32 v[36:37], v10 offset0:64 offset1:80
	;; [unrolled: 1-line block ×3, first 2 shown]
	ds_load_b128 v[24:27], v12 offset:16
	ds_load_2addr_b32 v[40:41], v10 offset0:128 offset1:144
	ds_load_b128 v[28:31], v12 offset:528
	v_add_co_u32 v0, s3, v0, 32
	s_delay_alu instid0(VALU_DEP_1) | instskip(SKIP_1) | instid1(VALU_DEP_1)
	v_add_co_ci_u32_e64 v1, s3, 0, v1, s3
	v_add_co_u32 v2, s3, v2, 32
	v_add_co_ci_u32_e64 v3, s3, 0, v3, s3
	s_add_i32 s13, s13, 8
	s_delay_alu instid0(SALU_CYCLE_1)
	s_cmp_ge_i32 s13, s5
	s_waitcnt lgkmcnt(7)
	v_fmac_f32_e32 v8, v33, v16
	v_fmac_f32_e32 v11, v32, v16
	s_waitcnt lgkmcnt(6)
	v_fmac_f32_e32 v4, v33, v20
	v_fmac_f32_e32 v7, v32, v20
	ds_load_2addr_b32 v[32:33], v10 offset0:160 offset1:176
	s_waitcnt lgkmcnt(6)
	v_fmac_f32_e32 v8, v35, v17
	v_fmac_f32_e32 v11, v34, v17
	v_fmac_f32_e32 v4, v35, v21
	v_fmac_f32_e32 v7, v34, v21
	ds_load_2addr_b32 v[16:17], v10 offset0:192 offset1:208
	s_waitcnt lgkmcnt(6)
	v_fmac_f32_e32 v8, v37, v18
	v_fmac_f32_e32 v11, v36, v18
	;; [unrolled: 6-line block ×3, first 2 shown]
	v_fmac_f32_e32 v4, v39, v23
	v_fmac_f32_e32 v7, v38, v23
	s_waitcnt lgkmcnt(0)
	v_fmac_f32_e32 v8, v41, v24
	v_fmac_f32_e32 v11, v40, v24
	;; [unrolled: 1-line block ×4, first 2 shown]
	s_barrier
	v_fmac_f32_e32 v8, v33, v25
	v_fmac_f32_e32 v11, v32, v25
	;; [unrolled: 1-line block ×4, first 2 shown]
	buffer_gl0_inv
	v_fmac_f32_e32 v8, v17, v26
	v_fmac_f32_e32 v11, v16, v26
	;; [unrolled: 1-line block ×3, first 2 shown]
	s_delay_alu instid0(VALU_DEP_3) | instskip(NEXT) | instid1(VALU_DEP_3)
	v_dual_fmac_f32 v7, v16, v30 :: v_dual_fmac_f32 v8, v21, v27
	v_fmac_f32_e32 v11, v20, v27
	s_delay_alu instid0(VALU_DEP_3) | instskip(NEXT) | instid1(VALU_DEP_3)
	v_fmac_f32_e32 v4, v21, v31
	v_fmac_f32_e32 v7, v20, v31
	s_cbranch_scc1 .LBB65_7
.LBB65_3:                               ; =>This Inner Loop Header: Depth=1
	v_add_nc_u32_e32 v16, s13, v13
	s_delay_alu instid0(VALU_DEP_1) | instskip(SKIP_1) | instid1(VALU_DEP_2)
	v_cmp_gt_i32_e64 s3, s5, v16
	v_mov_b32_e32 v16, 0
	s_and_b32 s8, vcc_lo, s3
	s_delay_alu instid0(SALU_CYCLE_1)
	s_and_saveexec_b32 s3, s8
	s_cbranch_execz .LBB65_5
; %bb.4:                                ;   in Loop: Header=BB65_3 Depth=1
	global_load_b32 v16, v[0:1], off
.LBB65_5:                               ;   in Loop: Header=BB65_3 Depth=1
	s_or_b32 exec_lo, exec_lo, s3
	v_add_nc_u32_e32 v17, s13, v9
	s_waitcnt vmcnt(0)
	ds_store_b32 v14, v16
	v_cmp_gt_i32_e64 s3, s5, v17
	v_mov_b32_e32 v17, 0
	s_delay_alu instid0(VALU_DEP_2) | instskip(NEXT) | instid1(SALU_CYCLE_1)
	s_and_b32 s8, s3, s2
	s_and_saveexec_b32 s3, s8
	s_cbranch_execz .LBB65_2
; %bb.6:                                ;   in Loop: Header=BB65_3 Depth=1
	global_load_b32 v17, v[2:3], off
	s_branch .LBB65_2
.LBB65_7:
	s_clause 0x2
	s_load_b32 s2, s[0:1], 0x50
	s_load_b64 s[8:9], s[0:1], 0x58
	s_load_b64 s[10:11], s[0:1], 0x48
	v_add_nc_u32_e32 v6, s12, v6
	v_add_nc_u32_e32 v0, s7, v5
	s_delay_alu instid0(VALU_DEP_2)
	v_cmp_gt_i32_e32 vcc_lo, s4, v6
	s_waitcnt lgkmcnt(0)
	v_mad_i64_i32 v[1:2], null, v6, s2, 0
	s_mul_i32 s1, s15, s9
	s_mul_hi_u32 s3, s15, s8
	s_mul_i32 s0, s15, s8
	s_add_i32 s1, s3, s1
	s_delay_alu instid0(SALU_CYCLE_1) | instskip(NEXT) | instid1(VALU_DEP_1)
	s_lshl_b64 s[8:9], s[0:1], 2
	v_lshlrev_b64 v[1:2], 2, v[1:2]
	s_add_u32 s3, s10, s8
	v_cmp_le_i32_e64 s0, v0, v6
	s_addc_u32 s5, s11, s9
	s_delay_alu instid0(VALU_DEP_2) | instskip(NEXT) | instid1(VALU_DEP_1)
	v_add_co_u32 v5, s1, s3, v1
	v_add_co_ci_u32_e64 v9, s1, s5, v2, s1
	s_delay_alu instid0(VALU_DEP_3) | instskip(NEXT) | instid1(SALU_CYCLE_1)
	s_and_b32 s0, vcc_lo, s0
	s_and_saveexec_b32 s1, s0
	s_cbranch_execz .LBB65_9
; %bb.8:
	v_ashrrev_i32_e32 v1, 31, v0
	v_mul_f32_e32 v3, s6, v11
	s_delay_alu instid0(VALU_DEP_2) | instskip(NEXT) | instid1(VALU_DEP_1)
	v_lshlrev_b64 v[1:2], 2, v[0:1]
	v_add_co_u32 v1, s0, v5, v1
	s_delay_alu instid0(VALU_DEP_1)
	v_add_co_ci_u32_e64 v2, s0, v9, v2, s0
	global_store_b32 v[1:2], v3, off
.LBB65_9:
	s_or_b32 exec_lo, exec_lo, s1
	v_add_nc_u32_e32 v2, 16, v0
	s_delay_alu instid0(VALU_DEP_1) | instskip(NEXT) | instid1(VALU_DEP_1)
	v_cmp_le_i32_e64 s0, v2, v6
	s_and_b32 s1, vcc_lo, s0
	s_delay_alu instid0(SALU_CYCLE_1)
	s_and_saveexec_b32 s0, s1
	s_cbranch_execz .LBB65_11
; %bb.10:
	v_ashrrev_i32_e32 v3, 31, v2
	v_mul_f32_e32 v1, s6, v8
	s_delay_alu instid0(VALU_DEP_2) | instskip(NEXT) | instid1(VALU_DEP_1)
	v_lshlrev_b64 v[10:11], 2, v[2:3]
	v_add_co_u32 v8, vcc_lo, v5, v10
	s_delay_alu instid0(VALU_DEP_2)
	v_add_co_ci_u32_e32 v9, vcc_lo, v9, v11, vcc_lo
	global_store_b32 v[8:9], v1, off
.LBB65_11:
	s_or_b32 exec_lo, exec_lo, s0
	v_add_nc_u32_e32 v3, 16, v6
	s_delay_alu instid0(VALU_DEP_1) | instskip(SKIP_2) | instid1(VALU_DEP_1)
	v_mad_i64_i32 v[5:6], null, v3, s2, 0
	v_cmp_gt_i32_e32 vcc_lo, s4, v3
	v_cmp_le_i32_e64 s0, v0, v3
	s_and_b32 s0, vcc_lo, s0
	s_delay_alu instid0(VALU_DEP_3) | instskip(NEXT) | instid1(VALU_DEP_1)
	v_lshlrev_b64 v[5:6], 2, v[5:6]
	v_add_co_u32 v5, s1, s3, v5
	s_delay_alu instid0(VALU_DEP_1)
	v_add_co_ci_u32_e64 v6, s1, s5, v6, s1
	s_and_saveexec_b32 s1, s0
	s_cbranch_execz .LBB65_13
; %bb.12:
	v_ashrrev_i32_e32 v1, 31, v0
	v_mul_f32_e32 v7, s6, v7
	s_delay_alu instid0(VALU_DEP_2) | instskip(NEXT) | instid1(VALU_DEP_1)
	v_lshlrev_b64 v[0:1], 2, v[0:1]
	v_add_co_u32 v0, s0, v5, v0
	s_delay_alu instid0(VALU_DEP_1)
	v_add_co_ci_u32_e64 v1, s0, v6, v1, s0
	global_store_b32 v[0:1], v7, off
.LBB65_13:
	s_or_b32 exec_lo, exec_lo, s1
	v_cmp_le_i32_e64 s0, v2, v3
	s_delay_alu instid0(VALU_DEP_1) | instskip(NEXT) | instid1(SALU_CYCLE_1)
	s_and_b32 s0, vcc_lo, s0
	s_and_saveexec_b32 s1, s0
	s_cbranch_execz .LBB65_15
; %bb.14:
	v_ashrrev_i32_e32 v3, 31, v2
	s_delay_alu instid0(VALU_DEP_1) | instskip(SKIP_1) | instid1(VALU_DEP_2)
	v_lshlrev_b64 v[0:1], 2, v[2:3]
	v_mul_f32_e32 v2, s6, v4
	v_add_co_u32 v0, vcc_lo, v5, v0
	s_delay_alu instid0(VALU_DEP_3)
	v_add_co_ci_u32_e32 v1, vcc_lo, v6, v1, vcc_lo
	global_store_b32 v[0:1], v2, off
.LBB65_15:
	s_nop 0
	s_sendmsg sendmsg(MSG_DEALLOC_VGPRS)
	s_endpgm
	.section	.rodata,"a",@progbits
	.p2align	6, 0x0
	.amdhsa_kernel _ZL34rocblas_syrkx_herkx_general_kernelIifLi16ELi32ELi8ELb1ELb0ELc84ELc85EKffEviT_T0_PT8_S1_lS4_S1_lS2_PT9_S1_li
		.amdhsa_group_segment_fixed_size 2048
		.amdhsa_private_segment_fixed_size 0
		.amdhsa_kernarg_size 100
		.amdhsa_user_sgpr_count 13
		.amdhsa_user_sgpr_dispatch_ptr 0
		.amdhsa_user_sgpr_queue_ptr 0
		.amdhsa_user_sgpr_kernarg_segment_ptr 1
		.amdhsa_user_sgpr_dispatch_id 0
		.amdhsa_user_sgpr_private_segment_size 0
		.amdhsa_wavefront_size32 1
		.amdhsa_uses_dynamic_stack 0
		.amdhsa_enable_private_segment 0
		.amdhsa_system_sgpr_workgroup_id_x 1
		.amdhsa_system_sgpr_workgroup_id_y 1
		.amdhsa_system_sgpr_workgroup_id_z 1
		.amdhsa_system_sgpr_workgroup_info 0
		.amdhsa_system_vgpr_workitem_id 1
		.amdhsa_next_free_vgpr 42
		.amdhsa_next_free_sgpr 20
		.amdhsa_reserve_vcc 1
		.amdhsa_float_round_mode_32 0
		.amdhsa_float_round_mode_16_64 0
		.amdhsa_float_denorm_mode_32 3
		.amdhsa_float_denorm_mode_16_64 3
		.amdhsa_dx10_clamp 1
		.amdhsa_ieee_mode 1
		.amdhsa_fp16_overflow 0
		.amdhsa_workgroup_processor_mode 1
		.amdhsa_memory_ordered 1
		.amdhsa_forward_progress 0
		.amdhsa_shared_vgpr_count 0
		.amdhsa_exception_fp_ieee_invalid_op 0
		.amdhsa_exception_fp_denorm_src 0
		.amdhsa_exception_fp_ieee_div_zero 0
		.amdhsa_exception_fp_ieee_overflow 0
		.amdhsa_exception_fp_ieee_underflow 0
		.amdhsa_exception_fp_ieee_inexact 0
		.amdhsa_exception_int_div_zero 0
	.end_amdhsa_kernel
	.section	.text._ZL34rocblas_syrkx_herkx_general_kernelIifLi16ELi32ELi8ELb1ELb0ELc84ELc85EKffEviT_T0_PT8_S1_lS4_S1_lS2_PT9_S1_li,"axG",@progbits,_ZL34rocblas_syrkx_herkx_general_kernelIifLi16ELi32ELi8ELb1ELb0ELc84ELc85EKffEviT_T0_PT8_S1_lS4_S1_lS2_PT9_S1_li,comdat
.Lfunc_end65:
	.size	_ZL34rocblas_syrkx_herkx_general_kernelIifLi16ELi32ELi8ELb1ELb0ELc84ELc85EKffEviT_T0_PT8_S1_lS4_S1_lS2_PT9_S1_li, .Lfunc_end65-_ZL34rocblas_syrkx_herkx_general_kernelIifLi16ELi32ELi8ELb1ELb0ELc84ELc85EKffEviT_T0_PT8_S1_lS4_S1_lS2_PT9_S1_li
                                        ; -- End function
	.section	.AMDGPU.csdata,"",@progbits
; Kernel info:
; codeLenInByte = 1364
; NumSgprs: 22
; NumVgprs: 42
; ScratchSize: 0
; MemoryBound: 0
; FloatMode: 240
; IeeeMode: 1
; LDSByteSize: 2048 bytes/workgroup (compile time only)
; SGPRBlocks: 2
; VGPRBlocks: 5
; NumSGPRsForWavesPerEU: 22
; NumVGPRsForWavesPerEU: 42
; Occupancy: 16
; WaveLimiterHint : 0
; COMPUTE_PGM_RSRC2:SCRATCH_EN: 0
; COMPUTE_PGM_RSRC2:USER_SGPR: 13
; COMPUTE_PGM_RSRC2:TRAP_HANDLER: 0
; COMPUTE_PGM_RSRC2:TGID_X_EN: 1
; COMPUTE_PGM_RSRC2:TGID_Y_EN: 1
; COMPUTE_PGM_RSRC2:TGID_Z_EN: 1
; COMPUTE_PGM_RSRC2:TIDIG_COMP_CNT: 1
	.section	.text._ZL34rocblas_syrkx_herkx_general_kernelIifLi16ELi32ELi8ELb1ELb0ELc67ELc85EKffEviT_T0_PT8_S1_lS4_S1_lS2_PT9_S1_li,"axG",@progbits,_ZL34rocblas_syrkx_herkx_general_kernelIifLi16ELi32ELi8ELb1ELb0ELc67ELc85EKffEviT_T0_PT8_S1_lS4_S1_lS2_PT9_S1_li,comdat
	.globl	_ZL34rocblas_syrkx_herkx_general_kernelIifLi16ELi32ELi8ELb1ELb0ELc67ELc85EKffEviT_T0_PT8_S1_lS4_S1_lS2_PT9_S1_li ; -- Begin function _ZL34rocblas_syrkx_herkx_general_kernelIifLi16ELi32ELi8ELb1ELb0ELc67ELc85EKffEviT_T0_PT8_S1_lS4_S1_lS2_PT9_S1_li
	.p2align	8
	.type	_ZL34rocblas_syrkx_herkx_general_kernelIifLi16ELi32ELi8ELb1ELb0ELc67ELc85EKffEviT_T0_PT8_S1_lS4_S1_lS2_PT9_S1_li,@function
_ZL34rocblas_syrkx_herkx_general_kernelIifLi16ELi32ELi8ELb1ELb0ELc67ELc85EKffEviT_T0_PT8_S1_lS4_S1_lS2_PT9_S1_li: ; @_ZL34rocblas_syrkx_herkx_general_kernelIifLi16ELi32ELi8ELb1ELb0ELc67ELc85EKffEviT_T0_PT8_S1_lS4_S1_lS2_PT9_S1_li
; %bb.0:
	s_load_b128 s[4:7], s[0:1], 0x0
	v_dual_mov_b32 v8, 0 :: v_dual_and_b32 v5, 0x3ff, v0
	v_bfe_u32 v6, v0, 10, 10
	v_dual_mov_b32 v11, 0 :: v_dual_mov_b32 v4, 0
	v_mov_b32_e32 v7, 0
	s_waitcnt lgkmcnt(0)
	s_lshl_b32 s7, s13, 5
	s_lshl_b32 s12, s14, 5
	s_mov_b32 s13, 0
	s_cmp_lt_i32 s5, 1
	s_cbranch_scc1 .LBB66_7
; %bb.1:
	v_lshl_add_u32 v0, v6, 4, v5
	v_and_b32_e32 v9, 7, v5
	s_clause 0x4
	s_load_b32 s2, s[0:1], 0x18
	s_load_b64 s[16:17], s[0:1], 0x10
	s_load_b128 s[8:11], s[0:1], 0x20
	s_load_b32 s3, s[0:1], 0x30
	s_load_b64 s[18:19], s[0:1], 0x38
	v_lshlrev_b32_e32 v10, 2, v5
	v_lshrrev_b32_e32 v1, 3, v0
	v_lshlrev_b32_e32 v4, 2, v9
	v_and_b32_e32 v2, 31, v0
	v_lshrrev_b32_e32 v13, 5, v0
	v_lshl_add_u32 v12, v6, 5, 0x400
	v_add_nc_u32_e32 v7, s12, v1
	v_lshl_or_b32 v11, v1, 5, v4
	s_delay_alu instid0(VALU_DEP_1)
	v_add_nc_u32_e32 v15, 0x400, v11
	v_mov_b32_e32 v11, 0
	v_add_nc_u32_e32 v3, s7, v2
	v_or_b32_e32 v8, s7, v2
	v_lshlrev_b32_e32 v2, 2, v2
	s_waitcnt lgkmcnt(0)
	s_mul_i32 s9, s9, s15
	s_mul_hi_u32 s14, s8, s15
	v_mad_i64_i32 v[0:1], null, s2, v3, 0
	v_lshl_or_b32 v14, v13, 7, v2
	v_mad_i64_i32 v[2:3], null, s3, v7, 0
	s_mul_i32 s8, s8, s15
	s_add_i32 s9, s14, s9
	v_cmp_gt_i32_e64 s2, s4, v7
	s_delay_alu instid0(VALU_DEP_4) | instskip(SKIP_2) | instid1(VALU_DEP_2)
	v_lshlrev_b64 v[0:1], 2, v[0:1]
	s_lshl_b64 s[8:9], s[8:9], 2
	v_cmp_gt_i32_e32 vcc_lo, s4, v8
	v_add_co_u32 v7, s3, v0, s8
	s_delay_alu instid0(VALU_DEP_1)
	v_add_co_ci_u32_e64 v8, s3, s9, v1, s3
	s_mul_i32 s3, s19, s15
	s_mul_hi_u32 s8, s18, s15
	v_lshlrev_b64 v[0:1], 2, v[2:3]
	s_add_i32 s9, s8, s3
	s_mul_i32 s8, s18, s15
	v_lshlrev_b32_e32 v2, 2, v13
	s_lshl_b64 s[8:9], s[8:9], 2
	s_delay_alu instid0(VALU_DEP_2) | instid1(SALU_CYCLE_1)
	v_add_co_u32 v0, s3, v0, s8
	s_delay_alu instid0(VALU_DEP_1) | instskip(NEXT) | instid1(VALU_DEP_3)
	v_add_co_ci_u32_e64 v1, s3, s9, v1, s3
	v_add_co_u32 v2, s3, v7, v2
	s_delay_alu instid0(VALU_DEP_1) | instskip(SKIP_2) | instid1(VALU_DEP_1)
	v_add_co_ci_u32_e64 v3, s3, 0, v8, s3
	v_mov_b32_e32 v8, 0
	v_add_co_u32 v4, s3, v0, v4
	v_add_co_ci_u32_e64 v7, s3, 0, v1, s3
	v_add_co_u32 v0, s3, s16, v2
	s_delay_alu instid0(VALU_DEP_1) | instskip(NEXT) | instid1(VALU_DEP_4)
	v_add_co_ci_u32_e64 v1, s3, s17, v3, s3
	v_add_co_u32 v2, s3, s10, v4
	s_delay_alu instid0(VALU_DEP_1)
	v_add_co_ci_u32_e64 v3, s3, s11, v7, s3
	v_dual_mov_b32 v4, 0 :: v_dual_mov_b32 v7, 0
	s_branch .LBB66_3
.LBB66_2:                               ;   in Loop: Header=BB66_3 Depth=1
	s_or_b32 exec_lo, exec_lo, s3
	s_waitcnt vmcnt(0)
	ds_store_b32 v15, v17
	s_waitcnt lgkmcnt(0)
	s_barrier
	buffer_gl0_inv
	ds_load_2addr_b32 v[32:33], v10 offset1:16
	ds_load_b128 v[16:19], v12
	ds_load_b128 v[20:23], v12 offset:512
	ds_load_2addr_b32 v[34:35], v10 offset0:32 offset1:48
	ds_load_2addr_b32 v[36:37], v10 offset0:64 offset1:80
	ds_load_2addr_b32 v[38:39], v10 offset0:96 offset1:112
	ds_load_b128 v[24:27], v12 offset:16
	ds_load_2addr_b32 v[40:41], v10 offset0:128 offset1:144
	ds_load_b128 v[28:31], v12 offset:528
	v_add_co_u32 v0, s3, v0, 32
	s_delay_alu instid0(VALU_DEP_1) | instskip(SKIP_1) | instid1(VALU_DEP_1)
	v_add_co_ci_u32_e64 v1, s3, 0, v1, s3
	v_add_co_u32 v2, s3, v2, 32
	v_add_co_ci_u32_e64 v3, s3, 0, v3, s3
	s_add_i32 s13, s13, 8
	s_delay_alu instid0(SALU_CYCLE_1)
	s_cmp_ge_i32 s13, s5
	s_waitcnt lgkmcnt(7)
	v_fmac_f32_e32 v8, v33, v16
	v_fmac_f32_e32 v11, v32, v16
	s_waitcnt lgkmcnt(6)
	v_fmac_f32_e32 v4, v33, v20
	v_fmac_f32_e32 v7, v32, v20
	ds_load_2addr_b32 v[32:33], v10 offset0:160 offset1:176
	s_waitcnt lgkmcnt(6)
	v_fmac_f32_e32 v8, v35, v17
	v_fmac_f32_e32 v11, v34, v17
	v_fmac_f32_e32 v4, v35, v21
	v_fmac_f32_e32 v7, v34, v21
	ds_load_2addr_b32 v[16:17], v10 offset0:192 offset1:208
	s_waitcnt lgkmcnt(6)
	v_fmac_f32_e32 v8, v37, v18
	v_fmac_f32_e32 v11, v36, v18
	;; [unrolled: 6-line block ×3, first 2 shown]
	v_fmac_f32_e32 v4, v39, v23
	v_fmac_f32_e32 v7, v38, v23
	s_waitcnt lgkmcnt(0)
	v_fmac_f32_e32 v8, v41, v24
	v_fmac_f32_e32 v11, v40, v24
	;; [unrolled: 1-line block ×4, first 2 shown]
	s_barrier
	v_fmac_f32_e32 v8, v33, v25
	v_fmac_f32_e32 v11, v32, v25
	;; [unrolled: 1-line block ×4, first 2 shown]
	buffer_gl0_inv
	v_fmac_f32_e32 v8, v17, v26
	v_fmac_f32_e32 v11, v16, v26
	;; [unrolled: 1-line block ×3, first 2 shown]
	s_delay_alu instid0(VALU_DEP_3) | instskip(NEXT) | instid1(VALU_DEP_3)
	v_dual_fmac_f32 v7, v16, v30 :: v_dual_fmac_f32 v8, v21, v27
	v_fmac_f32_e32 v11, v20, v27
	s_delay_alu instid0(VALU_DEP_3) | instskip(NEXT) | instid1(VALU_DEP_3)
	v_fmac_f32_e32 v4, v21, v31
	v_fmac_f32_e32 v7, v20, v31
	s_cbranch_scc1 .LBB66_7
.LBB66_3:                               ; =>This Inner Loop Header: Depth=1
	v_add_nc_u32_e32 v16, s13, v13
	s_delay_alu instid0(VALU_DEP_1) | instskip(SKIP_1) | instid1(VALU_DEP_2)
	v_cmp_gt_i32_e64 s3, s5, v16
	v_mov_b32_e32 v16, 0
	s_and_b32 s8, vcc_lo, s3
	s_delay_alu instid0(SALU_CYCLE_1)
	s_and_saveexec_b32 s3, s8
	s_cbranch_execz .LBB66_5
; %bb.4:                                ;   in Loop: Header=BB66_3 Depth=1
	global_load_b32 v16, v[0:1], off
.LBB66_5:                               ;   in Loop: Header=BB66_3 Depth=1
	s_or_b32 exec_lo, exec_lo, s3
	v_add_nc_u32_e32 v17, s13, v9
	s_waitcnt vmcnt(0)
	ds_store_b32 v14, v16
	v_cmp_gt_i32_e64 s3, s5, v17
	v_mov_b32_e32 v17, 0
	s_delay_alu instid0(VALU_DEP_2) | instskip(NEXT) | instid1(SALU_CYCLE_1)
	s_and_b32 s8, s3, s2
	s_and_saveexec_b32 s3, s8
	s_cbranch_execz .LBB66_2
; %bb.6:                                ;   in Loop: Header=BB66_3 Depth=1
	global_load_b32 v17, v[2:3], off
	s_branch .LBB66_2
.LBB66_7:
	s_clause 0x2
	s_load_b32 s2, s[0:1], 0x50
	s_load_b64 s[8:9], s[0:1], 0x58
	s_load_b64 s[10:11], s[0:1], 0x48
	v_add_nc_u32_e32 v6, s12, v6
	v_add_nc_u32_e32 v0, s7, v5
	s_delay_alu instid0(VALU_DEP_2)
	v_cmp_gt_i32_e32 vcc_lo, s4, v6
	s_waitcnt lgkmcnt(0)
	v_mad_i64_i32 v[1:2], null, v6, s2, 0
	s_mul_i32 s1, s15, s9
	s_mul_hi_u32 s3, s15, s8
	s_mul_i32 s0, s15, s8
	s_add_i32 s1, s3, s1
	s_delay_alu instid0(SALU_CYCLE_1) | instskip(NEXT) | instid1(VALU_DEP_1)
	s_lshl_b64 s[8:9], s[0:1], 2
	v_lshlrev_b64 v[1:2], 2, v[1:2]
	s_add_u32 s3, s10, s8
	v_cmp_le_i32_e64 s0, v0, v6
	s_addc_u32 s5, s11, s9
	s_delay_alu instid0(VALU_DEP_2) | instskip(NEXT) | instid1(VALU_DEP_1)
	v_add_co_u32 v5, s1, s3, v1
	v_add_co_ci_u32_e64 v9, s1, s5, v2, s1
	s_delay_alu instid0(VALU_DEP_3) | instskip(NEXT) | instid1(SALU_CYCLE_1)
	s_and_b32 s0, vcc_lo, s0
	s_and_saveexec_b32 s1, s0
	s_cbranch_execz .LBB66_9
; %bb.8:
	v_ashrrev_i32_e32 v1, 31, v0
	v_mul_f32_e32 v3, s6, v11
	s_delay_alu instid0(VALU_DEP_2) | instskip(NEXT) | instid1(VALU_DEP_1)
	v_lshlrev_b64 v[1:2], 2, v[0:1]
	v_add_co_u32 v1, s0, v5, v1
	s_delay_alu instid0(VALU_DEP_1)
	v_add_co_ci_u32_e64 v2, s0, v9, v2, s0
	global_store_b32 v[1:2], v3, off
.LBB66_9:
	s_or_b32 exec_lo, exec_lo, s1
	v_add_nc_u32_e32 v2, 16, v0
	s_delay_alu instid0(VALU_DEP_1) | instskip(NEXT) | instid1(VALU_DEP_1)
	v_cmp_le_i32_e64 s0, v2, v6
	s_and_b32 s1, vcc_lo, s0
	s_delay_alu instid0(SALU_CYCLE_1)
	s_and_saveexec_b32 s0, s1
	s_cbranch_execz .LBB66_11
; %bb.10:
	v_ashrrev_i32_e32 v3, 31, v2
	v_mul_f32_e32 v1, s6, v8
	s_delay_alu instid0(VALU_DEP_2) | instskip(NEXT) | instid1(VALU_DEP_1)
	v_lshlrev_b64 v[10:11], 2, v[2:3]
	v_add_co_u32 v8, vcc_lo, v5, v10
	s_delay_alu instid0(VALU_DEP_2)
	v_add_co_ci_u32_e32 v9, vcc_lo, v9, v11, vcc_lo
	global_store_b32 v[8:9], v1, off
.LBB66_11:
	s_or_b32 exec_lo, exec_lo, s0
	v_add_nc_u32_e32 v3, 16, v6
	s_delay_alu instid0(VALU_DEP_1) | instskip(SKIP_2) | instid1(VALU_DEP_1)
	v_mad_i64_i32 v[5:6], null, v3, s2, 0
	v_cmp_gt_i32_e32 vcc_lo, s4, v3
	v_cmp_le_i32_e64 s0, v0, v3
	s_and_b32 s0, vcc_lo, s0
	s_delay_alu instid0(VALU_DEP_3) | instskip(NEXT) | instid1(VALU_DEP_1)
	v_lshlrev_b64 v[5:6], 2, v[5:6]
	v_add_co_u32 v5, s1, s3, v5
	s_delay_alu instid0(VALU_DEP_1)
	v_add_co_ci_u32_e64 v6, s1, s5, v6, s1
	s_and_saveexec_b32 s1, s0
	s_cbranch_execz .LBB66_13
; %bb.12:
	v_ashrrev_i32_e32 v1, 31, v0
	v_mul_f32_e32 v7, s6, v7
	s_delay_alu instid0(VALU_DEP_2) | instskip(NEXT) | instid1(VALU_DEP_1)
	v_lshlrev_b64 v[0:1], 2, v[0:1]
	v_add_co_u32 v0, s0, v5, v0
	s_delay_alu instid0(VALU_DEP_1)
	v_add_co_ci_u32_e64 v1, s0, v6, v1, s0
	global_store_b32 v[0:1], v7, off
.LBB66_13:
	s_or_b32 exec_lo, exec_lo, s1
	v_cmp_le_i32_e64 s0, v2, v3
	s_delay_alu instid0(VALU_DEP_1) | instskip(NEXT) | instid1(SALU_CYCLE_1)
	s_and_b32 s0, vcc_lo, s0
	s_and_saveexec_b32 s1, s0
	s_cbranch_execz .LBB66_15
; %bb.14:
	v_ashrrev_i32_e32 v3, 31, v2
	s_delay_alu instid0(VALU_DEP_1) | instskip(SKIP_1) | instid1(VALU_DEP_2)
	v_lshlrev_b64 v[0:1], 2, v[2:3]
	v_mul_f32_e32 v2, s6, v4
	v_add_co_u32 v0, vcc_lo, v5, v0
	s_delay_alu instid0(VALU_DEP_3)
	v_add_co_ci_u32_e32 v1, vcc_lo, v6, v1, vcc_lo
	global_store_b32 v[0:1], v2, off
.LBB66_15:
	s_nop 0
	s_sendmsg sendmsg(MSG_DEALLOC_VGPRS)
	s_endpgm
	.section	.rodata,"a",@progbits
	.p2align	6, 0x0
	.amdhsa_kernel _ZL34rocblas_syrkx_herkx_general_kernelIifLi16ELi32ELi8ELb1ELb0ELc67ELc85EKffEviT_T0_PT8_S1_lS4_S1_lS2_PT9_S1_li
		.amdhsa_group_segment_fixed_size 2048
		.amdhsa_private_segment_fixed_size 0
		.amdhsa_kernarg_size 100
		.amdhsa_user_sgpr_count 13
		.amdhsa_user_sgpr_dispatch_ptr 0
		.amdhsa_user_sgpr_queue_ptr 0
		.amdhsa_user_sgpr_kernarg_segment_ptr 1
		.amdhsa_user_sgpr_dispatch_id 0
		.amdhsa_user_sgpr_private_segment_size 0
		.amdhsa_wavefront_size32 1
		.amdhsa_uses_dynamic_stack 0
		.amdhsa_enable_private_segment 0
		.amdhsa_system_sgpr_workgroup_id_x 1
		.amdhsa_system_sgpr_workgroup_id_y 1
		.amdhsa_system_sgpr_workgroup_id_z 1
		.amdhsa_system_sgpr_workgroup_info 0
		.amdhsa_system_vgpr_workitem_id 1
		.amdhsa_next_free_vgpr 42
		.amdhsa_next_free_sgpr 20
		.amdhsa_reserve_vcc 1
		.amdhsa_float_round_mode_32 0
		.amdhsa_float_round_mode_16_64 0
		.amdhsa_float_denorm_mode_32 3
		.amdhsa_float_denorm_mode_16_64 3
		.amdhsa_dx10_clamp 1
		.amdhsa_ieee_mode 1
		.amdhsa_fp16_overflow 0
		.amdhsa_workgroup_processor_mode 1
		.amdhsa_memory_ordered 1
		.amdhsa_forward_progress 0
		.amdhsa_shared_vgpr_count 0
		.amdhsa_exception_fp_ieee_invalid_op 0
		.amdhsa_exception_fp_denorm_src 0
		.amdhsa_exception_fp_ieee_div_zero 0
		.amdhsa_exception_fp_ieee_overflow 0
		.amdhsa_exception_fp_ieee_underflow 0
		.amdhsa_exception_fp_ieee_inexact 0
		.amdhsa_exception_int_div_zero 0
	.end_amdhsa_kernel
	.section	.text._ZL34rocblas_syrkx_herkx_general_kernelIifLi16ELi32ELi8ELb1ELb0ELc67ELc85EKffEviT_T0_PT8_S1_lS4_S1_lS2_PT9_S1_li,"axG",@progbits,_ZL34rocblas_syrkx_herkx_general_kernelIifLi16ELi32ELi8ELb1ELb0ELc67ELc85EKffEviT_T0_PT8_S1_lS4_S1_lS2_PT9_S1_li,comdat
.Lfunc_end66:
	.size	_ZL34rocblas_syrkx_herkx_general_kernelIifLi16ELi32ELi8ELb1ELb0ELc67ELc85EKffEviT_T0_PT8_S1_lS4_S1_lS2_PT9_S1_li, .Lfunc_end66-_ZL34rocblas_syrkx_herkx_general_kernelIifLi16ELi32ELi8ELb1ELb0ELc67ELc85EKffEviT_T0_PT8_S1_lS4_S1_lS2_PT9_S1_li
                                        ; -- End function
	.section	.AMDGPU.csdata,"",@progbits
; Kernel info:
; codeLenInByte = 1364
; NumSgprs: 22
; NumVgprs: 42
; ScratchSize: 0
; MemoryBound: 0
; FloatMode: 240
; IeeeMode: 1
; LDSByteSize: 2048 bytes/workgroup (compile time only)
; SGPRBlocks: 2
; VGPRBlocks: 5
; NumSGPRsForWavesPerEU: 22
; NumVGPRsForWavesPerEU: 42
; Occupancy: 16
; WaveLimiterHint : 0
; COMPUTE_PGM_RSRC2:SCRATCH_EN: 0
; COMPUTE_PGM_RSRC2:USER_SGPR: 13
; COMPUTE_PGM_RSRC2:TRAP_HANDLER: 0
; COMPUTE_PGM_RSRC2:TGID_X_EN: 1
; COMPUTE_PGM_RSRC2:TGID_Y_EN: 1
; COMPUTE_PGM_RSRC2:TGID_Z_EN: 1
; COMPUTE_PGM_RSRC2:TIDIG_COMP_CNT: 1
	.section	.text._ZL34rocblas_syrkx_herkx_general_kernelIifLi16ELi32ELi8ELb1ELb0ELc78ELc85EKffEviT_T0_PT8_S1_lS4_S1_lS2_PT9_S1_li,"axG",@progbits,_ZL34rocblas_syrkx_herkx_general_kernelIifLi16ELi32ELi8ELb1ELb0ELc78ELc85EKffEviT_T0_PT8_S1_lS4_S1_lS2_PT9_S1_li,comdat
	.globl	_ZL34rocblas_syrkx_herkx_general_kernelIifLi16ELi32ELi8ELb1ELb0ELc78ELc85EKffEviT_T0_PT8_S1_lS4_S1_lS2_PT9_S1_li ; -- Begin function _ZL34rocblas_syrkx_herkx_general_kernelIifLi16ELi32ELi8ELb1ELb0ELc78ELc85EKffEviT_T0_PT8_S1_lS4_S1_lS2_PT9_S1_li
	.p2align	8
	.type	_ZL34rocblas_syrkx_herkx_general_kernelIifLi16ELi32ELi8ELb1ELb0ELc78ELc85EKffEviT_T0_PT8_S1_lS4_S1_lS2_PT9_S1_li,@function
_ZL34rocblas_syrkx_herkx_general_kernelIifLi16ELi32ELi8ELb1ELb0ELc78ELc85EKffEviT_T0_PT8_S1_lS4_S1_lS2_PT9_S1_li: ; @_ZL34rocblas_syrkx_herkx_general_kernelIifLi16ELi32ELi8ELb1ELb0ELc78ELc85EKffEviT_T0_PT8_S1_lS4_S1_lS2_PT9_S1_li
; %bb.0:
	s_load_b128 s[4:7], s[0:1], 0x0
	v_dual_mov_b32 v13, 0 :: v_dual_and_b32 v4, 0x3ff, v0
	v_bfe_u32 v5, v0, 10, 10
	v_dual_mov_b32 v9, 0 :: v_dual_mov_b32 v6, 0
	v_mov_b32_e32 v7, 0
	s_waitcnt lgkmcnt(0)
	s_lshl_b32 s7, s13, 5
	s_lshl_b32 s14, s14, 5
	s_mov_b32 s16, 0
	s_cmp_lt_i32 s5, 1
	s_cbranch_scc1 .LBB67_7
; %bb.1:
	s_clause 0x1
	s_load_b32 s12, s[0:1], 0x18
	s_load_b64 s[18:19], s[0:1], 0x10
	v_lshl_add_u32 v0, v5, 4, v4
	s_clause 0x1
	s_load_b128 s[8:11], s[0:1], 0x20
	s_load_b32 s20, s[0:1], 0x30
	v_and_b32_e32 v8, 7, v4
	s_load_b64 s[22:23], s[0:1], 0x38
	v_and_b32_e32 v6, 31, v0
	v_lshrrev_b32_e32 v1, 3, v0
	v_lshrrev_b32_e32 v10, 5, v0
	v_lshlrev_b32_e32 v2, 2, v8
	v_lshlrev_b32_e32 v14, 2, v4
	v_or_b32_e32 v3, s7, v6
	v_add_nc_u32_e32 v0, s14, v1
	v_lshlrev_b32_e32 v7, 2, v6
	v_lshl_or_b32 v1, v1, 5, v2
	v_add_nc_u32_e32 v6, s7, v6
	v_cmp_gt_i32_e32 vcc_lo, s4, v3
	v_cmp_gt_i32_e64 s2, s4, v0
	v_lshl_or_b32 v11, v10, 7, v7
	s_waitcnt lgkmcnt(0)
	v_mad_i64_i32 v[2:3], null, v10, s12, 0
	v_ashrrev_i32_e32 v7, 31, v6
	s_mul_i32 s3, s9, s15
	s_mul_hi_u32 s9, s8, s15
	v_mad_i64_i32 v[16:17], null, s20, v8, 0
	s_add_i32 s9, s9, s3
	s_delay_alu instid0(VALU_DEP_3)
	v_lshlrev_b64 v[2:3], 2, v[2:3]
	s_mul_i32 s8, s8, s15
	v_add_nc_u32_e32 v12, 0x400, v1
	s_lshl_b64 s[8:9], s[8:9], 2
	v_ashrrev_i32_e32 v1, 31, v0
	v_lshlrev_b64 v[6:7], 2, v[6:7]
	v_add_co_u32 v9, s3, v2, s8
	s_delay_alu instid0(VALU_DEP_1)
	v_add_co_ci_u32_e64 v13, s3, s9, v3, s3
	s_mul_i32 s3, s23, s15
	s_mul_hi_u32 s8, s22, s15
	v_lshlrev_b64 v[2:3], 2, v[16:17]
	s_add_i32 s9, s8, s3
	s_mul_i32 s8, s22, s15
	v_lshlrev_b64 v[0:1], 2, v[0:1]
	s_lshl_b64 s[8:9], s[8:9], 2
	v_lshl_add_u32 v15, v5, 5, 0x400
	v_add_co_u32 v2, s3, s8, v2
	s_delay_alu instid0(VALU_DEP_1) | instskip(SKIP_1) | instid1(VALU_DEP_1)
	v_add_co_ci_u32_e64 v3, s3, s9, v3, s3
	v_add_co_u32 v6, s3, v9, v6
	v_add_co_ci_u32_e64 v7, s3, v13, v7, s3
	s_delay_alu instid0(VALU_DEP_4) | instskip(NEXT) | instid1(VALU_DEP_1)
	v_add_co_u32 v2, s3, v2, v0
	v_add_co_ci_u32_e64 v3, s3, v3, v1, s3
	s_delay_alu instid0(VALU_DEP_4) | instskip(SKIP_3) | instid1(VALU_DEP_1)
	v_add_co_u32 v0, s3, s18, v6
	v_mov_b32_e32 v6, 0
	v_add_co_ci_u32_e64 v1, s3, s19, v7, s3
	v_add_co_u32 v2, s3, s10, v2
	v_add_co_ci_u32_e64 v3, s3, s11, v3, s3
	v_mov_b32_e32 v7, 0
	v_mov_b32_e32 v9, 0
	;; [unrolled: 1-line block ×3, first 2 shown]
	s_ashr_i32 s13, s12, 31
	s_ashr_i32 s21, s20, 31
	s_lshl_b64 s[8:9], s[12:13], 5
	s_lshl_b64 s[10:11], s[20:21], 5
	s_branch .LBB67_3
.LBB67_2:                               ;   in Loop: Header=BB67_3 Depth=1
	s_or_b32 exec_lo, exec_lo, s3
	s_waitcnt vmcnt(0)
	ds_store_b32 v12, v17
	s_waitcnt lgkmcnt(0)
	s_barrier
	buffer_gl0_inv
	ds_load_2addr_b32 v[32:33], v14 offset1:16
	ds_load_b128 v[16:19], v15
	ds_load_b128 v[20:23], v15 offset:512
	ds_load_2addr_b32 v[34:35], v14 offset0:32 offset1:48
	ds_load_2addr_b32 v[36:37], v14 offset0:64 offset1:80
	;; [unrolled: 1-line block ×3, first 2 shown]
	ds_load_b128 v[24:27], v15 offset:16
	ds_load_2addr_b32 v[40:41], v14 offset0:128 offset1:144
	ds_load_b128 v[28:31], v15 offset:528
	v_add_co_u32 v0, s3, v0, s8
	s_delay_alu instid0(VALU_DEP_1) | instskip(SKIP_1) | instid1(VALU_DEP_1)
	v_add_co_ci_u32_e64 v1, s3, s9, v1, s3
	v_add_co_u32 v2, s3, v2, s10
	v_add_co_ci_u32_e64 v3, s3, s11, v3, s3
	s_add_i32 s16, s16, 8
	s_delay_alu instid0(SALU_CYCLE_1) | instskip(SKIP_3) | instid1(VALU_DEP_1)
	s_cmp_ge_i32 s16, s5
	s_waitcnt lgkmcnt(6)
	v_fmac_f32_e32 v6, v33, v20
	s_waitcnt lgkmcnt(5)
	v_dual_fmac_f32 v13, v32, v16 :: v_dual_fmac_f32 v6, v35, v21
	v_fmac_f32_e32 v7, v32, v20
	s_waitcnt lgkmcnt(4)
	s_delay_alu instid0(VALU_DEP_2)
	v_dual_fmac_f32 v13, v34, v17 :: v_dual_fmac_f32 v6, v37, v22
	v_fmac_f32_e32 v9, v33, v16
	ds_load_2addr_b32 v[32:33], v14 offset0:160 offset1:176
	s_waitcnt lgkmcnt(4)
	v_fmac_f32_e32 v6, v39, v23
	v_fmac_f32_e32 v9, v35, v17
	ds_load_2addr_b32 v[16:17], v14 offset0:192 offset1:208
	s_waitcnt lgkmcnt(2)
	v_dual_fmac_f32 v6, v41, v28 :: v_dual_fmac_f32 v13, v36, v18
	v_fmac_f32_e32 v9, v37, v18
	s_waitcnt lgkmcnt(1)
	s_delay_alu instid0(VALU_DEP_1)
	v_dual_fmac_f32 v9, v39, v19 :: v_dual_fmac_f32 v6, v33, v29
	v_fmac_f32_e32 v7, v34, v21
	ds_load_2addr_b32 v[20:21], v14 offset0:224 offset1:240
	v_fmac_f32_e32 v13, v38, v19
	v_fmac_f32_e32 v9, v41, v24
	s_waitcnt lgkmcnt(1)
	v_fmac_f32_e32 v6, v17, v30
	v_fmac_f32_e32 v7, v36, v22
	s_waitcnt lgkmcnt(0)
	v_fmac_f32_e32 v13, v40, v24
	v_fmac_f32_e32 v9, v33, v25
	s_barrier
	buffer_gl0_inv
	v_fmac_f32_e32 v13, v32, v25
	v_fmac_f32_e32 v9, v17, v26
	s_delay_alu instid0(VALU_DEP_2) | instskip(SKIP_1) | instid1(VALU_DEP_2)
	v_dual_fmac_f32 v13, v16, v26 :: v_dual_fmac_f32 v6, v21, v31
	v_fmac_f32_e32 v7, v38, v23
	v_fmac_f32_e32 v13, v20, v27
	s_delay_alu instid0(VALU_DEP_4) | instskip(NEXT) | instid1(VALU_DEP_3)
	v_fmac_f32_e32 v9, v21, v27
	v_fmac_f32_e32 v7, v40, v28
	s_delay_alu instid0(VALU_DEP_1) | instskip(NEXT) | instid1(VALU_DEP_1)
	v_fmac_f32_e32 v7, v32, v29
	v_fmac_f32_e32 v7, v16, v30
	s_delay_alu instid0(VALU_DEP_1)
	v_fmac_f32_e32 v7, v20, v31
	s_cbranch_scc1 .LBB67_7
.LBB67_3:                               ; =>This Inner Loop Header: Depth=1
	v_add_nc_u32_e32 v16, s16, v10
	s_delay_alu instid0(VALU_DEP_1) | instskip(SKIP_1) | instid1(VALU_DEP_2)
	v_cmp_gt_i32_e64 s3, s5, v16
	v_mov_b32_e32 v16, 0
	s_and_b32 s12, vcc_lo, s3
	s_delay_alu instid0(SALU_CYCLE_1)
	s_and_saveexec_b32 s3, s12
	s_cbranch_execz .LBB67_5
; %bb.4:                                ;   in Loop: Header=BB67_3 Depth=1
	global_load_b32 v16, v[0:1], off
.LBB67_5:                               ;   in Loop: Header=BB67_3 Depth=1
	s_or_b32 exec_lo, exec_lo, s3
	v_add_nc_u32_e32 v17, s16, v8
	s_waitcnt vmcnt(0)
	ds_store_b32 v11, v16
	v_cmp_gt_i32_e64 s3, s5, v17
	v_mov_b32_e32 v17, 0
	s_delay_alu instid0(VALU_DEP_2) | instskip(NEXT) | instid1(SALU_CYCLE_1)
	s_and_b32 s12, s3, s2
	s_and_saveexec_b32 s3, s12
	s_cbranch_execz .LBB67_2
; %bb.6:                                ;   in Loop: Header=BB67_3 Depth=1
	global_load_b32 v17, v[2:3], off
	s_branch .LBB67_2
.LBB67_7:
	s_clause 0x2
	s_load_b32 s2, s[0:1], 0x50
	s_load_b64 s[8:9], s[0:1], 0x58
	s_load_b64 s[10:11], s[0:1], 0x48
	v_add_nc_u32_e32 v5, s14, v5
	v_add_nc_u32_e32 v0, s7, v4
	s_delay_alu instid0(VALU_DEP_2)
	v_cmp_gt_i32_e32 vcc_lo, s4, v5
	s_waitcnt lgkmcnt(0)
	v_mad_i64_i32 v[1:2], null, v5, s2, 0
	s_mul_i32 s1, s15, s9
	s_mul_hi_u32 s3, s15, s8
	s_mul_i32 s0, s15, s8
	s_add_i32 s1, s3, s1
	s_delay_alu instid0(SALU_CYCLE_1) | instskip(NEXT) | instid1(VALU_DEP_1)
	s_lshl_b64 s[8:9], s[0:1], 2
	v_lshlrev_b64 v[1:2], 2, v[1:2]
	s_add_u32 s3, s10, s8
	v_cmp_le_i32_e64 s0, v0, v5
	s_addc_u32 s5, s11, s9
	s_delay_alu instid0(VALU_DEP_2) | instskip(NEXT) | instid1(VALU_DEP_1)
	v_add_co_u32 v4, s1, s3, v1
	v_add_co_ci_u32_e64 v8, s1, s5, v2, s1
	s_delay_alu instid0(VALU_DEP_3) | instskip(NEXT) | instid1(SALU_CYCLE_1)
	s_and_b32 s0, vcc_lo, s0
	s_and_saveexec_b32 s1, s0
	s_cbranch_execz .LBB67_9
; %bb.8:
	v_ashrrev_i32_e32 v1, 31, v0
	v_mul_f32_e32 v3, s6, v13
	s_delay_alu instid0(VALU_DEP_2) | instskip(NEXT) | instid1(VALU_DEP_1)
	v_lshlrev_b64 v[1:2], 2, v[0:1]
	v_add_co_u32 v1, s0, v4, v1
	s_delay_alu instid0(VALU_DEP_1)
	v_add_co_ci_u32_e64 v2, s0, v8, v2, s0
	global_store_b32 v[1:2], v3, off
.LBB67_9:
	s_or_b32 exec_lo, exec_lo, s1
	v_add_nc_u32_e32 v2, 16, v0
	s_delay_alu instid0(VALU_DEP_1) | instskip(NEXT) | instid1(VALU_DEP_1)
	v_cmp_le_i32_e64 s0, v2, v5
	s_and_b32 s1, vcc_lo, s0
	s_delay_alu instid0(SALU_CYCLE_1)
	s_and_saveexec_b32 s0, s1
	s_cbranch_execz .LBB67_11
; %bb.10:
	v_ashrrev_i32_e32 v3, 31, v2
	v_mul_f32_e32 v1, s6, v9
	s_delay_alu instid0(VALU_DEP_2) | instskip(NEXT) | instid1(VALU_DEP_1)
	v_lshlrev_b64 v[10:11], 2, v[2:3]
	v_add_co_u32 v3, vcc_lo, v4, v10
	s_delay_alu instid0(VALU_DEP_2)
	v_add_co_ci_u32_e32 v4, vcc_lo, v8, v11, vcc_lo
	global_store_b32 v[3:4], v1, off
.LBB67_11:
	s_or_b32 exec_lo, exec_lo, s0
	v_add_nc_u32_e32 v3, 16, v5
	s_delay_alu instid0(VALU_DEP_1) | instskip(SKIP_2) | instid1(VALU_DEP_1)
	v_mad_i64_i32 v[4:5], null, v3, s2, 0
	v_cmp_gt_i32_e32 vcc_lo, s4, v3
	v_cmp_le_i32_e64 s0, v0, v3
	s_and_b32 s0, vcc_lo, s0
	s_delay_alu instid0(VALU_DEP_3) | instskip(NEXT) | instid1(VALU_DEP_1)
	v_lshlrev_b64 v[4:5], 2, v[4:5]
	v_add_co_u32 v4, s1, s3, v4
	s_delay_alu instid0(VALU_DEP_1)
	v_add_co_ci_u32_e64 v5, s1, s5, v5, s1
	s_and_saveexec_b32 s1, s0
	s_cbranch_execz .LBB67_13
; %bb.12:
	v_ashrrev_i32_e32 v1, 31, v0
	v_mul_f32_e32 v7, s6, v7
	s_delay_alu instid0(VALU_DEP_2) | instskip(NEXT) | instid1(VALU_DEP_1)
	v_lshlrev_b64 v[0:1], 2, v[0:1]
	v_add_co_u32 v0, s0, v4, v0
	s_delay_alu instid0(VALU_DEP_1)
	v_add_co_ci_u32_e64 v1, s0, v5, v1, s0
	global_store_b32 v[0:1], v7, off
.LBB67_13:
	s_or_b32 exec_lo, exec_lo, s1
	v_cmp_le_i32_e64 s0, v2, v3
	s_delay_alu instid0(VALU_DEP_1) | instskip(NEXT) | instid1(SALU_CYCLE_1)
	s_and_b32 s0, vcc_lo, s0
	s_and_saveexec_b32 s1, s0
	s_cbranch_execz .LBB67_15
; %bb.14:
	v_ashrrev_i32_e32 v3, 31, v2
	s_delay_alu instid0(VALU_DEP_1) | instskip(SKIP_1) | instid1(VALU_DEP_2)
	v_lshlrev_b64 v[0:1], 2, v[2:3]
	v_mul_f32_e32 v2, s6, v6
	v_add_co_u32 v0, vcc_lo, v4, v0
	s_delay_alu instid0(VALU_DEP_3)
	v_add_co_ci_u32_e32 v1, vcc_lo, v5, v1, vcc_lo
	global_store_b32 v[0:1], v2, off
.LBB67_15:
	s_nop 0
	s_sendmsg sendmsg(MSG_DEALLOC_VGPRS)
	s_endpgm
	.section	.rodata,"a",@progbits
	.p2align	6, 0x0
	.amdhsa_kernel _ZL34rocblas_syrkx_herkx_general_kernelIifLi16ELi32ELi8ELb1ELb0ELc78ELc85EKffEviT_T0_PT8_S1_lS4_S1_lS2_PT9_S1_li
		.amdhsa_group_segment_fixed_size 2048
		.amdhsa_private_segment_fixed_size 0
		.amdhsa_kernarg_size 100
		.amdhsa_user_sgpr_count 13
		.amdhsa_user_sgpr_dispatch_ptr 0
		.amdhsa_user_sgpr_queue_ptr 0
		.amdhsa_user_sgpr_kernarg_segment_ptr 1
		.amdhsa_user_sgpr_dispatch_id 0
		.amdhsa_user_sgpr_private_segment_size 0
		.amdhsa_wavefront_size32 1
		.amdhsa_uses_dynamic_stack 0
		.amdhsa_enable_private_segment 0
		.amdhsa_system_sgpr_workgroup_id_x 1
		.amdhsa_system_sgpr_workgroup_id_y 1
		.amdhsa_system_sgpr_workgroup_id_z 1
		.amdhsa_system_sgpr_workgroup_info 0
		.amdhsa_system_vgpr_workitem_id 1
		.amdhsa_next_free_vgpr 42
		.amdhsa_next_free_sgpr 24
		.amdhsa_reserve_vcc 1
		.amdhsa_float_round_mode_32 0
		.amdhsa_float_round_mode_16_64 0
		.amdhsa_float_denorm_mode_32 3
		.amdhsa_float_denorm_mode_16_64 3
		.amdhsa_dx10_clamp 1
		.amdhsa_ieee_mode 1
		.amdhsa_fp16_overflow 0
		.amdhsa_workgroup_processor_mode 1
		.amdhsa_memory_ordered 1
		.amdhsa_forward_progress 0
		.amdhsa_shared_vgpr_count 0
		.amdhsa_exception_fp_ieee_invalid_op 0
		.amdhsa_exception_fp_denorm_src 0
		.amdhsa_exception_fp_ieee_div_zero 0
		.amdhsa_exception_fp_ieee_overflow 0
		.amdhsa_exception_fp_ieee_underflow 0
		.amdhsa_exception_fp_ieee_inexact 0
		.amdhsa_exception_int_div_zero 0
	.end_amdhsa_kernel
	.section	.text._ZL34rocblas_syrkx_herkx_general_kernelIifLi16ELi32ELi8ELb1ELb0ELc78ELc85EKffEviT_T0_PT8_S1_lS4_S1_lS2_PT9_S1_li,"axG",@progbits,_ZL34rocblas_syrkx_herkx_general_kernelIifLi16ELi32ELi8ELb1ELb0ELc78ELc85EKffEviT_T0_PT8_S1_lS4_S1_lS2_PT9_S1_li,comdat
.Lfunc_end67:
	.size	_ZL34rocblas_syrkx_herkx_general_kernelIifLi16ELi32ELi8ELb1ELb0ELc78ELc85EKffEviT_T0_PT8_S1_lS4_S1_lS2_PT9_S1_li, .Lfunc_end67-_ZL34rocblas_syrkx_herkx_general_kernelIifLi16ELi32ELi8ELb1ELb0ELc78ELc85EKffEviT_T0_PT8_S1_lS4_S1_lS2_PT9_S1_li
                                        ; -- End function
	.section	.AMDGPU.csdata,"",@progbits
; Kernel info:
; codeLenInByte = 1416
; NumSgprs: 26
; NumVgprs: 42
; ScratchSize: 0
; MemoryBound: 0
; FloatMode: 240
; IeeeMode: 1
; LDSByteSize: 2048 bytes/workgroup (compile time only)
; SGPRBlocks: 3
; VGPRBlocks: 5
; NumSGPRsForWavesPerEU: 26
; NumVGPRsForWavesPerEU: 42
; Occupancy: 16
; WaveLimiterHint : 0
; COMPUTE_PGM_RSRC2:SCRATCH_EN: 0
; COMPUTE_PGM_RSRC2:USER_SGPR: 13
; COMPUTE_PGM_RSRC2:TRAP_HANDLER: 0
; COMPUTE_PGM_RSRC2:TGID_X_EN: 1
; COMPUTE_PGM_RSRC2:TGID_Y_EN: 1
; COMPUTE_PGM_RSRC2:TGID_Z_EN: 1
; COMPUTE_PGM_RSRC2:TIDIG_COMP_CNT: 1
	.section	.text._ZL34rocblas_syrkx_herkx_general_kernelIifLi16ELi32ELi8ELb0ELb0ELc84ELc76EKffEviT_T0_PT8_S1_lS4_S1_lS2_PT9_S1_li,"axG",@progbits,_ZL34rocblas_syrkx_herkx_general_kernelIifLi16ELi32ELi8ELb0ELb0ELc84ELc76EKffEviT_T0_PT8_S1_lS4_S1_lS2_PT9_S1_li,comdat
	.globl	_ZL34rocblas_syrkx_herkx_general_kernelIifLi16ELi32ELi8ELb0ELb0ELc84ELc76EKffEviT_T0_PT8_S1_lS4_S1_lS2_PT9_S1_li ; -- Begin function _ZL34rocblas_syrkx_herkx_general_kernelIifLi16ELi32ELi8ELb0ELb0ELc84ELc76EKffEviT_T0_PT8_S1_lS4_S1_lS2_PT9_S1_li
	.p2align	8
	.type	_ZL34rocblas_syrkx_herkx_general_kernelIifLi16ELi32ELi8ELb0ELb0ELc84ELc76EKffEviT_T0_PT8_S1_lS4_S1_lS2_PT9_S1_li,@function
_ZL34rocblas_syrkx_herkx_general_kernelIifLi16ELi32ELi8ELb0ELb0ELc84ELc76EKffEviT_T0_PT8_S1_lS4_S1_lS2_PT9_S1_li: ; @_ZL34rocblas_syrkx_herkx_general_kernelIifLi16ELi32ELi8ELb0ELb0ELc84ELc76EKffEviT_T0_PT8_S1_lS4_S1_lS2_PT9_S1_li
; %bb.0:
	s_load_b128 s[4:7], s[0:1], 0x0
	v_dual_mov_b32 v10, 0 :: v_dual_and_b32 v5, 0x3ff, v0
	v_bfe_u32 v6, v0, 10, 10
	v_dual_mov_b32 v8, 0 :: v_dual_mov_b32 v7, 0
	v_mov_b32_e32 v4, 0
	s_waitcnt lgkmcnt(0)
	s_lshl_b32 s7, s13, 5
	s_lshl_b32 s12, s14, 5
	s_mov_b32 s13, 0
	s_cmp_lt_i32 s5, 1
	s_cbranch_scc1 .LBB68_7
; %bb.1:
	s_clause 0x1
	s_load_b32 s2, s[0:1], 0x18
	s_load_b64 s[16:17], s[0:1], 0x10
	v_lshl_add_u32 v0, v6, 4, v5
	s_clause 0x2
	s_load_b128 s[8:11], s[0:1], 0x20
	s_load_b32 s3, s[0:1], 0x30
	s_load_b64 s[18:19], s[0:1], 0x38
	v_and_b32_e32 v9, 7, v5
	v_lshlrev_b32_e32 v11, 2, v5
	v_lshl_add_u32 v12, v6, 5, 0x400
	v_and_b32_e32 v2, 31, v0
	v_lshrrev_b32_e32 v1, 3, v0
	v_lshlrev_b32_e32 v4, 2, v9
	v_lshrrev_b32_e32 v13, 5, v0
	s_delay_alu instid0(VALU_DEP_4) | instskip(NEXT) | instid1(VALU_DEP_4)
	v_add_nc_u32_e32 v3, s7, v2
	v_add_nc_u32_e32 v7, s12, v1
	s_delay_alu instid0(VALU_DEP_4) | instskip(SKIP_2) | instid1(VALU_DEP_3)
	v_lshl_or_b32 v10, v1, 5, v4
	v_or_b32_e32 v8, s7, v2
	v_lshlrev_b32_e32 v2, 2, v2
	v_dual_mov_b32 v10, 0 :: v_dual_add_nc_u32 v15, 0x400, v10
	s_waitcnt lgkmcnt(0)
	v_mad_i64_i32 v[0:1], null, s2, v3, 0
	s_mul_i32 s9, s9, s15
	s_mul_hi_u32 s14, s8, s15
	v_lshl_or_b32 v14, v13, 7, v2
	v_mad_i64_i32 v[2:3], null, s3, v7, 0
	s_mul_i32 s8, s8, s15
	s_delay_alu instid0(VALU_DEP_3) | instskip(SKIP_4) | instid1(VALU_DEP_3)
	v_lshlrev_b64 v[0:1], 2, v[0:1]
	s_add_i32 s9, s14, s9
	v_cmp_gt_i32_e64 s2, s4, v7
	s_lshl_b64 s[8:9], s[8:9], 2
	v_cmp_gt_i32_e32 vcc_lo, s4, v8
	v_add_co_u32 v7, s3, v0, s8
	s_delay_alu instid0(VALU_DEP_1)
	v_add_co_ci_u32_e64 v8, s3, s9, v1, s3
	s_mul_i32 s3, s19, s15
	s_mul_hi_u32 s8, s18, s15
	v_lshlrev_b64 v[0:1], 2, v[2:3]
	s_add_i32 s9, s8, s3
	s_mul_i32 s8, s18, s15
	v_lshlrev_b32_e32 v2, 2, v13
	s_lshl_b64 s[8:9], s[8:9], 2
	s_delay_alu instid0(VALU_DEP_2) | instid1(SALU_CYCLE_1)
	v_add_co_u32 v0, s3, v0, s8
	s_delay_alu instid0(VALU_DEP_1) | instskip(NEXT) | instid1(VALU_DEP_3)
	v_add_co_ci_u32_e64 v1, s3, s9, v1, s3
	v_add_co_u32 v2, s3, v7, v2
	s_delay_alu instid0(VALU_DEP_1) | instskip(NEXT) | instid1(VALU_DEP_4)
	v_add_co_ci_u32_e64 v3, s3, 0, v8, s3
	v_add_co_u32 v4, s3, v0, v4
	s_delay_alu instid0(VALU_DEP_1) | instskip(NEXT) | instid1(VALU_DEP_4)
	;; [unrolled: 3-line block ×3, first 2 shown]
	v_add_co_ci_u32_e64 v1, s3, s17, v3, s3
	v_add_co_u32 v2, s3, s10, v4
	s_delay_alu instid0(VALU_DEP_1)
	v_add_co_ci_u32_e64 v3, s3, s11, v7, s3
	v_dual_mov_b32 v4, 0 :: v_dual_mov_b32 v7, 0
	v_mov_b32_e32 v8, 0
	s_branch .LBB68_3
.LBB68_2:                               ;   in Loop: Header=BB68_3 Depth=1
	s_or_b32 exec_lo, exec_lo, s3
	s_waitcnt vmcnt(0)
	ds_store_b32 v15, v17
	s_waitcnt lgkmcnt(0)
	s_barrier
	buffer_gl0_inv
	ds_load_2addr_b32 v[32:33], v11 offset1:16
	ds_load_b128 v[16:19], v12
	ds_load_b128 v[20:23], v12 offset:512
	ds_load_2addr_b32 v[34:35], v11 offset0:32 offset1:48
	ds_load_2addr_b32 v[36:37], v11 offset0:64 offset1:80
	;; [unrolled: 1-line block ×3, first 2 shown]
	ds_load_b128 v[24:27], v12 offset:16
	ds_load_2addr_b32 v[40:41], v11 offset0:128 offset1:144
	ds_load_b128 v[28:31], v12 offset:528
	v_add_co_u32 v0, s3, v0, 32
	s_delay_alu instid0(VALU_DEP_1) | instskip(SKIP_1) | instid1(VALU_DEP_1)
	v_add_co_ci_u32_e64 v1, s3, 0, v1, s3
	v_add_co_u32 v2, s3, v2, 32
	v_add_co_ci_u32_e64 v3, s3, 0, v3, s3
	s_add_i32 s13, s13, 8
	s_delay_alu instid0(SALU_CYCLE_1) | instskip(SKIP_3) | instid1(VALU_DEP_1)
	s_cmp_ge_i32 s13, s5
	s_waitcnt lgkmcnt(6)
	v_fmac_f32_e32 v7, v32, v20
	s_waitcnt lgkmcnt(5)
	v_dual_fmac_f32 v10, v32, v16 :: v_dual_fmac_f32 v7, v34, v21
	v_fmac_f32_e32 v8, v33, v16
	s_waitcnt lgkmcnt(4)
	s_delay_alu instid0(VALU_DEP_2)
	v_dual_fmac_f32 v10, v34, v17 :: v_dual_fmac_f32 v7, v36, v22
	v_fmac_f32_e32 v4, v33, v20
	ds_load_2addr_b32 v[32:33], v11 offset0:160 offset1:176
	s_waitcnt lgkmcnt(4)
	v_dual_fmac_f32 v10, v36, v18 :: v_dual_fmac_f32 v7, v38, v23
	v_fmac_f32_e32 v8, v35, v17
	ds_load_2addr_b32 v[16:17], v11 offset0:192 offset1:208
	s_waitcnt lgkmcnt(2)
	v_dual_fmac_f32 v10, v38, v19 :: v_dual_fmac_f32 v7, v40, v28
	v_fmac_f32_e32 v8, v37, v18
	s_delay_alu instid0(VALU_DEP_2) | instskip(SKIP_1) | instid1(VALU_DEP_3)
	v_fmac_f32_e32 v10, v40, v24
	s_waitcnt lgkmcnt(1)
	v_fmac_f32_e32 v7, v32, v29
	v_fmac_f32_e32 v4, v35, v21
	ds_load_2addr_b32 v[20:21], v11 offset0:224 offset1:240
	v_fmac_f32_e32 v8, v39, v19
	v_fmac_f32_e32 v10, v32, v25
	s_waitcnt lgkmcnt(1)
	v_fmac_f32_e32 v7, v16, v30
	v_fmac_f32_e32 v4, v37, v22
	s_waitcnt lgkmcnt(0)
	v_fmac_f32_e32 v8, v41, v24
	v_fmac_f32_e32 v10, v16, v26
	s_barrier
	buffer_gl0_inv
	v_fmac_f32_e32 v8, v33, v25
	s_delay_alu instid0(VALU_DEP_1) | instskip(SKIP_2) | instid1(VALU_DEP_3)
	v_dual_fmac_f32 v8, v17, v26 :: v_dual_fmac_f32 v7, v20, v31
	v_fmac_f32_e32 v4, v39, v23
	v_fmac_f32_e32 v10, v20, v27
	;; [unrolled: 1-line block ×3, first 2 shown]
	s_delay_alu instid0(VALU_DEP_3) | instskip(NEXT) | instid1(VALU_DEP_1)
	v_fmac_f32_e32 v4, v41, v28
	v_fmac_f32_e32 v4, v33, v29
	s_delay_alu instid0(VALU_DEP_1) | instskip(NEXT) | instid1(VALU_DEP_1)
	v_fmac_f32_e32 v4, v17, v30
	v_fmac_f32_e32 v4, v21, v31
	s_cbranch_scc1 .LBB68_7
.LBB68_3:                               ; =>This Inner Loop Header: Depth=1
	v_add_nc_u32_e32 v16, s13, v13
	s_delay_alu instid0(VALU_DEP_1) | instskip(SKIP_1) | instid1(VALU_DEP_2)
	v_cmp_gt_i32_e64 s3, s5, v16
	v_mov_b32_e32 v16, 0
	s_and_b32 s8, vcc_lo, s3
	s_delay_alu instid0(SALU_CYCLE_1)
	s_and_saveexec_b32 s3, s8
	s_cbranch_execz .LBB68_5
; %bb.4:                                ;   in Loop: Header=BB68_3 Depth=1
	global_load_b32 v16, v[0:1], off
.LBB68_5:                               ;   in Loop: Header=BB68_3 Depth=1
	s_or_b32 exec_lo, exec_lo, s3
	v_add_nc_u32_e32 v17, s13, v9
	s_waitcnt vmcnt(0)
	ds_store_b32 v14, v16
	v_cmp_gt_i32_e64 s3, s5, v17
	v_mov_b32_e32 v17, 0
	s_delay_alu instid0(VALU_DEP_2) | instskip(NEXT) | instid1(SALU_CYCLE_1)
	s_and_b32 s8, s3, s2
	s_and_saveexec_b32 s3, s8
	s_cbranch_execz .LBB68_2
; %bb.6:                                ;   in Loop: Header=BB68_3 Depth=1
	global_load_b32 v17, v[2:3], off
	s_branch .LBB68_2
.LBB68_7:
	s_clause 0x2
	s_load_b32 s2, s[0:1], 0x50
	s_load_b64 s[8:9], s[0:1], 0x58
	s_load_b64 s[10:11], s[0:1], 0x48
	v_add_nc_u32_e32 v6, s12, v6
	s_load_b32 s3, s[0:1], 0x40
	v_add_nc_u32_e32 v0, s7, v5
	s_delay_alu instid0(VALU_DEP_1)
	v_cmp_le_i32_e64 s0, v6, v0
	v_cmp_gt_i32_e32 vcc_lo, s4, v0
	s_waitcnt lgkmcnt(0)
	v_mad_i64_i32 v[1:2], null, v6, s2, 0
	s_mul_i32 s1, s15, s9
	s_mul_hi_u32 s5, s15, s8
	s_mul_i32 s8, s15, s8
	s_add_i32 s9, s5, s1
	s_delay_alu instid0(SALU_CYCLE_1) | instskip(NEXT) | instid1(VALU_DEP_1)
	s_lshl_b64 s[8:9], s[8:9], 2
	v_lshlrev_b64 v[1:2], 2, v[1:2]
	s_add_u32 s5, s10, s8
	s_addc_u32 s7, s11, s9
	s_and_b32 s0, s0, vcc_lo
	s_delay_alu instid0(VALU_DEP_1) | instskip(NEXT) | instid1(VALU_DEP_1)
	v_add_co_u32 v5, s1, s5, v1
	v_add_co_ci_u32_e64 v9, s1, s7, v2, s1
	s_and_saveexec_b32 s1, s0
	s_cbranch_execz .LBB68_9
; %bb.8:
	v_ashrrev_i32_e32 v1, 31, v0
	s_delay_alu instid0(VALU_DEP_1) | instskip(NEXT) | instid1(VALU_DEP_1)
	v_lshlrev_b64 v[1:2], 2, v[0:1]
	v_add_co_u32 v1, s0, v5, v1
	s_delay_alu instid0(VALU_DEP_1) | instskip(SKIP_3) | instid1(VALU_DEP_1)
	v_add_co_ci_u32_e64 v2, s0, v9, v2, s0
	global_load_b32 v3, v[1:2], off
	s_waitcnt vmcnt(0)
	v_mul_f32_e32 v3, s3, v3
	v_fmac_f32_e32 v3, s6, v10
	global_store_b32 v[1:2], v3, off
.LBB68_9:
	s_or_b32 exec_lo, exec_lo, s1
	v_add_nc_u32_e32 v2, 16, v0
	s_delay_alu instid0(VALU_DEP_1) | instskip(SKIP_1) | instid1(VALU_DEP_1)
	v_cmp_le_i32_e64 s1, v6, v2
	v_cmp_gt_i32_e64 s0, s4, v2
	s_and_b32 s1, s1, s0
	s_delay_alu instid0(SALU_CYCLE_1)
	s_and_saveexec_b32 s4, s1
	s_cbranch_execz .LBB68_11
; %bb.10:
	v_ashrrev_i32_e32 v3, 31, v2
	s_delay_alu instid0(VALU_DEP_1) | instskip(NEXT) | instid1(VALU_DEP_1)
	v_lshlrev_b64 v[10:11], 2, v[2:3]
	v_add_co_u32 v10, s1, v5, v10
	s_delay_alu instid0(VALU_DEP_1) | instskip(SKIP_3) | instid1(VALU_DEP_1)
	v_add_co_ci_u32_e64 v11, s1, v9, v11, s1
	global_load_b32 v1, v[10:11], off
	s_waitcnt vmcnt(0)
	v_mul_f32_e32 v1, s3, v1
	v_fmac_f32_e32 v1, s6, v8
	global_store_b32 v[10:11], v1, off
.LBB68_11:
	s_or_b32 exec_lo, exec_lo, s4
	v_add_nc_u32_e32 v3, 16, v6
	s_delay_alu instid0(VALU_DEP_1) | instskip(SKIP_1) | instid1(VALU_DEP_2)
	v_mad_i64_i32 v[5:6], null, v3, s2, 0
	v_cmp_le_i32_e64 s1, v3, v0
	v_lshlrev_b64 v[5:6], 2, v[5:6]
	s_delay_alu instid0(VALU_DEP_1) | instskip(NEXT) | instid1(VALU_DEP_1)
	v_add_co_u32 v5, s2, s5, v5
	v_add_co_ci_u32_e64 v6, s2, s7, v6, s2
	s_delay_alu instid0(VALU_DEP_4) | instskip(NEXT) | instid1(SALU_CYCLE_1)
	s_and_b32 s2, s1, vcc_lo
	s_and_saveexec_b32 s1, s2
	s_cbranch_execz .LBB68_13
; %bb.12:
	v_ashrrev_i32_e32 v1, 31, v0
	s_delay_alu instid0(VALU_DEP_1) | instskip(NEXT) | instid1(VALU_DEP_1)
	v_lshlrev_b64 v[0:1], 2, v[0:1]
	v_add_co_u32 v0, vcc_lo, v5, v0
	s_delay_alu instid0(VALU_DEP_2) | instskip(SKIP_3) | instid1(VALU_DEP_1)
	v_add_co_ci_u32_e32 v1, vcc_lo, v6, v1, vcc_lo
	global_load_b32 v8, v[0:1], off
	s_waitcnt vmcnt(0)
	v_mul_f32_e32 v8, s3, v8
	v_fmac_f32_e32 v8, s6, v7
	global_store_b32 v[0:1], v8, off
.LBB68_13:
	s_or_b32 exec_lo, exec_lo, s1
	v_cmp_le_i32_e32 vcc_lo, v3, v2
	s_and_b32 s0, vcc_lo, s0
	s_delay_alu instid0(SALU_CYCLE_1)
	s_and_saveexec_b32 s1, s0
	s_cbranch_execz .LBB68_15
; %bb.14:
	v_ashrrev_i32_e32 v3, 31, v2
	s_delay_alu instid0(VALU_DEP_1) | instskip(NEXT) | instid1(VALU_DEP_1)
	v_lshlrev_b64 v[0:1], 2, v[2:3]
	v_add_co_u32 v0, vcc_lo, v5, v0
	s_delay_alu instid0(VALU_DEP_2) | instskip(SKIP_3) | instid1(VALU_DEP_1)
	v_add_co_ci_u32_e32 v1, vcc_lo, v6, v1, vcc_lo
	global_load_b32 v2, v[0:1], off
	s_waitcnt vmcnt(0)
	v_mul_f32_e32 v2, s3, v2
	v_fmac_f32_e32 v2, s6, v4
	global_store_b32 v[0:1], v2, off
.LBB68_15:
	s_nop 0
	s_sendmsg sendmsg(MSG_DEALLOC_VGPRS)
	s_endpgm
	.section	.rodata,"a",@progbits
	.p2align	6, 0x0
	.amdhsa_kernel _ZL34rocblas_syrkx_herkx_general_kernelIifLi16ELi32ELi8ELb0ELb0ELc84ELc76EKffEviT_T0_PT8_S1_lS4_S1_lS2_PT9_S1_li
		.amdhsa_group_segment_fixed_size 2048
		.amdhsa_private_segment_fixed_size 0
		.amdhsa_kernarg_size 100
		.amdhsa_user_sgpr_count 13
		.amdhsa_user_sgpr_dispatch_ptr 0
		.amdhsa_user_sgpr_queue_ptr 0
		.amdhsa_user_sgpr_kernarg_segment_ptr 1
		.amdhsa_user_sgpr_dispatch_id 0
		.amdhsa_user_sgpr_private_segment_size 0
		.amdhsa_wavefront_size32 1
		.amdhsa_uses_dynamic_stack 0
		.amdhsa_enable_private_segment 0
		.amdhsa_system_sgpr_workgroup_id_x 1
		.amdhsa_system_sgpr_workgroup_id_y 1
		.amdhsa_system_sgpr_workgroup_id_z 1
		.amdhsa_system_sgpr_workgroup_info 0
		.amdhsa_system_vgpr_workitem_id 1
		.amdhsa_next_free_vgpr 42
		.amdhsa_next_free_sgpr 20
		.amdhsa_reserve_vcc 1
		.amdhsa_float_round_mode_32 0
		.amdhsa_float_round_mode_16_64 0
		.amdhsa_float_denorm_mode_32 3
		.amdhsa_float_denorm_mode_16_64 3
		.amdhsa_dx10_clamp 1
		.amdhsa_ieee_mode 1
		.amdhsa_fp16_overflow 0
		.amdhsa_workgroup_processor_mode 1
		.amdhsa_memory_ordered 1
		.amdhsa_forward_progress 0
		.amdhsa_shared_vgpr_count 0
		.amdhsa_exception_fp_ieee_invalid_op 0
		.amdhsa_exception_fp_denorm_src 0
		.amdhsa_exception_fp_ieee_div_zero 0
		.amdhsa_exception_fp_ieee_overflow 0
		.amdhsa_exception_fp_ieee_underflow 0
		.amdhsa_exception_fp_ieee_inexact 0
		.amdhsa_exception_int_div_zero 0
	.end_amdhsa_kernel
	.section	.text._ZL34rocblas_syrkx_herkx_general_kernelIifLi16ELi32ELi8ELb0ELb0ELc84ELc76EKffEviT_T0_PT8_S1_lS4_S1_lS2_PT9_S1_li,"axG",@progbits,_ZL34rocblas_syrkx_herkx_general_kernelIifLi16ELi32ELi8ELb0ELb0ELc84ELc76EKffEviT_T0_PT8_S1_lS4_S1_lS2_PT9_S1_li,comdat
.Lfunc_end68:
	.size	_ZL34rocblas_syrkx_herkx_general_kernelIifLi16ELi32ELi8ELb0ELb0ELc84ELc76EKffEviT_T0_PT8_S1_lS4_S1_lS2_PT9_S1_li, .Lfunc_end68-_ZL34rocblas_syrkx_herkx_general_kernelIifLi16ELi32ELi8ELb0ELb0ELc84ELc76EKffEviT_T0_PT8_S1_lS4_S1_lS2_PT9_S1_li
                                        ; -- End function
	.section	.AMDGPU.csdata,"",@progbits
; Kernel info:
; codeLenInByte = 1464
; NumSgprs: 22
; NumVgprs: 42
; ScratchSize: 0
; MemoryBound: 0
; FloatMode: 240
; IeeeMode: 1
; LDSByteSize: 2048 bytes/workgroup (compile time only)
; SGPRBlocks: 2
; VGPRBlocks: 5
; NumSGPRsForWavesPerEU: 22
; NumVGPRsForWavesPerEU: 42
; Occupancy: 16
; WaveLimiterHint : 0
; COMPUTE_PGM_RSRC2:SCRATCH_EN: 0
; COMPUTE_PGM_RSRC2:USER_SGPR: 13
; COMPUTE_PGM_RSRC2:TRAP_HANDLER: 0
; COMPUTE_PGM_RSRC2:TGID_X_EN: 1
; COMPUTE_PGM_RSRC2:TGID_Y_EN: 1
; COMPUTE_PGM_RSRC2:TGID_Z_EN: 1
; COMPUTE_PGM_RSRC2:TIDIG_COMP_CNT: 1
	.section	.text._ZL34rocblas_syrkx_herkx_general_kernelIifLi16ELi32ELi8ELb0ELb0ELc67ELc76EKffEviT_T0_PT8_S1_lS4_S1_lS2_PT9_S1_li,"axG",@progbits,_ZL34rocblas_syrkx_herkx_general_kernelIifLi16ELi32ELi8ELb0ELb0ELc67ELc76EKffEviT_T0_PT8_S1_lS4_S1_lS2_PT9_S1_li,comdat
	.globl	_ZL34rocblas_syrkx_herkx_general_kernelIifLi16ELi32ELi8ELb0ELb0ELc67ELc76EKffEviT_T0_PT8_S1_lS4_S1_lS2_PT9_S1_li ; -- Begin function _ZL34rocblas_syrkx_herkx_general_kernelIifLi16ELi32ELi8ELb0ELb0ELc67ELc76EKffEviT_T0_PT8_S1_lS4_S1_lS2_PT9_S1_li
	.p2align	8
	.type	_ZL34rocblas_syrkx_herkx_general_kernelIifLi16ELi32ELi8ELb0ELb0ELc67ELc76EKffEviT_T0_PT8_S1_lS4_S1_lS2_PT9_S1_li,@function
_ZL34rocblas_syrkx_herkx_general_kernelIifLi16ELi32ELi8ELb0ELb0ELc67ELc76EKffEviT_T0_PT8_S1_lS4_S1_lS2_PT9_S1_li: ; @_ZL34rocblas_syrkx_herkx_general_kernelIifLi16ELi32ELi8ELb0ELb0ELc67ELc76EKffEviT_T0_PT8_S1_lS4_S1_lS2_PT9_S1_li
; %bb.0:
	s_load_b128 s[4:7], s[0:1], 0x0
	v_dual_mov_b32 v10, 0 :: v_dual_and_b32 v5, 0x3ff, v0
	v_bfe_u32 v6, v0, 10, 10
	v_dual_mov_b32 v8, 0 :: v_dual_mov_b32 v7, 0
	v_mov_b32_e32 v4, 0
	s_waitcnt lgkmcnt(0)
	s_lshl_b32 s7, s13, 5
	s_lshl_b32 s12, s14, 5
	s_mov_b32 s13, 0
	s_cmp_lt_i32 s5, 1
	s_cbranch_scc1 .LBB69_7
; %bb.1:
	s_clause 0x1
	s_load_b32 s2, s[0:1], 0x18
	s_load_b64 s[16:17], s[0:1], 0x10
	v_lshl_add_u32 v0, v6, 4, v5
	s_clause 0x2
	s_load_b128 s[8:11], s[0:1], 0x20
	s_load_b32 s3, s[0:1], 0x30
	s_load_b64 s[18:19], s[0:1], 0x38
	v_and_b32_e32 v9, 7, v5
	v_lshlrev_b32_e32 v11, 2, v5
	v_lshl_add_u32 v12, v6, 5, 0x400
	v_and_b32_e32 v2, 31, v0
	v_lshrrev_b32_e32 v1, 3, v0
	v_lshlrev_b32_e32 v4, 2, v9
	v_lshrrev_b32_e32 v13, 5, v0
	s_delay_alu instid0(VALU_DEP_4) | instskip(NEXT) | instid1(VALU_DEP_4)
	v_add_nc_u32_e32 v3, s7, v2
	v_add_nc_u32_e32 v7, s12, v1
	s_delay_alu instid0(VALU_DEP_4) | instskip(SKIP_2) | instid1(VALU_DEP_3)
	v_lshl_or_b32 v10, v1, 5, v4
	v_or_b32_e32 v8, s7, v2
	v_lshlrev_b32_e32 v2, 2, v2
	v_dual_mov_b32 v10, 0 :: v_dual_add_nc_u32 v15, 0x400, v10
	s_waitcnt lgkmcnt(0)
	v_mad_i64_i32 v[0:1], null, s2, v3, 0
	s_mul_i32 s9, s9, s15
	s_mul_hi_u32 s14, s8, s15
	v_lshl_or_b32 v14, v13, 7, v2
	v_mad_i64_i32 v[2:3], null, s3, v7, 0
	s_mul_i32 s8, s8, s15
	s_delay_alu instid0(VALU_DEP_3) | instskip(SKIP_4) | instid1(VALU_DEP_3)
	v_lshlrev_b64 v[0:1], 2, v[0:1]
	s_add_i32 s9, s14, s9
	v_cmp_gt_i32_e64 s2, s4, v7
	s_lshl_b64 s[8:9], s[8:9], 2
	v_cmp_gt_i32_e32 vcc_lo, s4, v8
	v_add_co_u32 v7, s3, v0, s8
	s_delay_alu instid0(VALU_DEP_1)
	v_add_co_ci_u32_e64 v8, s3, s9, v1, s3
	s_mul_i32 s3, s19, s15
	s_mul_hi_u32 s8, s18, s15
	v_lshlrev_b64 v[0:1], 2, v[2:3]
	s_add_i32 s9, s8, s3
	s_mul_i32 s8, s18, s15
	v_lshlrev_b32_e32 v2, 2, v13
	s_lshl_b64 s[8:9], s[8:9], 2
	s_delay_alu instid0(VALU_DEP_2) | instid1(SALU_CYCLE_1)
	v_add_co_u32 v0, s3, v0, s8
	s_delay_alu instid0(VALU_DEP_1) | instskip(NEXT) | instid1(VALU_DEP_3)
	v_add_co_ci_u32_e64 v1, s3, s9, v1, s3
	v_add_co_u32 v2, s3, v7, v2
	s_delay_alu instid0(VALU_DEP_1) | instskip(NEXT) | instid1(VALU_DEP_4)
	v_add_co_ci_u32_e64 v3, s3, 0, v8, s3
	v_add_co_u32 v4, s3, v0, v4
	s_delay_alu instid0(VALU_DEP_1) | instskip(NEXT) | instid1(VALU_DEP_4)
	;; [unrolled: 3-line block ×3, first 2 shown]
	v_add_co_ci_u32_e64 v1, s3, s17, v3, s3
	v_add_co_u32 v2, s3, s10, v4
	s_delay_alu instid0(VALU_DEP_1)
	v_add_co_ci_u32_e64 v3, s3, s11, v7, s3
	v_dual_mov_b32 v4, 0 :: v_dual_mov_b32 v7, 0
	v_mov_b32_e32 v8, 0
	s_branch .LBB69_3
.LBB69_2:                               ;   in Loop: Header=BB69_3 Depth=1
	s_or_b32 exec_lo, exec_lo, s3
	s_waitcnt vmcnt(0)
	ds_store_b32 v15, v17
	s_waitcnt lgkmcnt(0)
	s_barrier
	buffer_gl0_inv
	ds_load_2addr_b32 v[32:33], v11 offset1:16
	ds_load_b128 v[16:19], v12
	ds_load_b128 v[20:23], v12 offset:512
	ds_load_2addr_b32 v[34:35], v11 offset0:32 offset1:48
	ds_load_2addr_b32 v[36:37], v11 offset0:64 offset1:80
	;; [unrolled: 1-line block ×3, first 2 shown]
	ds_load_b128 v[24:27], v12 offset:16
	ds_load_2addr_b32 v[40:41], v11 offset0:128 offset1:144
	ds_load_b128 v[28:31], v12 offset:528
	v_add_co_u32 v0, s3, v0, 32
	s_delay_alu instid0(VALU_DEP_1) | instskip(SKIP_1) | instid1(VALU_DEP_1)
	v_add_co_ci_u32_e64 v1, s3, 0, v1, s3
	v_add_co_u32 v2, s3, v2, 32
	v_add_co_ci_u32_e64 v3, s3, 0, v3, s3
	s_add_i32 s13, s13, 8
	s_delay_alu instid0(SALU_CYCLE_1) | instskip(SKIP_3) | instid1(VALU_DEP_1)
	s_cmp_ge_i32 s13, s5
	s_waitcnt lgkmcnt(6)
	v_fmac_f32_e32 v7, v32, v20
	s_waitcnt lgkmcnt(5)
	v_dual_fmac_f32 v10, v32, v16 :: v_dual_fmac_f32 v7, v34, v21
	v_fmac_f32_e32 v8, v33, v16
	s_waitcnt lgkmcnt(4)
	s_delay_alu instid0(VALU_DEP_2)
	v_dual_fmac_f32 v10, v34, v17 :: v_dual_fmac_f32 v7, v36, v22
	v_fmac_f32_e32 v4, v33, v20
	ds_load_2addr_b32 v[32:33], v11 offset0:160 offset1:176
	s_waitcnt lgkmcnt(4)
	v_dual_fmac_f32 v10, v36, v18 :: v_dual_fmac_f32 v7, v38, v23
	v_fmac_f32_e32 v8, v35, v17
	ds_load_2addr_b32 v[16:17], v11 offset0:192 offset1:208
	s_waitcnt lgkmcnt(2)
	v_dual_fmac_f32 v10, v38, v19 :: v_dual_fmac_f32 v7, v40, v28
	v_fmac_f32_e32 v8, v37, v18
	s_delay_alu instid0(VALU_DEP_2) | instskip(SKIP_1) | instid1(VALU_DEP_3)
	v_fmac_f32_e32 v10, v40, v24
	s_waitcnt lgkmcnt(1)
	v_fmac_f32_e32 v7, v32, v29
	v_fmac_f32_e32 v4, v35, v21
	ds_load_2addr_b32 v[20:21], v11 offset0:224 offset1:240
	v_fmac_f32_e32 v8, v39, v19
	v_fmac_f32_e32 v10, v32, v25
	s_waitcnt lgkmcnt(1)
	v_fmac_f32_e32 v7, v16, v30
	v_fmac_f32_e32 v4, v37, v22
	s_waitcnt lgkmcnt(0)
	v_fmac_f32_e32 v8, v41, v24
	v_fmac_f32_e32 v10, v16, v26
	s_barrier
	buffer_gl0_inv
	v_fmac_f32_e32 v8, v33, v25
	s_delay_alu instid0(VALU_DEP_1) | instskip(SKIP_2) | instid1(VALU_DEP_3)
	v_dual_fmac_f32 v8, v17, v26 :: v_dual_fmac_f32 v7, v20, v31
	v_fmac_f32_e32 v4, v39, v23
	v_fmac_f32_e32 v10, v20, v27
	;; [unrolled: 1-line block ×3, first 2 shown]
	s_delay_alu instid0(VALU_DEP_3) | instskip(NEXT) | instid1(VALU_DEP_1)
	v_fmac_f32_e32 v4, v41, v28
	v_fmac_f32_e32 v4, v33, v29
	s_delay_alu instid0(VALU_DEP_1) | instskip(NEXT) | instid1(VALU_DEP_1)
	v_fmac_f32_e32 v4, v17, v30
	v_fmac_f32_e32 v4, v21, v31
	s_cbranch_scc1 .LBB69_7
.LBB69_3:                               ; =>This Inner Loop Header: Depth=1
	v_add_nc_u32_e32 v16, s13, v13
	s_delay_alu instid0(VALU_DEP_1) | instskip(SKIP_1) | instid1(VALU_DEP_2)
	v_cmp_gt_i32_e64 s3, s5, v16
	v_mov_b32_e32 v16, 0
	s_and_b32 s8, vcc_lo, s3
	s_delay_alu instid0(SALU_CYCLE_1)
	s_and_saveexec_b32 s3, s8
	s_cbranch_execz .LBB69_5
; %bb.4:                                ;   in Loop: Header=BB69_3 Depth=1
	global_load_b32 v16, v[0:1], off
.LBB69_5:                               ;   in Loop: Header=BB69_3 Depth=1
	s_or_b32 exec_lo, exec_lo, s3
	v_add_nc_u32_e32 v17, s13, v9
	s_waitcnt vmcnt(0)
	ds_store_b32 v14, v16
	v_cmp_gt_i32_e64 s3, s5, v17
	v_mov_b32_e32 v17, 0
	s_delay_alu instid0(VALU_DEP_2) | instskip(NEXT) | instid1(SALU_CYCLE_1)
	s_and_b32 s8, s3, s2
	s_and_saveexec_b32 s3, s8
	s_cbranch_execz .LBB69_2
; %bb.6:                                ;   in Loop: Header=BB69_3 Depth=1
	global_load_b32 v17, v[2:3], off
	s_branch .LBB69_2
.LBB69_7:
	s_clause 0x2
	s_load_b32 s2, s[0:1], 0x50
	s_load_b64 s[8:9], s[0:1], 0x58
	s_load_b64 s[10:11], s[0:1], 0x48
	v_add_nc_u32_e32 v6, s12, v6
	s_load_b32 s3, s[0:1], 0x40
	v_add_nc_u32_e32 v0, s7, v5
	s_delay_alu instid0(VALU_DEP_1)
	v_cmp_le_i32_e64 s0, v6, v0
	v_cmp_gt_i32_e32 vcc_lo, s4, v0
	s_waitcnt lgkmcnt(0)
	v_mad_i64_i32 v[1:2], null, v6, s2, 0
	s_mul_i32 s1, s15, s9
	s_mul_hi_u32 s5, s15, s8
	s_mul_i32 s8, s15, s8
	s_add_i32 s9, s5, s1
	s_delay_alu instid0(SALU_CYCLE_1) | instskip(NEXT) | instid1(VALU_DEP_1)
	s_lshl_b64 s[8:9], s[8:9], 2
	v_lshlrev_b64 v[1:2], 2, v[1:2]
	s_add_u32 s5, s10, s8
	s_addc_u32 s7, s11, s9
	s_and_b32 s0, s0, vcc_lo
	s_delay_alu instid0(VALU_DEP_1) | instskip(NEXT) | instid1(VALU_DEP_1)
	v_add_co_u32 v5, s1, s5, v1
	v_add_co_ci_u32_e64 v9, s1, s7, v2, s1
	s_and_saveexec_b32 s1, s0
	s_cbranch_execz .LBB69_9
; %bb.8:
	v_ashrrev_i32_e32 v1, 31, v0
	s_delay_alu instid0(VALU_DEP_1) | instskip(NEXT) | instid1(VALU_DEP_1)
	v_lshlrev_b64 v[1:2], 2, v[0:1]
	v_add_co_u32 v1, s0, v5, v1
	s_delay_alu instid0(VALU_DEP_1) | instskip(SKIP_3) | instid1(VALU_DEP_1)
	v_add_co_ci_u32_e64 v2, s0, v9, v2, s0
	global_load_b32 v3, v[1:2], off
	s_waitcnt vmcnt(0)
	v_mul_f32_e32 v3, s3, v3
	v_fmac_f32_e32 v3, s6, v10
	global_store_b32 v[1:2], v3, off
.LBB69_9:
	s_or_b32 exec_lo, exec_lo, s1
	v_add_nc_u32_e32 v2, 16, v0
	s_delay_alu instid0(VALU_DEP_1) | instskip(SKIP_1) | instid1(VALU_DEP_1)
	v_cmp_le_i32_e64 s1, v6, v2
	v_cmp_gt_i32_e64 s0, s4, v2
	s_and_b32 s1, s1, s0
	s_delay_alu instid0(SALU_CYCLE_1)
	s_and_saveexec_b32 s4, s1
	s_cbranch_execz .LBB69_11
; %bb.10:
	v_ashrrev_i32_e32 v3, 31, v2
	s_delay_alu instid0(VALU_DEP_1) | instskip(NEXT) | instid1(VALU_DEP_1)
	v_lshlrev_b64 v[10:11], 2, v[2:3]
	v_add_co_u32 v10, s1, v5, v10
	s_delay_alu instid0(VALU_DEP_1) | instskip(SKIP_3) | instid1(VALU_DEP_1)
	v_add_co_ci_u32_e64 v11, s1, v9, v11, s1
	global_load_b32 v1, v[10:11], off
	s_waitcnt vmcnt(0)
	v_mul_f32_e32 v1, s3, v1
	v_fmac_f32_e32 v1, s6, v8
	global_store_b32 v[10:11], v1, off
.LBB69_11:
	s_or_b32 exec_lo, exec_lo, s4
	v_add_nc_u32_e32 v3, 16, v6
	s_delay_alu instid0(VALU_DEP_1) | instskip(SKIP_1) | instid1(VALU_DEP_2)
	v_mad_i64_i32 v[5:6], null, v3, s2, 0
	v_cmp_le_i32_e64 s1, v3, v0
	v_lshlrev_b64 v[5:6], 2, v[5:6]
	s_delay_alu instid0(VALU_DEP_1) | instskip(NEXT) | instid1(VALU_DEP_1)
	v_add_co_u32 v5, s2, s5, v5
	v_add_co_ci_u32_e64 v6, s2, s7, v6, s2
	s_delay_alu instid0(VALU_DEP_4) | instskip(NEXT) | instid1(SALU_CYCLE_1)
	s_and_b32 s2, s1, vcc_lo
	s_and_saveexec_b32 s1, s2
	s_cbranch_execz .LBB69_13
; %bb.12:
	v_ashrrev_i32_e32 v1, 31, v0
	s_delay_alu instid0(VALU_DEP_1) | instskip(NEXT) | instid1(VALU_DEP_1)
	v_lshlrev_b64 v[0:1], 2, v[0:1]
	v_add_co_u32 v0, vcc_lo, v5, v0
	s_delay_alu instid0(VALU_DEP_2) | instskip(SKIP_3) | instid1(VALU_DEP_1)
	v_add_co_ci_u32_e32 v1, vcc_lo, v6, v1, vcc_lo
	global_load_b32 v8, v[0:1], off
	s_waitcnt vmcnt(0)
	v_mul_f32_e32 v8, s3, v8
	v_fmac_f32_e32 v8, s6, v7
	global_store_b32 v[0:1], v8, off
.LBB69_13:
	s_or_b32 exec_lo, exec_lo, s1
	v_cmp_le_i32_e32 vcc_lo, v3, v2
	s_and_b32 s0, vcc_lo, s0
	s_delay_alu instid0(SALU_CYCLE_1)
	s_and_saveexec_b32 s1, s0
	s_cbranch_execz .LBB69_15
; %bb.14:
	v_ashrrev_i32_e32 v3, 31, v2
	s_delay_alu instid0(VALU_DEP_1) | instskip(NEXT) | instid1(VALU_DEP_1)
	v_lshlrev_b64 v[0:1], 2, v[2:3]
	v_add_co_u32 v0, vcc_lo, v5, v0
	s_delay_alu instid0(VALU_DEP_2) | instskip(SKIP_3) | instid1(VALU_DEP_1)
	v_add_co_ci_u32_e32 v1, vcc_lo, v6, v1, vcc_lo
	global_load_b32 v2, v[0:1], off
	s_waitcnt vmcnt(0)
	v_mul_f32_e32 v2, s3, v2
	v_fmac_f32_e32 v2, s6, v4
	global_store_b32 v[0:1], v2, off
.LBB69_15:
	s_nop 0
	s_sendmsg sendmsg(MSG_DEALLOC_VGPRS)
	s_endpgm
	.section	.rodata,"a",@progbits
	.p2align	6, 0x0
	.amdhsa_kernel _ZL34rocblas_syrkx_herkx_general_kernelIifLi16ELi32ELi8ELb0ELb0ELc67ELc76EKffEviT_T0_PT8_S1_lS4_S1_lS2_PT9_S1_li
		.amdhsa_group_segment_fixed_size 2048
		.amdhsa_private_segment_fixed_size 0
		.amdhsa_kernarg_size 100
		.amdhsa_user_sgpr_count 13
		.amdhsa_user_sgpr_dispatch_ptr 0
		.amdhsa_user_sgpr_queue_ptr 0
		.amdhsa_user_sgpr_kernarg_segment_ptr 1
		.amdhsa_user_sgpr_dispatch_id 0
		.amdhsa_user_sgpr_private_segment_size 0
		.amdhsa_wavefront_size32 1
		.amdhsa_uses_dynamic_stack 0
		.amdhsa_enable_private_segment 0
		.amdhsa_system_sgpr_workgroup_id_x 1
		.amdhsa_system_sgpr_workgroup_id_y 1
		.amdhsa_system_sgpr_workgroup_id_z 1
		.amdhsa_system_sgpr_workgroup_info 0
		.amdhsa_system_vgpr_workitem_id 1
		.amdhsa_next_free_vgpr 42
		.amdhsa_next_free_sgpr 20
		.amdhsa_reserve_vcc 1
		.amdhsa_float_round_mode_32 0
		.amdhsa_float_round_mode_16_64 0
		.amdhsa_float_denorm_mode_32 3
		.amdhsa_float_denorm_mode_16_64 3
		.amdhsa_dx10_clamp 1
		.amdhsa_ieee_mode 1
		.amdhsa_fp16_overflow 0
		.amdhsa_workgroup_processor_mode 1
		.amdhsa_memory_ordered 1
		.amdhsa_forward_progress 0
		.amdhsa_shared_vgpr_count 0
		.amdhsa_exception_fp_ieee_invalid_op 0
		.amdhsa_exception_fp_denorm_src 0
		.amdhsa_exception_fp_ieee_div_zero 0
		.amdhsa_exception_fp_ieee_overflow 0
		.amdhsa_exception_fp_ieee_underflow 0
		.amdhsa_exception_fp_ieee_inexact 0
		.amdhsa_exception_int_div_zero 0
	.end_amdhsa_kernel
	.section	.text._ZL34rocblas_syrkx_herkx_general_kernelIifLi16ELi32ELi8ELb0ELb0ELc67ELc76EKffEviT_T0_PT8_S1_lS4_S1_lS2_PT9_S1_li,"axG",@progbits,_ZL34rocblas_syrkx_herkx_general_kernelIifLi16ELi32ELi8ELb0ELb0ELc67ELc76EKffEviT_T0_PT8_S1_lS4_S1_lS2_PT9_S1_li,comdat
.Lfunc_end69:
	.size	_ZL34rocblas_syrkx_herkx_general_kernelIifLi16ELi32ELi8ELb0ELb0ELc67ELc76EKffEviT_T0_PT8_S1_lS4_S1_lS2_PT9_S1_li, .Lfunc_end69-_ZL34rocblas_syrkx_herkx_general_kernelIifLi16ELi32ELi8ELb0ELb0ELc67ELc76EKffEviT_T0_PT8_S1_lS4_S1_lS2_PT9_S1_li
                                        ; -- End function
	.section	.AMDGPU.csdata,"",@progbits
; Kernel info:
; codeLenInByte = 1464
; NumSgprs: 22
; NumVgprs: 42
; ScratchSize: 0
; MemoryBound: 0
; FloatMode: 240
; IeeeMode: 1
; LDSByteSize: 2048 bytes/workgroup (compile time only)
; SGPRBlocks: 2
; VGPRBlocks: 5
; NumSGPRsForWavesPerEU: 22
; NumVGPRsForWavesPerEU: 42
; Occupancy: 16
; WaveLimiterHint : 0
; COMPUTE_PGM_RSRC2:SCRATCH_EN: 0
; COMPUTE_PGM_RSRC2:USER_SGPR: 13
; COMPUTE_PGM_RSRC2:TRAP_HANDLER: 0
; COMPUTE_PGM_RSRC2:TGID_X_EN: 1
; COMPUTE_PGM_RSRC2:TGID_Y_EN: 1
; COMPUTE_PGM_RSRC2:TGID_Z_EN: 1
; COMPUTE_PGM_RSRC2:TIDIG_COMP_CNT: 1
	.section	.text._ZL34rocblas_syrkx_herkx_general_kernelIifLi16ELi32ELi8ELb0ELb0ELc78ELc76EKffEviT_T0_PT8_S1_lS4_S1_lS2_PT9_S1_li,"axG",@progbits,_ZL34rocblas_syrkx_herkx_general_kernelIifLi16ELi32ELi8ELb0ELb0ELc78ELc76EKffEviT_T0_PT8_S1_lS4_S1_lS2_PT9_S1_li,comdat
	.globl	_ZL34rocblas_syrkx_herkx_general_kernelIifLi16ELi32ELi8ELb0ELb0ELc78ELc76EKffEviT_T0_PT8_S1_lS4_S1_lS2_PT9_S1_li ; -- Begin function _ZL34rocblas_syrkx_herkx_general_kernelIifLi16ELi32ELi8ELb0ELb0ELc78ELc76EKffEviT_T0_PT8_S1_lS4_S1_lS2_PT9_S1_li
	.p2align	8
	.type	_ZL34rocblas_syrkx_herkx_general_kernelIifLi16ELi32ELi8ELb0ELb0ELc78ELc76EKffEviT_T0_PT8_S1_lS4_S1_lS2_PT9_S1_li,@function
_ZL34rocblas_syrkx_herkx_general_kernelIifLi16ELi32ELi8ELb0ELb0ELc78ELc76EKffEviT_T0_PT8_S1_lS4_S1_lS2_PT9_S1_li: ; @_ZL34rocblas_syrkx_herkx_general_kernelIifLi16ELi32ELi8ELb0ELb0ELc78ELc76EKffEviT_T0_PT8_S1_lS4_S1_lS2_PT9_S1_li
; %bb.0:
	s_load_b128 s[4:7], s[0:1], 0x0
	v_dual_mov_b32 v7, 0 :: v_dual_and_b32 v4, 0x3ff, v0
	v_bfe_u32 v6, v0, 10, 10
	v_dual_mov_b32 v12, 0 :: v_dual_mov_b32 v5, 0
	v_mov_b32_e32 v8, 0
	s_waitcnt lgkmcnt(0)
	s_lshl_b32 s7, s13, 5
	s_lshl_b32 s14, s14, 5
	s_mov_b32 s16, 0
	s_cmp_lt_i32 s5, 1
	s_cbranch_scc1 .LBB70_7
; %bb.1:
	s_clause 0x1
	s_load_b32 s12, s[0:1], 0x18
	s_load_b64 s[18:19], s[0:1], 0x10
	v_lshl_add_u32 v0, v6, 4, v4
	s_clause 0x1
	s_load_b128 s[8:11], s[0:1], 0x20
	s_load_b32 s20, s[0:1], 0x30
	v_and_b32_e32 v9, 7, v4
	s_load_b64 s[22:23], s[0:1], 0x38
	v_and_b32_e32 v5, 31, v0
	v_lshrrev_b32_e32 v1, 3, v0
	v_lshrrev_b32_e32 v10, 5, v0
	v_lshlrev_b32_e32 v2, 2, v9
	v_lshlrev_b32_e32 v14, 2, v4
	v_or_b32_e32 v3, s7, v5
	v_add_nc_u32_e32 v0, s14, v1
	v_lshlrev_b32_e32 v7, 2, v5
	v_lshl_or_b32 v1, v1, 5, v2
	v_lshl_add_u32 v15, v6, 5, 0x400
	v_cmp_gt_i32_e32 vcc_lo, s4, v3
	v_cmp_gt_i32_e64 s2, s4, v0
	v_lshl_or_b32 v11, v10, 7, v7
	s_waitcnt lgkmcnt(0)
	v_mad_i64_i32 v[2:3], null, v10, s12, 0
	v_add_nc_u32_e32 v7, s7, v5
	s_mul_i32 s3, s9, s15
	s_mul_hi_u32 s9, s8, s15
	v_mad_i64_i32 v[16:17], null, s20, v9, 0
	s_add_i32 s9, s9, s3
	s_delay_alu instid0(VALU_DEP_3)
	v_lshlrev_b64 v[2:3], 2, v[2:3]
	s_mul_i32 s8, s8, s15
	v_ashrrev_i32_e32 v8, 31, v7
	s_lshl_b64 s[8:9], s[8:9], 2
	v_add_nc_u32_e32 v13, 0x400, v1
	v_ashrrev_i32_e32 v1, 31, v0
	v_add_co_u32 v5, s3, v2, s8
	s_delay_alu instid0(VALU_DEP_1)
	v_add_co_ci_u32_e64 v12, s3, s9, v3, s3
	s_mul_i32 s3, s23, s15
	s_mul_hi_u32 s8, s22, s15
	v_lshlrev_b64 v[2:3], 2, v[16:17]
	s_add_i32 s9, s8, s3
	s_mul_i32 s8, s22, s15
	v_lshlrev_b64 v[7:8], 2, v[7:8]
	s_lshl_b64 s[8:9], s[8:9], 2
	v_lshlrev_b64 v[0:1], 2, v[0:1]
	v_add_co_u32 v2, s3, s8, v2
	s_delay_alu instid0(VALU_DEP_1) | instskip(NEXT) | instid1(VALU_DEP_4)
	v_add_co_ci_u32_e64 v3, s3, s9, v3, s3
	v_add_co_u32 v5, s3, v5, v7
	s_delay_alu instid0(VALU_DEP_1) | instskip(NEXT) | instid1(VALU_DEP_4)
	v_add_co_ci_u32_e64 v7, s3, v12, v8, s3
	;; [unrolled: 3-line block ×3, first 2 shown]
	v_add_co_u32 v0, s3, s18, v5
	s_delay_alu instid0(VALU_DEP_1) | instskip(SKIP_2) | instid1(VALU_DEP_1)
	v_add_co_ci_u32_e64 v1, s3, s19, v7, s3
	v_mov_b32_e32 v7, 0
	v_add_co_u32 v2, s3, s10, v2
	v_add_co_ci_u32_e64 v3, s3, s11, v3, s3
	v_dual_mov_b32 v5, 0 :: v_dual_mov_b32 v8, 0
	v_mov_b32_e32 v12, 0
	s_ashr_i32 s13, s12, 31
	s_ashr_i32 s21, s20, 31
	s_lshl_b64 s[8:9], s[12:13], 5
	s_lshl_b64 s[10:11], s[20:21], 5
	s_branch .LBB70_3
.LBB70_2:                               ;   in Loop: Header=BB70_3 Depth=1
	s_or_b32 exec_lo, exec_lo, s3
	s_waitcnt vmcnt(0)
	ds_store_b32 v13, v17
	s_waitcnt lgkmcnt(0)
	s_barrier
	buffer_gl0_inv
	ds_load_2addr_b32 v[32:33], v14 offset1:16
	ds_load_b128 v[16:19], v15
	ds_load_b128 v[20:23], v15 offset:512
	ds_load_2addr_b32 v[34:35], v14 offset0:32 offset1:48
	ds_load_2addr_b32 v[36:37], v14 offset0:64 offset1:80
	;; [unrolled: 1-line block ×3, first 2 shown]
	ds_load_b128 v[24:27], v15 offset:16
	ds_load_2addr_b32 v[40:41], v14 offset0:128 offset1:144
	ds_load_b128 v[28:31], v15 offset:528
	v_add_co_u32 v0, s3, v0, s8
	s_delay_alu instid0(VALU_DEP_1) | instskip(SKIP_1) | instid1(VALU_DEP_1)
	v_add_co_ci_u32_e64 v1, s3, s9, v1, s3
	v_add_co_u32 v2, s3, v2, s10
	v_add_co_ci_u32_e64 v3, s3, s11, v3, s3
	s_add_i32 s16, s16, 8
	s_delay_alu instid0(SALU_CYCLE_1)
	s_cmp_ge_i32 s16, s5
	s_waitcnt lgkmcnt(6)
	v_fmac_f32_e32 v7, v32, v20
	v_fmac_f32_e32 v12, v32, v16
	v_fmac_f32_e32 v5, v33, v20
	v_fmac_f32_e32 v8, v33, v16
	ds_load_2addr_b32 v[32:33], v14 offset0:160 offset1:176
	s_waitcnt lgkmcnt(6)
	v_fmac_f32_e32 v7, v34, v21
	v_fmac_f32_e32 v12, v34, v17
	v_fmac_f32_e32 v5, v35, v21
	v_fmac_f32_e32 v8, v35, v17
	ds_load_2addr_b32 v[16:17], v14 offset0:192 offset1:208
	;; [unrolled: 6-line block ×3, first 2 shown]
	s_waitcnt lgkmcnt(6)
	v_fmac_f32_e32 v7, v38, v23
	v_fmac_f32_e32 v12, v38, v19
	v_fmac_f32_e32 v5, v39, v23
	v_fmac_f32_e32 v8, v39, v19
	s_waitcnt lgkmcnt(0)
	v_fmac_f32_e32 v7, v40, v28
	s_barrier
	v_fmac_f32_e32 v5, v41, v28
	v_fmac_f32_e32 v12, v40, v24
	s_delay_alu instid0(VALU_DEP_3) | instskip(SKIP_4) | instid1(VALU_DEP_3)
	v_dual_fmac_f32 v8, v41, v24 :: v_dual_fmac_f32 v7, v32, v29
	buffer_gl0_inv
	v_fmac_f32_e32 v5, v33, v29
	v_fmac_f32_e32 v12, v32, v25
	v_dual_fmac_f32 v8, v33, v25 :: v_dual_fmac_f32 v7, v16, v30
	v_fmac_f32_e32 v5, v17, v30
	s_delay_alu instid0(VALU_DEP_3) | instskip(NEXT) | instid1(VALU_DEP_3)
	v_fmac_f32_e32 v12, v16, v26
	v_dual_fmac_f32 v8, v17, v26 :: v_dual_fmac_f32 v7, v20, v31
	s_delay_alu instid0(VALU_DEP_3) | instskip(NEXT) | instid1(VALU_DEP_3)
	v_fmac_f32_e32 v5, v21, v31
	v_fmac_f32_e32 v12, v20, v27
	s_delay_alu instid0(VALU_DEP_3)
	v_fmac_f32_e32 v8, v21, v27
	s_cbranch_scc1 .LBB70_7
.LBB70_3:                               ; =>This Inner Loop Header: Depth=1
	v_add_nc_u32_e32 v16, s16, v10
	s_delay_alu instid0(VALU_DEP_1) | instskip(SKIP_1) | instid1(VALU_DEP_2)
	v_cmp_gt_i32_e64 s3, s5, v16
	v_mov_b32_e32 v16, 0
	s_and_b32 s12, vcc_lo, s3
	s_delay_alu instid0(SALU_CYCLE_1)
	s_and_saveexec_b32 s3, s12
	s_cbranch_execz .LBB70_5
; %bb.4:                                ;   in Loop: Header=BB70_3 Depth=1
	global_load_b32 v16, v[0:1], off
.LBB70_5:                               ;   in Loop: Header=BB70_3 Depth=1
	s_or_b32 exec_lo, exec_lo, s3
	v_add_nc_u32_e32 v17, s16, v9
	s_waitcnt vmcnt(0)
	ds_store_b32 v11, v16
	v_cmp_gt_i32_e64 s3, s5, v17
	v_mov_b32_e32 v17, 0
	s_delay_alu instid0(VALU_DEP_2) | instskip(NEXT) | instid1(SALU_CYCLE_1)
	s_and_b32 s12, s3, s2
	s_and_saveexec_b32 s3, s12
	s_cbranch_execz .LBB70_2
; %bb.6:                                ;   in Loop: Header=BB70_3 Depth=1
	global_load_b32 v17, v[2:3], off
	s_branch .LBB70_2
.LBB70_7:
	s_clause 0x2
	s_load_b32 s2, s[0:1], 0x50
	s_load_b64 s[8:9], s[0:1], 0x58
	s_load_b64 s[10:11], s[0:1], 0x48
	v_add_nc_u32_e32 v6, s14, v6
	s_load_b32 s3, s[0:1], 0x40
	v_add_nc_u32_e32 v0, s7, v4
	s_delay_alu instid0(VALU_DEP_1)
	v_cmp_le_i32_e64 s0, v6, v0
	v_cmp_gt_i32_e32 vcc_lo, s4, v0
	s_waitcnt lgkmcnt(0)
	v_mad_i64_i32 v[1:2], null, v6, s2, 0
	s_mul_i32 s1, s15, s9
	s_mul_hi_u32 s5, s15, s8
	s_mul_i32 s8, s15, s8
	s_add_i32 s9, s5, s1
	s_delay_alu instid0(SALU_CYCLE_1) | instskip(NEXT) | instid1(VALU_DEP_1)
	s_lshl_b64 s[8:9], s[8:9], 2
	v_lshlrev_b64 v[1:2], 2, v[1:2]
	s_add_u32 s5, s10, s8
	s_addc_u32 s7, s11, s9
	s_and_b32 s0, s0, vcc_lo
	s_delay_alu instid0(VALU_DEP_1) | instskip(NEXT) | instid1(VALU_DEP_1)
	v_add_co_u32 v4, s1, s5, v1
	v_add_co_ci_u32_e64 v9, s1, s7, v2, s1
	s_and_saveexec_b32 s1, s0
	s_cbranch_execz .LBB70_9
; %bb.8:
	v_ashrrev_i32_e32 v1, 31, v0
	s_delay_alu instid0(VALU_DEP_1) | instskip(NEXT) | instid1(VALU_DEP_1)
	v_lshlrev_b64 v[1:2], 2, v[0:1]
	v_add_co_u32 v1, s0, v4, v1
	s_delay_alu instid0(VALU_DEP_1) | instskip(SKIP_3) | instid1(VALU_DEP_1)
	v_add_co_ci_u32_e64 v2, s0, v9, v2, s0
	global_load_b32 v3, v[1:2], off
	s_waitcnt vmcnt(0)
	v_mul_f32_e32 v3, s3, v3
	v_fmac_f32_e32 v3, s6, v12
	global_store_b32 v[1:2], v3, off
.LBB70_9:
	s_or_b32 exec_lo, exec_lo, s1
	v_add_nc_u32_e32 v2, 16, v0
	s_delay_alu instid0(VALU_DEP_1) | instskip(SKIP_1) | instid1(VALU_DEP_1)
	v_cmp_le_i32_e64 s1, v6, v2
	v_cmp_gt_i32_e64 s0, s4, v2
	s_and_b32 s1, s1, s0
	s_delay_alu instid0(SALU_CYCLE_1)
	s_and_saveexec_b32 s4, s1
	s_cbranch_execz .LBB70_11
; %bb.10:
	v_ashrrev_i32_e32 v3, 31, v2
	s_delay_alu instid0(VALU_DEP_1) | instskip(NEXT) | instid1(VALU_DEP_1)
	v_lshlrev_b64 v[10:11], 2, v[2:3]
	v_add_co_u32 v3, s1, v4, v10
	s_delay_alu instid0(VALU_DEP_1) | instskip(SKIP_3) | instid1(VALU_DEP_1)
	v_add_co_ci_u32_e64 v4, s1, v9, v11, s1
	global_load_b32 v1, v[3:4], off
	s_waitcnt vmcnt(0)
	v_mul_f32_e32 v1, s3, v1
	v_fmac_f32_e32 v1, s6, v8
	global_store_b32 v[3:4], v1, off
.LBB70_11:
	s_or_b32 exec_lo, exec_lo, s4
	v_add_nc_u32_e32 v3, 16, v6
	s_delay_alu instid0(VALU_DEP_1) | instskip(SKIP_1) | instid1(VALU_DEP_2)
	v_mad_i64_i32 v[8:9], null, v3, s2, 0
	v_cmp_le_i32_e64 s1, v3, v0
	v_lshlrev_b64 v[8:9], 2, v[8:9]
	s_delay_alu instid0(VALU_DEP_1) | instskip(NEXT) | instid1(VALU_DEP_1)
	v_add_co_u32 v4, s2, s5, v8
	v_add_co_ci_u32_e64 v6, s2, s7, v9, s2
	s_delay_alu instid0(VALU_DEP_4) | instskip(NEXT) | instid1(SALU_CYCLE_1)
	s_and_b32 s2, s1, vcc_lo
	s_and_saveexec_b32 s1, s2
	s_cbranch_execz .LBB70_13
; %bb.12:
	v_ashrrev_i32_e32 v1, 31, v0
	s_delay_alu instid0(VALU_DEP_1) | instskip(NEXT) | instid1(VALU_DEP_1)
	v_lshlrev_b64 v[0:1], 2, v[0:1]
	v_add_co_u32 v0, vcc_lo, v4, v0
	s_delay_alu instid0(VALU_DEP_2) | instskip(SKIP_3) | instid1(VALU_DEP_1)
	v_add_co_ci_u32_e32 v1, vcc_lo, v6, v1, vcc_lo
	global_load_b32 v8, v[0:1], off
	s_waitcnt vmcnt(0)
	v_mul_f32_e32 v8, s3, v8
	v_fmac_f32_e32 v8, s6, v7
	global_store_b32 v[0:1], v8, off
.LBB70_13:
	s_or_b32 exec_lo, exec_lo, s1
	v_cmp_le_i32_e32 vcc_lo, v3, v2
	s_and_b32 s0, vcc_lo, s0
	s_delay_alu instid0(SALU_CYCLE_1)
	s_and_saveexec_b32 s1, s0
	s_cbranch_execz .LBB70_15
; %bb.14:
	v_ashrrev_i32_e32 v3, 31, v2
	s_delay_alu instid0(VALU_DEP_1) | instskip(NEXT) | instid1(VALU_DEP_1)
	v_lshlrev_b64 v[0:1], 2, v[2:3]
	v_add_co_u32 v0, vcc_lo, v4, v0
	s_delay_alu instid0(VALU_DEP_2) | instskip(SKIP_3) | instid1(VALU_DEP_1)
	v_add_co_ci_u32_e32 v1, vcc_lo, v6, v1, vcc_lo
	global_load_b32 v2, v[0:1], off
	s_waitcnt vmcnt(0)
	v_mul_f32_e32 v2, s3, v2
	v_fmac_f32_e32 v2, s6, v5
	global_store_b32 v[0:1], v2, off
.LBB70_15:
	s_nop 0
	s_sendmsg sendmsg(MSG_DEALLOC_VGPRS)
	s_endpgm
	.section	.rodata,"a",@progbits
	.p2align	6, 0x0
	.amdhsa_kernel _ZL34rocblas_syrkx_herkx_general_kernelIifLi16ELi32ELi8ELb0ELb0ELc78ELc76EKffEviT_T0_PT8_S1_lS4_S1_lS2_PT9_S1_li
		.amdhsa_group_segment_fixed_size 2048
		.amdhsa_private_segment_fixed_size 0
		.amdhsa_kernarg_size 100
		.amdhsa_user_sgpr_count 13
		.amdhsa_user_sgpr_dispatch_ptr 0
		.amdhsa_user_sgpr_queue_ptr 0
		.amdhsa_user_sgpr_kernarg_segment_ptr 1
		.amdhsa_user_sgpr_dispatch_id 0
		.amdhsa_user_sgpr_private_segment_size 0
		.amdhsa_wavefront_size32 1
		.amdhsa_uses_dynamic_stack 0
		.amdhsa_enable_private_segment 0
		.amdhsa_system_sgpr_workgroup_id_x 1
		.amdhsa_system_sgpr_workgroup_id_y 1
		.amdhsa_system_sgpr_workgroup_id_z 1
		.amdhsa_system_sgpr_workgroup_info 0
		.amdhsa_system_vgpr_workitem_id 1
		.amdhsa_next_free_vgpr 42
		.amdhsa_next_free_sgpr 24
		.amdhsa_reserve_vcc 1
		.amdhsa_float_round_mode_32 0
		.amdhsa_float_round_mode_16_64 0
		.amdhsa_float_denorm_mode_32 3
		.amdhsa_float_denorm_mode_16_64 3
		.amdhsa_dx10_clamp 1
		.amdhsa_ieee_mode 1
		.amdhsa_fp16_overflow 0
		.amdhsa_workgroup_processor_mode 1
		.amdhsa_memory_ordered 1
		.amdhsa_forward_progress 0
		.amdhsa_shared_vgpr_count 0
		.amdhsa_exception_fp_ieee_invalid_op 0
		.amdhsa_exception_fp_denorm_src 0
		.amdhsa_exception_fp_ieee_div_zero 0
		.amdhsa_exception_fp_ieee_overflow 0
		.amdhsa_exception_fp_ieee_underflow 0
		.amdhsa_exception_fp_ieee_inexact 0
		.amdhsa_exception_int_div_zero 0
	.end_amdhsa_kernel
	.section	.text._ZL34rocblas_syrkx_herkx_general_kernelIifLi16ELi32ELi8ELb0ELb0ELc78ELc76EKffEviT_T0_PT8_S1_lS4_S1_lS2_PT9_S1_li,"axG",@progbits,_ZL34rocblas_syrkx_herkx_general_kernelIifLi16ELi32ELi8ELb0ELb0ELc78ELc76EKffEviT_T0_PT8_S1_lS4_S1_lS2_PT9_S1_li,comdat
.Lfunc_end70:
	.size	_ZL34rocblas_syrkx_herkx_general_kernelIifLi16ELi32ELi8ELb0ELb0ELc78ELc76EKffEviT_T0_PT8_S1_lS4_S1_lS2_PT9_S1_li, .Lfunc_end70-_ZL34rocblas_syrkx_herkx_general_kernelIifLi16ELi32ELi8ELb0ELb0ELc78ELc76EKffEviT_T0_PT8_S1_lS4_S1_lS2_PT9_S1_li
                                        ; -- End function
	.section	.AMDGPU.csdata,"",@progbits
; Kernel info:
; codeLenInByte = 1468
; NumSgprs: 26
; NumVgprs: 42
; ScratchSize: 0
; MemoryBound: 0
; FloatMode: 240
; IeeeMode: 1
; LDSByteSize: 2048 bytes/workgroup (compile time only)
; SGPRBlocks: 3
; VGPRBlocks: 5
; NumSGPRsForWavesPerEU: 26
; NumVGPRsForWavesPerEU: 42
; Occupancy: 16
; WaveLimiterHint : 0
; COMPUTE_PGM_RSRC2:SCRATCH_EN: 0
; COMPUTE_PGM_RSRC2:USER_SGPR: 13
; COMPUTE_PGM_RSRC2:TRAP_HANDLER: 0
; COMPUTE_PGM_RSRC2:TGID_X_EN: 1
; COMPUTE_PGM_RSRC2:TGID_Y_EN: 1
; COMPUTE_PGM_RSRC2:TGID_Z_EN: 1
; COMPUTE_PGM_RSRC2:TIDIG_COMP_CNT: 1
	.section	.text._ZL34rocblas_syrkx_herkx_general_kernelIifLi16ELi32ELi8ELb0ELb0ELc84ELc85EKffEviT_T0_PT8_S1_lS4_S1_lS2_PT9_S1_li,"axG",@progbits,_ZL34rocblas_syrkx_herkx_general_kernelIifLi16ELi32ELi8ELb0ELb0ELc84ELc85EKffEviT_T0_PT8_S1_lS4_S1_lS2_PT9_S1_li,comdat
	.globl	_ZL34rocblas_syrkx_herkx_general_kernelIifLi16ELi32ELi8ELb0ELb0ELc84ELc85EKffEviT_T0_PT8_S1_lS4_S1_lS2_PT9_S1_li ; -- Begin function _ZL34rocblas_syrkx_herkx_general_kernelIifLi16ELi32ELi8ELb0ELb0ELc84ELc85EKffEviT_T0_PT8_S1_lS4_S1_lS2_PT9_S1_li
	.p2align	8
	.type	_ZL34rocblas_syrkx_herkx_general_kernelIifLi16ELi32ELi8ELb0ELb0ELc84ELc85EKffEviT_T0_PT8_S1_lS4_S1_lS2_PT9_S1_li,@function
_ZL34rocblas_syrkx_herkx_general_kernelIifLi16ELi32ELi8ELb0ELb0ELc84ELc85EKffEviT_T0_PT8_S1_lS4_S1_lS2_PT9_S1_li: ; @_ZL34rocblas_syrkx_herkx_general_kernelIifLi16ELi32ELi8ELb0ELb0ELc84ELc85EKffEviT_T0_PT8_S1_lS4_S1_lS2_PT9_S1_li
; %bb.0:
	s_load_b128 s[4:7], s[0:1], 0x0
	v_dual_mov_b32 v10, 0 :: v_dual_and_b32 v5, 0x3ff, v0
	v_bfe_u32 v6, v0, 10, 10
	v_dual_mov_b32 v8, 0 :: v_dual_mov_b32 v7, 0
	v_mov_b32_e32 v4, 0
	s_waitcnt lgkmcnt(0)
	s_lshl_b32 s7, s13, 5
	s_lshl_b32 s12, s14, 5
	s_mov_b32 s13, 0
	s_cmp_lt_i32 s5, 1
	s_cbranch_scc1 .LBB71_7
; %bb.1:
	s_clause 0x1
	s_load_b32 s2, s[0:1], 0x18
	s_load_b64 s[16:17], s[0:1], 0x10
	v_lshl_add_u32 v0, v6, 4, v5
	s_clause 0x2
	s_load_b128 s[8:11], s[0:1], 0x20
	s_load_b32 s3, s[0:1], 0x30
	s_load_b64 s[18:19], s[0:1], 0x38
	v_and_b32_e32 v9, 7, v5
	v_lshlrev_b32_e32 v11, 2, v5
	v_lshl_add_u32 v12, v6, 5, 0x400
	v_and_b32_e32 v2, 31, v0
	v_lshrrev_b32_e32 v1, 3, v0
	v_lshlrev_b32_e32 v4, 2, v9
	v_lshrrev_b32_e32 v13, 5, v0
	s_delay_alu instid0(VALU_DEP_4) | instskip(NEXT) | instid1(VALU_DEP_4)
	v_add_nc_u32_e32 v3, s7, v2
	v_add_nc_u32_e32 v7, s12, v1
	s_delay_alu instid0(VALU_DEP_4) | instskip(SKIP_2) | instid1(VALU_DEP_3)
	v_lshl_or_b32 v10, v1, 5, v4
	v_or_b32_e32 v8, s7, v2
	v_lshlrev_b32_e32 v2, 2, v2
	v_dual_mov_b32 v10, 0 :: v_dual_add_nc_u32 v15, 0x400, v10
	s_waitcnt lgkmcnt(0)
	v_mad_i64_i32 v[0:1], null, s2, v3, 0
	s_mul_i32 s9, s9, s15
	s_mul_hi_u32 s14, s8, s15
	v_lshl_or_b32 v14, v13, 7, v2
	v_mad_i64_i32 v[2:3], null, s3, v7, 0
	s_mul_i32 s8, s8, s15
	s_delay_alu instid0(VALU_DEP_3) | instskip(SKIP_4) | instid1(VALU_DEP_3)
	v_lshlrev_b64 v[0:1], 2, v[0:1]
	s_add_i32 s9, s14, s9
	v_cmp_gt_i32_e64 s2, s4, v7
	s_lshl_b64 s[8:9], s[8:9], 2
	v_cmp_gt_i32_e32 vcc_lo, s4, v8
	v_add_co_u32 v7, s3, v0, s8
	s_delay_alu instid0(VALU_DEP_1)
	v_add_co_ci_u32_e64 v8, s3, s9, v1, s3
	s_mul_i32 s3, s19, s15
	s_mul_hi_u32 s8, s18, s15
	v_lshlrev_b64 v[0:1], 2, v[2:3]
	s_add_i32 s9, s8, s3
	s_mul_i32 s8, s18, s15
	v_lshlrev_b32_e32 v2, 2, v13
	s_lshl_b64 s[8:9], s[8:9], 2
	s_delay_alu instid0(VALU_DEP_2) | instid1(SALU_CYCLE_1)
	v_add_co_u32 v0, s3, v0, s8
	s_delay_alu instid0(VALU_DEP_1) | instskip(NEXT) | instid1(VALU_DEP_3)
	v_add_co_ci_u32_e64 v1, s3, s9, v1, s3
	v_add_co_u32 v2, s3, v7, v2
	s_delay_alu instid0(VALU_DEP_1) | instskip(NEXT) | instid1(VALU_DEP_4)
	v_add_co_ci_u32_e64 v3, s3, 0, v8, s3
	v_add_co_u32 v4, s3, v0, v4
	s_delay_alu instid0(VALU_DEP_1) | instskip(NEXT) | instid1(VALU_DEP_4)
	;; [unrolled: 3-line block ×3, first 2 shown]
	v_add_co_ci_u32_e64 v1, s3, s17, v3, s3
	v_add_co_u32 v2, s3, s10, v4
	s_delay_alu instid0(VALU_DEP_1)
	v_add_co_ci_u32_e64 v3, s3, s11, v7, s3
	v_dual_mov_b32 v4, 0 :: v_dual_mov_b32 v7, 0
	v_mov_b32_e32 v8, 0
	s_branch .LBB71_3
.LBB71_2:                               ;   in Loop: Header=BB71_3 Depth=1
	s_or_b32 exec_lo, exec_lo, s3
	s_waitcnt vmcnt(0)
	ds_store_b32 v15, v17
	s_waitcnt lgkmcnt(0)
	s_barrier
	buffer_gl0_inv
	ds_load_2addr_b32 v[32:33], v11 offset1:16
	ds_load_b128 v[16:19], v12
	ds_load_b128 v[20:23], v12 offset:512
	ds_load_2addr_b32 v[34:35], v11 offset0:32 offset1:48
	ds_load_2addr_b32 v[36:37], v11 offset0:64 offset1:80
	;; [unrolled: 1-line block ×3, first 2 shown]
	ds_load_b128 v[24:27], v12 offset:16
	ds_load_2addr_b32 v[40:41], v11 offset0:128 offset1:144
	ds_load_b128 v[28:31], v12 offset:528
	v_add_co_u32 v0, s3, v0, 32
	s_delay_alu instid0(VALU_DEP_1) | instskip(SKIP_1) | instid1(VALU_DEP_1)
	v_add_co_ci_u32_e64 v1, s3, 0, v1, s3
	v_add_co_u32 v2, s3, v2, 32
	v_add_co_ci_u32_e64 v3, s3, 0, v3, s3
	s_add_i32 s13, s13, 8
	s_delay_alu instid0(SALU_CYCLE_1) | instskip(SKIP_3) | instid1(VALU_DEP_1)
	s_cmp_ge_i32 s13, s5
	s_waitcnt lgkmcnt(6)
	v_fmac_f32_e32 v7, v32, v20
	s_waitcnt lgkmcnt(5)
	v_dual_fmac_f32 v10, v32, v16 :: v_dual_fmac_f32 v7, v34, v21
	v_fmac_f32_e32 v8, v33, v16
	s_waitcnt lgkmcnt(4)
	s_delay_alu instid0(VALU_DEP_2)
	v_dual_fmac_f32 v10, v34, v17 :: v_dual_fmac_f32 v7, v36, v22
	v_fmac_f32_e32 v4, v33, v20
	ds_load_2addr_b32 v[32:33], v11 offset0:160 offset1:176
	s_waitcnt lgkmcnt(4)
	v_dual_fmac_f32 v10, v36, v18 :: v_dual_fmac_f32 v7, v38, v23
	v_fmac_f32_e32 v8, v35, v17
	ds_load_2addr_b32 v[16:17], v11 offset0:192 offset1:208
	s_waitcnt lgkmcnt(2)
	v_dual_fmac_f32 v10, v38, v19 :: v_dual_fmac_f32 v7, v40, v28
	v_fmac_f32_e32 v8, v37, v18
	s_delay_alu instid0(VALU_DEP_2) | instskip(SKIP_1) | instid1(VALU_DEP_3)
	v_fmac_f32_e32 v10, v40, v24
	s_waitcnt lgkmcnt(1)
	v_fmac_f32_e32 v7, v32, v29
	v_fmac_f32_e32 v4, v35, v21
	ds_load_2addr_b32 v[20:21], v11 offset0:224 offset1:240
	v_fmac_f32_e32 v8, v39, v19
	v_fmac_f32_e32 v10, v32, v25
	s_waitcnt lgkmcnt(1)
	v_fmac_f32_e32 v7, v16, v30
	v_fmac_f32_e32 v4, v37, v22
	s_waitcnt lgkmcnt(0)
	v_fmac_f32_e32 v8, v41, v24
	v_fmac_f32_e32 v10, v16, v26
	s_barrier
	buffer_gl0_inv
	v_fmac_f32_e32 v8, v33, v25
	s_delay_alu instid0(VALU_DEP_1) | instskip(SKIP_2) | instid1(VALU_DEP_3)
	v_dual_fmac_f32 v8, v17, v26 :: v_dual_fmac_f32 v7, v20, v31
	v_fmac_f32_e32 v4, v39, v23
	v_fmac_f32_e32 v10, v20, v27
	;; [unrolled: 1-line block ×3, first 2 shown]
	s_delay_alu instid0(VALU_DEP_3) | instskip(NEXT) | instid1(VALU_DEP_1)
	v_fmac_f32_e32 v4, v41, v28
	v_fmac_f32_e32 v4, v33, v29
	s_delay_alu instid0(VALU_DEP_1) | instskip(NEXT) | instid1(VALU_DEP_1)
	v_fmac_f32_e32 v4, v17, v30
	v_fmac_f32_e32 v4, v21, v31
	s_cbranch_scc1 .LBB71_7
.LBB71_3:                               ; =>This Inner Loop Header: Depth=1
	v_add_nc_u32_e32 v16, s13, v13
	s_delay_alu instid0(VALU_DEP_1) | instskip(SKIP_1) | instid1(VALU_DEP_2)
	v_cmp_gt_i32_e64 s3, s5, v16
	v_mov_b32_e32 v16, 0
	s_and_b32 s8, vcc_lo, s3
	s_delay_alu instid0(SALU_CYCLE_1)
	s_and_saveexec_b32 s3, s8
	s_cbranch_execz .LBB71_5
; %bb.4:                                ;   in Loop: Header=BB71_3 Depth=1
	global_load_b32 v16, v[0:1], off
.LBB71_5:                               ;   in Loop: Header=BB71_3 Depth=1
	s_or_b32 exec_lo, exec_lo, s3
	v_add_nc_u32_e32 v17, s13, v9
	s_waitcnt vmcnt(0)
	ds_store_b32 v14, v16
	v_cmp_gt_i32_e64 s3, s5, v17
	v_mov_b32_e32 v17, 0
	s_delay_alu instid0(VALU_DEP_2) | instskip(NEXT) | instid1(SALU_CYCLE_1)
	s_and_b32 s8, s3, s2
	s_and_saveexec_b32 s3, s8
	s_cbranch_execz .LBB71_2
; %bb.6:                                ;   in Loop: Header=BB71_3 Depth=1
	global_load_b32 v17, v[2:3], off
	s_branch .LBB71_2
.LBB71_7:
	s_clause 0x2
	s_load_b32 s3, s[0:1], 0x50
	s_load_b64 s[8:9], s[0:1], 0x58
	s_load_b64 s[10:11], s[0:1], 0x48
	v_add_nc_u32_e32 v6, s12, v6
	s_load_b32 s2, s[0:1], 0x40
	v_add_nc_u32_e32 v0, s7, v5
	s_delay_alu instid0(VALU_DEP_2)
	v_cmp_gt_i32_e32 vcc_lo, s4, v6
	s_waitcnt lgkmcnt(0)
	v_mad_i64_i32 v[1:2], null, v6, s3, 0
	s_mul_i32 s1, s15, s9
	s_mul_hi_u32 s5, s15, s8
	s_mul_i32 s0, s15, s8
	s_add_i32 s1, s5, s1
	s_delay_alu instid0(SALU_CYCLE_1) | instskip(NEXT) | instid1(VALU_DEP_1)
	s_lshl_b64 s[8:9], s[0:1], 2
	v_lshlrev_b64 v[1:2], 2, v[1:2]
	s_add_u32 s5, s10, s8
	v_cmp_le_i32_e64 s0, v0, v6
	s_addc_u32 s7, s11, s9
	s_delay_alu instid0(VALU_DEP_2) | instskip(NEXT) | instid1(VALU_DEP_1)
	v_add_co_u32 v5, s1, s5, v1
	v_add_co_ci_u32_e64 v9, s1, s7, v2, s1
	s_delay_alu instid0(VALU_DEP_3) | instskip(NEXT) | instid1(SALU_CYCLE_1)
	s_and_b32 s0, vcc_lo, s0
	s_and_saveexec_b32 s1, s0
	s_cbranch_execz .LBB71_9
; %bb.8:
	v_ashrrev_i32_e32 v1, 31, v0
	s_delay_alu instid0(VALU_DEP_1) | instskip(NEXT) | instid1(VALU_DEP_1)
	v_lshlrev_b64 v[1:2], 2, v[0:1]
	v_add_co_u32 v1, s0, v5, v1
	s_delay_alu instid0(VALU_DEP_1) | instskip(SKIP_3) | instid1(VALU_DEP_1)
	v_add_co_ci_u32_e64 v2, s0, v9, v2, s0
	global_load_b32 v3, v[1:2], off
	s_waitcnt vmcnt(0)
	v_mul_f32_e32 v3, s2, v3
	v_fmac_f32_e32 v3, s6, v10
	global_store_b32 v[1:2], v3, off
.LBB71_9:
	s_or_b32 exec_lo, exec_lo, s1
	v_add_nc_u32_e32 v2, 16, v0
	s_delay_alu instid0(VALU_DEP_1) | instskip(NEXT) | instid1(VALU_DEP_1)
	v_cmp_le_i32_e64 s0, v2, v6
	s_and_b32 s1, vcc_lo, s0
	s_delay_alu instid0(SALU_CYCLE_1)
	s_and_saveexec_b32 s0, s1
	s_cbranch_execz .LBB71_11
; %bb.10:
	v_ashrrev_i32_e32 v3, 31, v2
	s_delay_alu instid0(VALU_DEP_1) | instskip(NEXT) | instid1(VALU_DEP_1)
	v_lshlrev_b64 v[10:11], 2, v[2:3]
	v_add_co_u32 v10, vcc_lo, v5, v10
	s_delay_alu instid0(VALU_DEP_2) | instskip(SKIP_3) | instid1(VALU_DEP_1)
	v_add_co_ci_u32_e32 v11, vcc_lo, v9, v11, vcc_lo
	global_load_b32 v1, v[10:11], off
	s_waitcnt vmcnt(0)
	v_mul_f32_e32 v1, s2, v1
	v_fmac_f32_e32 v1, s6, v8
	global_store_b32 v[10:11], v1, off
.LBB71_11:
	s_or_b32 exec_lo, exec_lo, s0
	v_add_nc_u32_e32 v3, 16, v6
	s_delay_alu instid0(VALU_DEP_1) | instskip(SKIP_2) | instid1(VALU_DEP_1)
	v_mad_i64_i32 v[5:6], null, v3, s3, 0
	v_cmp_gt_i32_e32 vcc_lo, s4, v3
	v_cmp_le_i32_e64 s0, v0, v3
	s_and_b32 s0, vcc_lo, s0
	s_delay_alu instid0(VALU_DEP_3) | instskip(NEXT) | instid1(VALU_DEP_1)
	v_lshlrev_b64 v[5:6], 2, v[5:6]
	v_add_co_u32 v5, s1, s5, v5
	s_delay_alu instid0(VALU_DEP_1)
	v_add_co_ci_u32_e64 v6, s1, s7, v6, s1
	s_and_saveexec_b32 s1, s0
	s_cbranch_execz .LBB71_13
; %bb.12:
	v_ashrrev_i32_e32 v1, 31, v0
	s_delay_alu instid0(VALU_DEP_1) | instskip(NEXT) | instid1(VALU_DEP_1)
	v_lshlrev_b64 v[0:1], 2, v[0:1]
	v_add_co_u32 v0, s0, v5, v0
	s_delay_alu instid0(VALU_DEP_1) | instskip(SKIP_3) | instid1(VALU_DEP_1)
	v_add_co_ci_u32_e64 v1, s0, v6, v1, s0
	global_load_b32 v8, v[0:1], off
	s_waitcnt vmcnt(0)
	v_mul_f32_e32 v8, s2, v8
	v_fmac_f32_e32 v8, s6, v7
	global_store_b32 v[0:1], v8, off
.LBB71_13:
	s_or_b32 exec_lo, exec_lo, s1
	v_cmp_le_i32_e64 s0, v2, v3
	s_delay_alu instid0(VALU_DEP_1) | instskip(NEXT) | instid1(SALU_CYCLE_1)
	s_and_b32 s0, vcc_lo, s0
	s_and_saveexec_b32 s1, s0
	s_cbranch_execz .LBB71_15
; %bb.14:
	v_ashrrev_i32_e32 v3, 31, v2
	s_delay_alu instid0(VALU_DEP_1) | instskip(NEXT) | instid1(VALU_DEP_1)
	v_lshlrev_b64 v[0:1], 2, v[2:3]
	v_add_co_u32 v0, vcc_lo, v5, v0
	s_delay_alu instid0(VALU_DEP_2) | instskip(SKIP_3) | instid1(VALU_DEP_1)
	v_add_co_ci_u32_e32 v1, vcc_lo, v6, v1, vcc_lo
	global_load_b32 v2, v[0:1], off
	s_waitcnt vmcnt(0)
	v_mul_f32_e32 v2, s2, v2
	v_fmac_f32_e32 v2, s6, v4
	global_store_b32 v[0:1], v2, off
.LBB71_15:
	s_nop 0
	s_sendmsg sendmsg(MSG_DEALLOC_VGPRS)
	s_endpgm
	.section	.rodata,"a",@progbits
	.p2align	6, 0x0
	.amdhsa_kernel _ZL34rocblas_syrkx_herkx_general_kernelIifLi16ELi32ELi8ELb0ELb0ELc84ELc85EKffEviT_T0_PT8_S1_lS4_S1_lS2_PT9_S1_li
		.amdhsa_group_segment_fixed_size 2048
		.amdhsa_private_segment_fixed_size 0
		.amdhsa_kernarg_size 100
		.amdhsa_user_sgpr_count 13
		.amdhsa_user_sgpr_dispatch_ptr 0
		.amdhsa_user_sgpr_queue_ptr 0
		.amdhsa_user_sgpr_kernarg_segment_ptr 1
		.amdhsa_user_sgpr_dispatch_id 0
		.amdhsa_user_sgpr_private_segment_size 0
		.amdhsa_wavefront_size32 1
		.amdhsa_uses_dynamic_stack 0
		.amdhsa_enable_private_segment 0
		.amdhsa_system_sgpr_workgroup_id_x 1
		.amdhsa_system_sgpr_workgroup_id_y 1
		.amdhsa_system_sgpr_workgroup_id_z 1
		.amdhsa_system_sgpr_workgroup_info 0
		.amdhsa_system_vgpr_workitem_id 1
		.amdhsa_next_free_vgpr 42
		.amdhsa_next_free_sgpr 20
		.amdhsa_reserve_vcc 1
		.amdhsa_float_round_mode_32 0
		.amdhsa_float_round_mode_16_64 0
		.amdhsa_float_denorm_mode_32 3
		.amdhsa_float_denorm_mode_16_64 3
		.amdhsa_dx10_clamp 1
		.amdhsa_ieee_mode 1
		.amdhsa_fp16_overflow 0
		.amdhsa_workgroup_processor_mode 1
		.amdhsa_memory_ordered 1
		.amdhsa_forward_progress 0
		.amdhsa_shared_vgpr_count 0
		.amdhsa_exception_fp_ieee_invalid_op 0
		.amdhsa_exception_fp_denorm_src 0
		.amdhsa_exception_fp_ieee_div_zero 0
		.amdhsa_exception_fp_ieee_overflow 0
		.amdhsa_exception_fp_ieee_underflow 0
		.amdhsa_exception_fp_ieee_inexact 0
		.amdhsa_exception_int_div_zero 0
	.end_amdhsa_kernel
	.section	.text._ZL34rocblas_syrkx_herkx_general_kernelIifLi16ELi32ELi8ELb0ELb0ELc84ELc85EKffEviT_T0_PT8_S1_lS4_S1_lS2_PT9_S1_li,"axG",@progbits,_ZL34rocblas_syrkx_herkx_general_kernelIifLi16ELi32ELi8ELb0ELb0ELc84ELc85EKffEviT_T0_PT8_S1_lS4_S1_lS2_PT9_S1_li,comdat
.Lfunc_end71:
	.size	_ZL34rocblas_syrkx_herkx_general_kernelIifLi16ELi32ELi8ELb0ELb0ELc84ELc85EKffEviT_T0_PT8_S1_lS4_S1_lS2_PT9_S1_li, .Lfunc_end71-_ZL34rocblas_syrkx_herkx_general_kernelIifLi16ELi32ELi8ELb0ELb0ELc84ELc85EKffEviT_T0_PT8_S1_lS4_S1_lS2_PT9_S1_li
                                        ; -- End function
	.section	.AMDGPU.csdata,"",@progbits
; Kernel info:
; codeLenInByte = 1468
; NumSgprs: 22
; NumVgprs: 42
; ScratchSize: 0
; MemoryBound: 0
; FloatMode: 240
; IeeeMode: 1
; LDSByteSize: 2048 bytes/workgroup (compile time only)
; SGPRBlocks: 2
; VGPRBlocks: 5
; NumSGPRsForWavesPerEU: 22
; NumVGPRsForWavesPerEU: 42
; Occupancy: 16
; WaveLimiterHint : 0
; COMPUTE_PGM_RSRC2:SCRATCH_EN: 0
; COMPUTE_PGM_RSRC2:USER_SGPR: 13
; COMPUTE_PGM_RSRC2:TRAP_HANDLER: 0
; COMPUTE_PGM_RSRC2:TGID_X_EN: 1
; COMPUTE_PGM_RSRC2:TGID_Y_EN: 1
; COMPUTE_PGM_RSRC2:TGID_Z_EN: 1
; COMPUTE_PGM_RSRC2:TIDIG_COMP_CNT: 1
	.section	.text._ZL34rocblas_syrkx_herkx_general_kernelIifLi16ELi32ELi8ELb0ELb0ELc67ELc85EKffEviT_T0_PT8_S1_lS4_S1_lS2_PT9_S1_li,"axG",@progbits,_ZL34rocblas_syrkx_herkx_general_kernelIifLi16ELi32ELi8ELb0ELb0ELc67ELc85EKffEviT_T0_PT8_S1_lS4_S1_lS2_PT9_S1_li,comdat
	.globl	_ZL34rocblas_syrkx_herkx_general_kernelIifLi16ELi32ELi8ELb0ELb0ELc67ELc85EKffEviT_T0_PT8_S1_lS4_S1_lS2_PT9_S1_li ; -- Begin function _ZL34rocblas_syrkx_herkx_general_kernelIifLi16ELi32ELi8ELb0ELb0ELc67ELc85EKffEviT_T0_PT8_S1_lS4_S1_lS2_PT9_S1_li
	.p2align	8
	.type	_ZL34rocblas_syrkx_herkx_general_kernelIifLi16ELi32ELi8ELb0ELb0ELc67ELc85EKffEviT_T0_PT8_S1_lS4_S1_lS2_PT9_S1_li,@function
_ZL34rocblas_syrkx_herkx_general_kernelIifLi16ELi32ELi8ELb0ELb0ELc67ELc85EKffEviT_T0_PT8_S1_lS4_S1_lS2_PT9_S1_li: ; @_ZL34rocblas_syrkx_herkx_general_kernelIifLi16ELi32ELi8ELb0ELb0ELc67ELc85EKffEviT_T0_PT8_S1_lS4_S1_lS2_PT9_S1_li
; %bb.0:
	s_load_b128 s[4:7], s[0:1], 0x0
	v_dual_mov_b32 v10, 0 :: v_dual_and_b32 v5, 0x3ff, v0
	v_bfe_u32 v6, v0, 10, 10
	v_dual_mov_b32 v8, 0 :: v_dual_mov_b32 v7, 0
	v_mov_b32_e32 v4, 0
	s_waitcnt lgkmcnt(0)
	s_lshl_b32 s7, s13, 5
	s_lshl_b32 s12, s14, 5
	s_mov_b32 s13, 0
	s_cmp_lt_i32 s5, 1
	s_cbranch_scc1 .LBB72_7
; %bb.1:
	s_clause 0x1
	s_load_b32 s2, s[0:1], 0x18
	s_load_b64 s[16:17], s[0:1], 0x10
	v_lshl_add_u32 v0, v6, 4, v5
	s_clause 0x2
	s_load_b128 s[8:11], s[0:1], 0x20
	s_load_b32 s3, s[0:1], 0x30
	s_load_b64 s[18:19], s[0:1], 0x38
	v_and_b32_e32 v9, 7, v5
	v_lshlrev_b32_e32 v11, 2, v5
	v_lshl_add_u32 v12, v6, 5, 0x400
	v_and_b32_e32 v2, 31, v0
	v_lshrrev_b32_e32 v1, 3, v0
	v_lshlrev_b32_e32 v4, 2, v9
	v_lshrrev_b32_e32 v13, 5, v0
	s_delay_alu instid0(VALU_DEP_4) | instskip(NEXT) | instid1(VALU_DEP_4)
	v_add_nc_u32_e32 v3, s7, v2
	v_add_nc_u32_e32 v7, s12, v1
	s_delay_alu instid0(VALU_DEP_4) | instskip(SKIP_2) | instid1(VALU_DEP_3)
	v_lshl_or_b32 v10, v1, 5, v4
	v_or_b32_e32 v8, s7, v2
	v_lshlrev_b32_e32 v2, 2, v2
	v_dual_mov_b32 v10, 0 :: v_dual_add_nc_u32 v15, 0x400, v10
	s_waitcnt lgkmcnt(0)
	v_mad_i64_i32 v[0:1], null, s2, v3, 0
	s_mul_i32 s9, s9, s15
	s_mul_hi_u32 s14, s8, s15
	v_lshl_or_b32 v14, v13, 7, v2
	v_mad_i64_i32 v[2:3], null, s3, v7, 0
	s_mul_i32 s8, s8, s15
	s_delay_alu instid0(VALU_DEP_3) | instskip(SKIP_4) | instid1(VALU_DEP_3)
	v_lshlrev_b64 v[0:1], 2, v[0:1]
	s_add_i32 s9, s14, s9
	v_cmp_gt_i32_e64 s2, s4, v7
	s_lshl_b64 s[8:9], s[8:9], 2
	v_cmp_gt_i32_e32 vcc_lo, s4, v8
	v_add_co_u32 v7, s3, v0, s8
	s_delay_alu instid0(VALU_DEP_1)
	v_add_co_ci_u32_e64 v8, s3, s9, v1, s3
	s_mul_i32 s3, s19, s15
	s_mul_hi_u32 s8, s18, s15
	v_lshlrev_b64 v[0:1], 2, v[2:3]
	s_add_i32 s9, s8, s3
	s_mul_i32 s8, s18, s15
	v_lshlrev_b32_e32 v2, 2, v13
	s_lshl_b64 s[8:9], s[8:9], 2
	s_delay_alu instid0(VALU_DEP_2) | instid1(SALU_CYCLE_1)
	v_add_co_u32 v0, s3, v0, s8
	s_delay_alu instid0(VALU_DEP_1) | instskip(NEXT) | instid1(VALU_DEP_3)
	v_add_co_ci_u32_e64 v1, s3, s9, v1, s3
	v_add_co_u32 v2, s3, v7, v2
	s_delay_alu instid0(VALU_DEP_1) | instskip(NEXT) | instid1(VALU_DEP_4)
	v_add_co_ci_u32_e64 v3, s3, 0, v8, s3
	v_add_co_u32 v4, s3, v0, v4
	s_delay_alu instid0(VALU_DEP_1) | instskip(NEXT) | instid1(VALU_DEP_4)
	;; [unrolled: 3-line block ×3, first 2 shown]
	v_add_co_ci_u32_e64 v1, s3, s17, v3, s3
	v_add_co_u32 v2, s3, s10, v4
	s_delay_alu instid0(VALU_DEP_1)
	v_add_co_ci_u32_e64 v3, s3, s11, v7, s3
	v_dual_mov_b32 v4, 0 :: v_dual_mov_b32 v7, 0
	v_mov_b32_e32 v8, 0
	s_branch .LBB72_3
.LBB72_2:                               ;   in Loop: Header=BB72_3 Depth=1
	s_or_b32 exec_lo, exec_lo, s3
	s_waitcnt vmcnt(0)
	ds_store_b32 v15, v17
	s_waitcnt lgkmcnt(0)
	s_barrier
	buffer_gl0_inv
	ds_load_2addr_b32 v[32:33], v11 offset1:16
	ds_load_b128 v[16:19], v12
	ds_load_b128 v[20:23], v12 offset:512
	ds_load_2addr_b32 v[34:35], v11 offset0:32 offset1:48
	ds_load_2addr_b32 v[36:37], v11 offset0:64 offset1:80
	;; [unrolled: 1-line block ×3, first 2 shown]
	ds_load_b128 v[24:27], v12 offset:16
	ds_load_2addr_b32 v[40:41], v11 offset0:128 offset1:144
	ds_load_b128 v[28:31], v12 offset:528
	v_add_co_u32 v0, s3, v0, 32
	s_delay_alu instid0(VALU_DEP_1) | instskip(SKIP_1) | instid1(VALU_DEP_1)
	v_add_co_ci_u32_e64 v1, s3, 0, v1, s3
	v_add_co_u32 v2, s3, v2, 32
	v_add_co_ci_u32_e64 v3, s3, 0, v3, s3
	s_add_i32 s13, s13, 8
	s_delay_alu instid0(SALU_CYCLE_1) | instskip(SKIP_3) | instid1(VALU_DEP_1)
	s_cmp_ge_i32 s13, s5
	s_waitcnt lgkmcnt(6)
	v_fmac_f32_e32 v7, v32, v20
	s_waitcnt lgkmcnt(5)
	v_dual_fmac_f32 v10, v32, v16 :: v_dual_fmac_f32 v7, v34, v21
	v_fmac_f32_e32 v8, v33, v16
	s_waitcnt lgkmcnt(4)
	s_delay_alu instid0(VALU_DEP_2)
	v_dual_fmac_f32 v10, v34, v17 :: v_dual_fmac_f32 v7, v36, v22
	v_fmac_f32_e32 v4, v33, v20
	ds_load_2addr_b32 v[32:33], v11 offset0:160 offset1:176
	s_waitcnt lgkmcnt(4)
	v_dual_fmac_f32 v10, v36, v18 :: v_dual_fmac_f32 v7, v38, v23
	v_fmac_f32_e32 v8, v35, v17
	ds_load_2addr_b32 v[16:17], v11 offset0:192 offset1:208
	s_waitcnt lgkmcnt(2)
	v_dual_fmac_f32 v10, v38, v19 :: v_dual_fmac_f32 v7, v40, v28
	v_fmac_f32_e32 v8, v37, v18
	s_delay_alu instid0(VALU_DEP_2) | instskip(SKIP_1) | instid1(VALU_DEP_3)
	v_fmac_f32_e32 v10, v40, v24
	s_waitcnt lgkmcnt(1)
	v_fmac_f32_e32 v7, v32, v29
	v_fmac_f32_e32 v4, v35, v21
	ds_load_2addr_b32 v[20:21], v11 offset0:224 offset1:240
	v_fmac_f32_e32 v8, v39, v19
	v_fmac_f32_e32 v10, v32, v25
	s_waitcnt lgkmcnt(1)
	v_fmac_f32_e32 v7, v16, v30
	v_fmac_f32_e32 v4, v37, v22
	s_waitcnt lgkmcnt(0)
	v_fmac_f32_e32 v8, v41, v24
	v_fmac_f32_e32 v10, v16, v26
	s_barrier
	buffer_gl0_inv
	v_fmac_f32_e32 v8, v33, v25
	s_delay_alu instid0(VALU_DEP_1) | instskip(SKIP_2) | instid1(VALU_DEP_3)
	v_dual_fmac_f32 v8, v17, v26 :: v_dual_fmac_f32 v7, v20, v31
	v_fmac_f32_e32 v4, v39, v23
	v_fmac_f32_e32 v10, v20, v27
	;; [unrolled: 1-line block ×3, first 2 shown]
	s_delay_alu instid0(VALU_DEP_3) | instskip(NEXT) | instid1(VALU_DEP_1)
	v_fmac_f32_e32 v4, v41, v28
	v_fmac_f32_e32 v4, v33, v29
	s_delay_alu instid0(VALU_DEP_1) | instskip(NEXT) | instid1(VALU_DEP_1)
	v_fmac_f32_e32 v4, v17, v30
	v_fmac_f32_e32 v4, v21, v31
	s_cbranch_scc1 .LBB72_7
.LBB72_3:                               ; =>This Inner Loop Header: Depth=1
	v_add_nc_u32_e32 v16, s13, v13
	s_delay_alu instid0(VALU_DEP_1) | instskip(SKIP_1) | instid1(VALU_DEP_2)
	v_cmp_gt_i32_e64 s3, s5, v16
	v_mov_b32_e32 v16, 0
	s_and_b32 s8, vcc_lo, s3
	s_delay_alu instid0(SALU_CYCLE_1)
	s_and_saveexec_b32 s3, s8
	s_cbranch_execz .LBB72_5
; %bb.4:                                ;   in Loop: Header=BB72_3 Depth=1
	global_load_b32 v16, v[0:1], off
.LBB72_5:                               ;   in Loop: Header=BB72_3 Depth=1
	s_or_b32 exec_lo, exec_lo, s3
	v_add_nc_u32_e32 v17, s13, v9
	s_waitcnt vmcnt(0)
	ds_store_b32 v14, v16
	v_cmp_gt_i32_e64 s3, s5, v17
	v_mov_b32_e32 v17, 0
	s_delay_alu instid0(VALU_DEP_2) | instskip(NEXT) | instid1(SALU_CYCLE_1)
	s_and_b32 s8, s3, s2
	s_and_saveexec_b32 s3, s8
	s_cbranch_execz .LBB72_2
; %bb.6:                                ;   in Loop: Header=BB72_3 Depth=1
	global_load_b32 v17, v[2:3], off
	s_branch .LBB72_2
.LBB72_7:
	s_clause 0x2
	s_load_b32 s3, s[0:1], 0x50
	s_load_b64 s[8:9], s[0:1], 0x58
	s_load_b64 s[10:11], s[0:1], 0x48
	v_add_nc_u32_e32 v6, s12, v6
	s_load_b32 s2, s[0:1], 0x40
	v_add_nc_u32_e32 v0, s7, v5
	s_delay_alu instid0(VALU_DEP_2)
	v_cmp_gt_i32_e32 vcc_lo, s4, v6
	s_waitcnt lgkmcnt(0)
	v_mad_i64_i32 v[1:2], null, v6, s3, 0
	s_mul_i32 s1, s15, s9
	s_mul_hi_u32 s5, s15, s8
	s_mul_i32 s0, s15, s8
	s_add_i32 s1, s5, s1
	s_delay_alu instid0(SALU_CYCLE_1) | instskip(NEXT) | instid1(VALU_DEP_1)
	s_lshl_b64 s[8:9], s[0:1], 2
	v_lshlrev_b64 v[1:2], 2, v[1:2]
	s_add_u32 s5, s10, s8
	v_cmp_le_i32_e64 s0, v0, v6
	s_addc_u32 s7, s11, s9
	s_delay_alu instid0(VALU_DEP_2) | instskip(NEXT) | instid1(VALU_DEP_1)
	v_add_co_u32 v5, s1, s5, v1
	v_add_co_ci_u32_e64 v9, s1, s7, v2, s1
	s_delay_alu instid0(VALU_DEP_3) | instskip(NEXT) | instid1(SALU_CYCLE_1)
	s_and_b32 s0, vcc_lo, s0
	s_and_saveexec_b32 s1, s0
	s_cbranch_execz .LBB72_9
; %bb.8:
	v_ashrrev_i32_e32 v1, 31, v0
	s_delay_alu instid0(VALU_DEP_1) | instskip(NEXT) | instid1(VALU_DEP_1)
	v_lshlrev_b64 v[1:2], 2, v[0:1]
	v_add_co_u32 v1, s0, v5, v1
	s_delay_alu instid0(VALU_DEP_1) | instskip(SKIP_3) | instid1(VALU_DEP_1)
	v_add_co_ci_u32_e64 v2, s0, v9, v2, s0
	global_load_b32 v3, v[1:2], off
	s_waitcnt vmcnt(0)
	v_mul_f32_e32 v3, s2, v3
	v_fmac_f32_e32 v3, s6, v10
	global_store_b32 v[1:2], v3, off
.LBB72_9:
	s_or_b32 exec_lo, exec_lo, s1
	v_add_nc_u32_e32 v2, 16, v0
	s_delay_alu instid0(VALU_DEP_1) | instskip(NEXT) | instid1(VALU_DEP_1)
	v_cmp_le_i32_e64 s0, v2, v6
	s_and_b32 s1, vcc_lo, s0
	s_delay_alu instid0(SALU_CYCLE_1)
	s_and_saveexec_b32 s0, s1
	s_cbranch_execz .LBB72_11
; %bb.10:
	v_ashrrev_i32_e32 v3, 31, v2
	s_delay_alu instid0(VALU_DEP_1) | instskip(NEXT) | instid1(VALU_DEP_1)
	v_lshlrev_b64 v[10:11], 2, v[2:3]
	v_add_co_u32 v10, vcc_lo, v5, v10
	s_delay_alu instid0(VALU_DEP_2) | instskip(SKIP_3) | instid1(VALU_DEP_1)
	v_add_co_ci_u32_e32 v11, vcc_lo, v9, v11, vcc_lo
	global_load_b32 v1, v[10:11], off
	s_waitcnt vmcnt(0)
	v_mul_f32_e32 v1, s2, v1
	v_fmac_f32_e32 v1, s6, v8
	global_store_b32 v[10:11], v1, off
.LBB72_11:
	s_or_b32 exec_lo, exec_lo, s0
	v_add_nc_u32_e32 v3, 16, v6
	s_delay_alu instid0(VALU_DEP_1) | instskip(SKIP_2) | instid1(VALU_DEP_1)
	v_mad_i64_i32 v[5:6], null, v3, s3, 0
	v_cmp_gt_i32_e32 vcc_lo, s4, v3
	v_cmp_le_i32_e64 s0, v0, v3
	s_and_b32 s0, vcc_lo, s0
	s_delay_alu instid0(VALU_DEP_3) | instskip(NEXT) | instid1(VALU_DEP_1)
	v_lshlrev_b64 v[5:6], 2, v[5:6]
	v_add_co_u32 v5, s1, s5, v5
	s_delay_alu instid0(VALU_DEP_1)
	v_add_co_ci_u32_e64 v6, s1, s7, v6, s1
	s_and_saveexec_b32 s1, s0
	s_cbranch_execz .LBB72_13
; %bb.12:
	v_ashrrev_i32_e32 v1, 31, v0
	s_delay_alu instid0(VALU_DEP_1) | instskip(NEXT) | instid1(VALU_DEP_1)
	v_lshlrev_b64 v[0:1], 2, v[0:1]
	v_add_co_u32 v0, s0, v5, v0
	s_delay_alu instid0(VALU_DEP_1) | instskip(SKIP_3) | instid1(VALU_DEP_1)
	v_add_co_ci_u32_e64 v1, s0, v6, v1, s0
	global_load_b32 v8, v[0:1], off
	s_waitcnt vmcnt(0)
	v_mul_f32_e32 v8, s2, v8
	v_fmac_f32_e32 v8, s6, v7
	global_store_b32 v[0:1], v8, off
.LBB72_13:
	s_or_b32 exec_lo, exec_lo, s1
	v_cmp_le_i32_e64 s0, v2, v3
	s_delay_alu instid0(VALU_DEP_1) | instskip(NEXT) | instid1(SALU_CYCLE_1)
	s_and_b32 s0, vcc_lo, s0
	s_and_saveexec_b32 s1, s0
	s_cbranch_execz .LBB72_15
; %bb.14:
	v_ashrrev_i32_e32 v3, 31, v2
	s_delay_alu instid0(VALU_DEP_1) | instskip(NEXT) | instid1(VALU_DEP_1)
	v_lshlrev_b64 v[0:1], 2, v[2:3]
	v_add_co_u32 v0, vcc_lo, v5, v0
	s_delay_alu instid0(VALU_DEP_2) | instskip(SKIP_3) | instid1(VALU_DEP_1)
	v_add_co_ci_u32_e32 v1, vcc_lo, v6, v1, vcc_lo
	global_load_b32 v2, v[0:1], off
	s_waitcnt vmcnt(0)
	v_mul_f32_e32 v2, s2, v2
	v_fmac_f32_e32 v2, s6, v4
	global_store_b32 v[0:1], v2, off
.LBB72_15:
	s_nop 0
	s_sendmsg sendmsg(MSG_DEALLOC_VGPRS)
	s_endpgm
	.section	.rodata,"a",@progbits
	.p2align	6, 0x0
	.amdhsa_kernel _ZL34rocblas_syrkx_herkx_general_kernelIifLi16ELi32ELi8ELb0ELb0ELc67ELc85EKffEviT_T0_PT8_S1_lS4_S1_lS2_PT9_S1_li
		.amdhsa_group_segment_fixed_size 2048
		.amdhsa_private_segment_fixed_size 0
		.amdhsa_kernarg_size 100
		.amdhsa_user_sgpr_count 13
		.amdhsa_user_sgpr_dispatch_ptr 0
		.amdhsa_user_sgpr_queue_ptr 0
		.amdhsa_user_sgpr_kernarg_segment_ptr 1
		.amdhsa_user_sgpr_dispatch_id 0
		.amdhsa_user_sgpr_private_segment_size 0
		.amdhsa_wavefront_size32 1
		.amdhsa_uses_dynamic_stack 0
		.amdhsa_enable_private_segment 0
		.amdhsa_system_sgpr_workgroup_id_x 1
		.amdhsa_system_sgpr_workgroup_id_y 1
		.amdhsa_system_sgpr_workgroup_id_z 1
		.amdhsa_system_sgpr_workgroup_info 0
		.amdhsa_system_vgpr_workitem_id 1
		.amdhsa_next_free_vgpr 42
		.amdhsa_next_free_sgpr 20
		.amdhsa_reserve_vcc 1
		.amdhsa_float_round_mode_32 0
		.amdhsa_float_round_mode_16_64 0
		.amdhsa_float_denorm_mode_32 3
		.amdhsa_float_denorm_mode_16_64 3
		.amdhsa_dx10_clamp 1
		.amdhsa_ieee_mode 1
		.amdhsa_fp16_overflow 0
		.amdhsa_workgroup_processor_mode 1
		.amdhsa_memory_ordered 1
		.amdhsa_forward_progress 0
		.amdhsa_shared_vgpr_count 0
		.amdhsa_exception_fp_ieee_invalid_op 0
		.amdhsa_exception_fp_denorm_src 0
		.amdhsa_exception_fp_ieee_div_zero 0
		.amdhsa_exception_fp_ieee_overflow 0
		.amdhsa_exception_fp_ieee_underflow 0
		.amdhsa_exception_fp_ieee_inexact 0
		.amdhsa_exception_int_div_zero 0
	.end_amdhsa_kernel
	.section	.text._ZL34rocblas_syrkx_herkx_general_kernelIifLi16ELi32ELi8ELb0ELb0ELc67ELc85EKffEviT_T0_PT8_S1_lS4_S1_lS2_PT9_S1_li,"axG",@progbits,_ZL34rocblas_syrkx_herkx_general_kernelIifLi16ELi32ELi8ELb0ELb0ELc67ELc85EKffEviT_T0_PT8_S1_lS4_S1_lS2_PT9_S1_li,comdat
.Lfunc_end72:
	.size	_ZL34rocblas_syrkx_herkx_general_kernelIifLi16ELi32ELi8ELb0ELb0ELc67ELc85EKffEviT_T0_PT8_S1_lS4_S1_lS2_PT9_S1_li, .Lfunc_end72-_ZL34rocblas_syrkx_herkx_general_kernelIifLi16ELi32ELi8ELb0ELb0ELc67ELc85EKffEviT_T0_PT8_S1_lS4_S1_lS2_PT9_S1_li
                                        ; -- End function
	.section	.AMDGPU.csdata,"",@progbits
; Kernel info:
; codeLenInByte = 1468
; NumSgprs: 22
; NumVgprs: 42
; ScratchSize: 0
; MemoryBound: 0
; FloatMode: 240
; IeeeMode: 1
; LDSByteSize: 2048 bytes/workgroup (compile time only)
; SGPRBlocks: 2
; VGPRBlocks: 5
; NumSGPRsForWavesPerEU: 22
; NumVGPRsForWavesPerEU: 42
; Occupancy: 16
; WaveLimiterHint : 0
; COMPUTE_PGM_RSRC2:SCRATCH_EN: 0
; COMPUTE_PGM_RSRC2:USER_SGPR: 13
; COMPUTE_PGM_RSRC2:TRAP_HANDLER: 0
; COMPUTE_PGM_RSRC2:TGID_X_EN: 1
; COMPUTE_PGM_RSRC2:TGID_Y_EN: 1
; COMPUTE_PGM_RSRC2:TGID_Z_EN: 1
; COMPUTE_PGM_RSRC2:TIDIG_COMP_CNT: 1
	.section	.text._ZL34rocblas_syrkx_herkx_general_kernelIifLi16ELi32ELi8ELb0ELb0ELc78ELc85EKffEviT_T0_PT8_S1_lS4_S1_lS2_PT9_S1_li,"axG",@progbits,_ZL34rocblas_syrkx_herkx_general_kernelIifLi16ELi32ELi8ELb0ELb0ELc78ELc85EKffEviT_T0_PT8_S1_lS4_S1_lS2_PT9_S1_li,comdat
	.globl	_ZL34rocblas_syrkx_herkx_general_kernelIifLi16ELi32ELi8ELb0ELb0ELc78ELc85EKffEviT_T0_PT8_S1_lS4_S1_lS2_PT9_S1_li ; -- Begin function _ZL34rocblas_syrkx_herkx_general_kernelIifLi16ELi32ELi8ELb0ELb0ELc78ELc85EKffEviT_T0_PT8_S1_lS4_S1_lS2_PT9_S1_li
	.p2align	8
	.type	_ZL34rocblas_syrkx_herkx_general_kernelIifLi16ELi32ELi8ELb0ELb0ELc78ELc85EKffEviT_T0_PT8_S1_lS4_S1_lS2_PT9_S1_li,@function
_ZL34rocblas_syrkx_herkx_general_kernelIifLi16ELi32ELi8ELb0ELb0ELc78ELc85EKffEviT_T0_PT8_S1_lS4_S1_lS2_PT9_S1_li: ; @_ZL34rocblas_syrkx_herkx_general_kernelIifLi16ELi32ELi8ELb0ELb0ELc78ELc85EKffEviT_T0_PT8_S1_lS4_S1_lS2_PT9_S1_li
; %bb.0:
	s_load_b128 s[4:7], s[0:1], 0x0
	v_dual_mov_b32 v7, 0 :: v_dual_and_b32 v4, 0x3ff, v0
	v_bfe_u32 v6, v0, 10, 10
	v_dual_mov_b32 v12, 0 :: v_dual_mov_b32 v5, 0
	v_mov_b32_e32 v8, 0
	s_waitcnt lgkmcnt(0)
	s_lshl_b32 s7, s13, 5
	s_lshl_b32 s14, s14, 5
	s_mov_b32 s16, 0
	s_cmp_lt_i32 s5, 1
	s_cbranch_scc1 .LBB73_7
; %bb.1:
	s_clause 0x1
	s_load_b32 s12, s[0:1], 0x18
	s_load_b64 s[18:19], s[0:1], 0x10
	v_lshl_add_u32 v0, v6, 4, v4
	s_clause 0x1
	s_load_b128 s[8:11], s[0:1], 0x20
	s_load_b32 s20, s[0:1], 0x30
	v_and_b32_e32 v9, 7, v4
	s_load_b64 s[22:23], s[0:1], 0x38
	v_and_b32_e32 v5, 31, v0
	v_lshrrev_b32_e32 v1, 3, v0
	v_lshrrev_b32_e32 v10, 5, v0
	v_lshlrev_b32_e32 v2, 2, v9
	v_lshlrev_b32_e32 v14, 2, v4
	v_or_b32_e32 v3, s7, v5
	v_add_nc_u32_e32 v0, s14, v1
	v_lshlrev_b32_e32 v7, 2, v5
	v_lshl_or_b32 v1, v1, 5, v2
	v_lshl_add_u32 v15, v6, 5, 0x400
	v_cmp_gt_i32_e32 vcc_lo, s4, v3
	v_cmp_gt_i32_e64 s2, s4, v0
	v_lshl_or_b32 v11, v10, 7, v7
	s_waitcnt lgkmcnt(0)
	v_mad_i64_i32 v[2:3], null, v10, s12, 0
	v_add_nc_u32_e32 v7, s7, v5
	s_mul_i32 s3, s9, s15
	s_mul_hi_u32 s9, s8, s15
	v_mad_i64_i32 v[16:17], null, s20, v9, 0
	s_add_i32 s9, s9, s3
	s_delay_alu instid0(VALU_DEP_3)
	v_lshlrev_b64 v[2:3], 2, v[2:3]
	s_mul_i32 s8, s8, s15
	v_ashrrev_i32_e32 v8, 31, v7
	s_lshl_b64 s[8:9], s[8:9], 2
	v_add_nc_u32_e32 v13, 0x400, v1
	v_ashrrev_i32_e32 v1, 31, v0
	v_add_co_u32 v5, s3, v2, s8
	s_delay_alu instid0(VALU_DEP_1)
	v_add_co_ci_u32_e64 v12, s3, s9, v3, s3
	s_mul_i32 s3, s23, s15
	s_mul_hi_u32 s8, s22, s15
	v_lshlrev_b64 v[2:3], 2, v[16:17]
	s_add_i32 s9, s8, s3
	s_mul_i32 s8, s22, s15
	v_lshlrev_b64 v[7:8], 2, v[7:8]
	s_lshl_b64 s[8:9], s[8:9], 2
	v_lshlrev_b64 v[0:1], 2, v[0:1]
	v_add_co_u32 v2, s3, s8, v2
	s_delay_alu instid0(VALU_DEP_1) | instskip(NEXT) | instid1(VALU_DEP_4)
	v_add_co_ci_u32_e64 v3, s3, s9, v3, s3
	v_add_co_u32 v5, s3, v5, v7
	s_delay_alu instid0(VALU_DEP_1) | instskip(NEXT) | instid1(VALU_DEP_4)
	v_add_co_ci_u32_e64 v7, s3, v12, v8, s3
	;; [unrolled: 3-line block ×3, first 2 shown]
	v_add_co_u32 v0, s3, s18, v5
	s_delay_alu instid0(VALU_DEP_1) | instskip(SKIP_2) | instid1(VALU_DEP_1)
	v_add_co_ci_u32_e64 v1, s3, s19, v7, s3
	v_mov_b32_e32 v7, 0
	v_add_co_u32 v2, s3, s10, v2
	v_add_co_ci_u32_e64 v3, s3, s11, v3, s3
	v_dual_mov_b32 v5, 0 :: v_dual_mov_b32 v8, 0
	v_mov_b32_e32 v12, 0
	s_ashr_i32 s13, s12, 31
	s_ashr_i32 s21, s20, 31
	s_lshl_b64 s[8:9], s[12:13], 5
	s_lshl_b64 s[10:11], s[20:21], 5
	s_branch .LBB73_3
.LBB73_2:                               ;   in Loop: Header=BB73_3 Depth=1
	s_or_b32 exec_lo, exec_lo, s3
	s_waitcnt vmcnt(0)
	ds_store_b32 v13, v17
	s_waitcnt lgkmcnt(0)
	s_barrier
	buffer_gl0_inv
	ds_load_2addr_b32 v[32:33], v14 offset1:16
	ds_load_b128 v[16:19], v15
	ds_load_b128 v[20:23], v15 offset:512
	ds_load_2addr_b32 v[34:35], v14 offset0:32 offset1:48
	ds_load_2addr_b32 v[36:37], v14 offset0:64 offset1:80
	;; [unrolled: 1-line block ×3, first 2 shown]
	ds_load_b128 v[24:27], v15 offset:16
	ds_load_2addr_b32 v[40:41], v14 offset0:128 offset1:144
	ds_load_b128 v[28:31], v15 offset:528
	v_add_co_u32 v0, s3, v0, s8
	s_delay_alu instid0(VALU_DEP_1) | instskip(SKIP_1) | instid1(VALU_DEP_1)
	v_add_co_ci_u32_e64 v1, s3, s9, v1, s3
	v_add_co_u32 v2, s3, v2, s10
	v_add_co_ci_u32_e64 v3, s3, s11, v3, s3
	s_add_i32 s16, s16, 8
	s_delay_alu instid0(SALU_CYCLE_1)
	s_cmp_ge_i32 s16, s5
	s_waitcnt lgkmcnt(6)
	v_fmac_f32_e32 v7, v32, v20
	v_fmac_f32_e32 v12, v32, v16
	v_fmac_f32_e32 v5, v33, v20
	v_fmac_f32_e32 v8, v33, v16
	ds_load_2addr_b32 v[32:33], v14 offset0:160 offset1:176
	s_waitcnt lgkmcnt(6)
	v_fmac_f32_e32 v7, v34, v21
	v_fmac_f32_e32 v12, v34, v17
	v_fmac_f32_e32 v5, v35, v21
	v_fmac_f32_e32 v8, v35, v17
	ds_load_2addr_b32 v[16:17], v14 offset0:192 offset1:208
	s_waitcnt lgkmcnt(6)
	v_fmac_f32_e32 v7, v36, v22
	v_fmac_f32_e32 v12, v36, v18
	v_fmac_f32_e32 v5, v37, v22
	v_fmac_f32_e32 v8, v37, v18
	ds_load_2addr_b32 v[20:21], v14 offset0:224 offset1:240
	s_waitcnt lgkmcnt(6)
	v_fmac_f32_e32 v7, v38, v23
	v_fmac_f32_e32 v12, v38, v19
	;; [unrolled: 1-line block ×4, first 2 shown]
	s_waitcnt lgkmcnt(0)
	v_fmac_f32_e32 v7, v40, v28
	s_barrier
	v_fmac_f32_e32 v5, v41, v28
	v_fmac_f32_e32 v12, v40, v24
	s_delay_alu instid0(VALU_DEP_3) | instskip(SKIP_4) | instid1(VALU_DEP_3)
	v_dual_fmac_f32 v8, v41, v24 :: v_dual_fmac_f32 v7, v32, v29
	buffer_gl0_inv
	v_fmac_f32_e32 v5, v33, v29
	v_fmac_f32_e32 v12, v32, v25
	v_dual_fmac_f32 v8, v33, v25 :: v_dual_fmac_f32 v7, v16, v30
	v_fmac_f32_e32 v5, v17, v30
	s_delay_alu instid0(VALU_DEP_3) | instskip(NEXT) | instid1(VALU_DEP_3)
	v_fmac_f32_e32 v12, v16, v26
	v_dual_fmac_f32 v8, v17, v26 :: v_dual_fmac_f32 v7, v20, v31
	s_delay_alu instid0(VALU_DEP_3) | instskip(NEXT) | instid1(VALU_DEP_3)
	v_fmac_f32_e32 v5, v21, v31
	v_fmac_f32_e32 v12, v20, v27
	s_delay_alu instid0(VALU_DEP_3)
	v_fmac_f32_e32 v8, v21, v27
	s_cbranch_scc1 .LBB73_7
.LBB73_3:                               ; =>This Inner Loop Header: Depth=1
	v_add_nc_u32_e32 v16, s16, v10
	s_delay_alu instid0(VALU_DEP_1) | instskip(SKIP_1) | instid1(VALU_DEP_2)
	v_cmp_gt_i32_e64 s3, s5, v16
	v_mov_b32_e32 v16, 0
	s_and_b32 s12, vcc_lo, s3
	s_delay_alu instid0(SALU_CYCLE_1)
	s_and_saveexec_b32 s3, s12
	s_cbranch_execz .LBB73_5
; %bb.4:                                ;   in Loop: Header=BB73_3 Depth=1
	global_load_b32 v16, v[0:1], off
.LBB73_5:                               ;   in Loop: Header=BB73_3 Depth=1
	s_or_b32 exec_lo, exec_lo, s3
	v_add_nc_u32_e32 v17, s16, v9
	s_waitcnt vmcnt(0)
	ds_store_b32 v11, v16
	v_cmp_gt_i32_e64 s3, s5, v17
	v_mov_b32_e32 v17, 0
	s_delay_alu instid0(VALU_DEP_2) | instskip(NEXT) | instid1(SALU_CYCLE_1)
	s_and_b32 s12, s3, s2
	s_and_saveexec_b32 s3, s12
	s_cbranch_execz .LBB73_2
; %bb.6:                                ;   in Loop: Header=BB73_3 Depth=1
	global_load_b32 v17, v[2:3], off
	s_branch .LBB73_2
.LBB73_7:
	s_clause 0x2
	s_load_b32 s3, s[0:1], 0x50
	s_load_b64 s[8:9], s[0:1], 0x58
	s_load_b64 s[10:11], s[0:1], 0x48
	v_add_nc_u32_e32 v6, s14, v6
	s_load_b32 s2, s[0:1], 0x40
	v_add_nc_u32_e32 v0, s7, v4
	s_delay_alu instid0(VALU_DEP_2)
	v_cmp_gt_i32_e32 vcc_lo, s4, v6
	s_waitcnt lgkmcnt(0)
	v_mad_i64_i32 v[1:2], null, v6, s3, 0
	s_mul_i32 s1, s15, s9
	s_mul_hi_u32 s5, s15, s8
	s_mul_i32 s0, s15, s8
	s_add_i32 s1, s5, s1
	s_delay_alu instid0(SALU_CYCLE_1) | instskip(NEXT) | instid1(VALU_DEP_1)
	s_lshl_b64 s[8:9], s[0:1], 2
	v_lshlrev_b64 v[1:2], 2, v[1:2]
	s_add_u32 s5, s10, s8
	v_cmp_le_i32_e64 s0, v0, v6
	s_addc_u32 s7, s11, s9
	s_delay_alu instid0(VALU_DEP_2) | instskip(NEXT) | instid1(VALU_DEP_1)
	v_add_co_u32 v4, s1, s5, v1
	v_add_co_ci_u32_e64 v9, s1, s7, v2, s1
	s_delay_alu instid0(VALU_DEP_3) | instskip(NEXT) | instid1(SALU_CYCLE_1)
	s_and_b32 s0, vcc_lo, s0
	s_and_saveexec_b32 s1, s0
	s_cbranch_execz .LBB73_9
; %bb.8:
	v_ashrrev_i32_e32 v1, 31, v0
	s_delay_alu instid0(VALU_DEP_1) | instskip(NEXT) | instid1(VALU_DEP_1)
	v_lshlrev_b64 v[1:2], 2, v[0:1]
	v_add_co_u32 v1, s0, v4, v1
	s_delay_alu instid0(VALU_DEP_1) | instskip(SKIP_3) | instid1(VALU_DEP_1)
	v_add_co_ci_u32_e64 v2, s0, v9, v2, s0
	global_load_b32 v3, v[1:2], off
	s_waitcnt vmcnt(0)
	v_mul_f32_e32 v3, s2, v3
	v_fmac_f32_e32 v3, s6, v12
	global_store_b32 v[1:2], v3, off
.LBB73_9:
	s_or_b32 exec_lo, exec_lo, s1
	v_add_nc_u32_e32 v2, 16, v0
	s_delay_alu instid0(VALU_DEP_1) | instskip(NEXT) | instid1(VALU_DEP_1)
	v_cmp_le_i32_e64 s0, v2, v6
	s_and_b32 s1, vcc_lo, s0
	s_delay_alu instid0(SALU_CYCLE_1)
	s_and_saveexec_b32 s0, s1
	s_cbranch_execz .LBB73_11
; %bb.10:
	v_ashrrev_i32_e32 v3, 31, v2
	s_delay_alu instid0(VALU_DEP_1) | instskip(NEXT) | instid1(VALU_DEP_1)
	v_lshlrev_b64 v[10:11], 2, v[2:3]
	v_add_co_u32 v3, vcc_lo, v4, v10
	s_delay_alu instid0(VALU_DEP_2) | instskip(SKIP_3) | instid1(VALU_DEP_1)
	v_add_co_ci_u32_e32 v4, vcc_lo, v9, v11, vcc_lo
	global_load_b32 v1, v[3:4], off
	s_waitcnt vmcnt(0)
	v_mul_f32_e32 v1, s2, v1
	v_fmac_f32_e32 v1, s6, v8
	global_store_b32 v[3:4], v1, off
.LBB73_11:
	s_or_b32 exec_lo, exec_lo, s0
	v_add_nc_u32_e32 v3, 16, v6
	s_delay_alu instid0(VALU_DEP_1) | instskip(SKIP_2) | instid1(VALU_DEP_1)
	v_mad_i64_i32 v[8:9], null, v3, s3, 0
	v_cmp_gt_i32_e32 vcc_lo, s4, v3
	v_cmp_le_i32_e64 s0, v0, v3
	s_and_b32 s0, vcc_lo, s0
	s_delay_alu instid0(VALU_DEP_3) | instskip(NEXT) | instid1(VALU_DEP_1)
	v_lshlrev_b64 v[8:9], 2, v[8:9]
	v_add_co_u32 v4, s1, s5, v8
	s_delay_alu instid0(VALU_DEP_1)
	v_add_co_ci_u32_e64 v6, s1, s7, v9, s1
	s_and_saveexec_b32 s1, s0
	s_cbranch_execz .LBB73_13
; %bb.12:
	v_ashrrev_i32_e32 v1, 31, v0
	s_delay_alu instid0(VALU_DEP_1) | instskip(NEXT) | instid1(VALU_DEP_1)
	v_lshlrev_b64 v[0:1], 2, v[0:1]
	v_add_co_u32 v0, s0, v4, v0
	s_delay_alu instid0(VALU_DEP_1) | instskip(SKIP_3) | instid1(VALU_DEP_1)
	v_add_co_ci_u32_e64 v1, s0, v6, v1, s0
	global_load_b32 v8, v[0:1], off
	s_waitcnt vmcnt(0)
	v_mul_f32_e32 v8, s2, v8
	v_fmac_f32_e32 v8, s6, v7
	global_store_b32 v[0:1], v8, off
.LBB73_13:
	s_or_b32 exec_lo, exec_lo, s1
	v_cmp_le_i32_e64 s0, v2, v3
	s_delay_alu instid0(VALU_DEP_1) | instskip(NEXT) | instid1(SALU_CYCLE_1)
	s_and_b32 s0, vcc_lo, s0
	s_and_saveexec_b32 s1, s0
	s_cbranch_execz .LBB73_15
; %bb.14:
	v_ashrrev_i32_e32 v3, 31, v2
	s_delay_alu instid0(VALU_DEP_1) | instskip(NEXT) | instid1(VALU_DEP_1)
	v_lshlrev_b64 v[0:1], 2, v[2:3]
	v_add_co_u32 v0, vcc_lo, v4, v0
	s_delay_alu instid0(VALU_DEP_2) | instskip(SKIP_3) | instid1(VALU_DEP_1)
	v_add_co_ci_u32_e32 v1, vcc_lo, v6, v1, vcc_lo
	global_load_b32 v2, v[0:1], off
	s_waitcnt vmcnt(0)
	v_mul_f32_e32 v2, s2, v2
	v_fmac_f32_e32 v2, s6, v5
	global_store_b32 v[0:1], v2, off
.LBB73_15:
	s_nop 0
	s_sendmsg sendmsg(MSG_DEALLOC_VGPRS)
	s_endpgm
	.section	.rodata,"a",@progbits
	.p2align	6, 0x0
	.amdhsa_kernel _ZL34rocblas_syrkx_herkx_general_kernelIifLi16ELi32ELi8ELb0ELb0ELc78ELc85EKffEviT_T0_PT8_S1_lS4_S1_lS2_PT9_S1_li
		.amdhsa_group_segment_fixed_size 2048
		.amdhsa_private_segment_fixed_size 0
		.amdhsa_kernarg_size 100
		.amdhsa_user_sgpr_count 13
		.amdhsa_user_sgpr_dispatch_ptr 0
		.amdhsa_user_sgpr_queue_ptr 0
		.amdhsa_user_sgpr_kernarg_segment_ptr 1
		.amdhsa_user_sgpr_dispatch_id 0
		.amdhsa_user_sgpr_private_segment_size 0
		.amdhsa_wavefront_size32 1
		.amdhsa_uses_dynamic_stack 0
		.amdhsa_enable_private_segment 0
		.amdhsa_system_sgpr_workgroup_id_x 1
		.amdhsa_system_sgpr_workgroup_id_y 1
		.amdhsa_system_sgpr_workgroup_id_z 1
		.amdhsa_system_sgpr_workgroup_info 0
		.amdhsa_system_vgpr_workitem_id 1
		.amdhsa_next_free_vgpr 42
		.amdhsa_next_free_sgpr 24
		.amdhsa_reserve_vcc 1
		.amdhsa_float_round_mode_32 0
		.amdhsa_float_round_mode_16_64 0
		.amdhsa_float_denorm_mode_32 3
		.amdhsa_float_denorm_mode_16_64 3
		.amdhsa_dx10_clamp 1
		.amdhsa_ieee_mode 1
		.amdhsa_fp16_overflow 0
		.amdhsa_workgroup_processor_mode 1
		.amdhsa_memory_ordered 1
		.amdhsa_forward_progress 0
		.amdhsa_shared_vgpr_count 0
		.amdhsa_exception_fp_ieee_invalid_op 0
		.amdhsa_exception_fp_denorm_src 0
		.amdhsa_exception_fp_ieee_div_zero 0
		.amdhsa_exception_fp_ieee_overflow 0
		.amdhsa_exception_fp_ieee_underflow 0
		.amdhsa_exception_fp_ieee_inexact 0
		.amdhsa_exception_int_div_zero 0
	.end_amdhsa_kernel
	.section	.text._ZL34rocblas_syrkx_herkx_general_kernelIifLi16ELi32ELi8ELb0ELb0ELc78ELc85EKffEviT_T0_PT8_S1_lS4_S1_lS2_PT9_S1_li,"axG",@progbits,_ZL34rocblas_syrkx_herkx_general_kernelIifLi16ELi32ELi8ELb0ELb0ELc78ELc85EKffEviT_T0_PT8_S1_lS4_S1_lS2_PT9_S1_li,comdat
.Lfunc_end73:
	.size	_ZL34rocblas_syrkx_herkx_general_kernelIifLi16ELi32ELi8ELb0ELb0ELc78ELc85EKffEviT_T0_PT8_S1_lS4_S1_lS2_PT9_S1_li, .Lfunc_end73-_ZL34rocblas_syrkx_herkx_general_kernelIifLi16ELi32ELi8ELb0ELb0ELc78ELc85EKffEviT_T0_PT8_S1_lS4_S1_lS2_PT9_S1_li
                                        ; -- End function
	.section	.AMDGPU.csdata,"",@progbits
; Kernel info:
; codeLenInByte = 1472
; NumSgprs: 26
; NumVgprs: 42
; ScratchSize: 0
; MemoryBound: 0
; FloatMode: 240
; IeeeMode: 1
; LDSByteSize: 2048 bytes/workgroup (compile time only)
; SGPRBlocks: 3
; VGPRBlocks: 5
; NumSGPRsForWavesPerEU: 26
; NumVGPRsForWavesPerEU: 42
; Occupancy: 16
; WaveLimiterHint : 0
; COMPUTE_PGM_RSRC2:SCRATCH_EN: 0
; COMPUTE_PGM_RSRC2:USER_SGPR: 13
; COMPUTE_PGM_RSRC2:TRAP_HANDLER: 0
; COMPUTE_PGM_RSRC2:TGID_X_EN: 1
; COMPUTE_PGM_RSRC2:TGID_Y_EN: 1
; COMPUTE_PGM_RSRC2:TGID_Z_EN: 1
; COMPUTE_PGM_RSRC2:TIDIG_COMP_CNT: 1
	.section	.text._ZL26rocblas_syr2k_scale_kernelIiLi128ELi8ELb0EffPfEvbiT_T3_T4_T5_S1_li,"axG",@progbits,_ZL26rocblas_syr2k_scale_kernelIiLi128ELi8ELb0EffPfEvbiT_T3_T4_T5_S1_li,comdat
	.globl	_ZL26rocblas_syr2k_scale_kernelIiLi128ELi8ELb0EffPfEvbiT_T3_T4_T5_S1_li ; -- Begin function _ZL26rocblas_syr2k_scale_kernelIiLi128ELi8ELb0EffPfEvbiT_T3_T4_T5_S1_li
	.p2align	8
	.type	_ZL26rocblas_syr2k_scale_kernelIiLi128ELi8ELb0EffPfEvbiT_T3_T4_T5_S1_li,@function
_ZL26rocblas_syr2k_scale_kernelIiLi128ELi8ELb0EffPfEvbiT_T3_T4_T5_S1_li: ; @_ZL26rocblas_syr2k_scale_kernelIiLi128ELi8ELb0EffPfEvbiT_T3_T4_T5_S1_li
; %bb.0:
	s_load_b32 s3, s[0:1], 0x10
	s_waitcnt lgkmcnt(0)
	v_cmp_eq_f32_e64 s2, s3, 1.0
	s_delay_alu instid0(VALU_DEP_1)
	s_and_b32 vcc_lo, exec_lo, s2
	s_cbranch_vccnz .LBB74_5
; %bb.1:
	s_clause 0x1
	s_load_b64 s[4:5], s[0:1], 0x0
	s_load_b32 s2, s[0:1], 0x44
	v_and_b32_e32 v2, 0x3ff, v0
	v_bfe_u32 v3, v0, 10, 10
	s_waitcnt lgkmcnt(0)
	s_bitcmp1_b32 s4, 0
	s_cselect_b32 vcc_lo, -1, 0
	s_lshr_b32 s4, s2, 16
	s_and_b32 s2, s2, 0xffff
	s_delay_alu instid0(SALU_CYCLE_1) | instskip(SKIP_1) | instid1(VALU_DEP_1)
	v_mad_u64_u32 v[0:1], null, s13, s2, v[2:3]
	v_mad_u64_u32 v[1:2], null, s14, s4, v[3:4]
	v_cndmask_b32_e32 v2, v1, v0, vcc_lo
	v_max_u32_e32 v3, v0, v1
	v_cndmask_b32_e32 v4, v0, v1, vcc_lo
	s_delay_alu instid0(VALU_DEP_2) | instskip(NEXT) | instid1(VALU_DEP_2)
	v_cmp_gt_u32_e32 vcc_lo, s5, v3
	v_cmp_le_i32_e64 s2, v2, v4
	s_delay_alu instid0(VALU_DEP_1) | instskip(NEXT) | instid1(SALU_CYCLE_1)
	s_and_b32 s2, vcc_lo, s2
	s_and_saveexec_b32 s4, s2
	s_cbranch_execz .LBB74_5
; %bb.2:
	s_clause 0x2
	s_load_b32 s2, s[0:1], 0x20
	s_load_b64 s[4:5], s[0:1], 0x28
	s_load_b64 s[0:1], s[0:1], 0x18
	s_waitcnt lgkmcnt(0)
	v_mad_u64_u32 v[2:3], null, v1, s2, 0
	s_ashr_i32 s2, s2, 31
	s_delay_alu instid0(VALU_DEP_1) | instid1(SALU_CYCLE_1)
	v_mad_u64_u32 v[4:5], null, v1, s2, v[3:4]
	s_mul_i32 s2, s15, s5
	s_mul_hi_u32 s5, s15, s4
	v_mov_b32_e32 v1, 0
	s_mul_i32 s4, s15, s4
	s_add_i32 s5, s5, s2
	s_delay_alu instid0(SALU_CYCLE_1) | instskip(NEXT) | instid1(VALU_DEP_2)
	s_lshl_b64 s[4:5], s[4:5], 2
	v_mov_b32_e32 v3, v4
	s_add_u32 s0, s0, s4
	v_lshlrev_b64 v[4:5], 2, v[0:1]
	s_addc_u32 s1, s1, s5
	s_delay_alu instid0(VALU_DEP_2) | instskip(NEXT) | instid1(VALU_DEP_1)
	v_lshlrev_b64 v[2:3], 2, v[2:3]
	v_add_co_u32 v0, vcc_lo, s0, v2
	s_delay_alu instid0(VALU_DEP_2) | instskip(SKIP_1) | instid1(VALU_DEP_3)
	v_add_co_ci_u32_e32 v3, vcc_lo, s1, v3, vcc_lo
	v_cmp_eq_f32_e64 s0, s3, 0
	v_add_co_u32 v2, vcc_lo, v0, v4
	s_delay_alu instid0(VALU_DEP_3) | instskip(NEXT) | instid1(VALU_DEP_3)
	v_add_co_ci_u32_e32 v3, vcc_lo, v3, v5, vcc_lo
	s_and_b32 vcc_lo, exec_lo, s0
	s_cbranch_vccnz .LBB74_4
; %bb.3:
	global_load_b32 v0, v[2:3], off
	s_waitcnt vmcnt(0)
	v_mul_f32_e32 v1, s3, v0
.LBB74_4:
	global_store_b32 v[2:3], v1, off
.LBB74_5:
	s_nop 0
	s_sendmsg sendmsg(MSG_DEALLOC_VGPRS)
	s_endpgm
	.section	.rodata,"a",@progbits
	.p2align	6, 0x0
	.amdhsa_kernel _ZL26rocblas_syr2k_scale_kernelIiLi128ELi8ELb0EffPfEvbiT_T3_T4_T5_S1_li
		.amdhsa_group_segment_fixed_size 0
		.amdhsa_private_segment_fixed_size 0
		.amdhsa_kernarg_size 312
		.amdhsa_user_sgpr_count 13
		.amdhsa_user_sgpr_dispatch_ptr 0
		.amdhsa_user_sgpr_queue_ptr 0
		.amdhsa_user_sgpr_kernarg_segment_ptr 1
		.amdhsa_user_sgpr_dispatch_id 0
		.amdhsa_user_sgpr_private_segment_size 0
		.amdhsa_wavefront_size32 1
		.amdhsa_uses_dynamic_stack 0
		.amdhsa_enable_private_segment 0
		.amdhsa_system_sgpr_workgroup_id_x 1
		.amdhsa_system_sgpr_workgroup_id_y 1
		.amdhsa_system_sgpr_workgroup_id_z 1
		.amdhsa_system_sgpr_workgroup_info 0
		.amdhsa_system_vgpr_workitem_id 1
		.amdhsa_next_free_vgpr 6
		.amdhsa_next_free_sgpr 16
		.amdhsa_reserve_vcc 1
		.amdhsa_float_round_mode_32 0
		.amdhsa_float_round_mode_16_64 0
		.amdhsa_float_denorm_mode_32 3
		.amdhsa_float_denorm_mode_16_64 3
		.amdhsa_dx10_clamp 1
		.amdhsa_ieee_mode 1
		.amdhsa_fp16_overflow 0
		.amdhsa_workgroup_processor_mode 1
		.amdhsa_memory_ordered 1
		.amdhsa_forward_progress 0
		.amdhsa_shared_vgpr_count 0
		.amdhsa_exception_fp_ieee_invalid_op 0
		.amdhsa_exception_fp_denorm_src 0
		.amdhsa_exception_fp_ieee_div_zero 0
		.amdhsa_exception_fp_ieee_overflow 0
		.amdhsa_exception_fp_ieee_underflow 0
		.amdhsa_exception_fp_ieee_inexact 0
		.amdhsa_exception_int_div_zero 0
	.end_amdhsa_kernel
	.section	.text._ZL26rocblas_syr2k_scale_kernelIiLi128ELi8ELb0EffPfEvbiT_T3_T4_T5_S1_li,"axG",@progbits,_ZL26rocblas_syr2k_scale_kernelIiLi128ELi8ELb0EffPfEvbiT_T3_T4_T5_S1_li,comdat
.Lfunc_end74:
	.size	_ZL26rocblas_syr2k_scale_kernelIiLi128ELi8ELb0EffPfEvbiT_T3_T4_T5_S1_li, .Lfunc_end74-_ZL26rocblas_syr2k_scale_kernelIiLi128ELi8ELb0EffPfEvbiT_T3_T4_T5_S1_li
                                        ; -- End function
	.section	.AMDGPU.csdata,"",@progbits
; Kernel info:
; codeLenInByte = 356
; NumSgprs: 18
; NumVgprs: 6
; ScratchSize: 0
; MemoryBound: 0
; FloatMode: 240
; IeeeMode: 1
; LDSByteSize: 0 bytes/workgroup (compile time only)
; SGPRBlocks: 2
; VGPRBlocks: 0
; NumSGPRsForWavesPerEU: 18
; NumVGPRsForWavesPerEU: 6
; Occupancy: 16
; WaveLimiterHint : 0
; COMPUTE_PGM_RSRC2:SCRATCH_EN: 0
; COMPUTE_PGM_RSRC2:USER_SGPR: 13
; COMPUTE_PGM_RSRC2:TRAP_HANDLER: 0
; COMPUTE_PGM_RSRC2:TGID_X_EN: 1
; COMPUTE_PGM_RSRC2:TGID_Y_EN: 1
; COMPUTE_PGM_RSRC2:TGID_Z_EN: 1
; COMPUTE_PGM_RSRC2:TIDIG_COMP_CNT: 1
	.section	.text._ZL26rocblas_syr2k_her2k_kernelIiLb0ELb0ELb0ELi32EPKfS1_PfEvbiT_T4_T5_S3_lS5_S3_lT6_S3_li,"axG",@progbits,_ZL26rocblas_syr2k_her2k_kernelIiLb0ELb0ELb0ELi32EPKfS1_PfEvbiT_T4_T5_S3_lS5_S3_lT6_S3_li,comdat
	.globl	_ZL26rocblas_syr2k_her2k_kernelIiLb0ELb0ELb0ELi32EPKfS1_PfEvbiT_T4_T5_S3_lS5_S3_lT6_S3_li ; -- Begin function _ZL26rocblas_syr2k_her2k_kernelIiLb0ELb0ELb0ELi32EPKfS1_PfEvbiT_T4_T5_S3_lS5_S3_lT6_S3_li
	.p2align	8
	.type	_ZL26rocblas_syr2k_her2k_kernelIiLb0ELb0ELb0ELi32EPKfS1_PfEvbiT_T4_T5_S3_lS5_S3_lT6_S3_li,@function
_ZL26rocblas_syr2k_her2k_kernelIiLb0ELb0ELb0ELi32EPKfS1_PfEvbiT_T4_T5_S3_lS5_S3_lT6_S3_li: ; @_ZL26rocblas_syr2k_her2k_kernelIiLb0ELb0ELb0ELi32EPKfS1_PfEvbiT_T4_T5_S3_lS5_S3_lT6_S3_li
; %bb.0:
	s_load_b128 s[8:11], s[0:1], 0x10
	s_waitcnt lgkmcnt(0)
	s_load_b32 s3, s[8:9], 0x0
	s_waitcnt lgkmcnt(0)
	v_cmp_eq_f32_e64 s2, s3, 0
	s_delay_alu instid0(VALU_DEP_1)
	s_and_b32 vcc_lo, exec_lo, s2
	s_cbranch_vccnz .LBB75_11
; %bb.1:
	s_load_b128 s[4:7], s[0:1], 0x0
	s_lshl_b32 s2, s14, 5
	s_waitcnt lgkmcnt(0)
	s_lshl_b32 s7, s13, 5
	s_and_b32 s4, 1, s4
	s_delay_alu instid0(SALU_CYCLE_1) | instskip(SKIP_1) | instid1(SALU_CYCLE_1)
	s_cmp_eq_u32 s4, 1
	s_cselect_b32 vcc_lo, -1, 0
	s_and_b32 s4, vcc_lo, exec_lo
	s_cselect_b32 s4, s7, s2
	s_cselect_b32 s8, s2, s7
	s_delay_alu instid0(SALU_CYCLE_1)
	s_cmp_gt_i32 s4, s8
	s_cbranch_scc1 .LBB75_11
; %bb.2:
	s_cmp_lt_i32 s6, 1
	s_cbranch_scc1 .LBB75_11
; %bb.3:
	s_clause 0x1
	s_load_b128 s[20:23], s[0:1], 0x28
	s_load_b128 s[16:19], s[0:1], 0x40
	v_bfe_u32 v2, v0, 10, 10
	v_and_b32_e32 v3, 0x3ff, v0
	s_clause 0x1
	s_load_b64 s[8:9], s[0:1], 0x58
	s_load_b32 s4, s[0:1], 0x20
	v_add_nc_u32_e32 v0, s2, v2
	v_add_nc_u32_e32 v5, s7, v3
	s_clause 0x1
	s_load_b32 s7, s[0:1], 0x38
	s_load_b32 s2, s[0:1], 0x50
	v_lshlrev_b32_e32 v8, 2, v2
	v_lshlrev_b32_e32 v4, 7, v3
	v_ashrrev_i32_e32 v1, 31, v0
	v_cndmask_b32_e32 v17, v0, v5, vcc_lo
	v_ashrrev_i32_e32 v6, 31, v5
	v_cndmask_b32_e32 v16, v5, v0, vcc_lo
	v_cmp_gt_i32_e32 vcc_lo, s5, v5
	v_lshlrev_b64 v[14:15], 2, v[0:1]
	v_add_nc_u32_e32 v7, v4, v8
	v_lshlrev_b64 v[12:13], 2, v[5:6]
	s_waitcnt lgkmcnt(0)
	s_mul_i32 s1, s15, s21
	s_mul_hi_u32 s12, s15, s20
	s_mul_i32 s0, s15, s20
	s_add_i32 s1, s12, s1
	s_mul_i32 s13, s15, s17
	s_lshl_b64 s[0:1], s[0:1], 2
	s_mul_hi_u32 s14, s15, s16
	s_add_u32 s10, s10, s0
	s_mul_i32 s12, s15, s16
	s_addc_u32 s11, s11, s1
	s_add_i32 s13, s14, s13
	s_mul_i32 s9, s15, s9
	s_lshl_b64 s[0:1], s[12:13], 2
	s_mul_hi_u32 s14, s15, s8
	s_add_u32 s12, s22, s0
	v_mad_i64_i32 v[9:10], null, s2, v0, 0
	s_mul_i32 s8, s15, s8
	s_addc_u32 s13, s23, s1
	s_add_i32 s9, s14, s9
	v_or_b32_e32 v8, 0x1000, v8
	s_lshl_b64 s[0:1], s[8:9], 2
	s_delay_alu instid0(SALU_CYCLE_1) | instskip(SKIP_1) | instid1(VALU_DEP_1)
	s_add_u32 s8, s18, s0
	v_add_co_u32 v5, s0, s10, v12
	v_add_co_ci_u32_e64 v6, s0, s11, v13, s0
	v_cmp_gt_i32_e64 s0, s5, v0
	v_lshlrev_b64 v[0:1], 2, v[9:10]
	s_addc_u32 s9, s19, s1
	v_add_co_u32 v9, s1, s12, v14
	s_delay_alu instid0(VALU_DEP_1) | instskip(NEXT) | instid1(VALU_DEP_3)
	v_add_co_ci_u32_e64 v10, s1, s13, v15, s1
	v_add_co_u32 v0, s2, s8, v0
	s_delay_alu instid0(VALU_DEP_1) | instskip(SKIP_1) | instid1(VALU_DEP_3)
	v_add_co_ci_u32_e64 v1, s2, s9, v1, s2
	v_cmp_le_i32_e64 s1, v17, v16
	v_add_co_u32 v0, s2, v0, v12
	v_add_nc_u32_e32 v11, v8, v4
	s_delay_alu instid0(VALU_DEP_4) | instskip(SKIP_4) | instid1(SALU_CYCLE_1)
	v_add_co_ci_u32_e64 v1, s2, v1, v13, s2
	v_add_nc_u32_e32 v12, 0x400, v8
	v_add_nc_u32_e32 v13, 0x800, v8
	v_add_nc_u32_e32 v14, 0xc00, v8
	s_and_b32 s5, s0, vcc_lo
	s_and_b32 s2, s5, s1
	s_mov_b32 s5, 0
	s_branch .LBB75_5
.LBB75_4:                               ;   in Loop: Header=BB75_5 Depth=1
	s_or_b32 exec_lo, exec_lo, s1
	s_add_i32 s5, s5, 32
	s_waitcnt_vscnt null, 0x0
	s_cmp_lt_i32 s5, s6
	s_barrier
	buffer_gl0_inv
	s_cbranch_scc0 .LBB75_11
.LBB75_5:                               ; =>This Inner Loop Header: Depth=1
	v_dual_mov_b32 v15, 0 :: v_dual_add_nc_u32 v16, s5, v2
	s_delay_alu instid0(VALU_DEP_1) | instskip(NEXT) | instid1(VALU_DEP_1)
	v_cmp_gt_i32_e64 s1, s6, v16
	s_and_b32 s1, vcc_lo, s1
	s_delay_alu instid0(SALU_CYCLE_1)
	s_and_saveexec_b32 s8, s1
	s_cbranch_execz .LBB75_7
; %bb.6:                                ;   in Loop: Header=BB75_5 Depth=1
	v_mad_i64_i32 v[17:18], null, v16, s4, 0
	s_delay_alu instid0(VALU_DEP_1) | instskip(NEXT) | instid1(VALU_DEP_1)
	v_lshlrev_b64 v[15:16], 2, v[17:18]
	v_add_co_u32 v15, s1, v5, v15
	s_delay_alu instid0(VALU_DEP_1)
	v_add_co_ci_u32_e64 v16, s1, v6, v16, s1
	global_load_b32 v15, v[15:16], off
.LBB75_7:                               ;   in Loop: Header=BB75_5 Depth=1
	s_or_b32 exec_lo, exec_lo, s8
	v_dual_mov_b32 v16, 0 :: v_dual_add_nc_u32 v17, s5, v3
	s_waitcnt vmcnt(0)
	ds_store_b32 v7, v15
	v_cmp_gt_i32_e64 s1, s6, v17
	s_delay_alu instid0(VALU_DEP_1) | instskip(NEXT) | instid1(SALU_CYCLE_1)
	s_and_b32 s1, s0, s1
	s_and_saveexec_b32 s8, s1
	s_cbranch_execz .LBB75_9
; %bb.8:                                ;   in Loop: Header=BB75_5 Depth=1
	v_mad_i64_i32 v[15:16], null, v17, s7, 0
	s_delay_alu instid0(VALU_DEP_1) | instskip(NEXT) | instid1(VALU_DEP_1)
	v_lshlrev_b64 v[15:16], 2, v[15:16]
	v_add_co_u32 v15, s1, v9, v15
	s_delay_alu instid0(VALU_DEP_1)
	v_add_co_ci_u32_e64 v16, s1, v10, v16, s1
	global_load_b32 v16, v[15:16], off
.LBB75_9:                               ;   in Loop: Header=BB75_5 Depth=1
	s_or_b32 exec_lo, exec_lo, s8
	s_waitcnt vmcnt(0)
	ds_store_b32 v11, v16
	s_waitcnt lgkmcnt(0)
	s_barrier
	buffer_gl0_inv
	s_and_saveexec_b32 s1, s2
	s_cbranch_execz .LBB75_4
; %bb.10:                               ;   in Loop: Header=BB75_5 Depth=1
	global_load_b32 v29, v[0:1], off
	ds_load_2addr_b32 v[23:24], v8 offset1:32
	ds_load_b128 v[15:18], v4
	ds_load_2addr_b32 v[25:26], v8 offset0:64 offset1:96
	ds_load_b128 v[19:22], v4 offset:16
	ds_load_2addr_b32 v[27:28], v8 offset0:128 offset1:160
	s_waitcnt lgkmcnt(3)
	v_fma_f32 v30, v15, v23, 0
	s_delay_alu instid0(VALU_DEP_1) | instskip(SKIP_3) | instid1(VALU_DEP_1)
	v_fmac_f32_e32 v30, v16, v24
	ds_load_2addr_b32 v[23:24], v8 offset0:192 offset1:224
	s_waitcnt lgkmcnt(3)
	v_fmac_f32_e32 v30, v17, v25
	v_fmac_f32_e32 v30, v18, v26
	ds_load_2addr_b32 v[25:26], v12 offset1:32
	ds_load_b128 v[15:18], v4 offset:32
	s_waitcnt lgkmcnt(3)
	v_fmac_f32_e32 v30, v19, v27
	s_delay_alu instid0(VALU_DEP_1) | instskip(SKIP_3) | instid1(VALU_DEP_1)
	v_fmac_f32_e32 v30, v20, v28
	ds_load_2addr_b32 v[27:28], v12 offset0:64 offset1:96
	s_waitcnt lgkmcnt(3)
	v_fmac_f32_e32 v30, v21, v23
	v_fmac_f32_e32 v30, v22, v24
	ds_load_b128 v[19:22], v4 offset:48
	ds_load_2addr_b32 v[23:24], v12 offset0:128 offset1:160
	s_waitcnt lgkmcnt(3)
	v_fmac_f32_e32 v30, v15, v25
	s_delay_alu instid0(VALU_DEP_1) | instskip(SKIP_3) | instid1(VALU_DEP_1)
	v_fmac_f32_e32 v30, v16, v26
	ds_load_2addr_b32 v[25:26], v12 offset0:192 offset1:224
	s_waitcnt lgkmcnt(3)
	v_fmac_f32_e32 v30, v17, v27
	v_fmac_f32_e32 v30, v18, v28
	ds_load_2addr_b32 v[27:28], v13 offset1:32
	ds_load_b128 v[15:18], v4 offset:64
	s_waitcnt lgkmcnt(3)
	v_fmac_f32_e32 v30, v19, v23
	s_delay_alu instid0(VALU_DEP_1) | instskip(SKIP_3) | instid1(VALU_DEP_1)
	v_fmac_f32_e32 v30, v20, v24
	ds_load_2addr_b32 v[23:24], v13 offset0:64 offset1:96
	s_waitcnt lgkmcnt(3)
	v_fmac_f32_e32 v30, v21, v25
	v_fmac_f32_e32 v30, v22, v26
	ds_load_b128 v[19:22], v4 offset:80
	ds_load_2addr_b32 v[25:26], v13 offset0:128 offset1:160
	s_waitcnt lgkmcnt(3)
	v_fmac_f32_e32 v30, v15, v27
	s_delay_alu instid0(VALU_DEP_1) | instskip(SKIP_3) | instid1(VALU_DEP_1)
	v_fmac_f32_e32 v30, v16, v28
	ds_load_2addr_b32 v[27:28], v13 offset0:192 offset1:224
	s_waitcnt lgkmcnt(3)
	v_fmac_f32_e32 v30, v17, v23
	v_fmac_f32_e32 v30, v18, v24
	ds_load_2addr_b32 v[23:24], v14 offset1:32
	ds_load_b128 v[15:18], v4 offset:96
	s_waitcnt lgkmcnt(3)
	v_fmac_f32_e32 v30, v19, v25
	s_delay_alu instid0(VALU_DEP_1) | instskip(SKIP_3) | instid1(VALU_DEP_1)
	v_fmac_f32_e32 v30, v20, v26
	ds_load_2addr_b32 v[25:26], v14 offset0:64 offset1:96
	s_waitcnt lgkmcnt(3)
	v_fmac_f32_e32 v30, v21, v27
	v_fmac_f32_e32 v30, v22, v28
	ds_load_b128 v[19:22], v4 offset:112
	ds_load_2addr_b32 v[27:28], v14 offset0:128 offset1:160
	s_waitcnt lgkmcnt(3)
	v_fmac_f32_e32 v30, v15, v23
	s_delay_alu instid0(VALU_DEP_1) | instskip(SKIP_3) | instid1(VALU_DEP_1)
	v_fmac_f32_e32 v30, v16, v24
	ds_load_2addr_b32 v[15:16], v14 offset0:192 offset1:224
	s_waitcnt lgkmcnt(3)
	v_fmac_f32_e32 v30, v17, v25
	v_fmac_f32_e32 v30, v18, v26
	s_waitcnt lgkmcnt(1)
	s_delay_alu instid0(VALU_DEP_1) | instskip(NEXT) | instid1(VALU_DEP_1)
	v_fmac_f32_e32 v30, v19, v27
	v_fmac_f32_e32 v30, v20, v28
	s_waitcnt lgkmcnt(0)
	s_delay_alu instid0(VALU_DEP_1) | instskip(NEXT) | instid1(VALU_DEP_1)
	v_fmac_f32_e32 v30, v21, v15
	v_fmac_f32_e32 v30, v22, v16
	s_waitcnt vmcnt(0)
	s_delay_alu instid0(VALU_DEP_1)
	v_fmac_f32_e32 v29, s3, v30
	global_store_b32 v[0:1], v29, off
	s_branch .LBB75_4
.LBB75_11:
	s_endpgm
	.section	.rodata,"a",@progbits
	.p2align	6, 0x0
	.amdhsa_kernel _ZL26rocblas_syr2k_her2k_kernelIiLb0ELb0ELb0ELi32EPKfS1_PfEvbiT_T4_T5_S3_lS5_S3_lT6_S3_li
		.amdhsa_group_segment_fixed_size 8192
		.amdhsa_private_segment_fixed_size 0
		.amdhsa_kernarg_size 100
		.amdhsa_user_sgpr_count 13
		.amdhsa_user_sgpr_dispatch_ptr 0
		.amdhsa_user_sgpr_queue_ptr 0
		.amdhsa_user_sgpr_kernarg_segment_ptr 1
		.amdhsa_user_sgpr_dispatch_id 0
		.amdhsa_user_sgpr_private_segment_size 0
		.amdhsa_wavefront_size32 1
		.amdhsa_uses_dynamic_stack 0
		.amdhsa_enable_private_segment 0
		.amdhsa_system_sgpr_workgroup_id_x 1
		.amdhsa_system_sgpr_workgroup_id_y 1
		.amdhsa_system_sgpr_workgroup_id_z 1
		.amdhsa_system_sgpr_workgroup_info 0
		.amdhsa_system_vgpr_workitem_id 1
		.amdhsa_next_free_vgpr 31
		.amdhsa_next_free_sgpr 24
		.amdhsa_reserve_vcc 1
		.amdhsa_float_round_mode_32 0
		.amdhsa_float_round_mode_16_64 0
		.amdhsa_float_denorm_mode_32 3
		.amdhsa_float_denorm_mode_16_64 3
		.amdhsa_dx10_clamp 1
		.amdhsa_ieee_mode 1
		.amdhsa_fp16_overflow 0
		.amdhsa_workgroup_processor_mode 1
		.amdhsa_memory_ordered 1
		.amdhsa_forward_progress 0
		.amdhsa_shared_vgpr_count 0
		.amdhsa_exception_fp_ieee_invalid_op 0
		.amdhsa_exception_fp_denorm_src 0
		.amdhsa_exception_fp_ieee_div_zero 0
		.amdhsa_exception_fp_ieee_overflow 0
		.amdhsa_exception_fp_ieee_underflow 0
		.amdhsa_exception_fp_ieee_inexact 0
		.amdhsa_exception_int_div_zero 0
	.end_amdhsa_kernel
	.section	.text._ZL26rocblas_syr2k_her2k_kernelIiLb0ELb0ELb0ELi32EPKfS1_PfEvbiT_T4_T5_S3_lS5_S3_lT6_S3_li,"axG",@progbits,_ZL26rocblas_syr2k_her2k_kernelIiLb0ELb0ELb0ELi32EPKfS1_PfEvbiT_T4_T5_S3_lS5_S3_lT6_S3_li,comdat
.Lfunc_end75:
	.size	_ZL26rocblas_syr2k_her2k_kernelIiLb0ELb0ELb0ELi32EPKfS1_PfEvbiT_T4_T5_S3_lS5_S3_lT6_S3_li, .Lfunc_end75-_ZL26rocblas_syr2k_her2k_kernelIiLb0ELb0ELb0ELi32EPKfS1_PfEvbiT_T4_T5_S3_lS5_S3_lT6_S3_li
                                        ; -- End function
	.section	.AMDGPU.csdata,"",@progbits
; Kernel info:
; codeLenInByte = 1208
; NumSgprs: 26
; NumVgprs: 31
; ScratchSize: 0
; MemoryBound: 0
; FloatMode: 240
; IeeeMode: 1
; LDSByteSize: 8192 bytes/workgroup (compile time only)
; SGPRBlocks: 3
; VGPRBlocks: 3
; NumSGPRsForWavesPerEU: 26
; NumVGPRsForWavesPerEU: 31
; Occupancy: 16
; WaveLimiterHint : 0
; COMPUTE_PGM_RSRC2:SCRATCH_EN: 0
; COMPUTE_PGM_RSRC2:USER_SGPR: 13
; COMPUTE_PGM_RSRC2:TRAP_HANDLER: 0
; COMPUTE_PGM_RSRC2:TGID_X_EN: 1
; COMPUTE_PGM_RSRC2:TGID_Y_EN: 1
; COMPUTE_PGM_RSRC2:TGID_Z_EN: 1
; COMPUTE_PGM_RSRC2:TIDIG_COMP_CNT: 1
	.section	.text._ZL26rocblas_syr2k_her2k_kernelIiLb0ELb0ELb1ELi32EPKfS1_PfEvbiT_T4_T5_S3_lS5_S3_lT6_S3_li,"axG",@progbits,_ZL26rocblas_syr2k_her2k_kernelIiLb0ELb0ELb1ELi32EPKfS1_PfEvbiT_T4_T5_S3_lS5_S3_lT6_S3_li,comdat
	.globl	_ZL26rocblas_syr2k_her2k_kernelIiLb0ELb0ELb1ELi32EPKfS1_PfEvbiT_T4_T5_S3_lS5_S3_lT6_S3_li ; -- Begin function _ZL26rocblas_syr2k_her2k_kernelIiLb0ELb0ELb1ELi32EPKfS1_PfEvbiT_T4_T5_S3_lS5_S3_lT6_S3_li
	.p2align	8
	.type	_ZL26rocblas_syr2k_her2k_kernelIiLb0ELb0ELb1ELi32EPKfS1_PfEvbiT_T4_T5_S3_lS5_S3_lT6_S3_li,@function
_ZL26rocblas_syr2k_her2k_kernelIiLb0ELb0ELb1ELi32EPKfS1_PfEvbiT_T4_T5_S3_lS5_S3_lT6_S3_li: ; @_ZL26rocblas_syr2k_her2k_kernelIiLb0ELb0ELb1ELi32EPKfS1_PfEvbiT_T4_T5_S3_lS5_S3_lT6_S3_li
; %bb.0:
	s_load_b128 s[8:11], s[0:1], 0x10
	s_waitcnt lgkmcnt(0)
	s_load_b32 s3, s[8:9], 0x0
	s_waitcnt lgkmcnt(0)
	v_cmp_eq_f32_e64 s2, s3, 0
	s_delay_alu instid0(VALU_DEP_1)
	s_and_b32 vcc_lo, exec_lo, s2
	s_cbranch_vccnz .LBB76_11
; %bb.1:
	s_load_b128 s[4:7], s[0:1], 0x0
	s_lshl_b32 s2, s14, 5
	s_waitcnt lgkmcnt(0)
	s_and_b32 s7, 1, s4
	s_lshl_b32 s4, s13, 5
	s_cmp_eq_u32 s7, 1
	s_cselect_b32 vcc_lo, -1, 0
	s_delay_alu instid0(SALU_CYCLE_1) | instskip(SKIP_2) | instid1(SALU_CYCLE_1)
	s_and_b32 s7, vcc_lo, exec_lo
	s_cselect_b32 s7, s4, s2
	s_cselect_b32 s8, s2, s4
	s_cmp_gt_i32 s7, s8
	s_cbranch_scc1 .LBB76_11
; %bb.2:
	s_cmp_lt_i32 s6, 1
	s_cbranch_scc1 .LBB76_11
; %bb.3:
	v_and_b32_e32 v4, 0x3ff, v0
	v_bfe_u32 v5, v0, 10, 10
	s_clause 0x2
	s_load_b128 s[20:23], s[0:1], 0x28
	s_load_b128 s[16:19], s[0:1], 0x40
	s_load_b64 s[8:9], s[0:1], 0x58
	v_add_nc_u32_e32 v0, s4, v4
	v_add_nc_u32_e32 v13, s2, v5
	s_clause 0x2
	s_load_b32 s2, s[0:1], 0x20
	s_load_b32 s4, s[0:1], 0x38
	;; [unrolled: 1-line block ×3, first 2 shown]
	v_lshlrev_b32_e32 v14, 2, v5
	v_lshlrev_b32_e32 v6, 7, v4
	v_ashrrev_i32_e32 v1, 31, v0
	v_dual_cndmask_b32 v16, v0, v13 :: v_dual_cndmask_b32 v17, v13, v0
	v_cmp_gt_i32_e32 vcc_lo, s5, v0
	s_waitcnt lgkmcnt(0)
	s_mul_i32 s1, s15, s21
	s_mul_hi_u32 s13, s15, s20
	s_mul_i32 s0, s15, s20
	s_add_i32 s1, s13, s1
	v_mad_i64_i32 v[2:3], null, s2, v0, 0
	s_lshl_b64 s[0:1], s[0:1], 2
	s_mul_i32 s14, s15, s17
	s_mul_hi_u32 s17, s15, s16
	s_add_u32 s10, s10, s0
	s_mul_i32 s12, s15, s16
	s_addc_u32 s11, s11, s1
	s_add_i32 s13, s17, s14
	s_mul_i32 s9, s15, s9
	s_lshl_b64 s[0:1], s[12:13], 2
	s_mul_hi_u32 s16, s15, s8
	v_lshlrev_b64 v[2:3], 2, v[2:3]
	v_mad_i64_i32 v[9:10], null, s4, v13, 0
	v_mad_i64_i32 v[11:12], null, s7, v13, 0
	s_add_u32 s2, s22, s0
	s_mul_i32 s8, s15, s8
	s_addc_u32 s12, s23, s1
	s_add_i32 s9, s16, s9
	v_lshlrev_b64 v[0:1], 2, v[0:1]
	s_lshl_b64 s[0:1], s[8:9], 2
	s_delay_alu instid0(SALU_CYCLE_1) | instskip(SKIP_1) | instid1(VALU_DEP_1)
	s_add_u32 s8, s18, s0
	v_add_co_u32 v7, s0, s10, v2
	v_add_co_ci_u32_e64 v8, s0, s11, v3, s0
	v_lshlrev_b64 v[2:3], 2, v[9:10]
	v_add_nc_u32_e32 v9, v6, v14
	v_or_b32_e32 v10, 0x1000, v14
	v_lshlrev_b64 v[14:15], 2, v[11:12]
	s_addc_u32 s9, s19, s1
	v_cmp_gt_i32_e64 s0, s5, v13
	v_add_co_u32 v11, s1, s2, v2
	s_delay_alu instid0(VALU_DEP_1) | instskip(NEXT) | instid1(VALU_DEP_4)
	v_add_co_ci_u32_e64 v12, s1, s12, v3, s1
	v_add_co_u32 v2, s2, s8, v14
	s_delay_alu instid0(VALU_DEP_1) | instskip(SKIP_1) | instid1(VALU_DEP_3)
	v_add_co_ci_u32_e64 v3, s2, s9, v15, s2
	v_cmp_le_i32_e64 s1, v17, v16
	v_add_co_u32 v0, s2, v2, v0
	v_add_nc_u32_e32 v13, v10, v6
	s_delay_alu instid0(VALU_DEP_4) | instskip(SKIP_4) | instid1(SALU_CYCLE_1)
	v_add_co_ci_u32_e64 v1, s2, v3, v1, s2
	v_add_nc_u32_e32 v14, 0x400, v10
	v_add_nc_u32_e32 v15, 0x800, v10
	;; [unrolled: 1-line block ×3, first 2 shown]
	s_and_b32 s4, s0, vcc_lo
	s_and_b32 s2, s4, s1
	s_mov_b32 s4, 0
	s_branch .LBB76_5
.LBB76_4:                               ;   in Loop: Header=BB76_5 Depth=1
	s_or_b32 exec_lo, exec_lo, s1
	s_add_i32 s4, s4, 32
	s_waitcnt_vscnt null, 0x0
	s_cmp_lt_i32 s4, s6
	s_barrier
	buffer_gl0_inv
	s_cbranch_scc0 .LBB76_11
.LBB76_5:                               ; =>This Inner Loop Header: Depth=1
	v_dual_mov_b32 v3, 0 :: v_dual_add_nc_u32 v2, s4, v5
	s_delay_alu instid0(VALU_DEP_1) | instskip(NEXT) | instid1(VALU_DEP_1)
	v_cmp_gt_i32_e64 s1, s6, v2
	s_and_b32 s1, vcc_lo, s1
	s_delay_alu instid0(SALU_CYCLE_1)
	s_and_saveexec_b32 s5, s1
	s_cbranch_execz .LBB76_7
; %bb.6:                                ;   in Loop: Header=BB76_5 Depth=1
	v_ashrrev_i32_e32 v3, 31, v2
	s_delay_alu instid0(VALU_DEP_1) | instskip(NEXT) | instid1(VALU_DEP_1)
	v_lshlrev_b64 v[2:3], 2, v[2:3]
	v_add_co_u32 v2, s1, v7, v2
	s_delay_alu instid0(VALU_DEP_1)
	v_add_co_ci_u32_e64 v3, s1, v8, v3, s1
	global_load_b32 v3, v[2:3], off
.LBB76_7:                               ;   in Loop: Header=BB76_5 Depth=1
	s_or_b32 exec_lo, exec_lo, s5
	v_dual_mov_b32 v17, 0 :: v_dual_add_nc_u32 v2, s4, v4
	s_waitcnt vmcnt(0)
	ds_store_b32 v9, v3
	v_cmp_gt_i32_e64 s1, s6, v2
	s_delay_alu instid0(VALU_DEP_1) | instskip(NEXT) | instid1(SALU_CYCLE_1)
	s_and_b32 s1, s0, s1
	s_and_saveexec_b32 s5, s1
	s_cbranch_execz .LBB76_9
; %bb.8:                                ;   in Loop: Header=BB76_5 Depth=1
	v_ashrrev_i32_e32 v3, 31, v2
	s_delay_alu instid0(VALU_DEP_1) | instskip(NEXT) | instid1(VALU_DEP_1)
	v_lshlrev_b64 v[2:3], 2, v[2:3]
	v_add_co_u32 v2, s1, v11, v2
	s_delay_alu instid0(VALU_DEP_1)
	v_add_co_ci_u32_e64 v3, s1, v12, v3, s1
	global_load_b32 v17, v[2:3], off
.LBB76_9:                               ;   in Loop: Header=BB76_5 Depth=1
	s_or_b32 exec_lo, exec_lo, s5
	s_waitcnt vmcnt(0)
	ds_store_b32 v13, v17
	s_waitcnt lgkmcnt(0)
	s_barrier
	buffer_gl0_inv
	s_and_saveexec_b32 s1, s2
	s_cbranch_execz .LBB76_4
; %bb.10:                               ;   in Loop: Header=BB76_5 Depth=1
	global_load_b32 v29, v[0:1], off
	ds_load_2addr_b32 v[2:3], v10 offset1:32
	ds_load_b128 v[17:20], v6
	ds_load_2addr_b32 v[25:26], v10 offset0:64 offset1:96
	ds_load_b128 v[21:24], v6 offset:16
	ds_load_2addr_b32 v[27:28], v10 offset0:128 offset1:160
	s_waitcnt lgkmcnt(3)
	v_fma_f32 v30, v17, v2, 0
	s_delay_alu instid0(VALU_DEP_1) | instskip(SKIP_3) | instid1(VALU_DEP_1)
	v_fmac_f32_e32 v30, v18, v3
	ds_load_2addr_b32 v[2:3], v10 offset0:192 offset1:224
	s_waitcnt lgkmcnt(3)
	v_fmac_f32_e32 v30, v19, v25
	v_fmac_f32_e32 v30, v20, v26
	ds_load_2addr_b32 v[25:26], v14 offset1:32
	ds_load_b128 v[17:20], v6 offset:32
	s_waitcnt lgkmcnt(3)
	v_fmac_f32_e32 v30, v21, v27
	s_delay_alu instid0(VALU_DEP_1) | instskip(SKIP_3) | instid1(VALU_DEP_1)
	v_fmac_f32_e32 v30, v22, v28
	ds_load_2addr_b32 v[27:28], v14 offset0:64 offset1:96
	s_waitcnt lgkmcnt(3)
	v_fmac_f32_e32 v30, v23, v2
	v_fmac_f32_e32 v30, v24, v3
	ds_load_b128 v[21:24], v6 offset:48
	ds_load_2addr_b32 v[2:3], v14 offset0:128 offset1:160
	s_waitcnt lgkmcnt(3)
	v_fmac_f32_e32 v30, v17, v25
	s_delay_alu instid0(VALU_DEP_1) | instskip(SKIP_3) | instid1(VALU_DEP_1)
	v_fmac_f32_e32 v30, v18, v26
	ds_load_2addr_b32 v[25:26], v14 offset0:192 offset1:224
	s_waitcnt lgkmcnt(3)
	v_fmac_f32_e32 v30, v19, v27
	v_fmac_f32_e32 v30, v20, v28
	ds_load_2addr_b32 v[27:28], v15 offset1:32
	ds_load_b128 v[17:20], v6 offset:64
	s_waitcnt lgkmcnt(3)
	v_fmac_f32_e32 v30, v21, v2
	s_delay_alu instid0(VALU_DEP_1) | instskip(SKIP_3) | instid1(VALU_DEP_1)
	v_fmac_f32_e32 v30, v22, v3
	ds_load_2addr_b32 v[2:3], v15 offset0:64 offset1:96
	s_waitcnt lgkmcnt(3)
	v_fmac_f32_e32 v30, v23, v25
	v_fmac_f32_e32 v30, v24, v26
	ds_load_b128 v[21:24], v6 offset:80
	ds_load_2addr_b32 v[25:26], v15 offset0:128 offset1:160
	s_waitcnt lgkmcnt(3)
	v_fmac_f32_e32 v30, v17, v27
	;; [unrolled: 20-line block ×3, first 2 shown]
	s_delay_alu instid0(VALU_DEP_1) | instskip(SKIP_3) | instid1(VALU_DEP_1)
	v_fmac_f32_e32 v30, v18, v3
	ds_load_2addr_b32 v[2:3], v16 offset0:192 offset1:224
	s_waitcnt lgkmcnt(3)
	v_fmac_f32_e32 v30, v19, v25
	v_fmac_f32_e32 v30, v20, v26
	s_waitcnt lgkmcnt(1)
	s_delay_alu instid0(VALU_DEP_1) | instskip(NEXT) | instid1(VALU_DEP_1)
	v_fmac_f32_e32 v30, v21, v27
	v_fmac_f32_e32 v30, v22, v28
	s_waitcnt lgkmcnt(0)
	s_delay_alu instid0(VALU_DEP_1) | instskip(NEXT) | instid1(VALU_DEP_1)
	v_fmac_f32_e32 v30, v23, v2
	v_fmac_f32_e32 v30, v24, v3
	s_waitcnt vmcnt(0)
	s_delay_alu instid0(VALU_DEP_1)
	v_fmac_f32_e32 v29, s3, v30
	global_store_b32 v[0:1], v29, off
	s_branch .LBB76_4
.LBB76_11:
	s_endpgm
	.section	.rodata,"a",@progbits
	.p2align	6, 0x0
	.amdhsa_kernel _ZL26rocblas_syr2k_her2k_kernelIiLb0ELb0ELb1ELi32EPKfS1_PfEvbiT_T4_T5_S3_lS5_S3_lT6_S3_li
		.amdhsa_group_segment_fixed_size 8192
		.amdhsa_private_segment_fixed_size 0
		.amdhsa_kernarg_size 100
		.amdhsa_user_sgpr_count 13
		.amdhsa_user_sgpr_dispatch_ptr 0
		.amdhsa_user_sgpr_queue_ptr 0
		.amdhsa_user_sgpr_kernarg_segment_ptr 1
		.amdhsa_user_sgpr_dispatch_id 0
		.amdhsa_user_sgpr_private_segment_size 0
		.amdhsa_wavefront_size32 1
		.amdhsa_uses_dynamic_stack 0
		.amdhsa_enable_private_segment 0
		.amdhsa_system_sgpr_workgroup_id_x 1
		.amdhsa_system_sgpr_workgroup_id_y 1
		.amdhsa_system_sgpr_workgroup_id_z 1
		.amdhsa_system_sgpr_workgroup_info 0
		.amdhsa_system_vgpr_workitem_id 1
		.amdhsa_next_free_vgpr 31
		.amdhsa_next_free_sgpr 24
		.amdhsa_reserve_vcc 1
		.amdhsa_float_round_mode_32 0
		.amdhsa_float_round_mode_16_64 0
		.amdhsa_float_denorm_mode_32 3
		.amdhsa_float_denorm_mode_16_64 3
		.amdhsa_dx10_clamp 1
		.amdhsa_ieee_mode 1
		.amdhsa_fp16_overflow 0
		.amdhsa_workgroup_processor_mode 1
		.amdhsa_memory_ordered 1
		.amdhsa_forward_progress 0
		.amdhsa_shared_vgpr_count 0
		.amdhsa_exception_fp_ieee_invalid_op 0
		.amdhsa_exception_fp_denorm_src 0
		.amdhsa_exception_fp_ieee_div_zero 0
		.amdhsa_exception_fp_ieee_overflow 0
		.amdhsa_exception_fp_ieee_underflow 0
		.amdhsa_exception_fp_ieee_inexact 0
		.amdhsa_exception_int_div_zero 0
	.end_amdhsa_kernel
	.section	.text._ZL26rocblas_syr2k_her2k_kernelIiLb0ELb0ELb1ELi32EPKfS1_PfEvbiT_T4_T5_S3_lS5_S3_lT6_S3_li,"axG",@progbits,_ZL26rocblas_syr2k_her2k_kernelIiLb0ELb0ELb1ELi32EPKfS1_PfEvbiT_T4_T5_S3_lS5_S3_lT6_S3_li,comdat
.Lfunc_end76:
	.size	_ZL26rocblas_syr2k_her2k_kernelIiLb0ELb0ELb1ELi32EPKfS1_PfEvbiT_T4_T5_S3_lS5_S3_lT6_S3_li, .Lfunc_end76-_ZL26rocblas_syr2k_her2k_kernelIiLb0ELb0ELb1ELi32EPKfS1_PfEvbiT_T4_T5_S3_lS5_S3_lT6_S3_li
                                        ; -- End function
	.section	.AMDGPU.csdata,"",@progbits
; Kernel info:
; codeLenInByte = 1212
; NumSgprs: 26
; NumVgprs: 31
; ScratchSize: 0
; MemoryBound: 0
; FloatMode: 240
; IeeeMode: 1
; LDSByteSize: 8192 bytes/workgroup (compile time only)
; SGPRBlocks: 3
; VGPRBlocks: 3
; NumSGPRsForWavesPerEU: 26
; NumVGPRsForWavesPerEU: 31
; Occupancy: 16
; WaveLimiterHint : 0
; COMPUTE_PGM_RSRC2:SCRATCH_EN: 0
; COMPUTE_PGM_RSRC2:USER_SGPR: 13
; COMPUTE_PGM_RSRC2:TRAP_HANDLER: 0
; COMPUTE_PGM_RSRC2:TGID_X_EN: 1
; COMPUTE_PGM_RSRC2:TGID_Y_EN: 1
; COMPUTE_PGM_RSRC2:TGID_Z_EN: 1
; COMPUTE_PGM_RSRC2:TIDIG_COMP_CNT: 1
	.section	.text._ZL26rocblas_syr2k_her2k_kernelIiLb0ELb0ELb0ELi32EdPKdPdEvbiT_T4_T5_S3_lS5_S3_lT6_S3_li,"axG",@progbits,_ZL26rocblas_syr2k_her2k_kernelIiLb0ELb0ELb0ELi32EdPKdPdEvbiT_T4_T5_S3_lS5_S3_lT6_S3_li,comdat
	.globl	_ZL26rocblas_syr2k_her2k_kernelIiLb0ELb0ELb0ELi32EdPKdPdEvbiT_T4_T5_S3_lS5_S3_lT6_S3_li ; -- Begin function _ZL26rocblas_syr2k_her2k_kernelIiLb0ELb0ELb0ELi32EdPKdPdEvbiT_T4_T5_S3_lS5_S3_lT6_S3_li
	.p2align	8
	.type	_ZL26rocblas_syr2k_her2k_kernelIiLb0ELb0ELb0ELi32EdPKdPdEvbiT_T4_T5_S3_lS5_S3_lT6_S3_li,@function
_ZL26rocblas_syr2k_her2k_kernelIiLb0ELb0ELb0ELi32EdPKdPdEvbiT_T4_T5_S3_lS5_S3_lT6_S3_li: ; @_ZL26rocblas_syr2k_her2k_kernelIiLb0ELb0ELb0ELi32EdPKdPdEvbiT_T4_T5_S3_lS5_S3_lT6_S3_li
; %bb.0:
	s_load_b128 s[4:7], s[0:1], 0x10
	s_waitcnt lgkmcnt(0)
	v_cmp_eq_f64_e64 s2, s[4:5], 0
	s_delay_alu instid0(VALU_DEP_1)
	s_and_b32 vcc_lo, exec_lo, s2
	s_cbranch_vccnz .LBB77_11
; %bb.1:
	s_load_b128 s[8:11], s[0:1], 0x0
	s_lshl_b32 s2, s14, 5
	s_waitcnt lgkmcnt(0)
	s_and_b32 s3, 1, s8
	s_lshl_b32 s8, s13, 5
	s_cmp_eq_u32 s3, 1
	s_cselect_b32 vcc_lo, -1, 0
	s_delay_alu instid0(SALU_CYCLE_1) | instskip(SKIP_2) | instid1(SALU_CYCLE_1)
	s_and_b32 s3, vcc_lo, exec_lo
	s_cselect_b32 s3, s8, s2
	s_cselect_b32 s11, s2, s8
	s_cmp_gt_i32 s3, s11
	s_cbranch_scc1 .LBB77_11
; %bb.2:
	s_cmp_lt_i32 s10, 1
	s_cbranch_scc1 .LBB77_11
; %bb.3:
	s_clause 0x1
	s_load_b128 s[20:23], s[0:1], 0x28
	s_load_b128 s[16:19], s[0:1], 0x40
	v_bfe_u32 v6, v0, 10, 10
	v_and_b32_e32 v7, 0x3ff, v0
	s_clause 0x1
	s_load_b64 s[12:13], s[0:1], 0x58
	s_load_b32 s3, s[0:1], 0x20
	v_add_nc_u32_e32 v0, s2, v6
	v_add_nc_u32_e32 v1, s8, v7
	s_clause 0x1
	s_load_b32 s8, s[0:1], 0x38
	s_load_b32 s2, s[0:1], 0x50
	v_lshlrev_b32_e32 v12, 3, v6
	v_dual_cndmask_b32 v17, v0, v1 :: v_dual_lshlrev_b32 v8, 8, v7
	v_ashrrev_i32_e32 v2, 31, v1
	v_cndmask_b32_e32 v16, v1, v0, vcc_lo
	v_cmp_gt_i32_e32 vcc_lo, s9, v1
	s_delay_alu instid0(VALU_DEP_4)
	v_add_nc_u32_e32 v11, v8, v12
	v_or_b32_e32 v12, 0x2000, v12
	v_lshlrev_b64 v[2:3], 3, v[1:2]
	s_waitcnt lgkmcnt(0)
	s_mul_i32 s1, s15, s21
	s_mul_hi_u32 s11, s15, s20
	s_mul_i32 s0, s15, s20
	s_add_i32 s1, s11, s1
	s_mul_i32 s14, s15, s17
	s_lshl_b64 s[0:1], s[0:1], 3
	s_mul_hi_u32 s17, s15, s16
	s_mul_i32 s11, s15, s13
	s_add_u32 s13, s6, s0
	s_mul_i32 s16, s15, s16
	s_addc_u32 s20, s7, s1
	s_add_i32 s17, s17, s14
	s_mul_hi_u32 s7, s15, s12
	s_lshl_b64 s[0:1], s[16:17], 3
	s_mul_i32 s6, s15, s12
	s_add_u32 s12, s22, s0
	v_mad_i64_i32 v[4:5], null, s2, v0, 0
	s_addc_u32 s14, s23, s1
	s_add_i32 s7, s7, s11
	v_ashrrev_i32_e32 v1, 31, v0
	s_lshl_b64 s[0:1], s[6:7], 3
	v_add_nc_u32_e32 v15, v12, v8
	s_add_u32 s6, s18, s0
	v_add_co_u32 v9, s0, s13, v2
	s_delay_alu instid0(VALU_DEP_1)
	v_add_co_ci_u32_e64 v10, s0, s20, v3, s0
	v_lshlrev_b64 v[13:14], 3, v[0:1]
	v_cmp_gt_i32_e64 s0, s9, v0
	v_lshlrev_b64 v[0:1], 3, v[4:5]
	s_addc_u32 s7, s19, s1
	v_add_nc_u32_e32 v18, 0x1800, v12
	s_delay_alu instid0(VALU_DEP_4) | instskip(NEXT) | instid1(VALU_DEP_3)
	v_add_co_u32 v13, s1, s12, v13
	v_add_co_u32 v0, s2, s6, v0
	s_delay_alu instid0(VALU_DEP_1) | instskip(SKIP_2) | instid1(VALU_DEP_4)
	v_add_co_ci_u32_e64 v1, s2, s7, v1, s2
	v_add_co_ci_u32_e64 v14, s1, s14, v14, s1
	v_cmp_le_i32_e64 s1, v17, v16
	v_add_co_u32 v0, s2, v0, v2
	s_delay_alu instid0(VALU_DEP_1) | instskip(SKIP_3) | instid1(SALU_CYCLE_1)
	v_add_co_ci_u32_e64 v1, s2, v1, v3, s2
	v_add_nc_u32_e32 v16, 0x800, v12
	v_add_nc_u32_e32 v17, 0x1000, v12
	s_and_b32 s6, s0, vcc_lo
	s_and_b32 s2, s6, s1
	s_mov_b32 s6, 0
	s_branch .LBB77_5
.LBB77_4:                               ;   in Loop: Header=BB77_5 Depth=1
	s_or_b32 exec_lo, exec_lo, s1
	s_add_i32 s6, s6, 32
	s_waitcnt_vscnt null, 0x0
	s_cmp_lt_i32 s6, s10
	s_barrier
	buffer_gl0_inv
	s_cbranch_scc0 .LBB77_11
.LBB77_5:                               ; =>This Inner Loop Header: Depth=1
	v_dual_mov_b32 v2, 0 :: v_dual_add_nc_u32 v19, s6, v6
	v_mov_b32_e32 v3, 0
	s_delay_alu instid0(VALU_DEP_2) | instskip(NEXT) | instid1(VALU_DEP_2)
	v_cmp_gt_i32_e64 s1, s10, v19
	v_dual_mov_b32 v5, v3 :: v_dual_mov_b32 v4, v2
	s_delay_alu instid0(VALU_DEP_2) | instskip(NEXT) | instid1(SALU_CYCLE_1)
	s_and_b32 s1, vcc_lo, s1
	s_and_saveexec_b32 s7, s1
	s_cbranch_execz .LBB77_7
; %bb.6:                                ;   in Loop: Header=BB77_5 Depth=1
	v_mad_i64_i32 v[4:5], null, v19, s3, 0
	s_delay_alu instid0(VALU_DEP_1) | instskip(NEXT) | instid1(VALU_DEP_1)
	v_lshlrev_b64 v[4:5], 3, v[4:5]
	v_add_co_u32 v4, s1, v9, v4
	s_delay_alu instid0(VALU_DEP_1)
	v_add_co_ci_u32_e64 v5, s1, v10, v5, s1
	global_load_b64 v[4:5], v[4:5], off
.LBB77_7:                               ;   in Loop: Header=BB77_5 Depth=1
	s_or_b32 exec_lo, exec_lo, s7
	v_add_nc_u32_e32 v19, s6, v7
	s_waitcnt vmcnt(0)
	ds_store_b64 v11, v[4:5]
	v_cmp_gt_i32_e64 s1, s10, v19
	s_delay_alu instid0(VALU_DEP_1) | instskip(NEXT) | instid1(SALU_CYCLE_1)
	s_and_b32 s1, s0, s1
	s_and_saveexec_b32 s7, s1
	s_cbranch_execz .LBB77_9
; %bb.8:                                ;   in Loop: Header=BB77_5 Depth=1
	v_mad_i64_i32 v[2:3], null, v19, s8, 0
	s_delay_alu instid0(VALU_DEP_1) | instskip(NEXT) | instid1(VALU_DEP_1)
	v_lshlrev_b64 v[2:3], 3, v[2:3]
	v_add_co_u32 v2, s1, v13, v2
	s_delay_alu instid0(VALU_DEP_1)
	v_add_co_ci_u32_e64 v3, s1, v14, v3, s1
	global_load_b64 v[2:3], v[2:3], off
.LBB77_9:                               ;   in Loop: Header=BB77_5 Depth=1
	s_or_b32 exec_lo, exec_lo, s7
	s_waitcnt vmcnt(0)
	ds_store_b64 v15, v[2:3]
	s_waitcnt lgkmcnt(0)
	s_barrier
	buffer_gl0_inv
	s_and_saveexec_b32 s1, s2
	s_cbranch_execz .LBB77_4
; %bb.10:                               ;   in Loop: Header=BB77_5 Depth=1
	ds_load_2addr_b64 v[2:5], v12 offset1:32
	ds_load_b128 v[19:22], v8
	ds_load_b128 v[23:26], v8 offset:16
	s_waitcnt lgkmcnt(1)
	v_fma_f64 v[2:3], v[19:20], v[2:3], 0
	s_delay_alu instid0(VALU_DEP_1) | instskip(SKIP_3) | instid1(VALU_DEP_1)
	v_fma_f64 v[19:20], v[21:22], v[4:5], v[2:3]
	ds_load_2addr_b64 v[2:5], v12 offset0:64 offset1:96
	s_waitcnt lgkmcnt(0)
	v_fma_f64 v[2:3], v[23:24], v[2:3], v[19:20]
	v_fma_f64 v[27:28], v[25:26], v[4:5], v[2:3]
	ds_load_2addr_b64 v[2:5], v12 offset0:128 offset1:160
	ds_load_b128 v[19:22], v8 offset:32
	ds_load_b128 v[23:26], v8 offset:48
	s_waitcnt lgkmcnt(1)
	v_fma_f64 v[2:3], v[19:20], v[2:3], v[27:28]
	s_delay_alu instid0(VALU_DEP_1) | instskip(SKIP_3) | instid1(VALU_DEP_1)
	v_fma_f64 v[19:20], v[21:22], v[4:5], v[2:3]
	ds_load_2addr_b64 v[2:5], v12 offset0:192 offset1:224
	s_waitcnt lgkmcnt(0)
	v_fma_f64 v[2:3], v[23:24], v[2:3], v[19:20]
	v_fma_f64 v[27:28], v[25:26], v[4:5], v[2:3]
	ds_load_2addr_b64 v[2:5], v16 offset1:32
	ds_load_b128 v[19:22], v8 offset:64
	ds_load_b128 v[23:26], v8 offset:80
	s_waitcnt lgkmcnt(1)
	v_fma_f64 v[2:3], v[19:20], v[2:3], v[27:28]
	s_delay_alu instid0(VALU_DEP_1) | instskip(SKIP_3) | instid1(VALU_DEP_1)
	v_fma_f64 v[19:20], v[21:22], v[4:5], v[2:3]
	ds_load_2addr_b64 v[2:5], v16 offset0:64 offset1:96
	s_waitcnt lgkmcnt(0)
	v_fma_f64 v[2:3], v[23:24], v[2:3], v[19:20]
	v_fma_f64 v[27:28], v[25:26], v[4:5], v[2:3]
	ds_load_2addr_b64 v[2:5], v16 offset0:128 offset1:160
	ds_load_b128 v[19:22], v8 offset:96
	ds_load_b128 v[23:26], v8 offset:112
	s_waitcnt lgkmcnt(1)
	v_fma_f64 v[2:3], v[19:20], v[2:3], v[27:28]
	s_delay_alu instid0(VALU_DEP_1) | instskip(SKIP_3) | instid1(VALU_DEP_1)
	v_fma_f64 v[19:20], v[21:22], v[4:5], v[2:3]
	ds_load_2addr_b64 v[2:5], v16 offset0:192 offset1:224
	s_waitcnt lgkmcnt(0)
	v_fma_f64 v[2:3], v[23:24], v[2:3], v[19:20]
	v_fma_f64 v[27:28], v[25:26], v[4:5], v[2:3]
	ds_load_2addr_b64 v[2:5], v17 offset1:32
	ds_load_b128 v[19:22], v8 offset:128
	;; [unrolled: 22-line block ×3, first 2 shown]
	global_load_b64 v[29:30], v[0:1], off
	ds_load_b128 v[23:26], v8 offset:208
	s_waitcnt lgkmcnt(1)
	v_fma_f64 v[2:3], v[19:20], v[2:3], v[27:28]
	s_delay_alu instid0(VALU_DEP_1) | instskip(SKIP_3) | instid1(VALU_DEP_1)
	v_fma_f64 v[19:20], v[21:22], v[4:5], v[2:3]
	ds_load_2addr_b64 v[2:5], v18 offset0:64 offset1:96
	s_waitcnt lgkmcnt(0)
	v_fma_f64 v[2:3], v[23:24], v[2:3], v[19:20]
	v_fma_f64 v[27:28], v[25:26], v[4:5], v[2:3]
	ds_load_2addr_b64 v[2:5], v18 offset0:128 offset1:160
	ds_load_b128 v[19:22], v8 offset:224
	ds_load_b128 v[23:26], v8 offset:240
	s_waitcnt lgkmcnt(1)
	v_fma_f64 v[2:3], v[19:20], v[2:3], v[27:28]
	s_delay_alu instid0(VALU_DEP_1) | instskip(SKIP_3) | instid1(VALU_DEP_1)
	v_fma_f64 v[19:20], v[21:22], v[4:5], v[2:3]
	ds_load_2addr_b64 v[2:5], v18 offset0:192 offset1:224
	s_waitcnt lgkmcnt(0)
	v_fma_f64 v[2:3], v[23:24], v[2:3], v[19:20]
	v_fma_f64 v[2:3], v[25:26], v[4:5], v[2:3]
	s_waitcnt vmcnt(0)
	s_delay_alu instid0(VALU_DEP_1)
	v_fma_f64 v[2:3], v[2:3], s[4:5], v[29:30]
	global_store_b64 v[0:1], v[2:3], off
	s_branch .LBB77_4
.LBB77_11:
	s_endpgm
	.section	.rodata,"a",@progbits
	.p2align	6, 0x0
	.amdhsa_kernel _ZL26rocblas_syr2k_her2k_kernelIiLb0ELb0ELb0ELi32EdPKdPdEvbiT_T4_T5_S3_lS5_S3_lT6_S3_li
		.amdhsa_group_segment_fixed_size 16384
		.amdhsa_private_segment_fixed_size 0
		.amdhsa_kernarg_size 100
		.amdhsa_user_sgpr_count 13
		.amdhsa_user_sgpr_dispatch_ptr 0
		.amdhsa_user_sgpr_queue_ptr 0
		.amdhsa_user_sgpr_kernarg_segment_ptr 1
		.amdhsa_user_sgpr_dispatch_id 0
		.amdhsa_user_sgpr_private_segment_size 0
		.amdhsa_wavefront_size32 1
		.amdhsa_uses_dynamic_stack 0
		.amdhsa_enable_private_segment 0
		.amdhsa_system_sgpr_workgroup_id_x 1
		.amdhsa_system_sgpr_workgroup_id_y 1
		.amdhsa_system_sgpr_workgroup_id_z 1
		.amdhsa_system_sgpr_workgroup_info 0
		.amdhsa_system_vgpr_workitem_id 1
		.amdhsa_next_free_vgpr 31
		.amdhsa_next_free_sgpr 24
		.amdhsa_reserve_vcc 1
		.amdhsa_float_round_mode_32 0
		.amdhsa_float_round_mode_16_64 0
		.amdhsa_float_denorm_mode_32 3
		.amdhsa_float_denorm_mode_16_64 3
		.amdhsa_dx10_clamp 1
		.amdhsa_ieee_mode 1
		.amdhsa_fp16_overflow 0
		.amdhsa_workgroup_processor_mode 1
		.amdhsa_memory_ordered 1
		.amdhsa_forward_progress 0
		.amdhsa_shared_vgpr_count 0
		.amdhsa_exception_fp_ieee_invalid_op 0
		.amdhsa_exception_fp_denorm_src 0
		.amdhsa_exception_fp_ieee_div_zero 0
		.amdhsa_exception_fp_ieee_overflow 0
		.amdhsa_exception_fp_ieee_underflow 0
		.amdhsa_exception_fp_ieee_inexact 0
		.amdhsa_exception_int_div_zero 0
	.end_amdhsa_kernel
	.section	.text._ZL26rocblas_syr2k_her2k_kernelIiLb0ELb0ELb0ELi32EdPKdPdEvbiT_T4_T5_S3_lS5_S3_lT6_S3_li,"axG",@progbits,_ZL26rocblas_syr2k_her2k_kernelIiLb0ELb0ELb0ELi32EdPKdPdEvbiT_T4_T5_S3_lS5_S3_lT6_S3_li,comdat
.Lfunc_end77:
	.size	_ZL26rocblas_syr2k_her2k_kernelIiLb0ELb0ELb0ELi32EdPKdPdEvbiT_T4_T5_S3_lS5_S3_lT6_S3_li, .Lfunc_end77-_ZL26rocblas_syr2k_her2k_kernelIiLb0ELb0ELb0ELi32EdPKdPdEvbiT_T4_T5_S3_lS5_S3_lT6_S3_li
                                        ; -- End function
	.section	.AMDGPU.csdata,"",@progbits
; Kernel info:
; codeLenInByte = 1392
; NumSgprs: 26
; NumVgprs: 31
; ScratchSize: 0
; MemoryBound: 0
; FloatMode: 240
; IeeeMode: 1
; LDSByteSize: 16384 bytes/workgroup (compile time only)
; SGPRBlocks: 3
; VGPRBlocks: 3
; NumSGPRsForWavesPerEU: 26
; NumVGPRsForWavesPerEU: 31
; Occupancy: 16
; WaveLimiterHint : 0
; COMPUTE_PGM_RSRC2:SCRATCH_EN: 0
; COMPUTE_PGM_RSRC2:USER_SGPR: 13
; COMPUTE_PGM_RSRC2:TRAP_HANDLER: 0
; COMPUTE_PGM_RSRC2:TGID_X_EN: 1
; COMPUTE_PGM_RSRC2:TGID_Y_EN: 1
; COMPUTE_PGM_RSRC2:TGID_Z_EN: 1
; COMPUTE_PGM_RSRC2:TIDIG_COMP_CNT: 1
	.section	.text._ZL26rocblas_syr2k_her2k_kernelIiLb0ELb0ELb1ELi32EdPKdPdEvbiT_T4_T5_S3_lS5_S3_lT6_S3_li,"axG",@progbits,_ZL26rocblas_syr2k_her2k_kernelIiLb0ELb0ELb1ELi32EdPKdPdEvbiT_T4_T5_S3_lS5_S3_lT6_S3_li,comdat
	.globl	_ZL26rocblas_syr2k_her2k_kernelIiLb0ELb0ELb1ELi32EdPKdPdEvbiT_T4_T5_S3_lS5_S3_lT6_S3_li ; -- Begin function _ZL26rocblas_syr2k_her2k_kernelIiLb0ELb0ELb1ELi32EdPKdPdEvbiT_T4_T5_S3_lS5_S3_lT6_S3_li
	.p2align	8
	.type	_ZL26rocblas_syr2k_her2k_kernelIiLb0ELb0ELb1ELi32EdPKdPdEvbiT_T4_T5_S3_lS5_S3_lT6_S3_li,@function
_ZL26rocblas_syr2k_her2k_kernelIiLb0ELb0ELb1ELi32EdPKdPdEvbiT_T4_T5_S3_lS5_S3_lT6_S3_li: ; @_ZL26rocblas_syr2k_her2k_kernelIiLb0ELb0ELb1ELi32EdPKdPdEvbiT_T4_T5_S3_lS5_S3_lT6_S3_li
; %bb.0:
	s_load_b128 s[4:7], s[0:1], 0x10
	s_waitcnt lgkmcnt(0)
	v_cmp_eq_f64_e64 s2, s[4:5], 0
	s_delay_alu instid0(VALU_DEP_1)
	s_and_b32 vcc_lo, exec_lo, s2
	s_cbranch_vccnz .LBB78_11
; %bb.1:
	s_load_b128 s[8:11], s[0:1], 0x0
	s_lshl_b32 s2, s14, 5
	s_lshl_b32 s3, s13, 5
	s_waitcnt lgkmcnt(0)
	s_and_b32 s8, 1, s8
	s_delay_alu instid0(SALU_CYCLE_1) | instskip(SKIP_1) | instid1(SALU_CYCLE_1)
	s_cmp_eq_u32 s8, 1
	s_cselect_b32 vcc_lo, -1, 0
	s_and_b32 s8, vcc_lo, exec_lo
	s_cselect_b32 s8, s3, s2
	s_cselect_b32 s11, s2, s3
	s_delay_alu instid0(SALU_CYCLE_1)
	s_cmp_gt_i32 s8, s11
	s_cbranch_scc1 .LBB78_11
; %bb.2:
	s_cmp_lt_i32 s10, 1
	s_cbranch_scc1 .LBB78_11
; %bb.3:
	s_clause 0x5
	s_load_b128 s[20:23], s[0:1], 0x28
	s_load_b128 s[16:19], s[0:1], 0x40
	s_load_b32 s8, s[0:1], 0x20
	s_load_b32 s11, s[0:1], 0x38
	;; [unrolled: 1-line block ×3, first 2 shown]
	s_load_b64 s[12:13], s[0:1], 0x58
	v_and_b32_e32 v7, 0x3ff, v0
	v_bfe_u32 v8, v0, 10, 10
	s_delay_alu instid0(VALU_DEP_2) | instskip(NEXT) | instid1(VALU_DEP_2)
	v_add_nc_u32_e32 v0, s3, v7
	v_add_nc_u32_e32 v6, s2, v8
	v_lshlrev_b32_e32 v13, 3, v8
	v_lshlrev_b32_e32 v9, 8, v7
	s_delay_alu instid0(VALU_DEP_4) | instskip(NEXT) | instid1(VALU_DEP_4)
	v_ashrrev_i32_e32 v1, 31, v0
	v_dual_cndmask_b32 v17, v0, v6 :: v_dual_cndmask_b32 v18, v6, v0
	v_cmp_gt_i32_e32 vcc_lo, s9, v0
	s_delay_alu instid0(VALU_DEP_4)
	v_add_nc_u32_e32 v12, v9, v13
	v_or_b32_e32 v13, 0x2000, v13
	s_waitcnt lgkmcnt(0)
	s_mul_i32 s1, s15, s21
	s_mul_hi_u32 s3, s15, s20
	s_mul_i32 s0, s15, s20
	s_add_i32 s1, s3, s1
	v_mad_i64_i32 v[2:3], null, s8, v0, 0
	s_lshl_b64 s[0:1], s[0:1], 3
	s_mul_i32 s17, s15, s17
	s_mul_hi_u32 s20, s15, s16
	s_add_u32 s6, s6, s0
	s_mul_i32 s2, s15, s16
	s_addc_u32 s7, s7, s1
	s_add_i32 s3, s20, s17
	s_mul_i32 s13, s15, s13
	s_lshl_b64 s[0:1], s[2:3], 3
	s_mul_hi_u32 s16, s15, s12
	v_lshlrev_b64 v[2:3], 3, v[2:3]
	v_mad_i64_i32 v[4:5], null, s11, v6, 0
	v_mad_i64_i32 v[14:15], null, s14, v6, 0
	s_add_u32 s8, s22, s0
	s_mul_i32 s2, s15, s12
	s_addc_u32 s12, s23, s1
	s_add_i32 s3, s16, s13
	v_lshlrev_b64 v[0:1], 3, v[0:1]
	s_lshl_b64 s[0:1], s[2:3], 3
	v_add_nc_u32_e32 v16, v13, v9
	s_add_u32 s2, s18, s0
	v_add_co_u32 v10, s0, s6, v2
	s_delay_alu instid0(VALU_DEP_1)
	v_add_co_ci_u32_e64 v11, s0, s7, v3, s0
	v_lshlrev_b64 v[2:3], 3, v[4:5]
	v_lshlrev_b64 v[4:5], 3, v[14:15]
	s_addc_u32 s3, s19, s1
	v_cmp_gt_i32_e64 s0, s9, v6
	v_add_nc_u32_e32 v19, 0x1800, v13
	s_delay_alu instid0(VALU_DEP_4) | instskip(NEXT) | instid1(VALU_DEP_4)
	v_add_co_u32 v14, s1, s8, v2
	v_add_co_u32 v2, s2, s2, v4
	v_add_co_ci_u32_e64 v15, s1, s12, v3, s1
	v_add_co_ci_u32_e64 v3, s2, s3, v5, s2
	v_cmp_le_i32_e64 s1, v18, v17
	s_delay_alu instid0(VALU_DEP_4) | instskip(NEXT) | instid1(VALU_DEP_1)
	v_add_co_u32 v0, s2, v2, v0
	v_add_co_ci_u32_e64 v1, s2, v3, v1, s2
	v_add_nc_u32_e32 v17, 0x800, v13
	v_add_nc_u32_e32 v18, 0x1000, v13
	s_and_b32 s3, s0, vcc_lo
	s_delay_alu instid0(SALU_CYCLE_1)
	s_and_b32 s2, s3, s1
	s_mov_b32 s3, 0
	s_branch .LBB78_5
.LBB78_4:                               ;   in Loop: Header=BB78_5 Depth=1
	s_or_b32 exec_lo, exec_lo, s1
	s_add_i32 s3, s3, 32
	s_waitcnt_vscnt null, 0x0
	s_cmp_lt_i32 s3, s10
	s_barrier
	buffer_gl0_inv
	s_cbranch_scc0 .LBB78_11
.LBB78_5:                               ; =>This Inner Loop Header: Depth=1
	v_add_nc_u32_e32 v4, s3, v8
	v_mov_b32_e32 v2, 0
	v_mov_b32_e32 v3, 0
	s_delay_alu instid0(VALU_DEP_3) | instskip(NEXT) | instid1(VALU_DEP_2)
	v_cmp_gt_i32_e64 s1, s10, v4
	v_dual_mov_b32 v6, v3 :: v_dual_mov_b32 v5, v2
	s_delay_alu instid0(VALU_DEP_2) | instskip(NEXT) | instid1(SALU_CYCLE_1)
	s_and_b32 s1, vcc_lo, s1
	s_and_saveexec_b32 s6, s1
	s_cbranch_execz .LBB78_7
; %bb.6:                                ;   in Loop: Header=BB78_5 Depth=1
	v_ashrrev_i32_e32 v5, 31, v4
	s_delay_alu instid0(VALU_DEP_1) | instskip(NEXT) | instid1(VALU_DEP_1)
	v_lshlrev_b64 v[4:5], 3, v[4:5]
	v_add_co_u32 v4, s1, v10, v4
	s_delay_alu instid0(VALU_DEP_1)
	v_add_co_ci_u32_e64 v5, s1, v11, v5, s1
	global_load_b64 v[5:6], v[4:5], off
.LBB78_7:                               ;   in Loop: Header=BB78_5 Depth=1
	s_or_b32 exec_lo, exec_lo, s6
	v_add_nc_u32_e32 v4, s3, v7
	s_waitcnt vmcnt(0)
	ds_store_b64 v12, v[5:6]
	v_cmp_gt_i32_e64 s1, s10, v4
	s_delay_alu instid0(VALU_DEP_1) | instskip(NEXT) | instid1(SALU_CYCLE_1)
	s_and_b32 s1, s0, s1
	s_and_saveexec_b32 s6, s1
	s_cbranch_execz .LBB78_9
; %bb.8:                                ;   in Loop: Header=BB78_5 Depth=1
	v_ashrrev_i32_e32 v5, 31, v4
	s_delay_alu instid0(VALU_DEP_1) | instskip(NEXT) | instid1(VALU_DEP_1)
	v_lshlrev_b64 v[2:3], 3, v[4:5]
	v_add_co_u32 v2, s1, v14, v2
	s_delay_alu instid0(VALU_DEP_1)
	v_add_co_ci_u32_e64 v3, s1, v15, v3, s1
	global_load_b64 v[2:3], v[2:3], off
.LBB78_9:                               ;   in Loop: Header=BB78_5 Depth=1
	s_or_b32 exec_lo, exec_lo, s6
	s_waitcnt vmcnt(0)
	ds_store_b64 v16, v[2:3]
	s_waitcnt lgkmcnt(0)
	s_barrier
	buffer_gl0_inv
	s_and_saveexec_b32 s1, s2
	s_cbranch_execz .LBB78_4
; %bb.10:                               ;   in Loop: Header=BB78_5 Depth=1
	ds_load_2addr_b64 v[2:5], v13 offset1:32
	ds_load_b128 v[20:23], v9
	ds_load_b128 v[24:27], v9 offset:16
	s_waitcnt lgkmcnt(1)
	v_fma_f64 v[2:3], v[20:21], v[2:3], 0
	s_delay_alu instid0(VALU_DEP_1) | instskip(SKIP_3) | instid1(VALU_DEP_1)
	v_fma_f64 v[20:21], v[22:23], v[4:5], v[2:3]
	ds_load_2addr_b64 v[2:5], v13 offset0:64 offset1:96
	s_waitcnt lgkmcnt(0)
	v_fma_f64 v[2:3], v[24:25], v[2:3], v[20:21]
	v_fma_f64 v[28:29], v[26:27], v[4:5], v[2:3]
	ds_load_2addr_b64 v[2:5], v13 offset0:128 offset1:160
	ds_load_b128 v[20:23], v9 offset:32
	ds_load_b128 v[24:27], v9 offset:48
	s_waitcnt lgkmcnt(1)
	v_fma_f64 v[2:3], v[20:21], v[2:3], v[28:29]
	s_delay_alu instid0(VALU_DEP_1) | instskip(SKIP_3) | instid1(VALU_DEP_1)
	v_fma_f64 v[20:21], v[22:23], v[4:5], v[2:3]
	ds_load_2addr_b64 v[2:5], v13 offset0:192 offset1:224
	s_waitcnt lgkmcnt(0)
	v_fma_f64 v[2:3], v[24:25], v[2:3], v[20:21]
	v_fma_f64 v[28:29], v[26:27], v[4:5], v[2:3]
	ds_load_2addr_b64 v[2:5], v17 offset1:32
	ds_load_b128 v[20:23], v9 offset:64
	ds_load_b128 v[24:27], v9 offset:80
	s_waitcnt lgkmcnt(1)
	v_fma_f64 v[2:3], v[20:21], v[2:3], v[28:29]
	s_delay_alu instid0(VALU_DEP_1) | instskip(SKIP_3) | instid1(VALU_DEP_1)
	v_fma_f64 v[20:21], v[22:23], v[4:5], v[2:3]
	ds_load_2addr_b64 v[2:5], v17 offset0:64 offset1:96
	s_waitcnt lgkmcnt(0)
	v_fma_f64 v[2:3], v[24:25], v[2:3], v[20:21]
	v_fma_f64 v[28:29], v[26:27], v[4:5], v[2:3]
	ds_load_2addr_b64 v[2:5], v17 offset0:128 offset1:160
	ds_load_b128 v[20:23], v9 offset:96
	ds_load_b128 v[24:27], v9 offset:112
	s_waitcnt lgkmcnt(1)
	v_fma_f64 v[2:3], v[20:21], v[2:3], v[28:29]
	s_delay_alu instid0(VALU_DEP_1) | instskip(SKIP_3) | instid1(VALU_DEP_1)
	v_fma_f64 v[20:21], v[22:23], v[4:5], v[2:3]
	ds_load_2addr_b64 v[2:5], v17 offset0:192 offset1:224
	s_waitcnt lgkmcnt(0)
	v_fma_f64 v[2:3], v[24:25], v[2:3], v[20:21]
	v_fma_f64 v[28:29], v[26:27], v[4:5], v[2:3]
	ds_load_2addr_b64 v[2:5], v18 offset1:32
	ds_load_b128 v[20:23], v9 offset:128
	;; [unrolled: 22-line block ×3, first 2 shown]
	global_load_b64 v[30:31], v[0:1], off
	ds_load_b128 v[24:27], v9 offset:208
	s_waitcnt lgkmcnt(1)
	v_fma_f64 v[2:3], v[20:21], v[2:3], v[28:29]
	s_delay_alu instid0(VALU_DEP_1) | instskip(SKIP_3) | instid1(VALU_DEP_1)
	v_fma_f64 v[20:21], v[22:23], v[4:5], v[2:3]
	ds_load_2addr_b64 v[2:5], v19 offset0:64 offset1:96
	s_waitcnt lgkmcnt(0)
	v_fma_f64 v[2:3], v[24:25], v[2:3], v[20:21]
	v_fma_f64 v[28:29], v[26:27], v[4:5], v[2:3]
	ds_load_2addr_b64 v[2:5], v19 offset0:128 offset1:160
	ds_load_b128 v[20:23], v9 offset:224
	ds_load_b128 v[24:27], v9 offset:240
	s_waitcnt lgkmcnt(1)
	v_fma_f64 v[2:3], v[20:21], v[2:3], v[28:29]
	s_delay_alu instid0(VALU_DEP_1) | instskip(SKIP_3) | instid1(VALU_DEP_1)
	v_fma_f64 v[20:21], v[22:23], v[4:5], v[2:3]
	ds_load_2addr_b64 v[2:5], v19 offset0:192 offset1:224
	s_waitcnt lgkmcnt(0)
	v_fma_f64 v[2:3], v[24:25], v[2:3], v[20:21]
	v_fma_f64 v[2:3], v[26:27], v[4:5], v[2:3]
	s_waitcnt vmcnt(0)
	s_delay_alu instid0(VALU_DEP_1)
	v_fma_f64 v[2:3], v[2:3], s[4:5], v[30:31]
	global_store_b64 v[0:1], v[2:3], off
	s_branch .LBB78_4
.LBB78_11:
	s_endpgm
	.section	.rodata,"a",@progbits
	.p2align	6, 0x0
	.amdhsa_kernel _ZL26rocblas_syr2k_her2k_kernelIiLb0ELb0ELb1ELi32EdPKdPdEvbiT_T4_T5_S3_lS5_S3_lT6_S3_li
		.amdhsa_group_segment_fixed_size 16384
		.amdhsa_private_segment_fixed_size 0
		.amdhsa_kernarg_size 100
		.amdhsa_user_sgpr_count 13
		.amdhsa_user_sgpr_dispatch_ptr 0
		.amdhsa_user_sgpr_queue_ptr 0
		.amdhsa_user_sgpr_kernarg_segment_ptr 1
		.amdhsa_user_sgpr_dispatch_id 0
		.amdhsa_user_sgpr_private_segment_size 0
		.amdhsa_wavefront_size32 1
		.amdhsa_uses_dynamic_stack 0
		.amdhsa_enable_private_segment 0
		.amdhsa_system_sgpr_workgroup_id_x 1
		.amdhsa_system_sgpr_workgroup_id_y 1
		.amdhsa_system_sgpr_workgroup_id_z 1
		.amdhsa_system_sgpr_workgroup_info 0
		.amdhsa_system_vgpr_workitem_id 1
		.amdhsa_next_free_vgpr 32
		.amdhsa_next_free_sgpr 24
		.amdhsa_reserve_vcc 1
		.amdhsa_float_round_mode_32 0
		.amdhsa_float_round_mode_16_64 0
		.amdhsa_float_denorm_mode_32 3
		.amdhsa_float_denorm_mode_16_64 3
		.amdhsa_dx10_clamp 1
		.amdhsa_ieee_mode 1
		.amdhsa_fp16_overflow 0
		.amdhsa_workgroup_processor_mode 1
		.amdhsa_memory_ordered 1
		.amdhsa_forward_progress 0
		.amdhsa_shared_vgpr_count 0
		.amdhsa_exception_fp_ieee_invalid_op 0
		.amdhsa_exception_fp_denorm_src 0
		.amdhsa_exception_fp_ieee_div_zero 0
		.amdhsa_exception_fp_ieee_overflow 0
		.amdhsa_exception_fp_ieee_underflow 0
		.amdhsa_exception_fp_ieee_inexact 0
		.amdhsa_exception_int_div_zero 0
	.end_amdhsa_kernel
	.section	.text._ZL26rocblas_syr2k_her2k_kernelIiLb0ELb0ELb1ELi32EdPKdPdEvbiT_T4_T5_S3_lS5_S3_lT6_S3_li,"axG",@progbits,_ZL26rocblas_syr2k_her2k_kernelIiLb0ELb0ELb1ELi32EdPKdPdEvbiT_T4_T5_S3_lS5_S3_lT6_S3_li,comdat
.Lfunc_end78:
	.size	_ZL26rocblas_syr2k_her2k_kernelIiLb0ELb0ELb1ELi32EdPKdPdEvbiT_T4_T5_S3_lS5_S3_lT6_S3_li, .Lfunc_end78-_ZL26rocblas_syr2k_her2k_kernelIiLb0ELb0ELb1ELi32EdPKdPdEvbiT_T4_T5_S3_lS5_S3_lT6_S3_li
                                        ; -- End function
	.section	.AMDGPU.csdata,"",@progbits
; Kernel info:
; codeLenInByte = 1408
; NumSgprs: 26
; NumVgprs: 32
; ScratchSize: 0
; MemoryBound: 0
; FloatMode: 240
; IeeeMode: 1
; LDSByteSize: 16384 bytes/workgroup (compile time only)
; SGPRBlocks: 3
; VGPRBlocks: 3
; NumSGPRsForWavesPerEU: 26
; NumVGPRsForWavesPerEU: 32
; Occupancy: 16
; WaveLimiterHint : 0
; COMPUTE_PGM_RSRC2:SCRATCH_EN: 0
; COMPUTE_PGM_RSRC2:USER_SGPR: 13
; COMPUTE_PGM_RSRC2:TRAP_HANDLER: 0
; COMPUTE_PGM_RSRC2:TGID_X_EN: 1
; COMPUTE_PGM_RSRC2:TGID_Y_EN: 1
; COMPUTE_PGM_RSRC2:TGID_Z_EN: 1
; COMPUTE_PGM_RSRC2:TIDIG_COMP_CNT: 1
	.section	.text._ZL37rocblas_syrkx_herkx_restricted_kernelIidLi16ELi32ELi8ELi1ELi1ELb0ELc84ELc76EKddEviT_PT9_S1_lS3_S1_lPT10_S1_li,"axG",@progbits,_ZL37rocblas_syrkx_herkx_restricted_kernelIidLi16ELi32ELi8ELi1ELi1ELb0ELc84ELc76EKddEviT_PT9_S1_lS3_S1_lPT10_S1_li,comdat
	.globl	_ZL37rocblas_syrkx_herkx_restricted_kernelIidLi16ELi32ELi8ELi1ELi1ELb0ELc84ELc76EKddEviT_PT9_S1_lS3_S1_lPT10_S1_li ; -- Begin function _ZL37rocblas_syrkx_herkx_restricted_kernelIidLi16ELi32ELi8ELi1ELi1ELb0ELc84ELc76EKddEviT_PT9_S1_lS3_S1_lPT10_S1_li
	.p2align	8
	.type	_ZL37rocblas_syrkx_herkx_restricted_kernelIidLi16ELi32ELi8ELi1ELi1ELb0ELc84ELc76EKddEviT_PT9_S1_lS3_S1_lPT10_S1_li,@function
_ZL37rocblas_syrkx_herkx_restricted_kernelIidLi16ELi32ELi8ELi1ELi1ELb0ELc84ELc76EKddEviT_PT9_S1_lS3_S1_lPT10_S1_li: ; @_ZL37rocblas_syrkx_herkx_restricted_kernelIidLi16ELi32ELi8ELi1ELi1ELb0ELc84ELc76EKddEviT_PT9_S1_lS3_S1_lPT10_S1_li
; %bb.0:
	s_clause 0x1
	s_load_b64 s[2:3], s[0:1], 0x0
	s_load_b128 s[4:7], s[0:1], 0x30
	v_mov_b32_e32 v10, 0
	v_dual_mov_b32 v11, 0 :: v_dual_and_b32 v12, 0x3ff, v0
	v_bfe_u32 v13, v0, 10, 10
	s_delay_alu instid0(VALU_DEP_3) | instskip(NEXT) | instid1(VALU_DEP_3)
	v_mov_b32_e32 v8, v10
	v_dual_mov_b32 v2, v10 :: v_dual_mov_b32 v3, v11
	v_dual_mov_b32 v9, v11 :: v_dual_mov_b32 v0, v10
	v_mov_b32_e32 v1, v11
	s_lshl_b32 s12, s13, 5
	s_lshl_b32 s13, s14, 5
	s_mov_b32 s14, 0
	s_waitcnt lgkmcnt(0)
	s_cmp_lt_i32 s3, 1
	s_cbranch_scc1 .LBB79_3
; %bb.1:
	s_clause 0x1
	s_load_b32 s18, s[0:1], 0x10
	s_load_b128 s[8:11], s[0:1], 0x18
	v_lshl_add_u32 v2, v13, 4, v12
	v_dual_mov_b32 v1, 0 :: v_dual_and_b32 v0, 7, v12
	s_clause 0x1
	s_load_b64 s[16:17], s[0:1], 0x8
	s_load_b32 s19, s[0:1], 0x28
	v_lshlrev_b32_e32 v14, 3, v12
	v_lshrrev_b32_e32 v4, 3, v2
	v_and_b32_e32 v5, 31, v2
	v_lshlrev_b32_e32 v3, 3, v0
	v_lshrrev_b32_e32 v2, 5, v2
	s_mul_i32 s5, s5, s15
	v_add_nc_u32_e32 v9, s13, v4
	v_add_nc_u32_e32 v8, s12, v5
	v_lshl_or_b32 v7, v4, 6, v3
	v_dual_mov_b32 v3, v1 :: v_dual_lshlrev_b32 v6, 3, v5
	v_lshl_add_u32 v17, v13, 6, 0x800
	s_waitcnt lgkmcnt(0)
	s_delay_alu instid0(VALU_DEP_2) | instskip(NEXT) | instid1(VALU_DEP_3)
	v_mad_i64_i32 v[4:5], null, s18, v8, v[2:3]
	v_lshl_or_b32 v15, v2, 8, v6
	s_mul_i32 s9, s9, s15
	s_mul_hi_u32 s18, s8, s15
	v_mad_i64_i32 v[2:3], null, s19, v9, v[0:1]
	s_mul_i32 s8, s8, s15
	s_add_i32 s9, s18, s9
	s_delay_alu instid0(VALU_DEP_3) | instskip(SKIP_1) | instid1(SALU_CYCLE_1)
	v_lshlrev_b64 v[0:1], 3, v[4:5]
	s_lshl_b64 s[8:9], s[8:9], 3
	s_add_u32 s8, s16, s8
	s_mul_hi_u32 s16, s4, s15
	s_addc_u32 s9, s17, s9
	s_add_i32 s5, s16, s5
	s_mul_i32 s4, s4, s15
	v_lshlrev_b64 v[2:3], 3, v[2:3]
	v_add_co_u32 v4, vcc_lo, s8, v0
	s_lshl_b64 s[4:5], s[4:5], 3
	v_add_co_ci_u32_e32 v5, vcc_lo, s9, v1, vcc_lo
	v_mov_b32_e32 v0, 0
	v_mov_b32_e32 v1, 0
	s_add_u32 s4, s10, s4
	s_addc_u32 s5, s11, s5
	v_add_co_u32 v6, vcc_lo, s4, v2
	s_delay_alu instid0(VALU_DEP_2)
	v_dual_mov_b32 v9, v1 :: v_dual_add_nc_u32 v16, 0x800, v7
	v_add_co_ci_u32_e32 v7, vcc_lo, s5, v3, vcc_lo
	v_dual_mov_b32 v3, v1 :: v_dual_mov_b32 v2, v0
	v_dual_mov_b32 v8, v0 :: v_dual_mov_b32 v11, v1
	v_mov_b32_e32 v10, v0
.LBB79_2:                               ; =>This Inner Loop Header: Depth=1
	global_load_b64 v[18:19], v[4:5], off
	global_load_b64 v[20:21], v[6:7], off
	v_add_co_u32 v4, vcc_lo, v4, 64
	v_add_co_ci_u32_e32 v5, vcc_lo, 0, v5, vcc_lo
	v_add_co_u32 v6, vcc_lo, v6, 64
	v_add_co_ci_u32_e32 v7, vcc_lo, 0, v7, vcc_lo
	s_add_i32 s14, s14, 8
	s_waitcnt vmcnt(1)
	ds_store_b64 v15, v[18:19]
	s_waitcnt vmcnt(0)
	ds_store_b64 v16, v[20:21]
	s_waitcnt lgkmcnt(0)
	s_barrier
	buffer_gl0_inv
	ds_load_2addr_b64 v[18:21], v14 offset1:16
	ds_load_b128 v[22:25], v17
	ds_load_b128 v[26:29], v17 offset:1024
	ds_load_b128 v[30:33], v17 offset:16
	;; [unrolled: 1-line block ×3, first 2 shown]
	s_cmp_ge_i32 s14, s3
	s_waitcnt lgkmcnt(3)
	v_fma_f64 v[10:11], v[18:19], v[22:23], v[10:11]
	v_fma_f64 v[8:9], v[20:21], v[22:23], v[8:9]
	s_waitcnt lgkmcnt(2)
	v_fma_f64 v[18:19], v[18:19], v[26:27], v[2:3]
	v_fma_f64 v[20:21], v[20:21], v[26:27], v[0:1]
	ds_load_2addr_b64 v[0:3], v14 offset0:32 offset1:48
	s_waitcnt lgkmcnt(0)
	v_fma_f64 v[10:11], v[0:1], v[24:25], v[10:11]
	v_fma_f64 v[8:9], v[2:3], v[24:25], v[8:9]
	v_fma_f64 v[18:19], v[0:1], v[28:29], v[18:19]
	v_fma_f64 v[20:21], v[2:3], v[28:29], v[20:21]
	ds_load_2addr_b64 v[0:3], v14 offset0:64 offset1:80
	s_waitcnt lgkmcnt(0)
	v_fma_f64 v[10:11], v[0:1], v[30:31], v[10:11]
	v_fma_f64 v[8:9], v[2:3], v[30:31], v[8:9]
	;; [unrolled: 6-line block ×3, first 2 shown]
	v_fma_f64 v[34:35], v[0:1], v[36:37], v[18:19]
	v_fma_f64 v[36:37], v[2:3], v[36:37], v[20:21]
	ds_load_2addr_b64 v[0:3], v14 offset0:128 offset1:144
	ds_load_b128 v[8:11], v17 offset:32
	ds_load_b128 v[18:21], v17 offset:1056
	;; [unrolled: 1-line block ×4, first 2 shown]
	s_waitcnt lgkmcnt(3)
	v_fma_f64 v[30:31], v[0:1], v[8:9], v[30:31]
	v_fma_f64 v[8:9], v[2:3], v[8:9], v[32:33]
	s_waitcnt lgkmcnt(2)
	v_fma_f64 v[32:33], v[0:1], v[18:19], v[34:35]
	v_fma_f64 v[18:19], v[2:3], v[18:19], v[36:37]
	ds_load_2addr_b64 v[0:3], v14 offset0:160 offset1:176
	s_waitcnt lgkmcnt(0)
	v_fma_f64 v[30:31], v[0:1], v[10:11], v[30:31]
	v_fma_f64 v[8:9], v[2:3], v[10:11], v[8:9]
	;; [unrolled: 1-line block ×4, first 2 shown]
	ds_load_2addr_b64 v[0:3], v14 offset0:192 offset1:208
	s_waitcnt lgkmcnt(0)
	v_fma_f64 v[30:31], v[0:1], v[22:23], v[30:31]
	v_fma_f64 v[8:9], v[2:3], v[22:23], v[8:9]
	;; [unrolled: 1-line block ×4, first 2 shown]
	ds_load_2addr_b64 v[18:21], v14 offset0:224 offset1:240
	s_waitcnt lgkmcnt(0)
	s_barrier
	buffer_gl0_inv
	v_fma_f64 v[10:11], v[18:19], v[24:25], v[30:31]
	v_fma_f64 v[8:9], v[20:21], v[24:25], v[8:9]
	;; [unrolled: 1-line block ×4, first 2 shown]
	s_cbranch_scc0 .LBB79_2
.LBB79_3:
	s_clause 0x1
	s_load_b32 s3, s[0:1], 0x40
	s_load_b64 s[4:5], s[0:1], 0x48
	v_add_nc_u32_e32 v13, s13, v13
	v_add_nc_u32_e32 v4, s12, v12
	s_delay_alu instid0(VALU_DEP_1)
	v_cmp_le_i32_e64 s0, v13, v4
	v_cmp_gt_i32_e32 vcc_lo, s2, v4
	s_waitcnt lgkmcnt(0)
	v_mad_i64_i32 v[5:6], null, v13, s3, 0
	s_mul_i32 s1, s15, s5
	s_mul_hi_u32 s5, s15, s4
	s_mul_i32 s4, s15, s4
	s_add_i32 s5, s5, s1
	s_delay_alu instid0(SALU_CYCLE_1) | instskip(NEXT) | instid1(VALU_DEP_1)
	s_lshl_b64 s[4:5], s[4:5], 3
	v_lshlrev_b64 v[5:6], 3, v[5:6]
	s_add_u32 s4, s6, s4
	s_addc_u32 s5, s7, s5
	s_and_b32 s0, s0, vcc_lo
	s_delay_alu instid0(VALU_DEP_1) | instskip(NEXT) | instid1(VALU_DEP_1)
	v_add_co_u32 v12, s1, s4, v5
	v_add_co_ci_u32_e64 v14, s1, s5, v6, s1
	s_and_saveexec_b32 s1, s0
	s_cbranch_execz .LBB79_5
; %bb.4:
	v_ashrrev_i32_e32 v5, 31, v4
	s_delay_alu instid0(VALU_DEP_1) | instskip(NEXT) | instid1(VALU_DEP_1)
	v_lshlrev_b64 v[5:6], 3, v[4:5]
	v_add_co_u32 v5, s0, v12, v5
	s_delay_alu instid0(VALU_DEP_1)
	v_add_co_ci_u32_e64 v6, s0, v14, v6, s0
	global_load_b64 v[15:16], v[5:6], off
	s_waitcnt vmcnt(0)
	v_add_f64 v[10:11], v[10:11], v[15:16]
	global_store_b64 v[5:6], v[10:11], off
.LBB79_5:
	s_or_b32 exec_lo, exec_lo, s1
	v_add_nc_u32_e32 v6, 16, v4
	s_delay_alu instid0(VALU_DEP_1) | instskip(SKIP_1) | instid1(VALU_DEP_1)
	v_cmp_le_i32_e64 s1, v13, v6
	v_cmp_gt_i32_e64 s0, s2, v6
	s_and_b32 s1, s1, s0
	s_delay_alu instid0(SALU_CYCLE_1)
	s_and_saveexec_b32 s2, s1
	s_cbranch_execz .LBB79_7
; %bb.6:
	v_ashrrev_i32_e32 v7, 31, v6
	s_delay_alu instid0(VALU_DEP_1) | instskip(NEXT) | instid1(VALU_DEP_1)
	v_lshlrev_b64 v[10:11], 3, v[6:7]
	v_add_co_u32 v10, s1, v12, v10
	s_delay_alu instid0(VALU_DEP_1)
	v_add_co_ci_u32_e64 v11, s1, v14, v11, s1
	global_load_b64 v[14:15], v[10:11], off
	s_waitcnt vmcnt(0)
	v_add_f64 v[7:8], v[8:9], v[14:15]
	global_store_b64 v[10:11], v[7:8], off
.LBB79_7:
	s_or_b32 exec_lo, exec_lo, s2
	v_add_nc_u32_e32 v7, 16, v13
	s_delay_alu instid0(VALU_DEP_1) | instskip(SKIP_1) | instid1(VALU_DEP_2)
	v_mad_i64_i32 v[8:9], null, v7, s3, 0
	v_cmp_le_i32_e64 s1, v7, v4
	v_lshlrev_b64 v[8:9], 3, v[8:9]
	s_delay_alu instid0(VALU_DEP_1) | instskip(NEXT) | instid1(VALU_DEP_1)
	v_add_co_u32 v8, s2, s4, v8
	v_add_co_ci_u32_e64 v9, s2, s5, v9, s2
	s_delay_alu instid0(VALU_DEP_4) | instskip(NEXT) | instid1(SALU_CYCLE_1)
	s_and_b32 s2, s1, vcc_lo
	s_and_saveexec_b32 s1, s2
	s_cbranch_execz .LBB79_9
; %bb.8:
	v_ashrrev_i32_e32 v5, 31, v4
	s_delay_alu instid0(VALU_DEP_1) | instskip(NEXT) | instid1(VALU_DEP_1)
	v_lshlrev_b64 v[4:5], 3, v[4:5]
	v_add_co_u32 v4, vcc_lo, v8, v4
	s_delay_alu instid0(VALU_DEP_2)
	v_add_co_ci_u32_e32 v5, vcc_lo, v9, v5, vcc_lo
	global_load_b64 v[10:11], v[4:5], off
	s_waitcnt vmcnt(0)
	v_add_f64 v[2:3], v[2:3], v[10:11]
	global_store_b64 v[4:5], v[2:3], off
.LBB79_9:
	s_or_b32 exec_lo, exec_lo, s1
	v_cmp_le_i32_e32 vcc_lo, v7, v6
	s_and_b32 s0, vcc_lo, s0
	s_delay_alu instid0(SALU_CYCLE_1)
	s_and_saveexec_b32 s1, s0
	s_cbranch_execz .LBB79_11
; %bb.10:
	v_ashrrev_i32_e32 v7, 31, v6
	s_delay_alu instid0(VALU_DEP_1) | instskip(NEXT) | instid1(VALU_DEP_1)
	v_lshlrev_b64 v[2:3], 3, v[6:7]
	v_add_co_u32 v2, vcc_lo, v8, v2
	s_delay_alu instid0(VALU_DEP_2)
	v_add_co_ci_u32_e32 v3, vcc_lo, v9, v3, vcc_lo
	global_load_b64 v[4:5], v[2:3], off
	s_waitcnt vmcnt(0)
	v_add_f64 v[0:1], v[0:1], v[4:5]
	global_store_b64 v[2:3], v[0:1], off
.LBB79_11:
	s_nop 0
	s_sendmsg sendmsg(MSG_DEALLOC_VGPRS)
	s_endpgm
	.section	.rodata,"a",@progbits
	.p2align	6, 0x0
	.amdhsa_kernel _ZL37rocblas_syrkx_herkx_restricted_kernelIidLi16ELi32ELi8ELi1ELi1ELb0ELc84ELc76EKddEviT_PT9_S1_lS3_S1_lPT10_S1_li
		.amdhsa_group_segment_fixed_size 4096
		.amdhsa_private_segment_fixed_size 0
		.amdhsa_kernarg_size 84
		.amdhsa_user_sgpr_count 13
		.amdhsa_user_sgpr_dispatch_ptr 0
		.amdhsa_user_sgpr_queue_ptr 0
		.amdhsa_user_sgpr_kernarg_segment_ptr 1
		.amdhsa_user_sgpr_dispatch_id 0
		.amdhsa_user_sgpr_private_segment_size 0
		.amdhsa_wavefront_size32 1
		.amdhsa_uses_dynamic_stack 0
		.amdhsa_enable_private_segment 0
		.amdhsa_system_sgpr_workgroup_id_x 1
		.amdhsa_system_sgpr_workgroup_id_y 1
		.amdhsa_system_sgpr_workgroup_id_z 1
		.amdhsa_system_sgpr_workgroup_info 0
		.amdhsa_system_vgpr_workitem_id 1
		.amdhsa_next_free_vgpr 38
		.amdhsa_next_free_sgpr 20
		.amdhsa_reserve_vcc 1
		.amdhsa_float_round_mode_32 0
		.amdhsa_float_round_mode_16_64 0
		.amdhsa_float_denorm_mode_32 3
		.amdhsa_float_denorm_mode_16_64 3
		.amdhsa_dx10_clamp 1
		.amdhsa_ieee_mode 1
		.amdhsa_fp16_overflow 0
		.amdhsa_workgroup_processor_mode 1
		.amdhsa_memory_ordered 1
		.amdhsa_forward_progress 0
		.amdhsa_shared_vgpr_count 0
		.amdhsa_exception_fp_ieee_invalid_op 0
		.amdhsa_exception_fp_denorm_src 0
		.amdhsa_exception_fp_ieee_div_zero 0
		.amdhsa_exception_fp_ieee_overflow 0
		.amdhsa_exception_fp_ieee_underflow 0
		.amdhsa_exception_fp_ieee_inexact 0
		.amdhsa_exception_int_div_zero 0
	.end_amdhsa_kernel
	.section	.text._ZL37rocblas_syrkx_herkx_restricted_kernelIidLi16ELi32ELi8ELi1ELi1ELb0ELc84ELc76EKddEviT_PT9_S1_lS3_S1_lPT10_S1_li,"axG",@progbits,_ZL37rocblas_syrkx_herkx_restricted_kernelIidLi16ELi32ELi8ELi1ELi1ELb0ELc84ELc76EKddEviT_PT9_S1_lS3_S1_lPT10_S1_li,comdat
.Lfunc_end79:
	.size	_ZL37rocblas_syrkx_herkx_restricted_kernelIidLi16ELi32ELi8ELi1ELi1ELb0ELc84ELc76EKddEviT_PT9_S1_lS3_S1_lPT10_S1_li, .Lfunc_end79-_ZL37rocblas_syrkx_herkx_restricted_kernelIidLi16ELi32ELi8ELi1ELi1ELb0ELc84ELc76EKddEviT_PT9_S1_lS3_S1_lPT10_S1_li
                                        ; -- End function
	.section	.AMDGPU.csdata,"",@progbits
; Kernel info:
; codeLenInByte = 1440
; NumSgprs: 22
; NumVgprs: 38
; ScratchSize: 0
; MemoryBound: 0
; FloatMode: 240
; IeeeMode: 1
; LDSByteSize: 4096 bytes/workgroup (compile time only)
; SGPRBlocks: 2
; VGPRBlocks: 4
; NumSGPRsForWavesPerEU: 22
; NumVGPRsForWavesPerEU: 38
; Occupancy: 16
; WaveLimiterHint : 0
; COMPUTE_PGM_RSRC2:SCRATCH_EN: 0
; COMPUTE_PGM_RSRC2:USER_SGPR: 13
; COMPUTE_PGM_RSRC2:TRAP_HANDLER: 0
; COMPUTE_PGM_RSRC2:TGID_X_EN: 1
; COMPUTE_PGM_RSRC2:TGID_Y_EN: 1
; COMPUTE_PGM_RSRC2:TGID_Z_EN: 1
; COMPUTE_PGM_RSRC2:TIDIG_COMP_CNT: 1
	.section	.text._ZL37rocblas_syrkx_herkx_restricted_kernelIidLi16ELi32ELi8ELi1ELi1ELb0ELc67ELc76EKddEviT_PT9_S1_lS3_S1_lPT10_S1_li,"axG",@progbits,_ZL37rocblas_syrkx_herkx_restricted_kernelIidLi16ELi32ELi8ELi1ELi1ELb0ELc67ELc76EKddEviT_PT9_S1_lS3_S1_lPT10_S1_li,comdat
	.globl	_ZL37rocblas_syrkx_herkx_restricted_kernelIidLi16ELi32ELi8ELi1ELi1ELb0ELc67ELc76EKddEviT_PT9_S1_lS3_S1_lPT10_S1_li ; -- Begin function _ZL37rocblas_syrkx_herkx_restricted_kernelIidLi16ELi32ELi8ELi1ELi1ELb0ELc67ELc76EKddEviT_PT9_S1_lS3_S1_lPT10_S1_li
	.p2align	8
	.type	_ZL37rocblas_syrkx_herkx_restricted_kernelIidLi16ELi32ELi8ELi1ELi1ELb0ELc67ELc76EKddEviT_PT9_S1_lS3_S1_lPT10_S1_li,@function
_ZL37rocblas_syrkx_herkx_restricted_kernelIidLi16ELi32ELi8ELi1ELi1ELb0ELc67ELc76EKddEviT_PT9_S1_lS3_S1_lPT10_S1_li: ; @_ZL37rocblas_syrkx_herkx_restricted_kernelIidLi16ELi32ELi8ELi1ELi1ELb0ELc67ELc76EKddEviT_PT9_S1_lS3_S1_lPT10_S1_li
; %bb.0:
	s_clause 0x1
	s_load_b64 s[2:3], s[0:1], 0x0
	s_load_b128 s[4:7], s[0:1], 0x30
	v_mov_b32_e32 v10, 0
	v_dual_mov_b32 v11, 0 :: v_dual_and_b32 v12, 0x3ff, v0
	v_bfe_u32 v13, v0, 10, 10
	s_delay_alu instid0(VALU_DEP_3) | instskip(NEXT) | instid1(VALU_DEP_3)
	v_mov_b32_e32 v8, v10
	v_dual_mov_b32 v2, v10 :: v_dual_mov_b32 v3, v11
	v_dual_mov_b32 v9, v11 :: v_dual_mov_b32 v0, v10
	v_mov_b32_e32 v1, v11
	s_lshl_b32 s12, s13, 5
	s_lshl_b32 s13, s14, 5
	s_mov_b32 s14, 0
	s_waitcnt lgkmcnt(0)
	s_cmp_lt_i32 s3, 1
	s_cbranch_scc1 .LBB80_3
; %bb.1:
	s_clause 0x1
	s_load_b32 s18, s[0:1], 0x10
	s_load_b128 s[8:11], s[0:1], 0x18
	v_lshl_add_u32 v2, v13, 4, v12
	v_dual_mov_b32 v1, 0 :: v_dual_and_b32 v0, 7, v12
	s_clause 0x1
	s_load_b64 s[16:17], s[0:1], 0x8
	s_load_b32 s19, s[0:1], 0x28
	v_lshlrev_b32_e32 v14, 3, v12
	v_lshrrev_b32_e32 v4, 3, v2
	v_and_b32_e32 v5, 31, v2
	v_lshlrev_b32_e32 v3, 3, v0
	v_lshrrev_b32_e32 v2, 5, v2
	s_mul_i32 s5, s5, s15
	v_add_nc_u32_e32 v9, s13, v4
	v_add_nc_u32_e32 v8, s12, v5
	v_lshl_or_b32 v7, v4, 6, v3
	v_dual_mov_b32 v3, v1 :: v_dual_lshlrev_b32 v6, 3, v5
	v_lshl_add_u32 v17, v13, 6, 0x800
	s_waitcnt lgkmcnt(0)
	s_delay_alu instid0(VALU_DEP_2) | instskip(NEXT) | instid1(VALU_DEP_3)
	v_mad_i64_i32 v[4:5], null, s18, v8, v[2:3]
	v_lshl_or_b32 v15, v2, 8, v6
	s_mul_i32 s9, s9, s15
	s_mul_hi_u32 s18, s8, s15
	v_mad_i64_i32 v[2:3], null, s19, v9, v[0:1]
	s_mul_i32 s8, s8, s15
	s_add_i32 s9, s18, s9
	s_delay_alu instid0(VALU_DEP_3) | instskip(SKIP_1) | instid1(SALU_CYCLE_1)
	v_lshlrev_b64 v[0:1], 3, v[4:5]
	s_lshl_b64 s[8:9], s[8:9], 3
	s_add_u32 s8, s16, s8
	s_mul_hi_u32 s16, s4, s15
	s_addc_u32 s9, s17, s9
	s_add_i32 s5, s16, s5
	s_mul_i32 s4, s4, s15
	v_lshlrev_b64 v[2:3], 3, v[2:3]
	v_add_co_u32 v4, vcc_lo, s8, v0
	s_lshl_b64 s[4:5], s[4:5], 3
	v_add_co_ci_u32_e32 v5, vcc_lo, s9, v1, vcc_lo
	v_mov_b32_e32 v0, 0
	v_mov_b32_e32 v1, 0
	s_add_u32 s4, s10, s4
	s_addc_u32 s5, s11, s5
	v_add_co_u32 v6, vcc_lo, s4, v2
	s_delay_alu instid0(VALU_DEP_2)
	v_dual_mov_b32 v9, v1 :: v_dual_add_nc_u32 v16, 0x800, v7
	v_add_co_ci_u32_e32 v7, vcc_lo, s5, v3, vcc_lo
	v_dual_mov_b32 v3, v1 :: v_dual_mov_b32 v2, v0
	v_dual_mov_b32 v8, v0 :: v_dual_mov_b32 v11, v1
	v_mov_b32_e32 v10, v0
.LBB80_2:                               ; =>This Inner Loop Header: Depth=1
	global_load_b64 v[18:19], v[4:5], off
	global_load_b64 v[20:21], v[6:7], off
	v_add_co_u32 v4, vcc_lo, v4, 64
	v_add_co_ci_u32_e32 v5, vcc_lo, 0, v5, vcc_lo
	v_add_co_u32 v6, vcc_lo, v6, 64
	v_add_co_ci_u32_e32 v7, vcc_lo, 0, v7, vcc_lo
	s_add_i32 s14, s14, 8
	s_waitcnt vmcnt(1)
	ds_store_b64 v15, v[18:19]
	s_waitcnt vmcnt(0)
	ds_store_b64 v16, v[20:21]
	s_waitcnt lgkmcnt(0)
	s_barrier
	buffer_gl0_inv
	ds_load_2addr_b64 v[18:21], v14 offset1:16
	ds_load_b128 v[22:25], v17
	ds_load_b128 v[26:29], v17 offset:1024
	ds_load_b128 v[30:33], v17 offset:16
	;; [unrolled: 1-line block ×3, first 2 shown]
	s_cmp_ge_i32 s14, s3
	s_waitcnt lgkmcnt(3)
	v_fma_f64 v[10:11], v[18:19], v[22:23], v[10:11]
	v_fma_f64 v[8:9], v[20:21], v[22:23], v[8:9]
	s_waitcnt lgkmcnt(2)
	v_fma_f64 v[18:19], v[18:19], v[26:27], v[2:3]
	v_fma_f64 v[20:21], v[20:21], v[26:27], v[0:1]
	ds_load_2addr_b64 v[0:3], v14 offset0:32 offset1:48
	s_waitcnt lgkmcnt(0)
	v_fma_f64 v[10:11], v[0:1], v[24:25], v[10:11]
	v_fma_f64 v[8:9], v[2:3], v[24:25], v[8:9]
	v_fma_f64 v[18:19], v[0:1], v[28:29], v[18:19]
	v_fma_f64 v[20:21], v[2:3], v[28:29], v[20:21]
	ds_load_2addr_b64 v[0:3], v14 offset0:64 offset1:80
	s_waitcnt lgkmcnt(0)
	v_fma_f64 v[10:11], v[0:1], v[30:31], v[10:11]
	v_fma_f64 v[8:9], v[2:3], v[30:31], v[8:9]
	;; [unrolled: 6-line block ×3, first 2 shown]
	v_fma_f64 v[34:35], v[0:1], v[36:37], v[18:19]
	v_fma_f64 v[36:37], v[2:3], v[36:37], v[20:21]
	ds_load_2addr_b64 v[0:3], v14 offset0:128 offset1:144
	ds_load_b128 v[8:11], v17 offset:32
	ds_load_b128 v[18:21], v17 offset:1056
	;; [unrolled: 1-line block ×4, first 2 shown]
	s_waitcnt lgkmcnt(3)
	v_fma_f64 v[30:31], v[0:1], v[8:9], v[30:31]
	v_fma_f64 v[8:9], v[2:3], v[8:9], v[32:33]
	s_waitcnt lgkmcnt(2)
	v_fma_f64 v[32:33], v[0:1], v[18:19], v[34:35]
	v_fma_f64 v[18:19], v[2:3], v[18:19], v[36:37]
	ds_load_2addr_b64 v[0:3], v14 offset0:160 offset1:176
	s_waitcnt lgkmcnt(0)
	v_fma_f64 v[30:31], v[0:1], v[10:11], v[30:31]
	v_fma_f64 v[8:9], v[2:3], v[10:11], v[8:9]
	;; [unrolled: 1-line block ×4, first 2 shown]
	ds_load_2addr_b64 v[0:3], v14 offset0:192 offset1:208
	s_waitcnt lgkmcnt(0)
	v_fma_f64 v[30:31], v[0:1], v[22:23], v[30:31]
	v_fma_f64 v[8:9], v[2:3], v[22:23], v[8:9]
	;; [unrolled: 1-line block ×4, first 2 shown]
	ds_load_2addr_b64 v[18:21], v14 offset0:224 offset1:240
	s_waitcnt lgkmcnt(0)
	s_barrier
	buffer_gl0_inv
	v_fma_f64 v[10:11], v[18:19], v[24:25], v[30:31]
	v_fma_f64 v[8:9], v[20:21], v[24:25], v[8:9]
	;; [unrolled: 1-line block ×4, first 2 shown]
	s_cbranch_scc0 .LBB80_2
.LBB80_3:
	s_clause 0x1
	s_load_b32 s3, s[0:1], 0x40
	s_load_b64 s[4:5], s[0:1], 0x48
	v_add_nc_u32_e32 v13, s13, v13
	v_add_nc_u32_e32 v4, s12, v12
	s_delay_alu instid0(VALU_DEP_1)
	v_cmp_le_i32_e64 s0, v13, v4
	v_cmp_gt_i32_e32 vcc_lo, s2, v4
	s_waitcnt lgkmcnt(0)
	v_mad_i64_i32 v[5:6], null, v13, s3, 0
	s_mul_i32 s1, s15, s5
	s_mul_hi_u32 s5, s15, s4
	s_mul_i32 s4, s15, s4
	s_add_i32 s5, s5, s1
	s_delay_alu instid0(SALU_CYCLE_1) | instskip(NEXT) | instid1(VALU_DEP_1)
	s_lshl_b64 s[4:5], s[4:5], 3
	v_lshlrev_b64 v[5:6], 3, v[5:6]
	s_add_u32 s4, s6, s4
	s_addc_u32 s5, s7, s5
	s_and_b32 s0, s0, vcc_lo
	s_delay_alu instid0(VALU_DEP_1) | instskip(NEXT) | instid1(VALU_DEP_1)
	v_add_co_u32 v12, s1, s4, v5
	v_add_co_ci_u32_e64 v14, s1, s5, v6, s1
	s_and_saveexec_b32 s1, s0
	s_cbranch_execz .LBB80_5
; %bb.4:
	v_ashrrev_i32_e32 v5, 31, v4
	s_delay_alu instid0(VALU_DEP_1) | instskip(NEXT) | instid1(VALU_DEP_1)
	v_lshlrev_b64 v[5:6], 3, v[4:5]
	v_add_co_u32 v5, s0, v12, v5
	s_delay_alu instid0(VALU_DEP_1)
	v_add_co_ci_u32_e64 v6, s0, v14, v6, s0
	global_load_b64 v[15:16], v[5:6], off
	s_waitcnt vmcnt(0)
	v_add_f64 v[10:11], v[10:11], v[15:16]
	global_store_b64 v[5:6], v[10:11], off
.LBB80_5:
	s_or_b32 exec_lo, exec_lo, s1
	v_add_nc_u32_e32 v6, 16, v4
	s_delay_alu instid0(VALU_DEP_1) | instskip(SKIP_1) | instid1(VALU_DEP_1)
	v_cmp_le_i32_e64 s1, v13, v6
	v_cmp_gt_i32_e64 s0, s2, v6
	s_and_b32 s1, s1, s0
	s_delay_alu instid0(SALU_CYCLE_1)
	s_and_saveexec_b32 s2, s1
	s_cbranch_execz .LBB80_7
; %bb.6:
	v_ashrrev_i32_e32 v7, 31, v6
	s_delay_alu instid0(VALU_DEP_1) | instskip(NEXT) | instid1(VALU_DEP_1)
	v_lshlrev_b64 v[10:11], 3, v[6:7]
	v_add_co_u32 v10, s1, v12, v10
	s_delay_alu instid0(VALU_DEP_1)
	v_add_co_ci_u32_e64 v11, s1, v14, v11, s1
	global_load_b64 v[14:15], v[10:11], off
	s_waitcnt vmcnt(0)
	v_add_f64 v[7:8], v[8:9], v[14:15]
	global_store_b64 v[10:11], v[7:8], off
.LBB80_7:
	s_or_b32 exec_lo, exec_lo, s2
	v_add_nc_u32_e32 v7, 16, v13
	s_delay_alu instid0(VALU_DEP_1) | instskip(SKIP_1) | instid1(VALU_DEP_2)
	v_mad_i64_i32 v[8:9], null, v7, s3, 0
	v_cmp_le_i32_e64 s1, v7, v4
	v_lshlrev_b64 v[8:9], 3, v[8:9]
	s_delay_alu instid0(VALU_DEP_1) | instskip(NEXT) | instid1(VALU_DEP_1)
	v_add_co_u32 v8, s2, s4, v8
	v_add_co_ci_u32_e64 v9, s2, s5, v9, s2
	s_delay_alu instid0(VALU_DEP_4) | instskip(NEXT) | instid1(SALU_CYCLE_1)
	s_and_b32 s2, s1, vcc_lo
	s_and_saveexec_b32 s1, s2
	s_cbranch_execz .LBB80_9
; %bb.8:
	v_ashrrev_i32_e32 v5, 31, v4
	s_delay_alu instid0(VALU_DEP_1) | instskip(NEXT) | instid1(VALU_DEP_1)
	v_lshlrev_b64 v[4:5], 3, v[4:5]
	v_add_co_u32 v4, vcc_lo, v8, v4
	s_delay_alu instid0(VALU_DEP_2)
	v_add_co_ci_u32_e32 v5, vcc_lo, v9, v5, vcc_lo
	global_load_b64 v[10:11], v[4:5], off
	s_waitcnt vmcnt(0)
	v_add_f64 v[2:3], v[2:3], v[10:11]
	global_store_b64 v[4:5], v[2:3], off
.LBB80_9:
	s_or_b32 exec_lo, exec_lo, s1
	v_cmp_le_i32_e32 vcc_lo, v7, v6
	s_and_b32 s0, vcc_lo, s0
	s_delay_alu instid0(SALU_CYCLE_1)
	s_and_saveexec_b32 s1, s0
	s_cbranch_execz .LBB80_11
; %bb.10:
	v_ashrrev_i32_e32 v7, 31, v6
	s_delay_alu instid0(VALU_DEP_1) | instskip(NEXT) | instid1(VALU_DEP_1)
	v_lshlrev_b64 v[2:3], 3, v[6:7]
	v_add_co_u32 v2, vcc_lo, v8, v2
	s_delay_alu instid0(VALU_DEP_2)
	v_add_co_ci_u32_e32 v3, vcc_lo, v9, v3, vcc_lo
	global_load_b64 v[4:5], v[2:3], off
	s_waitcnt vmcnt(0)
	v_add_f64 v[0:1], v[0:1], v[4:5]
	global_store_b64 v[2:3], v[0:1], off
.LBB80_11:
	s_nop 0
	s_sendmsg sendmsg(MSG_DEALLOC_VGPRS)
	s_endpgm
	.section	.rodata,"a",@progbits
	.p2align	6, 0x0
	.amdhsa_kernel _ZL37rocblas_syrkx_herkx_restricted_kernelIidLi16ELi32ELi8ELi1ELi1ELb0ELc67ELc76EKddEviT_PT9_S1_lS3_S1_lPT10_S1_li
		.amdhsa_group_segment_fixed_size 4096
		.amdhsa_private_segment_fixed_size 0
		.amdhsa_kernarg_size 84
		.amdhsa_user_sgpr_count 13
		.amdhsa_user_sgpr_dispatch_ptr 0
		.amdhsa_user_sgpr_queue_ptr 0
		.amdhsa_user_sgpr_kernarg_segment_ptr 1
		.amdhsa_user_sgpr_dispatch_id 0
		.amdhsa_user_sgpr_private_segment_size 0
		.amdhsa_wavefront_size32 1
		.amdhsa_uses_dynamic_stack 0
		.amdhsa_enable_private_segment 0
		.amdhsa_system_sgpr_workgroup_id_x 1
		.amdhsa_system_sgpr_workgroup_id_y 1
		.amdhsa_system_sgpr_workgroup_id_z 1
		.amdhsa_system_sgpr_workgroup_info 0
		.amdhsa_system_vgpr_workitem_id 1
		.amdhsa_next_free_vgpr 38
		.amdhsa_next_free_sgpr 20
		.amdhsa_reserve_vcc 1
		.amdhsa_float_round_mode_32 0
		.amdhsa_float_round_mode_16_64 0
		.amdhsa_float_denorm_mode_32 3
		.amdhsa_float_denorm_mode_16_64 3
		.amdhsa_dx10_clamp 1
		.amdhsa_ieee_mode 1
		.amdhsa_fp16_overflow 0
		.amdhsa_workgroup_processor_mode 1
		.amdhsa_memory_ordered 1
		.amdhsa_forward_progress 0
		.amdhsa_shared_vgpr_count 0
		.amdhsa_exception_fp_ieee_invalid_op 0
		.amdhsa_exception_fp_denorm_src 0
		.amdhsa_exception_fp_ieee_div_zero 0
		.amdhsa_exception_fp_ieee_overflow 0
		.amdhsa_exception_fp_ieee_underflow 0
		.amdhsa_exception_fp_ieee_inexact 0
		.amdhsa_exception_int_div_zero 0
	.end_amdhsa_kernel
	.section	.text._ZL37rocblas_syrkx_herkx_restricted_kernelIidLi16ELi32ELi8ELi1ELi1ELb0ELc67ELc76EKddEviT_PT9_S1_lS3_S1_lPT10_S1_li,"axG",@progbits,_ZL37rocblas_syrkx_herkx_restricted_kernelIidLi16ELi32ELi8ELi1ELi1ELb0ELc67ELc76EKddEviT_PT9_S1_lS3_S1_lPT10_S1_li,comdat
.Lfunc_end80:
	.size	_ZL37rocblas_syrkx_herkx_restricted_kernelIidLi16ELi32ELi8ELi1ELi1ELb0ELc67ELc76EKddEviT_PT9_S1_lS3_S1_lPT10_S1_li, .Lfunc_end80-_ZL37rocblas_syrkx_herkx_restricted_kernelIidLi16ELi32ELi8ELi1ELi1ELb0ELc67ELc76EKddEviT_PT9_S1_lS3_S1_lPT10_S1_li
                                        ; -- End function
	.section	.AMDGPU.csdata,"",@progbits
; Kernel info:
; codeLenInByte = 1440
; NumSgprs: 22
; NumVgprs: 38
; ScratchSize: 0
; MemoryBound: 0
; FloatMode: 240
; IeeeMode: 1
; LDSByteSize: 4096 bytes/workgroup (compile time only)
; SGPRBlocks: 2
; VGPRBlocks: 4
; NumSGPRsForWavesPerEU: 22
; NumVGPRsForWavesPerEU: 38
; Occupancy: 16
; WaveLimiterHint : 0
; COMPUTE_PGM_RSRC2:SCRATCH_EN: 0
; COMPUTE_PGM_RSRC2:USER_SGPR: 13
; COMPUTE_PGM_RSRC2:TRAP_HANDLER: 0
; COMPUTE_PGM_RSRC2:TGID_X_EN: 1
; COMPUTE_PGM_RSRC2:TGID_Y_EN: 1
; COMPUTE_PGM_RSRC2:TGID_Z_EN: 1
; COMPUTE_PGM_RSRC2:TIDIG_COMP_CNT: 1
	.section	.text._ZL37rocblas_syrkx_herkx_restricted_kernelIidLi16ELi32ELi8ELi1ELi1ELb0ELc78ELc76EKddEviT_PT9_S1_lS3_S1_lPT10_S1_li,"axG",@progbits,_ZL37rocblas_syrkx_herkx_restricted_kernelIidLi16ELi32ELi8ELi1ELi1ELb0ELc78ELc76EKddEviT_PT9_S1_lS3_S1_lPT10_S1_li,comdat
	.globl	_ZL37rocblas_syrkx_herkx_restricted_kernelIidLi16ELi32ELi8ELi1ELi1ELb0ELc78ELc76EKddEviT_PT9_S1_lS3_S1_lPT10_S1_li ; -- Begin function _ZL37rocblas_syrkx_herkx_restricted_kernelIidLi16ELi32ELi8ELi1ELi1ELb0ELc78ELc76EKddEviT_PT9_S1_lS3_S1_lPT10_S1_li
	.p2align	8
	.type	_ZL37rocblas_syrkx_herkx_restricted_kernelIidLi16ELi32ELi8ELi1ELi1ELb0ELc78ELc76EKddEviT_PT9_S1_lS3_S1_lPT10_S1_li,@function
_ZL37rocblas_syrkx_herkx_restricted_kernelIidLi16ELi32ELi8ELi1ELi1ELb0ELc78ELc76EKddEviT_PT9_S1_lS3_S1_lPT10_S1_li: ; @_ZL37rocblas_syrkx_herkx_restricted_kernelIidLi16ELi32ELi8ELi1ELi1ELb0ELc78ELc76EKddEviT_PT9_S1_lS3_S1_lPT10_S1_li
; %bb.0:
	s_clause 0x1
	s_load_b64 s[2:3], s[0:1], 0x0
	s_load_b128 s[4:7], s[0:1], 0x30
	v_mov_b32_e32 v10, 0
	v_dual_mov_b32 v11, 0 :: v_dual_and_b32 v12, 0x3ff, v0
	v_bfe_u32 v13, v0, 10, 10
	s_delay_alu instid0(VALU_DEP_3) | instskip(NEXT) | instid1(VALU_DEP_3)
	v_mov_b32_e32 v8, v10
	v_dual_mov_b32 v2, v10 :: v_dual_mov_b32 v3, v11
	v_dual_mov_b32 v9, v11 :: v_dual_mov_b32 v0, v10
	v_mov_b32_e32 v1, v11
	s_lshl_b32 s12, s13, 5
	s_lshl_b32 s13, s14, 5
	s_mov_b32 s14, 0
	s_waitcnt lgkmcnt(0)
	s_cmp_lt_i32 s3, 1
	s_cbranch_scc1 .LBB81_3
; %bb.1:
	s_clause 0x1
	s_load_b32 s16, s[0:1], 0x10
	s_load_b32 s18, s[0:1], 0x28
	v_lshl_add_u32 v0, v13, 4, v12
	v_and_b32_e32 v4, 7, v12
	s_clause 0x1
	s_load_b128 s[8:11], s[0:1], 0x18
	s_load_b64 s[20:21], s[0:1], 0x8
	s_mul_i32 s5, s5, s15
	v_lshrrev_b32_e32 v1, 3, v0
	v_and_b32_e32 v2, 31, v0
	v_lshrrev_b32_e32 v5, 5, v0
	v_lshlrev_b32_e32 v3, 3, v4
	v_lshlrev_b32_e32 v16, 3, v12
	v_add_nc_u32_e32 v0, s13, v1
	v_lshlrev_b32_e32 v6, 3, v2
	v_add_nc_u32_e32 v2, s12, v2
	v_lshl_or_b32 v8, v1, 6, v3
	v_lshl_add_u32 v17, v13, 6, 0x800
	v_ashrrev_i32_e32 v1, 31, v0
	v_lshl_or_b32 v14, v5, 8, v6
	v_ashrrev_i32_e32 v3, 31, v2
	s_waitcnt lgkmcnt(0)
	s_ashr_i32 s17, s16, 31
	s_ashr_i32 s19, s18, 31
	v_mad_i64_i32 v[6:7], null, s18, v4, v[0:1]
	v_mad_i64_i32 v[0:1], null, s16, v5, v[2:3]
	s_mul_i32 s9, s9, s15
	s_mul_hi_u32 s22, s8, s15
	s_mul_i32 s8, s8, s15
	s_add_i32 s9, s22, s9
	s_delay_alu instid0(VALU_DEP_2) | instskip(SKIP_1) | instid1(VALU_DEP_2)
	v_lshlrev_b64 v[2:3], 3, v[6:7]
	s_lshl_b64 s[8:9], s[8:9], 3
	v_lshlrev_b64 v[0:1], 3, v[0:1]
	s_add_u32 s8, s20, s8
	s_mul_hi_u32 s20, s4, s15
	s_addc_u32 s9, s21, s9
	s_add_i32 s5, s20, s5
	s_mul_i32 s4, s4, s15
	v_add_co_u32 v4, vcc_lo, s8, v0
	v_add_co_ci_u32_e32 v5, vcc_lo, s9, v1, vcc_lo
	s_lshl_b64 s[8:9], s[4:5], 3
	v_mov_b32_e32 v0, 0
	s_lshl_b64 s[4:5], s[16:17], 6
	v_mov_b32_e32 v1, 0
	s_add_u32 s8, s10, s8
	s_addc_u32 s9, s11, s9
	v_add_co_u32 v6, vcc_lo, s8, v2
	s_delay_alu instid0(VALU_DEP_2)
	v_mov_b32_e32 v11, v1
	v_add_nc_u32_e32 v15, 0x800, v8
	v_add_co_ci_u32_e32 v7, vcc_lo, s9, v3, vcc_lo
	v_dual_mov_b32 v3, v1 :: v_dual_mov_b32 v2, v0
	v_dual_mov_b32 v9, v1 :: v_dual_mov_b32 v8, v0
	v_mov_b32_e32 v10, v0
	s_lshl_b64 s[8:9], s[18:19], 6
.LBB81_2:                               ; =>This Inner Loop Header: Depth=1
	global_load_b64 v[18:19], v[4:5], off
	global_load_b64 v[20:21], v[6:7], off
	v_add_co_u32 v4, vcc_lo, v4, s4
	v_add_co_ci_u32_e32 v5, vcc_lo, s5, v5, vcc_lo
	v_add_co_u32 v6, vcc_lo, v6, s8
	v_add_co_ci_u32_e32 v7, vcc_lo, s9, v7, vcc_lo
	s_add_i32 s14, s14, 8
	s_waitcnt vmcnt(1)
	ds_store_b64 v14, v[18:19]
	s_waitcnt vmcnt(0)
	ds_store_b64 v15, v[20:21]
	s_waitcnt lgkmcnt(0)
	s_barrier
	buffer_gl0_inv
	ds_load_2addr_b64 v[18:21], v16 offset1:16
	ds_load_b128 v[22:25], v17
	ds_load_b128 v[26:29], v17 offset:1024
	ds_load_b128 v[30:33], v17 offset:16
	ds_load_b128 v[34:37], v17 offset:1040
	s_cmp_ge_i32 s14, s3
	s_waitcnt lgkmcnt(3)
	v_fma_f64 v[10:11], v[18:19], v[22:23], v[10:11]
	v_fma_f64 v[8:9], v[20:21], v[22:23], v[8:9]
	s_waitcnt lgkmcnt(2)
	v_fma_f64 v[18:19], v[18:19], v[26:27], v[2:3]
	v_fma_f64 v[20:21], v[20:21], v[26:27], v[0:1]
	ds_load_2addr_b64 v[0:3], v16 offset0:32 offset1:48
	s_waitcnt lgkmcnt(0)
	v_fma_f64 v[10:11], v[0:1], v[24:25], v[10:11]
	v_fma_f64 v[8:9], v[2:3], v[24:25], v[8:9]
	v_fma_f64 v[18:19], v[0:1], v[28:29], v[18:19]
	v_fma_f64 v[20:21], v[2:3], v[28:29], v[20:21]
	ds_load_2addr_b64 v[0:3], v16 offset0:64 offset1:80
	s_waitcnt lgkmcnt(0)
	v_fma_f64 v[10:11], v[0:1], v[30:31], v[10:11]
	v_fma_f64 v[8:9], v[2:3], v[30:31], v[8:9]
	;; [unrolled: 6-line block ×3, first 2 shown]
	v_fma_f64 v[34:35], v[0:1], v[36:37], v[18:19]
	v_fma_f64 v[36:37], v[2:3], v[36:37], v[20:21]
	ds_load_2addr_b64 v[0:3], v16 offset0:128 offset1:144
	ds_load_b128 v[8:11], v17 offset:32
	ds_load_b128 v[18:21], v17 offset:1056
	;; [unrolled: 1-line block ×4, first 2 shown]
	s_waitcnt lgkmcnt(3)
	v_fma_f64 v[30:31], v[0:1], v[8:9], v[30:31]
	v_fma_f64 v[8:9], v[2:3], v[8:9], v[32:33]
	s_waitcnt lgkmcnt(2)
	v_fma_f64 v[32:33], v[0:1], v[18:19], v[34:35]
	v_fma_f64 v[18:19], v[2:3], v[18:19], v[36:37]
	ds_load_2addr_b64 v[0:3], v16 offset0:160 offset1:176
	s_waitcnt lgkmcnt(0)
	v_fma_f64 v[30:31], v[0:1], v[10:11], v[30:31]
	v_fma_f64 v[8:9], v[2:3], v[10:11], v[8:9]
	;; [unrolled: 1-line block ×4, first 2 shown]
	ds_load_2addr_b64 v[0:3], v16 offset0:192 offset1:208
	s_waitcnt lgkmcnt(0)
	v_fma_f64 v[30:31], v[0:1], v[22:23], v[30:31]
	v_fma_f64 v[8:9], v[2:3], v[22:23], v[8:9]
	;; [unrolled: 1-line block ×4, first 2 shown]
	ds_load_2addr_b64 v[18:21], v16 offset0:224 offset1:240
	s_waitcnt lgkmcnt(0)
	s_barrier
	buffer_gl0_inv
	v_fma_f64 v[10:11], v[18:19], v[24:25], v[30:31]
	v_fma_f64 v[8:9], v[20:21], v[24:25], v[8:9]
	;; [unrolled: 1-line block ×4, first 2 shown]
	s_cbranch_scc0 .LBB81_2
.LBB81_3:
	s_clause 0x1
	s_load_b32 s3, s[0:1], 0x40
	s_load_b64 s[4:5], s[0:1], 0x48
	v_add_nc_u32_e32 v13, s13, v13
	v_add_nc_u32_e32 v4, s12, v12
	s_delay_alu instid0(VALU_DEP_1)
	v_cmp_le_i32_e64 s0, v13, v4
	v_cmp_gt_i32_e32 vcc_lo, s2, v4
	s_waitcnt lgkmcnt(0)
	v_mad_i64_i32 v[5:6], null, v13, s3, 0
	s_mul_i32 s1, s15, s5
	s_mul_hi_u32 s5, s15, s4
	s_mul_i32 s4, s15, s4
	s_add_i32 s5, s5, s1
	s_delay_alu instid0(SALU_CYCLE_1) | instskip(NEXT) | instid1(VALU_DEP_1)
	s_lshl_b64 s[4:5], s[4:5], 3
	v_lshlrev_b64 v[5:6], 3, v[5:6]
	s_add_u32 s4, s6, s4
	s_addc_u32 s5, s7, s5
	s_and_b32 s0, s0, vcc_lo
	s_delay_alu instid0(VALU_DEP_1) | instskip(NEXT) | instid1(VALU_DEP_1)
	v_add_co_u32 v12, s1, s4, v5
	v_add_co_ci_u32_e64 v14, s1, s5, v6, s1
	s_and_saveexec_b32 s1, s0
	s_cbranch_execz .LBB81_5
; %bb.4:
	v_ashrrev_i32_e32 v5, 31, v4
	s_delay_alu instid0(VALU_DEP_1) | instskip(NEXT) | instid1(VALU_DEP_1)
	v_lshlrev_b64 v[5:6], 3, v[4:5]
	v_add_co_u32 v5, s0, v12, v5
	s_delay_alu instid0(VALU_DEP_1)
	v_add_co_ci_u32_e64 v6, s0, v14, v6, s0
	global_load_b64 v[15:16], v[5:6], off
	s_waitcnt vmcnt(0)
	v_add_f64 v[10:11], v[10:11], v[15:16]
	global_store_b64 v[5:6], v[10:11], off
.LBB81_5:
	s_or_b32 exec_lo, exec_lo, s1
	v_add_nc_u32_e32 v6, 16, v4
	s_delay_alu instid0(VALU_DEP_1) | instskip(SKIP_1) | instid1(VALU_DEP_1)
	v_cmp_le_i32_e64 s1, v13, v6
	v_cmp_gt_i32_e64 s0, s2, v6
	s_and_b32 s1, s1, s0
	s_delay_alu instid0(SALU_CYCLE_1)
	s_and_saveexec_b32 s2, s1
	s_cbranch_execz .LBB81_7
; %bb.6:
	v_ashrrev_i32_e32 v7, 31, v6
	s_delay_alu instid0(VALU_DEP_1) | instskip(NEXT) | instid1(VALU_DEP_1)
	v_lshlrev_b64 v[10:11], 3, v[6:7]
	v_add_co_u32 v10, s1, v12, v10
	s_delay_alu instid0(VALU_DEP_1)
	v_add_co_ci_u32_e64 v11, s1, v14, v11, s1
	global_load_b64 v[14:15], v[10:11], off
	s_waitcnt vmcnt(0)
	v_add_f64 v[7:8], v[8:9], v[14:15]
	global_store_b64 v[10:11], v[7:8], off
.LBB81_7:
	s_or_b32 exec_lo, exec_lo, s2
	v_add_nc_u32_e32 v7, 16, v13
	s_delay_alu instid0(VALU_DEP_1) | instskip(SKIP_1) | instid1(VALU_DEP_2)
	v_mad_i64_i32 v[8:9], null, v7, s3, 0
	v_cmp_le_i32_e64 s1, v7, v4
	v_lshlrev_b64 v[8:9], 3, v[8:9]
	s_delay_alu instid0(VALU_DEP_1) | instskip(NEXT) | instid1(VALU_DEP_1)
	v_add_co_u32 v8, s2, s4, v8
	v_add_co_ci_u32_e64 v9, s2, s5, v9, s2
	s_delay_alu instid0(VALU_DEP_4) | instskip(NEXT) | instid1(SALU_CYCLE_1)
	s_and_b32 s2, s1, vcc_lo
	s_and_saveexec_b32 s1, s2
	s_cbranch_execz .LBB81_9
; %bb.8:
	v_ashrrev_i32_e32 v5, 31, v4
	s_delay_alu instid0(VALU_DEP_1) | instskip(NEXT) | instid1(VALU_DEP_1)
	v_lshlrev_b64 v[4:5], 3, v[4:5]
	v_add_co_u32 v4, vcc_lo, v8, v4
	s_delay_alu instid0(VALU_DEP_2)
	v_add_co_ci_u32_e32 v5, vcc_lo, v9, v5, vcc_lo
	global_load_b64 v[10:11], v[4:5], off
	s_waitcnt vmcnt(0)
	v_add_f64 v[2:3], v[2:3], v[10:11]
	global_store_b64 v[4:5], v[2:3], off
.LBB81_9:
	s_or_b32 exec_lo, exec_lo, s1
	v_cmp_le_i32_e32 vcc_lo, v7, v6
	s_and_b32 s0, vcc_lo, s0
	s_delay_alu instid0(SALU_CYCLE_1)
	s_and_saveexec_b32 s1, s0
	s_cbranch_execz .LBB81_11
; %bb.10:
	v_ashrrev_i32_e32 v7, 31, v6
	s_delay_alu instid0(VALU_DEP_1) | instskip(NEXT) | instid1(VALU_DEP_1)
	v_lshlrev_b64 v[2:3], 3, v[6:7]
	v_add_co_u32 v2, vcc_lo, v8, v2
	s_delay_alu instid0(VALU_DEP_2)
	v_add_co_ci_u32_e32 v3, vcc_lo, v9, v3, vcc_lo
	global_load_b64 v[4:5], v[2:3], off
	s_waitcnt vmcnt(0)
	v_add_f64 v[0:1], v[0:1], v[4:5]
	global_store_b64 v[2:3], v[0:1], off
.LBB81_11:
	s_nop 0
	s_sendmsg sendmsg(MSG_DEALLOC_VGPRS)
	s_endpgm
	.section	.rodata,"a",@progbits
	.p2align	6, 0x0
	.amdhsa_kernel _ZL37rocblas_syrkx_herkx_restricted_kernelIidLi16ELi32ELi8ELi1ELi1ELb0ELc78ELc76EKddEviT_PT9_S1_lS3_S1_lPT10_S1_li
		.amdhsa_group_segment_fixed_size 4096
		.amdhsa_private_segment_fixed_size 0
		.amdhsa_kernarg_size 84
		.amdhsa_user_sgpr_count 13
		.amdhsa_user_sgpr_dispatch_ptr 0
		.amdhsa_user_sgpr_queue_ptr 0
		.amdhsa_user_sgpr_kernarg_segment_ptr 1
		.amdhsa_user_sgpr_dispatch_id 0
		.amdhsa_user_sgpr_private_segment_size 0
		.amdhsa_wavefront_size32 1
		.amdhsa_uses_dynamic_stack 0
		.amdhsa_enable_private_segment 0
		.amdhsa_system_sgpr_workgroup_id_x 1
		.amdhsa_system_sgpr_workgroup_id_y 1
		.amdhsa_system_sgpr_workgroup_id_z 1
		.amdhsa_system_sgpr_workgroup_info 0
		.amdhsa_system_vgpr_workitem_id 1
		.amdhsa_next_free_vgpr 38
		.amdhsa_next_free_sgpr 23
		.amdhsa_reserve_vcc 1
		.amdhsa_float_round_mode_32 0
		.amdhsa_float_round_mode_16_64 0
		.amdhsa_float_denorm_mode_32 3
		.amdhsa_float_denorm_mode_16_64 3
		.amdhsa_dx10_clamp 1
		.amdhsa_ieee_mode 1
		.amdhsa_fp16_overflow 0
		.amdhsa_workgroup_processor_mode 1
		.amdhsa_memory_ordered 1
		.amdhsa_forward_progress 0
		.amdhsa_shared_vgpr_count 0
		.amdhsa_exception_fp_ieee_invalid_op 0
		.amdhsa_exception_fp_denorm_src 0
		.amdhsa_exception_fp_ieee_div_zero 0
		.amdhsa_exception_fp_ieee_overflow 0
		.amdhsa_exception_fp_ieee_underflow 0
		.amdhsa_exception_fp_ieee_inexact 0
		.amdhsa_exception_int_div_zero 0
	.end_amdhsa_kernel
	.section	.text._ZL37rocblas_syrkx_herkx_restricted_kernelIidLi16ELi32ELi8ELi1ELi1ELb0ELc78ELc76EKddEviT_PT9_S1_lS3_S1_lPT10_S1_li,"axG",@progbits,_ZL37rocblas_syrkx_herkx_restricted_kernelIidLi16ELi32ELi8ELi1ELi1ELb0ELc78ELc76EKddEviT_PT9_S1_lS3_S1_lPT10_S1_li,comdat
.Lfunc_end81:
	.size	_ZL37rocblas_syrkx_herkx_restricted_kernelIidLi16ELi32ELi8ELi1ELi1ELb0ELc78ELc76EKddEviT_PT9_S1_lS3_S1_lPT10_S1_li, .Lfunc_end81-_ZL37rocblas_syrkx_herkx_restricted_kernelIidLi16ELi32ELi8ELi1ELi1ELb0ELc78ELc76EKddEviT_PT9_S1_lS3_S1_lPT10_S1_li
                                        ; -- End function
	.section	.AMDGPU.csdata,"",@progbits
; Kernel info:
; codeLenInByte = 1452
; NumSgprs: 25
; NumVgprs: 38
; ScratchSize: 0
; MemoryBound: 0
; FloatMode: 240
; IeeeMode: 1
; LDSByteSize: 4096 bytes/workgroup (compile time only)
; SGPRBlocks: 3
; VGPRBlocks: 4
; NumSGPRsForWavesPerEU: 25
; NumVGPRsForWavesPerEU: 38
; Occupancy: 16
; WaveLimiterHint : 0
; COMPUTE_PGM_RSRC2:SCRATCH_EN: 0
; COMPUTE_PGM_RSRC2:USER_SGPR: 13
; COMPUTE_PGM_RSRC2:TRAP_HANDLER: 0
; COMPUTE_PGM_RSRC2:TGID_X_EN: 1
; COMPUTE_PGM_RSRC2:TGID_Y_EN: 1
; COMPUTE_PGM_RSRC2:TGID_Z_EN: 1
; COMPUTE_PGM_RSRC2:TIDIG_COMP_CNT: 1
	.section	.text._ZL37rocblas_syrkx_herkx_restricted_kernelIidLi16ELi32ELi8ELi1ELi1ELb0ELc84ELc85EKddEviT_PT9_S1_lS3_S1_lPT10_S1_li,"axG",@progbits,_ZL37rocblas_syrkx_herkx_restricted_kernelIidLi16ELi32ELi8ELi1ELi1ELb0ELc84ELc85EKddEviT_PT9_S1_lS3_S1_lPT10_S1_li,comdat
	.globl	_ZL37rocblas_syrkx_herkx_restricted_kernelIidLi16ELi32ELi8ELi1ELi1ELb0ELc84ELc85EKddEviT_PT9_S1_lS3_S1_lPT10_S1_li ; -- Begin function _ZL37rocblas_syrkx_herkx_restricted_kernelIidLi16ELi32ELi8ELi1ELi1ELb0ELc84ELc85EKddEviT_PT9_S1_lS3_S1_lPT10_S1_li
	.p2align	8
	.type	_ZL37rocblas_syrkx_herkx_restricted_kernelIidLi16ELi32ELi8ELi1ELi1ELb0ELc84ELc85EKddEviT_PT9_S1_lS3_S1_lPT10_S1_li,@function
_ZL37rocblas_syrkx_herkx_restricted_kernelIidLi16ELi32ELi8ELi1ELi1ELb0ELc84ELc85EKddEviT_PT9_S1_lS3_S1_lPT10_S1_li: ; @_ZL37rocblas_syrkx_herkx_restricted_kernelIidLi16ELi32ELi8ELi1ELi1ELb0ELc84ELc85EKddEviT_PT9_S1_lS3_S1_lPT10_S1_li
; %bb.0:
	s_clause 0x1
	s_load_b64 s[2:3], s[0:1], 0x0
	s_load_b128 s[4:7], s[0:1], 0x30
	v_mov_b32_e32 v10, 0
	v_dual_mov_b32 v11, 0 :: v_dual_and_b32 v12, 0x3ff, v0
	v_bfe_u32 v13, v0, 10, 10
	s_delay_alu instid0(VALU_DEP_3) | instskip(NEXT) | instid1(VALU_DEP_3)
	v_mov_b32_e32 v8, v10
	v_dual_mov_b32 v2, v10 :: v_dual_mov_b32 v3, v11
	v_dual_mov_b32 v9, v11 :: v_dual_mov_b32 v0, v10
	v_mov_b32_e32 v1, v11
	s_lshl_b32 s12, s13, 5
	s_lshl_b32 s13, s14, 5
	s_mov_b32 s14, 0
	s_waitcnt lgkmcnt(0)
	s_cmp_lt_i32 s3, 1
	s_cbranch_scc1 .LBB82_3
; %bb.1:
	s_clause 0x1
	s_load_b32 s18, s[0:1], 0x10
	s_load_b128 s[8:11], s[0:1], 0x18
	v_lshl_add_u32 v2, v13, 4, v12
	v_dual_mov_b32 v1, 0 :: v_dual_and_b32 v0, 7, v12
	s_clause 0x1
	s_load_b64 s[16:17], s[0:1], 0x8
	s_load_b32 s19, s[0:1], 0x28
	v_lshlrev_b32_e32 v14, 3, v12
	v_lshrrev_b32_e32 v4, 3, v2
	v_and_b32_e32 v5, 31, v2
	v_lshlrev_b32_e32 v3, 3, v0
	v_lshrrev_b32_e32 v2, 5, v2
	s_mul_i32 s5, s5, s15
	v_add_nc_u32_e32 v9, s13, v4
	v_add_nc_u32_e32 v8, s12, v5
	v_lshl_or_b32 v7, v4, 6, v3
	v_dual_mov_b32 v3, v1 :: v_dual_lshlrev_b32 v6, 3, v5
	v_lshl_add_u32 v17, v13, 6, 0x800
	s_waitcnt lgkmcnt(0)
	s_delay_alu instid0(VALU_DEP_2) | instskip(NEXT) | instid1(VALU_DEP_3)
	v_mad_i64_i32 v[4:5], null, s18, v8, v[2:3]
	v_lshl_or_b32 v15, v2, 8, v6
	s_mul_i32 s9, s9, s15
	s_mul_hi_u32 s18, s8, s15
	v_mad_i64_i32 v[2:3], null, s19, v9, v[0:1]
	s_mul_i32 s8, s8, s15
	s_add_i32 s9, s18, s9
	s_delay_alu instid0(VALU_DEP_3) | instskip(SKIP_1) | instid1(SALU_CYCLE_1)
	v_lshlrev_b64 v[0:1], 3, v[4:5]
	s_lshl_b64 s[8:9], s[8:9], 3
	s_add_u32 s8, s16, s8
	s_mul_hi_u32 s16, s4, s15
	s_addc_u32 s9, s17, s9
	s_add_i32 s5, s16, s5
	s_mul_i32 s4, s4, s15
	v_lshlrev_b64 v[2:3], 3, v[2:3]
	v_add_co_u32 v4, vcc_lo, s8, v0
	s_lshl_b64 s[4:5], s[4:5], 3
	v_add_co_ci_u32_e32 v5, vcc_lo, s9, v1, vcc_lo
	v_mov_b32_e32 v0, 0
	v_mov_b32_e32 v1, 0
	s_add_u32 s4, s10, s4
	s_addc_u32 s5, s11, s5
	v_add_co_u32 v6, vcc_lo, s4, v2
	s_delay_alu instid0(VALU_DEP_2)
	v_dual_mov_b32 v9, v1 :: v_dual_add_nc_u32 v16, 0x800, v7
	v_add_co_ci_u32_e32 v7, vcc_lo, s5, v3, vcc_lo
	v_dual_mov_b32 v3, v1 :: v_dual_mov_b32 v2, v0
	v_dual_mov_b32 v8, v0 :: v_dual_mov_b32 v11, v1
	v_mov_b32_e32 v10, v0
.LBB82_2:                               ; =>This Inner Loop Header: Depth=1
	global_load_b64 v[18:19], v[4:5], off
	global_load_b64 v[20:21], v[6:7], off
	v_add_co_u32 v4, vcc_lo, v4, 64
	v_add_co_ci_u32_e32 v5, vcc_lo, 0, v5, vcc_lo
	v_add_co_u32 v6, vcc_lo, v6, 64
	v_add_co_ci_u32_e32 v7, vcc_lo, 0, v7, vcc_lo
	s_add_i32 s14, s14, 8
	s_waitcnt vmcnt(1)
	ds_store_b64 v15, v[18:19]
	s_waitcnt vmcnt(0)
	ds_store_b64 v16, v[20:21]
	s_waitcnt lgkmcnt(0)
	s_barrier
	buffer_gl0_inv
	ds_load_2addr_b64 v[18:21], v14 offset1:16
	ds_load_b128 v[22:25], v17
	ds_load_b128 v[26:29], v17 offset:1024
	ds_load_b128 v[30:33], v17 offset:16
	ds_load_b128 v[34:37], v17 offset:1040
	s_cmp_ge_i32 s14, s3
	s_waitcnt lgkmcnt(3)
	v_fma_f64 v[10:11], v[18:19], v[22:23], v[10:11]
	v_fma_f64 v[8:9], v[20:21], v[22:23], v[8:9]
	s_waitcnt lgkmcnt(2)
	v_fma_f64 v[18:19], v[18:19], v[26:27], v[2:3]
	v_fma_f64 v[20:21], v[20:21], v[26:27], v[0:1]
	ds_load_2addr_b64 v[0:3], v14 offset0:32 offset1:48
	s_waitcnt lgkmcnt(0)
	v_fma_f64 v[10:11], v[0:1], v[24:25], v[10:11]
	v_fma_f64 v[8:9], v[2:3], v[24:25], v[8:9]
	v_fma_f64 v[18:19], v[0:1], v[28:29], v[18:19]
	v_fma_f64 v[20:21], v[2:3], v[28:29], v[20:21]
	ds_load_2addr_b64 v[0:3], v14 offset0:64 offset1:80
	s_waitcnt lgkmcnt(0)
	v_fma_f64 v[10:11], v[0:1], v[30:31], v[10:11]
	v_fma_f64 v[8:9], v[2:3], v[30:31], v[8:9]
	v_fma_f64 v[18:19], v[0:1], v[34:35], v[18:19]
	v_fma_f64 v[20:21], v[2:3], v[34:35], v[20:21]
	ds_load_2addr_b64 v[0:3], v14 offset0:96 offset1:112
	s_waitcnt lgkmcnt(0)
	v_fma_f64 v[30:31], v[0:1], v[32:33], v[10:11]
	v_fma_f64 v[32:33], v[2:3], v[32:33], v[8:9]
	v_fma_f64 v[34:35], v[0:1], v[36:37], v[18:19]
	v_fma_f64 v[36:37], v[2:3], v[36:37], v[20:21]
	ds_load_2addr_b64 v[0:3], v14 offset0:128 offset1:144
	ds_load_b128 v[8:11], v17 offset:32
	ds_load_b128 v[18:21], v17 offset:1056
	;; [unrolled: 1-line block ×4, first 2 shown]
	s_waitcnt lgkmcnt(3)
	v_fma_f64 v[30:31], v[0:1], v[8:9], v[30:31]
	v_fma_f64 v[8:9], v[2:3], v[8:9], v[32:33]
	s_waitcnt lgkmcnt(2)
	v_fma_f64 v[32:33], v[0:1], v[18:19], v[34:35]
	v_fma_f64 v[18:19], v[2:3], v[18:19], v[36:37]
	ds_load_2addr_b64 v[0:3], v14 offset0:160 offset1:176
	s_waitcnt lgkmcnt(0)
	v_fma_f64 v[30:31], v[0:1], v[10:11], v[30:31]
	v_fma_f64 v[8:9], v[2:3], v[10:11], v[8:9]
	;; [unrolled: 1-line block ×4, first 2 shown]
	ds_load_2addr_b64 v[0:3], v14 offset0:192 offset1:208
	s_waitcnt lgkmcnt(0)
	v_fma_f64 v[30:31], v[0:1], v[22:23], v[30:31]
	v_fma_f64 v[8:9], v[2:3], v[22:23], v[8:9]
	;; [unrolled: 1-line block ×4, first 2 shown]
	ds_load_2addr_b64 v[18:21], v14 offset0:224 offset1:240
	s_waitcnt lgkmcnt(0)
	s_barrier
	buffer_gl0_inv
	v_fma_f64 v[10:11], v[18:19], v[24:25], v[30:31]
	v_fma_f64 v[8:9], v[20:21], v[24:25], v[8:9]
	;; [unrolled: 1-line block ×4, first 2 shown]
	s_cbranch_scc0 .LBB82_2
.LBB82_3:
	s_clause 0x1
	s_load_b32 s3, s[0:1], 0x40
	s_load_b64 s[0:1], s[0:1], 0x48
	v_add_nc_u32_e32 v13, s13, v13
	v_add_nc_u32_e32 v4, s12, v12
	s_delay_alu instid0(VALU_DEP_2)
	v_cmp_gt_i32_e32 vcc_lo, s2, v13
	s_waitcnt lgkmcnt(0)
	v_mad_i64_i32 v[5:6], null, v13, s3, 0
	s_mul_i32 s1, s15, s1
	s_mul_hi_u32 s4, s15, s0
	s_mul_i32 s0, s15, s0
	s_add_i32 s1, s4, s1
	s_delay_alu instid0(SALU_CYCLE_1) | instskip(NEXT) | instid1(VALU_DEP_1)
	s_lshl_b64 s[4:5], s[0:1], 3
	v_lshlrev_b64 v[5:6], 3, v[5:6]
	s_add_u32 s4, s6, s4
	v_cmp_le_i32_e64 s0, v4, v13
	s_addc_u32 s5, s7, s5
	s_delay_alu instid0(VALU_DEP_2) | instskip(NEXT) | instid1(VALU_DEP_1)
	v_add_co_u32 v12, s1, s4, v5
	v_add_co_ci_u32_e64 v14, s1, s5, v6, s1
	s_delay_alu instid0(VALU_DEP_3) | instskip(NEXT) | instid1(SALU_CYCLE_1)
	s_and_b32 s0, vcc_lo, s0
	s_and_saveexec_b32 s1, s0
	s_cbranch_execz .LBB82_5
; %bb.4:
	v_ashrrev_i32_e32 v5, 31, v4
	s_delay_alu instid0(VALU_DEP_1) | instskip(NEXT) | instid1(VALU_DEP_1)
	v_lshlrev_b64 v[5:6], 3, v[4:5]
	v_add_co_u32 v5, s0, v12, v5
	s_delay_alu instid0(VALU_DEP_1)
	v_add_co_ci_u32_e64 v6, s0, v14, v6, s0
	global_load_b64 v[15:16], v[5:6], off
	s_waitcnt vmcnt(0)
	v_add_f64 v[10:11], v[10:11], v[15:16]
	global_store_b64 v[5:6], v[10:11], off
.LBB82_5:
	s_or_b32 exec_lo, exec_lo, s1
	v_add_nc_u32_e32 v6, 16, v4
	s_delay_alu instid0(VALU_DEP_1) | instskip(NEXT) | instid1(VALU_DEP_1)
	v_cmp_le_i32_e64 s0, v6, v13
	s_and_b32 s1, vcc_lo, s0
	s_delay_alu instid0(SALU_CYCLE_1)
	s_and_saveexec_b32 s0, s1
	s_cbranch_execz .LBB82_7
; %bb.6:
	v_ashrrev_i32_e32 v7, 31, v6
	s_delay_alu instid0(VALU_DEP_1) | instskip(NEXT) | instid1(VALU_DEP_1)
	v_lshlrev_b64 v[10:11], 3, v[6:7]
	v_add_co_u32 v10, vcc_lo, v12, v10
	s_delay_alu instid0(VALU_DEP_2)
	v_add_co_ci_u32_e32 v11, vcc_lo, v14, v11, vcc_lo
	global_load_b64 v[14:15], v[10:11], off
	s_waitcnt vmcnt(0)
	v_add_f64 v[7:8], v[8:9], v[14:15]
	global_store_b64 v[10:11], v[7:8], off
.LBB82_7:
	s_or_b32 exec_lo, exec_lo, s0
	v_add_nc_u32_e32 v7, 16, v13
	s_delay_alu instid0(VALU_DEP_1) | instskip(SKIP_2) | instid1(VALU_DEP_1)
	v_mad_i64_i32 v[8:9], null, v7, s3, 0
	v_cmp_gt_i32_e32 vcc_lo, s2, v7
	v_cmp_le_i32_e64 s0, v4, v7
	s_and_b32 s0, vcc_lo, s0
	s_delay_alu instid0(VALU_DEP_3) | instskip(NEXT) | instid1(VALU_DEP_1)
	v_lshlrev_b64 v[8:9], 3, v[8:9]
	v_add_co_u32 v8, s1, s4, v8
	s_delay_alu instid0(VALU_DEP_1)
	v_add_co_ci_u32_e64 v9, s1, s5, v9, s1
	s_and_saveexec_b32 s1, s0
	s_cbranch_execz .LBB82_9
; %bb.8:
	v_ashrrev_i32_e32 v5, 31, v4
	s_delay_alu instid0(VALU_DEP_1) | instskip(NEXT) | instid1(VALU_DEP_1)
	v_lshlrev_b64 v[4:5], 3, v[4:5]
	v_add_co_u32 v4, s0, v8, v4
	s_delay_alu instid0(VALU_DEP_1)
	v_add_co_ci_u32_e64 v5, s0, v9, v5, s0
	global_load_b64 v[10:11], v[4:5], off
	s_waitcnt vmcnt(0)
	v_add_f64 v[2:3], v[2:3], v[10:11]
	global_store_b64 v[4:5], v[2:3], off
.LBB82_9:
	s_or_b32 exec_lo, exec_lo, s1
	v_cmp_le_i32_e64 s0, v6, v7
	s_delay_alu instid0(VALU_DEP_1) | instskip(NEXT) | instid1(SALU_CYCLE_1)
	s_and_b32 s0, vcc_lo, s0
	s_and_saveexec_b32 s1, s0
	s_cbranch_execz .LBB82_11
; %bb.10:
	v_ashrrev_i32_e32 v7, 31, v6
	s_delay_alu instid0(VALU_DEP_1) | instskip(NEXT) | instid1(VALU_DEP_1)
	v_lshlrev_b64 v[2:3], 3, v[6:7]
	v_add_co_u32 v2, vcc_lo, v8, v2
	s_delay_alu instid0(VALU_DEP_2)
	v_add_co_ci_u32_e32 v3, vcc_lo, v9, v3, vcc_lo
	global_load_b64 v[4:5], v[2:3], off
	s_waitcnt vmcnt(0)
	v_add_f64 v[0:1], v[0:1], v[4:5]
	global_store_b64 v[2:3], v[0:1], off
.LBB82_11:
	s_nop 0
	s_sendmsg sendmsg(MSG_DEALLOC_VGPRS)
	s_endpgm
	.section	.rodata,"a",@progbits
	.p2align	6, 0x0
	.amdhsa_kernel _ZL37rocblas_syrkx_herkx_restricted_kernelIidLi16ELi32ELi8ELi1ELi1ELb0ELc84ELc85EKddEviT_PT9_S1_lS3_S1_lPT10_S1_li
		.amdhsa_group_segment_fixed_size 4096
		.amdhsa_private_segment_fixed_size 0
		.amdhsa_kernarg_size 84
		.amdhsa_user_sgpr_count 13
		.amdhsa_user_sgpr_dispatch_ptr 0
		.amdhsa_user_sgpr_queue_ptr 0
		.amdhsa_user_sgpr_kernarg_segment_ptr 1
		.amdhsa_user_sgpr_dispatch_id 0
		.amdhsa_user_sgpr_private_segment_size 0
		.amdhsa_wavefront_size32 1
		.amdhsa_uses_dynamic_stack 0
		.amdhsa_enable_private_segment 0
		.amdhsa_system_sgpr_workgroup_id_x 1
		.amdhsa_system_sgpr_workgroup_id_y 1
		.amdhsa_system_sgpr_workgroup_id_z 1
		.amdhsa_system_sgpr_workgroup_info 0
		.amdhsa_system_vgpr_workitem_id 1
		.amdhsa_next_free_vgpr 38
		.amdhsa_next_free_sgpr 20
		.amdhsa_reserve_vcc 1
		.amdhsa_float_round_mode_32 0
		.amdhsa_float_round_mode_16_64 0
		.amdhsa_float_denorm_mode_32 3
		.amdhsa_float_denorm_mode_16_64 3
		.amdhsa_dx10_clamp 1
		.amdhsa_ieee_mode 1
		.amdhsa_fp16_overflow 0
		.amdhsa_workgroup_processor_mode 1
		.amdhsa_memory_ordered 1
		.amdhsa_forward_progress 0
		.amdhsa_shared_vgpr_count 0
		.amdhsa_exception_fp_ieee_invalid_op 0
		.amdhsa_exception_fp_denorm_src 0
		.amdhsa_exception_fp_ieee_div_zero 0
		.amdhsa_exception_fp_ieee_overflow 0
		.amdhsa_exception_fp_ieee_underflow 0
		.amdhsa_exception_fp_ieee_inexact 0
		.amdhsa_exception_int_div_zero 0
	.end_amdhsa_kernel
	.section	.text._ZL37rocblas_syrkx_herkx_restricted_kernelIidLi16ELi32ELi8ELi1ELi1ELb0ELc84ELc85EKddEviT_PT9_S1_lS3_S1_lPT10_S1_li,"axG",@progbits,_ZL37rocblas_syrkx_herkx_restricted_kernelIidLi16ELi32ELi8ELi1ELi1ELb0ELc84ELc85EKddEviT_PT9_S1_lS3_S1_lPT10_S1_li,comdat
.Lfunc_end82:
	.size	_ZL37rocblas_syrkx_herkx_restricted_kernelIidLi16ELi32ELi8ELi1ELi1ELb0ELc84ELc85EKddEviT_PT9_S1_lS3_S1_lPT10_S1_li, .Lfunc_end82-_ZL37rocblas_syrkx_herkx_restricted_kernelIidLi16ELi32ELi8ELi1ELi1ELb0ELc84ELc85EKddEviT_PT9_S1_lS3_S1_lPT10_S1_li
                                        ; -- End function
	.section	.AMDGPU.csdata,"",@progbits
; Kernel info:
; codeLenInByte = 1444
; NumSgprs: 22
; NumVgprs: 38
; ScratchSize: 0
; MemoryBound: 0
; FloatMode: 240
; IeeeMode: 1
; LDSByteSize: 4096 bytes/workgroup (compile time only)
; SGPRBlocks: 2
; VGPRBlocks: 4
; NumSGPRsForWavesPerEU: 22
; NumVGPRsForWavesPerEU: 38
; Occupancy: 16
; WaveLimiterHint : 0
; COMPUTE_PGM_RSRC2:SCRATCH_EN: 0
; COMPUTE_PGM_RSRC2:USER_SGPR: 13
; COMPUTE_PGM_RSRC2:TRAP_HANDLER: 0
; COMPUTE_PGM_RSRC2:TGID_X_EN: 1
; COMPUTE_PGM_RSRC2:TGID_Y_EN: 1
; COMPUTE_PGM_RSRC2:TGID_Z_EN: 1
; COMPUTE_PGM_RSRC2:TIDIG_COMP_CNT: 1
	.section	.text._ZL37rocblas_syrkx_herkx_restricted_kernelIidLi16ELi32ELi8ELi1ELi1ELb0ELc67ELc85EKddEviT_PT9_S1_lS3_S1_lPT10_S1_li,"axG",@progbits,_ZL37rocblas_syrkx_herkx_restricted_kernelIidLi16ELi32ELi8ELi1ELi1ELb0ELc67ELc85EKddEviT_PT9_S1_lS3_S1_lPT10_S1_li,comdat
	.globl	_ZL37rocblas_syrkx_herkx_restricted_kernelIidLi16ELi32ELi8ELi1ELi1ELb0ELc67ELc85EKddEviT_PT9_S1_lS3_S1_lPT10_S1_li ; -- Begin function _ZL37rocblas_syrkx_herkx_restricted_kernelIidLi16ELi32ELi8ELi1ELi1ELb0ELc67ELc85EKddEviT_PT9_S1_lS3_S1_lPT10_S1_li
	.p2align	8
	.type	_ZL37rocblas_syrkx_herkx_restricted_kernelIidLi16ELi32ELi8ELi1ELi1ELb0ELc67ELc85EKddEviT_PT9_S1_lS3_S1_lPT10_S1_li,@function
_ZL37rocblas_syrkx_herkx_restricted_kernelIidLi16ELi32ELi8ELi1ELi1ELb0ELc67ELc85EKddEviT_PT9_S1_lS3_S1_lPT10_S1_li: ; @_ZL37rocblas_syrkx_herkx_restricted_kernelIidLi16ELi32ELi8ELi1ELi1ELb0ELc67ELc85EKddEviT_PT9_S1_lS3_S1_lPT10_S1_li
; %bb.0:
	s_clause 0x1
	s_load_b64 s[2:3], s[0:1], 0x0
	s_load_b128 s[4:7], s[0:1], 0x30
	v_mov_b32_e32 v10, 0
	v_dual_mov_b32 v11, 0 :: v_dual_and_b32 v12, 0x3ff, v0
	v_bfe_u32 v13, v0, 10, 10
	s_delay_alu instid0(VALU_DEP_3) | instskip(NEXT) | instid1(VALU_DEP_3)
	v_mov_b32_e32 v8, v10
	v_dual_mov_b32 v2, v10 :: v_dual_mov_b32 v3, v11
	v_dual_mov_b32 v9, v11 :: v_dual_mov_b32 v0, v10
	v_mov_b32_e32 v1, v11
	s_lshl_b32 s12, s13, 5
	s_lshl_b32 s13, s14, 5
	s_mov_b32 s14, 0
	s_waitcnt lgkmcnt(0)
	s_cmp_lt_i32 s3, 1
	s_cbranch_scc1 .LBB83_3
; %bb.1:
	s_clause 0x1
	s_load_b32 s18, s[0:1], 0x10
	s_load_b128 s[8:11], s[0:1], 0x18
	v_lshl_add_u32 v2, v13, 4, v12
	v_dual_mov_b32 v1, 0 :: v_dual_and_b32 v0, 7, v12
	s_clause 0x1
	s_load_b64 s[16:17], s[0:1], 0x8
	s_load_b32 s19, s[0:1], 0x28
	v_lshlrev_b32_e32 v14, 3, v12
	v_lshrrev_b32_e32 v4, 3, v2
	v_and_b32_e32 v5, 31, v2
	v_lshlrev_b32_e32 v3, 3, v0
	v_lshrrev_b32_e32 v2, 5, v2
	s_mul_i32 s5, s5, s15
	v_add_nc_u32_e32 v9, s13, v4
	v_add_nc_u32_e32 v8, s12, v5
	v_lshl_or_b32 v7, v4, 6, v3
	v_dual_mov_b32 v3, v1 :: v_dual_lshlrev_b32 v6, 3, v5
	v_lshl_add_u32 v17, v13, 6, 0x800
	s_waitcnt lgkmcnt(0)
	s_delay_alu instid0(VALU_DEP_2) | instskip(NEXT) | instid1(VALU_DEP_3)
	v_mad_i64_i32 v[4:5], null, s18, v8, v[2:3]
	v_lshl_or_b32 v15, v2, 8, v6
	s_mul_i32 s9, s9, s15
	s_mul_hi_u32 s18, s8, s15
	v_mad_i64_i32 v[2:3], null, s19, v9, v[0:1]
	s_mul_i32 s8, s8, s15
	s_add_i32 s9, s18, s9
	s_delay_alu instid0(VALU_DEP_3) | instskip(SKIP_1) | instid1(SALU_CYCLE_1)
	v_lshlrev_b64 v[0:1], 3, v[4:5]
	s_lshl_b64 s[8:9], s[8:9], 3
	s_add_u32 s8, s16, s8
	s_mul_hi_u32 s16, s4, s15
	s_addc_u32 s9, s17, s9
	s_add_i32 s5, s16, s5
	s_mul_i32 s4, s4, s15
	v_lshlrev_b64 v[2:3], 3, v[2:3]
	v_add_co_u32 v4, vcc_lo, s8, v0
	s_lshl_b64 s[4:5], s[4:5], 3
	v_add_co_ci_u32_e32 v5, vcc_lo, s9, v1, vcc_lo
	v_mov_b32_e32 v0, 0
	v_mov_b32_e32 v1, 0
	s_add_u32 s4, s10, s4
	s_addc_u32 s5, s11, s5
	v_add_co_u32 v6, vcc_lo, s4, v2
	s_delay_alu instid0(VALU_DEP_2)
	v_dual_mov_b32 v9, v1 :: v_dual_add_nc_u32 v16, 0x800, v7
	v_add_co_ci_u32_e32 v7, vcc_lo, s5, v3, vcc_lo
	v_dual_mov_b32 v3, v1 :: v_dual_mov_b32 v2, v0
	v_dual_mov_b32 v8, v0 :: v_dual_mov_b32 v11, v1
	v_mov_b32_e32 v10, v0
.LBB83_2:                               ; =>This Inner Loop Header: Depth=1
	global_load_b64 v[18:19], v[4:5], off
	global_load_b64 v[20:21], v[6:7], off
	v_add_co_u32 v4, vcc_lo, v4, 64
	v_add_co_ci_u32_e32 v5, vcc_lo, 0, v5, vcc_lo
	v_add_co_u32 v6, vcc_lo, v6, 64
	v_add_co_ci_u32_e32 v7, vcc_lo, 0, v7, vcc_lo
	s_add_i32 s14, s14, 8
	s_waitcnt vmcnt(1)
	ds_store_b64 v15, v[18:19]
	s_waitcnt vmcnt(0)
	ds_store_b64 v16, v[20:21]
	s_waitcnt lgkmcnt(0)
	s_barrier
	buffer_gl0_inv
	ds_load_2addr_b64 v[18:21], v14 offset1:16
	ds_load_b128 v[22:25], v17
	ds_load_b128 v[26:29], v17 offset:1024
	ds_load_b128 v[30:33], v17 offset:16
	;; [unrolled: 1-line block ×3, first 2 shown]
	s_cmp_ge_i32 s14, s3
	s_waitcnt lgkmcnt(3)
	v_fma_f64 v[10:11], v[18:19], v[22:23], v[10:11]
	v_fma_f64 v[8:9], v[20:21], v[22:23], v[8:9]
	s_waitcnt lgkmcnt(2)
	v_fma_f64 v[18:19], v[18:19], v[26:27], v[2:3]
	v_fma_f64 v[20:21], v[20:21], v[26:27], v[0:1]
	ds_load_2addr_b64 v[0:3], v14 offset0:32 offset1:48
	s_waitcnt lgkmcnt(0)
	v_fma_f64 v[10:11], v[0:1], v[24:25], v[10:11]
	v_fma_f64 v[8:9], v[2:3], v[24:25], v[8:9]
	v_fma_f64 v[18:19], v[0:1], v[28:29], v[18:19]
	v_fma_f64 v[20:21], v[2:3], v[28:29], v[20:21]
	ds_load_2addr_b64 v[0:3], v14 offset0:64 offset1:80
	s_waitcnt lgkmcnt(0)
	v_fma_f64 v[10:11], v[0:1], v[30:31], v[10:11]
	v_fma_f64 v[8:9], v[2:3], v[30:31], v[8:9]
	;; [unrolled: 6-line block ×3, first 2 shown]
	v_fma_f64 v[34:35], v[0:1], v[36:37], v[18:19]
	v_fma_f64 v[36:37], v[2:3], v[36:37], v[20:21]
	ds_load_2addr_b64 v[0:3], v14 offset0:128 offset1:144
	ds_load_b128 v[8:11], v17 offset:32
	ds_load_b128 v[18:21], v17 offset:1056
	ds_load_b128 v[22:25], v17 offset:48
	ds_load_b128 v[26:29], v17 offset:1072
	s_waitcnt lgkmcnt(3)
	v_fma_f64 v[30:31], v[0:1], v[8:9], v[30:31]
	v_fma_f64 v[8:9], v[2:3], v[8:9], v[32:33]
	s_waitcnt lgkmcnt(2)
	v_fma_f64 v[32:33], v[0:1], v[18:19], v[34:35]
	v_fma_f64 v[18:19], v[2:3], v[18:19], v[36:37]
	ds_load_2addr_b64 v[0:3], v14 offset0:160 offset1:176
	s_waitcnt lgkmcnt(0)
	v_fma_f64 v[30:31], v[0:1], v[10:11], v[30:31]
	v_fma_f64 v[8:9], v[2:3], v[10:11], v[8:9]
	;; [unrolled: 1-line block ×4, first 2 shown]
	ds_load_2addr_b64 v[0:3], v14 offset0:192 offset1:208
	s_waitcnt lgkmcnt(0)
	v_fma_f64 v[30:31], v[0:1], v[22:23], v[30:31]
	v_fma_f64 v[8:9], v[2:3], v[22:23], v[8:9]
	;; [unrolled: 1-line block ×4, first 2 shown]
	ds_load_2addr_b64 v[18:21], v14 offset0:224 offset1:240
	s_waitcnt lgkmcnt(0)
	s_barrier
	buffer_gl0_inv
	v_fma_f64 v[10:11], v[18:19], v[24:25], v[30:31]
	v_fma_f64 v[8:9], v[20:21], v[24:25], v[8:9]
	;; [unrolled: 1-line block ×4, first 2 shown]
	s_cbranch_scc0 .LBB83_2
.LBB83_3:
	s_clause 0x1
	s_load_b32 s3, s[0:1], 0x40
	s_load_b64 s[0:1], s[0:1], 0x48
	v_add_nc_u32_e32 v13, s13, v13
	v_add_nc_u32_e32 v4, s12, v12
	s_delay_alu instid0(VALU_DEP_2)
	v_cmp_gt_i32_e32 vcc_lo, s2, v13
	s_waitcnt lgkmcnt(0)
	v_mad_i64_i32 v[5:6], null, v13, s3, 0
	s_mul_i32 s1, s15, s1
	s_mul_hi_u32 s4, s15, s0
	s_mul_i32 s0, s15, s0
	s_add_i32 s1, s4, s1
	s_delay_alu instid0(SALU_CYCLE_1) | instskip(NEXT) | instid1(VALU_DEP_1)
	s_lshl_b64 s[4:5], s[0:1], 3
	v_lshlrev_b64 v[5:6], 3, v[5:6]
	s_add_u32 s4, s6, s4
	v_cmp_le_i32_e64 s0, v4, v13
	s_addc_u32 s5, s7, s5
	s_delay_alu instid0(VALU_DEP_2) | instskip(NEXT) | instid1(VALU_DEP_1)
	v_add_co_u32 v12, s1, s4, v5
	v_add_co_ci_u32_e64 v14, s1, s5, v6, s1
	s_delay_alu instid0(VALU_DEP_3) | instskip(NEXT) | instid1(SALU_CYCLE_1)
	s_and_b32 s0, vcc_lo, s0
	s_and_saveexec_b32 s1, s0
	s_cbranch_execz .LBB83_5
; %bb.4:
	v_ashrrev_i32_e32 v5, 31, v4
	s_delay_alu instid0(VALU_DEP_1) | instskip(NEXT) | instid1(VALU_DEP_1)
	v_lshlrev_b64 v[5:6], 3, v[4:5]
	v_add_co_u32 v5, s0, v12, v5
	s_delay_alu instid0(VALU_DEP_1)
	v_add_co_ci_u32_e64 v6, s0, v14, v6, s0
	global_load_b64 v[15:16], v[5:6], off
	s_waitcnt vmcnt(0)
	v_add_f64 v[10:11], v[10:11], v[15:16]
	global_store_b64 v[5:6], v[10:11], off
.LBB83_5:
	s_or_b32 exec_lo, exec_lo, s1
	v_add_nc_u32_e32 v6, 16, v4
	s_delay_alu instid0(VALU_DEP_1) | instskip(NEXT) | instid1(VALU_DEP_1)
	v_cmp_le_i32_e64 s0, v6, v13
	s_and_b32 s1, vcc_lo, s0
	s_delay_alu instid0(SALU_CYCLE_1)
	s_and_saveexec_b32 s0, s1
	s_cbranch_execz .LBB83_7
; %bb.6:
	v_ashrrev_i32_e32 v7, 31, v6
	s_delay_alu instid0(VALU_DEP_1) | instskip(NEXT) | instid1(VALU_DEP_1)
	v_lshlrev_b64 v[10:11], 3, v[6:7]
	v_add_co_u32 v10, vcc_lo, v12, v10
	s_delay_alu instid0(VALU_DEP_2)
	v_add_co_ci_u32_e32 v11, vcc_lo, v14, v11, vcc_lo
	global_load_b64 v[14:15], v[10:11], off
	s_waitcnt vmcnt(0)
	v_add_f64 v[7:8], v[8:9], v[14:15]
	global_store_b64 v[10:11], v[7:8], off
.LBB83_7:
	s_or_b32 exec_lo, exec_lo, s0
	v_add_nc_u32_e32 v7, 16, v13
	s_delay_alu instid0(VALU_DEP_1) | instskip(SKIP_2) | instid1(VALU_DEP_1)
	v_mad_i64_i32 v[8:9], null, v7, s3, 0
	v_cmp_gt_i32_e32 vcc_lo, s2, v7
	v_cmp_le_i32_e64 s0, v4, v7
	s_and_b32 s0, vcc_lo, s0
	s_delay_alu instid0(VALU_DEP_3) | instskip(NEXT) | instid1(VALU_DEP_1)
	v_lshlrev_b64 v[8:9], 3, v[8:9]
	v_add_co_u32 v8, s1, s4, v8
	s_delay_alu instid0(VALU_DEP_1)
	v_add_co_ci_u32_e64 v9, s1, s5, v9, s1
	s_and_saveexec_b32 s1, s0
	s_cbranch_execz .LBB83_9
; %bb.8:
	v_ashrrev_i32_e32 v5, 31, v4
	s_delay_alu instid0(VALU_DEP_1) | instskip(NEXT) | instid1(VALU_DEP_1)
	v_lshlrev_b64 v[4:5], 3, v[4:5]
	v_add_co_u32 v4, s0, v8, v4
	s_delay_alu instid0(VALU_DEP_1)
	v_add_co_ci_u32_e64 v5, s0, v9, v5, s0
	global_load_b64 v[10:11], v[4:5], off
	s_waitcnt vmcnt(0)
	v_add_f64 v[2:3], v[2:3], v[10:11]
	global_store_b64 v[4:5], v[2:3], off
.LBB83_9:
	s_or_b32 exec_lo, exec_lo, s1
	v_cmp_le_i32_e64 s0, v6, v7
	s_delay_alu instid0(VALU_DEP_1) | instskip(NEXT) | instid1(SALU_CYCLE_1)
	s_and_b32 s0, vcc_lo, s0
	s_and_saveexec_b32 s1, s0
	s_cbranch_execz .LBB83_11
; %bb.10:
	v_ashrrev_i32_e32 v7, 31, v6
	s_delay_alu instid0(VALU_DEP_1) | instskip(NEXT) | instid1(VALU_DEP_1)
	v_lshlrev_b64 v[2:3], 3, v[6:7]
	v_add_co_u32 v2, vcc_lo, v8, v2
	s_delay_alu instid0(VALU_DEP_2)
	v_add_co_ci_u32_e32 v3, vcc_lo, v9, v3, vcc_lo
	global_load_b64 v[4:5], v[2:3], off
	s_waitcnt vmcnt(0)
	v_add_f64 v[0:1], v[0:1], v[4:5]
	global_store_b64 v[2:3], v[0:1], off
.LBB83_11:
	s_nop 0
	s_sendmsg sendmsg(MSG_DEALLOC_VGPRS)
	s_endpgm
	.section	.rodata,"a",@progbits
	.p2align	6, 0x0
	.amdhsa_kernel _ZL37rocblas_syrkx_herkx_restricted_kernelIidLi16ELi32ELi8ELi1ELi1ELb0ELc67ELc85EKddEviT_PT9_S1_lS3_S1_lPT10_S1_li
		.amdhsa_group_segment_fixed_size 4096
		.amdhsa_private_segment_fixed_size 0
		.amdhsa_kernarg_size 84
		.amdhsa_user_sgpr_count 13
		.amdhsa_user_sgpr_dispatch_ptr 0
		.amdhsa_user_sgpr_queue_ptr 0
		.amdhsa_user_sgpr_kernarg_segment_ptr 1
		.amdhsa_user_sgpr_dispatch_id 0
		.amdhsa_user_sgpr_private_segment_size 0
		.amdhsa_wavefront_size32 1
		.amdhsa_uses_dynamic_stack 0
		.amdhsa_enable_private_segment 0
		.amdhsa_system_sgpr_workgroup_id_x 1
		.amdhsa_system_sgpr_workgroup_id_y 1
		.amdhsa_system_sgpr_workgroup_id_z 1
		.amdhsa_system_sgpr_workgroup_info 0
		.amdhsa_system_vgpr_workitem_id 1
		.amdhsa_next_free_vgpr 38
		.amdhsa_next_free_sgpr 20
		.amdhsa_reserve_vcc 1
		.amdhsa_float_round_mode_32 0
		.amdhsa_float_round_mode_16_64 0
		.amdhsa_float_denorm_mode_32 3
		.amdhsa_float_denorm_mode_16_64 3
		.amdhsa_dx10_clamp 1
		.amdhsa_ieee_mode 1
		.amdhsa_fp16_overflow 0
		.amdhsa_workgroup_processor_mode 1
		.amdhsa_memory_ordered 1
		.amdhsa_forward_progress 0
		.amdhsa_shared_vgpr_count 0
		.amdhsa_exception_fp_ieee_invalid_op 0
		.amdhsa_exception_fp_denorm_src 0
		.amdhsa_exception_fp_ieee_div_zero 0
		.amdhsa_exception_fp_ieee_overflow 0
		.amdhsa_exception_fp_ieee_underflow 0
		.amdhsa_exception_fp_ieee_inexact 0
		.amdhsa_exception_int_div_zero 0
	.end_amdhsa_kernel
	.section	.text._ZL37rocblas_syrkx_herkx_restricted_kernelIidLi16ELi32ELi8ELi1ELi1ELb0ELc67ELc85EKddEviT_PT9_S1_lS3_S1_lPT10_S1_li,"axG",@progbits,_ZL37rocblas_syrkx_herkx_restricted_kernelIidLi16ELi32ELi8ELi1ELi1ELb0ELc67ELc85EKddEviT_PT9_S1_lS3_S1_lPT10_S1_li,comdat
.Lfunc_end83:
	.size	_ZL37rocblas_syrkx_herkx_restricted_kernelIidLi16ELi32ELi8ELi1ELi1ELb0ELc67ELc85EKddEviT_PT9_S1_lS3_S1_lPT10_S1_li, .Lfunc_end83-_ZL37rocblas_syrkx_herkx_restricted_kernelIidLi16ELi32ELi8ELi1ELi1ELb0ELc67ELc85EKddEviT_PT9_S1_lS3_S1_lPT10_S1_li
                                        ; -- End function
	.section	.AMDGPU.csdata,"",@progbits
; Kernel info:
; codeLenInByte = 1444
; NumSgprs: 22
; NumVgprs: 38
; ScratchSize: 0
; MemoryBound: 0
; FloatMode: 240
; IeeeMode: 1
; LDSByteSize: 4096 bytes/workgroup (compile time only)
; SGPRBlocks: 2
; VGPRBlocks: 4
; NumSGPRsForWavesPerEU: 22
; NumVGPRsForWavesPerEU: 38
; Occupancy: 16
; WaveLimiterHint : 0
; COMPUTE_PGM_RSRC2:SCRATCH_EN: 0
; COMPUTE_PGM_RSRC2:USER_SGPR: 13
; COMPUTE_PGM_RSRC2:TRAP_HANDLER: 0
; COMPUTE_PGM_RSRC2:TGID_X_EN: 1
; COMPUTE_PGM_RSRC2:TGID_Y_EN: 1
; COMPUTE_PGM_RSRC2:TGID_Z_EN: 1
; COMPUTE_PGM_RSRC2:TIDIG_COMP_CNT: 1
	.section	.text._ZL37rocblas_syrkx_herkx_restricted_kernelIidLi16ELi32ELi8ELi1ELi1ELb0ELc78ELc85EKddEviT_PT9_S1_lS3_S1_lPT10_S1_li,"axG",@progbits,_ZL37rocblas_syrkx_herkx_restricted_kernelIidLi16ELi32ELi8ELi1ELi1ELb0ELc78ELc85EKddEviT_PT9_S1_lS3_S1_lPT10_S1_li,comdat
	.globl	_ZL37rocblas_syrkx_herkx_restricted_kernelIidLi16ELi32ELi8ELi1ELi1ELb0ELc78ELc85EKddEviT_PT9_S1_lS3_S1_lPT10_S1_li ; -- Begin function _ZL37rocblas_syrkx_herkx_restricted_kernelIidLi16ELi32ELi8ELi1ELi1ELb0ELc78ELc85EKddEviT_PT9_S1_lS3_S1_lPT10_S1_li
	.p2align	8
	.type	_ZL37rocblas_syrkx_herkx_restricted_kernelIidLi16ELi32ELi8ELi1ELi1ELb0ELc78ELc85EKddEviT_PT9_S1_lS3_S1_lPT10_S1_li,@function
_ZL37rocblas_syrkx_herkx_restricted_kernelIidLi16ELi32ELi8ELi1ELi1ELb0ELc78ELc85EKddEviT_PT9_S1_lS3_S1_lPT10_S1_li: ; @_ZL37rocblas_syrkx_herkx_restricted_kernelIidLi16ELi32ELi8ELi1ELi1ELb0ELc78ELc85EKddEviT_PT9_S1_lS3_S1_lPT10_S1_li
; %bb.0:
	s_clause 0x1
	s_load_b64 s[2:3], s[0:1], 0x0
	s_load_b128 s[4:7], s[0:1], 0x30
	v_mov_b32_e32 v10, 0
	v_dual_mov_b32 v11, 0 :: v_dual_and_b32 v12, 0x3ff, v0
	v_bfe_u32 v13, v0, 10, 10
	s_delay_alu instid0(VALU_DEP_3) | instskip(NEXT) | instid1(VALU_DEP_3)
	v_mov_b32_e32 v8, v10
	v_dual_mov_b32 v2, v10 :: v_dual_mov_b32 v3, v11
	v_dual_mov_b32 v9, v11 :: v_dual_mov_b32 v0, v10
	v_mov_b32_e32 v1, v11
	s_lshl_b32 s12, s13, 5
	s_lshl_b32 s13, s14, 5
	s_mov_b32 s14, 0
	s_waitcnt lgkmcnt(0)
	s_cmp_lt_i32 s3, 1
	s_cbranch_scc1 .LBB84_3
; %bb.1:
	s_clause 0x1
	s_load_b32 s16, s[0:1], 0x10
	s_load_b32 s18, s[0:1], 0x28
	v_lshl_add_u32 v0, v13, 4, v12
	v_and_b32_e32 v4, 7, v12
	s_clause 0x1
	s_load_b128 s[8:11], s[0:1], 0x18
	s_load_b64 s[20:21], s[0:1], 0x8
	s_mul_i32 s5, s5, s15
	v_lshrrev_b32_e32 v1, 3, v0
	v_and_b32_e32 v2, 31, v0
	v_lshrrev_b32_e32 v5, 5, v0
	v_lshlrev_b32_e32 v3, 3, v4
	v_lshlrev_b32_e32 v16, 3, v12
	v_add_nc_u32_e32 v0, s13, v1
	v_lshlrev_b32_e32 v6, 3, v2
	v_add_nc_u32_e32 v2, s12, v2
	v_lshl_or_b32 v8, v1, 6, v3
	v_lshl_add_u32 v17, v13, 6, 0x800
	v_ashrrev_i32_e32 v1, 31, v0
	v_lshl_or_b32 v14, v5, 8, v6
	v_ashrrev_i32_e32 v3, 31, v2
	s_waitcnt lgkmcnt(0)
	s_ashr_i32 s17, s16, 31
	s_ashr_i32 s19, s18, 31
	v_mad_i64_i32 v[6:7], null, s18, v4, v[0:1]
	v_mad_i64_i32 v[0:1], null, s16, v5, v[2:3]
	s_mul_i32 s9, s9, s15
	s_mul_hi_u32 s22, s8, s15
	s_mul_i32 s8, s8, s15
	s_add_i32 s9, s22, s9
	s_delay_alu instid0(VALU_DEP_2) | instskip(SKIP_1) | instid1(VALU_DEP_2)
	v_lshlrev_b64 v[2:3], 3, v[6:7]
	s_lshl_b64 s[8:9], s[8:9], 3
	v_lshlrev_b64 v[0:1], 3, v[0:1]
	s_add_u32 s8, s20, s8
	s_mul_hi_u32 s20, s4, s15
	s_addc_u32 s9, s21, s9
	s_add_i32 s5, s20, s5
	s_mul_i32 s4, s4, s15
	v_add_co_u32 v4, vcc_lo, s8, v0
	v_add_co_ci_u32_e32 v5, vcc_lo, s9, v1, vcc_lo
	s_lshl_b64 s[8:9], s[4:5], 3
	v_mov_b32_e32 v0, 0
	s_lshl_b64 s[4:5], s[16:17], 6
	v_mov_b32_e32 v1, 0
	s_add_u32 s8, s10, s8
	s_addc_u32 s9, s11, s9
	v_add_co_u32 v6, vcc_lo, s8, v2
	s_delay_alu instid0(VALU_DEP_2)
	v_mov_b32_e32 v11, v1
	v_add_nc_u32_e32 v15, 0x800, v8
	v_add_co_ci_u32_e32 v7, vcc_lo, s9, v3, vcc_lo
	v_dual_mov_b32 v3, v1 :: v_dual_mov_b32 v2, v0
	v_dual_mov_b32 v9, v1 :: v_dual_mov_b32 v8, v0
	v_mov_b32_e32 v10, v0
	s_lshl_b64 s[8:9], s[18:19], 6
.LBB84_2:                               ; =>This Inner Loop Header: Depth=1
	global_load_b64 v[18:19], v[4:5], off
	global_load_b64 v[20:21], v[6:7], off
	v_add_co_u32 v4, vcc_lo, v4, s4
	v_add_co_ci_u32_e32 v5, vcc_lo, s5, v5, vcc_lo
	v_add_co_u32 v6, vcc_lo, v6, s8
	v_add_co_ci_u32_e32 v7, vcc_lo, s9, v7, vcc_lo
	s_add_i32 s14, s14, 8
	s_waitcnt vmcnt(1)
	ds_store_b64 v14, v[18:19]
	s_waitcnt vmcnt(0)
	ds_store_b64 v15, v[20:21]
	s_waitcnt lgkmcnt(0)
	s_barrier
	buffer_gl0_inv
	ds_load_2addr_b64 v[18:21], v16 offset1:16
	ds_load_b128 v[22:25], v17
	ds_load_b128 v[26:29], v17 offset:1024
	ds_load_b128 v[30:33], v17 offset:16
	;; [unrolled: 1-line block ×3, first 2 shown]
	s_cmp_ge_i32 s14, s3
	s_waitcnt lgkmcnt(3)
	v_fma_f64 v[10:11], v[18:19], v[22:23], v[10:11]
	v_fma_f64 v[8:9], v[20:21], v[22:23], v[8:9]
	s_waitcnt lgkmcnt(2)
	v_fma_f64 v[18:19], v[18:19], v[26:27], v[2:3]
	v_fma_f64 v[20:21], v[20:21], v[26:27], v[0:1]
	ds_load_2addr_b64 v[0:3], v16 offset0:32 offset1:48
	s_waitcnt lgkmcnt(0)
	v_fma_f64 v[10:11], v[0:1], v[24:25], v[10:11]
	v_fma_f64 v[8:9], v[2:3], v[24:25], v[8:9]
	v_fma_f64 v[18:19], v[0:1], v[28:29], v[18:19]
	v_fma_f64 v[20:21], v[2:3], v[28:29], v[20:21]
	ds_load_2addr_b64 v[0:3], v16 offset0:64 offset1:80
	s_waitcnt lgkmcnt(0)
	v_fma_f64 v[10:11], v[0:1], v[30:31], v[10:11]
	v_fma_f64 v[8:9], v[2:3], v[30:31], v[8:9]
	v_fma_f64 v[18:19], v[0:1], v[34:35], v[18:19]
	v_fma_f64 v[20:21], v[2:3], v[34:35], v[20:21]
	ds_load_2addr_b64 v[0:3], v16 offset0:96 offset1:112
	s_waitcnt lgkmcnt(0)
	v_fma_f64 v[30:31], v[0:1], v[32:33], v[10:11]
	v_fma_f64 v[32:33], v[2:3], v[32:33], v[8:9]
	v_fma_f64 v[34:35], v[0:1], v[36:37], v[18:19]
	v_fma_f64 v[36:37], v[2:3], v[36:37], v[20:21]
	ds_load_2addr_b64 v[0:3], v16 offset0:128 offset1:144
	ds_load_b128 v[8:11], v17 offset:32
	ds_load_b128 v[18:21], v17 offset:1056
	;; [unrolled: 1-line block ×4, first 2 shown]
	s_waitcnt lgkmcnt(3)
	v_fma_f64 v[30:31], v[0:1], v[8:9], v[30:31]
	v_fma_f64 v[8:9], v[2:3], v[8:9], v[32:33]
	s_waitcnt lgkmcnt(2)
	v_fma_f64 v[32:33], v[0:1], v[18:19], v[34:35]
	v_fma_f64 v[18:19], v[2:3], v[18:19], v[36:37]
	ds_load_2addr_b64 v[0:3], v16 offset0:160 offset1:176
	s_waitcnt lgkmcnt(0)
	v_fma_f64 v[30:31], v[0:1], v[10:11], v[30:31]
	v_fma_f64 v[8:9], v[2:3], v[10:11], v[8:9]
	;; [unrolled: 1-line block ×4, first 2 shown]
	ds_load_2addr_b64 v[0:3], v16 offset0:192 offset1:208
	s_waitcnt lgkmcnt(0)
	v_fma_f64 v[30:31], v[0:1], v[22:23], v[30:31]
	v_fma_f64 v[8:9], v[2:3], v[22:23], v[8:9]
	;; [unrolled: 1-line block ×4, first 2 shown]
	ds_load_2addr_b64 v[18:21], v16 offset0:224 offset1:240
	s_waitcnt lgkmcnt(0)
	s_barrier
	buffer_gl0_inv
	v_fma_f64 v[10:11], v[18:19], v[24:25], v[30:31]
	v_fma_f64 v[8:9], v[20:21], v[24:25], v[8:9]
	;; [unrolled: 1-line block ×4, first 2 shown]
	s_cbranch_scc0 .LBB84_2
.LBB84_3:
	s_clause 0x1
	s_load_b32 s3, s[0:1], 0x40
	s_load_b64 s[0:1], s[0:1], 0x48
	v_add_nc_u32_e32 v13, s13, v13
	v_add_nc_u32_e32 v4, s12, v12
	s_delay_alu instid0(VALU_DEP_2)
	v_cmp_gt_i32_e32 vcc_lo, s2, v13
	s_waitcnt lgkmcnt(0)
	v_mad_i64_i32 v[5:6], null, v13, s3, 0
	s_mul_i32 s1, s15, s1
	s_mul_hi_u32 s4, s15, s0
	s_mul_i32 s0, s15, s0
	s_add_i32 s1, s4, s1
	s_delay_alu instid0(SALU_CYCLE_1) | instskip(NEXT) | instid1(VALU_DEP_1)
	s_lshl_b64 s[4:5], s[0:1], 3
	v_lshlrev_b64 v[5:6], 3, v[5:6]
	s_add_u32 s4, s6, s4
	v_cmp_le_i32_e64 s0, v4, v13
	s_addc_u32 s5, s7, s5
	s_delay_alu instid0(VALU_DEP_2) | instskip(NEXT) | instid1(VALU_DEP_1)
	v_add_co_u32 v12, s1, s4, v5
	v_add_co_ci_u32_e64 v14, s1, s5, v6, s1
	s_delay_alu instid0(VALU_DEP_3) | instskip(NEXT) | instid1(SALU_CYCLE_1)
	s_and_b32 s0, vcc_lo, s0
	s_and_saveexec_b32 s1, s0
	s_cbranch_execz .LBB84_5
; %bb.4:
	v_ashrrev_i32_e32 v5, 31, v4
	s_delay_alu instid0(VALU_DEP_1) | instskip(NEXT) | instid1(VALU_DEP_1)
	v_lshlrev_b64 v[5:6], 3, v[4:5]
	v_add_co_u32 v5, s0, v12, v5
	s_delay_alu instid0(VALU_DEP_1)
	v_add_co_ci_u32_e64 v6, s0, v14, v6, s0
	global_load_b64 v[15:16], v[5:6], off
	s_waitcnt vmcnt(0)
	v_add_f64 v[10:11], v[10:11], v[15:16]
	global_store_b64 v[5:6], v[10:11], off
.LBB84_5:
	s_or_b32 exec_lo, exec_lo, s1
	v_add_nc_u32_e32 v6, 16, v4
	s_delay_alu instid0(VALU_DEP_1) | instskip(NEXT) | instid1(VALU_DEP_1)
	v_cmp_le_i32_e64 s0, v6, v13
	s_and_b32 s1, vcc_lo, s0
	s_delay_alu instid0(SALU_CYCLE_1)
	s_and_saveexec_b32 s0, s1
	s_cbranch_execz .LBB84_7
; %bb.6:
	v_ashrrev_i32_e32 v7, 31, v6
	s_delay_alu instid0(VALU_DEP_1) | instskip(NEXT) | instid1(VALU_DEP_1)
	v_lshlrev_b64 v[10:11], 3, v[6:7]
	v_add_co_u32 v10, vcc_lo, v12, v10
	s_delay_alu instid0(VALU_DEP_2)
	v_add_co_ci_u32_e32 v11, vcc_lo, v14, v11, vcc_lo
	global_load_b64 v[14:15], v[10:11], off
	s_waitcnt vmcnt(0)
	v_add_f64 v[7:8], v[8:9], v[14:15]
	global_store_b64 v[10:11], v[7:8], off
.LBB84_7:
	s_or_b32 exec_lo, exec_lo, s0
	v_add_nc_u32_e32 v7, 16, v13
	s_delay_alu instid0(VALU_DEP_1) | instskip(SKIP_2) | instid1(VALU_DEP_1)
	v_mad_i64_i32 v[8:9], null, v7, s3, 0
	v_cmp_gt_i32_e32 vcc_lo, s2, v7
	v_cmp_le_i32_e64 s0, v4, v7
	s_and_b32 s0, vcc_lo, s0
	s_delay_alu instid0(VALU_DEP_3) | instskip(NEXT) | instid1(VALU_DEP_1)
	v_lshlrev_b64 v[8:9], 3, v[8:9]
	v_add_co_u32 v8, s1, s4, v8
	s_delay_alu instid0(VALU_DEP_1)
	v_add_co_ci_u32_e64 v9, s1, s5, v9, s1
	s_and_saveexec_b32 s1, s0
	s_cbranch_execz .LBB84_9
; %bb.8:
	v_ashrrev_i32_e32 v5, 31, v4
	s_delay_alu instid0(VALU_DEP_1) | instskip(NEXT) | instid1(VALU_DEP_1)
	v_lshlrev_b64 v[4:5], 3, v[4:5]
	v_add_co_u32 v4, s0, v8, v4
	s_delay_alu instid0(VALU_DEP_1)
	v_add_co_ci_u32_e64 v5, s0, v9, v5, s0
	global_load_b64 v[10:11], v[4:5], off
	s_waitcnt vmcnt(0)
	v_add_f64 v[2:3], v[2:3], v[10:11]
	global_store_b64 v[4:5], v[2:3], off
.LBB84_9:
	s_or_b32 exec_lo, exec_lo, s1
	v_cmp_le_i32_e64 s0, v6, v7
	s_delay_alu instid0(VALU_DEP_1) | instskip(NEXT) | instid1(SALU_CYCLE_1)
	s_and_b32 s0, vcc_lo, s0
	s_and_saveexec_b32 s1, s0
	s_cbranch_execz .LBB84_11
; %bb.10:
	v_ashrrev_i32_e32 v7, 31, v6
	s_delay_alu instid0(VALU_DEP_1) | instskip(NEXT) | instid1(VALU_DEP_1)
	v_lshlrev_b64 v[2:3], 3, v[6:7]
	v_add_co_u32 v2, vcc_lo, v8, v2
	s_delay_alu instid0(VALU_DEP_2)
	v_add_co_ci_u32_e32 v3, vcc_lo, v9, v3, vcc_lo
	global_load_b64 v[4:5], v[2:3], off
	s_waitcnt vmcnt(0)
	v_add_f64 v[0:1], v[0:1], v[4:5]
	global_store_b64 v[2:3], v[0:1], off
.LBB84_11:
	s_nop 0
	s_sendmsg sendmsg(MSG_DEALLOC_VGPRS)
	s_endpgm
	.section	.rodata,"a",@progbits
	.p2align	6, 0x0
	.amdhsa_kernel _ZL37rocblas_syrkx_herkx_restricted_kernelIidLi16ELi32ELi8ELi1ELi1ELb0ELc78ELc85EKddEviT_PT9_S1_lS3_S1_lPT10_S1_li
		.amdhsa_group_segment_fixed_size 4096
		.amdhsa_private_segment_fixed_size 0
		.amdhsa_kernarg_size 84
		.amdhsa_user_sgpr_count 13
		.amdhsa_user_sgpr_dispatch_ptr 0
		.amdhsa_user_sgpr_queue_ptr 0
		.amdhsa_user_sgpr_kernarg_segment_ptr 1
		.amdhsa_user_sgpr_dispatch_id 0
		.amdhsa_user_sgpr_private_segment_size 0
		.amdhsa_wavefront_size32 1
		.amdhsa_uses_dynamic_stack 0
		.amdhsa_enable_private_segment 0
		.amdhsa_system_sgpr_workgroup_id_x 1
		.amdhsa_system_sgpr_workgroup_id_y 1
		.amdhsa_system_sgpr_workgroup_id_z 1
		.amdhsa_system_sgpr_workgroup_info 0
		.amdhsa_system_vgpr_workitem_id 1
		.amdhsa_next_free_vgpr 38
		.amdhsa_next_free_sgpr 23
		.amdhsa_reserve_vcc 1
		.amdhsa_float_round_mode_32 0
		.amdhsa_float_round_mode_16_64 0
		.amdhsa_float_denorm_mode_32 3
		.amdhsa_float_denorm_mode_16_64 3
		.amdhsa_dx10_clamp 1
		.amdhsa_ieee_mode 1
		.amdhsa_fp16_overflow 0
		.amdhsa_workgroup_processor_mode 1
		.amdhsa_memory_ordered 1
		.amdhsa_forward_progress 0
		.amdhsa_shared_vgpr_count 0
		.amdhsa_exception_fp_ieee_invalid_op 0
		.amdhsa_exception_fp_denorm_src 0
		.amdhsa_exception_fp_ieee_div_zero 0
		.amdhsa_exception_fp_ieee_overflow 0
		.amdhsa_exception_fp_ieee_underflow 0
		.amdhsa_exception_fp_ieee_inexact 0
		.amdhsa_exception_int_div_zero 0
	.end_amdhsa_kernel
	.section	.text._ZL37rocblas_syrkx_herkx_restricted_kernelIidLi16ELi32ELi8ELi1ELi1ELb0ELc78ELc85EKddEviT_PT9_S1_lS3_S1_lPT10_S1_li,"axG",@progbits,_ZL37rocblas_syrkx_herkx_restricted_kernelIidLi16ELi32ELi8ELi1ELi1ELb0ELc78ELc85EKddEviT_PT9_S1_lS3_S1_lPT10_S1_li,comdat
.Lfunc_end84:
	.size	_ZL37rocblas_syrkx_herkx_restricted_kernelIidLi16ELi32ELi8ELi1ELi1ELb0ELc78ELc85EKddEviT_PT9_S1_lS3_S1_lPT10_S1_li, .Lfunc_end84-_ZL37rocblas_syrkx_herkx_restricted_kernelIidLi16ELi32ELi8ELi1ELi1ELb0ELc78ELc85EKddEviT_PT9_S1_lS3_S1_lPT10_S1_li
                                        ; -- End function
	.section	.AMDGPU.csdata,"",@progbits
; Kernel info:
; codeLenInByte = 1456
; NumSgprs: 25
; NumVgprs: 38
; ScratchSize: 0
; MemoryBound: 0
; FloatMode: 240
; IeeeMode: 1
; LDSByteSize: 4096 bytes/workgroup (compile time only)
; SGPRBlocks: 3
; VGPRBlocks: 4
; NumSGPRsForWavesPerEU: 25
; NumVGPRsForWavesPerEU: 38
; Occupancy: 16
; WaveLimiterHint : 0
; COMPUTE_PGM_RSRC2:SCRATCH_EN: 0
; COMPUTE_PGM_RSRC2:USER_SGPR: 13
; COMPUTE_PGM_RSRC2:TRAP_HANDLER: 0
; COMPUTE_PGM_RSRC2:TGID_X_EN: 1
; COMPUTE_PGM_RSRC2:TGID_Y_EN: 1
; COMPUTE_PGM_RSRC2:TGID_Z_EN: 1
; COMPUTE_PGM_RSRC2:TIDIG_COMP_CNT: 1
	.section	.text._ZL37rocblas_syrkx_herkx_restricted_kernelIidLi16ELi32ELi8ELi1ELin1ELb0ELc84ELc76EKddEviT_PT9_S1_lS3_S1_lPT10_S1_li,"axG",@progbits,_ZL37rocblas_syrkx_herkx_restricted_kernelIidLi16ELi32ELi8ELi1ELin1ELb0ELc84ELc76EKddEviT_PT9_S1_lS3_S1_lPT10_S1_li,comdat
	.globl	_ZL37rocblas_syrkx_herkx_restricted_kernelIidLi16ELi32ELi8ELi1ELin1ELb0ELc84ELc76EKddEviT_PT9_S1_lS3_S1_lPT10_S1_li ; -- Begin function _ZL37rocblas_syrkx_herkx_restricted_kernelIidLi16ELi32ELi8ELi1ELin1ELb0ELc84ELc76EKddEviT_PT9_S1_lS3_S1_lPT10_S1_li
	.p2align	8
	.type	_ZL37rocblas_syrkx_herkx_restricted_kernelIidLi16ELi32ELi8ELi1ELin1ELb0ELc84ELc76EKddEviT_PT9_S1_lS3_S1_lPT10_S1_li,@function
_ZL37rocblas_syrkx_herkx_restricted_kernelIidLi16ELi32ELi8ELi1ELin1ELb0ELc84ELc76EKddEviT_PT9_S1_lS3_S1_lPT10_S1_li: ; @_ZL37rocblas_syrkx_herkx_restricted_kernelIidLi16ELi32ELi8ELi1ELin1ELb0ELc84ELc76EKddEviT_PT9_S1_lS3_S1_lPT10_S1_li
; %bb.0:
	s_clause 0x1
	s_load_b64 s[2:3], s[0:1], 0x0
	s_load_b128 s[4:7], s[0:1], 0x30
	v_mov_b32_e32 v10, 0
	v_dual_mov_b32 v11, 0 :: v_dual_and_b32 v12, 0x3ff, v0
	v_bfe_u32 v13, v0, 10, 10
	s_delay_alu instid0(VALU_DEP_3) | instskip(NEXT) | instid1(VALU_DEP_3)
	v_mov_b32_e32 v8, v10
	v_dual_mov_b32 v2, v10 :: v_dual_mov_b32 v3, v11
	v_dual_mov_b32 v9, v11 :: v_dual_mov_b32 v0, v10
	v_mov_b32_e32 v1, v11
	s_lshl_b32 s12, s13, 5
	s_lshl_b32 s13, s14, 5
	s_mov_b32 s14, 0
	s_waitcnt lgkmcnt(0)
	s_cmp_lt_i32 s3, 1
	s_cbranch_scc1 .LBB85_3
; %bb.1:
	s_clause 0x1
	s_load_b32 s18, s[0:1], 0x10
	s_load_b128 s[8:11], s[0:1], 0x18
	v_lshl_add_u32 v2, v13, 4, v12
	v_dual_mov_b32 v1, 0 :: v_dual_and_b32 v0, 7, v12
	s_clause 0x1
	s_load_b64 s[16:17], s[0:1], 0x8
	s_load_b32 s19, s[0:1], 0x28
	v_lshlrev_b32_e32 v14, 3, v12
	v_lshrrev_b32_e32 v4, 3, v2
	v_and_b32_e32 v5, 31, v2
	v_lshlrev_b32_e32 v3, 3, v0
	v_lshrrev_b32_e32 v2, 5, v2
	s_mul_i32 s5, s5, s15
	v_add_nc_u32_e32 v9, s13, v4
	v_add_nc_u32_e32 v8, s12, v5
	v_lshl_or_b32 v7, v4, 6, v3
	v_dual_mov_b32 v3, v1 :: v_dual_lshlrev_b32 v6, 3, v5
	v_lshl_add_u32 v17, v13, 6, 0x800
	s_waitcnt lgkmcnt(0)
	s_delay_alu instid0(VALU_DEP_2) | instskip(NEXT) | instid1(VALU_DEP_3)
	v_mad_i64_i32 v[4:5], null, s18, v8, v[2:3]
	v_lshl_or_b32 v15, v2, 8, v6
	s_mul_i32 s9, s9, s15
	s_mul_hi_u32 s18, s8, s15
	v_mad_i64_i32 v[2:3], null, s19, v9, v[0:1]
	s_mul_i32 s8, s8, s15
	s_add_i32 s9, s18, s9
	s_delay_alu instid0(VALU_DEP_3) | instskip(SKIP_1) | instid1(SALU_CYCLE_1)
	v_lshlrev_b64 v[0:1], 3, v[4:5]
	s_lshl_b64 s[8:9], s[8:9], 3
	s_add_u32 s8, s16, s8
	s_mul_hi_u32 s16, s4, s15
	s_addc_u32 s9, s17, s9
	s_add_i32 s5, s16, s5
	s_mul_i32 s4, s4, s15
	v_lshlrev_b64 v[2:3], 3, v[2:3]
	v_add_co_u32 v4, vcc_lo, s8, v0
	s_lshl_b64 s[4:5], s[4:5], 3
	v_add_co_ci_u32_e32 v5, vcc_lo, s9, v1, vcc_lo
	v_mov_b32_e32 v0, 0
	v_mov_b32_e32 v1, 0
	s_add_u32 s4, s10, s4
	s_addc_u32 s5, s11, s5
	v_add_co_u32 v6, vcc_lo, s4, v2
	s_delay_alu instid0(VALU_DEP_2)
	v_dual_mov_b32 v9, v1 :: v_dual_add_nc_u32 v16, 0x800, v7
	v_add_co_ci_u32_e32 v7, vcc_lo, s5, v3, vcc_lo
	v_dual_mov_b32 v3, v1 :: v_dual_mov_b32 v2, v0
	v_dual_mov_b32 v8, v0 :: v_dual_mov_b32 v11, v1
	v_mov_b32_e32 v10, v0
.LBB85_2:                               ; =>This Inner Loop Header: Depth=1
	global_load_b64 v[18:19], v[4:5], off
	global_load_b64 v[20:21], v[6:7], off
	v_add_co_u32 v4, vcc_lo, v4, 64
	v_add_co_ci_u32_e32 v5, vcc_lo, 0, v5, vcc_lo
	v_add_co_u32 v6, vcc_lo, v6, 64
	v_add_co_ci_u32_e32 v7, vcc_lo, 0, v7, vcc_lo
	s_add_i32 s14, s14, 8
	s_waitcnt vmcnt(1)
	ds_store_b64 v15, v[18:19]
	s_waitcnt vmcnt(0)
	ds_store_b64 v16, v[20:21]
	s_waitcnt lgkmcnt(0)
	s_barrier
	buffer_gl0_inv
	ds_load_2addr_b64 v[18:21], v14 offset1:16
	ds_load_b128 v[22:25], v17
	ds_load_b128 v[26:29], v17 offset:1024
	ds_load_b128 v[30:33], v17 offset:16
	;; [unrolled: 1-line block ×3, first 2 shown]
	s_cmp_ge_i32 s14, s3
	s_waitcnt lgkmcnt(3)
	v_fma_f64 v[10:11], v[18:19], v[22:23], v[10:11]
	v_fma_f64 v[8:9], v[20:21], v[22:23], v[8:9]
	s_waitcnt lgkmcnt(2)
	v_fma_f64 v[18:19], v[18:19], v[26:27], v[2:3]
	v_fma_f64 v[20:21], v[20:21], v[26:27], v[0:1]
	ds_load_2addr_b64 v[0:3], v14 offset0:32 offset1:48
	s_waitcnt lgkmcnt(0)
	v_fma_f64 v[10:11], v[0:1], v[24:25], v[10:11]
	v_fma_f64 v[8:9], v[2:3], v[24:25], v[8:9]
	v_fma_f64 v[18:19], v[0:1], v[28:29], v[18:19]
	v_fma_f64 v[20:21], v[2:3], v[28:29], v[20:21]
	ds_load_2addr_b64 v[0:3], v14 offset0:64 offset1:80
	s_waitcnt lgkmcnt(0)
	v_fma_f64 v[10:11], v[0:1], v[30:31], v[10:11]
	v_fma_f64 v[8:9], v[2:3], v[30:31], v[8:9]
	;; [unrolled: 6-line block ×3, first 2 shown]
	v_fma_f64 v[34:35], v[0:1], v[36:37], v[18:19]
	v_fma_f64 v[36:37], v[2:3], v[36:37], v[20:21]
	ds_load_2addr_b64 v[0:3], v14 offset0:128 offset1:144
	ds_load_b128 v[8:11], v17 offset:32
	ds_load_b128 v[18:21], v17 offset:1056
	;; [unrolled: 1-line block ×4, first 2 shown]
	s_waitcnt lgkmcnt(3)
	v_fma_f64 v[30:31], v[0:1], v[8:9], v[30:31]
	v_fma_f64 v[8:9], v[2:3], v[8:9], v[32:33]
	s_waitcnt lgkmcnt(2)
	v_fma_f64 v[32:33], v[0:1], v[18:19], v[34:35]
	v_fma_f64 v[18:19], v[2:3], v[18:19], v[36:37]
	ds_load_2addr_b64 v[0:3], v14 offset0:160 offset1:176
	s_waitcnt lgkmcnt(0)
	v_fma_f64 v[30:31], v[0:1], v[10:11], v[30:31]
	v_fma_f64 v[8:9], v[2:3], v[10:11], v[8:9]
	;; [unrolled: 1-line block ×4, first 2 shown]
	ds_load_2addr_b64 v[0:3], v14 offset0:192 offset1:208
	s_waitcnt lgkmcnt(0)
	v_fma_f64 v[30:31], v[0:1], v[22:23], v[30:31]
	v_fma_f64 v[8:9], v[2:3], v[22:23], v[8:9]
	;; [unrolled: 1-line block ×4, first 2 shown]
	ds_load_2addr_b64 v[18:21], v14 offset0:224 offset1:240
	s_waitcnt lgkmcnt(0)
	s_barrier
	buffer_gl0_inv
	v_fma_f64 v[10:11], v[18:19], v[24:25], v[30:31]
	v_fma_f64 v[8:9], v[20:21], v[24:25], v[8:9]
	;; [unrolled: 1-line block ×4, first 2 shown]
	s_cbranch_scc0 .LBB85_2
.LBB85_3:
	s_clause 0x1
	s_load_b32 s3, s[0:1], 0x40
	s_load_b64 s[4:5], s[0:1], 0x48
	v_add_nc_u32_e32 v13, s13, v13
	v_add_nc_u32_e32 v4, s12, v12
	s_delay_alu instid0(VALU_DEP_1)
	v_cmp_le_i32_e64 s0, v13, v4
	v_cmp_gt_i32_e32 vcc_lo, s2, v4
	s_waitcnt lgkmcnt(0)
	v_mad_i64_i32 v[5:6], null, v13, s3, 0
	s_mul_i32 s1, s15, s5
	s_mul_hi_u32 s5, s15, s4
	s_mul_i32 s4, s15, s4
	s_add_i32 s5, s5, s1
	s_delay_alu instid0(SALU_CYCLE_1) | instskip(NEXT) | instid1(VALU_DEP_1)
	s_lshl_b64 s[4:5], s[4:5], 3
	v_lshlrev_b64 v[5:6], 3, v[5:6]
	s_add_u32 s4, s6, s4
	s_addc_u32 s5, s7, s5
	s_and_b32 s0, s0, vcc_lo
	s_delay_alu instid0(VALU_DEP_1) | instskip(NEXT) | instid1(VALU_DEP_1)
	v_add_co_u32 v12, s1, s4, v5
	v_add_co_ci_u32_e64 v14, s1, s5, v6, s1
	s_and_saveexec_b32 s1, s0
	s_cbranch_execz .LBB85_5
; %bb.4:
	v_ashrrev_i32_e32 v5, 31, v4
	s_delay_alu instid0(VALU_DEP_1) | instskip(NEXT) | instid1(VALU_DEP_1)
	v_lshlrev_b64 v[5:6], 3, v[4:5]
	v_add_co_u32 v5, s0, v12, v5
	s_delay_alu instid0(VALU_DEP_1)
	v_add_co_ci_u32_e64 v6, s0, v14, v6, s0
	global_load_b64 v[15:16], v[5:6], off
	s_waitcnt vmcnt(0)
	v_add_f64 v[10:11], v[10:11], -v[15:16]
	global_store_b64 v[5:6], v[10:11], off
.LBB85_5:
	s_or_b32 exec_lo, exec_lo, s1
	v_add_nc_u32_e32 v6, 16, v4
	s_delay_alu instid0(VALU_DEP_1) | instskip(SKIP_1) | instid1(VALU_DEP_1)
	v_cmp_le_i32_e64 s1, v13, v6
	v_cmp_gt_i32_e64 s0, s2, v6
	s_and_b32 s1, s1, s0
	s_delay_alu instid0(SALU_CYCLE_1)
	s_and_saveexec_b32 s2, s1
	s_cbranch_execz .LBB85_7
; %bb.6:
	v_ashrrev_i32_e32 v7, 31, v6
	s_delay_alu instid0(VALU_DEP_1) | instskip(NEXT) | instid1(VALU_DEP_1)
	v_lshlrev_b64 v[10:11], 3, v[6:7]
	v_add_co_u32 v10, s1, v12, v10
	s_delay_alu instid0(VALU_DEP_1)
	v_add_co_ci_u32_e64 v11, s1, v14, v11, s1
	global_load_b64 v[14:15], v[10:11], off
	s_waitcnt vmcnt(0)
	v_add_f64 v[7:8], v[8:9], -v[14:15]
	global_store_b64 v[10:11], v[7:8], off
.LBB85_7:
	s_or_b32 exec_lo, exec_lo, s2
	v_add_nc_u32_e32 v7, 16, v13
	s_delay_alu instid0(VALU_DEP_1) | instskip(SKIP_1) | instid1(VALU_DEP_2)
	v_mad_i64_i32 v[8:9], null, v7, s3, 0
	v_cmp_le_i32_e64 s1, v7, v4
	v_lshlrev_b64 v[8:9], 3, v[8:9]
	s_delay_alu instid0(VALU_DEP_1) | instskip(NEXT) | instid1(VALU_DEP_1)
	v_add_co_u32 v8, s2, s4, v8
	v_add_co_ci_u32_e64 v9, s2, s5, v9, s2
	s_delay_alu instid0(VALU_DEP_4) | instskip(NEXT) | instid1(SALU_CYCLE_1)
	s_and_b32 s2, s1, vcc_lo
	s_and_saveexec_b32 s1, s2
	s_cbranch_execz .LBB85_9
; %bb.8:
	v_ashrrev_i32_e32 v5, 31, v4
	s_delay_alu instid0(VALU_DEP_1) | instskip(NEXT) | instid1(VALU_DEP_1)
	v_lshlrev_b64 v[4:5], 3, v[4:5]
	v_add_co_u32 v4, vcc_lo, v8, v4
	s_delay_alu instid0(VALU_DEP_2)
	v_add_co_ci_u32_e32 v5, vcc_lo, v9, v5, vcc_lo
	global_load_b64 v[10:11], v[4:5], off
	s_waitcnt vmcnt(0)
	v_add_f64 v[2:3], v[2:3], -v[10:11]
	global_store_b64 v[4:5], v[2:3], off
.LBB85_9:
	s_or_b32 exec_lo, exec_lo, s1
	v_cmp_le_i32_e32 vcc_lo, v7, v6
	s_and_b32 s0, vcc_lo, s0
	s_delay_alu instid0(SALU_CYCLE_1)
	s_and_saveexec_b32 s1, s0
	s_cbranch_execz .LBB85_11
; %bb.10:
	v_ashrrev_i32_e32 v7, 31, v6
	s_delay_alu instid0(VALU_DEP_1) | instskip(NEXT) | instid1(VALU_DEP_1)
	v_lshlrev_b64 v[2:3], 3, v[6:7]
	v_add_co_u32 v2, vcc_lo, v8, v2
	s_delay_alu instid0(VALU_DEP_2)
	v_add_co_ci_u32_e32 v3, vcc_lo, v9, v3, vcc_lo
	global_load_b64 v[4:5], v[2:3], off
	s_waitcnt vmcnt(0)
	v_add_f64 v[0:1], v[0:1], -v[4:5]
	global_store_b64 v[2:3], v[0:1], off
.LBB85_11:
	s_nop 0
	s_sendmsg sendmsg(MSG_DEALLOC_VGPRS)
	s_endpgm
	.section	.rodata,"a",@progbits
	.p2align	6, 0x0
	.amdhsa_kernel _ZL37rocblas_syrkx_herkx_restricted_kernelIidLi16ELi32ELi8ELi1ELin1ELb0ELc84ELc76EKddEviT_PT9_S1_lS3_S1_lPT10_S1_li
		.amdhsa_group_segment_fixed_size 4096
		.amdhsa_private_segment_fixed_size 0
		.amdhsa_kernarg_size 84
		.amdhsa_user_sgpr_count 13
		.amdhsa_user_sgpr_dispatch_ptr 0
		.amdhsa_user_sgpr_queue_ptr 0
		.amdhsa_user_sgpr_kernarg_segment_ptr 1
		.amdhsa_user_sgpr_dispatch_id 0
		.amdhsa_user_sgpr_private_segment_size 0
		.amdhsa_wavefront_size32 1
		.amdhsa_uses_dynamic_stack 0
		.amdhsa_enable_private_segment 0
		.amdhsa_system_sgpr_workgroup_id_x 1
		.amdhsa_system_sgpr_workgroup_id_y 1
		.amdhsa_system_sgpr_workgroup_id_z 1
		.amdhsa_system_sgpr_workgroup_info 0
		.amdhsa_system_vgpr_workitem_id 1
		.amdhsa_next_free_vgpr 38
		.amdhsa_next_free_sgpr 20
		.amdhsa_reserve_vcc 1
		.amdhsa_float_round_mode_32 0
		.amdhsa_float_round_mode_16_64 0
		.amdhsa_float_denorm_mode_32 3
		.amdhsa_float_denorm_mode_16_64 3
		.amdhsa_dx10_clamp 1
		.amdhsa_ieee_mode 1
		.amdhsa_fp16_overflow 0
		.amdhsa_workgroup_processor_mode 1
		.amdhsa_memory_ordered 1
		.amdhsa_forward_progress 0
		.amdhsa_shared_vgpr_count 0
		.amdhsa_exception_fp_ieee_invalid_op 0
		.amdhsa_exception_fp_denorm_src 0
		.amdhsa_exception_fp_ieee_div_zero 0
		.amdhsa_exception_fp_ieee_overflow 0
		.amdhsa_exception_fp_ieee_underflow 0
		.amdhsa_exception_fp_ieee_inexact 0
		.amdhsa_exception_int_div_zero 0
	.end_amdhsa_kernel
	.section	.text._ZL37rocblas_syrkx_herkx_restricted_kernelIidLi16ELi32ELi8ELi1ELin1ELb0ELc84ELc76EKddEviT_PT9_S1_lS3_S1_lPT10_S1_li,"axG",@progbits,_ZL37rocblas_syrkx_herkx_restricted_kernelIidLi16ELi32ELi8ELi1ELin1ELb0ELc84ELc76EKddEviT_PT9_S1_lS3_S1_lPT10_S1_li,comdat
.Lfunc_end85:
	.size	_ZL37rocblas_syrkx_herkx_restricted_kernelIidLi16ELi32ELi8ELi1ELin1ELb0ELc84ELc76EKddEviT_PT9_S1_lS3_S1_lPT10_S1_li, .Lfunc_end85-_ZL37rocblas_syrkx_herkx_restricted_kernelIidLi16ELi32ELi8ELi1ELin1ELb0ELc84ELc76EKddEviT_PT9_S1_lS3_S1_lPT10_S1_li
                                        ; -- End function
	.section	.AMDGPU.csdata,"",@progbits
; Kernel info:
; codeLenInByte = 1440
; NumSgprs: 22
; NumVgprs: 38
; ScratchSize: 0
; MemoryBound: 0
; FloatMode: 240
; IeeeMode: 1
; LDSByteSize: 4096 bytes/workgroup (compile time only)
; SGPRBlocks: 2
; VGPRBlocks: 4
; NumSGPRsForWavesPerEU: 22
; NumVGPRsForWavesPerEU: 38
; Occupancy: 16
; WaveLimiterHint : 0
; COMPUTE_PGM_RSRC2:SCRATCH_EN: 0
; COMPUTE_PGM_RSRC2:USER_SGPR: 13
; COMPUTE_PGM_RSRC2:TRAP_HANDLER: 0
; COMPUTE_PGM_RSRC2:TGID_X_EN: 1
; COMPUTE_PGM_RSRC2:TGID_Y_EN: 1
; COMPUTE_PGM_RSRC2:TGID_Z_EN: 1
; COMPUTE_PGM_RSRC2:TIDIG_COMP_CNT: 1
	.section	.text._ZL37rocblas_syrkx_herkx_restricted_kernelIidLi16ELi32ELi8ELi1ELin1ELb0ELc67ELc76EKddEviT_PT9_S1_lS3_S1_lPT10_S1_li,"axG",@progbits,_ZL37rocblas_syrkx_herkx_restricted_kernelIidLi16ELi32ELi8ELi1ELin1ELb0ELc67ELc76EKddEviT_PT9_S1_lS3_S1_lPT10_S1_li,comdat
	.globl	_ZL37rocblas_syrkx_herkx_restricted_kernelIidLi16ELi32ELi8ELi1ELin1ELb0ELc67ELc76EKddEviT_PT9_S1_lS3_S1_lPT10_S1_li ; -- Begin function _ZL37rocblas_syrkx_herkx_restricted_kernelIidLi16ELi32ELi8ELi1ELin1ELb0ELc67ELc76EKddEviT_PT9_S1_lS3_S1_lPT10_S1_li
	.p2align	8
	.type	_ZL37rocblas_syrkx_herkx_restricted_kernelIidLi16ELi32ELi8ELi1ELin1ELb0ELc67ELc76EKddEviT_PT9_S1_lS3_S1_lPT10_S1_li,@function
_ZL37rocblas_syrkx_herkx_restricted_kernelIidLi16ELi32ELi8ELi1ELin1ELb0ELc67ELc76EKddEviT_PT9_S1_lS3_S1_lPT10_S1_li: ; @_ZL37rocblas_syrkx_herkx_restricted_kernelIidLi16ELi32ELi8ELi1ELin1ELb0ELc67ELc76EKddEviT_PT9_S1_lS3_S1_lPT10_S1_li
; %bb.0:
	s_clause 0x1
	s_load_b64 s[2:3], s[0:1], 0x0
	s_load_b128 s[4:7], s[0:1], 0x30
	v_mov_b32_e32 v10, 0
	v_dual_mov_b32 v11, 0 :: v_dual_and_b32 v12, 0x3ff, v0
	v_bfe_u32 v13, v0, 10, 10
	s_delay_alu instid0(VALU_DEP_3) | instskip(NEXT) | instid1(VALU_DEP_3)
	v_mov_b32_e32 v8, v10
	v_dual_mov_b32 v2, v10 :: v_dual_mov_b32 v3, v11
	v_dual_mov_b32 v9, v11 :: v_dual_mov_b32 v0, v10
	v_mov_b32_e32 v1, v11
	s_lshl_b32 s12, s13, 5
	s_lshl_b32 s13, s14, 5
	s_mov_b32 s14, 0
	s_waitcnt lgkmcnt(0)
	s_cmp_lt_i32 s3, 1
	s_cbranch_scc1 .LBB86_3
; %bb.1:
	s_clause 0x1
	s_load_b32 s18, s[0:1], 0x10
	s_load_b128 s[8:11], s[0:1], 0x18
	v_lshl_add_u32 v2, v13, 4, v12
	v_dual_mov_b32 v1, 0 :: v_dual_and_b32 v0, 7, v12
	s_clause 0x1
	s_load_b64 s[16:17], s[0:1], 0x8
	s_load_b32 s19, s[0:1], 0x28
	v_lshlrev_b32_e32 v14, 3, v12
	v_lshrrev_b32_e32 v4, 3, v2
	v_and_b32_e32 v5, 31, v2
	v_lshlrev_b32_e32 v3, 3, v0
	v_lshrrev_b32_e32 v2, 5, v2
	s_mul_i32 s5, s5, s15
	v_add_nc_u32_e32 v9, s13, v4
	v_add_nc_u32_e32 v8, s12, v5
	v_lshl_or_b32 v7, v4, 6, v3
	v_dual_mov_b32 v3, v1 :: v_dual_lshlrev_b32 v6, 3, v5
	v_lshl_add_u32 v17, v13, 6, 0x800
	s_waitcnt lgkmcnt(0)
	s_delay_alu instid0(VALU_DEP_2) | instskip(NEXT) | instid1(VALU_DEP_3)
	v_mad_i64_i32 v[4:5], null, s18, v8, v[2:3]
	v_lshl_or_b32 v15, v2, 8, v6
	s_mul_i32 s9, s9, s15
	s_mul_hi_u32 s18, s8, s15
	v_mad_i64_i32 v[2:3], null, s19, v9, v[0:1]
	s_mul_i32 s8, s8, s15
	s_add_i32 s9, s18, s9
	s_delay_alu instid0(VALU_DEP_3) | instskip(SKIP_1) | instid1(SALU_CYCLE_1)
	v_lshlrev_b64 v[0:1], 3, v[4:5]
	s_lshl_b64 s[8:9], s[8:9], 3
	s_add_u32 s8, s16, s8
	s_mul_hi_u32 s16, s4, s15
	s_addc_u32 s9, s17, s9
	s_add_i32 s5, s16, s5
	s_mul_i32 s4, s4, s15
	v_lshlrev_b64 v[2:3], 3, v[2:3]
	v_add_co_u32 v4, vcc_lo, s8, v0
	s_lshl_b64 s[4:5], s[4:5], 3
	v_add_co_ci_u32_e32 v5, vcc_lo, s9, v1, vcc_lo
	v_mov_b32_e32 v0, 0
	v_mov_b32_e32 v1, 0
	s_add_u32 s4, s10, s4
	s_addc_u32 s5, s11, s5
	v_add_co_u32 v6, vcc_lo, s4, v2
	s_delay_alu instid0(VALU_DEP_2)
	v_dual_mov_b32 v9, v1 :: v_dual_add_nc_u32 v16, 0x800, v7
	v_add_co_ci_u32_e32 v7, vcc_lo, s5, v3, vcc_lo
	v_dual_mov_b32 v3, v1 :: v_dual_mov_b32 v2, v0
	v_dual_mov_b32 v8, v0 :: v_dual_mov_b32 v11, v1
	v_mov_b32_e32 v10, v0
.LBB86_2:                               ; =>This Inner Loop Header: Depth=1
	global_load_b64 v[18:19], v[4:5], off
	global_load_b64 v[20:21], v[6:7], off
	v_add_co_u32 v4, vcc_lo, v4, 64
	v_add_co_ci_u32_e32 v5, vcc_lo, 0, v5, vcc_lo
	v_add_co_u32 v6, vcc_lo, v6, 64
	v_add_co_ci_u32_e32 v7, vcc_lo, 0, v7, vcc_lo
	s_add_i32 s14, s14, 8
	s_waitcnt vmcnt(1)
	ds_store_b64 v15, v[18:19]
	s_waitcnt vmcnt(0)
	ds_store_b64 v16, v[20:21]
	s_waitcnt lgkmcnt(0)
	s_barrier
	buffer_gl0_inv
	ds_load_2addr_b64 v[18:21], v14 offset1:16
	ds_load_b128 v[22:25], v17
	ds_load_b128 v[26:29], v17 offset:1024
	ds_load_b128 v[30:33], v17 offset:16
	;; [unrolled: 1-line block ×3, first 2 shown]
	s_cmp_ge_i32 s14, s3
	s_waitcnt lgkmcnt(3)
	v_fma_f64 v[10:11], v[18:19], v[22:23], v[10:11]
	v_fma_f64 v[8:9], v[20:21], v[22:23], v[8:9]
	s_waitcnt lgkmcnt(2)
	v_fma_f64 v[18:19], v[18:19], v[26:27], v[2:3]
	v_fma_f64 v[20:21], v[20:21], v[26:27], v[0:1]
	ds_load_2addr_b64 v[0:3], v14 offset0:32 offset1:48
	s_waitcnt lgkmcnt(0)
	v_fma_f64 v[10:11], v[0:1], v[24:25], v[10:11]
	v_fma_f64 v[8:9], v[2:3], v[24:25], v[8:9]
	v_fma_f64 v[18:19], v[0:1], v[28:29], v[18:19]
	v_fma_f64 v[20:21], v[2:3], v[28:29], v[20:21]
	ds_load_2addr_b64 v[0:3], v14 offset0:64 offset1:80
	s_waitcnt lgkmcnt(0)
	v_fma_f64 v[10:11], v[0:1], v[30:31], v[10:11]
	v_fma_f64 v[8:9], v[2:3], v[30:31], v[8:9]
	;; [unrolled: 6-line block ×3, first 2 shown]
	v_fma_f64 v[34:35], v[0:1], v[36:37], v[18:19]
	v_fma_f64 v[36:37], v[2:3], v[36:37], v[20:21]
	ds_load_2addr_b64 v[0:3], v14 offset0:128 offset1:144
	ds_load_b128 v[8:11], v17 offset:32
	ds_load_b128 v[18:21], v17 offset:1056
	;; [unrolled: 1-line block ×4, first 2 shown]
	s_waitcnt lgkmcnt(3)
	v_fma_f64 v[30:31], v[0:1], v[8:9], v[30:31]
	v_fma_f64 v[8:9], v[2:3], v[8:9], v[32:33]
	s_waitcnt lgkmcnt(2)
	v_fma_f64 v[32:33], v[0:1], v[18:19], v[34:35]
	v_fma_f64 v[18:19], v[2:3], v[18:19], v[36:37]
	ds_load_2addr_b64 v[0:3], v14 offset0:160 offset1:176
	s_waitcnt lgkmcnt(0)
	v_fma_f64 v[30:31], v[0:1], v[10:11], v[30:31]
	v_fma_f64 v[8:9], v[2:3], v[10:11], v[8:9]
	;; [unrolled: 1-line block ×4, first 2 shown]
	ds_load_2addr_b64 v[0:3], v14 offset0:192 offset1:208
	s_waitcnt lgkmcnt(0)
	v_fma_f64 v[30:31], v[0:1], v[22:23], v[30:31]
	v_fma_f64 v[8:9], v[2:3], v[22:23], v[8:9]
	;; [unrolled: 1-line block ×4, first 2 shown]
	ds_load_2addr_b64 v[18:21], v14 offset0:224 offset1:240
	s_waitcnt lgkmcnt(0)
	s_barrier
	buffer_gl0_inv
	v_fma_f64 v[10:11], v[18:19], v[24:25], v[30:31]
	v_fma_f64 v[8:9], v[20:21], v[24:25], v[8:9]
	;; [unrolled: 1-line block ×4, first 2 shown]
	s_cbranch_scc0 .LBB86_2
.LBB86_3:
	s_clause 0x1
	s_load_b32 s3, s[0:1], 0x40
	s_load_b64 s[4:5], s[0:1], 0x48
	v_add_nc_u32_e32 v13, s13, v13
	v_add_nc_u32_e32 v4, s12, v12
	s_delay_alu instid0(VALU_DEP_1)
	v_cmp_le_i32_e64 s0, v13, v4
	v_cmp_gt_i32_e32 vcc_lo, s2, v4
	s_waitcnt lgkmcnt(0)
	v_mad_i64_i32 v[5:6], null, v13, s3, 0
	s_mul_i32 s1, s15, s5
	s_mul_hi_u32 s5, s15, s4
	s_mul_i32 s4, s15, s4
	s_add_i32 s5, s5, s1
	s_delay_alu instid0(SALU_CYCLE_1) | instskip(NEXT) | instid1(VALU_DEP_1)
	s_lshl_b64 s[4:5], s[4:5], 3
	v_lshlrev_b64 v[5:6], 3, v[5:6]
	s_add_u32 s4, s6, s4
	s_addc_u32 s5, s7, s5
	s_and_b32 s0, s0, vcc_lo
	s_delay_alu instid0(VALU_DEP_1) | instskip(NEXT) | instid1(VALU_DEP_1)
	v_add_co_u32 v12, s1, s4, v5
	v_add_co_ci_u32_e64 v14, s1, s5, v6, s1
	s_and_saveexec_b32 s1, s0
	s_cbranch_execz .LBB86_5
; %bb.4:
	v_ashrrev_i32_e32 v5, 31, v4
	s_delay_alu instid0(VALU_DEP_1) | instskip(NEXT) | instid1(VALU_DEP_1)
	v_lshlrev_b64 v[5:6], 3, v[4:5]
	v_add_co_u32 v5, s0, v12, v5
	s_delay_alu instid0(VALU_DEP_1)
	v_add_co_ci_u32_e64 v6, s0, v14, v6, s0
	global_load_b64 v[15:16], v[5:6], off
	s_waitcnt vmcnt(0)
	v_add_f64 v[10:11], v[10:11], -v[15:16]
	global_store_b64 v[5:6], v[10:11], off
.LBB86_5:
	s_or_b32 exec_lo, exec_lo, s1
	v_add_nc_u32_e32 v6, 16, v4
	s_delay_alu instid0(VALU_DEP_1) | instskip(SKIP_1) | instid1(VALU_DEP_1)
	v_cmp_le_i32_e64 s1, v13, v6
	v_cmp_gt_i32_e64 s0, s2, v6
	s_and_b32 s1, s1, s0
	s_delay_alu instid0(SALU_CYCLE_1)
	s_and_saveexec_b32 s2, s1
	s_cbranch_execz .LBB86_7
; %bb.6:
	v_ashrrev_i32_e32 v7, 31, v6
	s_delay_alu instid0(VALU_DEP_1) | instskip(NEXT) | instid1(VALU_DEP_1)
	v_lshlrev_b64 v[10:11], 3, v[6:7]
	v_add_co_u32 v10, s1, v12, v10
	s_delay_alu instid0(VALU_DEP_1)
	v_add_co_ci_u32_e64 v11, s1, v14, v11, s1
	global_load_b64 v[14:15], v[10:11], off
	s_waitcnt vmcnt(0)
	v_add_f64 v[7:8], v[8:9], -v[14:15]
	global_store_b64 v[10:11], v[7:8], off
.LBB86_7:
	s_or_b32 exec_lo, exec_lo, s2
	v_add_nc_u32_e32 v7, 16, v13
	s_delay_alu instid0(VALU_DEP_1) | instskip(SKIP_1) | instid1(VALU_DEP_2)
	v_mad_i64_i32 v[8:9], null, v7, s3, 0
	v_cmp_le_i32_e64 s1, v7, v4
	v_lshlrev_b64 v[8:9], 3, v[8:9]
	s_delay_alu instid0(VALU_DEP_1) | instskip(NEXT) | instid1(VALU_DEP_1)
	v_add_co_u32 v8, s2, s4, v8
	v_add_co_ci_u32_e64 v9, s2, s5, v9, s2
	s_delay_alu instid0(VALU_DEP_4) | instskip(NEXT) | instid1(SALU_CYCLE_1)
	s_and_b32 s2, s1, vcc_lo
	s_and_saveexec_b32 s1, s2
	s_cbranch_execz .LBB86_9
; %bb.8:
	v_ashrrev_i32_e32 v5, 31, v4
	s_delay_alu instid0(VALU_DEP_1) | instskip(NEXT) | instid1(VALU_DEP_1)
	v_lshlrev_b64 v[4:5], 3, v[4:5]
	v_add_co_u32 v4, vcc_lo, v8, v4
	s_delay_alu instid0(VALU_DEP_2)
	v_add_co_ci_u32_e32 v5, vcc_lo, v9, v5, vcc_lo
	global_load_b64 v[10:11], v[4:5], off
	s_waitcnt vmcnt(0)
	v_add_f64 v[2:3], v[2:3], -v[10:11]
	global_store_b64 v[4:5], v[2:3], off
.LBB86_9:
	s_or_b32 exec_lo, exec_lo, s1
	v_cmp_le_i32_e32 vcc_lo, v7, v6
	s_and_b32 s0, vcc_lo, s0
	s_delay_alu instid0(SALU_CYCLE_1)
	s_and_saveexec_b32 s1, s0
	s_cbranch_execz .LBB86_11
; %bb.10:
	v_ashrrev_i32_e32 v7, 31, v6
	s_delay_alu instid0(VALU_DEP_1) | instskip(NEXT) | instid1(VALU_DEP_1)
	v_lshlrev_b64 v[2:3], 3, v[6:7]
	v_add_co_u32 v2, vcc_lo, v8, v2
	s_delay_alu instid0(VALU_DEP_2)
	v_add_co_ci_u32_e32 v3, vcc_lo, v9, v3, vcc_lo
	global_load_b64 v[4:5], v[2:3], off
	s_waitcnt vmcnt(0)
	v_add_f64 v[0:1], v[0:1], -v[4:5]
	global_store_b64 v[2:3], v[0:1], off
.LBB86_11:
	s_nop 0
	s_sendmsg sendmsg(MSG_DEALLOC_VGPRS)
	s_endpgm
	.section	.rodata,"a",@progbits
	.p2align	6, 0x0
	.amdhsa_kernel _ZL37rocblas_syrkx_herkx_restricted_kernelIidLi16ELi32ELi8ELi1ELin1ELb0ELc67ELc76EKddEviT_PT9_S1_lS3_S1_lPT10_S1_li
		.amdhsa_group_segment_fixed_size 4096
		.amdhsa_private_segment_fixed_size 0
		.amdhsa_kernarg_size 84
		.amdhsa_user_sgpr_count 13
		.amdhsa_user_sgpr_dispatch_ptr 0
		.amdhsa_user_sgpr_queue_ptr 0
		.amdhsa_user_sgpr_kernarg_segment_ptr 1
		.amdhsa_user_sgpr_dispatch_id 0
		.amdhsa_user_sgpr_private_segment_size 0
		.amdhsa_wavefront_size32 1
		.amdhsa_uses_dynamic_stack 0
		.amdhsa_enable_private_segment 0
		.amdhsa_system_sgpr_workgroup_id_x 1
		.amdhsa_system_sgpr_workgroup_id_y 1
		.amdhsa_system_sgpr_workgroup_id_z 1
		.amdhsa_system_sgpr_workgroup_info 0
		.amdhsa_system_vgpr_workitem_id 1
		.amdhsa_next_free_vgpr 38
		.amdhsa_next_free_sgpr 20
		.amdhsa_reserve_vcc 1
		.amdhsa_float_round_mode_32 0
		.amdhsa_float_round_mode_16_64 0
		.amdhsa_float_denorm_mode_32 3
		.amdhsa_float_denorm_mode_16_64 3
		.amdhsa_dx10_clamp 1
		.amdhsa_ieee_mode 1
		.amdhsa_fp16_overflow 0
		.amdhsa_workgroup_processor_mode 1
		.amdhsa_memory_ordered 1
		.amdhsa_forward_progress 0
		.amdhsa_shared_vgpr_count 0
		.amdhsa_exception_fp_ieee_invalid_op 0
		.amdhsa_exception_fp_denorm_src 0
		.amdhsa_exception_fp_ieee_div_zero 0
		.amdhsa_exception_fp_ieee_overflow 0
		.amdhsa_exception_fp_ieee_underflow 0
		.amdhsa_exception_fp_ieee_inexact 0
		.amdhsa_exception_int_div_zero 0
	.end_amdhsa_kernel
	.section	.text._ZL37rocblas_syrkx_herkx_restricted_kernelIidLi16ELi32ELi8ELi1ELin1ELb0ELc67ELc76EKddEviT_PT9_S1_lS3_S1_lPT10_S1_li,"axG",@progbits,_ZL37rocblas_syrkx_herkx_restricted_kernelIidLi16ELi32ELi8ELi1ELin1ELb0ELc67ELc76EKddEviT_PT9_S1_lS3_S1_lPT10_S1_li,comdat
.Lfunc_end86:
	.size	_ZL37rocblas_syrkx_herkx_restricted_kernelIidLi16ELi32ELi8ELi1ELin1ELb0ELc67ELc76EKddEviT_PT9_S1_lS3_S1_lPT10_S1_li, .Lfunc_end86-_ZL37rocblas_syrkx_herkx_restricted_kernelIidLi16ELi32ELi8ELi1ELin1ELb0ELc67ELc76EKddEviT_PT9_S1_lS3_S1_lPT10_S1_li
                                        ; -- End function
	.section	.AMDGPU.csdata,"",@progbits
; Kernel info:
; codeLenInByte = 1440
; NumSgprs: 22
; NumVgprs: 38
; ScratchSize: 0
; MemoryBound: 0
; FloatMode: 240
; IeeeMode: 1
; LDSByteSize: 4096 bytes/workgroup (compile time only)
; SGPRBlocks: 2
; VGPRBlocks: 4
; NumSGPRsForWavesPerEU: 22
; NumVGPRsForWavesPerEU: 38
; Occupancy: 16
; WaveLimiterHint : 0
; COMPUTE_PGM_RSRC2:SCRATCH_EN: 0
; COMPUTE_PGM_RSRC2:USER_SGPR: 13
; COMPUTE_PGM_RSRC2:TRAP_HANDLER: 0
; COMPUTE_PGM_RSRC2:TGID_X_EN: 1
; COMPUTE_PGM_RSRC2:TGID_Y_EN: 1
; COMPUTE_PGM_RSRC2:TGID_Z_EN: 1
; COMPUTE_PGM_RSRC2:TIDIG_COMP_CNT: 1
	.section	.text._ZL37rocblas_syrkx_herkx_restricted_kernelIidLi16ELi32ELi8ELi1ELin1ELb0ELc78ELc76EKddEviT_PT9_S1_lS3_S1_lPT10_S1_li,"axG",@progbits,_ZL37rocblas_syrkx_herkx_restricted_kernelIidLi16ELi32ELi8ELi1ELin1ELb0ELc78ELc76EKddEviT_PT9_S1_lS3_S1_lPT10_S1_li,comdat
	.globl	_ZL37rocblas_syrkx_herkx_restricted_kernelIidLi16ELi32ELi8ELi1ELin1ELb0ELc78ELc76EKddEviT_PT9_S1_lS3_S1_lPT10_S1_li ; -- Begin function _ZL37rocblas_syrkx_herkx_restricted_kernelIidLi16ELi32ELi8ELi1ELin1ELb0ELc78ELc76EKddEviT_PT9_S1_lS3_S1_lPT10_S1_li
	.p2align	8
	.type	_ZL37rocblas_syrkx_herkx_restricted_kernelIidLi16ELi32ELi8ELi1ELin1ELb0ELc78ELc76EKddEviT_PT9_S1_lS3_S1_lPT10_S1_li,@function
_ZL37rocblas_syrkx_herkx_restricted_kernelIidLi16ELi32ELi8ELi1ELin1ELb0ELc78ELc76EKddEviT_PT9_S1_lS3_S1_lPT10_S1_li: ; @_ZL37rocblas_syrkx_herkx_restricted_kernelIidLi16ELi32ELi8ELi1ELin1ELb0ELc78ELc76EKddEviT_PT9_S1_lS3_S1_lPT10_S1_li
; %bb.0:
	s_clause 0x1
	s_load_b64 s[2:3], s[0:1], 0x0
	s_load_b128 s[4:7], s[0:1], 0x30
	v_mov_b32_e32 v10, 0
	v_dual_mov_b32 v11, 0 :: v_dual_and_b32 v12, 0x3ff, v0
	v_bfe_u32 v13, v0, 10, 10
	s_delay_alu instid0(VALU_DEP_3) | instskip(NEXT) | instid1(VALU_DEP_3)
	v_mov_b32_e32 v8, v10
	v_dual_mov_b32 v2, v10 :: v_dual_mov_b32 v3, v11
	v_dual_mov_b32 v9, v11 :: v_dual_mov_b32 v0, v10
	v_mov_b32_e32 v1, v11
	s_lshl_b32 s12, s13, 5
	s_lshl_b32 s13, s14, 5
	s_mov_b32 s14, 0
	s_waitcnt lgkmcnt(0)
	s_cmp_lt_i32 s3, 1
	s_cbranch_scc1 .LBB87_3
; %bb.1:
	s_clause 0x1
	s_load_b32 s16, s[0:1], 0x10
	s_load_b32 s18, s[0:1], 0x28
	v_lshl_add_u32 v0, v13, 4, v12
	v_and_b32_e32 v4, 7, v12
	s_clause 0x1
	s_load_b128 s[8:11], s[0:1], 0x18
	s_load_b64 s[20:21], s[0:1], 0x8
	s_mul_i32 s5, s5, s15
	v_lshrrev_b32_e32 v1, 3, v0
	v_and_b32_e32 v2, 31, v0
	v_lshrrev_b32_e32 v5, 5, v0
	v_lshlrev_b32_e32 v3, 3, v4
	v_lshlrev_b32_e32 v16, 3, v12
	v_add_nc_u32_e32 v0, s13, v1
	v_lshlrev_b32_e32 v6, 3, v2
	v_add_nc_u32_e32 v2, s12, v2
	v_lshl_or_b32 v8, v1, 6, v3
	v_lshl_add_u32 v17, v13, 6, 0x800
	v_ashrrev_i32_e32 v1, 31, v0
	v_lshl_or_b32 v14, v5, 8, v6
	v_ashrrev_i32_e32 v3, 31, v2
	s_waitcnt lgkmcnt(0)
	s_ashr_i32 s17, s16, 31
	s_ashr_i32 s19, s18, 31
	v_mad_i64_i32 v[6:7], null, s18, v4, v[0:1]
	v_mad_i64_i32 v[0:1], null, s16, v5, v[2:3]
	s_mul_i32 s9, s9, s15
	s_mul_hi_u32 s22, s8, s15
	s_mul_i32 s8, s8, s15
	s_add_i32 s9, s22, s9
	s_delay_alu instid0(VALU_DEP_2) | instskip(SKIP_1) | instid1(VALU_DEP_2)
	v_lshlrev_b64 v[2:3], 3, v[6:7]
	s_lshl_b64 s[8:9], s[8:9], 3
	v_lshlrev_b64 v[0:1], 3, v[0:1]
	s_add_u32 s8, s20, s8
	s_mul_hi_u32 s20, s4, s15
	s_addc_u32 s9, s21, s9
	s_add_i32 s5, s20, s5
	s_mul_i32 s4, s4, s15
	v_add_co_u32 v4, vcc_lo, s8, v0
	v_add_co_ci_u32_e32 v5, vcc_lo, s9, v1, vcc_lo
	s_lshl_b64 s[8:9], s[4:5], 3
	v_mov_b32_e32 v0, 0
	s_lshl_b64 s[4:5], s[16:17], 6
	v_mov_b32_e32 v1, 0
	s_add_u32 s8, s10, s8
	s_addc_u32 s9, s11, s9
	v_add_co_u32 v6, vcc_lo, s8, v2
	s_delay_alu instid0(VALU_DEP_2)
	v_mov_b32_e32 v11, v1
	v_add_nc_u32_e32 v15, 0x800, v8
	v_add_co_ci_u32_e32 v7, vcc_lo, s9, v3, vcc_lo
	v_dual_mov_b32 v3, v1 :: v_dual_mov_b32 v2, v0
	v_dual_mov_b32 v9, v1 :: v_dual_mov_b32 v8, v0
	v_mov_b32_e32 v10, v0
	s_lshl_b64 s[8:9], s[18:19], 6
.LBB87_2:                               ; =>This Inner Loop Header: Depth=1
	global_load_b64 v[18:19], v[4:5], off
	global_load_b64 v[20:21], v[6:7], off
	v_add_co_u32 v4, vcc_lo, v4, s4
	v_add_co_ci_u32_e32 v5, vcc_lo, s5, v5, vcc_lo
	v_add_co_u32 v6, vcc_lo, v6, s8
	v_add_co_ci_u32_e32 v7, vcc_lo, s9, v7, vcc_lo
	s_add_i32 s14, s14, 8
	s_waitcnt vmcnt(1)
	ds_store_b64 v14, v[18:19]
	s_waitcnt vmcnt(0)
	ds_store_b64 v15, v[20:21]
	s_waitcnt lgkmcnt(0)
	s_barrier
	buffer_gl0_inv
	ds_load_2addr_b64 v[18:21], v16 offset1:16
	ds_load_b128 v[22:25], v17
	ds_load_b128 v[26:29], v17 offset:1024
	ds_load_b128 v[30:33], v17 offset:16
	;; [unrolled: 1-line block ×3, first 2 shown]
	s_cmp_ge_i32 s14, s3
	s_waitcnt lgkmcnt(3)
	v_fma_f64 v[10:11], v[18:19], v[22:23], v[10:11]
	v_fma_f64 v[8:9], v[20:21], v[22:23], v[8:9]
	s_waitcnt lgkmcnt(2)
	v_fma_f64 v[18:19], v[18:19], v[26:27], v[2:3]
	v_fma_f64 v[20:21], v[20:21], v[26:27], v[0:1]
	ds_load_2addr_b64 v[0:3], v16 offset0:32 offset1:48
	s_waitcnt lgkmcnt(0)
	v_fma_f64 v[10:11], v[0:1], v[24:25], v[10:11]
	v_fma_f64 v[8:9], v[2:3], v[24:25], v[8:9]
	v_fma_f64 v[18:19], v[0:1], v[28:29], v[18:19]
	v_fma_f64 v[20:21], v[2:3], v[28:29], v[20:21]
	ds_load_2addr_b64 v[0:3], v16 offset0:64 offset1:80
	s_waitcnt lgkmcnt(0)
	v_fma_f64 v[10:11], v[0:1], v[30:31], v[10:11]
	v_fma_f64 v[8:9], v[2:3], v[30:31], v[8:9]
	;; [unrolled: 6-line block ×3, first 2 shown]
	v_fma_f64 v[34:35], v[0:1], v[36:37], v[18:19]
	v_fma_f64 v[36:37], v[2:3], v[36:37], v[20:21]
	ds_load_2addr_b64 v[0:3], v16 offset0:128 offset1:144
	ds_load_b128 v[8:11], v17 offset:32
	ds_load_b128 v[18:21], v17 offset:1056
	;; [unrolled: 1-line block ×4, first 2 shown]
	s_waitcnt lgkmcnt(3)
	v_fma_f64 v[30:31], v[0:1], v[8:9], v[30:31]
	v_fma_f64 v[8:9], v[2:3], v[8:9], v[32:33]
	s_waitcnt lgkmcnt(2)
	v_fma_f64 v[32:33], v[0:1], v[18:19], v[34:35]
	v_fma_f64 v[18:19], v[2:3], v[18:19], v[36:37]
	ds_load_2addr_b64 v[0:3], v16 offset0:160 offset1:176
	s_waitcnt lgkmcnt(0)
	v_fma_f64 v[30:31], v[0:1], v[10:11], v[30:31]
	v_fma_f64 v[8:9], v[2:3], v[10:11], v[8:9]
	;; [unrolled: 1-line block ×4, first 2 shown]
	ds_load_2addr_b64 v[0:3], v16 offset0:192 offset1:208
	s_waitcnt lgkmcnt(0)
	v_fma_f64 v[30:31], v[0:1], v[22:23], v[30:31]
	v_fma_f64 v[8:9], v[2:3], v[22:23], v[8:9]
	;; [unrolled: 1-line block ×4, first 2 shown]
	ds_load_2addr_b64 v[18:21], v16 offset0:224 offset1:240
	s_waitcnt lgkmcnt(0)
	s_barrier
	buffer_gl0_inv
	v_fma_f64 v[10:11], v[18:19], v[24:25], v[30:31]
	v_fma_f64 v[8:9], v[20:21], v[24:25], v[8:9]
	;; [unrolled: 1-line block ×4, first 2 shown]
	s_cbranch_scc0 .LBB87_2
.LBB87_3:
	s_clause 0x1
	s_load_b32 s3, s[0:1], 0x40
	s_load_b64 s[4:5], s[0:1], 0x48
	v_add_nc_u32_e32 v13, s13, v13
	v_add_nc_u32_e32 v4, s12, v12
	s_delay_alu instid0(VALU_DEP_1)
	v_cmp_le_i32_e64 s0, v13, v4
	v_cmp_gt_i32_e32 vcc_lo, s2, v4
	s_waitcnt lgkmcnt(0)
	v_mad_i64_i32 v[5:6], null, v13, s3, 0
	s_mul_i32 s1, s15, s5
	s_mul_hi_u32 s5, s15, s4
	s_mul_i32 s4, s15, s4
	s_add_i32 s5, s5, s1
	s_delay_alu instid0(SALU_CYCLE_1) | instskip(NEXT) | instid1(VALU_DEP_1)
	s_lshl_b64 s[4:5], s[4:5], 3
	v_lshlrev_b64 v[5:6], 3, v[5:6]
	s_add_u32 s4, s6, s4
	s_addc_u32 s5, s7, s5
	s_and_b32 s0, s0, vcc_lo
	s_delay_alu instid0(VALU_DEP_1) | instskip(NEXT) | instid1(VALU_DEP_1)
	v_add_co_u32 v12, s1, s4, v5
	v_add_co_ci_u32_e64 v14, s1, s5, v6, s1
	s_and_saveexec_b32 s1, s0
	s_cbranch_execz .LBB87_5
; %bb.4:
	v_ashrrev_i32_e32 v5, 31, v4
	s_delay_alu instid0(VALU_DEP_1) | instskip(NEXT) | instid1(VALU_DEP_1)
	v_lshlrev_b64 v[5:6], 3, v[4:5]
	v_add_co_u32 v5, s0, v12, v5
	s_delay_alu instid0(VALU_DEP_1)
	v_add_co_ci_u32_e64 v6, s0, v14, v6, s0
	global_load_b64 v[15:16], v[5:6], off
	s_waitcnt vmcnt(0)
	v_add_f64 v[10:11], v[10:11], -v[15:16]
	global_store_b64 v[5:6], v[10:11], off
.LBB87_5:
	s_or_b32 exec_lo, exec_lo, s1
	v_add_nc_u32_e32 v6, 16, v4
	s_delay_alu instid0(VALU_DEP_1) | instskip(SKIP_1) | instid1(VALU_DEP_1)
	v_cmp_le_i32_e64 s1, v13, v6
	v_cmp_gt_i32_e64 s0, s2, v6
	s_and_b32 s1, s1, s0
	s_delay_alu instid0(SALU_CYCLE_1)
	s_and_saveexec_b32 s2, s1
	s_cbranch_execz .LBB87_7
; %bb.6:
	v_ashrrev_i32_e32 v7, 31, v6
	s_delay_alu instid0(VALU_DEP_1) | instskip(NEXT) | instid1(VALU_DEP_1)
	v_lshlrev_b64 v[10:11], 3, v[6:7]
	v_add_co_u32 v10, s1, v12, v10
	s_delay_alu instid0(VALU_DEP_1)
	v_add_co_ci_u32_e64 v11, s1, v14, v11, s1
	global_load_b64 v[14:15], v[10:11], off
	s_waitcnt vmcnt(0)
	v_add_f64 v[7:8], v[8:9], -v[14:15]
	global_store_b64 v[10:11], v[7:8], off
.LBB87_7:
	s_or_b32 exec_lo, exec_lo, s2
	v_add_nc_u32_e32 v7, 16, v13
	s_delay_alu instid0(VALU_DEP_1) | instskip(SKIP_1) | instid1(VALU_DEP_2)
	v_mad_i64_i32 v[8:9], null, v7, s3, 0
	v_cmp_le_i32_e64 s1, v7, v4
	v_lshlrev_b64 v[8:9], 3, v[8:9]
	s_delay_alu instid0(VALU_DEP_1) | instskip(NEXT) | instid1(VALU_DEP_1)
	v_add_co_u32 v8, s2, s4, v8
	v_add_co_ci_u32_e64 v9, s2, s5, v9, s2
	s_delay_alu instid0(VALU_DEP_4) | instskip(NEXT) | instid1(SALU_CYCLE_1)
	s_and_b32 s2, s1, vcc_lo
	s_and_saveexec_b32 s1, s2
	s_cbranch_execz .LBB87_9
; %bb.8:
	v_ashrrev_i32_e32 v5, 31, v4
	s_delay_alu instid0(VALU_DEP_1) | instskip(NEXT) | instid1(VALU_DEP_1)
	v_lshlrev_b64 v[4:5], 3, v[4:5]
	v_add_co_u32 v4, vcc_lo, v8, v4
	s_delay_alu instid0(VALU_DEP_2)
	v_add_co_ci_u32_e32 v5, vcc_lo, v9, v5, vcc_lo
	global_load_b64 v[10:11], v[4:5], off
	s_waitcnt vmcnt(0)
	v_add_f64 v[2:3], v[2:3], -v[10:11]
	global_store_b64 v[4:5], v[2:3], off
.LBB87_9:
	s_or_b32 exec_lo, exec_lo, s1
	v_cmp_le_i32_e32 vcc_lo, v7, v6
	s_and_b32 s0, vcc_lo, s0
	s_delay_alu instid0(SALU_CYCLE_1)
	s_and_saveexec_b32 s1, s0
	s_cbranch_execz .LBB87_11
; %bb.10:
	v_ashrrev_i32_e32 v7, 31, v6
	s_delay_alu instid0(VALU_DEP_1) | instskip(NEXT) | instid1(VALU_DEP_1)
	v_lshlrev_b64 v[2:3], 3, v[6:7]
	v_add_co_u32 v2, vcc_lo, v8, v2
	s_delay_alu instid0(VALU_DEP_2)
	v_add_co_ci_u32_e32 v3, vcc_lo, v9, v3, vcc_lo
	global_load_b64 v[4:5], v[2:3], off
	s_waitcnt vmcnt(0)
	v_add_f64 v[0:1], v[0:1], -v[4:5]
	global_store_b64 v[2:3], v[0:1], off
.LBB87_11:
	s_nop 0
	s_sendmsg sendmsg(MSG_DEALLOC_VGPRS)
	s_endpgm
	.section	.rodata,"a",@progbits
	.p2align	6, 0x0
	.amdhsa_kernel _ZL37rocblas_syrkx_herkx_restricted_kernelIidLi16ELi32ELi8ELi1ELin1ELb0ELc78ELc76EKddEviT_PT9_S1_lS3_S1_lPT10_S1_li
		.amdhsa_group_segment_fixed_size 4096
		.amdhsa_private_segment_fixed_size 0
		.amdhsa_kernarg_size 84
		.amdhsa_user_sgpr_count 13
		.amdhsa_user_sgpr_dispatch_ptr 0
		.amdhsa_user_sgpr_queue_ptr 0
		.amdhsa_user_sgpr_kernarg_segment_ptr 1
		.amdhsa_user_sgpr_dispatch_id 0
		.amdhsa_user_sgpr_private_segment_size 0
		.amdhsa_wavefront_size32 1
		.amdhsa_uses_dynamic_stack 0
		.amdhsa_enable_private_segment 0
		.amdhsa_system_sgpr_workgroup_id_x 1
		.amdhsa_system_sgpr_workgroup_id_y 1
		.amdhsa_system_sgpr_workgroup_id_z 1
		.amdhsa_system_sgpr_workgroup_info 0
		.amdhsa_system_vgpr_workitem_id 1
		.amdhsa_next_free_vgpr 38
		.amdhsa_next_free_sgpr 23
		.amdhsa_reserve_vcc 1
		.amdhsa_float_round_mode_32 0
		.amdhsa_float_round_mode_16_64 0
		.amdhsa_float_denorm_mode_32 3
		.amdhsa_float_denorm_mode_16_64 3
		.amdhsa_dx10_clamp 1
		.amdhsa_ieee_mode 1
		.amdhsa_fp16_overflow 0
		.amdhsa_workgroup_processor_mode 1
		.amdhsa_memory_ordered 1
		.amdhsa_forward_progress 0
		.amdhsa_shared_vgpr_count 0
		.amdhsa_exception_fp_ieee_invalid_op 0
		.amdhsa_exception_fp_denorm_src 0
		.amdhsa_exception_fp_ieee_div_zero 0
		.amdhsa_exception_fp_ieee_overflow 0
		.amdhsa_exception_fp_ieee_underflow 0
		.amdhsa_exception_fp_ieee_inexact 0
		.amdhsa_exception_int_div_zero 0
	.end_amdhsa_kernel
	.section	.text._ZL37rocblas_syrkx_herkx_restricted_kernelIidLi16ELi32ELi8ELi1ELin1ELb0ELc78ELc76EKddEviT_PT9_S1_lS3_S1_lPT10_S1_li,"axG",@progbits,_ZL37rocblas_syrkx_herkx_restricted_kernelIidLi16ELi32ELi8ELi1ELin1ELb0ELc78ELc76EKddEviT_PT9_S1_lS3_S1_lPT10_S1_li,comdat
.Lfunc_end87:
	.size	_ZL37rocblas_syrkx_herkx_restricted_kernelIidLi16ELi32ELi8ELi1ELin1ELb0ELc78ELc76EKddEviT_PT9_S1_lS3_S1_lPT10_S1_li, .Lfunc_end87-_ZL37rocblas_syrkx_herkx_restricted_kernelIidLi16ELi32ELi8ELi1ELin1ELb0ELc78ELc76EKddEviT_PT9_S1_lS3_S1_lPT10_S1_li
                                        ; -- End function
	.section	.AMDGPU.csdata,"",@progbits
; Kernel info:
; codeLenInByte = 1452
; NumSgprs: 25
; NumVgprs: 38
; ScratchSize: 0
; MemoryBound: 0
; FloatMode: 240
; IeeeMode: 1
; LDSByteSize: 4096 bytes/workgroup (compile time only)
; SGPRBlocks: 3
; VGPRBlocks: 4
; NumSGPRsForWavesPerEU: 25
; NumVGPRsForWavesPerEU: 38
; Occupancy: 16
; WaveLimiterHint : 0
; COMPUTE_PGM_RSRC2:SCRATCH_EN: 0
; COMPUTE_PGM_RSRC2:USER_SGPR: 13
; COMPUTE_PGM_RSRC2:TRAP_HANDLER: 0
; COMPUTE_PGM_RSRC2:TGID_X_EN: 1
; COMPUTE_PGM_RSRC2:TGID_Y_EN: 1
; COMPUTE_PGM_RSRC2:TGID_Z_EN: 1
; COMPUTE_PGM_RSRC2:TIDIG_COMP_CNT: 1
	.section	.text._ZL37rocblas_syrkx_herkx_restricted_kernelIidLi16ELi32ELi8ELi1ELin1ELb0ELc84ELc85EKddEviT_PT9_S1_lS3_S1_lPT10_S1_li,"axG",@progbits,_ZL37rocblas_syrkx_herkx_restricted_kernelIidLi16ELi32ELi8ELi1ELin1ELb0ELc84ELc85EKddEviT_PT9_S1_lS3_S1_lPT10_S1_li,comdat
	.globl	_ZL37rocblas_syrkx_herkx_restricted_kernelIidLi16ELi32ELi8ELi1ELin1ELb0ELc84ELc85EKddEviT_PT9_S1_lS3_S1_lPT10_S1_li ; -- Begin function _ZL37rocblas_syrkx_herkx_restricted_kernelIidLi16ELi32ELi8ELi1ELin1ELb0ELc84ELc85EKddEviT_PT9_S1_lS3_S1_lPT10_S1_li
	.p2align	8
	.type	_ZL37rocblas_syrkx_herkx_restricted_kernelIidLi16ELi32ELi8ELi1ELin1ELb0ELc84ELc85EKddEviT_PT9_S1_lS3_S1_lPT10_S1_li,@function
_ZL37rocblas_syrkx_herkx_restricted_kernelIidLi16ELi32ELi8ELi1ELin1ELb0ELc84ELc85EKddEviT_PT9_S1_lS3_S1_lPT10_S1_li: ; @_ZL37rocblas_syrkx_herkx_restricted_kernelIidLi16ELi32ELi8ELi1ELin1ELb0ELc84ELc85EKddEviT_PT9_S1_lS3_S1_lPT10_S1_li
; %bb.0:
	s_clause 0x1
	s_load_b64 s[2:3], s[0:1], 0x0
	s_load_b128 s[4:7], s[0:1], 0x30
	v_mov_b32_e32 v10, 0
	v_dual_mov_b32 v11, 0 :: v_dual_and_b32 v12, 0x3ff, v0
	v_bfe_u32 v13, v0, 10, 10
	s_delay_alu instid0(VALU_DEP_3) | instskip(NEXT) | instid1(VALU_DEP_3)
	v_mov_b32_e32 v8, v10
	v_dual_mov_b32 v2, v10 :: v_dual_mov_b32 v3, v11
	v_dual_mov_b32 v9, v11 :: v_dual_mov_b32 v0, v10
	v_mov_b32_e32 v1, v11
	s_lshl_b32 s12, s13, 5
	s_lshl_b32 s13, s14, 5
	s_mov_b32 s14, 0
	s_waitcnt lgkmcnt(0)
	s_cmp_lt_i32 s3, 1
	s_cbranch_scc1 .LBB88_3
; %bb.1:
	s_clause 0x1
	s_load_b32 s18, s[0:1], 0x10
	s_load_b128 s[8:11], s[0:1], 0x18
	v_lshl_add_u32 v2, v13, 4, v12
	v_dual_mov_b32 v1, 0 :: v_dual_and_b32 v0, 7, v12
	s_clause 0x1
	s_load_b64 s[16:17], s[0:1], 0x8
	s_load_b32 s19, s[0:1], 0x28
	v_lshlrev_b32_e32 v14, 3, v12
	v_lshrrev_b32_e32 v4, 3, v2
	v_and_b32_e32 v5, 31, v2
	v_lshlrev_b32_e32 v3, 3, v0
	v_lshrrev_b32_e32 v2, 5, v2
	s_mul_i32 s5, s5, s15
	v_add_nc_u32_e32 v9, s13, v4
	v_add_nc_u32_e32 v8, s12, v5
	v_lshl_or_b32 v7, v4, 6, v3
	v_dual_mov_b32 v3, v1 :: v_dual_lshlrev_b32 v6, 3, v5
	v_lshl_add_u32 v17, v13, 6, 0x800
	s_waitcnt lgkmcnt(0)
	s_delay_alu instid0(VALU_DEP_2) | instskip(NEXT) | instid1(VALU_DEP_3)
	v_mad_i64_i32 v[4:5], null, s18, v8, v[2:3]
	v_lshl_or_b32 v15, v2, 8, v6
	s_mul_i32 s9, s9, s15
	s_mul_hi_u32 s18, s8, s15
	v_mad_i64_i32 v[2:3], null, s19, v9, v[0:1]
	s_mul_i32 s8, s8, s15
	s_add_i32 s9, s18, s9
	s_delay_alu instid0(VALU_DEP_3) | instskip(SKIP_1) | instid1(SALU_CYCLE_1)
	v_lshlrev_b64 v[0:1], 3, v[4:5]
	s_lshl_b64 s[8:9], s[8:9], 3
	s_add_u32 s8, s16, s8
	s_mul_hi_u32 s16, s4, s15
	s_addc_u32 s9, s17, s9
	s_add_i32 s5, s16, s5
	s_mul_i32 s4, s4, s15
	v_lshlrev_b64 v[2:3], 3, v[2:3]
	v_add_co_u32 v4, vcc_lo, s8, v0
	s_lshl_b64 s[4:5], s[4:5], 3
	v_add_co_ci_u32_e32 v5, vcc_lo, s9, v1, vcc_lo
	v_mov_b32_e32 v0, 0
	v_mov_b32_e32 v1, 0
	s_add_u32 s4, s10, s4
	s_addc_u32 s5, s11, s5
	v_add_co_u32 v6, vcc_lo, s4, v2
	s_delay_alu instid0(VALU_DEP_2)
	v_dual_mov_b32 v9, v1 :: v_dual_add_nc_u32 v16, 0x800, v7
	v_add_co_ci_u32_e32 v7, vcc_lo, s5, v3, vcc_lo
	v_dual_mov_b32 v3, v1 :: v_dual_mov_b32 v2, v0
	v_dual_mov_b32 v8, v0 :: v_dual_mov_b32 v11, v1
	v_mov_b32_e32 v10, v0
.LBB88_2:                               ; =>This Inner Loop Header: Depth=1
	global_load_b64 v[18:19], v[4:5], off
	global_load_b64 v[20:21], v[6:7], off
	v_add_co_u32 v4, vcc_lo, v4, 64
	v_add_co_ci_u32_e32 v5, vcc_lo, 0, v5, vcc_lo
	v_add_co_u32 v6, vcc_lo, v6, 64
	v_add_co_ci_u32_e32 v7, vcc_lo, 0, v7, vcc_lo
	s_add_i32 s14, s14, 8
	s_waitcnt vmcnt(1)
	ds_store_b64 v15, v[18:19]
	s_waitcnt vmcnt(0)
	ds_store_b64 v16, v[20:21]
	s_waitcnt lgkmcnt(0)
	s_barrier
	buffer_gl0_inv
	ds_load_2addr_b64 v[18:21], v14 offset1:16
	ds_load_b128 v[22:25], v17
	ds_load_b128 v[26:29], v17 offset:1024
	ds_load_b128 v[30:33], v17 offset:16
	;; [unrolled: 1-line block ×3, first 2 shown]
	s_cmp_ge_i32 s14, s3
	s_waitcnt lgkmcnt(3)
	v_fma_f64 v[10:11], v[18:19], v[22:23], v[10:11]
	v_fma_f64 v[8:9], v[20:21], v[22:23], v[8:9]
	s_waitcnt lgkmcnt(2)
	v_fma_f64 v[18:19], v[18:19], v[26:27], v[2:3]
	v_fma_f64 v[20:21], v[20:21], v[26:27], v[0:1]
	ds_load_2addr_b64 v[0:3], v14 offset0:32 offset1:48
	s_waitcnt lgkmcnt(0)
	v_fma_f64 v[10:11], v[0:1], v[24:25], v[10:11]
	v_fma_f64 v[8:9], v[2:3], v[24:25], v[8:9]
	v_fma_f64 v[18:19], v[0:1], v[28:29], v[18:19]
	v_fma_f64 v[20:21], v[2:3], v[28:29], v[20:21]
	ds_load_2addr_b64 v[0:3], v14 offset0:64 offset1:80
	s_waitcnt lgkmcnt(0)
	v_fma_f64 v[10:11], v[0:1], v[30:31], v[10:11]
	v_fma_f64 v[8:9], v[2:3], v[30:31], v[8:9]
	v_fma_f64 v[18:19], v[0:1], v[34:35], v[18:19]
	v_fma_f64 v[20:21], v[2:3], v[34:35], v[20:21]
	ds_load_2addr_b64 v[0:3], v14 offset0:96 offset1:112
	s_waitcnt lgkmcnt(0)
	v_fma_f64 v[30:31], v[0:1], v[32:33], v[10:11]
	v_fma_f64 v[32:33], v[2:3], v[32:33], v[8:9]
	v_fma_f64 v[34:35], v[0:1], v[36:37], v[18:19]
	v_fma_f64 v[36:37], v[2:3], v[36:37], v[20:21]
	ds_load_2addr_b64 v[0:3], v14 offset0:128 offset1:144
	ds_load_b128 v[8:11], v17 offset:32
	ds_load_b128 v[18:21], v17 offset:1056
	;; [unrolled: 1-line block ×4, first 2 shown]
	s_waitcnt lgkmcnt(3)
	v_fma_f64 v[30:31], v[0:1], v[8:9], v[30:31]
	v_fma_f64 v[8:9], v[2:3], v[8:9], v[32:33]
	s_waitcnt lgkmcnt(2)
	v_fma_f64 v[32:33], v[0:1], v[18:19], v[34:35]
	v_fma_f64 v[18:19], v[2:3], v[18:19], v[36:37]
	ds_load_2addr_b64 v[0:3], v14 offset0:160 offset1:176
	s_waitcnt lgkmcnt(0)
	v_fma_f64 v[30:31], v[0:1], v[10:11], v[30:31]
	v_fma_f64 v[8:9], v[2:3], v[10:11], v[8:9]
	;; [unrolled: 1-line block ×4, first 2 shown]
	ds_load_2addr_b64 v[0:3], v14 offset0:192 offset1:208
	s_waitcnt lgkmcnt(0)
	v_fma_f64 v[30:31], v[0:1], v[22:23], v[30:31]
	v_fma_f64 v[8:9], v[2:3], v[22:23], v[8:9]
	v_fma_f64 v[0:1], v[0:1], v[26:27], v[10:11]
	v_fma_f64 v[22:23], v[2:3], v[26:27], v[18:19]
	ds_load_2addr_b64 v[18:21], v14 offset0:224 offset1:240
	s_waitcnt lgkmcnt(0)
	s_barrier
	buffer_gl0_inv
	v_fma_f64 v[10:11], v[18:19], v[24:25], v[30:31]
	v_fma_f64 v[8:9], v[20:21], v[24:25], v[8:9]
	;; [unrolled: 1-line block ×4, first 2 shown]
	s_cbranch_scc0 .LBB88_2
.LBB88_3:
	s_clause 0x1
	s_load_b32 s3, s[0:1], 0x40
	s_load_b64 s[0:1], s[0:1], 0x48
	v_add_nc_u32_e32 v13, s13, v13
	v_add_nc_u32_e32 v4, s12, v12
	s_delay_alu instid0(VALU_DEP_2)
	v_cmp_gt_i32_e32 vcc_lo, s2, v13
	s_waitcnt lgkmcnt(0)
	v_mad_i64_i32 v[5:6], null, v13, s3, 0
	s_mul_i32 s1, s15, s1
	s_mul_hi_u32 s4, s15, s0
	s_mul_i32 s0, s15, s0
	s_add_i32 s1, s4, s1
	s_delay_alu instid0(SALU_CYCLE_1) | instskip(NEXT) | instid1(VALU_DEP_1)
	s_lshl_b64 s[4:5], s[0:1], 3
	v_lshlrev_b64 v[5:6], 3, v[5:6]
	s_add_u32 s4, s6, s4
	v_cmp_le_i32_e64 s0, v4, v13
	s_addc_u32 s5, s7, s5
	s_delay_alu instid0(VALU_DEP_2) | instskip(NEXT) | instid1(VALU_DEP_1)
	v_add_co_u32 v12, s1, s4, v5
	v_add_co_ci_u32_e64 v14, s1, s5, v6, s1
	s_delay_alu instid0(VALU_DEP_3) | instskip(NEXT) | instid1(SALU_CYCLE_1)
	s_and_b32 s0, vcc_lo, s0
	s_and_saveexec_b32 s1, s0
	s_cbranch_execz .LBB88_5
; %bb.4:
	v_ashrrev_i32_e32 v5, 31, v4
	s_delay_alu instid0(VALU_DEP_1) | instskip(NEXT) | instid1(VALU_DEP_1)
	v_lshlrev_b64 v[5:6], 3, v[4:5]
	v_add_co_u32 v5, s0, v12, v5
	s_delay_alu instid0(VALU_DEP_1)
	v_add_co_ci_u32_e64 v6, s0, v14, v6, s0
	global_load_b64 v[15:16], v[5:6], off
	s_waitcnt vmcnt(0)
	v_add_f64 v[10:11], v[10:11], -v[15:16]
	global_store_b64 v[5:6], v[10:11], off
.LBB88_5:
	s_or_b32 exec_lo, exec_lo, s1
	v_add_nc_u32_e32 v6, 16, v4
	s_delay_alu instid0(VALU_DEP_1) | instskip(NEXT) | instid1(VALU_DEP_1)
	v_cmp_le_i32_e64 s0, v6, v13
	s_and_b32 s1, vcc_lo, s0
	s_delay_alu instid0(SALU_CYCLE_1)
	s_and_saveexec_b32 s0, s1
	s_cbranch_execz .LBB88_7
; %bb.6:
	v_ashrrev_i32_e32 v7, 31, v6
	s_delay_alu instid0(VALU_DEP_1) | instskip(NEXT) | instid1(VALU_DEP_1)
	v_lshlrev_b64 v[10:11], 3, v[6:7]
	v_add_co_u32 v10, vcc_lo, v12, v10
	s_delay_alu instid0(VALU_DEP_2)
	v_add_co_ci_u32_e32 v11, vcc_lo, v14, v11, vcc_lo
	global_load_b64 v[14:15], v[10:11], off
	s_waitcnt vmcnt(0)
	v_add_f64 v[7:8], v[8:9], -v[14:15]
	global_store_b64 v[10:11], v[7:8], off
.LBB88_7:
	s_or_b32 exec_lo, exec_lo, s0
	v_add_nc_u32_e32 v7, 16, v13
	s_delay_alu instid0(VALU_DEP_1) | instskip(SKIP_2) | instid1(VALU_DEP_1)
	v_mad_i64_i32 v[8:9], null, v7, s3, 0
	v_cmp_gt_i32_e32 vcc_lo, s2, v7
	v_cmp_le_i32_e64 s0, v4, v7
	s_and_b32 s0, vcc_lo, s0
	s_delay_alu instid0(VALU_DEP_3) | instskip(NEXT) | instid1(VALU_DEP_1)
	v_lshlrev_b64 v[8:9], 3, v[8:9]
	v_add_co_u32 v8, s1, s4, v8
	s_delay_alu instid0(VALU_DEP_1)
	v_add_co_ci_u32_e64 v9, s1, s5, v9, s1
	s_and_saveexec_b32 s1, s0
	s_cbranch_execz .LBB88_9
; %bb.8:
	v_ashrrev_i32_e32 v5, 31, v4
	s_delay_alu instid0(VALU_DEP_1) | instskip(NEXT) | instid1(VALU_DEP_1)
	v_lshlrev_b64 v[4:5], 3, v[4:5]
	v_add_co_u32 v4, s0, v8, v4
	s_delay_alu instid0(VALU_DEP_1)
	v_add_co_ci_u32_e64 v5, s0, v9, v5, s0
	global_load_b64 v[10:11], v[4:5], off
	s_waitcnt vmcnt(0)
	v_add_f64 v[2:3], v[2:3], -v[10:11]
	global_store_b64 v[4:5], v[2:3], off
.LBB88_9:
	s_or_b32 exec_lo, exec_lo, s1
	v_cmp_le_i32_e64 s0, v6, v7
	s_delay_alu instid0(VALU_DEP_1) | instskip(NEXT) | instid1(SALU_CYCLE_1)
	s_and_b32 s0, vcc_lo, s0
	s_and_saveexec_b32 s1, s0
	s_cbranch_execz .LBB88_11
; %bb.10:
	v_ashrrev_i32_e32 v7, 31, v6
	s_delay_alu instid0(VALU_DEP_1) | instskip(NEXT) | instid1(VALU_DEP_1)
	v_lshlrev_b64 v[2:3], 3, v[6:7]
	v_add_co_u32 v2, vcc_lo, v8, v2
	s_delay_alu instid0(VALU_DEP_2)
	v_add_co_ci_u32_e32 v3, vcc_lo, v9, v3, vcc_lo
	global_load_b64 v[4:5], v[2:3], off
	s_waitcnt vmcnt(0)
	v_add_f64 v[0:1], v[0:1], -v[4:5]
	global_store_b64 v[2:3], v[0:1], off
.LBB88_11:
	s_nop 0
	s_sendmsg sendmsg(MSG_DEALLOC_VGPRS)
	s_endpgm
	.section	.rodata,"a",@progbits
	.p2align	6, 0x0
	.amdhsa_kernel _ZL37rocblas_syrkx_herkx_restricted_kernelIidLi16ELi32ELi8ELi1ELin1ELb0ELc84ELc85EKddEviT_PT9_S1_lS3_S1_lPT10_S1_li
		.amdhsa_group_segment_fixed_size 4096
		.amdhsa_private_segment_fixed_size 0
		.amdhsa_kernarg_size 84
		.amdhsa_user_sgpr_count 13
		.amdhsa_user_sgpr_dispatch_ptr 0
		.amdhsa_user_sgpr_queue_ptr 0
		.amdhsa_user_sgpr_kernarg_segment_ptr 1
		.amdhsa_user_sgpr_dispatch_id 0
		.amdhsa_user_sgpr_private_segment_size 0
		.amdhsa_wavefront_size32 1
		.amdhsa_uses_dynamic_stack 0
		.amdhsa_enable_private_segment 0
		.amdhsa_system_sgpr_workgroup_id_x 1
		.amdhsa_system_sgpr_workgroup_id_y 1
		.amdhsa_system_sgpr_workgroup_id_z 1
		.amdhsa_system_sgpr_workgroup_info 0
		.amdhsa_system_vgpr_workitem_id 1
		.amdhsa_next_free_vgpr 38
		.amdhsa_next_free_sgpr 20
		.amdhsa_reserve_vcc 1
		.amdhsa_float_round_mode_32 0
		.amdhsa_float_round_mode_16_64 0
		.amdhsa_float_denorm_mode_32 3
		.amdhsa_float_denorm_mode_16_64 3
		.amdhsa_dx10_clamp 1
		.amdhsa_ieee_mode 1
		.amdhsa_fp16_overflow 0
		.amdhsa_workgroup_processor_mode 1
		.amdhsa_memory_ordered 1
		.amdhsa_forward_progress 0
		.amdhsa_shared_vgpr_count 0
		.amdhsa_exception_fp_ieee_invalid_op 0
		.amdhsa_exception_fp_denorm_src 0
		.amdhsa_exception_fp_ieee_div_zero 0
		.amdhsa_exception_fp_ieee_overflow 0
		.amdhsa_exception_fp_ieee_underflow 0
		.amdhsa_exception_fp_ieee_inexact 0
		.amdhsa_exception_int_div_zero 0
	.end_amdhsa_kernel
	.section	.text._ZL37rocblas_syrkx_herkx_restricted_kernelIidLi16ELi32ELi8ELi1ELin1ELb0ELc84ELc85EKddEviT_PT9_S1_lS3_S1_lPT10_S1_li,"axG",@progbits,_ZL37rocblas_syrkx_herkx_restricted_kernelIidLi16ELi32ELi8ELi1ELin1ELb0ELc84ELc85EKddEviT_PT9_S1_lS3_S1_lPT10_S1_li,comdat
.Lfunc_end88:
	.size	_ZL37rocblas_syrkx_herkx_restricted_kernelIidLi16ELi32ELi8ELi1ELin1ELb0ELc84ELc85EKddEviT_PT9_S1_lS3_S1_lPT10_S1_li, .Lfunc_end88-_ZL37rocblas_syrkx_herkx_restricted_kernelIidLi16ELi32ELi8ELi1ELin1ELb0ELc84ELc85EKddEviT_PT9_S1_lS3_S1_lPT10_S1_li
                                        ; -- End function
	.section	.AMDGPU.csdata,"",@progbits
; Kernel info:
; codeLenInByte = 1444
; NumSgprs: 22
; NumVgprs: 38
; ScratchSize: 0
; MemoryBound: 0
; FloatMode: 240
; IeeeMode: 1
; LDSByteSize: 4096 bytes/workgroup (compile time only)
; SGPRBlocks: 2
; VGPRBlocks: 4
; NumSGPRsForWavesPerEU: 22
; NumVGPRsForWavesPerEU: 38
; Occupancy: 16
; WaveLimiterHint : 0
; COMPUTE_PGM_RSRC2:SCRATCH_EN: 0
; COMPUTE_PGM_RSRC2:USER_SGPR: 13
; COMPUTE_PGM_RSRC2:TRAP_HANDLER: 0
; COMPUTE_PGM_RSRC2:TGID_X_EN: 1
; COMPUTE_PGM_RSRC2:TGID_Y_EN: 1
; COMPUTE_PGM_RSRC2:TGID_Z_EN: 1
; COMPUTE_PGM_RSRC2:TIDIG_COMP_CNT: 1
	.section	.text._ZL37rocblas_syrkx_herkx_restricted_kernelIidLi16ELi32ELi8ELi1ELin1ELb0ELc67ELc85EKddEviT_PT9_S1_lS3_S1_lPT10_S1_li,"axG",@progbits,_ZL37rocblas_syrkx_herkx_restricted_kernelIidLi16ELi32ELi8ELi1ELin1ELb0ELc67ELc85EKddEviT_PT9_S1_lS3_S1_lPT10_S1_li,comdat
	.globl	_ZL37rocblas_syrkx_herkx_restricted_kernelIidLi16ELi32ELi8ELi1ELin1ELb0ELc67ELc85EKddEviT_PT9_S1_lS3_S1_lPT10_S1_li ; -- Begin function _ZL37rocblas_syrkx_herkx_restricted_kernelIidLi16ELi32ELi8ELi1ELin1ELb0ELc67ELc85EKddEviT_PT9_S1_lS3_S1_lPT10_S1_li
	.p2align	8
	.type	_ZL37rocblas_syrkx_herkx_restricted_kernelIidLi16ELi32ELi8ELi1ELin1ELb0ELc67ELc85EKddEviT_PT9_S1_lS3_S1_lPT10_S1_li,@function
_ZL37rocblas_syrkx_herkx_restricted_kernelIidLi16ELi32ELi8ELi1ELin1ELb0ELc67ELc85EKddEviT_PT9_S1_lS3_S1_lPT10_S1_li: ; @_ZL37rocblas_syrkx_herkx_restricted_kernelIidLi16ELi32ELi8ELi1ELin1ELb0ELc67ELc85EKddEviT_PT9_S1_lS3_S1_lPT10_S1_li
; %bb.0:
	s_clause 0x1
	s_load_b64 s[2:3], s[0:1], 0x0
	s_load_b128 s[4:7], s[0:1], 0x30
	v_mov_b32_e32 v10, 0
	v_dual_mov_b32 v11, 0 :: v_dual_and_b32 v12, 0x3ff, v0
	v_bfe_u32 v13, v0, 10, 10
	s_delay_alu instid0(VALU_DEP_3) | instskip(NEXT) | instid1(VALU_DEP_3)
	v_mov_b32_e32 v8, v10
	v_dual_mov_b32 v2, v10 :: v_dual_mov_b32 v3, v11
	v_dual_mov_b32 v9, v11 :: v_dual_mov_b32 v0, v10
	v_mov_b32_e32 v1, v11
	s_lshl_b32 s12, s13, 5
	s_lshl_b32 s13, s14, 5
	s_mov_b32 s14, 0
	s_waitcnt lgkmcnt(0)
	s_cmp_lt_i32 s3, 1
	s_cbranch_scc1 .LBB89_3
; %bb.1:
	s_clause 0x1
	s_load_b32 s18, s[0:1], 0x10
	s_load_b128 s[8:11], s[0:1], 0x18
	v_lshl_add_u32 v2, v13, 4, v12
	v_dual_mov_b32 v1, 0 :: v_dual_and_b32 v0, 7, v12
	s_clause 0x1
	s_load_b64 s[16:17], s[0:1], 0x8
	s_load_b32 s19, s[0:1], 0x28
	v_lshlrev_b32_e32 v14, 3, v12
	v_lshrrev_b32_e32 v4, 3, v2
	v_and_b32_e32 v5, 31, v2
	v_lshlrev_b32_e32 v3, 3, v0
	v_lshrrev_b32_e32 v2, 5, v2
	s_mul_i32 s5, s5, s15
	v_add_nc_u32_e32 v9, s13, v4
	v_add_nc_u32_e32 v8, s12, v5
	v_lshl_or_b32 v7, v4, 6, v3
	v_dual_mov_b32 v3, v1 :: v_dual_lshlrev_b32 v6, 3, v5
	v_lshl_add_u32 v17, v13, 6, 0x800
	s_waitcnt lgkmcnt(0)
	s_delay_alu instid0(VALU_DEP_2) | instskip(NEXT) | instid1(VALU_DEP_3)
	v_mad_i64_i32 v[4:5], null, s18, v8, v[2:3]
	v_lshl_or_b32 v15, v2, 8, v6
	s_mul_i32 s9, s9, s15
	s_mul_hi_u32 s18, s8, s15
	v_mad_i64_i32 v[2:3], null, s19, v9, v[0:1]
	s_mul_i32 s8, s8, s15
	s_add_i32 s9, s18, s9
	s_delay_alu instid0(VALU_DEP_3) | instskip(SKIP_1) | instid1(SALU_CYCLE_1)
	v_lshlrev_b64 v[0:1], 3, v[4:5]
	s_lshl_b64 s[8:9], s[8:9], 3
	s_add_u32 s8, s16, s8
	s_mul_hi_u32 s16, s4, s15
	s_addc_u32 s9, s17, s9
	s_add_i32 s5, s16, s5
	s_mul_i32 s4, s4, s15
	v_lshlrev_b64 v[2:3], 3, v[2:3]
	v_add_co_u32 v4, vcc_lo, s8, v0
	s_lshl_b64 s[4:5], s[4:5], 3
	v_add_co_ci_u32_e32 v5, vcc_lo, s9, v1, vcc_lo
	v_mov_b32_e32 v0, 0
	v_mov_b32_e32 v1, 0
	s_add_u32 s4, s10, s4
	s_addc_u32 s5, s11, s5
	v_add_co_u32 v6, vcc_lo, s4, v2
	s_delay_alu instid0(VALU_DEP_2)
	v_dual_mov_b32 v9, v1 :: v_dual_add_nc_u32 v16, 0x800, v7
	v_add_co_ci_u32_e32 v7, vcc_lo, s5, v3, vcc_lo
	v_dual_mov_b32 v3, v1 :: v_dual_mov_b32 v2, v0
	v_dual_mov_b32 v8, v0 :: v_dual_mov_b32 v11, v1
	v_mov_b32_e32 v10, v0
.LBB89_2:                               ; =>This Inner Loop Header: Depth=1
	global_load_b64 v[18:19], v[4:5], off
	global_load_b64 v[20:21], v[6:7], off
	v_add_co_u32 v4, vcc_lo, v4, 64
	v_add_co_ci_u32_e32 v5, vcc_lo, 0, v5, vcc_lo
	v_add_co_u32 v6, vcc_lo, v6, 64
	v_add_co_ci_u32_e32 v7, vcc_lo, 0, v7, vcc_lo
	s_add_i32 s14, s14, 8
	s_waitcnt vmcnt(1)
	ds_store_b64 v15, v[18:19]
	s_waitcnt vmcnt(0)
	ds_store_b64 v16, v[20:21]
	s_waitcnt lgkmcnt(0)
	s_barrier
	buffer_gl0_inv
	ds_load_2addr_b64 v[18:21], v14 offset1:16
	ds_load_b128 v[22:25], v17
	ds_load_b128 v[26:29], v17 offset:1024
	ds_load_b128 v[30:33], v17 offset:16
	;; [unrolled: 1-line block ×3, first 2 shown]
	s_cmp_ge_i32 s14, s3
	s_waitcnt lgkmcnt(3)
	v_fma_f64 v[10:11], v[18:19], v[22:23], v[10:11]
	v_fma_f64 v[8:9], v[20:21], v[22:23], v[8:9]
	s_waitcnt lgkmcnt(2)
	v_fma_f64 v[18:19], v[18:19], v[26:27], v[2:3]
	v_fma_f64 v[20:21], v[20:21], v[26:27], v[0:1]
	ds_load_2addr_b64 v[0:3], v14 offset0:32 offset1:48
	s_waitcnt lgkmcnt(0)
	v_fma_f64 v[10:11], v[0:1], v[24:25], v[10:11]
	v_fma_f64 v[8:9], v[2:3], v[24:25], v[8:9]
	v_fma_f64 v[18:19], v[0:1], v[28:29], v[18:19]
	v_fma_f64 v[20:21], v[2:3], v[28:29], v[20:21]
	ds_load_2addr_b64 v[0:3], v14 offset0:64 offset1:80
	s_waitcnt lgkmcnt(0)
	v_fma_f64 v[10:11], v[0:1], v[30:31], v[10:11]
	v_fma_f64 v[8:9], v[2:3], v[30:31], v[8:9]
	v_fma_f64 v[18:19], v[0:1], v[34:35], v[18:19]
	v_fma_f64 v[20:21], v[2:3], v[34:35], v[20:21]
	ds_load_2addr_b64 v[0:3], v14 offset0:96 offset1:112
	s_waitcnt lgkmcnt(0)
	v_fma_f64 v[30:31], v[0:1], v[32:33], v[10:11]
	v_fma_f64 v[32:33], v[2:3], v[32:33], v[8:9]
	v_fma_f64 v[34:35], v[0:1], v[36:37], v[18:19]
	v_fma_f64 v[36:37], v[2:3], v[36:37], v[20:21]
	ds_load_2addr_b64 v[0:3], v14 offset0:128 offset1:144
	ds_load_b128 v[8:11], v17 offset:32
	ds_load_b128 v[18:21], v17 offset:1056
	;; [unrolled: 1-line block ×4, first 2 shown]
	s_waitcnt lgkmcnt(3)
	v_fma_f64 v[30:31], v[0:1], v[8:9], v[30:31]
	v_fma_f64 v[8:9], v[2:3], v[8:9], v[32:33]
	s_waitcnt lgkmcnt(2)
	v_fma_f64 v[32:33], v[0:1], v[18:19], v[34:35]
	v_fma_f64 v[18:19], v[2:3], v[18:19], v[36:37]
	ds_load_2addr_b64 v[0:3], v14 offset0:160 offset1:176
	s_waitcnt lgkmcnt(0)
	v_fma_f64 v[30:31], v[0:1], v[10:11], v[30:31]
	v_fma_f64 v[8:9], v[2:3], v[10:11], v[8:9]
	;; [unrolled: 1-line block ×4, first 2 shown]
	ds_load_2addr_b64 v[0:3], v14 offset0:192 offset1:208
	s_waitcnt lgkmcnt(0)
	v_fma_f64 v[30:31], v[0:1], v[22:23], v[30:31]
	v_fma_f64 v[8:9], v[2:3], v[22:23], v[8:9]
	;; [unrolled: 1-line block ×4, first 2 shown]
	ds_load_2addr_b64 v[18:21], v14 offset0:224 offset1:240
	s_waitcnt lgkmcnt(0)
	s_barrier
	buffer_gl0_inv
	v_fma_f64 v[10:11], v[18:19], v[24:25], v[30:31]
	v_fma_f64 v[8:9], v[20:21], v[24:25], v[8:9]
	v_fma_f64 v[2:3], v[18:19], v[28:29], v[0:1]
	v_fma_f64 v[0:1], v[20:21], v[28:29], v[22:23]
	s_cbranch_scc0 .LBB89_2
.LBB89_3:
	s_clause 0x1
	s_load_b32 s3, s[0:1], 0x40
	s_load_b64 s[0:1], s[0:1], 0x48
	v_add_nc_u32_e32 v13, s13, v13
	v_add_nc_u32_e32 v4, s12, v12
	s_delay_alu instid0(VALU_DEP_2)
	v_cmp_gt_i32_e32 vcc_lo, s2, v13
	s_waitcnt lgkmcnt(0)
	v_mad_i64_i32 v[5:6], null, v13, s3, 0
	s_mul_i32 s1, s15, s1
	s_mul_hi_u32 s4, s15, s0
	s_mul_i32 s0, s15, s0
	s_add_i32 s1, s4, s1
	s_delay_alu instid0(SALU_CYCLE_1) | instskip(NEXT) | instid1(VALU_DEP_1)
	s_lshl_b64 s[4:5], s[0:1], 3
	v_lshlrev_b64 v[5:6], 3, v[5:6]
	s_add_u32 s4, s6, s4
	v_cmp_le_i32_e64 s0, v4, v13
	s_addc_u32 s5, s7, s5
	s_delay_alu instid0(VALU_DEP_2) | instskip(NEXT) | instid1(VALU_DEP_1)
	v_add_co_u32 v12, s1, s4, v5
	v_add_co_ci_u32_e64 v14, s1, s5, v6, s1
	s_delay_alu instid0(VALU_DEP_3) | instskip(NEXT) | instid1(SALU_CYCLE_1)
	s_and_b32 s0, vcc_lo, s0
	s_and_saveexec_b32 s1, s0
	s_cbranch_execz .LBB89_5
; %bb.4:
	v_ashrrev_i32_e32 v5, 31, v4
	s_delay_alu instid0(VALU_DEP_1) | instskip(NEXT) | instid1(VALU_DEP_1)
	v_lshlrev_b64 v[5:6], 3, v[4:5]
	v_add_co_u32 v5, s0, v12, v5
	s_delay_alu instid0(VALU_DEP_1)
	v_add_co_ci_u32_e64 v6, s0, v14, v6, s0
	global_load_b64 v[15:16], v[5:6], off
	s_waitcnt vmcnt(0)
	v_add_f64 v[10:11], v[10:11], -v[15:16]
	global_store_b64 v[5:6], v[10:11], off
.LBB89_5:
	s_or_b32 exec_lo, exec_lo, s1
	v_add_nc_u32_e32 v6, 16, v4
	s_delay_alu instid0(VALU_DEP_1) | instskip(NEXT) | instid1(VALU_DEP_1)
	v_cmp_le_i32_e64 s0, v6, v13
	s_and_b32 s1, vcc_lo, s0
	s_delay_alu instid0(SALU_CYCLE_1)
	s_and_saveexec_b32 s0, s1
	s_cbranch_execz .LBB89_7
; %bb.6:
	v_ashrrev_i32_e32 v7, 31, v6
	s_delay_alu instid0(VALU_DEP_1) | instskip(NEXT) | instid1(VALU_DEP_1)
	v_lshlrev_b64 v[10:11], 3, v[6:7]
	v_add_co_u32 v10, vcc_lo, v12, v10
	s_delay_alu instid0(VALU_DEP_2)
	v_add_co_ci_u32_e32 v11, vcc_lo, v14, v11, vcc_lo
	global_load_b64 v[14:15], v[10:11], off
	s_waitcnt vmcnt(0)
	v_add_f64 v[7:8], v[8:9], -v[14:15]
	global_store_b64 v[10:11], v[7:8], off
.LBB89_7:
	s_or_b32 exec_lo, exec_lo, s0
	v_add_nc_u32_e32 v7, 16, v13
	s_delay_alu instid0(VALU_DEP_1) | instskip(SKIP_2) | instid1(VALU_DEP_1)
	v_mad_i64_i32 v[8:9], null, v7, s3, 0
	v_cmp_gt_i32_e32 vcc_lo, s2, v7
	v_cmp_le_i32_e64 s0, v4, v7
	s_and_b32 s0, vcc_lo, s0
	s_delay_alu instid0(VALU_DEP_3) | instskip(NEXT) | instid1(VALU_DEP_1)
	v_lshlrev_b64 v[8:9], 3, v[8:9]
	v_add_co_u32 v8, s1, s4, v8
	s_delay_alu instid0(VALU_DEP_1)
	v_add_co_ci_u32_e64 v9, s1, s5, v9, s1
	s_and_saveexec_b32 s1, s0
	s_cbranch_execz .LBB89_9
; %bb.8:
	v_ashrrev_i32_e32 v5, 31, v4
	s_delay_alu instid0(VALU_DEP_1) | instskip(NEXT) | instid1(VALU_DEP_1)
	v_lshlrev_b64 v[4:5], 3, v[4:5]
	v_add_co_u32 v4, s0, v8, v4
	s_delay_alu instid0(VALU_DEP_1)
	v_add_co_ci_u32_e64 v5, s0, v9, v5, s0
	global_load_b64 v[10:11], v[4:5], off
	s_waitcnt vmcnt(0)
	v_add_f64 v[2:3], v[2:3], -v[10:11]
	global_store_b64 v[4:5], v[2:3], off
.LBB89_9:
	s_or_b32 exec_lo, exec_lo, s1
	v_cmp_le_i32_e64 s0, v6, v7
	s_delay_alu instid0(VALU_DEP_1) | instskip(NEXT) | instid1(SALU_CYCLE_1)
	s_and_b32 s0, vcc_lo, s0
	s_and_saveexec_b32 s1, s0
	s_cbranch_execz .LBB89_11
; %bb.10:
	v_ashrrev_i32_e32 v7, 31, v6
	s_delay_alu instid0(VALU_DEP_1) | instskip(NEXT) | instid1(VALU_DEP_1)
	v_lshlrev_b64 v[2:3], 3, v[6:7]
	v_add_co_u32 v2, vcc_lo, v8, v2
	s_delay_alu instid0(VALU_DEP_2)
	v_add_co_ci_u32_e32 v3, vcc_lo, v9, v3, vcc_lo
	global_load_b64 v[4:5], v[2:3], off
	s_waitcnt vmcnt(0)
	v_add_f64 v[0:1], v[0:1], -v[4:5]
	global_store_b64 v[2:3], v[0:1], off
.LBB89_11:
	s_nop 0
	s_sendmsg sendmsg(MSG_DEALLOC_VGPRS)
	s_endpgm
	.section	.rodata,"a",@progbits
	.p2align	6, 0x0
	.amdhsa_kernel _ZL37rocblas_syrkx_herkx_restricted_kernelIidLi16ELi32ELi8ELi1ELin1ELb0ELc67ELc85EKddEviT_PT9_S1_lS3_S1_lPT10_S1_li
		.amdhsa_group_segment_fixed_size 4096
		.amdhsa_private_segment_fixed_size 0
		.amdhsa_kernarg_size 84
		.amdhsa_user_sgpr_count 13
		.amdhsa_user_sgpr_dispatch_ptr 0
		.amdhsa_user_sgpr_queue_ptr 0
		.amdhsa_user_sgpr_kernarg_segment_ptr 1
		.amdhsa_user_sgpr_dispatch_id 0
		.amdhsa_user_sgpr_private_segment_size 0
		.amdhsa_wavefront_size32 1
		.amdhsa_uses_dynamic_stack 0
		.amdhsa_enable_private_segment 0
		.amdhsa_system_sgpr_workgroup_id_x 1
		.amdhsa_system_sgpr_workgroup_id_y 1
		.amdhsa_system_sgpr_workgroup_id_z 1
		.amdhsa_system_sgpr_workgroup_info 0
		.amdhsa_system_vgpr_workitem_id 1
		.amdhsa_next_free_vgpr 38
		.amdhsa_next_free_sgpr 20
		.amdhsa_reserve_vcc 1
		.amdhsa_float_round_mode_32 0
		.amdhsa_float_round_mode_16_64 0
		.amdhsa_float_denorm_mode_32 3
		.amdhsa_float_denorm_mode_16_64 3
		.amdhsa_dx10_clamp 1
		.amdhsa_ieee_mode 1
		.amdhsa_fp16_overflow 0
		.amdhsa_workgroup_processor_mode 1
		.amdhsa_memory_ordered 1
		.amdhsa_forward_progress 0
		.amdhsa_shared_vgpr_count 0
		.amdhsa_exception_fp_ieee_invalid_op 0
		.amdhsa_exception_fp_denorm_src 0
		.amdhsa_exception_fp_ieee_div_zero 0
		.amdhsa_exception_fp_ieee_overflow 0
		.amdhsa_exception_fp_ieee_underflow 0
		.amdhsa_exception_fp_ieee_inexact 0
		.amdhsa_exception_int_div_zero 0
	.end_amdhsa_kernel
	.section	.text._ZL37rocblas_syrkx_herkx_restricted_kernelIidLi16ELi32ELi8ELi1ELin1ELb0ELc67ELc85EKddEviT_PT9_S1_lS3_S1_lPT10_S1_li,"axG",@progbits,_ZL37rocblas_syrkx_herkx_restricted_kernelIidLi16ELi32ELi8ELi1ELin1ELb0ELc67ELc85EKddEviT_PT9_S1_lS3_S1_lPT10_S1_li,comdat
.Lfunc_end89:
	.size	_ZL37rocblas_syrkx_herkx_restricted_kernelIidLi16ELi32ELi8ELi1ELin1ELb0ELc67ELc85EKddEviT_PT9_S1_lS3_S1_lPT10_S1_li, .Lfunc_end89-_ZL37rocblas_syrkx_herkx_restricted_kernelIidLi16ELi32ELi8ELi1ELin1ELb0ELc67ELc85EKddEviT_PT9_S1_lS3_S1_lPT10_S1_li
                                        ; -- End function
	.section	.AMDGPU.csdata,"",@progbits
; Kernel info:
; codeLenInByte = 1444
; NumSgprs: 22
; NumVgprs: 38
; ScratchSize: 0
; MemoryBound: 0
; FloatMode: 240
; IeeeMode: 1
; LDSByteSize: 4096 bytes/workgroup (compile time only)
; SGPRBlocks: 2
; VGPRBlocks: 4
; NumSGPRsForWavesPerEU: 22
; NumVGPRsForWavesPerEU: 38
; Occupancy: 16
; WaveLimiterHint : 0
; COMPUTE_PGM_RSRC2:SCRATCH_EN: 0
; COMPUTE_PGM_RSRC2:USER_SGPR: 13
; COMPUTE_PGM_RSRC2:TRAP_HANDLER: 0
; COMPUTE_PGM_RSRC2:TGID_X_EN: 1
; COMPUTE_PGM_RSRC2:TGID_Y_EN: 1
; COMPUTE_PGM_RSRC2:TGID_Z_EN: 1
; COMPUTE_PGM_RSRC2:TIDIG_COMP_CNT: 1
	.section	.text._ZL37rocblas_syrkx_herkx_restricted_kernelIidLi16ELi32ELi8ELi1ELin1ELb0ELc78ELc85EKddEviT_PT9_S1_lS3_S1_lPT10_S1_li,"axG",@progbits,_ZL37rocblas_syrkx_herkx_restricted_kernelIidLi16ELi32ELi8ELi1ELin1ELb0ELc78ELc85EKddEviT_PT9_S1_lS3_S1_lPT10_S1_li,comdat
	.globl	_ZL37rocblas_syrkx_herkx_restricted_kernelIidLi16ELi32ELi8ELi1ELin1ELb0ELc78ELc85EKddEviT_PT9_S1_lS3_S1_lPT10_S1_li ; -- Begin function _ZL37rocblas_syrkx_herkx_restricted_kernelIidLi16ELi32ELi8ELi1ELin1ELb0ELc78ELc85EKddEviT_PT9_S1_lS3_S1_lPT10_S1_li
	.p2align	8
	.type	_ZL37rocblas_syrkx_herkx_restricted_kernelIidLi16ELi32ELi8ELi1ELin1ELb0ELc78ELc85EKddEviT_PT9_S1_lS3_S1_lPT10_S1_li,@function
_ZL37rocblas_syrkx_herkx_restricted_kernelIidLi16ELi32ELi8ELi1ELin1ELb0ELc78ELc85EKddEviT_PT9_S1_lS3_S1_lPT10_S1_li: ; @_ZL37rocblas_syrkx_herkx_restricted_kernelIidLi16ELi32ELi8ELi1ELin1ELb0ELc78ELc85EKddEviT_PT9_S1_lS3_S1_lPT10_S1_li
; %bb.0:
	s_clause 0x1
	s_load_b64 s[2:3], s[0:1], 0x0
	s_load_b128 s[4:7], s[0:1], 0x30
	v_mov_b32_e32 v10, 0
	v_dual_mov_b32 v11, 0 :: v_dual_and_b32 v12, 0x3ff, v0
	v_bfe_u32 v13, v0, 10, 10
	s_delay_alu instid0(VALU_DEP_3) | instskip(NEXT) | instid1(VALU_DEP_3)
	v_mov_b32_e32 v8, v10
	v_dual_mov_b32 v2, v10 :: v_dual_mov_b32 v3, v11
	v_dual_mov_b32 v9, v11 :: v_dual_mov_b32 v0, v10
	v_mov_b32_e32 v1, v11
	s_lshl_b32 s12, s13, 5
	s_lshl_b32 s13, s14, 5
	s_mov_b32 s14, 0
	s_waitcnt lgkmcnt(0)
	s_cmp_lt_i32 s3, 1
	s_cbranch_scc1 .LBB90_3
; %bb.1:
	s_clause 0x1
	s_load_b32 s16, s[0:1], 0x10
	s_load_b32 s18, s[0:1], 0x28
	v_lshl_add_u32 v0, v13, 4, v12
	v_and_b32_e32 v4, 7, v12
	s_clause 0x1
	s_load_b128 s[8:11], s[0:1], 0x18
	s_load_b64 s[20:21], s[0:1], 0x8
	s_mul_i32 s5, s5, s15
	v_lshrrev_b32_e32 v1, 3, v0
	v_and_b32_e32 v2, 31, v0
	v_lshrrev_b32_e32 v5, 5, v0
	v_lshlrev_b32_e32 v3, 3, v4
	v_lshlrev_b32_e32 v16, 3, v12
	v_add_nc_u32_e32 v0, s13, v1
	v_lshlrev_b32_e32 v6, 3, v2
	v_add_nc_u32_e32 v2, s12, v2
	v_lshl_or_b32 v8, v1, 6, v3
	v_lshl_add_u32 v17, v13, 6, 0x800
	v_ashrrev_i32_e32 v1, 31, v0
	v_lshl_or_b32 v14, v5, 8, v6
	v_ashrrev_i32_e32 v3, 31, v2
	s_waitcnt lgkmcnt(0)
	s_ashr_i32 s17, s16, 31
	s_ashr_i32 s19, s18, 31
	v_mad_i64_i32 v[6:7], null, s18, v4, v[0:1]
	v_mad_i64_i32 v[0:1], null, s16, v5, v[2:3]
	s_mul_i32 s9, s9, s15
	s_mul_hi_u32 s22, s8, s15
	s_mul_i32 s8, s8, s15
	s_add_i32 s9, s22, s9
	s_delay_alu instid0(VALU_DEP_2) | instskip(SKIP_1) | instid1(VALU_DEP_2)
	v_lshlrev_b64 v[2:3], 3, v[6:7]
	s_lshl_b64 s[8:9], s[8:9], 3
	v_lshlrev_b64 v[0:1], 3, v[0:1]
	s_add_u32 s8, s20, s8
	s_mul_hi_u32 s20, s4, s15
	s_addc_u32 s9, s21, s9
	s_add_i32 s5, s20, s5
	s_mul_i32 s4, s4, s15
	v_add_co_u32 v4, vcc_lo, s8, v0
	v_add_co_ci_u32_e32 v5, vcc_lo, s9, v1, vcc_lo
	s_lshl_b64 s[8:9], s[4:5], 3
	v_mov_b32_e32 v0, 0
	s_lshl_b64 s[4:5], s[16:17], 6
	v_mov_b32_e32 v1, 0
	s_add_u32 s8, s10, s8
	s_addc_u32 s9, s11, s9
	v_add_co_u32 v6, vcc_lo, s8, v2
	s_delay_alu instid0(VALU_DEP_2)
	v_mov_b32_e32 v11, v1
	v_add_nc_u32_e32 v15, 0x800, v8
	v_add_co_ci_u32_e32 v7, vcc_lo, s9, v3, vcc_lo
	v_dual_mov_b32 v3, v1 :: v_dual_mov_b32 v2, v0
	v_dual_mov_b32 v9, v1 :: v_dual_mov_b32 v8, v0
	v_mov_b32_e32 v10, v0
	s_lshl_b64 s[8:9], s[18:19], 6
.LBB90_2:                               ; =>This Inner Loop Header: Depth=1
	global_load_b64 v[18:19], v[4:5], off
	global_load_b64 v[20:21], v[6:7], off
	v_add_co_u32 v4, vcc_lo, v4, s4
	v_add_co_ci_u32_e32 v5, vcc_lo, s5, v5, vcc_lo
	v_add_co_u32 v6, vcc_lo, v6, s8
	v_add_co_ci_u32_e32 v7, vcc_lo, s9, v7, vcc_lo
	s_add_i32 s14, s14, 8
	s_waitcnt vmcnt(1)
	ds_store_b64 v14, v[18:19]
	s_waitcnt vmcnt(0)
	ds_store_b64 v15, v[20:21]
	s_waitcnt lgkmcnt(0)
	s_barrier
	buffer_gl0_inv
	ds_load_2addr_b64 v[18:21], v16 offset1:16
	ds_load_b128 v[22:25], v17
	ds_load_b128 v[26:29], v17 offset:1024
	ds_load_b128 v[30:33], v17 offset:16
	;; [unrolled: 1-line block ×3, first 2 shown]
	s_cmp_ge_i32 s14, s3
	s_waitcnt lgkmcnt(3)
	v_fma_f64 v[10:11], v[18:19], v[22:23], v[10:11]
	v_fma_f64 v[8:9], v[20:21], v[22:23], v[8:9]
	s_waitcnt lgkmcnt(2)
	v_fma_f64 v[18:19], v[18:19], v[26:27], v[2:3]
	v_fma_f64 v[20:21], v[20:21], v[26:27], v[0:1]
	ds_load_2addr_b64 v[0:3], v16 offset0:32 offset1:48
	s_waitcnt lgkmcnt(0)
	v_fma_f64 v[10:11], v[0:1], v[24:25], v[10:11]
	v_fma_f64 v[8:9], v[2:3], v[24:25], v[8:9]
	v_fma_f64 v[18:19], v[0:1], v[28:29], v[18:19]
	v_fma_f64 v[20:21], v[2:3], v[28:29], v[20:21]
	ds_load_2addr_b64 v[0:3], v16 offset0:64 offset1:80
	s_waitcnt lgkmcnt(0)
	v_fma_f64 v[10:11], v[0:1], v[30:31], v[10:11]
	v_fma_f64 v[8:9], v[2:3], v[30:31], v[8:9]
	v_fma_f64 v[18:19], v[0:1], v[34:35], v[18:19]
	v_fma_f64 v[20:21], v[2:3], v[34:35], v[20:21]
	ds_load_2addr_b64 v[0:3], v16 offset0:96 offset1:112
	s_waitcnt lgkmcnt(0)
	v_fma_f64 v[30:31], v[0:1], v[32:33], v[10:11]
	v_fma_f64 v[32:33], v[2:3], v[32:33], v[8:9]
	v_fma_f64 v[34:35], v[0:1], v[36:37], v[18:19]
	v_fma_f64 v[36:37], v[2:3], v[36:37], v[20:21]
	ds_load_2addr_b64 v[0:3], v16 offset0:128 offset1:144
	ds_load_b128 v[8:11], v17 offset:32
	ds_load_b128 v[18:21], v17 offset:1056
	ds_load_b128 v[22:25], v17 offset:48
	ds_load_b128 v[26:29], v17 offset:1072
	s_waitcnt lgkmcnt(3)
	v_fma_f64 v[30:31], v[0:1], v[8:9], v[30:31]
	v_fma_f64 v[8:9], v[2:3], v[8:9], v[32:33]
	s_waitcnt lgkmcnt(2)
	v_fma_f64 v[32:33], v[0:1], v[18:19], v[34:35]
	v_fma_f64 v[18:19], v[2:3], v[18:19], v[36:37]
	ds_load_2addr_b64 v[0:3], v16 offset0:160 offset1:176
	s_waitcnt lgkmcnt(0)
	v_fma_f64 v[30:31], v[0:1], v[10:11], v[30:31]
	v_fma_f64 v[8:9], v[2:3], v[10:11], v[8:9]
	;; [unrolled: 1-line block ×4, first 2 shown]
	ds_load_2addr_b64 v[0:3], v16 offset0:192 offset1:208
	s_waitcnt lgkmcnt(0)
	v_fma_f64 v[30:31], v[0:1], v[22:23], v[30:31]
	v_fma_f64 v[8:9], v[2:3], v[22:23], v[8:9]
	;; [unrolled: 1-line block ×4, first 2 shown]
	ds_load_2addr_b64 v[18:21], v16 offset0:224 offset1:240
	s_waitcnt lgkmcnt(0)
	s_barrier
	buffer_gl0_inv
	v_fma_f64 v[10:11], v[18:19], v[24:25], v[30:31]
	v_fma_f64 v[8:9], v[20:21], v[24:25], v[8:9]
	;; [unrolled: 1-line block ×4, first 2 shown]
	s_cbranch_scc0 .LBB90_2
.LBB90_3:
	s_clause 0x1
	s_load_b32 s3, s[0:1], 0x40
	s_load_b64 s[0:1], s[0:1], 0x48
	v_add_nc_u32_e32 v13, s13, v13
	v_add_nc_u32_e32 v4, s12, v12
	s_delay_alu instid0(VALU_DEP_2)
	v_cmp_gt_i32_e32 vcc_lo, s2, v13
	s_waitcnt lgkmcnt(0)
	v_mad_i64_i32 v[5:6], null, v13, s3, 0
	s_mul_i32 s1, s15, s1
	s_mul_hi_u32 s4, s15, s0
	s_mul_i32 s0, s15, s0
	s_add_i32 s1, s4, s1
	s_delay_alu instid0(SALU_CYCLE_1) | instskip(NEXT) | instid1(VALU_DEP_1)
	s_lshl_b64 s[4:5], s[0:1], 3
	v_lshlrev_b64 v[5:6], 3, v[5:6]
	s_add_u32 s4, s6, s4
	v_cmp_le_i32_e64 s0, v4, v13
	s_addc_u32 s5, s7, s5
	s_delay_alu instid0(VALU_DEP_2) | instskip(NEXT) | instid1(VALU_DEP_1)
	v_add_co_u32 v12, s1, s4, v5
	v_add_co_ci_u32_e64 v14, s1, s5, v6, s1
	s_delay_alu instid0(VALU_DEP_3) | instskip(NEXT) | instid1(SALU_CYCLE_1)
	s_and_b32 s0, vcc_lo, s0
	s_and_saveexec_b32 s1, s0
	s_cbranch_execz .LBB90_5
; %bb.4:
	v_ashrrev_i32_e32 v5, 31, v4
	s_delay_alu instid0(VALU_DEP_1) | instskip(NEXT) | instid1(VALU_DEP_1)
	v_lshlrev_b64 v[5:6], 3, v[4:5]
	v_add_co_u32 v5, s0, v12, v5
	s_delay_alu instid0(VALU_DEP_1)
	v_add_co_ci_u32_e64 v6, s0, v14, v6, s0
	global_load_b64 v[15:16], v[5:6], off
	s_waitcnt vmcnt(0)
	v_add_f64 v[10:11], v[10:11], -v[15:16]
	global_store_b64 v[5:6], v[10:11], off
.LBB90_5:
	s_or_b32 exec_lo, exec_lo, s1
	v_add_nc_u32_e32 v6, 16, v4
	s_delay_alu instid0(VALU_DEP_1) | instskip(NEXT) | instid1(VALU_DEP_1)
	v_cmp_le_i32_e64 s0, v6, v13
	s_and_b32 s1, vcc_lo, s0
	s_delay_alu instid0(SALU_CYCLE_1)
	s_and_saveexec_b32 s0, s1
	s_cbranch_execz .LBB90_7
; %bb.6:
	v_ashrrev_i32_e32 v7, 31, v6
	s_delay_alu instid0(VALU_DEP_1) | instskip(NEXT) | instid1(VALU_DEP_1)
	v_lshlrev_b64 v[10:11], 3, v[6:7]
	v_add_co_u32 v10, vcc_lo, v12, v10
	s_delay_alu instid0(VALU_DEP_2)
	v_add_co_ci_u32_e32 v11, vcc_lo, v14, v11, vcc_lo
	global_load_b64 v[14:15], v[10:11], off
	s_waitcnt vmcnt(0)
	v_add_f64 v[7:8], v[8:9], -v[14:15]
	global_store_b64 v[10:11], v[7:8], off
.LBB90_7:
	s_or_b32 exec_lo, exec_lo, s0
	v_add_nc_u32_e32 v7, 16, v13
	s_delay_alu instid0(VALU_DEP_1) | instskip(SKIP_2) | instid1(VALU_DEP_1)
	v_mad_i64_i32 v[8:9], null, v7, s3, 0
	v_cmp_gt_i32_e32 vcc_lo, s2, v7
	v_cmp_le_i32_e64 s0, v4, v7
	s_and_b32 s0, vcc_lo, s0
	s_delay_alu instid0(VALU_DEP_3) | instskip(NEXT) | instid1(VALU_DEP_1)
	v_lshlrev_b64 v[8:9], 3, v[8:9]
	v_add_co_u32 v8, s1, s4, v8
	s_delay_alu instid0(VALU_DEP_1)
	v_add_co_ci_u32_e64 v9, s1, s5, v9, s1
	s_and_saveexec_b32 s1, s0
	s_cbranch_execz .LBB90_9
; %bb.8:
	v_ashrrev_i32_e32 v5, 31, v4
	s_delay_alu instid0(VALU_DEP_1) | instskip(NEXT) | instid1(VALU_DEP_1)
	v_lshlrev_b64 v[4:5], 3, v[4:5]
	v_add_co_u32 v4, s0, v8, v4
	s_delay_alu instid0(VALU_DEP_1)
	v_add_co_ci_u32_e64 v5, s0, v9, v5, s0
	global_load_b64 v[10:11], v[4:5], off
	s_waitcnt vmcnt(0)
	v_add_f64 v[2:3], v[2:3], -v[10:11]
	global_store_b64 v[4:5], v[2:3], off
.LBB90_9:
	s_or_b32 exec_lo, exec_lo, s1
	v_cmp_le_i32_e64 s0, v6, v7
	s_delay_alu instid0(VALU_DEP_1) | instskip(NEXT) | instid1(SALU_CYCLE_1)
	s_and_b32 s0, vcc_lo, s0
	s_and_saveexec_b32 s1, s0
	s_cbranch_execz .LBB90_11
; %bb.10:
	v_ashrrev_i32_e32 v7, 31, v6
	s_delay_alu instid0(VALU_DEP_1) | instskip(NEXT) | instid1(VALU_DEP_1)
	v_lshlrev_b64 v[2:3], 3, v[6:7]
	v_add_co_u32 v2, vcc_lo, v8, v2
	s_delay_alu instid0(VALU_DEP_2)
	v_add_co_ci_u32_e32 v3, vcc_lo, v9, v3, vcc_lo
	global_load_b64 v[4:5], v[2:3], off
	s_waitcnt vmcnt(0)
	v_add_f64 v[0:1], v[0:1], -v[4:5]
	global_store_b64 v[2:3], v[0:1], off
.LBB90_11:
	s_nop 0
	s_sendmsg sendmsg(MSG_DEALLOC_VGPRS)
	s_endpgm
	.section	.rodata,"a",@progbits
	.p2align	6, 0x0
	.amdhsa_kernel _ZL37rocblas_syrkx_herkx_restricted_kernelIidLi16ELi32ELi8ELi1ELin1ELb0ELc78ELc85EKddEviT_PT9_S1_lS3_S1_lPT10_S1_li
		.amdhsa_group_segment_fixed_size 4096
		.amdhsa_private_segment_fixed_size 0
		.amdhsa_kernarg_size 84
		.amdhsa_user_sgpr_count 13
		.amdhsa_user_sgpr_dispatch_ptr 0
		.amdhsa_user_sgpr_queue_ptr 0
		.amdhsa_user_sgpr_kernarg_segment_ptr 1
		.amdhsa_user_sgpr_dispatch_id 0
		.amdhsa_user_sgpr_private_segment_size 0
		.amdhsa_wavefront_size32 1
		.amdhsa_uses_dynamic_stack 0
		.amdhsa_enable_private_segment 0
		.amdhsa_system_sgpr_workgroup_id_x 1
		.amdhsa_system_sgpr_workgroup_id_y 1
		.amdhsa_system_sgpr_workgroup_id_z 1
		.amdhsa_system_sgpr_workgroup_info 0
		.amdhsa_system_vgpr_workitem_id 1
		.amdhsa_next_free_vgpr 38
		.amdhsa_next_free_sgpr 23
		.amdhsa_reserve_vcc 1
		.amdhsa_float_round_mode_32 0
		.amdhsa_float_round_mode_16_64 0
		.amdhsa_float_denorm_mode_32 3
		.amdhsa_float_denorm_mode_16_64 3
		.amdhsa_dx10_clamp 1
		.amdhsa_ieee_mode 1
		.amdhsa_fp16_overflow 0
		.amdhsa_workgroup_processor_mode 1
		.amdhsa_memory_ordered 1
		.amdhsa_forward_progress 0
		.amdhsa_shared_vgpr_count 0
		.amdhsa_exception_fp_ieee_invalid_op 0
		.amdhsa_exception_fp_denorm_src 0
		.amdhsa_exception_fp_ieee_div_zero 0
		.amdhsa_exception_fp_ieee_overflow 0
		.amdhsa_exception_fp_ieee_underflow 0
		.amdhsa_exception_fp_ieee_inexact 0
		.amdhsa_exception_int_div_zero 0
	.end_amdhsa_kernel
	.section	.text._ZL37rocblas_syrkx_herkx_restricted_kernelIidLi16ELi32ELi8ELi1ELin1ELb0ELc78ELc85EKddEviT_PT9_S1_lS3_S1_lPT10_S1_li,"axG",@progbits,_ZL37rocblas_syrkx_herkx_restricted_kernelIidLi16ELi32ELi8ELi1ELin1ELb0ELc78ELc85EKddEviT_PT9_S1_lS3_S1_lPT10_S1_li,comdat
.Lfunc_end90:
	.size	_ZL37rocblas_syrkx_herkx_restricted_kernelIidLi16ELi32ELi8ELi1ELin1ELb0ELc78ELc85EKddEviT_PT9_S1_lS3_S1_lPT10_S1_li, .Lfunc_end90-_ZL37rocblas_syrkx_herkx_restricted_kernelIidLi16ELi32ELi8ELi1ELin1ELb0ELc78ELc85EKddEviT_PT9_S1_lS3_S1_lPT10_S1_li
                                        ; -- End function
	.section	.AMDGPU.csdata,"",@progbits
; Kernel info:
; codeLenInByte = 1456
; NumSgprs: 25
; NumVgprs: 38
; ScratchSize: 0
; MemoryBound: 0
; FloatMode: 240
; IeeeMode: 1
; LDSByteSize: 4096 bytes/workgroup (compile time only)
; SGPRBlocks: 3
; VGPRBlocks: 4
; NumSGPRsForWavesPerEU: 25
; NumVGPRsForWavesPerEU: 38
; Occupancy: 16
; WaveLimiterHint : 0
; COMPUTE_PGM_RSRC2:SCRATCH_EN: 0
; COMPUTE_PGM_RSRC2:USER_SGPR: 13
; COMPUTE_PGM_RSRC2:TRAP_HANDLER: 0
; COMPUTE_PGM_RSRC2:TGID_X_EN: 1
; COMPUTE_PGM_RSRC2:TGID_Y_EN: 1
; COMPUTE_PGM_RSRC2:TGID_Z_EN: 1
; COMPUTE_PGM_RSRC2:TIDIG_COMP_CNT: 1
	.section	.text._ZL37rocblas_syrkx_herkx_restricted_kernelIidLi16ELi32ELi8ELi1ELi0ELb0ELc84ELc76EKddEviT_PT9_S1_lS3_S1_lPT10_S1_li,"axG",@progbits,_ZL37rocblas_syrkx_herkx_restricted_kernelIidLi16ELi32ELi8ELi1ELi0ELb0ELc84ELc76EKddEviT_PT9_S1_lS3_S1_lPT10_S1_li,comdat
	.globl	_ZL37rocblas_syrkx_herkx_restricted_kernelIidLi16ELi32ELi8ELi1ELi0ELb0ELc84ELc76EKddEviT_PT9_S1_lS3_S1_lPT10_S1_li ; -- Begin function _ZL37rocblas_syrkx_herkx_restricted_kernelIidLi16ELi32ELi8ELi1ELi0ELb0ELc84ELc76EKddEviT_PT9_S1_lS3_S1_lPT10_S1_li
	.p2align	8
	.type	_ZL37rocblas_syrkx_herkx_restricted_kernelIidLi16ELi32ELi8ELi1ELi0ELb0ELc84ELc76EKddEviT_PT9_S1_lS3_S1_lPT10_S1_li,@function
_ZL37rocblas_syrkx_herkx_restricted_kernelIidLi16ELi32ELi8ELi1ELi0ELb0ELc84ELc76EKddEviT_PT9_S1_lS3_S1_lPT10_S1_li: ; @_ZL37rocblas_syrkx_herkx_restricted_kernelIidLi16ELi32ELi8ELi1ELi0ELb0ELc84ELc76EKddEviT_PT9_S1_lS3_S1_lPT10_S1_li
; %bb.0:
	s_clause 0x1
	s_load_b64 s[2:3], s[0:1], 0x0
	s_load_b128 s[4:7], s[0:1], 0x30
	v_mov_b32_e32 v10, 0
	v_dual_mov_b32 v11, 0 :: v_dual_and_b32 v12, 0x3ff, v0
	v_bfe_u32 v13, v0, 10, 10
	s_delay_alu instid0(VALU_DEP_3) | instskip(NEXT) | instid1(VALU_DEP_3)
	v_mov_b32_e32 v8, v10
	v_dual_mov_b32 v2, v10 :: v_dual_mov_b32 v3, v11
	v_dual_mov_b32 v9, v11 :: v_dual_mov_b32 v0, v10
	v_mov_b32_e32 v1, v11
	s_lshl_b32 s12, s13, 5
	s_lshl_b32 s13, s14, 5
	s_mov_b32 s14, 0
	s_waitcnt lgkmcnt(0)
	s_cmp_lt_i32 s3, 1
	s_cbranch_scc1 .LBB91_3
; %bb.1:
	s_clause 0x1
	s_load_b32 s18, s[0:1], 0x10
	s_load_b128 s[8:11], s[0:1], 0x18
	v_lshl_add_u32 v2, v13, 4, v12
	v_dual_mov_b32 v1, 0 :: v_dual_and_b32 v0, 7, v12
	s_clause 0x1
	s_load_b64 s[16:17], s[0:1], 0x8
	s_load_b32 s19, s[0:1], 0x28
	v_lshlrev_b32_e32 v14, 3, v12
	v_lshrrev_b32_e32 v4, 3, v2
	v_and_b32_e32 v5, 31, v2
	v_lshlrev_b32_e32 v3, 3, v0
	v_lshrrev_b32_e32 v2, 5, v2
	s_mul_i32 s5, s5, s15
	v_add_nc_u32_e32 v9, s13, v4
	v_add_nc_u32_e32 v8, s12, v5
	v_lshl_or_b32 v7, v4, 6, v3
	v_dual_mov_b32 v3, v1 :: v_dual_lshlrev_b32 v6, 3, v5
	v_lshl_add_u32 v17, v13, 6, 0x800
	s_waitcnt lgkmcnt(0)
	s_delay_alu instid0(VALU_DEP_2) | instskip(NEXT) | instid1(VALU_DEP_3)
	v_mad_i64_i32 v[4:5], null, s18, v8, v[2:3]
	v_lshl_or_b32 v15, v2, 8, v6
	s_mul_i32 s9, s9, s15
	s_mul_hi_u32 s18, s8, s15
	v_mad_i64_i32 v[2:3], null, s19, v9, v[0:1]
	s_mul_i32 s8, s8, s15
	s_add_i32 s9, s18, s9
	s_delay_alu instid0(VALU_DEP_3) | instskip(SKIP_1) | instid1(SALU_CYCLE_1)
	v_lshlrev_b64 v[0:1], 3, v[4:5]
	s_lshl_b64 s[8:9], s[8:9], 3
	s_add_u32 s8, s16, s8
	s_mul_hi_u32 s16, s4, s15
	s_addc_u32 s9, s17, s9
	s_add_i32 s5, s16, s5
	s_mul_i32 s4, s4, s15
	v_lshlrev_b64 v[2:3], 3, v[2:3]
	v_add_co_u32 v4, vcc_lo, s8, v0
	s_lshl_b64 s[4:5], s[4:5], 3
	v_add_co_ci_u32_e32 v5, vcc_lo, s9, v1, vcc_lo
	v_mov_b32_e32 v0, 0
	v_mov_b32_e32 v1, 0
	s_add_u32 s4, s10, s4
	s_addc_u32 s5, s11, s5
	v_add_co_u32 v6, vcc_lo, s4, v2
	s_delay_alu instid0(VALU_DEP_2)
	v_dual_mov_b32 v9, v1 :: v_dual_add_nc_u32 v16, 0x800, v7
	v_add_co_ci_u32_e32 v7, vcc_lo, s5, v3, vcc_lo
	v_dual_mov_b32 v3, v1 :: v_dual_mov_b32 v2, v0
	v_dual_mov_b32 v8, v0 :: v_dual_mov_b32 v11, v1
	v_mov_b32_e32 v10, v0
.LBB91_2:                               ; =>This Inner Loop Header: Depth=1
	global_load_b64 v[18:19], v[4:5], off
	global_load_b64 v[20:21], v[6:7], off
	v_add_co_u32 v4, vcc_lo, v4, 64
	v_add_co_ci_u32_e32 v5, vcc_lo, 0, v5, vcc_lo
	v_add_co_u32 v6, vcc_lo, v6, 64
	v_add_co_ci_u32_e32 v7, vcc_lo, 0, v7, vcc_lo
	s_add_i32 s14, s14, 8
	s_waitcnt vmcnt(1)
	ds_store_b64 v15, v[18:19]
	s_waitcnt vmcnt(0)
	ds_store_b64 v16, v[20:21]
	s_waitcnt lgkmcnt(0)
	s_barrier
	buffer_gl0_inv
	ds_load_2addr_b64 v[18:21], v14 offset1:16
	ds_load_b128 v[22:25], v17
	ds_load_b128 v[26:29], v17 offset:1024
	ds_load_b128 v[30:33], v17 offset:16
	;; [unrolled: 1-line block ×3, first 2 shown]
	s_cmp_ge_i32 s14, s3
	s_waitcnt lgkmcnt(3)
	v_fma_f64 v[10:11], v[18:19], v[22:23], v[10:11]
	v_fma_f64 v[8:9], v[20:21], v[22:23], v[8:9]
	s_waitcnt lgkmcnt(2)
	v_fma_f64 v[18:19], v[18:19], v[26:27], v[2:3]
	v_fma_f64 v[20:21], v[20:21], v[26:27], v[0:1]
	ds_load_2addr_b64 v[0:3], v14 offset0:32 offset1:48
	s_waitcnt lgkmcnt(0)
	v_fma_f64 v[10:11], v[0:1], v[24:25], v[10:11]
	v_fma_f64 v[8:9], v[2:3], v[24:25], v[8:9]
	v_fma_f64 v[18:19], v[0:1], v[28:29], v[18:19]
	v_fma_f64 v[20:21], v[2:3], v[28:29], v[20:21]
	ds_load_2addr_b64 v[0:3], v14 offset0:64 offset1:80
	s_waitcnt lgkmcnt(0)
	v_fma_f64 v[10:11], v[0:1], v[30:31], v[10:11]
	v_fma_f64 v[8:9], v[2:3], v[30:31], v[8:9]
	;; [unrolled: 6-line block ×3, first 2 shown]
	v_fma_f64 v[34:35], v[0:1], v[36:37], v[18:19]
	v_fma_f64 v[36:37], v[2:3], v[36:37], v[20:21]
	ds_load_2addr_b64 v[0:3], v14 offset0:128 offset1:144
	ds_load_b128 v[8:11], v17 offset:32
	ds_load_b128 v[18:21], v17 offset:1056
	;; [unrolled: 1-line block ×4, first 2 shown]
	s_waitcnt lgkmcnt(3)
	v_fma_f64 v[30:31], v[0:1], v[8:9], v[30:31]
	v_fma_f64 v[8:9], v[2:3], v[8:9], v[32:33]
	s_waitcnt lgkmcnt(2)
	v_fma_f64 v[32:33], v[0:1], v[18:19], v[34:35]
	v_fma_f64 v[18:19], v[2:3], v[18:19], v[36:37]
	ds_load_2addr_b64 v[0:3], v14 offset0:160 offset1:176
	s_waitcnt lgkmcnt(0)
	v_fma_f64 v[30:31], v[0:1], v[10:11], v[30:31]
	v_fma_f64 v[8:9], v[2:3], v[10:11], v[8:9]
	;; [unrolled: 1-line block ×4, first 2 shown]
	ds_load_2addr_b64 v[0:3], v14 offset0:192 offset1:208
	s_waitcnt lgkmcnt(0)
	v_fma_f64 v[30:31], v[0:1], v[22:23], v[30:31]
	v_fma_f64 v[8:9], v[2:3], v[22:23], v[8:9]
	v_fma_f64 v[0:1], v[0:1], v[26:27], v[10:11]
	v_fma_f64 v[22:23], v[2:3], v[26:27], v[18:19]
	ds_load_2addr_b64 v[18:21], v14 offset0:224 offset1:240
	s_waitcnt lgkmcnt(0)
	s_barrier
	buffer_gl0_inv
	v_fma_f64 v[10:11], v[18:19], v[24:25], v[30:31]
	v_fma_f64 v[8:9], v[20:21], v[24:25], v[8:9]
	v_fma_f64 v[2:3], v[18:19], v[28:29], v[0:1]
	v_fma_f64 v[0:1], v[20:21], v[28:29], v[22:23]
	s_cbranch_scc0 .LBB91_2
.LBB91_3:
	s_clause 0x1
	s_load_b32 s3, s[0:1], 0x40
	s_load_b64 s[4:5], s[0:1], 0x48
	v_add_nc_u32_e32 v13, s13, v13
	v_add_nc_u32_e32 v4, s12, v12
	s_delay_alu instid0(VALU_DEP_1)
	v_cmp_le_i32_e64 s0, v13, v4
	v_cmp_gt_i32_e32 vcc_lo, s2, v4
	s_waitcnt lgkmcnt(0)
	v_mad_i64_i32 v[5:6], null, v13, s3, 0
	s_mul_i32 s1, s15, s5
	s_mul_hi_u32 s5, s15, s4
	s_mul_i32 s4, s15, s4
	s_add_i32 s5, s5, s1
	s_delay_alu instid0(SALU_CYCLE_1) | instskip(NEXT) | instid1(VALU_DEP_1)
	s_lshl_b64 s[4:5], s[4:5], 3
	v_lshlrev_b64 v[5:6], 3, v[5:6]
	s_add_u32 s4, s6, s4
	s_addc_u32 s5, s7, s5
	s_and_b32 s0, s0, vcc_lo
	s_delay_alu instid0(VALU_DEP_1) | instskip(NEXT) | instid1(VALU_DEP_1)
	v_add_co_u32 v12, s1, s4, v5
	v_add_co_ci_u32_e64 v14, s1, s5, v6, s1
	s_and_saveexec_b32 s1, s0
	s_cbranch_execz .LBB91_5
; %bb.4:
	v_ashrrev_i32_e32 v5, 31, v4
	s_delay_alu instid0(VALU_DEP_1) | instskip(NEXT) | instid1(VALU_DEP_1)
	v_lshlrev_b64 v[5:6], 3, v[4:5]
	v_add_co_u32 v5, s0, v12, v5
	s_delay_alu instid0(VALU_DEP_1)
	v_add_co_ci_u32_e64 v6, s0, v14, v6, s0
	global_store_b64 v[5:6], v[10:11], off
.LBB91_5:
	s_or_b32 exec_lo, exec_lo, s1
	v_add_nc_u32_e32 v6, 16, v4
	s_delay_alu instid0(VALU_DEP_1) | instskip(SKIP_1) | instid1(VALU_DEP_1)
	v_cmp_le_i32_e64 s1, v13, v6
	v_cmp_gt_i32_e64 s0, s2, v6
	s_and_b32 s1, s1, s0
	s_delay_alu instid0(SALU_CYCLE_1)
	s_and_saveexec_b32 s2, s1
	s_cbranch_execz .LBB91_7
; %bb.6:
	v_ashrrev_i32_e32 v7, 31, v6
	s_delay_alu instid0(VALU_DEP_1) | instskip(NEXT) | instid1(VALU_DEP_1)
	v_lshlrev_b64 v[10:11], 3, v[6:7]
	v_add_co_u32 v10, s1, v12, v10
	s_delay_alu instid0(VALU_DEP_1)
	v_add_co_ci_u32_e64 v11, s1, v14, v11, s1
	global_store_b64 v[10:11], v[8:9], off
.LBB91_7:
	s_or_b32 exec_lo, exec_lo, s2
	v_add_nc_u32_e32 v7, 16, v13
	s_delay_alu instid0(VALU_DEP_1) | instskip(SKIP_1) | instid1(VALU_DEP_2)
	v_mad_i64_i32 v[8:9], null, v7, s3, 0
	v_cmp_le_i32_e64 s1, v7, v4
	v_lshlrev_b64 v[8:9], 3, v[8:9]
	s_delay_alu instid0(VALU_DEP_1) | instskip(NEXT) | instid1(VALU_DEP_1)
	v_add_co_u32 v8, s2, s4, v8
	v_add_co_ci_u32_e64 v9, s2, s5, v9, s2
	s_delay_alu instid0(VALU_DEP_4) | instskip(NEXT) | instid1(SALU_CYCLE_1)
	s_and_b32 s2, s1, vcc_lo
	s_and_saveexec_b32 s1, s2
	s_cbranch_execz .LBB91_9
; %bb.8:
	v_ashrrev_i32_e32 v5, 31, v4
	s_delay_alu instid0(VALU_DEP_1) | instskip(NEXT) | instid1(VALU_DEP_1)
	v_lshlrev_b64 v[4:5], 3, v[4:5]
	v_add_co_u32 v4, vcc_lo, v8, v4
	s_delay_alu instid0(VALU_DEP_2)
	v_add_co_ci_u32_e32 v5, vcc_lo, v9, v5, vcc_lo
	global_store_b64 v[4:5], v[2:3], off
.LBB91_9:
	s_or_b32 exec_lo, exec_lo, s1
	v_cmp_le_i32_e32 vcc_lo, v7, v6
	s_and_b32 s0, vcc_lo, s0
	s_delay_alu instid0(SALU_CYCLE_1)
	s_and_saveexec_b32 s1, s0
	s_cbranch_execz .LBB91_11
; %bb.10:
	v_ashrrev_i32_e32 v7, 31, v6
	s_delay_alu instid0(VALU_DEP_1) | instskip(NEXT) | instid1(VALU_DEP_1)
	v_lshlrev_b64 v[2:3], 3, v[6:7]
	v_add_co_u32 v2, vcc_lo, v8, v2
	s_delay_alu instid0(VALU_DEP_2)
	v_add_co_ci_u32_e32 v3, vcc_lo, v9, v3, vcc_lo
	global_store_b64 v[2:3], v[0:1], off
.LBB91_11:
	s_nop 0
	s_sendmsg sendmsg(MSG_DEALLOC_VGPRS)
	s_endpgm
	.section	.rodata,"a",@progbits
	.p2align	6, 0x0
	.amdhsa_kernel _ZL37rocblas_syrkx_herkx_restricted_kernelIidLi16ELi32ELi8ELi1ELi0ELb0ELc84ELc76EKddEviT_PT9_S1_lS3_S1_lPT10_S1_li
		.amdhsa_group_segment_fixed_size 4096
		.amdhsa_private_segment_fixed_size 0
		.amdhsa_kernarg_size 84
		.amdhsa_user_sgpr_count 13
		.amdhsa_user_sgpr_dispatch_ptr 0
		.amdhsa_user_sgpr_queue_ptr 0
		.amdhsa_user_sgpr_kernarg_segment_ptr 1
		.amdhsa_user_sgpr_dispatch_id 0
		.amdhsa_user_sgpr_private_segment_size 0
		.amdhsa_wavefront_size32 1
		.amdhsa_uses_dynamic_stack 0
		.amdhsa_enable_private_segment 0
		.amdhsa_system_sgpr_workgroup_id_x 1
		.amdhsa_system_sgpr_workgroup_id_y 1
		.amdhsa_system_sgpr_workgroup_id_z 1
		.amdhsa_system_sgpr_workgroup_info 0
		.amdhsa_system_vgpr_workitem_id 1
		.amdhsa_next_free_vgpr 38
		.amdhsa_next_free_sgpr 20
		.amdhsa_reserve_vcc 1
		.amdhsa_float_round_mode_32 0
		.amdhsa_float_round_mode_16_64 0
		.amdhsa_float_denorm_mode_32 3
		.amdhsa_float_denorm_mode_16_64 3
		.amdhsa_dx10_clamp 1
		.amdhsa_ieee_mode 1
		.amdhsa_fp16_overflow 0
		.amdhsa_workgroup_processor_mode 1
		.amdhsa_memory_ordered 1
		.amdhsa_forward_progress 0
		.amdhsa_shared_vgpr_count 0
		.amdhsa_exception_fp_ieee_invalid_op 0
		.amdhsa_exception_fp_denorm_src 0
		.amdhsa_exception_fp_ieee_div_zero 0
		.amdhsa_exception_fp_ieee_overflow 0
		.amdhsa_exception_fp_ieee_underflow 0
		.amdhsa_exception_fp_ieee_inexact 0
		.amdhsa_exception_int_div_zero 0
	.end_amdhsa_kernel
	.section	.text._ZL37rocblas_syrkx_herkx_restricted_kernelIidLi16ELi32ELi8ELi1ELi0ELb0ELc84ELc76EKddEviT_PT9_S1_lS3_S1_lPT10_S1_li,"axG",@progbits,_ZL37rocblas_syrkx_herkx_restricted_kernelIidLi16ELi32ELi8ELi1ELi0ELb0ELc84ELc76EKddEviT_PT9_S1_lS3_S1_lPT10_S1_li,comdat
.Lfunc_end91:
	.size	_ZL37rocblas_syrkx_herkx_restricted_kernelIidLi16ELi32ELi8ELi1ELi0ELb0ELc84ELc76EKddEviT_PT9_S1_lS3_S1_lPT10_S1_li, .Lfunc_end91-_ZL37rocblas_syrkx_herkx_restricted_kernelIidLi16ELi32ELi8ELi1ELi0ELb0ELc84ELc76EKddEviT_PT9_S1_lS3_S1_lPT10_S1_li
                                        ; -- End function
	.section	.AMDGPU.csdata,"",@progbits
; Kernel info:
; codeLenInByte = 1360
; NumSgprs: 22
; NumVgprs: 38
; ScratchSize: 0
; MemoryBound: 0
; FloatMode: 240
; IeeeMode: 1
; LDSByteSize: 4096 bytes/workgroup (compile time only)
; SGPRBlocks: 2
; VGPRBlocks: 4
; NumSGPRsForWavesPerEU: 22
; NumVGPRsForWavesPerEU: 38
; Occupancy: 16
; WaveLimiterHint : 0
; COMPUTE_PGM_RSRC2:SCRATCH_EN: 0
; COMPUTE_PGM_RSRC2:USER_SGPR: 13
; COMPUTE_PGM_RSRC2:TRAP_HANDLER: 0
; COMPUTE_PGM_RSRC2:TGID_X_EN: 1
; COMPUTE_PGM_RSRC2:TGID_Y_EN: 1
; COMPUTE_PGM_RSRC2:TGID_Z_EN: 1
; COMPUTE_PGM_RSRC2:TIDIG_COMP_CNT: 1
	.section	.text._ZL37rocblas_syrkx_herkx_restricted_kernelIidLi16ELi32ELi8ELi1ELi0ELb0ELc67ELc76EKddEviT_PT9_S1_lS3_S1_lPT10_S1_li,"axG",@progbits,_ZL37rocblas_syrkx_herkx_restricted_kernelIidLi16ELi32ELi8ELi1ELi0ELb0ELc67ELc76EKddEviT_PT9_S1_lS3_S1_lPT10_S1_li,comdat
	.globl	_ZL37rocblas_syrkx_herkx_restricted_kernelIidLi16ELi32ELi8ELi1ELi0ELb0ELc67ELc76EKddEviT_PT9_S1_lS3_S1_lPT10_S1_li ; -- Begin function _ZL37rocblas_syrkx_herkx_restricted_kernelIidLi16ELi32ELi8ELi1ELi0ELb0ELc67ELc76EKddEviT_PT9_S1_lS3_S1_lPT10_S1_li
	.p2align	8
	.type	_ZL37rocblas_syrkx_herkx_restricted_kernelIidLi16ELi32ELi8ELi1ELi0ELb0ELc67ELc76EKddEviT_PT9_S1_lS3_S1_lPT10_S1_li,@function
_ZL37rocblas_syrkx_herkx_restricted_kernelIidLi16ELi32ELi8ELi1ELi0ELb0ELc67ELc76EKddEviT_PT9_S1_lS3_S1_lPT10_S1_li: ; @_ZL37rocblas_syrkx_herkx_restricted_kernelIidLi16ELi32ELi8ELi1ELi0ELb0ELc67ELc76EKddEviT_PT9_S1_lS3_S1_lPT10_S1_li
; %bb.0:
	s_clause 0x1
	s_load_b64 s[2:3], s[0:1], 0x0
	s_load_b128 s[4:7], s[0:1], 0x30
	v_mov_b32_e32 v10, 0
	v_dual_mov_b32 v11, 0 :: v_dual_and_b32 v12, 0x3ff, v0
	v_bfe_u32 v13, v0, 10, 10
	s_delay_alu instid0(VALU_DEP_3) | instskip(NEXT) | instid1(VALU_DEP_3)
	v_mov_b32_e32 v8, v10
	v_dual_mov_b32 v2, v10 :: v_dual_mov_b32 v3, v11
	v_dual_mov_b32 v9, v11 :: v_dual_mov_b32 v0, v10
	v_mov_b32_e32 v1, v11
	s_lshl_b32 s12, s13, 5
	s_lshl_b32 s13, s14, 5
	s_mov_b32 s14, 0
	s_waitcnt lgkmcnt(0)
	s_cmp_lt_i32 s3, 1
	s_cbranch_scc1 .LBB92_3
; %bb.1:
	s_clause 0x1
	s_load_b32 s18, s[0:1], 0x10
	s_load_b128 s[8:11], s[0:1], 0x18
	v_lshl_add_u32 v2, v13, 4, v12
	v_dual_mov_b32 v1, 0 :: v_dual_and_b32 v0, 7, v12
	s_clause 0x1
	s_load_b64 s[16:17], s[0:1], 0x8
	s_load_b32 s19, s[0:1], 0x28
	v_lshlrev_b32_e32 v14, 3, v12
	v_lshrrev_b32_e32 v4, 3, v2
	v_and_b32_e32 v5, 31, v2
	v_lshlrev_b32_e32 v3, 3, v0
	v_lshrrev_b32_e32 v2, 5, v2
	s_mul_i32 s5, s5, s15
	v_add_nc_u32_e32 v9, s13, v4
	v_add_nc_u32_e32 v8, s12, v5
	v_lshl_or_b32 v7, v4, 6, v3
	v_dual_mov_b32 v3, v1 :: v_dual_lshlrev_b32 v6, 3, v5
	v_lshl_add_u32 v17, v13, 6, 0x800
	s_waitcnt lgkmcnt(0)
	s_delay_alu instid0(VALU_DEP_2) | instskip(NEXT) | instid1(VALU_DEP_3)
	v_mad_i64_i32 v[4:5], null, s18, v8, v[2:3]
	v_lshl_or_b32 v15, v2, 8, v6
	s_mul_i32 s9, s9, s15
	s_mul_hi_u32 s18, s8, s15
	v_mad_i64_i32 v[2:3], null, s19, v9, v[0:1]
	s_mul_i32 s8, s8, s15
	s_add_i32 s9, s18, s9
	s_delay_alu instid0(VALU_DEP_3) | instskip(SKIP_1) | instid1(SALU_CYCLE_1)
	v_lshlrev_b64 v[0:1], 3, v[4:5]
	s_lshl_b64 s[8:9], s[8:9], 3
	s_add_u32 s8, s16, s8
	s_mul_hi_u32 s16, s4, s15
	s_addc_u32 s9, s17, s9
	s_add_i32 s5, s16, s5
	s_mul_i32 s4, s4, s15
	v_lshlrev_b64 v[2:3], 3, v[2:3]
	v_add_co_u32 v4, vcc_lo, s8, v0
	s_lshl_b64 s[4:5], s[4:5], 3
	v_add_co_ci_u32_e32 v5, vcc_lo, s9, v1, vcc_lo
	v_mov_b32_e32 v0, 0
	v_mov_b32_e32 v1, 0
	s_add_u32 s4, s10, s4
	s_addc_u32 s5, s11, s5
	v_add_co_u32 v6, vcc_lo, s4, v2
	s_delay_alu instid0(VALU_DEP_2)
	v_dual_mov_b32 v9, v1 :: v_dual_add_nc_u32 v16, 0x800, v7
	v_add_co_ci_u32_e32 v7, vcc_lo, s5, v3, vcc_lo
	v_dual_mov_b32 v3, v1 :: v_dual_mov_b32 v2, v0
	v_dual_mov_b32 v8, v0 :: v_dual_mov_b32 v11, v1
	v_mov_b32_e32 v10, v0
.LBB92_2:                               ; =>This Inner Loop Header: Depth=1
	global_load_b64 v[18:19], v[4:5], off
	global_load_b64 v[20:21], v[6:7], off
	v_add_co_u32 v4, vcc_lo, v4, 64
	v_add_co_ci_u32_e32 v5, vcc_lo, 0, v5, vcc_lo
	v_add_co_u32 v6, vcc_lo, v6, 64
	v_add_co_ci_u32_e32 v7, vcc_lo, 0, v7, vcc_lo
	s_add_i32 s14, s14, 8
	s_waitcnt vmcnt(1)
	ds_store_b64 v15, v[18:19]
	s_waitcnt vmcnt(0)
	ds_store_b64 v16, v[20:21]
	s_waitcnt lgkmcnt(0)
	s_barrier
	buffer_gl0_inv
	ds_load_2addr_b64 v[18:21], v14 offset1:16
	ds_load_b128 v[22:25], v17
	ds_load_b128 v[26:29], v17 offset:1024
	ds_load_b128 v[30:33], v17 offset:16
	;; [unrolled: 1-line block ×3, first 2 shown]
	s_cmp_ge_i32 s14, s3
	s_waitcnt lgkmcnt(3)
	v_fma_f64 v[10:11], v[18:19], v[22:23], v[10:11]
	v_fma_f64 v[8:9], v[20:21], v[22:23], v[8:9]
	s_waitcnt lgkmcnt(2)
	v_fma_f64 v[18:19], v[18:19], v[26:27], v[2:3]
	v_fma_f64 v[20:21], v[20:21], v[26:27], v[0:1]
	ds_load_2addr_b64 v[0:3], v14 offset0:32 offset1:48
	s_waitcnt lgkmcnt(0)
	v_fma_f64 v[10:11], v[0:1], v[24:25], v[10:11]
	v_fma_f64 v[8:9], v[2:3], v[24:25], v[8:9]
	v_fma_f64 v[18:19], v[0:1], v[28:29], v[18:19]
	v_fma_f64 v[20:21], v[2:3], v[28:29], v[20:21]
	ds_load_2addr_b64 v[0:3], v14 offset0:64 offset1:80
	s_waitcnt lgkmcnt(0)
	v_fma_f64 v[10:11], v[0:1], v[30:31], v[10:11]
	v_fma_f64 v[8:9], v[2:3], v[30:31], v[8:9]
	;; [unrolled: 6-line block ×3, first 2 shown]
	v_fma_f64 v[34:35], v[0:1], v[36:37], v[18:19]
	v_fma_f64 v[36:37], v[2:3], v[36:37], v[20:21]
	ds_load_2addr_b64 v[0:3], v14 offset0:128 offset1:144
	ds_load_b128 v[8:11], v17 offset:32
	ds_load_b128 v[18:21], v17 offset:1056
	ds_load_b128 v[22:25], v17 offset:48
	ds_load_b128 v[26:29], v17 offset:1072
	s_waitcnt lgkmcnt(3)
	v_fma_f64 v[30:31], v[0:1], v[8:9], v[30:31]
	v_fma_f64 v[8:9], v[2:3], v[8:9], v[32:33]
	s_waitcnt lgkmcnt(2)
	v_fma_f64 v[32:33], v[0:1], v[18:19], v[34:35]
	v_fma_f64 v[18:19], v[2:3], v[18:19], v[36:37]
	ds_load_2addr_b64 v[0:3], v14 offset0:160 offset1:176
	s_waitcnt lgkmcnt(0)
	v_fma_f64 v[30:31], v[0:1], v[10:11], v[30:31]
	v_fma_f64 v[8:9], v[2:3], v[10:11], v[8:9]
	;; [unrolled: 1-line block ×4, first 2 shown]
	ds_load_2addr_b64 v[0:3], v14 offset0:192 offset1:208
	s_waitcnt lgkmcnt(0)
	v_fma_f64 v[30:31], v[0:1], v[22:23], v[30:31]
	v_fma_f64 v[8:9], v[2:3], v[22:23], v[8:9]
	;; [unrolled: 1-line block ×4, first 2 shown]
	ds_load_2addr_b64 v[18:21], v14 offset0:224 offset1:240
	s_waitcnt lgkmcnt(0)
	s_barrier
	buffer_gl0_inv
	v_fma_f64 v[10:11], v[18:19], v[24:25], v[30:31]
	v_fma_f64 v[8:9], v[20:21], v[24:25], v[8:9]
	v_fma_f64 v[2:3], v[18:19], v[28:29], v[0:1]
	v_fma_f64 v[0:1], v[20:21], v[28:29], v[22:23]
	s_cbranch_scc0 .LBB92_2
.LBB92_3:
	s_clause 0x1
	s_load_b32 s3, s[0:1], 0x40
	s_load_b64 s[4:5], s[0:1], 0x48
	v_add_nc_u32_e32 v13, s13, v13
	v_add_nc_u32_e32 v4, s12, v12
	s_delay_alu instid0(VALU_DEP_1)
	v_cmp_le_i32_e64 s0, v13, v4
	v_cmp_gt_i32_e32 vcc_lo, s2, v4
	s_waitcnt lgkmcnt(0)
	v_mad_i64_i32 v[5:6], null, v13, s3, 0
	s_mul_i32 s1, s15, s5
	s_mul_hi_u32 s5, s15, s4
	s_mul_i32 s4, s15, s4
	s_add_i32 s5, s5, s1
	s_delay_alu instid0(SALU_CYCLE_1) | instskip(NEXT) | instid1(VALU_DEP_1)
	s_lshl_b64 s[4:5], s[4:5], 3
	v_lshlrev_b64 v[5:6], 3, v[5:6]
	s_add_u32 s4, s6, s4
	s_addc_u32 s5, s7, s5
	s_and_b32 s0, s0, vcc_lo
	s_delay_alu instid0(VALU_DEP_1) | instskip(NEXT) | instid1(VALU_DEP_1)
	v_add_co_u32 v12, s1, s4, v5
	v_add_co_ci_u32_e64 v14, s1, s5, v6, s1
	s_and_saveexec_b32 s1, s0
	s_cbranch_execz .LBB92_5
; %bb.4:
	v_ashrrev_i32_e32 v5, 31, v4
	s_delay_alu instid0(VALU_DEP_1) | instskip(NEXT) | instid1(VALU_DEP_1)
	v_lshlrev_b64 v[5:6], 3, v[4:5]
	v_add_co_u32 v5, s0, v12, v5
	s_delay_alu instid0(VALU_DEP_1)
	v_add_co_ci_u32_e64 v6, s0, v14, v6, s0
	global_store_b64 v[5:6], v[10:11], off
.LBB92_5:
	s_or_b32 exec_lo, exec_lo, s1
	v_add_nc_u32_e32 v6, 16, v4
	s_delay_alu instid0(VALU_DEP_1) | instskip(SKIP_1) | instid1(VALU_DEP_1)
	v_cmp_le_i32_e64 s1, v13, v6
	v_cmp_gt_i32_e64 s0, s2, v6
	s_and_b32 s1, s1, s0
	s_delay_alu instid0(SALU_CYCLE_1)
	s_and_saveexec_b32 s2, s1
	s_cbranch_execz .LBB92_7
; %bb.6:
	v_ashrrev_i32_e32 v7, 31, v6
	s_delay_alu instid0(VALU_DEP_1) | instskip(NEXT) | instid1(VALU_DEP_1)
	v_lshlrev_b64 v[10:11], 3, v[6:7]
	v_add_co_u32 v10, s1, v12, v10
	s_delay_alu instid0(VALU_DEP_1)
	v_add_co_ci_u32_e64 v11, s1, v14, v11, s1
	global_store_b64 v[10:11], v[8:9], off
.LBB92_7:
	s_or_b32 exec_lo, exec_lo, s2
	v_add_nc_u32_e32 v7, 16, v13
	s_delay_alu instid0(VALU_DEP_1) | instskip(SKIP_1) | instid1(VALU_DEP_2)
	v_mad_i64_i32 v[8:9], null, v7, s3, 0
	v_cmp_le_i32_e64 s1, v7, v4
	v_lshlrev_b64 v[8:9], 3, v[8:9]
	s_delay_alu instid0(VALU_DEP_1) | instskip(NEXT) | instid1(VALU_DEP_1)
	v_add_co_u32 v8, s2, s4, v8
	v_add_co_ci_u32_e64 v9, s2, s5, v9, s2
	s_delay_alu instid0(VALU_DEP_4) | instskip(NEXT) | instid1(SALU_CYCLE_1)
	s_and_b32 s2, s1, vcc_lo
	s_and_saveexec_b32 s1, s2
	s_cbranch_execz .LBB92_9
; %bb.8:
	v_ashrrev_i32_e32 v5, 31, v4
	s_delay_alu instid0(VALU_DEP_1) | instskip(NEXT) | instid1(VALU_DEP_1)
	v_lshlrev_b64 v[4:5], 3, v[4:5]
	v_add_co_u32 v4, vcc_lo, v8, v4
	s_delay_alu instid0(VALU_DEP_2)
	v_add_co_ci_u32_e32 v5, vcc_lo, v9, v5, vcc_lo
	global_store_b64 v[4:5], v[2:3], off
.LBB92_9:
	s_or_b32 exec_lo, exec_lo, s1
	v_cmp_le_i32_e32 vcc_lo, v7, v6
	s_and_b32 s0, vcc_lo, s0
	s_delay_alu instid0(SALU_CYCLE_1)
	s_and_saveexec_b32 s1, s0
	s_cbranch_execz .LBB92_11
; %bb.10:
	v_ashrrev_i32_e32 v7, 31, v6
	s_delay_alu instid0(VALU_DEP_1) | instskip(NEXT) | instid1(VALU_DEP_1)
	v_lshlrev_b64 v[2:3], 3, v[6:7]
	v_add_co_u32 v2, vcc_lo, v8, v2
	s_delay_alu instid0(VALU_DEP_2)
	v_add_co_ci_u32_e32 v3, vcc_lo, v9, v3, vcc_lo
	global_store_b64 v[2:3], v[0:1], off
.LBB92_11:
	s_nop 0
	s_sendmsg sendmsg(MSG_DEALLOC_VGPRS)
	s_endpgm
	.section	.rodata,"a",@progbits
	.p2align	6, 0x0
	.amdhsa_kernel _ZL37rocblas_syrkx_herkx_restricted_kernelIidLi16ELi32ELi8ELi1ELi0ELb0ELc67ELc76EKddEviT_PT9_S1_lS3_S1_lPT10_S1_li
		.amdhsa_group_segment_fixed_size 4096
		.amdhsa_private_segment_fixed_size 0
		.amdhsa_kernarg_size 84
		.amdhsa_user_sgpr_count 13
		.amdhsa_user_sgpr_dispatch_ptr 0
		.amdhsa_user_sgpr_queue_ptr 0
		.amdhsa_user_sgpr_kernarg_segment_ptr 1
		.amdhsa_user_sgpr_dispatch_id 0
		.amdhsa_user_sgpr_private_segment_size 0
		.amdhsa_wavefront_size32 1
		.amdhsa_uses_dynamic_stack 0
		.amdhsa_enable_private_segment 0
		.amdhsa_system_sgpr_workgroup_id_x 1
		.amdhsa_system_sgpr_workgroup_id_y 1
		.amdhsa_system_sgpr_workgroup_id_z 1
		.amdhsa_system_sgpr_workgroup_info 0
		.amdhsa_system_vgpr_workitem_id 1
		.amdhsa_next_free_vgpr 38
		.amdhsa_next_free_sgpr 20
		.amdhsa_reserve_vcc 1
		.amdhsa_float_round_mode_32 0
		.amdhsa_float_round_mode_16_64 0
		.amdhsa_float_denorm_mode_32 3
		.amdhsa_float_denorm_mode_16_64 3
		.amdhsa_dx10_clamp 1
		.amdhsa_ieee_mode 1
		.amdhsa_fp16_overflow 0
		.amdhsa_workgroup_processor_mode 1
		.amdhsa_memory_ordered 1
		.amdhsa_forward_progress 0
		.amdhsa_shared_vgpr_count 0
		.amdhsa_exception_fp_ieee_invalid_op 0
		.amdhsa_exception_fp_denorm_src 0
		.amdhsa_exception_fp_ieee_div_zero 0
		.amdhsa_exception_fp_ieee_overflow 0
		.amdhsa_exception_fp_ieee_underflow 0
		.amdhsa_exception_fp_ieee_inexact 0
		.amdhsa_exception_int_div_zero 0
	.end_amdhsa_kernel
	.section	.text._ZL37rocblas_syrkx_herkx_restricted_kernelIidLi16ELi32ELi8ELi1ELi0ELb0ELc67ELc76EKddEviT_PT9_S1_lS3_S1_lPT10_S1_li,"axG",@progbits,_ZL37rocblas_syrkx_herkx_restricted_kernelIidLi16ELi32ELi8ELi1ELi0ELb0ELc67ELc76EKddEviT_PT9_S1_lS3_S1_lPT10_S1_li,comdat
.Lfunc_end92:
	.size	_ZL37rocblas_syrkx_herkx_restricted_kernelIidLi16ELi32ELi8ELi1ELi0ELb0ELc67ELc76EKddEviT_PT9_S1_lS3_S1_lPT10_S1_li, .Lfunc_end92-_ZL37rocblas_syrkx_herkx_restricted_kernelIidLi16ELi32ELi8ELi1ELi0ELb0ELc67ELc76EKddEviT_PT9_S1_lS3_S1_lPT10_S1_li
                                        ; -- End function
	.section	.AMDGPU.csdata,"",@progbits
; Kernel info:
; codeLenInByte = 1360
; NumSgprs: 22
; NumVgprs: 38
; ScratchSize: 0
; MemoryBound: 0
; FloatMode: 240
; IeeeMode: 1
; LDSByteSize: 4096 bytes/workgroup (compile time only)
; SGPRBlocks: 2
; VGPRBlocks: 4
; NumSGPRsForWavesPerEU: 22
; NumVGPRsForWavesPerEU: 38
; Occupancy: 16
; WaveLimiterHint : 0
; COMPUTE_PGM_RSRC2:SCRATCH_EN: 0
; COMPUTE_PGM_RSRC2:USER_SGPR: 13
; COMPUTE_PGM_RSRC2:TRAP_HANDLER: 0
; COMPUTE_PGM_RSRC2:TGID_X_EN: 1
; COMPUTE_PGM_RSRC2:TGID_Y_EN: 1
; COMPUTE_PGM_RSRC2:TGID_Z_EN: 1
; COMPUTE_PGM_RSRC2:TIDIG_COMP_CNT: 1
	.section	.text._ZL37rocblas_syrkx_herkx_restricted_kernelIidLi16ELi32ELi8ELi1ELi0ELb0ELc78ELc76EKddEviT_PT9_S1_lS3_S1_lPT10_S1_li,"axG",@progbits,_ZL37rocblas_syrkx_herkx_restricted_kernelIidLi16ELi32ELi8ELi1ELi0ELb0ELc78ELc76EKddEviT_PT9_S1_lS3_S1_lPT10_S1_li,comdat
	.globl	_ZL37rocblas_syrkx_herkx_restricted_kernelIidLi16ELi32ELi8ELi1ELi0ELb0ELc78ELc76EKddEviT_PT9_S1_lS3_S1_lPT10_S1_li ; -- Begin function _ZL37rocblas_syrkx_herkx_restricted_kernelIidLi16ELi32ELi8ELi1ELi0ELb0ELc78ELc76EKddEviT_PT9_S1_lS3_S1_lPT10_S1_li
	.p2align	8
	.type	_ZL37rocblas_syrkx_herkx_restricted_kernelIidLi16ELi32ELi8ELi1ELi0ELb0ELc78ELc76EKddEviT_PT9_S1_lS3_S1_lPT10_S1_li,@function
_ZL37rocblas_syrkx_herkx_restricted_kernelIidLi16ELi32ELi8ELi1ELi0ELb0ELc78ELc76EKddEviT_PT9_S1_lS3_S1_lPT10_S1_li: ; @_ZL37rocblas_syrkx_herkx_restricted_kernelIidLi16ELi32ELi8ELi1ELi0ELb0ELc78ELc76EKddEviT_PT9_S1_lS3_S1_lPT10_S1_li
; %bb.0:
	s_clause 0x1
	s_load_b64 s[2:3], s[0:1], 0x0
	s_load_b128 s[4:7], s[0:1], 0x30
	v_mov_b32_e32 v10, 0
	v_dual_mov_b32 v11, 0 :: v_dual_and_b32 v12, 0x3ff, v0
	v_bfe_u32 v13, v0, 10, 10
	s_delay_alu instid0(VALU_DEP_3) | instskip(NEXT) | instid1(VALU_DEP_3)
	v_mov_b32_e32 v8, v10
	v_dual_mov_b32 v2, v10 :: v_dual_mov_b32 v3, v11
	v_dual_mov_b32 v9, v11 :: v_dual_mov_b32 v0, v10
	v_mov_b32_e32 v1, v11
	s_lshl_b32 s12, s13, 5
	s_lshl_b32 s13, s14, 5
	s_mov_b32 s14, 0
	s_waitcnt lgkmcnt(0)
	s_cmp_lt_i32 s3, 1
	s_cbranch_scc1 .LBB93_3
; %bb.1:
	s_clause 0x1
	s_load_b32 s16, s[0:1], 0x10
	s_load_b32 s18, s[0:1], 0x28
	v_lshl_add_u32 v0, v13, 4, v12
	v_and_b32_e32 v4, 7, v12
	s_clause 0x1
	s_load_b128 s[8:11], s[0:1], 0x18
	s_load_b64 s[20:21], s[0:1], 0x8
	s_mul_i32 s5, s5, s15
	v_lshrrev_b32_e32 v1, 3, v0
	v_and_b32_e32 v2, 31, v0
	v_lshrrev_b32_e32 v5, 5, v0
	v_lshlrev_b32_e32 v3, 3, v4
	v_lshlrev_b32_e32 v16, 3, v12
	v_add_nc_u32_e32 v0, s13, v1
	v_lshlrev_b32_e32 v6, 3, v2
	v_add_nc_u32_e32 v2, s12, v2
	v_lshl_or_b32 v8, v1, 6, v3
	v_lshl_add_u32 v17, v13, 6, 0x800
	v_ashrrev_i32_e32 v1, 31, v0
	v_lshl_or_b32 v14, v5, 8, v6
	v_ashrrev_i32_e32 v3, 31, v2
	s_waitcnt lgkmcnt(0)
	s_ashr_i32 s17, s16, 31
	s_ashr_i32 s19, s18, 31
	v_mad_i64_i32 v[6:7], null, s18, v4, v[0:1]
	v_mad_i64_i32 v[0:1], null, s16, v5, v[2:3]
	s_mul_i32 s9, s9, s15
	s_mul_hi_u32 s22, s8, s15
	s_mul_i32 s8, s8, s15
	s_add_i32 s9, s22, s9
	s_delay_alu instid0(VALU_DEP_2) | instskip(SKIP_1) | instid1(VALU_DEP_2)
	v_lshlrev_b64 v[2:3], 3, v[6:7]
	s_lshl_b64 s[8:9], s[8:9], 3
	v_lshlrev_b64 v[0:1], 3, v[0:1]
	s_add_u32 s8, s20, s8
	s_mul_hi_u32 s20, s4, s15
	s_addc_u32 s9, s21, s9
	s_add_i32 s5, s20, s5
	s_mul_i32 s4, s4, s15
	v_add_co_u32 v4, vcc_lo, s8, v0
	v_add_co_ci_u32_e32 v5, vcc_lo, s9, v1, vcc_lo
	s_lshl_b64 s[8:9], s[4:5], 3
	v_mov_b32_e32 v0, 0
	s_lshl_b64 s[4:5], s[16:17], 6
	v_mov_b32_e32 v1, 0
	s_add_u32 s8, s10, s8
	s_addc_u32 s9, s11, s9
	v_add_co_u32 v6, vcc_lo, s8, v2
	s_delay_alu instid0(VALU_DEP_2)
	v_mov_b32_e32 v11, v1
	v_add_nc_u32_e32 v15, 0x800, v8
	v_add_co_ci_u32_e32 v7, vcc_lo, s9, v3, vcc_lo
	v_dual_mov_b32 v3, v1 :: v_dual_mov_b32 v2, v0
	v_dual_mov_b32 v9, v1 :: v_dual_mov_b32 v8, v0
	v_mov_b32_e32 v10, v0
	s_lshl_b64 s[8:9], s[18:19], 6
.LBB93_2:                               ; =>This Inner Loop Header: Depth=1
	global_load_b64 v[18:19], v[4:5], off
	global_load_b64 v[20:21], v[6:7], off
	v_add_co_u32 v4, vcc_lo, v4, s4
	v_add_co_ci_u32_e32 v5, vcc_lo, s5, v5, vcc_lo
	v_add_co_u32 v6, vcc_lo, v6, s8
	v_add_co_ci_u32_e32 v7, vcc_lo, s9, v7, vcc_lo
	s_add_i32 s14, s14, 8
	s_waitcnt vmcnt(1)
	ds_store_b64 v14, v[18:19]
	s_waitcnt vmcnt(0)
	ds_store_b64 v15, v[20:21]
	s_waitcnt lgkmcnt(0)
	s_barrier
	buffer_gl0_inv
	ds_load_2addr_b64 v[18:21], v16 offset1:16
	ds_load_b128 v[22:25], v17
	ds_load_b128 v[26:29], v17 offset:1024
	ds_load_b128 v[30:33], v17 offset:16
	;; [unrolled: 1-line block ×3, first 2 shown]
	s_cmp_ge_i32 s14, s3
	s_waitcnt lgkmcnt(3)
	v_fma_f64 v[10:11], v[18:19], v[22:23], v[10:11]
	v_fma_f64 v[8:9], v[20:21], v[22:23], v[8:9]
	s_waitcnt lgkmcnt(2)
	v_fma_f64 v[18:19], v[18:19], v[26:27], v[2:3]
	v_fma_f64 v[20:21], v[20:21], v[26:27], v[0:1]
	ds_load_2addr_b64 v[0:3], v16 offset0:32 offset1:48
	s_waitcnt lgkmcnt(0)
	v_fma_f64 v[10:11], v[0:1], v[24:25], v[10:11]
	v_fma_f64 v[8:9], v[2:3], v[24:25], v[8:9]
	v_fma_f64 v[18:19], v[0:1], v[28:29], v[18:19]
	v_fma_f64 v[20:21], v[2:3], v[28:29], v[20:21]
	ds_load_2addr_b64 v[0:3], v16 offset0:64 offset1:80
	s_waitcnt lgkmcnt(0)
	v_fma_f64 v[10:11], v[0:1], v[30:31], v[10:11]
	v_fma_f64 v[8:9], v[2:3], v[30:31], v[8:9]
	;; [unrolled: 6-line block ×3, first 2 shown]
	v_fma_f64 v[34:35], v[0:1], v[36:37], v[18:19]
	v_fma_f64 v[36:37], v[2:3], v[36:37], v[20:21]
	ds_load_2addr_b64 v[0:3], v16 offset0:128 offset1:144
	ds_load_b128 v[8:11], v17 offset:32
	ds_load_b128 v[18:21], v17 offset:1056
	;; [unrolled: 1-line block ×4, first 2 shown]
	s_waitcnt lgkmcnt(3)
	v_fma_f64 v[30:31], v[0:1], v[8:9], v[30:31]
	v_fma_f64 v[8:9], v[2:3], v[8:9], v[32:33]
	s_waitcnt lgkmcnt(2)
	v_fma_f64 v[32:33], v[0:1], v[18:19], v[34:35]
	v_fma_f64 v[18:19], v[2:3], v[18:19], v[36:37]
	ds_load_2addr_b64 v[0:3], v16 offset0:160 offset1:176
	s_waitcnt lgkmcnt(0)
	v_fma_f64 v[30:31], v[0:1], v[10:11], v[30:31]
	v_fma_f64 v[8:9], v[2:3], v[10:11], v[8:9]
	;; [unrolled: 1-line block ×4, first 2 shown]
	ds_load_2addr_b64 v[0:3], v16 offset0:192 offset1:208
	s_waitcnt lgkmcnt(0)
	v_fma_f64 v[30:31], v[0:1], v[22:23], v[30:31]
	v_fma_f64 v[8:9], v[2:3], v[22:23], v[8:9]
	;; [unrolled: 1-line block ×4, first 2 shown]
	ds_load_2addr_b64 v[18:21], v16 offset0:224 offset1:240
	s_waitcnt lgkmcnt(0)
	s_barrier
	buffer_gl0_inv
	v_fma_f64 v[10:11], v[18:19], v[24:25], v[30:31]
	v_fma_f64 v[8:9], v[20:21], v[24:25], v[8:9]
	;; [unrolled: 1-line block ×4, first 2 shown]
	s_cbranch_scc0 .LBB93_2
.LBB93_3:
	s_clause 0x1
	s_load_b32 s3, s[0:1], 0x40
	s_load_b64 s[4:5], s[0:1], 0x48
	v_add_nc_u32_e32 v13, s13, v13
	v_add_nc_u32_e32 v4, s12, v12
	s_delay_alu instid0(VALU_DEP_1)
	v_cmp_le_i32_e64 s0, v13, v4
	v_cmp_gt_i32_e32 vcc_lo, s2, v4
	s_waitcnt lgkmcnt(0)
	v_mad_i64_i32 v[5:6], null, v13, s3, 0
	s_mul_i32 s1, s15, s5
	s_mul_hi_u32 s5, s15, s4
	s_mul_i32 s4, s15, s4
	s_add_i32 s5, s5, s1
	s_delay_alu instid0(SALU_CYCLE_1) | instskip(NEXT) | instid1(VALU_DEP_1)
	s_lshl_b64 s[4:5], s[4:5], 3
	v_lshlrev_b64 v[5:6], 3, v[5:6]
	s_add_u32 s4, s6, s4
	s_addc_u32 s5, s7, s5
	s_and_b32 s0, s0, vcc_lo
	s_delay_alu instid0(VALU_DEP_1) | instskip(NEXT) | instid1(VALU_DEP_1)
	v_add_co_u32 v12, s1, s4, v5
	v_add_co_ci_u32_e64 v14, s1, s5, v6, s1
	s_and_saveexec_b32 s1, s0
	s_cbranch_execz .LBB93_5
; %bb.4:
	v_ashrrev_i32_e32 v5, 31, v4
	s_delay_alu instid0(VALU_DEP_1) | instskip(NEXT) | instid1(VALU_DEP_1)
	v_lshlrev_b64 v[5:6], 3, v[4:5]
	v_add_co_u32 v5, s0, v12, v5
	s_delay_alu instid0(VALU_DEP_1)
	v_add_co_ci_u32_e64 v6, s0, v14, v6, s0
	global_store_b64 v[5:6], v[10:11], off
.LBB93_5:
	s_or_b32 exec_lo, exec_lo, s1
	v_add_nc_u32_e32 v6, 16, v4
	s_delay_alu instid0(VALU_DEP_1) | instskip(SKIP_1) | instid1(VALU_DEP_1)
	v_cmp_le_i32_e64 s1, v13, v6
	v_cmp_gt_i32_e64 s0, s2, v6
	s_and_b32 s1, s1, s0
	s_delay_alu instid0(SALU_CYCLE_1)
	s_and_saveexec_b32 s2, s1
	s_cbranch_execz .LBB93_7
; %bb.6:
	v_ashrrev_i32_e32 v7, 31, v6
	s_delay_alu instid0(VALU_DEP_1) | instskip(NEXT) | instid1(VALU_DEP_1)
	v_lshlrev_b64 v[10:11], 3, v[6:7]
	v_add_co_u32 v10, s1, v12, v10
	s_delay_alu instid0(VALU_DEP_1)
	v_add_co_ci_u32_e64 v11, s1, v14, v11, s1
	global_store_b64 v[10:11], v[8:9], off
.LBB93_7:
	s_or_b32 exec_lo, exec_lo, s2
	v_add_nc_u32_e32 v7, 16, v13
	s_delay_alu instid0(VALU_DEP_1) | instskip(SKIP_1) | instid1(VALU_DEP_2)
	v_mad_i64_i32 v[8:9], null, v7, s3, 0
	v_cmp_le_i32_e64 s1, v7, v4
	v_lshlrev_b64 v[8:9], 3, v[8:9]
	s_delay_alu instid0(VALU_DEP_1) | instskip(NEXT) | instid1(VALU_DEP_1)
	v_add_co_u32 v8, s2, s4, v8
	v_add_co_ci_u32_e64 v9, s2, s5, v9, s2
	s_delay_alu instid0(VALU_DEP_4) | instskip(NEXT) | instid1(SALU_CYCLE_1)
	s_and_b32 s2, s1, vcc_lo
	s_and_saveexec_b32 s1, s2
	s_cbranch_execz .LBB93_9
; %bb.8:
	v_ashrrev_i32_e32 v5, 31, v4
	s_delay_alu instid0(VALU_DEP_1) | instskip(NEXT) | instid1(VALU_DEP_1)
	v_lshlrev_b64 v[4:5], 3, v[4:5]
	v_add_co_u32 v4, vcc_lo, v8, v4
	s_delay_alu instid0(VALU_DEP_2)
	v_add_co_ci_u32_e32 v5, vcc_lo, v9, v5, vcc_lo
	global_store_b64 v[4:5], v[2:3], off
.LBB93_9:
	s_or_b32 exec_lo, exec_lo, s1
	v_cmp_le_i32_e32 vcc_lo, v7, v6
	s_and_b32 s0, vcc_lo, s0
	s_delay_alu instid0(SALU_CYCLE_1)
	s_and_saveexec_b32 s1, s0
	s_cbranch_execz .LBB93_11
; %bb.10:
	v_ashrrev_i32_e32 v7, 31, v6
	s_delay_alu instid0(VALU_DEP_1) | instskip(NEXT) | instid1(VALU_DEP_1)
	v_lshlrev_b64 v[2:3], 3, v[6:7]
	v_add_co_u32 v2, vcc_lo, v8, v2
	s_delay_alu instid0(VALU_DEP_2)
	v_add_co_ci_u32_e32 v3, vcc_lo, v9, v3, vcc_lo
	global_store_b64 v[2:3], v[0:1], off
.LBB93_11:
	s_nop 0
	s_sendmsg sendmsg(MSG_DEALLOC_VGPRS)
	s_endpgm
	.section	.rodata,"a",@progbits
	.p2align	6, 0x0
	.amdhsa_kernel _ZL37rocblas_syrkx_herkx_restricted_kernelIidLi16ELi32ELi8ELi1ELi0ELb0ELc78ELc76EKddEviT_PT9_S1_lS3_S1_lPT10_S1_li
		.amdhsa_group_segment_fixed_size 4096
		.amdhsa_private_segment_fixed_size 0
		.amdhsa_kernarg_size 84
		.amdhsa_user_sgpr_count 13
		.amdhsa_user_sgpr_dispatch_ptr 0
		.amdhsa_user_sgpr_queue_ptr 0
		.amdhsa_user_sgpr_kernarg_segment_ptr 1
		.amdhsa_user_sgpr_dispatch_id 0
		.amdhsa_user_sgpr_private_segment_size 0
		.amdhsa_wavefront_size32 1
		.amdhsa_uses_dynamic_stack 0
		.amdhsa_enable_private_segment 0
		.amdhsa_system_sgpr_workgroup_id_x 1
		.amdhsa_system_sgpr_workgroup_id_y 1
		.amdhsa_system_sgpr_workgroup_id_z 1
		.amdhsa_system_sgpr_workgroup_info 0
		.amdhsa_system_vgpr_workitem_id 1
		.amdhsa_next_free_vgpr 38
		.amdhsa_next_free_sgpr 23
		.amdhsa_reserve_vcc 1
		.amdhsa_float_round_mode_32 0
		.amdhsa_float_round_mode_16_64 0
		.amdhsa_float_denorm_mode_32 3
		.amdhsa_float_denorm_mode_16_64 3
		.amdhsa_dx10_clamp 1
		.amdhsa_ieee_mode 1
		.amdhsa_fp16_overflow 0
		.amdhsa_workgroup_processor_mode 1
		.amdhsa_memory_ordered 1
		.amdhsa_forward_progress 0
		.amdhsa_shared_vgpr_count 0
		.amdhsa_exception_fp_ieee_invalid_op 0
		.amdhsa_exception_fp_denorm_src 0
		.amdhsa_exception_fp_ieee_div_zero 0
		.amdhsa_exception_fp_ieee_overflow 0
		.amdhsa_exception_fp_ieee_underflow 0
		.amdhsa_exception_fp_ieee_inexact 0
		.amdhsa_exception_int_div_zero 0
	.end_amdhsa_kernel
	.section	.text._ZL37rocblas_syrkx_herkx_restricted_kernelIidLi16ELi32ELi8ELi1ELi0ELb0ELc78ELc76EKddEviT_PT9_S1_lS3_S1_lPT10_S1_li,"axG",@progbits,_ZL37rocblas_syrkx_herkx_restricted_kernelIidLi16ELi32ELi8ELi1ELi0ELb0ELc78ELc76EKddEviT_PT9_S1_lS3_S1_lPT10_S1_li,comdat
.Lfunc_end93:
	.size	_ZL37rocblas_syrkx_herkx_restricted_kernelIidLi16ELi32ELi8ELi1ELi0ELb0ELc78ELc76EKddEviT_PT9_S1_lS3_S1_lPT10_S1_li, .Lfunc_end93-_ZL37rocblas_syrkx_herkx_restricted_kernelIidLi16ELi32ELi8ELi1ELi0ELb0ELc78ELc76EKddEviT_PT9_S1_lS3_S1_lPT10_S1_li
                                        ; -- End function
	.section	.AMDGPU.csdata,"",@progbits
; Kernel info:
; codeLenInByte = 1372
; NumSgprs: 25
; NumVgprs: 38
; ScratchSize: 0
; MemoryBound: 0
; FloatMode: 240
; IeeeMode: 1
; LDSByteSize: 4096 bytes/workgroup (compile time only)
; SGPRBlocks: 3
; VGPRBlocks: 4
; NumSGPRsForWavesPerEU: 25
; NumVGPRsForWavesPerEU: 38
; Occupancy: 16
; WaveLimiterHint : 0
; COMPUTE_PGM_RSRC2:SCRATCH_EN: 0
; COMPUTE_PGM_RSRC2:USER_SGPR: 13
; COMPUTE_PGM_RSRC2:TRAP_HANDLER: 0
; COMPUTE_PGM_RSRC2:TGID_X_EN: 1
; COMPUTE_PGM_RSRC2:TGID_Y_EN: 1
; COMPUTE_PGM_RSRC2:TGID_Z_EN: 1
; COMPUTE_PGM_RSRC2:TIDIG_COMP_CNT: 1
	.section	.text._ZL37rocblas_syrkx_herkx_restricted_kernelIidLi16ELi32ELi8ELi1ELi0ELb0ELc84ELc85EKddEviT_PT9_S1_lS3_S1_lPT10_S1_li,"axG",@progbits,_ZL37rocblas_syrkx_herkx_restricted_kernelIidLi16ELi32ELi8ELi1ELi0ELb0ELc84ELc85EKddEviT_PT9_S1_lS3_S1_lPT10_S1_li,comdat
	.globl	_ZL37rocblas_syrkx_herkx_restricted_kernelIidLi16ELi32ELi8ELi1ELi0ELb0ELc84ELc85EKddEviT_PT9_S1_lS3_S1_lPT10_S1_li ; -- Begin function _ZL37rocblas_syrkx_herkx_restricted_kernelIidLi16ELi32ELi8ELi1ELi0ELb0ELc84ELc85EKddEviT_PT9_S1_lS3_S1_lPT10_S1_li
	.p2align	8
	.type	_ZL37rocblas_syrkx_herkx_restricted_kernelIidLi16ELi32ELi8ELi1ELi0ELb0ELc84ELc85EKddEviT_PT9_S1_lS3_S1_lPT10_S1_li,@function
_ZL37rocblas_syrkx_herkx_restricted_kernelIidLi16ELi32ELi8ELi1ELi0ELb0ELc84ELc85EKddEviT_PT9_S1_lS3_S1_lPT10_S1_li: ; @_ZL37rocblas_syrkx_herkx_restricted_kernelIidLi16ELi32ELi8ELi1ELi0ELb0ELc84ELc85EKddEviT_PT9_S1_lS3_S1_lPT10_S1_li
; %bb.0:
	s_clause 0x1
	s_load_b64 s[2:3], s[0:1], 0x0
	s_load_b128 s[4:7], s[0:1], 0x30
	v_mov_b32_e32 v10, 0
	v_dual_mov_b32 v11, 0 :: v_dual_and_b32 v12, 0x3ff, v0
	v_bfe_u32 v13, v0, 10, 10
	s_delay_alu instid0(VALU_DEP_3) | instskip(NEXT) | instid1(VALU_DEP_3)
	v_mov_b32_e32 v8, v10
	v_dual_mov_b32 v2, v10 :: v_dual_mov_b32 v3, v11
	v_dual_mov_b32 v9, v11 :: v_dual_mov_b32 v0, v10
	v_mov_b32_e32 v1, v11
	s_lshl_b32 s12, s13, 5
	s_lshl_b32 s13, s14, 5
	s_mov_b32 s14, 0
	s_waitcnt lgkmcnt(0)
	s_cmp_lt_i32 s3, 1
	s_cbranch_scc1 .LBB94_3
; %bb.1:
	s_clause 0x1
	s_load_b32 s18, s[0:1], 0x10
	s_load_b128 s[8:11], s[0:1], 0x18
	v_lshl_add_u32 v2, v13, 4, v12
	v_dual_mov_b32 v1, 0 :: v_dual_and_b32 v0, 7, v12
	s_clause 0x1
	s_load_b64 s[16:17], s[0:1], 0x8
	s_load_b32 s19, s[0:1], 0x28
	v_lshlrev_b32_e32 v14, 3, v12
	v_lshrrev_b32_e32 v4, 3, v2
	v_and_b32_e32 v5, 31, v2
	v_lshlrev_b32_e32 v3, 3, v0
	v_lshrrev_b32_e32 v2, 5, v2
	s_mul_i32 s5, s5, s15
	v_add_nc_u32_e32 v9, s13, v4
	v_add_nc_u32_e32 v8, s12, v5
	v_lshl_or_b32 v7, v4, 6, v3
	v_dual_mov_b32 v3, v1 :: v_dual_lshlrev_b32 v6, 3, v5
	v_lshl_add_u32 v17, v13, 6, 0x800
	s_waitcnt lgkmcnt(0)
	s_delay_alu instid0(VALU_DEP_2) | instskip(NEXT) | instid1(VALU_DEP_3)
	v_mad_i64_i32 v[4:5], null, s18, v8, v[2:3]
	v_lshl_or_b32 v15, v2, 8, v6
	s_mul_i32 s9, s9, s15
	s_mul_hi_u32 s18, s8, s15
	v_mad_i64_i32 v[2:3], null, s19, v9, v[0:1]
	s_mul_i32 s8, s8, s15
	s_add_i32 s9, s18, s9
	s_delay_alu instid0(VALU_DEP_3) | instskip(SKIP_1) | instid1(SALU_CYCLE_1)
	v_lshlrev_b64 v[0:1], 3, v[4:5]
	s_lshl_b64 s[8:9], s[8:9], 3
	s_add_u32 s8, s16, s8
	s_mul_hi_u32 s16, s4, s15
	s_addc_u32 s9, s17, s9
	s_add_i32 s5, s16, s5
	s_mul_i32 s4, s4, s15
	v_lshlrev_b64 v[2:3], 3, v[2:3]
	v_add_co_u32 v4, vcc_lo, s8, v0
	s_lshl_b64 s[4:5], s[4:5], 3
	v_add_co_ci_u32_e32 v5, vcc_lo, s9, v1, vcc_lo
	v_mov_b32_e32 v0, 0
	v_mov_b32_e32 v1, 0
	s_add_u32 s4, s10, s4
	s_addc_u32 s5, s11, s5
	v_add_co_u32 v6, vcc_lo, s4, v2
	s_delay_alu instid0(VALU_DEP_2)
	v_dual_mov_b32 v9, v1 :: v_dual_add_nc_u32 v16, 0x800, v7
	v_add_co_ci_u32_e32 v7, vcc_lo, s5, v3, vcc_lo
	v_dual_mov_b32 v3, v1 :: v_dual_mov_b32 v2, v0
	v_dual_mov_b32 v8, v0 :: v_dual_mov_b32 v11, v1
	v_mov_b32_e32 v10, v0
.LBB94_2:                               ; =>This Inner Loop Header: Depth=1
	global_load_b64 v[18:19], v[4:5], off
	global_load_b64 v[20:21], v[6:7], off
	v_add_co_u32 v4, vcc_lo, v4, 64
	v_add_co_ci_u32_e32 v5, vcc_lo, 0, v5, vcc_lo
	v_add_co_u32 v6, vcc_lo, v6, 64
	v_add_co_ci_u32_e32 v7, vcc_lo, 0, v7, vcc_lo
	s_add_i32 s14, s14, 8
	s_waitcnt vmcnt(1)
	ds_store_b64 v15, v[18:19]
	s_waitcnt vmcnt(0)
	ds_store_b64 v16, v[20:21]
	s_waitcnt lgkmcnt(0)
	s_barrier
	buffer_gl0_inv
	ds_load_2addr_b64 v[18:21], v14 offset1:16
	ds_load_b128 v[22:25], v17
	ds_load_b128 v[26:29], v17 offset:1024
	ds_load_b128 v[30:33], v17 offset:16
	;; [unrolled: 1-line block ×3, first 2 shown]
	s_cmp_ge_i32 s14, s3
	s_waitcnt lgkmcnt(3)
	v_fma_f64 v[10:11], v[18:19], v[22:23], v[10:11]
	v_fma_f64 v[8:9], v[20:21], v[22:23], v[8:9]
	s_waitcnt lgkmcnt(2)
	v_fma_f64 v[18:19], v[18:19], v[26:27], v[2:3]
	v_fma_f64 v[20:21], v[20:21], v[26:27], v[0:1]
	ds_load_2addr_b64 v[0:3], v14 offset0:32 offset1:48
	s_waitcnt lgkmcnt(0)
	v_fma_f64 v[10:11], v[0:1], v[24:25], v[10:11]
	v_fma_f64 v[8:9], v[2:3], v[24:25], v[8:9]
	v_fma_f64 v[18:19], v[0:1], v[28:29], v[18:19]
	v_fma_f64 v[20:21], v[2:3], v[28:29], v[20:21]
	ds_load_2addr_b64 v[0:3], v14 offset0:64 offset1:80
	s_waitcnt lgkmcnt(0)
	v_fma_f64 v[10:11], v[0:1], v[30:31], v[10:11]
	v_fma_f64 v[8:9], v[2:3], v[30:31], v[8:9]
	;; [unrolled: 6-line block ×3, first 2 shown]
	v_fma_f64 v[34:35], v[0:1], v[36:37], v[18:19]
	v_fma_f64 v[36:37], v[2:3], v[36:37], v[20:21]
	ds_load_2addr_b64 v[0:3], v14 offset0:128 offset1:144
	ds_load_b128 v[8:11], v17 offset:32
	ds_load_b128 v[18:21], v17 offset:1056
	;; [unrolled: 1-line block ×4, first 2 shown]
	s_waitcnt lgkmcnt(3)
	v_fma_f64 v[30:31], v[0:1], v[8:9], v[30:31]
	v_fma_f64 v[8:9], v[2:3], v[8:9], v[32:33]
	s_waitcnt lgkmcnt(2)
	v_fma_f64 v[32:33], v[0:1], v[18:19], v[34:35]
	v_fma_f64 v[18:19], v[2:3], v[18:19], v[36:37]
	ds_load_2addr_b64 v[0:3], v14 offset0:160 offset1:176
	s_waitcnt lgkmcnt(0)
	v_fma_f64 v[30:31], v[0:1], v[10:11], v[30:31]
	v_fma_f64 v[8:9], v[2:3], v[10:11], v[8:9]
	v_fma_f64 v[10:11], v[0:1], v[20:21], v[32:33]
	v_fma_f64 v[18:19], v[2:3], v[20:21], v[18:19]
	ds_load_2addr_b64 v[0:3], v14 offset0:192 offset1:208
	s_waitcnt lgkmcnt(0)
	v_fma_f64 v[30:31], v[0:1], v[22:23], v[30:31]
	v_fma_f64 v[8:9], v[2:3], v[22:23], v[8:9]
	;; [unrolled: 1-line block ×4, first 2 shown]
	ds_load_2addr_b64 v[18:21], v14 offset0:224 offset1:240
	s_waitcnt lgkmcnt(0)
	s_barrier
	buffer_gl0_inv
	v_fma_f64 v[10:11], v[18:19], v[24:25], v[30:31]
	v_fma_f64 v[8:9], v[20:21], v[24:25], v[8:9]
	;; [unrolled: 1-line block ×4, first 2 shown]
	s_cbranch_scc0 .LBB94_2
.LBB94_3:
	s_clause 0x1
	s_load_b32 s3, s[0:1], 0x40
	s_load_b64 s[0:1], s[0:1], 0x48
	v_add_nc_u32_e32 v13, s13, v13
	v_add_nc_u32_e32 v4, s12, v12
	s_delay_alu instid0(VALU_DEP_2)
	v_cmp_gt_i32_e32 vcc_lo, s2, v13
	s_waitcnt lgkmcnt(0)
	v_mad_i64_i32 v[5:6], null, v13, s3, 0
	s_mul_i32 s1, s15, s1
	s_mul_hi_u32 s4, s15, s0
	s_mul_i32 s0, s15, s0
	s_add_i32 s1, s4, s1
	s_delay_alu instid0(SALU_CYCLE_1) | instskip(NEXT) | instid1(VALU_DEP_1)
	s_lshl_b64 s[4:5], s[0:1], 3
	v_lshlrev_b64 v[5:6], 3, v[5:6]
	s_add_u32 s4, s6, s4
	v_cmp_le_i32_e64 s0, v4, v13
	s_addc_u32 s5, s7, s5
	s_delay_alu instid0(VALU_DEP_2) | instskip(NEXT) | instid1(VALU_DEP_1)
	v_add_co_u32 v12, s1, s4, v5
	v_add_co_ci_u32_e64 v14, s1, s5, v6, s1
	s_delay_alu instid0(VALU_DEP_3) | instskip(NEXT) | instid1(SALU_CYCLE_1)
	s_and_b32 s0, vcc_lo, s0
	s_and_saveexec_b32 s1, s0
	s_cbranch_execz .LBB94_5
; %bb.4:
	v_ashrrev_i32_e32 v5, 31, v4
	s_delay_alu instid0(VALU_DEP_1) | instskip(NEXT) | instid1(VALU_DEP_1)
	v_lshlrev_b64 v[5:6], 3, v[4:5]
	v_add_co_u32 v5, s0, v12, v5
	s_delay_alu instid0(VALU_DEP_1)
	v_add_co_ci_u32_e64 v6, s0, v14, v6, s0
	global_store_b64 v[5:6], v[10:11], off
.LBB94_5:
	s_or_b32 exec_lo, exec_lo, s1
	v_add_nc_u32_e32 v6, 16, v4
	s_delay_alu instid0(VALU_DEP_1) | instskip(NEXT) | instid1(VALU_DEP_1)
	v_cmp_le_i32_e64 s0, v6, v13
	s_and_b32 s1, vcc_lo, s0
	s_delay_alu instid0(SALU_CYCLE_1)
	s_and_saveexec_b32 s0, s1
	s_cbranch_execz .LBB94_7
; %bb.6:
	v_ashrrev_i32_e32 v7, 31, v6
	s_delay_alu instid0(VALU_DEP_1) | instskip(NEXT) | instid1(VALU_DEP_1)
	v_lshlrev_b64 v[10:11], 3, v[6:7]
	v_add_co_u32 v10, vcc_lo, v12, v10
	s_delay_alu instid0(VALU_DEP_2)
	v_add_co_ci_u32_e32 v11, vcc_lo, v14, v11, vcc_lo
	global_store_b64 v[10:11], v[8:9], off
.LBB94_7:
	s_or_b32 exec_lo, exec_lo, s0
	v_add_nc_u32_e32 v7, 16, v13
	s_delay_alu instid0(VALU_DEP_1) | instskip(SKIP_2) | instid1(VALU_DEP_1)
	v_mad_i64_i32 v[8:9], null, v7, s3, 0
	v_cmp_gt_i32_e32 vcc_lo, s2, v7
	v_cmp_le_i32_e64 s0, v4, v7
	s_and_b32 s0, vcc_lo, s0
	s_delay_alu instid0(VALU_DEP_3) | instskip(NEXT) | instid1(VALU_DEP_1)
	v_lshlrev_b64 v[8:9], 3, v[8:9]
	v_add_co_u32 v8, s1, s4, v8
	s_delay_alu instid0(VALU_DEP_1)
	v_add_co_ci_u32_e64 v9, s1, s5, v9, s1
	s_and_saveexec_b32 s1, s0
	s_cbranch_execz .LBB94_9
; %bb.8:
	v_ashrrev_i32_e32 v5, 31, v4
	s_delay_alu instid0(VALU_DEP_1) | instskip(NEXT) | instid1(VALU_DEP_1)
	v_lshlrev_b64 v[4:5], 3, v[4:5]
	v_add_co_u32 v4, s0, v8, v4
	s_delay_alu instid0(VALU_DEP_1)
	v_add_co_ci_u32_e64 v5, s0, v9, v5, s0
	global_store_b64 v[4:5], v[2:3], off
.LBB94_9:
	s_or_b32 exec_lo, exec_lo, s1
	v_cmp_le_i32_e64 s0, v6, v7
	s_delay_alu instid0(VALU_DEP_1) | instskip(NEXT) | instid1(SALU_CYCLE_1)
	s_and_b32 s0, vcc_lo, s0
	s_and_saveexec_b32 s1, s0
	s_cbranch_execz .LBB94_11
; %bb.10:
	v_ashrrev_i32_e32 v7, 31, v6
	s_delay_alu instid0(VALU_DEP_1) | instskip(NEXT) | instid1(VALU_DEP_1)
	v_lshlrev_b64 v[2:3], 3, v[6:7]
	v_add_co_u32 v2, vcc_lo, v8, v2
	s_delay_alu instid0(VALU_DEP_2)
	v_add_co_ci_u32_e32 v3, vcc_lo, v9, v3, vcc_lo
	global_store_b64 v[2:3], v[0:1], off
.LBB94_11:
	s_nop 0
	s_sendmsg sendmsg(MSG_DEALLOC_VGPRS)
	s_endpgm
	.section	.rodata,"a",@progbits
	.p2align	6, 0x0
	.amdhsa_kernel _ZL37rocblas_syrkx_herkx_restricted_kernelIidLi16ELi32ELi8ELi1ELi0ELb0ELc84ELc85EKddEviT_PT9_S1_lS3_S1_lPT10_S1_li
		.amdhsa_group_segment_fixed_size 4096
		.amdhsa_private_segment_fixed_size 0
		.amdhsa_kernarg_size 84
		.amdhsa_user_sgpr_count 13
		.amdhsa_user_sgpr_dispatch_ptr 0
		.amdhsa_user_sgpr_queue_ptr 0
		.amdhsa_user_sgpr_kernarg_segment_ptr 1
		.amdhsa_user_sgpr_dispatch_id 0
		.amdhsa_user_sgpr_private_segment_size 0
		.amdhsa_wavefront_size32 1
		.amdhsa_uses_dynamic_stack 0
		.amdhsa_enable_private_segment 0
		.amdhsa_system_sgpr_workgroup_id_x 1
		.amdhsa_system_sgpr_workgroup_id_y 1
		.amdhsa_system_sgpr_workgroup_id_z 1
		.amdhsa_system_sgpr_workgroup_info 0
		.amdhsa_system_vgpr_workitem_id 1
		.amdhsa_next_free_vgpr 38
		.amdhsa_next_free_sgpr 20
		.amdhsa_reserve_vcc 1
		.amdhsa_float_round_mode_32 0
		.amdhsa_float_round_mode_16_64 0
		.amdhsa_float_denorm_mode_32 3
		.amdhsa_float_denorm_mode_16_64 3
		.amdhsa_dx10_clamp 1
		.amdhsa_ieee_mode 1
		.amdhsa_fp16_overflow 0
		.amdhsa_workgroup_processor_mode 1
		.amdhsa_memory_ordered 1
		.amdhsa_forward_progress 0
		.amdhsa_shared_vgpr_count 0
		.amdhsa_exception_fp_ieee_invalid_op 0
		.amdhsa_exception_fp_denorm_src 0
		.amdhsa_exception_fp_ieee_div_zero 0
		.amdhsa_exception_fp_ieee_overflow 0
		.amdhsa_exception_fp_ieee_underflow 0
		.amdhsa_exception_fp_ieee_inexact 0
		.amdhsa_exception_int_div_zero 0
	.end_amdhsa_kernel
	.section	.text._ZL37rocblas_syrkx_herkx_restricted_kernelIidLi16ELi32ELi8ELi1ELi0ELb0ELc84ELc85EKddEviT_PT9_S1_lS3_S1_lPT10_S1_li,"axG",@progbits,_ZL37rocblas_syrkx_herkx_restricted_kernelIidLi16ELi32ELi8ELi1ELi0ELb0ELc84ELc85EKddEviT_PT9_S1_lS3_S1_lPT10_S1_li,comdat
.Lfunc_end94:
	.size	_ZL37rocblas_syrkx_herkx_restricted_kernelIidLi16ELi32ELi8ELi1ELi0ELb0ELc84ELc85EKddEviT_PT9_S1_lS3_S1_lPT10_S1_li, .Lfunc_end94-_ZL37rocblas_syrkx_herkx_restricted_kernelIidLi16ELi32ELi8ELi1ELi0ELb0ELc84ELc85EKddEviT_PT9_S1_lS3_S1_lPT10_S1_li
                                        ; -- End function
	.section	.AMDGPU.csdata,"",@progbits
; Kernel info:
; codeLenInByte = 1364
; NumSgprs: 22
; NumVgprs: 38
; ScratchSize: 0
; MemoryBound: 0
; FloatMode: 240
; IeeeMode: 1
; LDSByteSize: 4096 bytes/workgroup (compile time only)
; SGPRBlocks: 2
; VGPRBlocks: 4
; NumSGPRsForWavesPerEU: 22
; NumVGPRsForWavesPerEU: 38
; Occupancy: 16
; WaveLimiterHint : 0
; COMPUTE_PGM_RSRC2:SCRATCH_EN: 0
; COMPUTE_PGM_RSRC2:USER_SGPR: 13
; COMPUTE_PGM_RSRC2:TRAP_HANDLER: 0
; COMPUTE_PGM_RSRC2:TGID_X_EN: 1
; COMPUTE_PGM_RSRC2:TGID_Y_EN: 1
; COMPUTE_PGM_RSRC2:TGID_Z_EN: 1
; COMPUTE_PGM_RSRC2:TIDIG_COMP_CNT: 1
	.section	.text._ZL37rocblas_syrkx_herkx_restricted_kernelIidLi16ELi32ELi8ELi1ELi0ELb0ELc67ELc85EKddEviT_PT9_S1_lS3_S1_lPT10_S1_li,"axG",@progbits,_ZL37rocblas_syrkx_herkx_restricted_kernelIidLi16ELi32ELi8ELi1ELi0ELb0ELc67ELc85EKddEviT_PT9_S1_lS3_S1_lPT10_S1_li,comdat
	.globl	_ZL37rocblas_syrkx_herkx_restricted_kernelIidLi16ELi32ELi8ELi1ELi0ELb0ELc67ELc85EKddEviT_PT9_S1_lS3_S1_lPT10_S1_li ; -- Begin function _ZL37rocblas_syrkx_herkx_restricted_kernelIidLi16ELi32ELi8ELi1ELi0ELb0ELc67ELc85EKddEviT_PT9_S1_lS3_S1_lPT10_S1_li
	.p2align	8
	.type	_ZL37rocblas_syrkx_herkx_restricted_kernelIidLi16ELi32ELi8ELi1ELi0ELb0ELc67ELc85EKddEviT_PT9_S1_lS3_S1_lPT10_S1_li,@function
_ZL37rocblas_syrkx_herkx_restricted_kernelIidLi16ELi32ELi8ELi1ELi0ELb0ELc67ELc85EKddEviT_PT9_S1_lS3_S1_lPT10_S1_li: ; @_ZL37rocblas_syrkx_herkx_restricted_kernelIidLi16ELi32ELi8ELi1ELi0ELb0ELc67ELc85EKddEviT_PT9_S1_lS3_S1_lPT10_S1_li
; %bb.0:
	s_clause 0x1
	s_load_b64 s[2:3], s[0:1], 0x0
	s_load_b128 s[4:7], s[0:1], 0x30
	v_mov_b32_e32 v10, 0
	v_dual_mov_b32 v11, 0 :: v_dual_and_b32 v12, 0x3ff, v0
	v_bfe_u32 v13, v0, 10, 10
	s_delay_alu instid0(VALU_DEP_3) | instskip(NEXT) | instid1(VALU_DEP_3)
	v_mov_b32_e32 v8, v10
	v_dual_mov_b32 v2, v10 :: v_dual_mov_b32 v3, v11
	v_dual_mov_b32 v9, v11 :: v_dual_mov_b32 v0, v10
	v_mov_b32_e32 v1, v11
	s_lshl_b32 s12, s13, 5
	s_lshl_b32 s13, s14, 5
	s_mov_b32 s14, 0
	s_waitcnt lgkmcnt(0)
	s_cmp_lt_i32 s3, 1
	s_cbranch_scc1 .LBB95_3
; %bb.1:
	s_clause 0x1
	s_load_b32 s18, s[0:1], 0x10
	s_load_b128 s[8:11], s[0:1], 0x18
	v_lshl_add_u32 v2, v13, 4, v12
	v_dual_mov_b32 v1, 0 :: v_dual_and_b32 v0, 7, v12
	s_clause 0x1
	s_load_b64 s[16:17], s[0:1], 0x8
	s_load_b32 s19, s[0:1], 0x28
	v_lshlrev_b32_e32 v14, 3, v12
	v_lshrrev_b32_e32 v4, 3, v2
	v_and_b32_e32 v5, 31, v2
	v_lshlrev_b32_e32 v3, 3, v0
	v_lshrrev_b32_e32 v2, 5, v2
	s_mul_i32 s5, s5, s15
	v_add_nc_u32_e32 v9, s13, v4
	v_add_nc_u32_e32 v8, s12, v5
	v_lshl_or_b32 v7, v4, 6, v3
	v_dual_mov_b32 v3, v1 :: v_dual_lshlrev_b32 v6, 3, v5
	v_lshl_add_u32 v17, v13, 6, 0x800
	s_waitcnt lgkmcnt(0)
	s_delay_alu instid0(VALU_DEP_2) | instskip(NEXT) | instid1(VALU_DEP_3)
	v_mad_i64_i32 v[4:5], null, s18, v8, v[2:3]
	v_lshl_or_b32 v15, v2, 8, v6
	s_mul_i32 s9, s9, s15
	s_mul_hi_u32 s18, s8, s15
	v_mad_i64_i32 v[2:3], null, s19, v9, v[0:1]
	s_mul_i32 s8, s8, s15
	s_add_i32 s9, s18, s9
	s_delay_alu instid0(VALU_DEP_3) | instskip(SKIP_1) | instid1(SALU_CYCLE_1)
	v_lshlrev_b64 v[0:1], 3, v[4:5]
	s_lshl_b64 s[8:9], s[8:9], 3
	s_add_u32 s8, s16, s8
	s_mul_hi_u32 s16, s4, s15
	s_addc_u32 s9, s17, s9
	s_add_i32 s5, s16, s5
	s_mul_i32 s4, s4, s15
	v_lshlrev_b64 v[2:3], 3, v[2:3]
	v_add_co_u32 v4, vcc_lo, s8, v0
	s_lshl_b64 s[4:5], s[4:5], 3
	v_add_co_ci_u32_e32 v5, vcc_lo, s9, v1, vcc_lo
	v_mov_b32_e32 v0, 0
	v_mov_b32_e32 v1, 0
	s_add_u32 s4, s10, s4
	s_addc_u32 s5, s11, s5
	v_add_co_u32 v6, vcc_lo, s4, v2
	s_delay_alu instid0(VALU_DEP_2)
	v_dual_mov_b32 v9, v1 :: v_dual_add_nc_u32 v16, 0x800, v7
	v_add_co_ci_u32_e32 v7, vcc_lo, s5, v3, vcc_lo
	v_dual_mov_b32 v3, v1 :: v_dual_mov_b32 v2, v0
	v_dual_mov_b32 v8, v0 :: v_dual_mov_b32 v11, v1
	v_mov_b32_e32 v10, v0
.LBB95_2:                               ; =>This Inner Loop Header: Depth=1
	global_load_b64 v[18:19], v[4:5], off
	global_load_b64 v[20:21], v[6:7], off
	v_add_co_u32 v4, vcc_lo, v4, 64
	v_add_co_ci_u32_e32 v5, vcc_lo, 0, v5, vcc_lo
	v_add_co_u32 v6, vcc_lo, v6, 64
	v_add_co_ci_u32_e32 v7, vcc_lo, 0, v7, vcc_lo
	s_add_i32 s14, s14, 8
	s_waitcnt vmcnt(1)
	ds_store_b64 v15, v[18:19]
	s_waitcnt vmcnt(0)
	ds_store_b64 v16, v[20:21]
	s_waitcnt lgkmcnt(0)
	s_barrier
	buffer_gl0_inv
	ds_load_2addr_b64 v[18:21], v14 offset1:16
	ds_load_b128 v[22:25], v17
	ds_load_b128 v[26:29], v17 offset:1024
	ds_load_b128 v[30:33], v17 offset:16
	;; [unrolled: 1-line block ×3, first 2 shown]
	s_cmp_ge_i32 s14, s3
	s_waitcnt lgkmcnt(3)
	v_fma_f64 v[10:11], v[18:19], v[22:23], v[10:11]
	v_fma_f64 v[8:9], v[20:21], v[22:23], v[8:9]
	s_waitcnt lgkmcnt(2)
	v_fma_f64 v[18:19], v[18:19], v[26:27], v[2:3]
	v_fma_f64 v[20:21], v[20:21], v[26:27], v[0:1]
	ds_load_2addr_b64 v[0:3], v14 offset0:32 offset1:48
	s_waitcnt lgkmcnt(0)
	v_fma_f64 v[10:11], v[0:1], v[24:25], v[10:11]
	v_fma_f64 v[8:9], v[2:3], v[24:25], v[8:9]
	v_fma_f64 v[18:19], v[0:1], v[28:29], v[18:19]
	v_fma_f64 v[20:21], v[2:3], v[28:29], v[20:21]
	ds_load_2addr_b64 v[0:3], v14 offset0:64 offset1:80
	s_waitcnt lgkmcnt(0)
	v_fma_f64 v[10:11], v[0:1], v[30:31], v[10:11]
	v_fma_f64 v[8:9], v[2:3], v[30:31], v[8:9]
	;; [unrolled: 6-line block ×3, first 2 shown]
	v_fma_f64 v[34:35], v[0:1], v[36:37], v[18:19]
	v_fma_f64 v[36:37], v[2:3], v[36:37], v[20:21]
	ds_load_2addr_b64 v[0:3], v14 offset0:128 offset1:144
	ds_load_b128 v[8:11], v17 offset:32
	ds_load_b128 v[18:21], v17 offset:1056
	;; [unrolled: 1-line block ×4, first 2 shown]
	s_waitcnt lgkmcnt(3)
	v_fma_f64 v[30:31], v[0:1], v[8:9], v[30:31]
	v_fma_f64 v[8:9], v[2:3], v[8:9], v[32:33]
	s_waitcnt lgkmcnt(2)
	v_fma_f64 v[32:33], v[0:1], v[18:19], v[34:35]
	v_fma_f64 v[18:19], v[2:3], v[18:19], v[36:37]
	ds_load_2addr_b64 v[0:3], v14 offset0:160 offset1:176
	s_waitcnt lgkmcnt(0)
	v_fma_f64 v[30:31], v[0:1], v[10:11], v[30:31]
	v_fma_f64 v[8:9], v[2:3], v[10:11], v[8:9]
	;; [unrolled: 1-line block ×4, first 2 shown]
	ds_load_2addr_b64 v[0:3], v14 offset0:192 offset1:208
	s_waitcnt lgkmcnt(0)
	v_fma_f64 v[30:31], v[0:1], v[22:23], v[30:31]
	v_fma_f64 v[8:9], v[2:3], v[22:23], v[8:9]
	;; [unrolled: 1-line block ×4, first 2 shown]
	ds_load_2addr_b64 v[18:21], v14 offset0:224 offset1:240
	s_waitcnt lgkmcnt(0)
	s_barrier
	buffer_gl0_inv
	v_fma_f64 v[10:11], v[18:19], v[24:25], v[30:31]
	v_fma_f64 v[8:9], v[20:21], v[24:25], v[8:9]
	;; [unrolled: 1-line block ×4, first 2 shown]
	s_cbranch_scc0 .LBB95_2
.LBB95_3:
	s_clause 0x1
	s_load_b32 s3, s[0:1], 0x40
	s_load_b64 s[0:1], s[0:1], 0x48
	v_add_nc_u32_e32 v13, s13, v13
	v_add_nc_u32_e32 v4, s12, v12
	s_delay_alu instid0(VALU_DEP_2)
	v_cmp_gt_i32_e32 vcc_lo, s2, v13
	s_waitcnt lgkmcnt(0)
	v_mad_i64_i32 v[5:6], null, v13, s3, 0
	s_mul_i32 s1, s15, s1
	s_mul_hi_u32 s4, s15, s0
	s_mul_i32 s0, s15, s0
	s_add_i32 s1, s4, s1
	s_delay_alu instid0(SALU_CYCLE_1) | instskip(NEXT) | instid1(VALU_DEP_1)
	s_lshl_b64 s[4:5], s[0:1], 3
	v_lshlrev_b64 v[5:6], 3, v[5:6]
	s_add_u32 s4, s6, s4
	v_cmp_le_i32_e64 s0, v4, v13
	s_addc_u32 s5, s7, s5
	s_delay_alu instid0(VALU_DEP_2) | instskip(NEXT) | instid1(VALU_DEP_1)
	v_add_co_u32 v12, s1, s4, v5
	v_add_co_ci_u32_e64 v14, s1, s5, v6, s1
	s_delay_alu instid0(VALU_DEP_3) | instskip(NEXT) | instid1(SALU_CYCLE_1)
	s_and_b32 s0, vcc_lo, s0
	s_and_saveexec_b32 s1, s0
	s_cbranch_execz .LBB95_5
; %bb.4:
	v_ashrrev_i32_e32 v5, 31, v4
	s_delay_alu instid0(VALU_DEP_1) | instskip(NEXT) | instid1(VALU_DEP_1)
	v_lshlrev_b64 v[5:6], 3, v[4:5]
	v_add_co_u32 v5, s0, v12, v5
	s_delay_alu instid0(VALU_DEP_1)
	v_add_co_ci_u32_e64 v6, s0, v14, v6, s0
	global_store_b64 v[5:6], v[10:11], off
.LBB95_5:
	s_or_b32 exec_lo, exec_lo, s1
	v_add_nc_u32_e32 v6, 16, v4
	s_delay_alu instid0(VALU_DEP_1) | instskip(NEXT) | instid1(VALU_DEP_1)
	v_cmp_le_i32_e64 s0, v6, v13
	s_and_b32 s1, vcc_lo, s0
	s_delay_alu instid0(SALU_CYCLE_1)
	s_and_saveexec_b32 s0, s1
	s_cbranch_execz .LBB95_7
; %bb.6:
	v_ashrrev_i32_e32 v7, 31, v6
	s_delay_alu instid0(VALU_DEP_1) | instskip(NEXT) | instid1(VALU_DEP_1)
	v_lshlrev_b64 v[10:11], 3, v[6:7]
	v_add_co_u32 v10, vcc_lo, v12, v10
	s_delay_alu instid0(VALU_DEP_2)
	v_add_co_ci_u32_e32 v11, vcc_lo, v14, v11, vcc_lo
	global_store_b64 v[10:11], v[8:9], off
.LBB95_7:
	s_or_b32 exec_lo, exec_lo, s0
	v_add_nc_u32_e32 v7, 16, v13
	s_delay_alu instid0(VALU_DEP_1) | instskip(SKIP_2) | instid1(VALU_DEP_1)
	v_mad_i64_i32 v[8:9], null, v7, s3, 0
	v_cmp_gt_i32_e32 vcc_lo, s2, v7
	v_cmp_le_i32_e64 s0, v4, v7
	s_and_b32 s0, vcc_lo, s0
	s_delay_alu instid0(VALU_DEP_3) | instskip(NEXT) | instid1(VALU_DEP_1)
	v_lshlrev_b64 v[8:9], 3, v[8:9]
	v_add_co_u32 v8, s1, s4, v8
	s_delay_alu instid0(VALU_DEP_1)
	v_add_co_ci_u32_e64 v9, s1, s5, v9, s1
	s_and_saveexec_b32 s1, s0
	s_cbranch_execz .LBB95_9
; %bb.8:
	v_ashrrev_i32_e32 v5, 31, v4
	s_delay_alu instid0(VALU_DEP_1) | instskip(NEXT) | instid1(VALU_DEP_1)
	v_lshlrev_b64 v[4:5], 3, v[4:5]
	v_add_co_u32 v4, s0, v8, v4
	s_delay_alu instid0(VALU_DEP_1)
	v_add_co_ci_u32_e64 v5, s0, v9, v5, s0
	global_store_b64 v[4:5], v[2:3], off
.LBB95_9:
	s_or_b32 exec_lo, exec_lo, s1
	v_cmp_le_i32_e64 s0, v6, v7
	s_delay_alu instid0(VALU_DEP_1) | instskip(NEXT) | instid1(SALU_CYCLE_1)
	s_and_b32 s0, vcc_lo, s0
	s_and_saveexec_b32 s1, s0
	s_cbranch_execz .LBB95_11
; %bb.10:
	v_ashrrev_i32_e32 v7, 31, v6
	s_delay_alu instid0(VALU_DEP_1) | instskip(NEXT) | instid1(VALU_DEP_1)
	v_lshlrev_b64 v[2:3], 3, v[6:7]
	v_add_co_u32 v2, vcc_lo, v8, v2
	s_delay_alu instid0(VALU_DEP_2)
	v_add_co_ci_u32_e32 v3, vcc_lo, v9, v3, vcc_lo
	global_store_b64 v[2:3], v[0:1], off
.LBB95_11:
	s_nop 0
	s_sendmsg sendmsg(MSG_DEALLOC_VGPRS)
	s_endpgm
	.section	.rodata,"a",@progbits
	.p2align	6, 0x0
	.amdhsa_kernel _ZL37rocblas_syrkx_herkx_restricted_kernelIidLi16ELi32ELi8ELi1ELi0ELb0ELc67ELc85EKddEviT_PT9_S1_lS3_S1_lPT10_S1_li
		.amdhsa_group_segment_fixed_size 4096
		.amdhsa_private_segment_fixed_size 0
		.amdhsa_kernarg_size 84
		.amdhsa_user_sgpr_count 13
		.amdhsa_user_sgpr_dispatch_ptr 0
		.amdhsa_user_sgpr_queue_ptr 0
		.amdhsa_user_sgpr_kernarg_segment_ptr 1
		.amdhsa_user_sgpr_dispatch_id 0
		.amdhsa_user_sgpr_private_segment_size 0
		.amdhsa_wavefront_size32 1
		.amdhsa_uses_dynamic_stack 0
		.amdhsa_enable_private_segment 0
		.amdhsa_system_sgpr_workgroup_id_x 1
		.amdhsa_system_sgpr_workgroup_id_y 1
		.amdhsa_system_sgpr_workgroup_id_z 1
		.amdhsa_system_sgpr_workgroup_info 0
		.amdhsa_system_vgpr_workitem_id 1
		.amdhsa_next_free_vgpr 38
		.amdhsa_next_free_sgpr 20
		.amdhsa_reserve_vcc 1
		.amdhsa_float_round_mode_32 0
		.amdhsa_float_round_mode_16_64 0
		.amdhsa_float_denorm_mode_32 3
		.amdhsa_float_denorm_mode_16_64 3
		.amdhsa_dx10_clamp 1
		.amdhsa_ieee_mode 1
		.amdhsa_fp16_overflow 0
		.amdhsa_workgroup_processor_mode 1
		.amdhsa_memory_ordered 1
		.amdhsa_forward_progress 0
		.amdhsa_shared_vgpr_count 0
		.amdhsa_exception_fp_ieee_invalid_op 0
		.amdhsa_exception_fp_denorm_src 0
		.amdhsa_exception_fp_ieee_div_zero 0
		.amdhsa_exception_fp_ieee_overflow 0
		.amdhsa_exception_fp_ieee_underflow 0
		.amdhsa_exception_fp_ieee_inexact 0
		.amdhsa_exception_int_div_zero 0
	.end_amdhsa_kernel
	.section	.text._ZL37rocblas_syrkx_herkx_restricted_kernelIidLi16ELi32ELi8ELi1ELi0ELb0ELc67ELc85EKddEviT_PT9_S1_lS3_S1_lPT10_S1_li,"axG",@progbits,_ZL37rocblas_syrkx_herkx_restricted_kernelIidLi16ELi32ELi8ELi1ELi0ELb0ELc67ELc85EKddEviT_PT9_S1_lS3_S1_lPT10_S1_li,comdat
.Lfunc_end95:
	.size	_ZL37rocblas_syrkx_herkx_restricted_kernelIidLi16ELi32ELi8ELi1ELi0ELb0ELc67ELc85EKddEviT_PT9_S1_lS3_S1_lPT10_S1_li, .Lfunc_end95-_ZL37rocblas_syrkx_herkx_restricted_kernelIidLi16ELi32ELi8ELi1ELi0ELb0ELc67ELc85EKddEviT_PT9_S1_lS3_S1_lPT10_S1_li
                                        ; -- End function
	.section	.AMDGPU.csdata,"",@progbits
; Kernel info:
; codeLenInByte = 1364
; NumSgprs: 22
; NumVgprs: 38
; ScratchSize: 0
; MemoryBound: 0
; FloatMode: 240
; IeeeMode: 1
; LDSByteSize: 4096 bytes/workgroup (compile time only)
; SGPRBlocks: 2
; VGPRBlocks: 4
; NumSGPRsForWavesPerEU: 22
; NumVGPRsForWavesPerEU: 38
; Occupancy: 16
; WaveLimiterHint : 0
; COMPUTE_PGM_RSRC2:SCRATCH_EN: 0
; COMPUTE_PGM_RSRC2:USER_SGPR: 13
; COMPUTE_PGM_RSRC2:TRAP_HANDLER: 0
; COMPUTE_PGM_RSRC2:TGID_X_EN: 1
; COMPUTE_PGM_RSRC2:TGID_Y_EN: 1
; COMPUTE_PGM_RSRC2:TGID_Z_EN: 1
; COMPUTE_PGM_RSRC2:TIDIG_COMP_CNT: 1
	.section	.text._ZL37rocblas_syrkx_herkx_restricted_kernelIidLi16ELi32ELi8ELi1ELi0ELb0ELc78ELc85EKddEviT_PT9_S1_lS3_S1_lPT10_S1_li,"axG",@progbits,_ZL37rocblas_syrkx_herkx_restricted_kernelIidLi16ELi32ELi8ELi1ELi0ELb0ELc78ELc85EKddEviT_PT9_S1_lS3_S1_lPT10_S1_li,comdat
	.globl	_ZL37rocblas_syrkx_herkx_restricted_kernelIidLi16ELi32ELi8ELi1ELi0ELb0ELc78ELc85EKddEviT_PT9_S1_lS3_S1_lPT10_S1_li ; -- Begin function _ZL37rocblas_syrkx_herkx_restricted_kernelIidLi16ELi32ELi8ELi1ELi0ELb0ELc78ELc85EKddEviT_PT9_S1_lS3_S1_lPT10_S1_li
	.p2align	8
	.type	_ZL37rocblas_syrkx_herkx_restricted_kernelIidLi16ELi32ELi8ELi1ELi0ELb0ELc78ELc85EKddEviT_PT9_S1_lS3_S1_lPT10_S1_li,@function
_ZL37rocblas_syrkx_herkx_restricted_kernelIidLi16ELi32ELi8ELi1ELi0ELb0ELc78ELc85EKddEviT_PT9_S1_lS3_S1_lPT10_S1_li: ; @_ZL37rocblas_syrkx_herkx_restricted_kernelIidLi16ELi32ELi8ELi1ELi0ELb0ELc78ELc85EKddEviT_PT9_S1_lS3_S1_lPT10_S1_li
; %bb.0:
	s_clause 0x1
	s_load_b64 s[2:3], s[0:1], 0x0
	s_load_b128 s[4:7], s[0:1], 0x30
	v_mov_b32_e32 v10, 0
	v_dual_mov_b32 v11, 0 :: v_dual_and_b32 v12, 0x3ff, v0
	v_bfe_u32 v13, v0, 10, 10
	s_delay_alu instid0(VALU_DEP_3) | instskip(NEXT) | instid1(VALU_DEP_3)
	v_mov_b32_e32 v8, v10
	v_dual_mov_b32 v2, v10 :: v_dual_mov_b32 v3, v11
	v_dual_mov_b32 v9, v11 :: v_dual_mov_b32 v0, v10
	v_mov_b32_e32 v1, v11
	s_lshl_b32 s12, s13, 5
	s_lshl_b32 s13, s14, 5
	s_mov_b32 s14, 0
	s_waitcnt lgkmcnt(0)
	s_cmp_lt_i32 s3, 1
	s_cbranch_scc1 .LBB96_3
; %bb.1:
	s_clause 0x1
	s_load_b32 s16, s[0:1], 0x10
	s_load_b32 s18, s[0:1], 0x28
	v_lshl_add_u32 v0, v13, 4, v12
	v_and_b32_e32 v4, 7, v12
	s_clause 0x1
	s_load_b128 s[8:11], s[0:1], 0x18
	s_load_b64 s[20:21], s[0:1], 0x8
	s_mul_i32 s5, s5, s15
	v_lshrrev_b32_e32 v1, 3, v0
	v_and_b32_e32 v2, 31, v0
	v_lshrrev_b32_e32 v5, 5, v0
	v_lshlrev_b32_e32 v3, 3, v4
	v_lshlrev_b32_e32 v16, 3, v12
	v_add_nc_u32_e32 v0, s13, v1
	v_lshlrev_b32_e32 v6, 3, v2
	v_add_nc_u32_e32 v2, s12, v2
	v_lshl_or_b32 v8, v1, 6, v3
	v_lshl_add_u32 v17, v13, 6, 0x800
	v_ashrrev_i32_e32 v1, 31, v0
	v_lshl_or_b32 v14, v5, 8, v6
	v_ashrrev_i32_e32 v3, 31, v2
	s_waitcnt lgkmcnt(0)
	s_ashr_i32 s17, s16, 31
	s_ashr_i32 s19, s18, 31
	v_mad_i64_i32 v[6:7], null, s18, v4, v[0:1]
	v_mad_i64_i32 v[0:1], null, s16, v5, v[2:3]
	s_mul_i32 s9, s9, s15
	s_mul_hi_u32 s22, s8, s15
	s_mul_i32 s8, s8, s15
	s_add_i32 s9, s22, s9
	s_delay_alu instid0(VALU_DEP_2) | instskip(SKIP_1) | instid1(VALU_DEP_2)
	v_lshlrev_b64 v[2:3], 3, v[6:7]
	s_lshl_b64 s[8:9], s[8:9], 3
	v_lshlrev_b64 v[0:1], 3, v[0:1]
	s_add_u32 s8, s20, s8
	s_mul_hi_u32 s20, s4, s15
	s_addc_u32 s9, s21, s9
	s_add_i32 s5, s20, s5
	s_mul_i32 s4, s4, s15
	v_add_co_u32 v4, vcc_lo, s8, v0
	v_add_co_ci_u32_e32 v5, vcc_lo, s9, v1, vcc_lo
	s_lshl_b64 s[8:9], s[4:5], 3
	v_mov_b32_e32 v0, 0
	s_lshl_b64 s[4:5], s[16:17], 6
	v_mov_b32_e32 v1, 0
	s_add_u32 s8, s10, s8
	s_addc_u32 s9, s11, s9
	v_add_co_u32 v6, vcc_lo, s8, v2
	s_delay_alu instid0(VALU_DEP_2)
	v_mov_b32_e32 v11, v1
	v_add_nc_u32_e32 v15, 0x800, v8
	v_add_co_ci_u32_e32 v7, vcc_lo, s9, v3, vcc_lo
	v_dual_mov_b32 v3, v1 :: v_dual_mov_b32 v2, v0
	v_dual_mov_b32 v9, v1 :: v_dual_mov_b32 v8, v0
	v_mov_b32_e32 v10, v0
	s_lshl_b64 s[8:9], s[18:19], 6
.LBB96_2:                               ; =>This Inner Loop Header: Depth=1
	global_load_b64 v[18:19], v[4:5], off
	global_load_b64 v[20:21], v[6:7], off
	v_add_co_u32 v4, vcc_lo, v4, s4
	v_add_co_ci_u32_e32 v5, vcc_lo, s5, v5, vcc_lo
	v_add_co_u32 v6, vcc_lo, v6, s8
	v_add_co_ci_u32_e32 v7, vcc_lo, s9, v7, vcc_lo
	s_add_i32 s14, s14, 8
	s_waitcnt vmcnt(1)
	ds_store_b64 v14, v[18:19]
	s_waitcnt vmcnt(0)
	ds_store_b64 v15, v[20:21]
	s_waitcnt lgkmcnt(0)
	s_barrier
	buffer_gl0_inv
	ds_load_2addr_b64 v[18:21], v16 offset1:16
	ds_load_b128 v[22:25], v17
	ds_load_b128 v[26:29], v17 offset:1024
	ds_load_b128 v[30:33], v17 offset:16
	;; [unrolled: 1-line block ×3, first 2 shown]
	s_cmp_ge_i32 s14, s3
	s_waitcnt lgkmcnt(3)
	v_fma_f64 v[10:11], v[18:19], v[22:23], v[10:11]
	v_fma_f64 v[8:9], v[20:21], v[22:23], v[8:9]
	s_waitcnt lgkmcnt(2)
	v_fma_f64 v[18:19], v[18:19], v[26:27], v[2:3]
	v_fma_f64 v[20:21], v[20:21], v[26:27], v[0:1]
	ds_load_2addr_b64 v[0:3], v16 offset0:32 offset1:48
	s_waitcnt lgkmcnt(0)
	v_fma_f64 v[10:11], v[0:1], v[24:25], v[10:11]
	v_fma_f64 v[8:9], v[2:3], v[24:25], v[8:9]
	v_fma_f64 v[18:19], v[0:1], v[28:29], v[18:19]
	v_fma_f64 v[20:21], v[2:3], v[28:29], v[20:21]
	ds_load_2addr_b64 v[0:3], v16 offset0:64 offset1:80
	s_waitcnt lgkmcnt(0)
	v_fma_f64 v[10:11], v[0:1], v[30:31], v[10:11]
	v_fma_f64 v[8:9], v[2:3], v[30:31], v[8:9]
	;; [unrolled: 6-line block ×3, first 2 shown]
	v_fma_f64 v[34:35], v[0:1], v[36:37], v[18:19]
	v_fma_f64 v[36:37], v[2:3], v[36:37], v[20:21]
	ds_load_2addr_b64 v[0:3], v16 offset0:128 offset1:144
	ds_load_b128 v[8:11], v17 offset:32
	ds_load_b128 v[18:21], v17 offset:1056
	;; [unrolled: 1-line block ×4, first 2 shown]
	s_waitcnt lgkmcnt(3)
	v_fma_f64 v[30:31], v[0:1], v[8:9], v[30:31]
	v_fma_f64 v[8:9], v[2:3], v[8:9], v[32:33]
	s_waitcnt lgkmcnt(2)
	v_fma_f64 v[32:33], v[0:1], v[18:19], v[34:35]
	v_fma_f64 v[18:19], v[2:3], v[18:19], v[36:37]
	ds_load_2addr_b64 v[0:3], v16 offset0:160 offset1:176
	s_waitcnt lgkmcnt(0)
	v_fma_f64 v[30:31], v[0:1], v[10:11], v[30:31]
	v_fma_f64 v[8:9], v[2:3], v[10:11], v[8:9]
	;; [unrolled: 1-line block ×4, first 2 shown]
	ds_load_2addr_b64 v[0:3], v16 offset0:192 offset1:208
	s_waitcnt lgkmcnt(0)
	v_fma_f64 v[30:31], v[0:1], v[22:23], v[30:31]
	v_fma_f64 v[8:9], v[2:3], v[22:23], v[8:9]
	;; [unrolled: 1-line block ×4, first 2 shown]
	ds_load_2addr_b64 v[18:21], v16 offset0:224 offset1:240
	s_waitcnt lgkmcnt(0)
	s_barrier
	buffer_gl0_inv
	v_fma_f64 v[10:11], v[18:19], v[24:25], v[30:31]
	v_fma_f64 v[8:9], v[20:21], v[24:25], v[8:9]
	;; [unrolled: 1-line block ×4, first 2 shown]
	s_cbranch_scc0 .LBB96_2
.LBB96_3:
	s_clause 0x1
	s_load_b32 s3, s[0:1], 0x40
	s_load_b64 s[0:1], s[0:1], 0x48
	v_add_nc_u32_e32 v13, s13, v13
	v_add_nc_u32_e32 v4, s12, v12
	s_delay_alu instid0(VALU_DEP_2)
	v_cmp_gt_i32_e32 vcc_lo, s2, v13
	s_waitcnt lgkmcnt(0)
	v_mad_i64_i32 v[5:6], null, v13, s3, 0
	s_mul_i32 s1, s15, s1
	s_mul_hi_u32 s4, s15, s0
	s_mul_i32 s0, s15, s0
	s_add_i32 s1, s4, s1
	s_delay_alu instid0(SALU_CYCLE_1) | instskip(NEXT) | instid1(VALU_DEP_1)
	s_lshl_b64 s[4:5], s[0:1], 3
	v_lshlrev_b64 v[5:6], 3, v[5:6]
	s_add_u32 s4, s6, s4
	v_cmp_le_i32_e64 s0, v4, v13
	s_addc_u32 s5, s7, s5
	s_delay_alu instid0(VALU_DEP_2) | instskip(NEXT) | instid1(VALU_DEP_1)
	v_add_co_u32 v12, s1, s4, v5
	v_add_co_ci_u32_e64 v14, s1, s5, v6, s1
	s_delay_alu instid0(VALU_DEP_3) | instskip(NEXT) | instid1(SALU_CYCLE_1)
	s_and_b32 s0, vcc_lo, s0
	s_and_saveexec_b32 s1, s0
	s_cbranch_execz .LBB96_5
; %bb.4:
	v_ashrrev_i32_e32 v5, 31, v4
	s_delay_alu instid0(VALU_DEP_1) | instskip(NEXT) | instid1(VALU_DEP_1)
	v_lshlrev_b64 v[5:6], 3, v[4:5]
	v_add_co_u32 v5, s0, v12, v5
	s_delay_alu instid0(VALU_DEP_1)
	v_add_co_ci_u32_e64 v6, s0, v14, v6, s0
	global_store_b64 v[5:6], v[10:11], off
.LBB96_5:
	s_or_b32 exec_lo, exec_lo, s1
	v_add_nc_u32_e32 v6, 16, v4
	s_delay_alu instid0(VALU_DEP_1) | instskip(NEXT) | instid1(VALU_DEP_1)
	v_cmp_le_i32_e64 s0, v6, v13
	s_and_b32 s1, vcc_lo, s0
	s_delay_alu instid0(SALU_CYCLE_1)
	s_and_saveexec_b32 s0, s1
	s_cbranch_execz .LBB96_7
; %bb.6:
	v_ashrrev_i32_e32 v7, 31, v6
	s_delay_alu instid0(VALU_DEP_1) | instskip(NEXT) | instid1(VALU_DEP_1)
	v_lshlrev_b64 v[10:11], 3, v[6:7]
	v_add_co_u32 v10, vcc_lo, v12, v10
	s_delay_alu instid0(VALU_DEP_2)
	v_add_co_ci_u32_e32 v11, vcc_lo, v14, v11, vcc_lo
	global_store_b64 v[10:11], v[8:9], off
.LBB96_7:
	s_or_b32 exec_lo, exec_lo, s0
	v_add_nc_u32_e32 v7, 16, v13
	s_delay_alu instid0(VALU_DEP_1) | instskip(SKIP_2) | instid1(VALU_DEP_1)
	v_mad_i64_i32 v[8:9], null, v7, s3, 0
	v_cmp_gt_i32_e32 vcc_lo, s2, v7
	v_cmp_le_i32_e64 s0, v4, v7
	s_and_b32 s0, vcc_lo, s0
	s_delay_alu instid0(VALU_DEP_3) | instskip(NEXT) | instid1(VALU_DEP_1)
	v_lshlrev_b64 v[8:9], 3, v[8:9]
	v_add_co_u32 v8, s1, s4, v8
	s_delay_alu instid0(VALU_DEP_1)
	v_add_co_ci_u32_e64 v9, s1, s5, v9, s1
	s_and_saveexec_b32 s1, s0
	s_cbranch_execz .LBB96_9
; %bb.8:
	v_ashrrev_i32_e32 v5, 31, v4
	s_delay_alu instid0(VALU_DEP_1) | instskip(NEXT) | instid1(VALU_DEP_1)
	v_lshlrev_b64 v[4:5], 3, v[4:5]
	v_add_co_u32 v4, s0, v8, v4
	s_delay_alu instid0(VALU_DEP_1)
	v_add_co_ci_u32_e64 v5, s0, v9, v5, s0
	global_store_b64 v[4:5], v[2:3], off
.LBB96_9:
	s_or_b32 exec_lo, exec_lo, s1
	v_cmp_le_i32_e64 s0, v6, v7
	s_delay_alu instid0(VALU_DEP_1) | instskip(NEXT) | instid1(SALU_CYCLE_1)
	s_and_b32 s0, vcc_lo, s0
	s_and_saveexec_b32 s1, s0
	s_cbranch_execz .LBB96_11
; %bb.10:
	v_ashrrev_i32_e32 v7, 31, v6
	s_delay_alu instid0(VALU_DEP_1) | instskip(NEXT) | instid1(VALU_DEP_1)
	v_lshlrev_b64 v[2:3], 3, v[6:7]
	v_add_co_u32 v2, vcc_lo, v8, v2
	s_delay_alu instid0(VALU_DEP_2)
	v_add_co_ci_u32_e32 v3, vcc_lo, v9, v3, vcc_lo
	global_store_b64 v[2:3], v[0:1], off
.LBB96_11:
	s_nop 0
	s_sendmsg sendmsg(MSG_DEALLOC_VGPRS)
	s_endpgm
	.section	.rodata,"a",@progbits
	.p2align	6, 0x0
	.amdhsa_kernel _ZL37rocblas_syrkx_herkx_restricted_kernelIidLi16ELi32ELi8ELi1ELi0ELb0ELc78ELc85EKddEviT_PT9_S1_lS3_S1_lPT10_S1_li
		.amdhsa_group_segment_fixed_size 4096
		.amdhsa_private_segment_fixed_size 0
		.amdhsa_kernarg_size 84
		.amdhsa_user_sgpr_count 13
		.amdhsa_user_sgpr_dispatch_ptr 0
		.amdhsa_user_sgpr_queue_ptr 0
		.amdhsa_user_sgpr_kernarg_segment_ptr 1
		.amdhsa_user_sgpr_dispatch_id 0
		.amdhsa_user_sgpr_private_segment_size 0
		.amdhsa_wavefront_size32 1
		.amdhsa_uses_dynamic_stack 0
		.amdhsa_enable_private_segment 0
		.amdhsa_system_sgpr_workgroup_id_x 1
		.amdhsa_system_sgpr_workgroup_id_y 1
		.amdhsa_system_sgpr_workgroup_id_z 1
		.amdhsa_system_sgpr_workgroup_info 0
		.amdhsa_system_vgpr_workitem_id 1
		.amdhsa_next_free_vgpr 38
		.amdhsa_next_free_sgpr 23
		.amdhsa_reserve_vcc 1
		.amdhsa_float_round_mode_32 0
		.amdhsa_float_round_mode_16_64 0
		.amdhsa_float_denorm_mode_32 3
		.amdhsa_float_denorm_mode_16_64 3
		.amdhsa_dx10_clamp 1
		.amdhsa_ieee_mode 1
		.amdhsa_fp16_overflow 0
		.amdhsa_workgroup_processor_mode 1
		.amdhsa_memory_ordered 1
		.amdhsa_forward_progress 0
		.amdhsa_shared_vgpr_count 0
		.amdhsa_exception_fp_ieee_invalid_op 0
		.amdhsa_exception_fp_denorm_src 0
		.amdhsa_exception_fp_ieee_div_zero 0
		.amdhsa_exception_fp_ieee_overflow 0
		.amdhsa_exception_fp_ieee_underflow 0
		.amdhsa_exception_fp_ieee_inexact 0
		.amdhsa_exception_int_div_zero 0
	.end_amdhsa_kernel
	.section	.text._ZL37rocblas_syrkx_herkx_restricted_kernelIidLi16ELi32ELi8ELi1ELi0ELb0ELc78ELc85EKddEviT_PT9_S1_lS3_S1_lPT10_S1_li,"axG",@progbits,_ZL37rocblas_syrkx_herkx_restricted_kernelIidLi16ELi32ELi8ELi1ELi0ELb0ELc78ELc85EKddEviT_PT9_S1_lS3_S1_lPT10_S1_li,comdat
.Lfunc_end96:
	.size	_ZL37rocblas_syrkx_herkx_restricted_kernelIidLi16ELi32ELi8ELi1ELi0ELb0ELc78ELc85EKddEviT_PT9_S1_lS3_S1_lPT10_S1_li, .Lfunc_end96-_ZL37rocblas_syrkx_herkx_restricted_kernelIidLi16ELi32ELi8ELi1ELi0ELb0ELc78ELc85EKddEviT_PT9_S1_lS3_S1_lPT10_S1_li
                                        ; -- End function
	.section	.AMDGPU.csdata,"",@progbits
; Kernel info:
; codeLenInByte = 1376
; NumSgprs: 25
; NumVgprs: 38
; ScratchSize: 0
; MemoryBound: 0
; FloatMode: 240
; IeeeMode: 1
; LDSByteSize: 4096 bytes/workgroup (compile time only)
; SGPRBlocks: 3
; VGPRBlocks: 4
; NumSGPRsForWavesPerEU: 25
; NumVGPRsForWavesPerEU: 38
; Occupancy: 16
; WaveLimiterHint : 0
; COMPUTE_PGM_RSRC2:SCRATCH_EN: 0
; COMPUTE_PGM_RSRC2:USER_SGPR: 13
; COMPUTE_PGM_RSRC2:TRAP_HANDLER: 0
; COMPUTE_PGM_RSRC2:TGID_X_EN: 1
; COMPUTE_PGM_RSRC2:TGID_Y_EN: 1
; COMPUTE_PGM_RSRC2:TGID_Z_EN: 1
; COMPUTE_PGM_RSRC2:TIDIG_COMP_CNT: 1
	.section	.text._ZL37rocblas_syrkx_herkx_restricted_kernelIidLi16ELi32ELi8ELin1ELi0ELb0ELc84ELc76EKddEviT_PT9_S1_lS3_S1_lPT10_S1_li,"axG",@progbits,_ZL37rocblas_syrkx_herkx_restricted_kernelIidLi16ELi32ELi8ELin1ELi0ELb0ELc84ELc76EKddEviT_PT9_S1_lS3_S1_lPT10_S1_li,comdat
	.globl	_ZL37rocblas_syrkx_herkx_restricted_kernelIidLi16ELi32ELi8ELin1ELi0ELb0ELc84ELc76EKddEviT_PT9_S1_lS3_S1_lPT10_S1_li ; -- Begin function _ZL37rocblas_syrkx_herkx_restricted_kernelIidLi16ELi32ELi8ELin1ELi0ELb0ELc84ELc76EKddEviT_PT9_S1_lS3_S1_lPT10_S1_li
	.p2align	8
	.type	_ZL37rocblas_syrkx_herkx_restricted_kernelIidLi16ELi32ELi8ELin1ELi0ELb0ELc84ELc76EKddEviT_PT9_S1_lS3_S1_lPT10_S1_li,@function
_ZL37rocblas_syrkx_herkx_restricted_kernelIidLi16ELi32ELi8ELin1ELi0ELb0ELc84ELc76EKddEviT_PT9_S1_lS3_S1_lPT10_S1_li: ; @_ZL37rocblas_syrkx_herkx_restricted_kernelIidLi16ELi32ELi8ELin1ELi0ELb0ELc84ELc76EKddEviT_PT9_S1_lS3_S1_lPT10_S1_li
; %bb.0:
	s_clause 0x1
	s_load_b64 s[2:3], s[0:1], 0x0
	s_load_b128 s[4:7], s[0:1], 0x30
	v_mov_b32_e32 v10, 0
	v_dual_mov_b32 v11, 0 :: v_dual_and_b32 v12, 0x3ff, v0
	v_bfe_u32 v13, v0, 10, 10
	s_delay_alu instid0(VALU_DEP_3) | instskip(NEXT) | instid1(VALU_DEP_3)
	v_mov_b32_e32 v6, v10
	v_dual_mov_b32 v2, v10 :: v_dual_mov_b32 v3, v11
	v_dual_mov_b32 v7, v11 :: v_dual_mov_b32 v0, v10
	v_mov_b32_e32 v1, v11
	s_lshl_b32 s12, s13, 5
	s_lshl_b32 s13, s14, 5
	s_mov_b32 s14, 0
	s_waitcnt lgkmcnt(0)
	s_cmp_lt_i32 s3, 1
	s_cbranch_scc1 .LBB97_3
; %bb.1:
	s_clause 0x1
	s_load_b32 s18, s[0:1], 0x10
	s_load_b128 s[8:11], s[0:1], 0x18
	v_lshl_add_u32 v2, v13, 4, v12
	v_dual_mov_b32 v1, 0 :: v_dual_and_b32 v0, 7, v12
	s_clause 0x1
	s_load_b64 s[16:17], s[0:1], 0x8
	s_load_b32 s19, s[0:1], 0x28
	v_lshlrev_b32_e32 v14, 3, v12
	v_lshrrev_b32_e32 v4, 3, v2
	v_and_b32_e32 v5, 31, v2
	v_lshlrev_b32_e32 v3, 3, v0
	v_lshrrev_b32_e32 v2, 5, v2
	s_mul_i32 s5, s5, s15
	v_add_nc_u32_e32 v9, s13, v4
	v_add_nc_u32_e32 v8, s12, v5
	v_lshl_or_b32 v7, v4, 6, v3
	v_dual_mov_b32 v3, v1 :: v_dual_lshlrev_b32 v6, 3, v5
	v_lshl_add_u32 v17, v13, 6, 0x800
	s_waitcnt lgkmcnt(0)
	s_delay_alu instid0(VALU_DEP_2) | instskip(NEXT) | instid1(VALU_DEP_3)
	v_mad_i64_i32 v[4:5], null, s18, v8, v[2:3]
	v_lshl_or_b32 v15, v2, 8, v6
	s_mul_i32 s9, s9, s15
	s_mul_hi_u32 s18, s8, s15
	v_mad_i64_i32 v[2:3], null, s19, v9, v[0:1]
	s_mul_i32 s8, s8, s15
	s_add_i32 s9, s18, s9
	s_delay_alu instid0(VALU_DEP_3) | instskip(SKIP_1) | instid1(SALU_CYCLE_1)
	v_lshlrev_b64 v[0:1], 3, v[4:5]
	s_lshl_b64 s[8:9], s[8:9], 3
	s_add_u32 s8, s16, s8
	s_mul_hi_u32 s16, s4, s15
	s_addc_u32 s9, s17, s9
	s_add_i32 s5, s16, s5
	s_mul_i32 s4, s4, s15
	v_lshlrev_b64 v[2:3], 3, v[2:3]
	v_add_co_u32 v4, vcc_lo, s8, v0
	s_lshl_b64 s[4:5], s[4:5], 3
	v_add_co_ci_u32_e32 v5, vcc_lo, s9, v1, vcc_lo
	v_mov_b32_e32 v0, 0
	v_mov_b32_e32 v1, 0
	s_add_u32 s4, s10, s4
	s_addc_u32 s5, s11, s5
	v_add_co_u32 v8, vcc_lo, s4, v2
	s_delay_alu instid0(VALU_DEP_2)
	v_dual_mov_b32 v7, v1 :: v_dual_add_nc_u32 v16, 0x800, v7
	v_add_co_ci_u32_e32 v9, vcc_lo, s5, v3, vcc_lo
	v_dual_mov_b32 v3, v1 :: v_dual_mov_b32 v2, v0
	v_dual_mov_b32 v6, v0 :: v_dual_mov_b32 v11, v1
	v_mov_b32_e32 v10, v0
.LBB97_2:                               ; =>This Inner Loop Header: Depth=1
	global_load_b64 v[18:19], v[4:5], off
	global_load_b64 v[20:21], v[8:9], off
	v_add_co_u32 v4, vcc_lo, v4, 64
	v_add_co_ci_u32_e32 v5, vcc_lo, 0, v5, vcc_lo
	v_add_co_u32 v8, vcc_lo, v8, 64
	v_add_co_ci_u32_e32 v9, vcc_lo, 0, v9, vcc_lo
	s_add_i32 s14, s14, 8
	s_waitcnt vmcnt(1)
	ds_store_b64 v15, v[18:19]
	s_waitcnt vmcnt(0)
	ds_store_b64 v16, v[20:21]
	s_waitcnt lgkmcnt(0)
	s_barrier
	buffer_gl0_inv
	ds_load_2addr_b64 v[18:21], v14 offset1:16
	ds_load_b128 v[22:25], v17
	ds_load_b128 v[26:29], v17 offset:1024
	ds_load_b128 v[30:33], v17 offset:16
	;; [unrolled: 1-line block ×3, first 2 shown]
	s_cmp_ge_i32 s14, s3
	s_waitcnt lgkmcnt(3)
	v_fma_f64 v[10:11], v[18:19], v[22:23], v[10:11]
	v_fma_f64 v[6:7], v[20:21], v[22:23], v[6:7]
	s_waitcnt lgkmcnt(2)
	v_fma_f64 v[18:19], v[18:19], v[26:27], v[2:3]
	v_fma_f64 v[20:21], v[20:21], v[26:27], v[0:1]
	ds_load_2addr_b64 v[0:3], v14 offset0:32 offset1:48
	s_waitcnt lgkmcnt(0)
	v_fma_f64 v[10:11], v[0:1], v[24:25], v[10:11]
	v_fma_f64 v[6:7], v[2:3], v[24:25], v[6:7]
	v_fma_f64 v[18:19], v[0:1], v[28:29], v[18:19]
	v_fma_f64 v[20:21], v[2:3], v[28:29], v[20:21]
	ds_load_2addr_b64 v[0:3], v14 offset0:64 offset1:80
	s_waitcnt lgkmcnt(0)
	v_fma_f64 v[10:11], v[0:1], v[30:31], v[10:11]
	v_fma_f64 v[6:7], v[2:3], v[30:31], v[6:7]
	;; [unrolled: 6-line block ×3, first 2 shown]
	v_fma_f64 v[34:35], v[0:1], v[36:37], v[18:19]
	v_fma_f64 v[36:37], v[2:3], v[36:37], v[20:21]
	ds_load_2addr_b64 v[0:3], v14 offset0:128 offset1:144
	ds_load_b128 v[18:21], v17 offset:32
	ds_load_b128 v[22:25], v17 offset:1056
	;; [unrolled: 1-line block ×4, first 2 shown]
	s_waitcnt lgkmcnt(3)
	v_fma_f64 v[10:11], v[0:1], v[18:19], v[10:11]
	v_fma_f64 v[6:7], v[2:3], v[18:19], v[6:7]
	s_waitcnt lgkmcnt(2)
	v_fma_f64 v[18:19], v[0:1], v[22:23], v[34:35]
	v_fma_f64 v[22:23], v[2:3], v[22:23], v[36:37]
	ds_load_2addr_b64 v[0:3], v14 offset0:160 offset1:176
	s_waitcnt lgkmcnt(0)
	v_fma_f64 v[10:11], v[0:1], v[20:21], v[10:11]
	v_fma_f64 v[6:7], v[2:3], v[20:21], v[6:7]
	;; [unrolled: 1-line block ×4, first 2 shown]
	ds_load_2addr_b64 v[0:3], v14 offset0:192 offset1:208
	s_waitcnt lgkmcnt(0)
	v_fma_f64 v[10:11], v[0:1], v[26:27], v[10:11]
	v_fma_f64 v[6:7], v[2:3], v[26:27], v[6:7]
	;; [unrolled: 1-line block ×4, first 2 shown]
	ds_load_2addr_b64 v[18:21], v14 offset0:224 offset1:240
	s_waitcnt lgkmcnt(0)
	s_barrier
	buffer_gl0_inv
	v_fma_f64 v[10:11], v[18:19], v[28:29], v[10:11]
	v_fma_f64 v[6:7], v[20:21], v[28:29], v[6:7]
	;; [unrolled: 1-line block ×4, first 2 shown]
	s_cbranch_scc0 .LBB97_2
.LBB97_3:
	s_clause 0x1
	s_load_b32 s3, s[0:1], 0x40
	s_load_b64 s[4:5], s[0:1], 0x48
	v_add_nc_u32_e32 v13, s13, v13
	v_add_nc_u32_e32 v4, s12, v12
	s_delay_alu instid0(VALU_DEP_1)
	v_cmp_le_i32_e64 s0, v13, v4
	v_cmp_gt_i32_e32 vcc_lo, s2, v4
	s_waitcnt lgkmcnt(0)
	v_mad_i64_i32 v[8:9], null, v13, s3, 0
	s_mul_i32 s1, s15, s5
	s_mul_hi_u32 s5, s15, s4
	s_mul_i32 s4, s15, s4
	s_add_i32 s5, s5, s1
	s_delay_alu instid0(SALU_CYCLE_1) | instskip(NEXT) | instid1(VALU_DEP_1)
	s_lshl_b64 s[4:5], s[4:5], 3
	v_lshlrev_b64 v[8:9], 3, v[8:9]
	s_add_u32 s4, s6, s4
	s_addc_u32 s5, s7, s5
	s_and_b32 s0, s0, vcc_lo
	s_delay_alu instid0(VALU_DEP_1) | instskip(NEXT) | instid1(VALU_DEP_1)
	v_add_co_u32 v12, s1, s4, v8
	v_add_co_ci_u32_e64 v14, s1, s5, v9, s1
	s_and_saveexec_b32 s1, s0
	s_cbranch_execz .LBB97_5
; %bb.4:
	v_ashrrev_i32_e32 v5, 31, v4
	v_xor_b32_e32 v11, 0x80000000, v11
	s_delay_alu instid0(VALU_DEP_2) | instskip(NEXT) | instid1(VALU_DEP_1)
	v_lshlrev_b64 v[8:9], 3, v[4:5]
	v_add_co_u32 v8, s0, v12, v8
	s_delay_alu instid0(VALU_DEP_1)
	v_add_co_ci_u32_e64 v9, s0, v14, v9, s0
	global_store_b64 v[8:9], v[10:11], off
.LBB97_5:
	s_or_b32 exec_lo, exec_lo, s1
	v_add_nc_u32_e32 v8, 16, v4
	s_delay_alu instid0(VALU_DEP_1) | instskip(SKIP_1) | instid1(VALU_DEP_1)
	v_cmp_le_i32_e64 s1, v13, v8
	v_cmp_gt_i32_e64 s0, s2, v8
	s_and_b32 s1, s1, s0
	s_delay_alu instid0(SALU_CYCLE_1)
	s_and_saveexec_b32 s2, s1
	s_cbranch_execz .LBB97_7
; %bb.6:
	v_ashrrev_i32_e32 v9, 31, v8
	v_xor_b32_e32 v7, 0x80000000, v7
	s_delay_alu instid0(VALU_DEP_2) | instskip(NEXT) | instid1(VALU_DEP_1)
	v_lshlrev_b64 v[9:10], 3, v[8:9]
	v_add_co_u32 v9, s1, v12, v9
	s_delay_alu instid0(VALU_DEP_1)
	v_add_co_ci_u32_e64 v10, s1, v14, v10, s1
	global_store_b64 v[9:10], v[6:7], off
.LBB97_7:
	s_or_b32 exec_lo, exec_lo, s2
	v_add_nc_u32_e32 v9, 16, v13
	s_delay_alu instid0(VALU_DEP_1) | instskip(SKIP_1) | instid1(VALU_DEP_2)
	v_mad_i64_i32 v[5:6], null, v9, s3, 0
	v_cmp_le_i32_e64 s1, v9, v4
	v_lshlrev_b64 v[6:7], 3, v[5:6]
	s_delay_alu instid0(VALU_DEP_1) | instskip(NEXT) | instid1(VALU_DEP_1)
	v_add_co_u32 v6, s2, s4, v6
	v_add_co_ci_u32_e64 v7, s2, s5, v7, s2
	s_delay_alu instid0(VALU_DEP_4) | instskip(NEXT) | instid1(SALU_CYCLE_1)
	s_and_b32 s2, s1, vcc_lo
	s_and_saveexec_b32 s1, s2
	s_cbranch_execz .LBB97_9
; %bb.8:
	v_ashrrev_i32_e32 v5, 31, v4
	v_xor_b32_e32 v3, 0x80000000, v3
	s_delay_alu instid0(VALU_DEP_2) | instskip(NEXT) | instid1(VALU_DEP_1)
	v_lshlrev_b64 v[4:5], 3, v[4:5]
	v_add_co_u32 v4, vcc_lo, v6, v4
	s_delay_alu instid0(VALU_DEP_2)
	v_add_co_ci_u32_e32 v5, vcc_lo, v7, v5, vcc_lo
	global_store_b64 v[4:5], v[2:3], off
.LBB97_9:
	s_or_b32 exec_lo, exec_lo, s1
	v_cmp_le_i32_e32 vcc_lo, v9, v8
	s_and_b32 s0, vcc_lo, s0
	s_delay_alu instid0(SALU_CYCLE_1)
	s_and_saveexec_b32 s1, s0
	s_cbranch_execz .LBB97_11
; %bb.10:
	v_ashrrev_i32_e32 v9, 31, v8
	v_xor_b32_e32 v1, 0x80000000, v1
	s_delay_alu instid0(VALU_DEP_2) | instskip(NEXT) | instid1(VALU_DEP_1)
	v_lshlrev_b64 v[2:3], 3, v[8:9]
	v_add_co_u32 v2, vcc_lo, v6, v2
	s_delay_alu instid0(VALU_DEP_2)
	v_add_co_ci_u32_e32 v3, vcc_lo, v7, v3, vcc_lo
	global_store_b64 v[2:3], v[0:1], off
.LBB97_11:
	s_nop 0
	s_sendmsg sendmsg(MSG_DEALLOC_VGPRS)
	s_endpgm
	.section	.rodata,"a",@progbits
	.p2align	6, 0x0
	.amdhsa_kernel _ZL37rocblas_syrkx_herkx_restricted_kernelIidLi16ELi32ELi8ELin1ELi0ELb0ELc84ELc76EKddEviT_PT9_S1_lS3_S1_lPT10_S1_li
		.amdhsa_group_segment_fixed_size 4096
		.amdhsa_private_segment_fixed_size 0
		.amdhsa_kernarg_size 84
		.amdhsa_user_sgpr_count 13
		.amdhsa_user_sgpr_dispatch_ptr 0
		.amdhsa_user_sgpr_queue_ptr 0
		.amdhsa_user_sgpr_kernarg_segment_ptr 1
		.amdhsa_user_sgpr_dispatch_id 0
		.amdhsa_user_sgpr_private_segment_size 0
		.amdhsa_wavefront_size32 1
		.amdhsa_uses_dynamic_stack 0
		.amdhsa_enable_private_segment 0
		.amdhsa_system_sgpr_workgroup_id_x 1
		.amdhsa_system_sgpr_workgroup_id_y 1
		.amdhsa_system_sgpr_workgroup_id_z 1
		.amdhsa_system_sgpr_workgroup_info 0
		.amdhsa_system_vgpr_workitem_id 1
		.amdhsa_next_free_vgpr 38
		.amdhsa_next_free_sgpr 20
		.amdhsa_reserve_vcc 1
		.amdhsa_float_round_mode_32 0
		.amdhsa_float_round_mode_16_64 0
		.amdhsa_float_denorm_mode_32 3
		.amdhsa_float_denorm_mode_16_64 3
		.amdhsa_dx10_clamp 1
		.amdhsa_ieee_mode 1
		.amdhsa_fp16_overflow 0
		.amdhsa_workgroup_processor_mode 1
		.amdhsa_memory_ordered 1
		.amdhsa_forward_progress 0
		.amdhsa_shared_vgpr_count 0
		.amdhsa_exception_fp_ieee_invalid_op 0
		.amdhsa_exception_fp_denorm_src 0
		.amdhsa_exception_fp_ieee_div_zero 0
		.amdhsa_exception_fp_ieee_overflow 0
		.amdhsa_exception_fp_ieee_underflow 0
		.amdhsa_exception_fp_ieee_inexact 0
		.amdhsa_exception_int_div_zero 0
	.end_amdhsa_kernel
	.section	.text._ZL37rocblas_syrkx_herkx_restricted_kernelIidLi16ELi32ELi8ELin1ELi0ELb0ELc84ELc76EKddEviT_PT9_S1_lS3_S1_lPT10_S1_li,"axG",@progbits,_ZL37rocblas_syrkx_herkx_restricted_kernelIidLi16ELi32ELi8ELin1ELi0ELb0ELc84ELc76EKddEviT_PT9_S1_lS3_S1_lPT10_S1_li,comdat
.Lfunc_end97:
	.size	_ZL37rocblas_syrkx_herkx_restricted_kernelIidLi16ELi32ELi8ELin1ELi0ELb0ELc84ELc76EKddEviT_PT9_S1_lS3_S1_lPT10_S1_li, .Lfunc_end97-_ZL37rocblas_syrkx_herkx_restricted_kernelIidLi16ELi32ELi8ELin1ELi0ELb0ELc84ELc76EKddEviT_PT9_S1_lS3_S1_lPT10_S1_li
                                        ; -- End function
	.section	.AMDGPU.csdata,"",@progbits
; Kernel info:
; codeLenInByte = 1392
; NumSgprs: 22
; NumVgprs: 38
; ScratchSize: 0
; MemoryBound: 0
; FloatMode: 240
; IeeeMode: 1
; LDSByteSize: 4096 bytes/workgroup (compile time only)
; SGPRBlocks: 2
; VGPRBlocks: 4
; NumSGPRsForWavesPerEU: 22
; NumVGPRsForWavesPerEU: 38
; Occupancy: 16
; WaveLimiterHint : 0
; COMPUTE_PGM_RSRC2:SCRATCH_EN: 0
; COMPUTE_PGM_RSRC2:USER_SGPR: 13
; COMPUTE_PGM_RSRC2:TRAP_HANDLER: 0
; COMPUTE_PGM_RSRC2:TGID_X_EN: 1
; COMPUTE_PGM_RSRC2:TGID_Y_EN: 1
; COMPUTE_PGM_RSRC2:TGID_Z_EN: 1
; COMPUTE_PGM_RSRC2:TIDIG_COMP_CNT: 1
	.section	.text._ZL37rocblas_syrkx_herkx_restricted_kernelIidLi16ELi32ELi8ELin1ELi0ELb0ELc67ELc76EKddEviT_PT9_S1_lS3_S1_lPT10_S1_li,"axG",@progbits,_ZL37rocblas_syrkx_herkx_restricted_kernelIidLi16ELi32ELi8ELin1ELi0ELb0ELc67ELc76EKddEviT_PT9_S1_lS3_S1_lPT10_S1_li,comdat
	.globl	_ZL37rocblas_syrkx_herkx_restricted_kernelIidLi16ELi32ELi8ELin1ELi0ELb0ELc67ELc76EKddEviT_PT9_S1_lS3_S1_lPT10_S1_li ; -- Begin function _ZL37rocblas_syrkx_herkx_restricted_kernelIidLi16ELi32ELi8ELin1ELi0ELb0ELc67ELc76EKddEviT_PT9_S1_lS3_S1_lPT10_S1_li
	.p2align	8
	.type	_ZL37rocblas_syrkx_herkx_restricted_kernelIidLi16ELi32ELi8ELin1ELi0ELb0ELc67ELc76EKddEviT_PT9_S1_lS3_S1_lPT10_S1_li,@function
_ZL37rocblas_syrkx_herkx_restricted_kernelIidLi16ELi32ELi8ELin1ELi0ELb0ELc67ELc76EKddEviT_PT9_S1_lS3_S1_lPT10_S1_li: ; @_ZL37rocblas_syrkx_herkx_restricted_kernelIidLi16ELi32ELi8ELin1ELi0ELb0ELc67ELc76EKddEviT_PT9_S1_lS3_S1_lPT10_S1_li
; %bb.0:
	s_clause 0x1
	s_load_b64 s[2:3], s[0:1], 0x0
	s_load_b128 s[4:7], s[0:1], 0x30
	v_mov_b32_e32 v10, 0
	v_dual_mov_b32 v11, 0 :: v_dual_and_b32 v12, 0x3ff, v0
	v_bfe_u32 v13, v0, 10, 10
	s_delay_alu instid0(VALU_DEP_3) | instskip(NEXT) | instid1(VALU_DEP_3)
	v_mov_b32_e32 v6, v10
	v_dual_mov_b32 v2, v10 :: v_dual_mov_b32 v3, v11
	v_dual_mov_b32 v7, v11 :: v_dual_mov_b32 v0, v10
	v_mov_b32_e32 v1, v11
	s_lshl_b32 s12, s13, 5
	s_lshl_b32 s13, s14, 5
	s_mov_b32 s14, 0
	s_waitcnt lgkmcnt(0)
	s_cmp_lt_i32 s3, 1
	s_cbranch_scc1 .LBB98_3
; %bb.1:
	s_clause 0x1
	s_load_b32 s18, s[0:1], 0x10
	s_load_b128 s[8:11], s[0:1], 0x18
	v_lshl_add_u32 v2, v13, 4, v12
	v_dual_mov_b32 v1, 0 :: v_dual_and_b32 v0, 7, v12
	s_clause 0x1
	s_load_b64 s[16:17], s[0:1], 0x8
	s_load_b32 s19, s[0:1], 0x28
	v_lshlrev_b32_e32 v14, 3, v12
	v_lshrrev_b32_e32 v4, 3, v2
	v_and_b32_e32 v5, 31, v2
	v_lshlrev_b32_e32 v3, 3, v0
	v_lshrrev_b32_e32 v2, 5, v2
	s_mul_i32 s5, s5, s15
	v_add_nc_u32_e32 v9, s13, v4
	v_add_nc_u32_e32 v8, s12, v5
	v_lshl_or_b32 v7, v4, 6, v3
	v_dual_mov_b32 v3, v1 :: v_dual_lshlrev_b32 v6, 3, v5
	v_lshl_add_u32 v17, v13, 6, 0x800
	s_waitcnt lgkmcnt(0)
	s_delay_alu instid0(VALU_DEP_2) | instskip(NEXT) | instid1(VALU_DEP_3)
	v_mad_i64_i32 v[4:5], null, s18, v8, v[2:3]
	v_lshl_or_b32 v15, v2, 8, v6
	s_mul_i32 s9, s9, s15
	s_mul_hi_u32 s18, s8, s15
	v_mad_i64_i32 v[2:3], null, s19, v9, v[0:1]
	s_mul_i32 s8, s8, s15
	s_add_i32 s9, s18, s9
	s_delay_alu instid0(VALU_DEP_3) | instskip(SKIP_1) | instid1(SALU_CYCLE_1)
	v_lshlrev_b64 v[0:1], 3, v[4:5]
	s_lshl_b64 s[8:9], s[8:9], 3
	s_add_u32 s8, s16, s8
	s_mul_hi_u32 s16, s4, s15
	s_addc_u32 s9, s17, s9
	s_add_i32 s5, s16, s5
	s_mul_i32 s4, s4, s15
	v_lshlrev_b64 v[2:3], 3, v[2:3]
	v_add_co_u32 v4, vcc_lo, s8, v0
	s_lshl_b64 s[4:5], s[4:5], 3
	v_add_co_ci_u32_e32 v5, vcc_lo, s9, v1, vcc_lo
	v_mov_b32_e32 v0, 0
	v_mov_b32_e32 v1, 0
	s_add_u32 s4, s10, s4
	s_addc_u32 s5, s11, s5
	v_add_co_u32 v8, vcc_lo, s4, v2
	s_delay_alu instid0(VALU_DEP_2)
	v_dual_mov_b32 v7, v1 :: v_dual_add_nc_u32 v16, 0x800, v7
	v_add_co_ci_u32_e32 v9, vcc_lo, s5, v3, vcc_lo
	v_dual_mov_b32 v3, v1 :: v_dual_mov_b32 v2, v0
	v_dual_mov_b32 v6, v0 :: v_dual_mov_b32 v11, v1
	v_mov_b32_e32 v10, v0
.LBB98_2:                               ; =>This Inner Loop Header: Depth=1
	global_load_b64 v[18:19], v[4:5], off
	global_load_b64 v[20:21], v[8:9], off
	v_add_co_u32 v4, vcc_lo, v4, 64
	v_add_co_ci_u32_e32 v5, vcc_lo, 0, v5, vcc_lo
	v_add_co_u32 v8, vcc_lo, v8, 64
	v_add_co_ci_u32_e32 v9, vcc_lo, 0, v9, vcc_lo
	s_add_i32 s14, s14, 8
	s_waitcnt vmcnt(1)
	ds_store_b64 v15, v[18:19]
	s_waitcnt vmcnt(0)
	ds_store_b64 v16, v[20:21]
	s_waitcnt lgkmcnt(0)
	s_barrier
	buffer_gl0_inv
	ds_load_2addr_b64 v[18:21], v14 offset1:16
	ds_load_b128 v[22:25], v17
	ds_load_b128 v[26:29], v17 offset:1024
	ds_load_b128 v[30:33], v17 offset:16
	;; [unrolled: 1-line block ×3, first 2 shown]
	s_cmp_ge_i32 s14, s3
	s_waitcnt lgkmcnt(3)
	v_fma_f64 v[10:11], v[18:19], v[22:23], v[10:11]
	v_fma_f64 v[6:7], v[20:21], v[22:23], v[6:7]
	s_waitcnt lgkmcnt(2)
	v_fma_f64 v[18:19], v[18:19], v[26:27], v[2:3]
	v_fma_f64 v[20:21], v[20:21], v[26:27], v[0:1]
	ds_load_2addr_b64 v[0:3], v14 offset0:32 offset1:48
	s_waitcnt lgkmcnt(0)
	v_fma_f64 v[10:11], v[0:1], v[24:25], v[10:11]
	v_fma_f64 v[6:7], v[2:3], v[24:25], v[6:7]
	v_fma_f64 v[18:19], v[0:1], v[28:29], v[18:19]
	v_fma_f64 v[20:21], v[2:3], v[28:29], v[20:21]
	ds_load_2addr_b64 v[0:3], v14 offset0:64 offset1:80
	s_waitcnt lgkmcnt(0)
	v_fma_f64 v[10:11], v[0:1], v[30:31], v[10:11]
	v_fma_f64 v[6:7], v[2:3], v[30:31], v[6:7]
	;; [unrolled: 6-line block ×3, first 2 shown]
	v_fma_f64 v[34:35], v[0:1], v[36:37], v[18:19]
	v_fma_f64 v[36:37], v[2:3], v[36:37], v[20:21]
	ds_load_2addr_b64 v[0:3], v14 offset0:128 offset1:144
	ds_load_b128 v[18:21], v17 offset:32
	ds_load_b128 v[22:25], v17 offset:1056
	;; [unrolled: 1-line block ×4, first 2 shown]
	s_waitcnt lgkmcnt(3)
	v_fma_f64 v[10:11], v[0:1], v[18:19], v[10:11]
	v_fma_f64 v[6:7], v[2:3], v[18:19], v[6:7]
	s_waitcnt lgkmcnt(2)
	v_fma_f64 v[18:19], v[0:1], v[22:23], v[34:35]
	v_fma_f64 v[22:23], v[2:3], v[22:23], v[36:37]
	ds_load_2addr_b64 v[0:3], v14 offset0:160 offset1:176
	s_waitcnt lgkmcnt(0)
	v_fma_f64 v[10:11], v[0:1], v[20:21], v[10:11]
	v_fma_f64 v[6:7], v[2:3], v[20:21], v[6:7]
	;; [unrolled: 1-line block ×4, first 2 shown]
	ds_load_2addr_b64 v[0:3], v14 offset0:192 offset1:208
	s_waitcnt lgkmcnt(0)
	v_fma_f64 v[10:11], v[0:1], v[26:27], v[10:11]
	v_fma_f64 v[6:7], v[2:3], v[26:27], v[6:7]
	;; [unrolled: 1-line block ×4, first 2 shown]
	ds_load_2addr_b64 v[18:21], v14 offset0:224 offset1:240
	s_waitcnt lgkmcnt(0)
	s_barrier
	buffer_gl0_inv
	v_fma_f64 v[10:11], v[18:19], v[28:29], v[10:11]
	v_fma_f64 v[6:7], v[20:21], v[28:29], v[6:7]
	;; [unrolled: 1-line block ×4, first 2 shown]
	s_cbranch_scc0 .LBB98_2
.LBB98_3:
	s_clause 0x1
	s_load_b32 s3, s[0:1], 0x40
	s_load_b64 s[4:5], s[0:1], 0x48
	v_add_nc_u32_e32 v13, s13, v13
	v_add_nc_u32_e32 v4, s12, v12
	s_delay_alu instid0(VALU_DEP_1)
	v_cmp_le_i32_e64 s0, v13, v4
	v_cmp_gt_i32_e32 vcc_lo, s2, v4
	s_waitcnt lgkmcnt(0)
	v_mad_i64_i32 v[8:9], null, v13, s3, 0
	s_mul_i32 s1, s15, s5
	s_mul_hi_u32 s5, s15, s4
	s_mul_i32 s4, s15, s4
	s_add_i32 s5, s5, s1
	s_delay_alu instid0(SALU_CYCLE_1) | instskip(NEXT) | instid1(VALU_DEP_1)
	s_lshl_b64 s[4:5], s[4:5], 3
	v_lshlrev_b64 v[8:9], 3, v[8:9]
	s_add_u32 s4, s6, s4
	s_addc_u32 s5, s7, s5
	s_and_b32 s0, s0, vcc_lo
	s_delay_alu instid0(VALU_DEP_1) | instskip(NEXT) | instid1(VALU_DEP_1)
	v_add_co_u32 v12, s1, s4, v8
	v_add_co_ci_u32_e64 v14, s1, s5, v9, s1
	s_and_saveexec_b32 s1, s0
	s_cbranch_execz .LBB98_5
; %bb.4:
	v_ashrrev_i32_e32 v5, 31, v4
	v_xor_b32_e32 v11, 0x80000000, v11
	s_delay_alu instid0(VALU_DEP_2) | instskip(NEXT) | instid1(VALU_DEP_1)
	v_lshlrev_b64 v[8:9], 3, v[4:5]
	v_add_co_u32 v8, s0, v12, v8
	s_delay_alu instid0(VALU_DEP_1)
	v_add_co_ci_u32_e64 v9, s0, v14, v9, s0
	global_store_b64 v[8:9], v[10:11], off
.LBB98_5:
	s_or_b32 exec_lo, exec_lo, s1
	v_add_nc_u32_e32 v8, 16, v4
	s_delay_alu instid0(VALU_DEP_1) | instskip(SKIP_1) | instid1(VALU_DEP_1)
	v_cmp_le_i32_e64 s1, v13, v8
	v_cmp_gt_i32_e64 s0, s2, v8
	s_and_b32 s1, s1, s0
	s_delay_alu instid0(SALU_CYCLE_1)
	s_and_saveexec_b32 s2, s1
	s_cbranch_execz .LBB98_7
; %bb.6:
	v_ashrrev_i32_e32 v9, 31, v8
	v_xor_b32_e32 v7, 0x80000000, v7
	s_delay_alu instid0(VALU_DEP_2) | instskip(NEXT) | instid1(VALU_DEP_1)
	v_lshlrev_b64 v[9:10], 3, v[8:9]
	v_add_co_u32 v9, s1, v12, v9
	s_delay_alu instid0(VALU_DEP_1)
	v_add_co_ci_u32_e64 v10, s1, v14, v10, s1
	global_store_b64 v[9:10], v[6:7], off
.LBB98_7:
	s_or_b32 exec_lo, exec_lo, s2
	v_add_nc_u32_e32 v9, 16, v13
	s_delay_alu instid0(VALU_DEP_1) | instskip(SKIP_1) | instid1(VALU_DEP_2)
	v_mad_i64_i32 v[5:6], null, v9, s3, 0
	v_cmp_le_i32_e64 s1, v9, v4
	v_lshlrev_b64 v[6:7], 3, v[5:6]
	s_delay_alu instid0(VALU_DEP_1) | instskip(NEXT) | instid1(VALU_DEP_1)
	v_add_co_u32 v6, s2, s4, v6
	v_add_co_ci_u32_e64 v7, s2, s5, v7, s2
	s_delay_alu instid0(VALU_DEP_4) | instskip(NEXT) | instid1(SALU_CYCLE_1)
	s_and_b32 s2, s1, vcc_lo
	s_and_saveexec_b32 s1, s2
	s_cbranch_execz .LBB98_9
; %bb.8:
	v_ashrrev_i32_e32 v5, 31, v4
	v_xor_b32_e32 v3, 0x80000000, v3
	s_delay_alu instid0(VALU_DEP_2) | instskip(NEXT) | instid1(VALU_DEP_1)
	v_lshlrev_b64 v[4:5], 3, v[4:5]
	v_add_co_u32 v4, vcc_lo, v6, v4
	s_delay_alu instid0(VALU_DEP_2)
	v_add_co_ci_u32_e32 v5, vcc_lo, v7, v5, vcc_lo
	global_store_b64 v[4:5], v[2:3], off
.LBB98_9:
	s_or_b32 exec_lo, exec_lo, s1
	v_cmp_le_i32_e32 vcc_lo, v9, v8
	s_and_b32 s0, vcc_lo, s0
	s_delay_alu instid0(SALU_CYCLE_1)
	s_and_saveexec_b32 s1, s0
	s_cbranch_execz .LBB98_11
; %bb.10:
	v_ashrrev_i32_e32 v9, 31, v8
	v_xor_b32_e32 v1, 0x80000000, v1
	s_delay_alu instid0(VALU_DEP_2) | instskip(NEXT) | instid1(VALU_DEP_1)
	v_lshlrev_b64 v[2:3], 3, v[8:9]
	v_add_co_u32 v2, vcc_lo, v6, v2
	s_delay_alu instid0(VALU_DEP_2)
	v_add_co_ci_u32_e32 v3, vcc_lo, v7, v3, vcc_lo
	global_store_b64 v[2:3], v[0:1], off
.LBB98_11:
	s_nop 0
	s_sendmsg sendmsg(MSG_DEALLOC_VGPRS)
	s_endpgm
	.section	.rodata,"a",@progbits
	.p2align	6, 0x0
	.amdhsa_kernel _ZL37rocblas_syrkx_herkx_restricted_kernelIidLi16ELi32ELi8ELin1ELi0ELb0ELc67ELc76EKddEviT_PT9_S1_lS3_S1_lPT10_S1_li
		.amdhsa_group_segment_fixed_size 4096
		.amdhsa_private_segment_fixed_size 0
		.amdhsa_kernarg_size 84
		.amdhsa_user_sgpr_count 13
		.amdhsa_user_sgpr_dispatch_ptr 0
		.amdhsa_user_sgpr_queue_ptr 0
		.amdhsa_user_sgpr_kernarg_segment_ptr 1
		.amdhsa_user_sgpr_dispatch_id 0
		.amdhsa_user_sgpr_private_segment_size 0
		.amdhsa_wavefront_size32 1
		.amdhsa_uses_dynamic_stack 0
		.amdhsa_enable_private_segment 0
		.amdhsa_system_sgpr_workgroup_id_x 1
		.amdhsa_system_sgpr_workgroup_id_y 1
		.amdhsa_system_sgpr_workgroup_id_z 1
		.amdhsa_system_sgpr_workgroup_info 0
		.amdhsa_system_vgpr_workitem_id 1
		.amdhsa_next_free_vgpr 38
		.amdhsa_next_free_sgpr 20
		.amdhsa_reserve_vcc 1
		.amdhsa_float_round_mode_32 0
		.amdhsa_float_round_mode_16_64 0
		.amdhsa_float_denorm_mode_32 3
		.amdhsa_float_denorm_mode_16_64 3
		.amdhsa_dx10_clamp 1
		.amdhsa_ieee_mode 1
		.amdhsa_fp16_overflow 0
		.amdhsa_workgroup_processor_mode 1
		.amdhsa_memory_ordered 1
		.amdhsa_forward_progress 0
		.amdhsa_shared_vgpr_count 0
		.amdhsa_exception_fp_ieee_invalid_op 0
		.amdhsa_exception_fp_denorm_src 0
		.amdhsa_exception_fp_ieee_div_zero 0
		.amdhsa_exception_fp_ieee_overflow 0
		.amdhsa_exception_fp_ieee_underflow 0
		.amdhsa_exception_fp_ieee_inexact 0
		.amdhsa_exception_int_div_zero 0
	.end_amdhsa_kernel
	.section	.text._ZL37rocblas_syrkx_herkx_restricted_kernelIidLi16ELi32ELi8ELin1ELi0ELb0ELc67ELc76EKddEviT_PT9_S1_lS3_S1_lPT10_S1_li,"axG",@progbits,_ZL37rocblas_syrkx_herkx_restricted_kernelIidLi16ELi32ELi8ELin1ELi0ELb0ELc67ELc76EKddEviT_PT9_S1_lS3_S1_lPT10_S1_li,comdat
.Lfunc_end98:
	.size	_ZL37rocblas_syrkx_herkx_restricted_kernelIidLi16ELi32ELi8ELin1ELi0ELb0ELc67ELc76EKddEviT_PT9_S1_lS3_S1_lPT10_S1_li, .Lfunc_end98-_ZL37rocblas_syrkx_herkx_restricted_kernelIidLi16ELi32ELi8ELin1ELi0ELb0ELc67ELc76EKddEviT_PT9_S1_lS3_S1_lPT10_S1_li
                                        ; -- End function
	.section	.AMDGPU.csdata,"",@progbits
; Kernel info:
; codeLenInByte = 1392
; NumSgprs: 22
; NumVgprs: 38
; ScratchSize: 0
; MemoryBound: 0
; FloatMode: 240
; IeeeMode: 1
; LDSByteSize: 4096 bytes/workgroup (compile time only)
; SGPRBlocks: 2
; VGPRBlocks: 4
; NumSGPRsForWavesPerEU: 22
; NumVGPRsForWavesPerEU: 38
; Occupancy: 16
; WaveLimiterHint : 0
; COMPUTE_PGM_RSRC2:SCRATCH_EN: 0
; COMPUTE_PGM_RSRC2:USER_SGPR: 13
; COMPUTE_PGM_RSRC2:TRAP_HANDLER: 0
; COMPUTE_PGM_RSRC2:TGID_X_EN: 1
; COMPUTE_PGM_RSRC2:TGID_Y_EN: 1
; COMPUTE_PGM_RSRC2:TGID_Z_EN: 1
; COMPUTE_PGM_RSRC2:TIDIG_COMP_CNT: 1
	.section	.text._ZL37rocblas_syrkx_herkx_restricted_kernelIidLi16ELi32ELi8ELin1ELi0ELb0ELc78ELc76EKddEviT_PT9_S1_lS3_S1_lPT10_S1_li,"axG",@progbits,_ZL37rocblas_syrkx_herkx_restricted_kernelIidLi16ELi32ELi8ELin1ELi0ELb0ELc78ELc76EKddEviT_PT9_S1_lS3_S1_lPT10_S1_li,comdat
	.globl	_ZL37rocblas_syrkx_herkx_restricted_kernelIidLi16ELi32ELi8ELin1ELi0ELb0ELc78ELc76EKddEviT_PT9_S1_lS3_S1_lPT10_S1_li ; -- Begin function _ZL37rocblas_syrkx_herkx_restricted_kernelIidLi16ELi32ELi8ELin1ELi0ELb0ELc78ELc76EKddEviT_PT9_S1_lS3_S1_lPT10_S1_li
	.p2align	8
	.type	_ZL37rocblas_syrkx_herkx_restricted_kernelIidLi16ELi32ELi8ELin1ELi0ELb0ELc78ELc76EKddEviT_PT9_S1_lS3_S1_lPT10_S1_li,@function
_ZL37rocblas_syrkx_herkx_restricted_kernelIidLi16ELi32ELi8ELin1ELi0ELb0ELc78ELc76EKddEviT_PT9_S1_lS3_S1_lPT10_S1_li: ; @_ZL37rocblas_syrkx_herkx_restricted_kernelIidLi16ELi32ELi8ELin1ELi0ELb0ELc78ELc76EKddEviT_PT9_S1_lS3_S1_lPT10_S1_li
; %bb.0:
	s_clause 0x1
	s_load_b64 s[2:3], s[0:1], 0x0
	s_load_b128 s[4:7], s[0:1], 0x30
	v_mov_b32_e32 v10, 0
	v_dual_mov_b32 v11, 0 :: v_dual_and_b32 v12, 0x3ff, v0
	v_bfe_u32 v13, v0, 10, 10
	s_delay_alu instid0(VALU_DEP_3) | instskip(NEXT) | instid1(VALU_DEP_3)
	v_mov_b32_e32 v6, v10
	v_dual_mov_b32 v2, v10 :: v_dual_mov_b32 v3, v11
	v_dual_mov_b32 v7, v11 :: v_dual_mov_b32 v0, v10
	v_mov_b32_e32 v1, v11
	s_lshl_b32 s12, s13, 5
	s_lshl_b32 s13, s14, 5
	s_mov_b32 s14, 0
	s_waitcnt lgkmcnt(0)
	s_cmp_lt_i32 s3, 1
	s_cbranch_scc1 .LBB99_3
; %bb.1:
	s_clause 0x1
	s_load_b32 s16, s[0:1], 0x10
	s_load_b32 s18, s[0:1], 0x28
	v_lshl_add_u32 v0, v13, 4, v12
	v_and_b32_e32 v4, 7, v12
	s_clause 0x1
	s_load_b128 s[8:11], s[0:1], 0x18
	s_load_b64 s[20:21], s[0:1], 0x8
	s_mul_i32 s5, s5, s15
	v_lshrrev_b32_e32 v1, 3, v0
	v_and_b32_e32 v2, 31, v0
	v_lshrrev_b32_e32 v5, 5, v0
	v_lshlrev_b32_e32 v3, 3, v4
	v_lshlrev_b32_e32 v16, 3, v12
	v_add_nc_u32_e32 v0, s13, v1
	v_lshlrev_b32_e32 v6, 3, v2
	v_add_nc_u32_e32 v2, s12, v2
	v_lshl_or_b32 v8, v1, 6, v3
	v_lshl_add_u32 v17, v13, 6, 0x800
	v_ashrrev_i32_e32 v1, 31, v0
	v_lshl_or_b32 v14, v5, 8, v6
	v_ashrrev_i32_e32 v3, 31, v2
	s_waitcnt lgkmcnt(0)
	s_ashr_i32 s17, s16, 31
	s_ashr_i32 s19, s18, 31
	v_mad_i64_i32 v[6:7], null, s18, v4, v[0:1]
	v_mad_i64_i32 v[0:1], null, s16, v5, v[2:3]
	s_mul_i32 s9, s9, s15
	s_mul_hi_u32 s22, s8, s15
	s_mul_i32 s8, s8, s15
	s_add_i32 s9, s22, s9
	s_delay_alu instid0(VALU_DEP_2) | instskip(SKIP_1) | instid1(VALU_DEP_2)
	v_lshlrev_b64 v[2:3], 3, v[6:7]
	s_lshl_b64 s[8:9], s[8:9], 3
	v_lshlrev_b64 v[0:1], 3, v[0:1]
	s_add_u32 s8, s20, s8
	s_mul_hi_u32 s20, s4, s15
	s_addc_u32 s9, s21, s9
	s_add_i32 s5, s20, s5
	s_mul_i32 s4, s4, s15
	v_add_co_u32 v4, vcc_lo, s8, v0
	v_add_co_ci_u32_e32 v5, vcc_lo, s9, v1, vcc_lo
	s_lshl_b64 s[8:9], s[4:5], 3
	v_mov_b32_e32 v0, 0
	s_lshl_b64 s[4:5], s[16:17], 6
	v_mov_b32_e32 v1, 0
	s_add_u32 s8, s10, s8
	v_add_nc_u32_e32 v15, 0x800, v8
	s_addc_u32 s9, s11, s9
	v_add_co_u32 v8, vcc_lo, s8, v2
	v_add_co_ci_u32_e32 v9, vcc_lo, s9, v3, vcc_lo
	v_dual_mov_b32 v3, v1 :: v_dual_mov_b32 v2, v0
	v_mov_b32_e32 v7, v1
	v_dual_mov_b32 v11, v1 :: v_dual_mov_b32 v6, v0
	v_mov_b32_e32 v10, v0
	s_lshl_b64 s[8:9], s[18:19], 6
.LBB99_2:                               ; =>This Inner Loop Header: Depth=1
	global_load_b64 v[18:19], v[4:5], off
	global_load_b64 v[20:21], v[8:9], off
	v_add_co_u32 v4, vcc_lo, v4, s4
	v_add_co_ci_u32_e32 v5, vcc_lo, s5, v5, vcc_lo
	v_add_co_u32 v8, vcc_lo, v8, s8
	v_add_co_ci_u32_e32 v9, vcc_lo, s9, v9, vcc_lo
	s_add_i32 s14, s14, 8
	s_waitcnt vmcnt(1)
	ds_store_b64 v14, v[18:19]
	s_waitcnt vmcnt(0)
	ds_store_b64 v15, v[20:21]
	s_waitcnt lgkmcnt(0)
	s_barrier
	buffer_gl0_inv
	ds_load_2addr_b64 v[18:21], v16 offset1:16
	ds_load_b128 v[22:25], v17
	ds_load_b128 v[26:29], v17 offset:1024
	ds_load_b128 v[30:33], v17 offset:16
	;; [unrolled: 1-line block ×3, first 2 shown]
	s_cmp_ge_i32 s14, s3
	s_waitcnt lgkmcnt(3)
	v_fma_f64 v[10:11], v[18:19], v[22:23], v[10:11]
	v_fma_f64 v[6:7], v[20:21], v[22:23], v[6:7]
	s_waitcnt lgkmcnt(2)
	v_fma_f64 v[18:19], v[18:19], v[26:27], v[2:3]
	v_fma_f64 v[20:21], v[20:21], v[26:27], v[0:1]
	ds_load_2addr_b64 v[0:3], v16 offset0:32 offset1:48
	s_waitcnt lgkmcnt(0)
	v_fma_f64 v[10:11], v[0:1], v[24:25], v[10:11]
	v_fma_f64 v[6:7], v[2:3], v[24:25], v[6:7]
	v_fma_f64 v[18:19], v[0:1], v[28:29], v[18:19]
	v_fma_f64 v[20:21], v[2:3], v[28:29], v[20:21]
	ds_load_2addr_b64 v[0:3], v16 offset0:64 offset1:80
	s_waitcnt lgkmcnt(0)
	v_fma_f64 v[10:11], v[0:1], v[30:31], v[10:11]
	v_fma_f64 v[6:7], v[2:3], v[30:31], v[6:7]
	;; [unrolled: 6-line block ×3, first 2 shown]
	v_fma_f64 v[34:35], v[0:1], v[36:37], v[18:19]
	v_fma_f64 v[36:37], v[2:3], v[36:37], v[20:21]
	ds_load_2addr_b64 v[0:3], v16 offset0:128 offset1:144
	ds_load_b128 v[18:21], v17 offset:32
	ds_load_b128 v[22:25], v17 offset:1056
	;; [unrolled: 1-line block ×4, first 2 shown]
	s_waitcnt lgkmcnt(3)
	v_fma_f64 v[10:11], v[0:1], v[18:19], v[10:11]
	v_fma_f64 v[6:7], v[2:3], v[18:19], v[6:7]
	s_waitcnt lgkmcnt(2)
	v_fma_f64 v[18:19], v[0:1], v[22:23], v[34:35]
	v_fma_f64 v[22:23], v[2:3], v[22:23], v[36:37]
	ds_load_2addr_b64 v[0:3], v16 offset0:160 offset1:176
	s_waitcnt lgkmcnt(0)
	v_fma_f64 v[10:11], v[0:1], v[20:21], v[10:11]
	v_fma_f64 v[6:7], v[2:3], v[20:21], v[6:7]
	v_fma_f64 v[18:19], v[0:1], v[24:25], v[18:19]
	v_fma_f64 v[20:21], v[2:3], v[24:25], v[22:23]
	ds_load_2addr_b64 v[0:3], v16 offset0:192 offset1:208
	s_waitcnt lgkmcnt(0)
	v_fma_f64 v[10:11], v[0:1], v[26:27], v[10:11]
	v_fma_f64 v[6:7], v[2:3], v[26:27], v[6:7]
	;; [unrolled: 1-line block ×4, first 2 shown]
	ds_load_2addr_b64 v[18:21], v16 offset0:224 offset1:240
	s_waitcnt lgkmcnt(0)
	s_barrier
	buffer_gl0_inv
	v_fma_f64 v[10:11], v[18:19], v[28:29], v[10:11]
	v_fma_f64 v[6:7], v[20:21], v[28:29], v[6:7]
	;; [unrolled: 1-line block ×4, first 2 shown]
	s_cbranch_scc0 .LBB99_2
.LBB99_3:
	s_clause 0x1
	s_load_b32 s3, s[0:1], 0x40
	s_load_b64 s[4:5], s[0:1], 0x48
	v_add_nc_u32_e32 v13, s13, v13
	v_add_nc_u32_e32 v4, s12, v12
	s_delay_alu instid0(VALU_DEP_1)
	v_cmp_le_i32_e64 s0, v13, v4
	v_cmp_gt_i32_e32 vcc_lo, s2, v4
	s_waitcnt lgkmcnt(0)
	v_mad_i64_i32 v[8:9], null, v13, s3, 0
	s_mul_i32 s1, s15, s5
	s_mul_hi_u32 s5, s15, s4
	s_mul_i32 s4, s15, s4
	s_add_i32 s5, s5, s1
	s_delay_alu instid0(SALU_CYCLE_1) | instskip(NEXT) | instid1(VALU_DEP_1)
	s_lshl_b64 s[4:5], s[4:5], 3
	v_lshlrev_b64 v[8:9], 3, v[8:9]
	s_add_u32 s4, s6, s4
	s_addc_u32 s5, s7, s5
	s_and_b32 s0, s0, vcc_lo
	s_delay_alu instid0(VALU_DEP_1) | instskip(NEXT) | instid1(VALU_DEP_1)
	v_add_co_u32 v12, s1, s4, v8
	v_add_co_ci_u32_e64 v14, s1, s5, v9, s1
	s_and_saveexec_b32 s1, s0
	s_cbranch_execz .LBB99_5
; %bb.4:
	v_ashrrev_i32_e32 v5, 31, v4
	v_xor_b32_e32 v11, 0x80000000, v11
	s_delay_alu instid0(VALU_DEP_2) | instskip(NEXT) | instid1(VALU_DEP_1)
	v_lshlrev_b64 v[8:9], 3, v[4:5]
	v_add_co_u32 v8, s0, v12, v8
	s_delay_alu instid0(VALU_DEP_1)
	v_add_co_ci_u32_e64 v9, s0, v14, v9, s0
	global_store_b64 v[8:9], v[10:11], off
.LBB99_5:
	s_or_b32 exec_lo, exec_lo, s1
	v_add_nc_u32_e32 v8, 16, v4
	s_delay_alu instid0(VALU_DEP_1) | instskip(SKIP_1) | instid1(VALU_DEP_1)
	v_cmp_le_i32_e64 s1, v13, v8
	v_cmp_gt_i32_e64 s0, s2, v8
	s_and_b32 s1, s1, s0
	s_delay_alu instid0(SALU_CYCLE_1)
	s_and_saveexec_b32 s2, s1
	s_cbranch_execz .LBB99_7
; %bb.6:
	v_ashrrev_i32_e32 v9, 31, v8
	v_xor_b32_e32 v7, 0x80000000, v7
	s_delay_alu instid0(VALU_DEP_2) | instskip(NEXT) | instid1(VALU_DEP_1)
	v_lshlrev_b64 v[9:10], 3, v[8:9]
	v_add_co_u32 v9, s1, v12, v9
	s_delay_alu instid0(VALU_DEP_1)
	v_add_co_ci_u32_e64 v10, s1, v14, v10, s1
	global_store_b64 v[9:10], v[6:7], off
.LBB99_7:
	s_or_b32 exec_lo, exec_lo, s2
	v_add_nc_u32_e32 v9, 16, v13
	s_delay_alu instid0(VALU_DEP_1) | instskip(SKIP_1) | instid1(VALU_DEP_2)
	v_mad_i64_i32 v[5:6], null, v9, s3, 0
	v_cmp_le_i32_e64 s1, v9, v4
	v_lshlrev_b64 v[6:7], 3, v[5:6]
	s_delay_alu instid0(VALU_DEP_1) | instskip(NEXT) | instid1(VALU_DEP_1)
	v_add_co_u32 v6, s2, s4, v6
	v_add_co_ci_u32_e64 v7, s2, s5, v7, s2
	s_delay_alu instid0(VALU_DEP_4) | instskip(NEXT) | instid1(SALU_CYCLE_1)
	s_and_b32 s2, s1, vcc_lo
	s_and_saveexec_b32 s1, s2
	s_cbranch_execz .LBB99_9
; %bb.8:
	v_ashrrev_i32_e32 v5, 31, v4
	v_xor_b32_e32 v3, 0x80000000, v3
	s_delay_alu instid0(VALU_DEP_2) | instskip(NEXT) | instid1(VALU_DEP_1)
	v_lshlrev_b64 v[4:5], 3, v[4:5]
	v_add_co_u32 v4, vcc_lo, v6, v4
	s_delay_alu instid0(VALU_DEP_2)
	v_add_co_ci_u32_e32 v5, vcc_lo, v7, v5, vcc_lo
	global_store_b64 v[4:5], v[2:3], off
.LBB99_9:
	s_or_b32 exec_lo, exec_lo, s1
	v_cmp_le_i32_e32 vcc_lo, v9, v8
	s_and_b32 s0, vcc_lo, s0
	s_delay_alu instid0(SALU_CYCLE_1)
	s_and_saveexec_b32 s1, s0
	s_cbranch_execz .LBB99_11
; %bb.10:
	v_ashrrev_i32_e32 v9, 31, v8
	v_xor_b32_e32 v1, 0x80000000, v1
	s_delay_alu instid0(VALU_DEP_2) | instskip(NEXT) | instid1(VALU_DEP_1)
	v_lshlrev_b64 v[2:3], 3, v[8:9]
	v_add_co_u32 v2, vcc_lo, v6, v2
	s_delay_alu instid0(VALU_DEP_2)
	v_add_co_ci_u32_e32 v3, vcc_lo, v7, v3, vcc_lo
	global_store_b64 v[2:3], v[0:1], off
.LBB99_11:
	s_nop 0
	s_sendmsg sendmsg(MSG_DEALLOC_VGPRS)
	s_endpgm
	.section	.rodata,"a",@progbits
	.p2align	6, 0x0
	.amdhsa_kernel _ZL37rocblas_syrkx_herkx_restricted_kernelIidLi16ELi32ELi8ELin1ELi0ELb0ELc78ELc76EKddEviT_PT9_S1_lS3_S1_lPT10_S1_li
		.amdhsa_group_segment_fixed_size 4096
		.amdhsa_private_segment_fixed_size 0
		.amdhsa_kernarg_size 84
		.amdhsa_user_sgpr_count 13
		.amdhsa_user_sgpr_dispatch_ptr 0
		.amdhsa_user_sgpr_queue_ptr 0
		.amdhsa_user_sgpr_kernarg_segment_ptr 1
		.amdhsa_user_sgpr_dispatch_id 0
		.amdhsa_user_sgpr_private_segment_size 0
		.amdhsa_wavefront_size32 1
		.amdhsa_uses_dynamic_stack 0
		.amdhsa_enable_private_segment 0
		.amdhsa_system_sgpr_workgroup_id_x 1
		.amdhsa_system_sgpr_workgroup_id_y 1
		.amdhsa_system_sgpr_workgroup_id_z 1
		.amdhsa_system_sgpr_workgroup_info 0
		.amdhsa_system_vgpr_workitem_id 1
		.amdhsa_next_free_vgpr 38
		.amdhsa_next_free_sgpr 23
		.amdhsa_reserve_vcc 1
		.amdhsa_float_round_mode_32 0
		.amdhsa_float_round_mode_16_64 0
		.amdhsa_float_denorm_mode_32 3
		.amdhsa_float_denorm_mode_16_64 3
		.amdhsa_dx10_clamp 1
		.amdhsa_ieee_mode 1
		.amdhsa_fp16_overflow 0
		.amdhsa_workgroup_processor_mode 1
		.amdhsa_memory_ordered 1
		.amdhsa_forward_progress 0
		.amdhsa_shared_vgpr_count 0
		.amdhsa_exception_fp_ieee_invalid_op 0
		.amdhsa_exception_fp_denorm_src 0
		.amdhsa_exception_fp_ieee_div_zero 0
		.amdhsa_exception_fp_ieee_overflow 0
		.amdhsa_exception_fp_ieee_underflow 0
		.amdhsa_exception_fp_ieee_inexact 0
		.amdhsa_exception_int_div_zero 0
	.end_amdhsa_kernel
	.section	.text._ZL37rocblas_syrkx_herkx_restricted_kernelIidLi16ELi32ELi8ELin1ELi0ELb0ELc78ELc76EKddEviT_PT9_S1_lS3_S1_lPT10_S1_li,"axG",@progbits,_ZL37rocblas_syrkx_herkx_restricted_kernelIidLi16ELi32ELi8ELin1ELi0ELb0ELc78ELc76EKddEviT_PT9_S1_lS3_S1_lPT10_S1_li,comdat
.Lfunc_end99:
	.size	_ZL37rocblas_syrkx_herkx_restricted_kernelIidLi16ELi32ELi8ELin1ELi0ELb0ELc78ELc76EKddEviT_PT9_S1_lS3_S1_lPT10_S1_li, .Lfunc_end99-_ZL37rocblas_syrkx_herkx_restricted_kernelIidLi16ELi32ELi8ELin1ELi0ELb0ELc78ELc76EKddEviT_PT9_S1_lS3_S1_lPT10_S1_li
                                        ; -- End function
	.section	.AMDGPU.csdata,"",@progbits
; Kernel info:
; codeLenInByte = 1400
; NumSgprs: 25
; NumVgprs: 38
; ScratchSize: 0
; MemoryBound: 0
; FloatMode: 240
; IeeeMode: 1
; LDSByteSize: 4096 bytes/workgroup (compile time only)
; SGPRBlocks: 3
; VGPRBlocks: 4
; NumSGPRsForWavesPerEU: 25
; NumVGPRsForWavesPerEU: 38
; Occupancy: 16
; WaveLimiterHint : 0
; COMPUTE_PGM_RSRC2:SCRATCH_EN: 0
; COMPUTE_PGM_RSRC2:USER_SGPR: 13
; COMPUTE_PGM_RSRC2:TRAP_HANDLER: 0
; COMPUTE_PGM_RSRC2:TGID_X_EN: 1
; COMPUTE_PGM_RSRC2:TGID_Y_EN: 1
; COMPUTE_PGM_RSRC2:TGID_Z_EN: 1
; COMPUTE_PGM_RSRC2:TIDIG_COMP_CNT: 1
	.section	.text._ZL37rocblas_syrkx_herkx_restricted_kernelIidLi16ELi32ELi8ELin1ELi0ELb0ELc84ELc85EKddEviT_PT9_S1_lS3_S1_lPT10_S1_li,"axG",@progbits,_ZL37rocblas_syrkx_herkx_restricted_kernelIidLi16ELi32ELi8ELin1ELi0ELb0ELc84ELc85EKddEviT_PT9_S1_lS3_S1_lPT10_S1_li,comdat
	.globl	_ZL37rocblas_syrkx_herkx_restricted_kernelIidLi16ELi32ELi8ELin1ELi0ELb0ELc84ELc85EKddEviT_PT9_S1_lS3_S1_lPT10_S1_li ; -- Begin function _ZL37rocblas_syrkx_herkx_restricted_kernelIidLi16ELi32ELi8ELin1ELi0ELb0ELc84ELc85EKddEviT_PT9_S1_lS3_S1_lPT10_S1_li
	.p2align	8
	.type	_ZL37rocblas_syrkx_herkx_restricted_kernelIidLi16ELi32ELi8ELin1ELi0ELb0ELc84ELc85EKddEviT_PT9_S1_lS3_S1_lPT10_S1_li,@function
_ZL37rocblas_syrkx_herkx_restricted_kernelIidLi16ELi32ELi8ELin1ELi0ELb0ELc84ELc85EKddEviT_PT9_S1_lS3_S1_lPT10_S1_li: ; @_ZL37rocblas_syrkx_herkx_restricted_kernelIidLi16ELi32ELi8ELin1ELi0ELb0ELc84ELc85EKddEviT_PT9_S1_lS3_S1_lPT10_S1_li
; %bb.0:
	s_clause 0x1
	s_load_b64 s[2:3], s[0:1], 0x0
	s_load_b128 s[4:7], s[0:1], 0x30
	v_mov_b32_e32 v10, 0
	v_dual_mov_b32 v11, 0 :: v_dual_and_b32 v12, 0x3ff, v0
	v_bfe_u32 v13, v0, 10, 10
	s_delay_alu instid0(VALU_DEP_3) | instskip(NEXT) | instid1(VALU_DEP_3)
	v_mov_b32_e32 v6, v10
	v_dual_mov_b32 v2, v10 :: v_dual_mov_b32 v3, v11
	v_dual_mov_b32 v7, v11 :: v_dual_mov_b32 v0, v10
	v_mov_b32_e32 v1, v11
	s_lshl_b32 s12, s13, 5
	s_lshl_b32 s13, s14, 5
	s_mov_b32 s14, 0
	s_waitcnt lgkmcnt(0)
	s_cmp_lt_i32 s3, 1
	s_cbranch_scc1 .LBB100_3
; %bb.1:
	s_clause 0x1
	s_load_b32 s18, s[0:1], 0x10
	s_load_b128 s[8:11], s[0:1], 0x18
	v_lshl_add_u32 v2, v13, 4, v12
	v_dual_mov_b32 v1, 0 :: v_dual_and_b32 v0, 7, v12
	s_clause 0x1
	s_load_b64 s[16:17], s[0:1], 0x8
	s_load_b32 s19, s[0:1], 0x28
	v_lshlrev_b32_e32 v14, 3, v12
	v_lshrrev_b32_e32 v4, 3, v2
	v_and_b32_e32 v5, 31, v2
	v_lshlrev_b32_e32 v3, 3, v0
	v_lshrrev_b32_e32 v2, 5, v2
	s_mul_i32 s5, s5, s15
	v_add_nc_u32_e32 v9, s13, v4
	v_add_nc_u32_e32 v8, s12, v5
	v_lshl_or_b32 v7, v4, 6, v3
	v_dual_mov_b32 v3, v1 :: v_dual_lshlrev_b32 v6, 3, v5
	v_lshl_add_u32 v17, v13, 6, 0x800
	s_waitcnt lgkmcnt(0)
	s_delay_alu instid0(VALU_DEP_2) | instskip(NEXT) | instid1(VALU_DEP_3)
	v_mad_i64_i32 v[4:5], null, s18, v8, v[2:3]
	v_lshl_or_b32 v15, v2, 8, v6
	s_mul_i32 s9, s9, s15
	s_mul_hi_u32 s18, s8, s15
	v_mad_i64_i32 v[2:3], null, s19, v9, v[0:1]
	s_mul_i32 s8, s8, s15
	s_add_i32 s9, s18, s9
	s_delay_alu instid0(VALU_DEP_3) | instskip(SKIP_1) | instid1(SALU_CYCLE_1)
	v_lshlrev_b64 v[0:1], 3, v[4:5]
	s_lshl_b64 s[8:9], s[8:9], 3
	s_add_u32 s8, s16, s8
	s_mul_hi_u32 s16, s4, s15
	s_addc_u32 s9, s17, s9
	s_add_i32 s5, s16, s5
	s_mul_i32 s4, s4, s15
	v_lshlrev_b64 v[2:3], 3, v[2:3]
	v_add_co_u32 v4, vcc_lo, s8, v0
	s_lshl_b64 s[4:5], s[4:5], 3
	v_add_co_ci_u32_e32 v5, vcc_lo, s9, v1, vcc_lo
	v_mov_b32_e32 v0, 0
	v_mov_b32_e32 v1, 0
	s_add_u32 s4, s10, s4
	s_addc_u32 s5, s11, s5
	v_add_co_u32 v8, vcc_lo, s4, v2
	s_delay_alu instid0(VALU_DEP_2)
	v_dual_mov_b32 v7, v1 :: v_dual_add_nc_u32 v16, 0x800, v7
	v_add_co_ci_u32_e32 v9, vcc_lo, s5, v3, vcc_lo
	v_dual_mov_b32 v3, v1 :: v_dual_mov_b32 v2, v0
	v_dual_mov_b32 v6, v0 :: v_dual_mov_b32 v11, v1
	v_mov_b32_e32 v10, v0
.LBB100_2:                              ; =>This Inner Loop Header: Depth=1
	global_load_b64 v[18:19], v[4:5], off
	global_load_b64 v[20:21], v[8:9], off
	v_add_co_u32 v4, vcc_lo, v4, 64
	v_add_co_ci_u32_e32 v5, vcc_lo, 0, v5, vcc_lo
	v_add_co_u32 v8, vcc_lo, v8, 64
	v_add_co_ci_u32_e32 v9, vcc_lo, 0, v9, vcc_lo
	s_add_i32 s14, s14, 8
	s_waitcnt vmcnt(1)
	ds_store_b64 v15, v[18:19]
	s_waitcnt vmcnt(0)
	ds_store_b64 v16, v[20:21]
	s_waitcnt lgkmcnt(0)
	s_barrier
	buffer_gl0_inv
	ds_load_2addr_b64 v[18:21], v14 offset1:16
	ds_load_b128 v[22:25], v17
	ds_load_b128 v[26:29], v17 offset:1024
	ds_load_b128 v[30:33], v17 offset:16
	;; [unrolled: 1-line block ×3, first 2 shown]
	s_cmp_ge_i32 s14, s3
	s_waitcnt lgkmcnt(3)
	v_fma_f64 v[10:11], v[18:19], v[22:23], v[10:11]
	v_fma_f64 v[6:7], v[20:21], v[22:23], v[6:7]
	s_waitcnt lgkmcnt(2)
	v_fma_f64 v[18:19], v[18:19], v[26:27], v[2:3]
	v_fma_f64 v[20:21], v[20:21], v[26:27], v[0:1]
	ds_load_2addr_b64 v[0:3], v14 offset0:32 offset1:48
	s_waitcnt lgkmcnt(0)
	v_fma_f64 v[10:11], v[0:1], v[24:25], v[10:11]
	v_fma_f64 v[6:7], v[2:3], v[24:25], v[6:7]
	v_fma_f64 v[18:19], v[0:1], v[28:29], v[18:19]
	v_fma_f64 v[20:21], v[2:3], v[28:29], v[20:21]
	ds_load_2addr_b64 v[0:3], v14 offset0:64 offset1:80
	s_waitcnt lgkmcnt(0)
	v_fma_f64 v[10:11], v[0:1], v[30:31], v[10:11]
	v_fma_f64 v[6:7], v[2:3], v[30:31], v[6:7]
	;; [unrolled: 6-line block ×3, first 2 shown]
	v_fma_f64 v[34:35], v[0:1], v[36:37], v[18:19]
	v_fma_f64 v[36:37], v[2:3], v[36:37], v[20:21]
	ds_load_2addr_b64 v[0:3], v14 offset0:128 offset1:144
	ds_load_b128 v[18:21], v17 offset:32
	ds_load_b128 v[22:25], v17 offset:1056
	;; [unrolled: 1-line block ×4, first 2 shown]
	s_waitcnt lgkmcnt(3)
	v_fma_f64 v[10:11], v[0:1], v[18:19], v[10:11]
	v_fma_f64 v[6:7], v[2:3], v[18:19], v[6:7]
	s_waitcnt lgkmcnt(2)
	v_fma_f64 v[18:19], v[0:1], v[22:23], v[34:35]
	v_fma_f64 v[22:23], v[2:3], v[22:23], v[36:37]
	ds_load_2addr_b64 v[0:3], v14 offset0:160 offset1:176
	s_waitcnt lgkmcnt(0)
	v_fma_f64 v[10:11], v[0:1], v[20:21], v[10:11]
	v_fma_f64 v[6:7], v[2:3], v[20:21], v[6:7]
	;; [unrolled: 1-line block ×4, first 2 shown]
	ds_load_2addr_b64 v[0:3], v14 offset0:192 offset1:208
	s_waitcnt lgkmcnt(0)
	v_fma_f64 v[10:11], v[0:1], v[26:27], v[10:11]
	v_fma_f64 v[6:7], v[2:3], v[26:27], v[6:7]
	;; [unrolled: 1-line block ×4, first 2 shown]
	ds_load_2addr_b64 v[18:21], v14 offset0:224 offset1:240
	s_waitcnt lgkmcnt(0)
	s_barrier
	buffer_gl0_inv
	v_fma_f64 v[10:11], v[18:19], v[28:29], v[10:11]
	v_fma_f64 v[6:7], v[20:21], v[28:29], v[6:7]
	;; [unrolled: 1-line block ×4, first 2 shown]
	s_cbranch_scc0 .LBB100_2
.LBB100_3:
	s_clause 0x1
	s_load_b32 s3, s[0:1], 0x40
	s_load_b64 s[0:1], s[0:1], 0x48
	v_add_nc_u32_e32 v13, s13, v13
	v_add_nc_u32_e32 v4, s12, v12
	s_delay_alu instid0(VALU_DEP_2)
	v_cmp_gt_i32_e32 vcc_lo, s2, v13
	s_waitcnt lgkmcnt(0)
	v_mad_i64_i32 v[8:9], null, v13, s3, 0
	s_mul_i32 s1, s15, s1
	s_mul_hi_u32 s4, s15, s0
	s_mul_i32 s0, s15, s0
	s_add_i32 s1, s4, s1
	s_delay_alu instid0(SALU_CYCLE_1) | instskip(NEXT) | instid1(VALU_DEP_1)
	s_lshl_b64 s[4:5], s[0:1], 3
	v_lshlrev_b64 v[8:9], 3, v[8:9]
	s_add_u32 s4, s6, s4
	v_cmp_le_i32_e64 s0, v4, v13
	s_addc_u32 s5, s7, s5
	s_delay_alu instid0(VALU_DEP_2) | instskip(NEXT) | instid1(VALU_DEP_1)
	v_add_co_u32 v12, s1, s4, v8
	v_add_co_ci_u32_e64 v14, s1, s5, v9, s1
	s_delay_alu instid0(VALU_DEP_3) | instskip(NEXT) | instid1(SALU_CYCLE_1)
	s_and_b32 s0, vcc_lo, s0
	s_and_saveexec_b32 s1, s0
	s_cbranch_execz .LBB100_5
; %bb.4:
	v_ashrrev_i32_e32 v5, 31, v4
	v_xor_b32_e32 v11, 0x80000000, v11
	s_delay_alu instid0(VALU_DEP_2) | instskip(NEXT) | instid1(VALU_DEP_1)
	v_lshlrev_b64 v[8:9], 3, v[4:5]
	v_add_co_u32 v8, s0, v12, v8
	s_delay_alu instid0(VALU_DEP_1)
	v_add_co_ci_u32_e64 v9, s0, v14, v9, s0
	global_store_b64 v[8:9], v[10:11], off
.LBB100_5:
	s_or_b32 exec_lo, exec_lo, s1
	v_add_nc_u32_e32 v8, 16, v4
	s_delay_alu instid0(VALU_DEP_1) | instskip(NEXT) | instid1(VALU_DEP_1)
	v_cmp_le_i32_e64 s0, v8, v13
	s_and_b32 s1, vcc_lo, s0
	s_delay_alu instid0(SALU_CYCLE_1)
	s_and_saveexec_b32 s0, s1
	s_cbranch_execz .LBB100_7
; %bb.6:
	v_ashrrev_i32_e32 v9, 31, v8
	v_xor_b32_e32 v7, 0x80000000, v7
	s_delay_alu instid0(VALU_DEP_2) | instskip(NEXT) | instid1(VALU_DEP_1)
	v_lshlrev_b64 v[9:10], 3, v[8:9]
	v_add_co_u32 v9, vcc_lo, v12, v9
	s_delay_alu instid0(VALU_DEP_2)
	v_add_co_ci_u32_e32 v10, vcc_lo, v14, v10, vcc_lo
	global_store_b64 v[9:10], v[6:7], off
.LBB100_7:
	s_or_b32 exec_lo, exec_lo, s0
	v_add_nc_u32_e32 v9, 16, v13
	s_delay_alu instid0(VALU_DEP_1) | instskip(SKIP_2) | instid1(VALU_DEP_1)
	v_mad_i64_i32 v[5:6], null, v9, s3, 0
	v_cmp_gt_i32_e32 vcc_lo, s2, v9
	v_cmp_le_i32_e64 s0, v4, v9
	s_and_b32 s0, vcc_lo, s0
	s_delay_alu instid0(VALU_DEP_3) | instskip(NEXT) | instid1(VALU_DEP_1)
	v_lshlrev_b64 v[6:7], 3, v[5:6]
	v_add_co_u32 v6, s1, s4, v6
	s_delay_alu instid0(VALU_DEP_1)
	v_add_co_ci_u32_e64 v7, s1, s5, v7, s1
	s_and_saveexec_b32 s1, s0
	s_cbranch_execz .LBB100_9
; %bb.8:
	v_ashrrev_i32_e32 v5, 31, v4
	v_xor_b32_e32 v3, 0x80000000, v3
	s_delay_alu instid0(VALU_DEP_2) | instskip(NEXT) | instid1(VALU_DEP_1)
	v_lshlrev_b64 v[4:5], 3, v[4:5]
	v_add_co_u32 v4, s0, v6, v4
	s_delay_alu instid0(VALU_DEP_1)
	v_add_co_ci_u32_e64 v5, s0, v7, v5, s0
	global_store_b64 v[4:5], v[2:3], off
.LBB100_9:
	s_or_b32 exec_lo, exec_lo, s1
	v_cmp_le_i32_e64 s0, v8, v9
	s_delay_alu instid0(VALU_DEP_1) | instskip(NEXT) | instid1(SALU_CYCLE_1)
	s_and_b32 s0, vcc_lo, s0
	s_and_saveexec_b32 s1, s0
	s_cbranch_execz .LBB100_11
; %bb.10:
	v_ashrrev_i32_e32 v9, 31, v8
	v_xor_b32_e32 v1, 0x80000000, v1
	s_delay_alu instid0(VALU_DEP_2) | instskip(NEXT) | instid1(VALU_DEP_1)
	v_lshlrev_b64 v[2:3], 3, v[8:9]
	v_add_co_u32 v2, vcc_lo, v6, v2
	s_delay_alu instid0(VALU_DEP_2)
	v_add_co_ci_u32_e32 v3, vcc_lo, v7, v3, vcc_lo
	global_store_b64 v[2:3], v[0:1], off
.LBB100_11:
	s_nop 0
	s_sendmsg sendmsg(MSG_DEALLOC_VGPRS)
	s_endpgm
	.section	.rodata,"a",@progbits
	.p2align	6, 0x0
	.amdhsa_kernel _ZL37rocblas_syrkx_herkx_restricted_kernelIidLi16ELi32ELi8ELin1ELi0ELb0ELc84ELc85EKddEviT_PT9_S1_lS3_S1_lPT10_S1_li
		.amdhsa_group_segment_fixed_size 4096
		.amdhsa_private_segment_fixed_size 0
		.amdhsa_kernarg_size 84
		.amdhsa_user_sgpr_count 13
		.amdhsa_user_sgpr_dispatch_ptr 0
		.amdhsa_user_sgpr_queue_ptr 0
		.amdhsa_user_sgpr_kernarg_segment_ptr 1
		.amdhsa_user_sgpr_dispatch_id 0
		.amdhsa_user_sgpr_private_segment_size 0
		.amdhsa_wavefront_size32 1
		.amdhsa_uses_dynamic_stack 0
		.amdhsa_enable_private_segment 0
		.amdhsa_system_sgpr_workgroup_id_x 1
		.amdhsa_system_sgpr_workgroup_id_y 1
		.amdhsa_system_sgpr_workgroup_id_z 1
		.amdhsa_system_sgpr_workgroup_info 0
		.amdhsa_system_vgpr_workitem_id 1
		.amdhsa_next_free_vgpr 38
		.amdhsa_next_free_sgpr 20
		.amdhsa_reserve_vcc 1
		.amdhsa_float_round_mode_32 0
		.amdhsa_float_round_mode_16_64 0
		.amdhsa_float_denorm_mode_32 3
		.amdhsa_float_denorm_mode_16_64 3
		.amdhsa_dx10_clamp 1
		.amdhsa_ieee_mode 1
		.amdhsa_fp16_overflow 0
		.amdhsa_workgroup_processor_mode 1
		.amdhsa_memory_ordered 1
		.amdhsa_forward_progress 0
		.amdhsa_shared_vgpr_count 0
		.amdhsa_exception_fp_ieee_invalid_op 0
		.amdhsa_exception_fp_denorm_src 0
		.amdhsa_exception_fp_ieee_div_zero 0
		.amdhsa_exception_fp_ieee_overflow 0
		.amdhsa_exception_fp_ieee_underflow 0
		.amdhsa_exception_fp_ieee_inexact 0
		.amdhsa_exception_int_div_zero 0
	.end_amdhsa_kernel
	.section	.text._ZL37rocblas_syrkx_herkx_restricted_kernelIidLi16ELi32ELi8ELin1ELi0ELb0ELc84ELc85EKddEviT_PT9_S1_lS3_S1_lPT10_S1_li,"axG",@progbits,_ZL37rocblas_syrkx_herkx_restricted_kernelIidLi16ELi32ELi8ELin1ELi0ELb0ELc84ELc85EKddEviT_PT9_S1_lS3_S1_lPT10_S1_li,comdat
.Lfunc_end100:
	.size	_ZL37rocblas_syrkx_herkx_restricted_kernelIidLi16ELi32ELi8ELin1ELi0ELb0ELc84ELc85EKddEviT_PT9_S1_lS3_S1_lPT10_S1_li, .Lfunc_end100-_ZL37rocblas_syrkx_herkx_restricted_kernelIidLi16ELi32ELi8ELin1ELi0ELb0ELc84ELc85EKddEviT_PT9_S1_lS3_S1_lPT10_S1_li
                                        ; -- End function
	.section	.AMDGPU.csdata,"",@progbits
; Kernel info:
; codeLenInByte = 1396
; NumSgprs: 22
; NumVgprs: 38
; ScratchSize: 0
; MemoryBound: 0
; FloatMode: 240
; IeeeMode: 1
; LDSByteSize: 4096 bytes/workgroup (compile time only)
; SGPRBlocks: 2
; VGPRBlocks: 4
; NumSGPRsForWavesPerEU: 22
; NumVGPRsForWavesPerEU: 38
; Occupancy: 16
; WaveLimiterHint : 0
; COMPUTE_PGM_RSRC2:SCRATCH_EN: 0
; COMPUTE_PGM_RSRC2:USER_SGPR: 13
; COMPUTE_PGM_RSRC2:TRAP_HANDLER: 0
; COMPUTE_PGM_RSRC2:TGID_X_EN: 1
; COMPUTE_PGM_RSRC2:TGID_Y_EN: 1
; COMPUTE_PGM_RSRC2:TGID_Z_EN: 1
; COMPUTE_PGM_RSRC2:TIDIG_COMP_CNT: 1
	.section	.text._ZL37rocblas_syrkx_herkx_restricted_kernelIidLi16ELi32ELi8ELin1ELi0ELb0ELc67ELc85EKddEviT_PT9_S1_lS3_S1_lPT10_S1_li,"axG",@progbits,_ZL37rocblas_syrkx_herkx_restricted_kernelIidLi16ELi32ELi8ELin1ELi0ELb0ELc67ELc85EKddEviT_PT9_S1_lS3_S1_lPT10_S1_li,comdat
	.globl	_ZL37rocblas_syrkx_herkx_restricted_kernelIidLi16ELi32ELi8ELin1ELi0ELb0ELc67ELc85EKddEviT_PT9_S1_lS3_S1_lPT10_S1_li ; -- Begin function _ZL37rocblas_syrkx_herkx_restricted_kernelIidLi16ELi32ELi8ELin1ELi0ELb0ELc67ELc85EKddEviT_PT9_S1_lS3_S1_lPT10_S1_li
	.p2align	8
	.type	_ZL37rocblas_syrkx_herkx_restricted_kernelIidLi16ELi32ELi8ELin1ELi0ELb0ELc67ELc85EKddEviT_PT9_S1_lS3_S1_lPT10_S1_li,@function
_ZL37rocblas_syrkx_herkx_restricted_kernelIidLi16ELi32ELi8ELin1ELi0ELb0ELc67ELc85EKddEviT_PT9_S1_lS3_S1_lPT10_S1_li: ; @_ZL37rocblas_syrkx_herkx_restricted_kernelIidLi16ELi32ELi8ELin1ELi0ELb0ELc67ELc85EKddEviT_PT9_S1_lS3_S1_lPT10_S1_li
; %bb.0:
	s_clause 0x1
	s_load_b64 s[2:3], s[0:1], 0x0
	s_load_b128 s[4:7], s[0:1], 0x30
	v_mov_b32_e32 v10, 0
	v_dual_mov_b32 v11, 0 :: v_dual_and_b32 v12, 0x3ff, v0
	v_bfe_u32 v13, v0, 10, 10
	s_delay_alu instid0(VALU_DEP_3) | instskip(NEXT) | instid1(VALU_DEP_3)
	v_mov_b32_e32 v6, v10
	v_dual_mov_b32 v2, v10 :: v_dual_mov_b32 v3, v11
	v_dual_mov_b32 v7, v11 :: v_dual_mov_b32 v0, v10
	v_mov_b32_e32 v1, v11
	s_lshl_b32 s12, s13, 5
	s_lshl_b32 s13, s14, 5
	s_mov_b32 s14, 0
	s_waitcnt lgkmcnt(0)
	s_cmp_lt_i32 s3, 1
	s_cbranch_scc1 .LBB101_3
; %bb.1:
	s_clause 0x1
	s_load_b32 s18, s[0:1], 0x10
	s_load_b128 s[8:11], s[0:1], 0x18
	v_lshl_add_u32 v2, v13, 4, v12
	v_dual_mov_b32 v1, 0 :: v_dual_and_b32 v0, 7, v12
	s_clause 0x1
	s_load_b64 s[16:17], s[0:1], 0x8
	s_load_b32 s19, s[0:1], 0x28
	v_lshlrev_b32_e32 v14, 3, v12
	v_lshrrev_b32_e32 v4, 3, v2
	v_and_b32_e32 v5, 31, v2
	v_lshlrev_b32_e32 v3, 3, v0
	v_lshrrev_b32_e32 v2, 5, v2
	s_mul_i32 s5, s5, s15
	v_add_nc_u32_e32 v9, s13, v4
	v_add_nc_u32_e32 v8, s12, v5
	v_lshl_or_b32 v7, v4, 6, v3
	v_dual_mov_b32 v3, v1 :: v_dual_lshlrev_b32 v6, 3, v5
	v_lshl_add_u32 v17, v13, 6, 0x800
	s_waitcnt lgkmcnt(0)
	s_delay_alu instid0(VALU_DEP_2) | instskip(NEXT) | instid1(VALU_DEP_3)
	v_mad_i64_i32 v[4:5], null, s18, v8, v[2:3]
	v_lshl_or_b32 v15, v2, 8, v6
	s_mul_i32 s9, s9, s15
	s_mul_hi_u32 s18, s8, s15
	v_mad_i64_i32 v[2:3], null, s19, v9, v[0:1]
	s_mul_i32 s8, s8, s15
	s_add_i32 s9, s18, s9
	s_delay_alu instid0(VALU_DEP_3) | instskip(SKIP_1) | instid1(SALU_CYCLE_1)
	v_lshlrev_b64 v[0:1], 3, v[4:5]
	s_lshl_b64 s[8:9], s[8:9], 3
	s_add_u32 s8, s16, s8
	s_mul_hi_u32 s16, s4, s15
	s_addc_u32 s9, s17, s9
	s_add_i32 s5, s16, s5
	s_mul_i32 s4, s4, s15
	v_lshlrev_b64 v[2:3], 3, v[2:3]
	v_add_co_u32 v4, vcc_lo, s8, v0
	s_lshl_b64 s[4:5], s[4:5], 3
	v_add_co_ci_u32_e32 v5, vcc_lo, s9, v1, vcc_lo
	v_mov_b32_e32 v0, 0
	v_mov_b32_e32 v1, 0
	s_add_u32 s4, s10, s4
	s_addc_u32 s5, s11, s5
	v_add_co_u32 v8, vcc_lo, s4, v2
	s_delay_alu instid0(VALU_DEP_2)
	v_dual_mov_b32 v7, v1 :: v_dual_add_nc_u32 v16, 0x800, v7
	v_add_co_ci_u32_e32 v9, vcc_lo, s5, v3, vcc_lo
	v_dual_mov_b32 v3, v1 :: v_dual_mov_b32 v2, v0
	v_dual_mov_b32 v6, v0 :: v_dual_mov_b32 v11, v1
	v_mov_b32_e32 v10, v0
.LBB101_2:                              ; =>This Inner Loop Header: Depth=1
	global_load_b64 v[18:19], v[4:5], off
	global_load_b64 v[20:21], v[8:9], off
	v_add_co_u32 v4, vcc_lo, v4, 64
	v_add_co_ci_u32_e32 v5, vcc_lo, 0, v5, vcc_lo
	v_add_co_u32 v8, vcc_lo, v8, 64
	v_add_co_ci_u32_e32 v9, vcc_lo, 0, v9, vcc_lo
	s_add_i32 s14, s14, 8
	s_waitcnt vmcnt(1)
	ds_store_b64 v15, v[18:19]
	s_waitcnt vmcnt(0)
	ds_store_b64 v16, v[20:21]
	s_waitcnt lgkmcnt(0)
	s_barrier
	buffer_gl0_inv
	ds_load_2addr_b64 v[18:21], v14 offset1:16
	ds_load_b128 v[22:25], v17
	ds_load_b128 v[26:29], v17 offset:1024
	ds_load_b128 v[30:33], v17 offset:16
	;; [unrolled: 1-line block ×3, first 2 shown]
	s_cmp_ge_i32 s14, s3
	s_waitcnt lgkmcnt(3)
	v_fma_f64 v[10:11], v[18:19], v[22:23], v[10:11]
	v_fma_f64 v[6:7], v[20:21], v[22:23], v[6:7]
	s_waitcnt lgkmcnt(2)
	v_fma_f64 v[18:19], v[18:19], v[26:27], v[2:3]
	v_fma_f64 v[20:21], v[20:21], v[26:27], v[0:1]
	ds_load_2addr_b64 v[0:3], v14 offset0:32 offset1:48
	s_waitcnt lgkmcnt(0)
	v_fma_f64 v[10:11], v[0:1], v[24:25], v[10:11]
	v_fma_f64 v[6:7], v[2:3], v[24:25], v[6:7]
	v_fma_f64 v[18:19], v[0:1], v[28:29], v[18:19]
	v_fma_f64 v[20:21], v[2:3], v[28:29], v[20:21]
	ds_load_2addr_b64 v[0:3], v14 offset0:64 offset1:80
	s_waitcnt lgkmcnt(0)
	v_fma_f64 v[10:11], v[0:1], v[30:31], v[10:11]
	v_fma_f64 v[6:7], v[2:3], v[30:31], v[6:7]
	v_fma_f64 v[18:19], v[0:1], v[34:35], v[18:19]
	v_fma_f64 v[20:21], v[2:3], v[34:35], v[20:21]
	ds_load_2addr_b64 v[0:3], v14 offset0:96 offset1:112
	s_waitcnt lgkmcnt(0)
	v_fma_f64 v[10:11], v[0:1], v[32:33], v[10:11]
	v_fma_f64 v[6:7], v[2:3], v[32:33], v[6:7]
	v_fma_f64 v[34:35], v[0:1], v[36:37], v[18:19]
	v_fma_f64 v[36:37], v[2:3], v[36:37], v[20:21]
	ds_load_2addr_b64 v[0:3], v14 offset0:128 offset1:144
	ds_load_b128 v[18:21], v17 offset:32
	ds_load_b128 v[22:25], v17 offset:1056
	;; [unrolled: 1-line block ×4, first 2 shown]
	s_waitcnt lgkmcnt(3)
	v_fma_f64 v[10:11], v[0:1], v[18:19], v[10:11]
	v_fma_f64 v[6:7], v[2:3], v[18:19], v[6:7]
	s_waitcnt lgkmcnt(2)
	v_fma_f64 v[18:19], v[0:1], v[22:23], v[34:35]
	v_fma_f64 v[22:23], v[2:3], v[22:23], v[36:37]
	ds_load_2addr_b64 v[0:3], v14 offset0:160 offset1:176
	s_waitcnt lgkmcnt(0)
	v_fma_f64 v[10:11], v[0:1], v[20:21], v[10:11]
	v_fma_f64 v[6:7], v[2:3], v[20:21], v[6:7]
	;; [unrolled: 1-line block ×4, first 2 shown]
	ds_load_2addr_b64 v[0:3], v14 offset0:192 offset1:208
	s_waitcnt lgkmcnt(0)
	v_fma_f64 v[10:11], v[0:1], v[26:27], v[10:11]
	v_fma_f64 v[6:7], v[2:3], v[26:27], v[6:7]
	;; [unrolled: 1-line block ×4, first 2 shown]
	ds_load_2addr_b64 v[18:21], v14 offset0:224 offset1:240
	s_waitcnt lgkmcnt(0)
	s_barrier
	buffer_gl0_inv
	v_fma_f64 v[10:11], v[18:19], v[28:29], v[10:11]
	v_fma_f64 v[6:7], v[20:21], v[28:29], v[6:7]
	;; [unrolled: 1-line block ×4, first 2 shown]
	s_cbranch_scc0 .LBB101_2
.LBB101_3:
	s_clause 0x1
	s_load_b32 s3, s[0:1], 0x40
	s_load_b64 s[0:1], s[0:1], 0x48
	v_add_nc_u32_e32 v13, s13, v13
	v_add_nc_u32_e32 v4, s12, v12
	s_delay_alu instid0(VALU_DEP_2)
	v_cmp_gt_i32_e32 vcc_lo, s2, v13
	s_waitcnt lgkmcnt(0)
	v_mad_i64_i32 v[8:9], null, v13, s3, 0
	s_mul_i32 s1, s15, s1
	s_mul_hi_u32 s4, s15, s0
	s_mul_i32 s0, s15, s0
	s_add_i32 s1, s4, s1
	s_delay_alu instid0(SALU_CYCLE_1) | instskip(NEXT) | instid1(VALU_DEP_1)
	s_lshl_b64 s[4:5], s[0:1], 3
	v_lshlrev_b64 v[8:9], 3, v[8:9]
	s_add_u32 s4, s6, s4
	v_cmp_le_i32_e64 s0, v4, v13
	s_addc_u32 s5, s7, s5
	s_delay_alu instid0(VALU_DEP_2) | instskip(NEXT) | instid1(VALU_DEP_1)
	v_add_co_u32 v12, s1, s4, v8
	v_add_co_ci_u32_e64 v14, s1, s5, v9, s1
	s_delay_alu instid0(VALU_DEP_3) | instskip(NEXT) | instid1(SALU_CYCLE_1)
	s_and_b32 s0, vcc_lo, s0
	s_and_saveexec_b32 s1, s0
	s_cbranch_execz .LBB101_5
; %bb.4:
	v_ashrrev_i32_e32 v5, 31, v4
	v_xor_b32_e32 v11, 0x80000000, v11
	s_delay_alu instid0(VALU_DEP_2) | instskip(NEXT) | instid1(VALU_DEP_1)
	v_lshlrev_b64 v[8:9], 3, v[4:5]
	v_add_co_u32 v8, s0, v12, v8
	s_delay_alu instid0(VALU_DEP_1)
	v_add_co_ci_u32_e64 v9, s0, v14, v9, s0
	global_store_b64 v[8:9], v[10:11], off
.LBB101_5:
	s_or_b32 exec_lo, exec_lo, s1
	v_add_nc_u32_e32 v8, 16, v4
	s_delay_alu instid0(VALU_DEP_1) | instskip(NEXT) | instid1(VALU_DEP_1)
	v_cmp_le_i32_e64 s0, v8, v13
	s_and_b32 s1, vcc_lo, s0
	s_delay_alu instid0(SALU_CYCLE_1)
	s_and_saveexec_b32 s0, s1
	s_cbranch_execz .LBB101_7
; %bb.6:
	v_ashrrev_i32_e32 v9, 31, v8
	v_xor_b32_e32 v7, 0x80000000, v7
	s_delay_alu instid0(VALU_DEP_2) | instskip(NEXT) | instid1(VALU_DEP_1)
	v_lshlrev_b64 v[9:10], 3, v[8:9]
	v_add_co_u32 v9, vcc_lo, v12, v9
	s_delay_alu instid0(VALU_DEP_2)
	v_add_co_ci_u32_e32 v10, vcc_lo, v14, v10, vcc_lo
	global_store_b64 v[9:10], v[6:7], off
.LBB101_7:
	s_or_b32 exec_lo, exec_lo, s0
	v_add_nc_u32_e32 v9, 16, v13
	s_delay_alu instid0(VALU_DEP_1) | instskip(SKIP_2) | instid1(VALU_DEP_1)
	v_mad_i64_i32 v[5:6], null, v9, s3, 0
	v_cmp_gt_i32_e32 vcc_lo, s2, v9
	v_cmp_le_i32_e64 s0, v4, v9
	s_and_b32 s0, vcc_lo, s0
	s_delay_alu instid0(VALU_DEP_3) | instskip(NEXT) | instid1(VALU_DEP_1)
	v_lshlrev_b64 v[6:7], 3, v[5:6]
	v_add_co_u32 v6, s1, s4, v6
	s_delay_alu instid0(VALU_DEP_1)
	v_add_co_ci_u32_e64 v7, s1, s5, v7, s1
	s_and_saveexec_b32 s1, s0
	s_cbranch_execz .LBB101_9
; %bb.8:
	v_ashrrev_i32_e32 v5, 31, v4
	v_xor_b32_e32 v3, 0x80000000, v3
	s_delay_alu instid0(VALU_DEP_2) | instskip(NEXT) | instid1(VALU_DEP_1)
	v_lshlrev_b64 v[4:5], 3, v[4:5]
	v_add_co_u32 v4, s0, v6, v4
	s_delay_alu instid0(VALU_DEP_1)
	v_add_co_ci_u32_e64 v5, s0, v7, v5, s0
	global_store_b64 v[4:5], v[2:3], off
.LBB101_9:
	s_or_b32 exec_lo, exec_lo, s1
	v_cmp_le_i32_e64 s0, v8, v9
	s_delay_alu instid0(VALU_DEP_1) | instskip(NEXT) | instid1(SALU_CYCLE_1)
	s_and_b32 s0, vcc_lo, s0
	s_and_saveexec_b32 s1, s0
	s_cbranch_execz .LBB101_11
; %bb.10:
	v_ashrrev_i32_e32 v9, 31, v8
	v_xor_b32_e32 v1, 0x80000000, v1
	s_delay_alu instid0(VALU_DEP_2) | instskip(NEXT) | instid1(VALU_DEP_1)
	v_lshlrev_b64 v[2:3], 3, v[8:9]
	v_add_co_u32 v2, vcc_lo, v6, v2
	s_delay_alu instid0(VALU_DEP_2)
	v_add_co_ci_u32_e32 v3, vcc_lo, v7, v3, vcc_lo
	global_store_b64 v[2:3], v[0:1], off
.LBB101_11:
	s_nop 0
	s_sendmsg sendmsg(MSG_DEALLOC_VGPRS)
	s_endpgm
	.section	.rodata,"a",@progbits
	.p2align	6, 0x0
	.amdhsa_kernel _ZL37rocblas_syrkx_herkx_restricted_kernelIidLi16ELi32ELi8ELin1ELi0ELb0ELc67ELc85EKddEviT_PT9_S1_lS3_S1_lPT10_S1_li
		.amdhsa_group_segment_fixed_size 4096
		.amdhsa_private_segment_fixed_size 0
		.amdhsa_kernarg_size 84
		.amdhsa_user_sgpr_count 13
		.amdhsa_user_sgpr_dispatch_ptr 0
		.amdhsa_user_sgpr_queue_ptr 0
		.amdhsa_user_sgpr_kernarg_segment_ptr 1
		.amdhsa_user_sgpr_dispatch_id 0
		.amdhsa_user_sgpr_private_segment_size 0
		.amdhsa_wavefront_size32 1
		.amdhsa_uses_dynamic_stack 0
		.amdhsa_enable_private_segment 0
		.amdhsa_system_sgpr_workgroup_id_x 1
		.amdhsa_system_sgpr_workgroup_id_y 1
		.amdhsa_system_sgpr_workgroup_id_z 1
		.amdhsa_system_sgpr_workgroup_info 0
		.amdhsa_system_vgpr_workitem_id 1
		.amdhsa_next_free_vgpr 38
		.amdhsa_next_free_sgpr 20
		.amdhsa_reserve_vcc 1
		.amdhsa_float_round_mode_32 0
		.amdhsa_float_round_mode_16_64 0
		.amdhsa_float_denorm_mode_32 3
		.amdhsa_float_denorm_mode_16_64 3
		.amdhsa_dx10_clamp 1
		.amdhsa_ieee_mode 1
		.amdhsa_fp16_overflow 0
		.amdhsa_workgroup_processor_mode 1
		.amdhsa_memory_ordered 1
		.amdhsa_forward_progress 0
		.amdhsa_shared_vgpr_count 0
		.amdhsa_exception_fp_ieee_invalid_op 0
		.amdhsa_exception_fp_denorm_src 0
		.amdhsa_exception_fp_ieee_div_zero 0
		.amdhsa_exception_fp_ieee_overflow 0
		.amdhsa_exception_fp_ieee_underflow 0
		.amdhsa_exception_fp_ieee_inexact 0
		.amdhsa_exception_int_div_zero 0
	.end_amdhsa_kernel
	.section	.text._ZL37rocblas_syrkx_herkx_restricted_kernelIidLi16ELi32ELi8ELin1ELi0ELb0ELc67ELc85EKddEviT_PT9_S1_lS3_S1_lPT10_S1_li,"axG",@progbits,_ZL37rocblas_syrkx_herkx_restricted_kernelIidLi16ELi32ELi8ELin1ELi0ELb0ELc67ELc85EKddEviT_PT9_S1_lS3_S1_lPT10_S1_li,comdat
.Lfunc_end101:
	.size	_ZL37rocblas_syrkx_herkx_restricted_kernelIidLi16ELi32ELi8ELin1ELi0ELb0ELc67ELc85EKddEviT_PT9_S1_lS3_S1_lPT10_S1_li, .Lfunc_end101-_ZL37rocblas_syrkx_herkx_restricted_kernelIidLi16ELi32ELi8ELin1ELi0ELb0ELc67ELc85EKddEviT_PT9_S1_lS3_S1_lPT10_S1_li
                                        ; -- End function
	.section	.AMDGPU.csdata,"",@progbits
; Kernel info:
; codeLenInByte = 1396
; NumSgprs: 22
; NumVgprs: 38
; ScratchSize: 0
; MemoryBound: 0
; FloatMode: 240
; IeeeMode: 1
; LDSByteSize: 4096 bytes/workgroup (compile time only)
; SGPRBlocks: 2
; VGPRBlocks: 4
; NumSGPRsForWavesPerEU: 22
; NumVGPRsForWavesPerEU: 38
; Occupancy: 16
; WaveLimiterHint : 0
; COMPUTE_PGM_RSRC2:SCRATCH_EN: 0
; COMPUTE_PGM_RSRC2:USER_SGPR: 13
; COMPUTE_PGM_RSRC2:TRAP_HANDLER: 0
; COMPUTE_PGM_RSRC2:TGID_X_EN: 1
; COMPUTE_PGM_RSRC2:TGID_Y_EN: 1
; COMPUTE_PGM_RSRC2:TGID_Z_EN: 1
; COMPUTE_PGM_RSRC2:TIDIG_COMP_CNT: 1
	.section	.text._ZL37rocblas_syrkx_herkx_restricted_kernelIidLi16ELi32ELi8ELin1ELi0ELb0ELc78ELc85EKddEviT_PT9_S1_lS3_S1_lPT10_S1_li,"axG",@progbits,_ZL37rocblas_syrkx_herkx_restricted_kernelIidLi16ELi32ELi8ELin1ELi0ELb0ELc78ELc85EKddEviT_PT9_S1_lS3_S1_lPT10_S1_li,comdat
	.globl	_ZL37rocblas_syrkx_herkx_restricted_kernelIidLi16ELi32ELi8ELin1ELi0ELb0ELc78ELc85EKddEviT_PT9_S1_lS3_S1_lPT10_S1_li ; -- Begin function _ZL37rocblas_syrkx_herkx_restricted_kernelIidLi16ELi32ELi8ELin1ELi0ELb0ELc78ELc85EKddEviT_PT9_S1_lS3_S1_lPT10_S1_li
	.p2align	8
	.type	_ZL37rocblas_syrkx_herkx_restricted_kernelIidLi16ELi32ELi8ELin1ELi0ELb0ELc78ELc85EKddEviT_PT9_S1_lS3_S1_lPT10_S1_li,@function
_ZL37rocblas_syrkx_herkx_restricted_kernelIidLi16ELi32ELi8ELin1ELi0ELb0ELc78ELc85EKddEviT_PT9_S1_lS3_S1_lPT10_S1_li: ; @_ZL37rocblas_syrkx_herkx_restricted_kernelIidLi16ELi32ELi8ELin1ELi0ELb0ELc78ELc85EKddEviT_PT9_S1_lS3_S1_lPT10_S1_li
; %bb.0:
	s_clause 0x1
	s_load_b64 s[2:3], s[0:1], 0x0
	s_load_b128 s[4:7], s[0:1], 0x30
	v_mov_b32_e32 v10, 0
	v_dual_mov_b32 v11, 0 :: v_dual_and_b32 v12, 0x3ff, v0
	v_bfe_u32 v13, v0, 10, 10
	s_delay_alu instid0(VALU_DEP_3) | instskip(NEXT) | instid1(VALU_DEP_3)
	v_mov_b32_e32 v6, v10
	v_dual_mov_b32 v2, v10 :: v_dual_mov_b32 v3, v11
	v_dual_mov_b32 v7, v11 :: v_dual_mov_b32 v0, v10
	v_mov_b32_e32 v1, v11
	s_lshl_b32 s12, s13, 5
	s_lshl_b32 s13, s14, 5
	s_mov_b32 s14, 0
	s_waitcnt lgkmcnt(0)
	s_cmp_lt_i32 s3, 1
	s_cbranch_scc1 .LBB102_3
; %bb.1:
	s_clause 0x1
	s_load_b32 s16, s[0:1], 0x10
	s_load_b32 s18, s[0:1], 0x28
	v_lshl_add_u32 v0, v13, 4, v12
	v_and_b32_e32 v4, 7, v12
	s_clause 0x1
	s_load_b128 s[8:11], s[0:1], 0x18
	s_load_b64 s[20:21], s[0:1], 0x8
	s_mul_i32 s5, s5, s15
	v_lshrrev_b32_e32 v1, 3, v0
	v_and_b32_e32 v2, 31, v0
	v_lshrrev_b32_e32 v5, 5, v0
	v_lshlrev_b32_e32 v3, 3, v4
	v_lshlrev_b32_e32 v16, 3, v12
	v_add_nc_u32_e32 v0, s13, v1
	v_lshlrev_b32_e32 v6, 3, v2
	v_add_nc_u32_e32 v2, s12, v2
	v_lshl_or_b32 v8, v1, 6, v3
	v_lshl_add_u32 v17, v13, 6, 0x800
	v_ashrrev_i32_e32 v1, 31, v0
	v_lshl_or_b32 v14, v5, 8, v6
	v_ashrrev_i32_e32 v3, 31, v2
	s_waitcnt lgkmcnt(0)
	s_ashr_i32 s17, s16, 31
	s_ashr_i32 s19, s18, 31
	v_mad_i64_i32 v[6:7], null, s18, v4, v[0:1]
	v_mad_i64_i32 v[0:1], null, s16, v5, v[2:3]
	s_mul_i32 s9, s9, s15
	s_mul_hi_u32 s22, s8, s15
	s_mul_i32 s8, s8, s15
	s_add_i32 s9, s22, s9
	s_delay_alu instid0(VALU_DEP_2) | instskip(SKIP_1) | instid1(VALU_DEP_2)
	v_lshlrev_b64 v[2:3], 3, v[6:7]
	s_lshl_b64 s[8:9], s[8:9], 3
	v_lshlrev_b64 v[0:1], 3, v[0:1]
	s_add_u32 s8, s20, s8
	s_mul_hi_u32 s20, s4, s15
	s_addc_u32 s9, s21, s9
	s_add_i32 s5, s20, s5
	s_mul_i32 s4, s4, s15
	v_add_co_u32 v4, vcc_lo, s8, v0
	v_add_co_ci_u32_e32 v5, vcc_lo, s9, v1, vcc_lo
	s_lshl_b64 s[8:9], s[4:5], 3
	v_mov_b32_e32 v0, 0
	s_lshl_b64 s[4:5], s[16:17], 6
	v_mov_b32_e32 v1, 0
	s_add_u32 s8, s10, s8
	v_add_nc_u32_e32 v15, 0x800, v8
	s_addc_u32 s9, s11, s9
	v_add_co_u32 v8, vcc_lo, s8, v2
	v_add_co_ci_u32_e32 v9, vcc_lo, s9, v3, vcc_lo
	v_dual_mov_b32 v3, v1 :: v_dual_mov_b32 v2, v0
	v_mov_b32_e32 v7, v1
	v_dual_mov_b32 v11, v1 :: v_dual_mov_b32 v6, v0
	v_mov_b32_e32 v10, v0
	s_lshl_b64 s[8:9], s[18:19], 6
.LBB102_2:                              ; =>This Inner Loop Header: Depth=1
	global_load_b64 v[18:19], v[4:5], off
	global_load_b64 v[20:21], v[8:9], off
	v_add_co_u32 v4, vcc_lo, v4, s4
	v_add_co_ci_u32_e32 v5, vcc_lo, s5, v5, vcc_lo
	v_add_co_u32 v8, vcc_lo, v8, s8
	v_add_co_ci_u32_e32 v9, vcc_lo, s9, v9, vcc_lo
	s_add_i32 s14, s14, 8
	s_waitcnt vmcnt(1)
	ds_store_b64 v14, v[18:19]
	s_waitcnt vmcnt(0)
	ds_store_b64 v15, v[20:21]
	s_waitcnt lgkmcnt(0)
	s_barrier
	buffer_gl0_inv
	ds_load_2addr_b64 v[18:21], v16 offset1:16
	ds_load_b128 v[22:25], v17
	ds_load_b128 v[26:29], v17 offset:1024
	ds_load_b128 v[30:33], v17 offset:16
	;; [unrolled: 1-line block ×3, first 2 shown]
	s_cmp_ge_i32 s14, s3
	s_waitcnt lgkmcnt(3)
	v_fma_f64 v[10:11], v[18:19], v[22:23], v[10:11]
	v_fma_f64 v[6:7], v[20:21], v[22:23], v[6:7]
	s_waitcnt lgkmcnt(2)
	v_fma_f64 v[18:19], v[18:19], v[26:27], v[2:3]
	v_fma_f64 v[20:21], v[20:21], v[26:27], v[0:1]
	ds_load_2addr_b64 v[0:3], v16 offset0:32 offset1:48
	s_waitcnt lgkmcnt(0)
	v_fma_f64 v[10:11], v[0:1], v[24:25], v[10:11]
	v_fma_f64 v[6:7], v[2:3], v[24:25], v[6:7]
	v_fma_f64 v[18:19], v[0:1], v[28:29], v[18:19]
	v_fma_f64 v[20:21], v[2:3], v[28:29], v[20:21]
	ds_load_2addr_b64 v[0:3], v16 offset0:64 offset1:80
	s_waitcnt lgkmcnt(0)
	v_fma_f64 v[10:11], v[0:1], v[30:31], v[10:11]
	v_fma_f64 v[6:7], v[2:3], v[30:31], v[6:7]
	;; [unrolled: 6-line block ×3, first 2 shown]
	v_fma_f64 v[34:35], v[0:1], v[36:37], v[18:19]
	v_fma_f64 v[36:37], v[2:3], v[36:37], v[20:21]
	ds_load_2addr_b64 v[0:3], v16 offset0:128 offset1:144
	ds_load_b128 v[18:21], v17 offset:32
	ds_load_b128 v[22:25], v17 offset:1056
	;; [unrolled: 1-line block ×4, first 2 shown]
	s_waitcnt lgkmcnt(3)
	v_fma_f64 v[10:11], v[0:1], v[18:19], v[10:11]
	v_fma_f64 v[6:7], v[2:3], v[18:19], v[6:7]
	s_waitcnt lgkmcnt(2)
	v_fma_f64 v[18:19], v[0:1], v[22:23], v[34:35]
	v_fma_f64 v[22:23], v[2:3], v[22:23], v[36:37]
	ds_load_2addr_b64 v[0:3], v16 offset0:160 offset1:176
	s_waitcnt lgkmcnt(0)
	v_fma_f64 v[10:11], v[0:1], v[20:21], v[10:11]
	v_fma_f64 v[6:7], v[2:3], v[20:21], v[6:7]
	;; [unrolled: 1-line block ×4, first 2 shown]
	ds_load_2addr_b64 v[0:3], v16 offset0:192 offset1:208
	s_waitcnt lgkmcnt(0)
	v_fma_f64 v[10:11], v[0:1], v[26:27], v[10:11]
	v_fma_f64 v[6:7], v[2:3], v[26:27], v[6:7]
	;; [unrolled: 1-line block ×4, first 2 shown]
	ds_load_2addr_b64 v[18:21], v16 offset0:224 offset1:240
	s_waitcnt lgkmcnt(0)
	s_barrier
	buffer_gl0_inv
	v_fma_f64 v[10:11], v[18:19], v[28:29], v[10:11]
	v_fma_f64 v[6:7], v[20:21], v[28:29], v[6:7]
	;; [unrolled: 1-line block ×4, first 2 shown]
	s_cbranch_scc0 .LBB102_2
.LBB102_3:
	s_clause 0x1
	s_load_b32 s3, s[0:1], 0x40
	s_load_b64 s[0:1], s[0:1], 0x48
	v_add_nc_u32_e32 v13, s13, v13
	v_add_nc_u32_e32 v4, s12, v12
	s_delay_alu instid0(VALU_DEP_2)
	v_cmp_gt_i32_e32 vcc_lo, s2, v13
	s_waitcnt lgkmcnt(0)
	v_mad_i64_i32 v[8:9], null, v13, s3, 0
	s_mul_i32 s1, s15, s1
	s_mul_hi_u32 s4, s15, s0
	s_mul_i32 s0, s15, s0
	s_add_i32 s1, s4, s1
	s_delay_alu instid0(SALU_CYCLE_1) | instskip(NEXT) | instid1(VALU_DEP_1)
	s_lshl_b64 s[4:5], s[0:1], 3
	v_lshlrev_b64 v[8:9], 3, v[8:9]
	s_add_u32 s4, s6, s4
	v_cmp_le_i32_e64 s0, v4, v13
	s_addc_u32 s5, s7, s5
	s_delay_alu instid0(VALU_DEP_2) | instskip(NEXT) | instid1(VALU_DEP_1)
	v_add_co_u32 v12, s1, s4, v8
	v_add_co_ci_u32_e64 v14, s1, s5, v9, s1
	s_delay_alu instid0(VALU_DEP_3) | instskip(NEXT) | instid1(SALU_CYCLE_1)
	s_and_b32 s0, vcc_lo, s0
	s_and_saveexec_b32 s1, s0
	s_cbranch_execz .LBB102_5
; %bb.4:
	v_ashrrev_i32_e32 v5, 31, v4
	v_xor_b32_e32 v11, 0x80000000, v11
	s_delay_alu instid0(VALU_DEP_2) | instskip(NEXT) | instid1(VALU_DEP_1)
	v_lshlrev_b64 v[8:9], 3, v[4:5]
	v_add_co_u32 v8, s0, v12, v8
	s_delay_alu instid0(VALU_DEP_1)
	v_add_co_ci_u32_e64 v9, s0, v14, v9, s0
	global_store_b64 v[8:9], v[10:11], off
.LBB102_5:
	s_or_b32 exec_lo, exec_lo, s1
	v_add_nc_u32_e32 v8, 16, v4
	s_delay_alu instid0(VALU_DEP_1) | instskip(NEXT) | instid1(VALU_DEP_1)
	v_cmp_le_i32_e64 s0, v8, v13
	s_and_b32 s1, vcc_lo, s0
	s_delay_alu instid0(SALU_CYCLE_1)
	s_and_saveexec_b32 s0, s1
	s_cbranch_execz .LBB102_7
; %bb.6:
	v_ashrrev_i32_e32 v9, 31, v8
	v_xor_b32_e32 v7, 0x80000000, v7
	s_delay_alu instid0(VALU_DEP_2) | instskip(NEXT) | instid1(VALU_DEP_1)
	v_lshlrev_b64 v[9:10], 3, v[8:9]
	v_add_co_u32 v9, vcc_lo, v12, v9
	s_delay_alu instid0(VALU_DEP_2)
	v_add_co_ci_u32_e32 v10, vcc_lo, v14, v10, vcc_lo
	global_store_b64 v[9:10], v[6:7], off
.LBB102_7:
	s_or_b32 exec_lo, exec_lo, s0
	v_add_nc_u32_e32 v9, 16, v13
	s_delay_alu instid0(VALU_DEP_1) | instskip(SKIP_2) | instid1(VALU_DEP_1)
	v_mad_i64_i32 v[5:6], null, v9, s3, 0
	v_cmp_gt_i32_e32 vcc_lo, s2, v9
	v_cmp_le_i32_e64 s0, v4, v9
	s_and_b32 s0, vcc_lo, s0
	s_delay_alu instid0(VALU_DEP_3) | instskip(NEXT) | instid1(VALU_DEP_1)
	v_lshlrev_b64 v[6:7], 3, v[5:6]
	v_add_co_u32 v6, s1, s4, v6
	s_delay_alu instid0(VALU_DEP_1)
	v_add_co_ci_u32_e64 v7, s1, s5, v7, s1
	s_and_saveexec_b32 s1, s0
	s_cbranch_execz .LBB102_9
; %bb.8:
	v_ashrrev_i32_e32 v5, 31, v4
	v_xor_b32_e32 v3, 0x80000000, v3
	s_delay_alu instid0(VALU_DEP_2) | instskip(NEXT) | instid1(VALU_DEP_1)
	v_lshlrev_b64 v[4:5], 3, v[4:5]
	v_add_co_u32 v4, s0, v6, v4
	s_delay_alu instid0(VALU_DEP_1)
	v_add_co_ci_u32_e64 v5, s0, v7, v5, s0
	global_store_b64 v[4:5], v[2:3], off
.LBB102_9:
	s_or_b32 exec_lo, exec_lo, s1
	v_cmp_le_i32_e64 s0, v8, v9
	s_delay_alu instid0(VALU_DEP_1) | instskip(NEXT) | instid1(SALU_CYCLE_1)
	s_and_b32 s0, vcc_lo, s0
	s_and_saveexec_b32 s1, s0
	s_cbranch_execz .LBB102_11
; %bb.10:
	v_ashrrev_i32_e32 v9, 31, v8
	v_xor_b32_e32 v1, 0x80000000, v1
	s_delay_alu instid0(VALU_DEP_2) | instskip(NEXT) | instid1(VALU_DEP_1)
	v_lshlrev_b64 v[2:3], 3, v[8:9]
	v_add_co_u32 v2, vcc_lo, v6, v2
	s_delay_alu instid0(VALU_DEP_2)
	v_add_co_ci_u32_e32 v3, vcc_lo, v7, v3, vcc_lo
	global_store_b64 v[2:3], v[0:1], off
.LBB102_11:
	s_nop 0
	s_sendmsg sendmsg(MSG_DEALLOC_VGPRS)
	s_endpgm
	.section	.rodata,"a",@progbits
	.p2align	6, 0x0
	.amdhsa_kernel _ZL37rocblas_syrkx_herkx_restricted_kernelIidLi16ELi32ELi8ELin1ELi0ELb0ELc78ELc85EKddEviT_PT9_S1_lS3_S1_lPT10_S1_li
		.amdhsa_group_segment_fixed_size 4096
		.amdhsa_private_segment_fixed_size 0
		.amdhsa_kernarg_size 84
		.amdhsa_user_sgpr_count 13
		.amdhsa_user_sgpr_dispatch_ptr 0
		.amdhsa_user_sgpr_queue_ptr 0
		.amdhsa_user_sgpr_kernarg_segment_ptr 1
		.amdhsa_user_sgpr_dispatch_id 0
		.amdhsa_user_sgpr_private_segment_size 0
		.amdhsa_wavefront_size32 1
		.amdhsa_uses_dynamic_stack 0
		.amdhsa_enable_private_segment 0
		.amdhsa_system_sgpr_workgroup_id_x 1
		.amdhsa_system_sgpr_workgroup_id_y 1
		.amdhsa_system_sgpr_workgroup_id_z 1
		.amdhsa_system_sgpr_workgroup_info 0
		.amdhsa_system_vgpr_workitem_id 1
		.amdhsa_next_free_vgpr 38
		.amdhsa_next_free_sgpr 23
		.amdhsa_reserve_vcc 1
		.amdhsa_float_round_mode_32 0
		.amdhsa_float_round_mode_16_64 0
		.amdhsa_float_denorm_mode_32 3
		.amdhsa_float_denorm_mode_16_64 3
		.amdhsa_dx10_clamp 1
		.amdhsa_ieee_mode 1
		.amdhsa_fp16_overflow 0
		.amdhsa_workgroup_processor_mode 1
		.amdhsa_memory_ordered 1
		.amdhsa_forward_progress 0
		.amdhsa_shared_vgpr_count 0
		.amdhsa_exception_fp_ieee_invalid_op 0
		.amdhsa_exception_fp_denorm_src 0
		.amdhsa_exception_fp_ieee_div_zero 0
		.amdhsa_exception_fp_ieee_overflow 0
		.amdhsa_exception_fp_ieee_underflow 0
		.amdhsa_exception_fp_ieee_inexact 0
		.amdhsa_exception_int_div_zero 0
	.end_amdhsa_kernel
	.section	.text._ZL37rocblas_syrkx_herkx_restricted_kernelIidLi16ELi32ELi8ELin1ELi0ELb0ELc78ELc85EKddEviT_PT9_S1_lS3_S1_lPT10_S1_li,"axG",@progbits,_ZL37rocblas_syrkx_herkx_restricted_kernelIidLi16ELi32ELi8ELin1ELi0ELb0ELc78ELc85EKddEviT_PT9_S1_lS3_S1_lPT10_S1_li,comdat
.Lfunc_end102:
	.size	_ZL37rocblas_syrkx_herkx_restricted_kernelIidLi16ELi32ELi8ELin1ELi0ELb0ELc78ELc85EKddEviT_PT9_S1_lS3_S1_lPT10_S1_li, .Lfunc_end102-_ZL37rocblas_syrkx_herkx_restricted_kernelIidLi16ELi32ELi8ELin1ELi0ELb0ELc78ELc85EKddEviT_PT9_S1_lS3_S1_lPT10_S1_li
                                        ; -- End function
	.section	.AMDGPU.csdata,"",@progbits
; Kernel info:
; codeLenInByte = 1404
; NumSgprs: 25
; NumVgprs: 38
; ScratchSize: 0
; MemoryBound: 0
; FloatMode: 240
; IeeeMode: 1
; LDSByteSize: 4096 bytes/workgroup (compile time only)
; SGPRBlocks: 3
; VGPRBlocks: 4
; NumSGPRsForWavesPerEU: 25
; NumVGPRsForWavesPerEU: 38
; Occupancy: 16
; WaveLimiterHint : 0
; COMPUTE_PGM_RSRC2:SCRATCH_EN: 0
; COMPUTE_PGM_RSRC2:USER_SGPR: 13
; COMPUTE_PGM_RSRC2:TRAP_HANDLER: 0
; COMPUTE_PGM_RSRC2:TGID_X_EN: 1
; COMPUTE_PGM_RSRC2:TGID_Y_EN: 1
; COMPUTE_PGM_RSRC2:TGID_Z_EN: 1
; COMPUTE_PGM_RSRC2:TIDIG_COMP_CNT: 1
	.section	.text._ZL37rocblas_syrkx_herkx_restricted_kernelIidLi16ELi32ELi8ELb1ELb0ELc84ELc76EKddEviT_T0_PT8_S1_lS4_S1_lS2_PT9_S1_li,"axG",@progbits,_ZL37rocblas_syrkx_herkx_restricted_kernelIidLi16ELi32ELi8ELb1ELb0ELc84ELc76EKddEviT_T0_PT8_S1_lS4_S1_lS2_PT9_S1_li,comdat
	.globl	_ZL37rocblas_syrkx_herkx_restricted_kernelIidLi16ELi32ELi8ELb1ELb0ELc84ELc76EKddEviT_T0_PT8_S1_lS4_S1_lS2_PT9_S1_li ; -- Begin function _ZL37rocblas_syrkx_herkx_restricted_kernelIidLi16ELi32ELi8ELb1ELb0ELc84ELc76EKddEviT_T0_PT8_S1_lS4_S1_lS2_PT9_S1_li
	.p2align	8
	.type	_ZL37rocblas_syrkx_herkx_restricted_kernelIidLi16ELi32ELi8ELb1ELb0ELc84ELc76EKddEviT_T0_PT8_S1_lS4_S1_lS2_PT9_S1_li,@function
_ZL37rocblas_syrkx_herkx_restricted_kernelIidLi16ELi32ELi8ELb1ELb0ELc84ELc76EKddEviT_T0_PT8_S1_lS4_S1_lS2_PT9_S1_li: ; @_ZL37rocblas_syrkx_herkx_restricted_kernelIidLi16ELi32ELi8ELb1ELb0ELc84ELc76EKddEviT_T0_PT8_S1_lS4_S1_lS2_PT9_S1_li
; %bb.0:
	s_clause 0x1
	s_load_b64 s[2:3], s[0:1], 0x0
	s_load_b128 s[4:7], s[0:1], 0x8
	v_mov_b32_e32 v10, 0
	v_dual_mov_b32 v11, 0 :: v_dual_and_b32 v12, 0x3ff, v0
	v_bfe_u32 v13, v0, 10, 10
	s_delay_alu instid0(VALU_DEP_3) | instskip(NEXT) | instid1(VALU_DEP_3)
	v_mov_b32_e32 v8, v10
	v_dual_mov_b32 v2, v10 :: v_dual_mov_b32 v3, v11
	v_dual_mov_b32 v9, v11 :: v_dual_mov_b32 v0, v10
	v_mov_b32_e32 v1, v11
	s_lshl_b32 s12, s13, 5
	s_lshl_b32 s13, s14, 5
	s_mov_b32 s14, 0
	s_waitcnt lgkmcnt(0)
	s_cmp_lt_i32 s3, 1
	s_cbranch_scc1 .LBB103_3
; %bb.1:
	s_clause 0x1
	s_load_b64 s[16:17], s[0:1], 0x38
	s_load_b32 s18, s[0:1], 0x30
	v_lshl_add_u32 v2, v13, 4, v12
	s_clause 0x1
	s_load_b32 s19, s[0:1], 0x18
	s_load_b128 s[8:11], s[0:1], 0x20
	v_dual_mov_b32 v1, 0 :: v_dual_and_b32 v0, 7, v12
	v_lshlrev_b32_e32 v14, 3, v12
	v_lshrrev_b32_e32 v4, 3, v2
	v_and_b32_e32 v5, 31, v2
	s_delay_alu instid0(VALU_DEP_4)
	v_lshlrev_b32_e32 v6, 3, v0
	v_lshrrev_b32_e32 v2, 5, v2
	v_mov_b32_e32 v3, v1
	v_add_nc_u32_e32 v7, s13, v4
	v_lshlrev_b32_e32 v8, 3, v5
	v_lshl_or_b32 v6, v4, 6, v6
	v_add_nc_u32_e32 v9, s12, v5
	v_lshl_add_u32 v17, v13, 6, 0x800
	s_delay_alu instid0(VALU_DEP_4)
	v_lshl_or_b32 v15, v2, 8, v8
	s_waitcnt lgkmcnt(0)
	s_mul_i32 s17, s17, s15
	v_mad_i64_i32 v[4:5], null, s18, v7, v[0:1]
	s_mul_hi_u32 s18, s16, s15
	s_mul_i32 s16, s16, s15
	s_add_i32 s17, s18, s17
	s_mul_i32 s9, s9, s15
	s_lshl_b64 s[16:17], s[16:17], 3
	s_delay_alu instid0(SALU_CYCLE_1) | instskip(NEXT) | instid1(VALU_DEP_1)
	s_add_u32 s10, s10, s16
	v_lshlrev_b64 v[0:1], 3, v[4:5]
	v_mad_i64_i32 v[4:5], null, s19, v9, v[2:3]
	s_mul_hi_u32 s16, s8, s15
	s_addc_u32 s11, s11, s17
	s_add_i32 s9, s16, s9
	s_mul_i32 s8, s8, s15
	s_delay_alu instid0(SALU_CYCLE_1) | instskip(NEXT) | instid1(VALU_DEP_1)
	s_lshl_b64 s[8:9], s[8:9], 3
	v_lshlrev_b64 v[2:3], 3, v[4:5]
	v_add_co_u32 v4, vcc_lo, s10, v0
	v_add_co_ci_u32_e32 v5, vcc_lo, s11, v1, vcc_lo
	v_mov_b32_e32 v0, 0
	v_mov_b32_e32 v1, 0
	s_add_u32 s6, s6, s8
	v_add_nc_u32_e32 v16, 0x800, v6
	s_addc_u32 s7, s7, s9
	v_add_co_u32 v6, vcc_lo, s6, v2
	v_mov_b32_e32 v9, v1
	v_add_co_ci_u32_e32 v7, vcc_lo, s7, v3, vcc_lo
	v_dual_mov_b32 v3, v1 :: v_dual_mov_b32 v2, v0
	v_dual_mov_b32 v8, v0 :: v_dual_mov_b32 v11, v1
	v_mov_b32_e32 v10, v0
.LBB103_2:                              ; =>This Inner Loop Header: Depth=1
	global_load_b64 v[18:19], v[6:7], off
	global_load_b64 v[20:21], v[4:5], off
	v_add_co_u32 v4, vcc_lo, v4, 64
	v_add_co_ci_u32_e32 v5, vcc_lo, 0, v5, vcc_lo
	v_add_co_u32 v6, vcc_lo, v6, 64
	v_add_co_ci_u32_e32 v7, vcc_lo, 0, v7, vcc_lo
	s_add_i32 s14, s14, 8
	s_waitcnt vmcnt(1)
	ds_store_b64 v15, v[18:19]
	s_waitcnt vmcnt(0)
	ds_store_b64 v16, v[20:21]
	s_waitcnt lgkmcnt(0)
	s_barrier
	buffer_gl0_inv
	ds_load_2addr_b64 v[18:21], v14 offset1:16
	ds_load_b128 v[22:25], v17
	ds_load_b128 v[26:29], v17 offset:1024
	ds_load_b128 v[30:33], v17 offset:16
	;; [unrolled: 1-line block ×3, first 2 shown]
	s_cmp_ge_i32 s14, s3
	s_waitcnt lgkmcnt(3)
	v_fma_f64 v[10:11], v[18:19], v[22:23], v[10:11]
	v_fma_f64 v[8:9], v[20:21], v[22:23], v[8:9]
	s_waitcnt lgkmcnt(2)
	v_fma_f64 v[18:19], v[18:19], v[26:27], v[2:3]
	v_fma_f64 v[20:21], v[20:21], v[26:27], v[0:1]
	ds_load_2addr_b64 v[0:3], v14 offset0:32 offset1:48
	s_waitcnt lgkmcnt(0)
	v_fma_f64 v[10:11], v[0:1], v[24:25], v[10:11]
	v_fma_f64 v[8:9], v[2:3], v[24:25], v[8:9]
	v_fma_f64 v[18:19], v[0:1], v[28:29], v[18:19]
	v_fma_f64 v[20:21], v[2:3], v[28:29], v[20:21]
	ds_load_2addr_b64 v[0:3], v14 offset0:64 offset1:80
	s_waitcnt lgkmcnt(0)
	v_fma_f64 v[10:11], v[0:1], v[30:31], v[10:11]
	v_fma_f64 v[8:9], v[2:3], v[30:31], v[8:9]
	;; [unrolled: 6-line block ×3, first 2 shown]
	v_fma_f64 v[34:35], v[0:1], v[36:37], v[18:19]
	v_fma_f64 v[36:37], v[2:3], v[36:37], v[20:21]
	ds_load_2addr_b64 v[0:3], v14 offset0:128 offset1:144
	ds_load_b128 v[8:11], v17 offset:32
	ds_load_b128 v[18:21], v17 offset:1056
	;; [unrolled: 1-line block ×4, first 2 shown]
	s_waitcnt lgkmcnt(3)
	v_fma_f64 v[30:31], v[0:1], v[8:9], v[30:31]
	v_fma_f64 v[8:9], v[2:3], v[8:9], v[32:33]
	s_waitcnt lgkmcnt(2)
	v_fma_f64 v[32:33], v[0:1], v[18:19], v[34:35]
	v_fma_f64 v[18:19], v[2:3], v[18:19], v[36:37]
	ds_load_2addr_b64 v[0:3], v14 offset0:160 offset1:176
	s_waitcnt lgkmcnt(0)
	v_fma_f64 v[30:31], v[0:1], v[10:11], v[30:31]
	v_fma_f64 v[8:9], v[2:3], v[10:11], v[8:9]
	v_fma_f64 v[10:11], v[0:1], v[20:21], v[32:33]
	v_fma_f64 v[18:19], v[2:3], v[20:21], v[18:19]
	ds_load_2addr_b64 v[0:3], v14 offset0:192 offset1:208
	s_waitcnt lgkmcnt(0)
	v_fma_f64 v[30:31], v[0:1], v[22:23], v[30:31]
	v_fma_f64 v[8:9], v[2:3], v[22:23], v[8:9]
	;; [unrolled: 1-line block ×4, first 2 shown]
	ds_load_2addr_b64 v[18:21], v14 offset0:224 offset1:240
	s_waitcnt lgkmcnt(0)
	s_barrier
	buffer_gl0_inv
	v_fma_f64 v[10:11], v[18:19], v[24:25], v[30:31]
	v_fma_f64 v[8:9], v[20:21], v[24:25], v[8:9]
	;; [unrolled: 1-line block ×4, first 2 shown]
	s_cbranch_scc0 .LBB103_2
.LBB103_3:
	s_clause 0x2
	s_load_b32 s3, s[0:1], 0x50
	s_load_b64 s[6:7], s[0:1], 0x58
	s_load_b64 s[8:9], s[0:1], 0x48
	v_add_nc_u32_e32 v13, s13, v13
	v_add_nc_u32_e32 v4, s12, v12
	s_delay_alu instid0(VALU_DEP_1)
	v_cmp_le_i32_e64 s0, v13, v4
	v_cmp_gt_i32_e32 vcc_lo, s2, v4
	s_waitcnt lgkmcnt(0)
	v_mad_i64_i32 v[5:6], null, v13, s3, 0
	s_mul_i32 s1, s15, s7
	s_mul_hi_u32 s7, s15, s6
	s_mul_i32 s6, s15, s6
	s_add_i32 s7, s7, s1
	s_delay_alu instid0(SALU_CYCLE_1) | instskip(NEXT) | instid1(VALU_DEP_1)
	s_lshl_b64 s[6:7], s[6:7], 3
	v_lshlrev_b64 v[5:6], 3, v[5:6]
	s_add_u32 s6, s8, s6
	s_addc_u32 s7, s9, s7
	s_and_b32 s0, s0, vcc_lo
	s_delay_alu instid0(VALU_DEP_1) | instskip(NEXT) | instid1(VALU_DEP_1)
	v_add_co_u32 v12, s1, s6, v5
	v_add_co_ci_u32_e64 v14, s1, s7, v6, s1
	s_and_saveexec_b32 s1, s0
	s_cbranch_execz .LBB103_5
; %bb.4:
	v_mul_f64 v[6:7], v[10:11], s[4:5]
	v_ashrrev_i32_e32 v5, 31, v4
	s_delay_alu instid0(VALU_DEP_1) | instskip(NEXT) | instid1(VALU_DEP_1)
	v_lshlrev_b64 v[10:11], 3, v[4:5]
	v_add_co_u32 v10, s0, v12, v10
	s_delay_alu instid0(VALU_DEP_1)
	v_add_co_ci_u32_e64 v11, s0, v14, v11, s0
	global_store_b64 v[10:11], v[6:7], off
.LBB103_5:
	s_or_b32 exec_lo, exec_lo, s1
	v_add_nc_u32_e32 v6, 16, v4
	s_delay_alu instid0(VALU_DEP_1) | instskip(SKIP_1) | instid1(VALU_DEP_1)
	v_cmp_le_i32_e64 s1, v13, v6
	v_cmp_gt_i32_e64 s0, s2, v6
	s_and_b32 s1, s1, s0
	s_delay_alu instid0(SALU_CYCLE_1)
	s_and_saveexec_b32 s2, s1
	s_cbranch_execz .LBB103_7
; %bb.6:
	v_mul_f64 v[8:9], v[8:9], s[4:5]
	v_ashrrev_i32_e32 v7, 31, v6
	s_delay_alu instid0(VALU_DEP_1) | instskip(NEXT) | instid1(VALU_DEP_1)
	v_lshlrev_b64 v[10:11], 3, v[6:7]
	v_add_co_u32 v10, s1, v12, v10
	s_delay_alu instid0(VALU_DEP_1)
	v_add_co_ci_u32_e64 v11, s1, v14, v11, s1
	global_store_b64 v[10:11], v[8:9], off
.LBB103_7:
	s_or_b32 exec_lo, exec_lo, s2
	v_add_nc_u32_e32 v7, 16, v13
	s_delay_alu instid0(VALU_DEP_1) | instskip(SKIP_1) | instid1(VALU_DEP_2)
	v_mad_i64_i32 v[8:9], null, v7, s3, 0
	v_cmp_le_i32_e64 s1, v7, v4
	v_lshlrev_b64 v[8:9], 3, v[8:9]
	s_delay_alu instid0(VALU_DEP_1) | instskip(NEXT) | instid1(VALU_DEP_1)
	v_add_co_u32 v8, s2, s6, v8
	v_add_co_ci_u32_e64 v9, s2, s7, v9, s2
	s_delay_alu instid0(VALU_DEP_4) | instskip(NEXT) | instid1(SALU_CYCLE_1)
	s_and_b32 s2, s1, vcc_lo
	s_and_saveexec_b32 s1, s2
	s_cbranch_execz .LBB103_9
; %bb.8:
	v_mul_f64 v[2:3], v[2:3], s[4:5]
	v_ashrrev_i32_e32 v5, 31, v4
	s_delay_alu instid0(VALU_DEP_1) | instskip(NEXT) | instid1(VALU_DEP_1)
	v_lshlrev_b64 v[4:5], 3, v[4:5]
	v_add_co_u32 v4, vcc_lo, v8, v4
	s_delay_alu instid0(VALU_DEP_2)
	v_add_co_ci_u32_e32 v5, vcc_lo, v9, v5, vcc_lo
	global_store_b64 v[4:5], v[2:3], off
.LBB103_9:
	s_or_b32 exec_lo, exec_lo, s1
	v_cmp_le_i32_e32 vcc_lo, v7, v6
	s_and_b32 s0, vcc_lo, s0
	s_delay_alu instid0(SALU_CYCLE_1)
	s_and_saveexec_b32 s1, s0
	s_cbranch_execz .LBB103_11
; %bb.10:
	v_mul_f64 v[0:1], v[0:1], s[4:5]
	v_ashrrev_i32_e32 v7, 31, v6
	s_delay_alu instid0(VALU_DEP_1) | instskip(NEXT) | instid1(VALU_DEP_1)
	v_lshlrev_b64 v[2:3], 3, v[6:7]
	v_add_co_u32 v2, vcc_lo, v8, v2
	s_delay_alu instid0(VALU_DEP_2)
	v_add_co_ci_u32_e32 v3, vcc_lo, v9, v3, vcc_lo
	global_store_b64 v[2:3], v[0:1], off
.LBB103_11:
	s_nop 0
	s_sendmsg sendmsg(MSG_DEALLOC_VGPRS)
	s_endpgm
	.section	.rodata,"a",@progbits
	.p2align	6, 0x0
	.amdhsa_kernel _ZL37rocblas_syrkx_herkx_restricted_kernelIidLi16ELi32ELi8ELb1ELb0ELc84ELc76EKddEviT_T0_PT8_S1_lS4_S1_lS2_PT9_S1_li
		.amdhsa_group_segment_fixed_size 4096
		.amdhsa_private_segment_fixed_size 0
		.amdhsa_kernarg_size 100
		.amdhsa_user_sgpr_count 13
		.amdhsa_user_sgpr_dispatch_ptr 0
		.amdhsa_user_sgpr_queue_ptr 0
		.amdhsa_user_sgpr_kernarg_segment_ptr 1
		.amdhsa_user_sgpr_dispatch_id 0
		.amdhsa_user_sgpr_private_segment_size 0
		.amdhsa_wavefront_size32 1
		.amdhsa_uses_dynamic_stack 0
		.amdhsa_enable_private_segment 0
		.amdhsa_system_sgpr_workgroup_id_x 1
		.amdhsa_system_sgpr_workgroup_id_y 1
		.amdhsa_system_sgpr_workgroup_id_z 1
		.amdhsa_system_sgpr_workgroup_info 0
		.amdhsa_system_vgpr_workitem_id 1
		.amdhsa_next_free_vgpr 38
		.amdhsa_next_free_sgpr 20
		.amdhsa_reserve_vcc 1
		.amdhsa_float_round_mode_32 0
		.amdhsa_float_round_mode_16_64 0
		.amdhsa_float_denorm_mode_32 3
		.amdhsa_float_denorm_mode_16_64 3
		.amdhsa_dx10_clamp 1
		.amdhsa_ieee_mode 1
		.amdhsa_fp16_overflow 0
		.amdhsa_workgroup_processor_mode 1
		.amdhsa_memory_ordered 1
		.amdhsa_forward_progress 0
		.amdhsa_shared_vgpr_count 0
		.amdhsa_exception_fp_ieee_invalid_op 0
		.amdhsa_exception_fp_denorm_src 0
		.amdhsa_exception_fp_ieee_div_zero 0
		.amdhsa_exception_fp_ieee_overflow 0
		.amdhsa_exception_fp_ieee_underflow 0
		.amdhsa_exception_fp_ieee_inexact 0
		.amdhsa_exception_int_div_zero 0
	.end_amdhsa_kernel
	.section	.text._ZL37rocblas_syrkx_herkx_restricted_kernelIidLi16ELi32ELi8ELb1ELb0ELc84ELc76EKddEviT_T0_PT8_S1_lS4_S1_lS2_PT9_S1_li,"axG",@progbits,_ZL37rocblas_syrkx_herkx_restricted_kernelIidLi16ELi32ELi8ELb1ELb0ELc84ELc76EKddEviT_T0_PT8_S1_lS4_S1_lS2_PT9_S1_li,comdat
.Lfunc_end103:
	.size	_ZL37rocblas_syrkx_herkx_restricted_kernelIidLi16ELi32ELi8ELb1ELb0ELc84ELc76EKddEviT_T0_PT8_S1_lS4_S1_lS2_PT9_S1_li, .Lfunc_end103-_ZL37rocblas_syrkx_herkx_restricted_kernelIidLi16ELi32ELi8ELb1ELb0ELc84ELc76EKddEviT_T0_PT8_S1_lS4_S1_lS2_PT9_S1_li
                                        ; -- End function
	.section	.AMDGPU.csdata,"",@progbits
; Kernel info:
; codeLenInByte = 1404
; NumSgprs: 22
; NumVgprs: 38
; ScratchSize: 0
; MemoryBound: 0
; FloatMode: 240
; IeeeMode: 1
; LDSByteSize: 4096 bytes/workgroup (compile time only)
; SGPRBlocks: 2
; VGPRBlocks: 4
; NumSGPRsForWavesPerEU: 22
; NumVGPRsForWavesPerEU: 38
; Occupancy: 16
; WaveLimiterHint : 0
; COMPUTE_PGM_RSRC2:SCRATCH_EN: 0
; COMPUTE_PGM_RSRC2:USER_SGPR: 13
; COMPUTE_PGM_RSRC2:TRAP_HANDLER: 0
; COMPUTE_PGM_RSRC2:TGID_X_EN: 1
; COMPUTE_PGM_RSRC2:TGID_Y_EN: 1
; COMPUTE_PGM_RSRC2:TGID_Z_EN: 1
; COMPUTE_PGM_RSRC2:TIDIG_COMP_CNT: 1
	.section	.text._ZL37rocblas_syrkx_herkx_restricted_kernelIidLi16ELi32ELi8ELb1ELb0ELc67ELc76EKddEviT_T0_PT8_S1_lS4_S1_lS2_PT9_S1_li,"axG",@progbits,_ZL37rocblas_syrkx_herkx_restricted_kernelIidLi16ELi32ELi8ELb1ELb0ELc67ELc76EKddEviT_T0_PT8_S1_lS4_S1_lS2_PT9_S1_li,comdat
	.globl	_ZL37rocblas_syrkx_herkx_restricted_kernelIidLi16ELi32ELi8ELb1ELb0ELc67ELc76EKddEviT_T0_PT8_S1_lS4_S1_lS2_PT9_S1_li ; -- Begin function _ZL37rocblas_syrkx_herkx_restricted_kernelIidLi16ELi32ELi8ELb1ELb0ELc67ELc76EKddEviT_T0_PT8_S1_lS4_S1_lS2_PT9_S1_li
	.p2align	8
	.type	_ZL37rocblas_syrkx_herkx_restricted_kernelIidLi16ELi32ELi8ELb1ELb0ELc67ELc76EKddEviT_T0_PT8_S1_lS4_S1_lS2_PT9_S1_li,@function
_ZL37rocblas_syrkx_herkx_restricted_kernelIidLi16ELi32ELi8ELb1ELb0ELc67ELc76EKddEviT_T0_PT8_S1_lS4_S1_lS2_PT9_S1_li: ; @_ZL37rocblas_syrkx_herkx_restricted_kernelIidLi16ELi32ELi8ELb1ELb0ELc67ELc76EKddEviT_T0_PT8_S1_lS4_S1_lS2_PT9_S1_li
; %bb.0:
	s_clause 0x1
	s_load_b64 s[2:3], s[0:1], 0x0
	s_load_b128 s[4:7], s[0:1], 0x8
	v_mov_b32_e32 v10, 0
	v_dual_mov_b32 v11, 0 :: v_dual_and_b32 v12, 0x3ff, v0
	v_bfe_u32 v13, v0, 10, 10
	s_delay_alu instid0(VALU_DEP_3) | instskip(NEXT) | instid1(VALU_DEP_3)
	v_mov_b32_e32 v8, v10
	v_dual_mov_b32 v2, v10 :: v_dual_mov_b32 v3, v11
	v_dual_mov_b32 v9, v11 :: v_dual_mov_b32 v0, v10
	v_mov_b32_e32 v1, v11
	s_lshl_b32 s12, s13, 5
	s_lshl_b32 s13, s14, 5
	s_mov_b32 s14, 0
	s_waitcnt lgkmcnt(0)
	s_cmp_lt_i32 s3, 1
	s_cbranch_scc1 .LBB104_3
; %bb.1:
	s_clause 0x1
	s_load_b64 s[16:17], s[0:1], 0x38
	s_load_b32 s18, s[0:1], 0x30
	v_lshl_add_u32 v2, v13, 4, v12
	s_clause 0x1
	s_load_b32 s19, s[0:1], 0x18
	s_load_b128 s[8:11], s[0:1], 0x20
	v_dual_mov_b32 v1, 0 :: v_dual_and_b32 v0, 7, v12
	v_lshlrev_b32_e32 v14, 3, v12
	v_lshrrev_b32_e32 v4, 3, v2
	v_and_b32_e32 v5, 31, v2
	s_delay_alu instid0(VALU_DEP_4)
	v_lshlrev_b32_e32 v6, 3, v0
	v_lshrrev_b32_e32 v2, 5, v2
	v_mov_b32_e32 v3, v1
	v_add_nc_u32_e32 v7, s13, v4
	v_lshlrev_b32_e32 v8, 3, v5
	v_lshl_or_b32 v6, v4, 6, v6
	v_add_nc_u32_e32 v9, s12, v5
	v_lshl_add_u32 v17, v13, 6, 0x800
	s_delay_alu instid0(VALU_DEP_4)
	v_lshl_or_b32 v15, v2, 8, v8
	s_waitcnt lgkmcnt(0)
	s_mul_i32 s17, s17, s15
	v_mad_i64_i32 v[4:5], null, s18, v7, v[0:1]
	s_mul_hi_u32 s18, s16, s15
	s_mul_i32 s16, s16, s15
	s_add_i32 s17, s18, s17
	s_mul_i32 s9, s9, s15
	s_lshl_b64 s[16:17], s[16:17], 3
	s_delay_alu instid0(SALU_CYCLE_1) | instskip(NEXT) | instid1(VALU_DEP_1)
	s_add_u32 s10, s10, s16
	v_lshlrev_b64 v[0:1], 3, v[4:5]
	v_mad_i64_i32 v[4:5], null, s19, v9, v[2:3]
	s_mul_hi_u32 s16, s8, s15
	s_addc_u32 s11, s11, s17
	s_add_i32 s9, s16, s9
	s_mul_i32 s8, s8, s15
	s_delay_alu instid0(SALU_CYCLE_1) | instskip(NEXT) | instid1(VALU_DEP_1)
	s_lshl_b64 s[8:9], s[8:9], 3
	v_lshlrev_b64 v[2:3], 3, v[4:5]
	v_add_co_u32 v4, vcc_lo, s10, v0
	v_add_co_ci_u32_e32 v5, vcc_lo, s11, v1, vcc_lo
	v_mov_b32_e32 v0, 0
	v_mov_b32_e32 v1, 0
	s_add_u32 s6, s6, s8
	v_add_nc_u32_e32 v16, 0x800, v6
	s_addc_u32 s7, s7, s9
	v_add_co_u32 v6, vcc_lo, s6, v2
	v_mov_b32_e32 v9, v1
	v_add_co_ci_u32_e32 v7, vcc_lo, s7, v3, vcc_lo
	v_dual_mov_b32 v3, v1 :: v_dual_mov_b32 v2, v0
	v_dual_mov_b32 v8, v0 :: v_dual_mov_b32 v11, v1
	v_mov_b32_e32 v10, v0
.LBB104_2:                              ; =>This Inner Loop Header: Depth=1
	global_load_b64 v[18:19], v[6:7], off
	global_load_b64 v[20:21], v[4:5], off
	v_add_co_u32 v4, vcc_lo, v4, 64
	v_add_co_ci_u32_e32 v5, vcc_lo, 0, v5, vcc_lo
	v_add_co_u32 v6, vcc_lo, v6, 64
	v_add_co_ci_u32_e32 v7, vcc_lo, 0, v7, vcc_lo
	s_add_i32 s14, s14, 8
	s_waitcnt vmcnt(1)
	ds_store_b64 v15, v[18:19]
	s_waitcnt vmcnt(0)
	ds_store_b64 v16, v[20:21]
	s_waitcnt lgkmcnt(0)
	s_barrier
	buffer_gl0_inv
	ds_load_2addr_b64 v[18:21], v14 offset1:16
	ds_load_b128 v[22:25], v17
	ds_load_b128 v[26:29], v17 offset:1024
	ds_load_b128 v[30:33], v17 offset:16
	;; [unrolled: 1-line block ×3, first 2 shown]
	s_cmp_ge_i32 s14, s3
	s_waitcnt lgkmcnt(3)
	v_fma_f64 v[10:11], v[18:19], v[22:23], v[10:11]
	v_fma_f64 v[8:9], v[20:21], v[22:23], v[8:9]
	s_waitcnt lgkmcnt(2)
	v_fma_f64 v[18:19], v[18:19], v[26:27], v[2:3]
	v_fma_f64 v[20:21], v[20:21], v[26:27], v[0:1]
	ds_load_2addr_b64 v[0:3], v14 offset0:32 offset1:48
	s_waitcnt lgkmcnt(0)
	v_fma_f64 v[10:11], v[0:1], v[24:25], v[10:11]
	v_fma_f64 v[8:9], v[2:3], v[24:25], v[8:9]
	v_fma_f64 v[18:19], v[0:1], v[28:29], v[18:19]
	v_fma_f64 v[20:21], v[2:3], v[28:29], v[20:21]
	ds_load_2addr_b64 v[0:3], v14 offset0:64 offset1:80
	s_waitcnt lgkmcnt(0)
	v_fma_f64 v[10:11], v[0:1], v[30:31], v[10:11]
	v_fma_f64 v[8:9], v[2:3], v[30:31], v[8:9]
	;; [unrolled: 6-line block ×3, first 2 shown]
	v_fma_f64 v[34:35], v[0:1], v[36:37], v[18:19]
	v_fma_f64 v[36:37], v[2:3], v[36:37], v[20:21]
	ds_load_2addr_b64 v[0:3], v14 offset0:128 offset1:144
	ds_load_b128 v[8:11], v17 offset:32
	ds_load_b128 v[18:21], v17 offset:1056
	;; [unrolled: 1-line block ×4, first 2 shown]
	s_waitcnt lgkmcnt(3)
	v_fma_f64 v[30:31], v[0:1], v[8:9], v[30:31]
	v_fma_f64 v[8:9], v[2:3], v[8:9], v[32:33]
	s_waitcnt lgkmcnt(2)
	v_fma_f64 v[32:33], v[0:1], v[18:19], v[34:35]
	v_fma_f64 v[18:19], v[2:3], v[18:19], v[36:37]
	ds_load_2addr_b64 v[0:3], v14 offset0:160 offset1:176
	s_waitcnt lgkmcnt(0)
	v_fma_f64 v[30:31], v[0:1], v[10:11], v[30:31]
	v_fma_f64 v[8:9], v[2:3], v[10:11], v[8:9]
	;; [unrolled: 1-line block ×4, first 2 shown]
	ds_load_2addr_b64 v[0:3], v14 offset0:192 offset1:208
	s_waitcnt lgkmcnt(0)
	v_fma_f64 v[30:31], v[0:1], v[22:23], v[30:31]
	v_fma_f64 v[8:9], v[2:3], v[22:23], v[8:9]
	;; [unrolled: 1-line block ×4, first 2 shown]
	ds_load_2addr_b64 v[18:21], v14 offset0:224 offset1:240
	s_waitcnt lgkmcnt(0)
	s_barrier
	buffer_gl0_inv
	v_fma_f64 v[10:11], v[18:19], v[24:25], v[30:31]
	v_fma_f64 v[8:9], v[20:21], v[24:25], v[8:9]
	;; [unrolled: 1-line block ×4, first 2 shown]
	s_cbranch_scc0 .LBB104_2
.LBB104_3:
	s_clause 0x2
	s_load_b32 s3, s[0:1], 0x50
	s_load_b64 s[6:7], s[0:1], 0x58
	s_load_b64 s[8:9], s[0:1], 0x48
	v_add_nc_u32_e32 v13, s13, v13
	v_add_nc_u32_e32 v4, s12, v12
	s_delay_alu instid0(VALU_DEP_1)
	v_cmp_le_i32_e64 s0, v13, v4
	v_cmp_gt_i32_e32 vcc_lo, s2, v4
	s_waitcnt lgkmcnt(0)
	v_mad_i64_i32 v[5:6], null, v13, s3, 0
	s_mul_i32 s1, s15, s7
	s_mul_hi_u32 s7, s15, s6
	s_mul_i32 s6, s15, s6
	s_add_i32 s7, s7, s1
	s_delay_alu instid0(SALU_CYCLE_1) | instskip(NEXT) | instid1(VALU_DEP_1)
	s_lshl_b64 s[6:7], s[6:7], 3
	v_lshlrev_b64 v[5:6], 3, v[5:6]
	s_add_u32 s6, s8, s6
	s_addc_u32 s7, s9, s7
	s_and_b32 s0, s0, vcc_lo
	s_delay_alu instid0(VALU_DEP_1) | instskip(NEXT) | instid1(VALU_DEP_1)
	v_add_co_u32 v12, s1, s6, v5
	v_add_co_ci_u32_e64 v14, s1, s7, v6, s1
	s_and_saveexec_b32 s1, s0
	s_cbranch_execz .LBB104_5
; %bb.4:
	v_mul_f64 v[6:7], v[10:11], s[4:5]
	v_ashrrev_i32_e32 v5, 31, v4
	s_delay_alu instid0(VALU_DEP_1) | instskip(NEXT) | instid1(VALU_DEP_1)
	v_lshlrev_b64 v[10:11], 3, v[4:5]
	v_add_co_u32 v10, s0, v12, v10
	s_delay_alu instid0(VALU_DEP_1)
	v_add_co_ci_u32_e64 v11, s0, v14, v11, s0
	global_store_b64 v[10:11], v[6:7], off
.LBB104_5:
	s_or_b32 exec_lo, exec_lo, s1
	v_add_nc_u32_e32 v6, 16, v4
	s_delay_alu instid0(VALU_DEP_1) | instskip(SKIP_1) | instid1(VALU_DEP_1)
	v_cmp_le_i32_e64 s1, v13, v6
	v_cmp_gt_i32_e64 s0, s2, v6
	s_and_b32 s1, s1, s0
	s_delay_alu instid0(SALU_CYCLE_1)
	s_and_saveexec_b32 s2, s1
	s_cbranch_execz .LBB104_7
; %bb.6:
	v_mul_f64 v[8:9], v[8:9], s[4:5]
	v_ashrrev_i32_e32 v7, 31, v6
	s_delay_alu instid0(VALU_DEP_1) | instskip(NEXT) | instid1(VALU_DEP_1)
	v_lshlrev_b64 v[10:11], 3, v[6:7]
	v_add_co_u32 v10, s1, v12, v10
	s_delay_alu instid0(VALU_DEP_1)
	v_add_co_ci_u32_e64 v11, s1, v14, v11, s1
	global_store_b64 v[10:11], v[8:9], off
.LBB104_7:
	s_or_b32 exec_lo, exec_lo, s2
	v_add_nc_u32_e32 v7, 16, v13
	s_delay_alu instid0(VALU_DEP_1) | instskip(SKIP_1) | instid1(VALU_DEP_2)
	v_mad_i64_i32 v[8:9], null, v7, s3, 0
	v_cmp_le_i32_e64 s1, v7, v4
	v_lshlrev_b64 v[8:9], 3, v[8:9]
	s_delay_alu instid0(VALU_DEP_1) | instskip(NEXT) | instid1(VALU_DEP_1)
	v_add_co_u32 v8, s2, s6, v8
	v_add_co_ci_u32_e64 v9, s2, s7, v9, s2
	s_delay_alu instid0(VALU_DEP_4) | instskip(NEXT) | instid1(SALU_CYCLE_1)
	s_and_b32 s2, s1, vcc_lo
	s_and_saveexec_b32 s1, s2
	s_cbranch_execz .LBB104_9
; %bb.8:
	v_mul_f64 v[2:3], v[2:3], s[4:5]
	v_ashrrev_i32_e32 v5, 31, v4
	s_delay_alu instid0(VALU_DEP_1) | instskip(NEXT) | instid1(VALU_DEP_1)
	v_lshlrev_b64 v[4:5], 3, v[4:5]
	v_add_co_u32 v4, vcc_lo, v8, v4
	s_delay_alu instid0(VALU_DEP_2)
	v_add_co_ci_u32_e32 v5, vcc_lo, v9, v5, vcc_lo
	global_store_b64 v[4:5], v[2:3], off
.LBB104_9:
	s_or_b32 exec_lo, exec_lo, s1
	v_cmp_le_i32_e32 vcc_lo, v7, v6
	s_and_b32 s0, vcc_lo, s0
	s_delay_alu instid0(SALU_CYCLE_1)
	s_and_saveexec_b32 s1, s0
	s_cbranch_execz .LBB104_11
; %bb.10:
	v_mul_f64 v[0:1], v[0:1], s[4:5]
	v_ashrrev_i32_e32 v7, 31, v6
	s_delay_alu instid0(VALU_DEP_1) | instskip(NEXT) | instid1(VALU_DEP_1)
	v_lshlrev_b64 v[2:3], 3, v[6:7]
	v_add_co_u32 v2, vcc_lo, v8, v2
	s_delay_alu instid0(VALU_DEP_2)
	v_add_co_ci_u32_e32 v3, vcc_lo, v9, v3, vcc_lo
	global_store_b64 v[2:3], v[0:1], off
.LBB104_11:
	s_nop 0
	s_sendmsg sendmsg(MSG_DEALLOC_VGPRS)
	s_endpgm
	.section	.rodata,"a",@progbits
	.p2align	6, 0x0
	.amdhsa_kernel _ZL37rocblas_syrkx_herkx_restricted_kernelIidLi16ELi32ELi8ELb1ELb0ELc67ELc76EKddEviT_T0_PT8_S1_lS4_S1_lS2_PT9_S1_li
		.amdhsa_group_segment_fixed_size 4096
		.amdhsa_private_segment_fixed_size 0
		.amdhsa_kernarg_size 100
		.amdhsa_user_sgpr_count 13
		.amdhsa_user_sgpr_dispatch_ptr 0
		.amdhsa_user_sgpr_queue_ptr 0
		.amdhsa_user_sgpr_kernarg_segment_ptr 1
		.amdhsa_user_sgpr_dispatch_id 0
		.amdhsa_user_sgpr_private_segment_size 0
		.amdhsa_wavefront_size32 1
		.amdhsa_uses_dynamic_stack 0
		.amdhsa_enable_private_segment 0
		.amdhsa_system_sgpr_workgroup_id_x 1
		.amdhsa_system_sgpr_workgroup_id_y 1
		.amdhsa_system_sgpr_workgroup_id_z 1
		.amdhsa_system_sgpr_workgroup_info 0
		.amdhsa_system_vgpr_workitem_id 1
		.amdhsa_next_free_vgpr 38
		.amdhsa_next_free_sgpr 20
		.amdhsa_reserve_vcc 1
		.amdhsa_float_round_mode_32 0
		.amdhsa_float_round_mode_16_64 0
		.amdhsa_float_denorm_mode_32 3
		.amdhsa_float_denorm_mode_16_64 3
		.amdhsa_dx10_clamp 1
		.amdhsa_ieee_mode 1
		.amdhsa_fp16_overflow 0
		.amdhsa_workgroup_processor_mode 1
		.amdhsa_memory_ordered 1
		.amdhsa_forward_progress 0
		.amdhsa_shared_vgpr_count 0
		.amdhsa_exception_fp_ieee_invalid_op 0
		.amdhsa_exception_fp_denorm_src 0
		.amdhsa_exception_fp_ieee_div_zero 0
		.amdhsa_exception_fp_ieee_overflow 0
		.amdhsa_exception_fp_ieee_underflow 0
		.amdhsa_exception_fp_ieee_inexact 0
		.amdhsa_exception_int_div_zero 0
	.end_amdhsa_kernel
	.section	.text._ZL37rocblas_syrkx_herkx_restricted_kernelIidLi16ELi32ELi8ELb1ELb0ELc67ELc76EKddEviT_T0_PT8_S1_lS4_S1_lS2_PT9_S1_li,"axG",@progbits,_ZL37rocblas_syrkx_herkx_restricted_kernelIidLi16ELi32ELi8ELb1ELb0ELc67ELc76EKddEviT_T0_PT8_S1_lS4_S1_lS2_PT9_S1_li,comdat
.Lfunc_end104:
	.size	_ZL37rocblas_syrkx_herkx_restricted_kernelIidLi16ELi32ELi8ELb1ELb0ELc67ELc76EKddEviT_T0_PT8_S1_lS4_S1_lS2_PT9_S1_li, .Lfunc_end104-_ZL37rocblas_syrkx_herkx_restricted_kernelIidLi16ELi32ELi8ELb1ELb0ELc67ELc76EKddEviT_T0_PT8_S1_lS4_S1_lS2_PT9_S1_li
                                        ; -- End function
	.section	.AMDGPU.csdata,"",@progbits
; Kernel info:
; codeLenInByte = 1404
; NumSgprs: 22
; NumVgprs: 38
; ScratchSize: 0
; MemoryBound: 0
; FloatMode: 240
; IeeeMode: 1
; LDSByteSize: 4096 bytes/workgroup (compile time only)
; SGPRBlocks: 2
; VGPRBlocks: 4
; NumSGPRsForWavesPerEU: 22
; NumVGPRsForWavesPerEU: 38
; Occupancy: 16
; WaveLimiterHint : 0
; COMPUTE_PGM_RSRC2:SCRATCH_EN: 0
; COMPUTE_PGM_RSRC2:USER_SGPR: 13
; COMPUTE_PGM_RSRC2:TRAP_HANDLER: 0
; COMPUTE_PGM_RSRC2:TGID_X_EN: 1
; COMPUTE_PGM_RSRC2:TGID_Y_EN: 1
; COMPUTE_PGM_RSRC2:TGID_Z_EN: 1
; COMPUTE_PGM_RSRC2:TIDIG_COMP_CNT: 1
	.section	.text._ZL37rocblas_syrkx_herkx_restricted_kernelIidLi16ELi32ELi8ELb1ELb0ELc78ELc76EKddEviT_T0_PT8_S1_lS4_S1_lS2_PT9_S1_li,"axG",@progbits,_ZL37rocblas_syrkx_herkx_restricted_kernelIidLi16ELi32ELi8ELb1ELb0ELc78ELc76EKddEviT_T0_PT8_S1_lS4_S1_lS2_PT9_S1_li,comdat
	.globl	_ZL37rocblas_syrkx_herkx_restricted_kernelIidLi16ELi32ELi8ELb1ELb0ELc78ELc76EKddEviT_T0_PT8_S1_lS4_S1_lS2_PT9_S1_li ; -- Begin function _ZL37rocblas_syrkx_herkx_restricted_kernelIidLi16ELi32ELi8ELb1ELb0ELc78ELc76EKddEviT_T0_PT8_S1_lS4_S1_lS2_PT9_S1_li
	.p2align	8
	.type	_ZL37rocblas_syrkx_herkx_restricted_kernelIidLi16ELi32ELi8ELb1ELb0ELc78ELc76EKddEviT_T0_PT8_S1_lS4_S1_lS2_PT9_S1_li,@function
_ZL37rocblas_syrkx_herkx_restricted_kernelIidLi16ELi32ELi8ELb1ELb0ELc78ELc76EKddEviT_T0_PT8_S1_lS4_S1_lS2_PT9_S1_li: ; @_ZL37rocblas_syrkx_herkx_restricted_kernelIidLi16ELi32ELi8ELb1ELb0ELc78ELc76EKddEviT_T0_PT8_S1_lS4_S1_lS2_PT9_S1_li
; %bb.0:
	s_clause 0x1
	s_load_b64 s[2:3], s[0:1], 0x0
	s_load_b128 s[4:7], s[0:1], 0x8
	v_mov_b32_e32 v10, 0
	v_dual_mov_b32 v11, 0 :: v_dual_and_b32 v12, 0x3ff, v0
	v_bfe_u32 v13, v0, 10, 10
	s_delay_alu instid0(VALU_DEP_3) | instskip(NEXT) | instid1(VALU_DEP_3)
	v_mov_b32_e32 v8, v10
	v_dual_mov_b32 v2, v10 :: v_dual_mov_b32 v3, v11
	v_dual_mov_b32 v9, v11 :: v_dual_mov_b32 v0, v10
	v_mov_b32_e32 v1, v11
	s_lshl_b32 s12, s13, 5
	s_lshl_b32 s13, s14, 5
	s_mov_b32 s14, 0
	s_waitcnt lgkmcnt(0)
	s_cmp_lt_i32 s3, 1
	s_cbranch_scc1 .LBB105_3
; %bb.1:
	v_lshl_add_u32 v1, v13, 4, v12
	s_clause 0x2
	s_load_b32 s16, s[0:1], 0x30
	s_load_b32 s18, s[0:1], 0x18
	s_load_b64 s[20:21], s[0:1], 0x38
	v_and_b32_e32 v5, 7, v12
	s_load_b128 s[8:11], s[0:1], 0x20
	v_lshl_add_u32 v15, v13, 6, 0x800
	v_lshrrev_b32_e32 v2, 3, v1
	v_and_b32_e32 v3, 31, v1
	v_lshlrev_b32_e32 v4, 3, v5
	v_lshrrev_b32_e32 v8, 5, v1
	s_delay_alu instid0(VALU_DEP_4) | instskip(NEXT) | instid1(VALU_DEP_4)
	v_add_nc_u32_e32 v0, s13, v2
	v_lshlrev_b32_e32 v6, 3, v3
	s_delay_alu instid0(VALU_DEP_4) | instskip(SKIP_1) | instid1(VALU_DEP_4)
	v_lshl_or_b32 v4, v2, 6, v4
	v_add_nc_u32_e32 v2, s12, v3
	v_ashrrev_i32_e32 v1, 31, v0
	s_delay_alu instid0(VALU_DEP_4) | instskip(NEXT) | instid1(VALU_DEP_4)
	v_lshl_or_b32 v16, v8, 8, v6
	v_add_nc_u32_e32 v17, 0x800, v4
	s_waitcnt lgkmcnt(0)
	s_ashr_i32 s19, s18, 31
	v_mad_i64_i32 v[3:4], null, s16, v5, v[0:1]
	s_mul_i32 s17, s21, s15
	s_mul_hi_u32 s21, s20, s15
	s_mul_i32 s20, s20, s15
	s_add_i32 s21, s21, s17
	s_ashr_i32 s17, s16, 31
	s_lshl_b64 s[20:21], s[20:21], 3
	s_delay_alu instid0(VALU_DEP_1)
	v_lshlrev_b64 v[0:1], 3, v[3:4]
	s_add_u32 s10, s10, s20
	s_addc_u32 s11, s11, s21
	s_mul_i32 s9, s9, s15
	s_mul_hi_u32 s20, s8, s15
	s_mul_i32 s8, s8, s15
	v_add_co_u32 v4, vcc_lo, s10, v0
	v_add_co_ci_u32_e32 v5, vcc_lo, s11, v1, vcc_lo
	v_mov_b32_e32 v0, 0
	v_mov_b32_e32 v1, 0
	s_add_i32 s9, s20, s9
	v_lshlrev_b32_e32 v14, 3, v12
	s_lshl_b64 s[10:11], s[8:9], 3
	s_lshl_b64 s[8:9], s[16:17], 6
	v_mov_b32_e32 v11, v1
	v_ashrrev_i32_e32 v3, 31, v2
	s_add_u32 s6, s6, s10
	s_addc_u32 s7, s7, s11
	v_mov_b32_e32 v10, v0
	s_delay_alu instid0(VALU_DEP_2) | instskip(SKIP_1) | instid1(VALU_DEP_2)
	v_mad_i64_i32 v[6:7], null, s18, v8, v[2:3]
	v_dual_mov_b32 v9, v1 :: v_dual_mov_b32 v8, v0
	v_lshlrev_b64 v[2:3], 3, v[6:7]
	s_delay_alu instid0(VALU_DEP_1) | instskip(NEXT) | instid1(VALU_DEP_2)
	v_add_co_u32 v6, vcc_lo, s6, v2
	v_add_co_ci_u32_e32 v7, vcc_lo, s7, v3, vcc_lo
	v_dual_mov_b32 v3, v1 :: v_dual_mov_b32 v2, v0
	s_lshl_b64 s[6:7], s[18:19], 6
.LBB105_2:                              ; =>This Inner Loop Header: Depth=1
	global_load_b64 v[18:19], v[6:7], off
	global_load_b64 v[20:21], v[4:5], off
	v_add_co_u32 v4, vcc_lo, v4, s8
	v_add_co_ci_u32_e32 v5, vcc_lo, s9, v5, vcc_lo
	v_add_co_u32 v6, vcc_lo, v6, s6
	v_add_co_ci_u32_e32 v7, vcc_lo, s7, v7, vcc_lo
	s_add_i32 s14, s14, 8
	s_waitcnt vmcnt(1)
	ds_store_b64 v16, v[18:19]
	s_waitcnt vmcnt(0)
	ds_store_b64 v17, v[20:21]
	s_waitcnt lgkmcnt(0)
	s_barrier
	buffer_gl0_inv
	ds_load_2addr_b64 v[18:21], v14 offset1:16
	ds_load_b128 v[22:25], v15
	ds_load_b128 v[26:29], v15 offset:1024
	ds_load_b128 v[30:33], v15 offset:16
	;; [unrolled: 1-line block ×3, first 2 shown]
	s_cmp_ge_i32 s14, s3
	s_waitcnt lgkmcnt(3)
	v_fma_f64 v[10:11], v[18:19], v[22:23], v[10:11]
	v_fma_f64 v[8:9], v[20:21], v[22:23], v[8:9]
	s_waitcnt lgkmcnt(2)
	v_fma_f64 v[18:19], v[18:19], v[26:27], v[2:3]
	v_fma_f64 v[20:21], v[20:21], v[26:27], v[0:1]
	ds_load_2addr_b64 v[0:3], v14 offset0:32 offset1:48
	s_waitcnt lgkmcnt(0)
	v_fma_f64 v[10:11], v[0:1], v[24:25], v[10:11]
	v_fma_f64 v[8:9], v[2:3], v[24:25], v[8:9]
	v_fma_f64 v[18:19], v[0:1], v[28:29], v[18:19]
	v_fma_f64 v[20:21], v[2:3], v[28:29], v[20:21]
	ds_load_2addr_b64 v[0:3], v14 offset0:64 offset1:80
	s_waitcnt lgkmcnt(0)
	v_fma_f64 v[10:11], v[0:1], v[30:31], v[10:11]
	v_fma_f64 v[8:9], v[2:3], v[30:31], v[8:9]
	;; [unrolled: 6-line block ×3, first 2 shown]
	v_fma_f64 v[34:35], v[0:1], v[36:37], v[18:19]
	v_fma_f64 v[36:37], v[2:3], v[36:37], v[20:21]
	ds_load_2addr_b64 v[0:3], v14 offset0:128 offset1:144
	ds_load_b128 v[8:11], v15 offset:32
	ds_load_b128 v[18:21], v15 offset:1056
	;; [unrolled: 1-line block ×4, first 2 shown]
	s_waitcnt lgkmcnt(3)
	v_fma_f64 v[30:31], v[0:1], v[8:9], v[30:31]
	v_fma_f64 v[8:9], v[2:3], v[8:9], v[32:33]
	s_waitcnt lgkmcnt(2)
	v_fma_f64 v[32:33], v[0:1], v[18:19], v[34:35]
	v_fma_f64 v[18:19], v[2:3], v[18:19], v[36:37]
	ds_load_2addr_b64 v[0:3], v14 offset0:160 offset1:176
	s_waitcnt lgkmcnt(0)
	v_fma_f64 v[30:31], v[0:1], v[10:11], v[30:31]
	v_fma_f64 v[8:9], v[2:3], v[10:11], v[8:9]
	;; [unrolled: 1-line block ×4, first 2 shown]
	ds_load_2addr_b64 v[0:3], v14 offset0:192 offset1:208
	s_waitcnt lgkmcnt(0)
	v_fma_f64 v[30:31], v[0:1], v[22:23], v[30:31]
	v_fma_f64 v[8:9], v[2:3], v[22:23], v[8:9]
	;; [unrolled: 1-line block ×4, first 2 shown]
	ds_load_2addr_b64 v[18:21], v14 offset0:224 offset1:240
	s_waitcnt lgkmcnt(0)
	s_barrier
	buffer_gl0_inv
	v_fma_f64 v[10:11], v[18:19], v[24:25], v[30:31]
	v_fma_f64 v[8:9], v[20:21], v[24:25], v[8:9]
	;; [unrolled: 1-line block ×4, first 2 shown]
	s_cbranch_scc0 .LBB105_2
.LBB105_3:
	s_clause 0x2
	s_load_b32 s3, s[0:1], 0x50
	s_load_b64 s[6:7], s[0:1], 0x58
	s_load_b64 s[8:9], s[0:1], 0x48
	v_add_nc_u32_e32 v13, s13, v13
	v_add_nc_u32_e32 v4, s12, v12
	s_delay_alu instid0(VALU_DEP_1)
	v_cmp_le_i32_e64 s0, v13, v4
	v_cmp_gt_i32_e32 vcc_lo, s2, v4
	s_waitcnt lgkmcnt(0)
	v_mad_i64_i32 v[5:6], null, v13, s3, 0
	s_mul_i32 s1, s15, s7
	s_mul_hi_u32 s7, s15, s6
	s_mul_i32 s6, s15, s6
	s_add_i32 s7, s7, s1
	s_delay_alu instid0(SALU_CYCLE_1) | instskip(NEXT) | instid1(VALU_DEP_1)
	s_lshl_b64 s[6:7], s[6:7], 3
	v_lshlrev_b64 v[5:6], 3, v[5:6]
	s_add_u32 s6, s8, s6
	s_addc_u32 s7, s9, s7
	s_and_b32 s0, s0, vcc_lo
	s_delay_alu instid0(VALU_DEP_1) | instskip(NEXT) | instid1(VALU_DEP_1)
	v_add_co_u32 v12, s1, s6, v5
	v_add_co_ci_u32_e64 v14, s1, s7, v6, s1
	s_and_saveexec_b32 s1, s0
	s_cbranch_execz .LBB105_5
; %bb.4:
	v_mul_f64 v[6:7], v[10:11], s[4:5]
	v_ashrrev_i32_e32 v5, 31, v4
	s_delay_alu instid0(VALU_DEP_1) | instskip(NEXT) | instid1(VALU_DEP_1)
	v_lshlrev_b64 v[10:11], 3, v[4:5]
	v_add_co_u32 v10, s0, v12, v10
	s_delay_alu instid0(VALU_DEP_1)
	v_add_co_ci_u32_e64 v11, s0, v14, v11, s0
	global_store_b64 v[10:11], v[6:7], off
.LBB105_5:
	s_or_b32 exec_lo, exec_lo, s1
	v_add_nc_u32_e32 v6, 16, v4
	s_delay_alu instid0(VALU_DEP_1) | instskip(SKIP_1) | instid1(VALU_DEP_1)
	v_cmp_le_i32_e64 s1, v13, v6
	v_cmp_gt_i32_e64 s0, s2, v6
	s_and_b32 s1, s1, s0
	s_delay_alu instid0(SALU_CYCLE_1)
	s_and_saveexec_b32 s2, s1
	s_cbranch_execz .LBB105_7
; %bb.6:
	v_mul_f64 v[8:9], v[8:9], s[4:5]
	v_ashrrev_i32_e32 v7, 31, v6
	s_delay_alu instid0(VALU_DEP_1) | instskip(NEXT) | instid1(VALU_DEP_1)
	v_lshlrev_b64 v[10:11], 3, v[6:7]
	v_add_co_u32 v10, s1, v12, v10
	s_delay_alu instid0(VALU_DEP_1)
	v_add_co_ci_u32_e64 v11, s1, v14, v11, s1
	global_store_b64 v[10:11], v[8:9], off
.LBB105_7:
	s_or_b32 exec_lo, exec_lo, s2
	v_add_nc_u32_e32 v7, 16, v13
	s_delay_alu instid0(VALU_DEP_1) | instskip(SKIP_1) | instid1(VALU_DEP_2)
	v_mad_i64_i32 v[8:9], null, v7, s3, 0
	v_cmp_le_i32_e64 s1, v7, v4
	v_lshlrev_b64 v[8:9], 3, v[8:9]
	s_delay_alu instid0(VALU_DEP_1) | instskip(NEXT) | instid1(VALU_DEP_1)
	v_add_co_u32 v8, s2, s6, v8
	v_add_co_ci_u32_e64 v9, s2, s7, v9, s2
	s_delay_alu instid0(VALU_DEP_4) | instskip(NEXT) | instid1(SALU_CYCLE_1)
	s_and_b32 s2, s1, vcc_lo
	s_and_saveexec_b32 s1, s2
	s_cbranch_execz .LBB105_9
; %bb.8:
	v_mul_f64 v[2:3], v[2:3], s[4:5]
	v_ashrrev_i32_e32 v5, 31, v4
	s_delay_alu instid0(VALU_DEP_1) | instskip(NEXT) | instid1(VALU_DEP_1)
	v_lshlrev_b64 v[4:5], 3, v[4:5]
	v_add_co_u32 v4, vcc_lo, v8, v4
	s_delay_alu instid0(VALU_DEP_2)
	v_add_co_ci_u32_e32 v5, vcc_lo, v9, v5, vcc_lo
	global_store_b64 v[4:5], v[2:3], off
.LBB105_9:
	s_or_b32 exec_lo, exec_lo, s1
	v_cmp_le_i32_e32 vcc_lo, v7, v6
	s_and_b32 s0, vcc_lo, s0
	s_delay_alu instid0(SALU_CYCLE_1)
	s_and_saveexec_b32 s1, s0
	s_cbranch_execz .LBB105_11
; %bb.10:
	v_mul_f64 v[0:1], v[0:1], s[4:5]
	v_ashrrev_i32_e32 v7, 31, v6
	s_delay_alu instid0(VALU_DEP_1) | instskip(NEXT) | instid1(VALU_DEP_1)
	v_lshlrev_b64 v[2:3], 3, v[6:7]
	v_add_co_u32 v2, vcc_lo, v8, v2
	s_delay_alu instid0(VALU_DEP_2)
	v_add_co_ci_u32_e32 v3, vcc_lo, v9, v3, vcc_lo
	global_store_b64 v[2:3], v[0:1], off
.LBB105_11:
	s_nop 0
	s_sendmsg sendmsg(MSG_DEALLOC_VGPRS)
	s_endpgm
	.section	.rodata,"a",@progbits
	.p2align	6, 0x0
	.amdhsa_kernel _ZL37rocblas_syrkx_herkx_restricted_kernelIidLi16ELi32ELi8ELb1ELb0ELc78ELc76EKddEviT_T0_PT8_S1_lS4_S1_lS2_PT9_S1_li
		.amdhsa_group_segment_fixed_size 4096
		.amdhsa_private_segment_fixed_size 0
		.amdhsa_kernarg_size 100
		.amdhsa_user_sgpr_count 13
		.amdhsa_user_sgpr_dispatch_ptr 0
		.amdhsa_user_sgpr_queue_ptr 0
		.amdhsa_user_sgpr_kernarg_segment_ptr 1
		.amdhsa_user_sgpr_dispatch_id 0
		.amdhsa_user_sgpr_private_segment_size 0
		.amdhsa_wavefront_size32 1
		.amdhsa_uses_dynamic_stack 0
		.amdhsa_enable_private_segment 0
		.amdhsa_system_sgpr_workgroup_id_x 1
		.amdhsa_system_sgpr_workgroup_id_y 1
		.amdhsa_system_sgpr_workgroup_id_z 1
		.amdhsa_system_sgpr_workgroup_info 0
		.amdhsa_system_vgpr_workitem_id 1
		.amdhsa_next_free_vgpr 38
		.amdhsa_next_free_sgpr 22
		.amdhsa_reserve_vcc 1
		.amdhsa_float_round_mode_32 0
		.amdhsa_float_round_mode_16_64 0
		.amdhsa_float_denorm_mode_32 3
		.amdhsa_float_denorm_mode_16_64 3
		.amdhsa_dx10_clamp 1
		.amdhsa_ieee_mode 1
		.amdhsa_fp16_overflow 0
		.amdhsa_workgroup_processor_mode 1
		.amdhsa_memory_ordered 1
		.amdhsa_forward_progress 0
		.amdhsa_shared_vgpr_count 0
		.amdhsa_exception_fp_ieee_invalid_op 0
		.amdhsa_exception_fp_denorm_src 0
		.amdhsa_exception_fp_ieee_div_zero 0
		.amdhsa_exception_fp_ieee_overflow 0
		.amdhsa_exception_fp_ieee_underflow 0
		.amdhsa_exception_fp_ieee_inexact 0
		.amdhsa_exception_int_div_zero 0
	.end_amdhsa_kernel
	.section	.text._ZL37rocblas_syrkx_herkx_restricted_kernelIidLi16ELi32ELi8ELb1ELb0ELc78ELc76EKddEviT_T0_PT8_S1_lS4_S1_lS2_PT9_S1_li,"axG",@progbits,_ZL37rocblas_syrkx_herkx_restricted_kernelIidLi16ELi32ELi8ELb1ELb0ELc78ELc76EKddEviT_T0_PT8_S1_lS4_S1_lS2_PT9_S1_li,comdat
.Lfunc_end105:
	.size	_ZL37rocblas_syrkx_herkx_restricted_kernelIidLi16ELi32ELi8ELb1ELb0ELc78ELc76EKddEviT_T0_PT8_S1_lS4_S1_lS2_PT9_S1_li, .Lfunc_end105-_ZL37rocblas_syrkx_herkx_restricted_kernelIidLi16ELi32ELi8ELb1ELb0ELc78ELc76EKddEviT_T0_PT8_S1_lS4_S1_lS2_PT9_S1_li
                                        ; -- End function
	.section	.AMDGPU.csdata,"",@progbits
; Kernel info:
; codeLenInByte = 1424
; NumSgprs: 24
; NumVgprs: 38
; ScratchSize: 0
; MemoryBound: 0
; FloatMode: 240
; IeeeMode: 1
; LDSByteSize: 4096 bytes/workgroup (compile time only)
; SGPRBlocks: 2
; VGPRBlocks: 4
; NumSGPRsForWavesPerEU: 24
; NumVGPRsForWavesPerEU: 38
; Occupancy: 16
; WaveLimiterHint : 0
; COMPUTE_PGM_RSRC2:SCRATCH_EN: 0
; COMPUTE_PGM_RSRC2:USER_SGPR: 13
; COMPUTE_PGM_RSRC2:TRAP_HANDLER: 0
; COMPUTE_PGM_RSRC2:TGID_X_EN: 1
; COMPUTE_PGM_RSRC2:TGID_Y_EN: 1
; COMPUTE_PGM_RSRC2:TGID_Z_EN: 1
; COMPUTE_PGM_RSRC2:TIDIG_COMP_CNT: 1
	.section	.text._ZL37rocblas_syrkx_herkx_restricted_kernelIidLi16ELi32ELi8ELb1ELb0ELc84ELc85EKddEviT_T0_PT8_S1_lS4_S1_lS2_PT9_S1_li,"axG",@progbits,_ZL37rocblas_syrkx_herkx_restricted_kernelIidLi16ELi32ELi8ELb1ELb0ELc84ELc85EKddEviT_T0_PT8_S1_lS4_S1_lS2_PT9_S1_li,comdat
	.globl	_ZL37rocblas_syrkx_herkx_restricted_kernelIidLi16ELi32ELi8ELb1ELb0ELc84ELc85EKddEviT_T0_PT8_S1_lS4_S1_lS2_PT9_S1_li ; -- Begin function _ZL37rocblas_syrkx_herkx_restricted_kernelIidLi16ELi32ELi8ELb1ELb0ELc84ELc85EKddEviT_T0_PT8_S1_lS4_S1_lS2_PT9_S1_li
	.p2align	8
	.type	_ZL37rocblas_syrkx_herkx_restricted_kernelIidLi16ELi32ELi8ELb1ELb0ELc84ELc85EKddEviT_T0_PT8_S1_lS4_S1_lS2_PT9_S1_li,@function
_ZL37rocblas_syrkx_herkx_restricted_kernelIidLi16ELi32ELi8ELb1ELb0ELc84ELc85EKddEviT_T0_PT8_S1_lS4_S1_lS2_PT9_S1_li: ; @_ZL37rocblas_syrkx_herkx_restricted_kernelIidLi16ELi32ELi8ELb1ELb0ELc84ELc85EKddEviT_T0_PT8_S1_lS4_S1_lS2_PT9_S1_li
; %bb.0:
	s_clause 0x1
	s_load_b64 s[2:3], s[0:1], 0x0
	s_load_b128 s[4:7], s[0:1], 0x8
	v_mov_b32_e32 v10, 0
	v_dual_mov_b32 v11, 0 :: v_dual_and_b32 v12, 0x3ff, v0
	v_bfe_u32 v13, v0, 10, 10
	s_delay_alu instid0(VALU_DEP_3) | instskip(NEXT) | instid1(VALU_DEP_3)
	v_mov_b32_e32 v8, v10
	v_dual_mov_b32 v2, v10 :: v_dual_mov_b32 v3, v11
	v_dual_mov_b32 v9, v11 :: v_dual_mov_b32 v0, v10
	v_mov_b32_e32 v1, v11
	s_lshl_b32 s12, s13, 5
	s_lshl_b32 s13, s14, 5
	s_mov_b32 s14, 0
	s_waitcnt lgkmcnt(0)
	s_cmp_lt_i32 s3, 1
	s_cbranch_scc1 .LBB106_3
; %bb.1:
	s_clause 0x1
	s_load_b64 s[16:17], s[0:1], 0x38
	s_load_b32 s18, s[0:1], 0x30
	v_lshl_add_u32 v2, v13, 4, v12
	s_clause 0x1
	s_load_b32 s19, s[0:1], 0x18
	s_load_b128 s[8:11], s[0:1], 0x20
	v_dual_mov_b32 v1, 0 :: v_dual_and_b32 v0, 7, v12
	v_lshlrev_b32_e32 v14, 3, v12
	v_lshrrev_b32_e32 v4, 3, v2
	v_and_b32_e32 v5, 31, v2
	s_delay_alu instid0(VALU_DEP_4)
	v_lshlrev_b32_e32 v6, 3, v0
	v_lshrrev_b32_e32 v2, 5, v2
	v_mov_b32_e32 v3, v1
	v_add_nc_u32_e32 v7, s13, v4
	v_lshlrev_b32_e32 v8, 3, v5
	v_lshl_or_b32 v6, v4, 6, v6
	v_add_nc_u32_e32 v9, s12, v5
	v_lshl_add_u32 v17, v13, 6, 0x800
	s_delay_alu instid0(VALU_DEP_4)
	v_lshl_or_b32 v15, v2, 8, v8
	s_waitcnt lgkmcnt(0)
	s_mul_i32 s17, s17, s15
	v_mad_i64_i32 v[4:5], null, s18, v7, v[0:1]
	s_mul_hi_u32 s18, s16, s15
	s_mul_i32 s16, s16, s15
	s_add_i32 s17, s18, s17
	s_mul_i32 s9, s9, s15
	s_lshl_b64 s[16:17], s[16:17], 3
	s_delay_alu instid0(SALU_CYCLE_1) | instskip(NEXT) | instid1(VALU_DEP_1)
	s_add_u32 s10, s10, s16
	v_lshlrev_b64 v[0:1], 3, v[4:5]
	v_mad_i64_i32 v[4:5], null, s19, v9, v[2:3]
	s_mul_hi_u32 s16, s8, s15
	s_addc_u32 s11, s11, s17
	s_add_i32 s9, s16, s9
	s_mul_i32 s8, s8, s15
	s_delay_alu instid0(SALU_CYCLE_1) | instskip(NEXT) | instid1(VALU_DEP_1)
	s_lshl_b64 s[8:9], s[8:9], 3
	v_lshlrev_b64 v[2:3], 3, v[4:5]
	v_add_co_u32 v4, vcc_lo, s10, v0
	v_add_co_ci_u32_e32 v5, vcc_lo, s11, v1, vcc_lo
	v_mov_b32_e32 v0, 0
	v_mov_b32_e32 v1, 0
	s_add_u32 s6, s6, s8
	v_add_nc_u32_e32 v16, 0x800, v6
	s_addc_u32 s7, s7, s9
	v_add_co_u32 v6, vcc_lo, s6, v2
	v_mov_b32_e32 v9, v1
	v_add_co_ci_u32_e32 v7, vcc_lo, s7, v3, vcc_lo
	v_dual_mov_b32 v3, v1 :: v_dual_mov_b32 v2, v0
	v_dual_mov_b32 v8, v0 :: v_dual_mov_b32 v11, v1
	v_mov_b32_e32 v10, v0
.LBB106_2:                              ; =>This Inner Loop Header: Depth=1
	global_load_b64 v[18:19], v[6:7], off
	global_load_b64 v[20:21], v[4:5], off
	v_add_co_u32 v4, vcc_lo, v4, 64
	v_add_co_ci_u32_e32 v5, vcc_lo, 0, v5, vcc_lo
	v_add_co_u32 v6, vcc_lo, v6, 64
	v_add_co_ci_u32_e32 v7, vcc_lo, 0, v7, vcc_lo
	s_add_i32 s14, s14, 8
	s_waitcnt vmcnt(1)
	ds_store_b64 v15, v[18:19]
	s_waitcnt vmcnt(0)
	ds_store_b64 v16, v[20:21]
	s_waitcnt lgkmcnt(0)
	s_barrier
	buffer_gl0_inv
	ds_load_2addr_b64 v[18:21], v14 offset1:16
	ds_load_b128 v[22:25], v17
	ds_load_b128 v[26:29], v17 offset:1024
	ds_load_b128 v[30:33], v17 offset:16
	;; [unrolled: 1-line block ×3, first 2 shown]
	s_cmp_ge_i32 s14, s3
	s_waitcnt lgkmcnt(3)
	v_fma_f64 v[10:11], v[18:19], v[22:23], v[10:11]
	v_fma_f64 v[8:9], v[20:21], v[22:23], v[8:9]
	s_waitcnt lgkmcnt(2)
	v_fma_f64 v[18:19], v[18:19], v[26:27], v[2:3]
	v_fma_f64 v[20:21], v[20:21], v[26:27], v[0:1]
	ds_load_2addr_b64 v[0:3], v14 offset0:32 offset1:48
	s_waitcnt lgkmcnt(0)
	v_fma_f64 v[10:11], v[0:1], v[24:25], v[10:11]
	v_fma_f64 v[8:9], v[2:3], v[24:25], v[8:9]
	v_fma_f64 v[18:19], v[0:1], v[28:29], v[18:19]
	v_fma_f64 v[20:21], v[2:3], v[28:29], v[20:21]
	ds_load_2addr_b64 v[0:3], v14 offset0:64 offset1:80
	s_waitcnt lgkmcnt(0)
	v_fma_f64 v[10:11], v[0:1], v[30:31], v[10:11]
	v_fma_f64 v[8:9], v[2:3], v[30:31], v[8:9]
	;; [unrolled: 6-line block ×3, first 2 shown]
	v_fma_f64 v[34:35], v[0:1], v[36:37], v[18:19]
	v_fma_f64 v[36:37], v[2:3], v[36:37], v[20:21]
	ds_load_2addr_b64 v[0:3], v14 offset0:128 offset1:144
	ds_load_b128 v[8:11], v17 offset:32
	ds_load_b128 v[18:21], v17 offset:1056
	;; [unrolled: 1-line block ×4, first 2 shown]
	s_waitcnt lgkmcnt(3)
	v_fma_f64 v[30:31], v[0:1], v[8:9], v[30:31]
	v_fma_f64 v[8:9], v[2:3], v[8:9], v[32:33]
	s_waitcnt lgkmcnt(2)
	v_fma_f64 v[32:33], v[0:1], v[18:19], v[34:35]
	v_fma_f64 v[18:19], v[2:3], v[18:19], v[36:37]
	ds_load_2addr_b64 v[0:3], v14 offset0:160 offset1:176
	s_waitcnt lgkmcnt(0)
	v_fma_f64 v[30:31], v[0:1], v[10:11], v[30:31]
	v_fma_f64 v[8:9], v[2:3], v[10:11], v[8:9]
	;; [unrolled: 1-line block ×4, first 2 shown]
	ds_load_2addr_b64 v[0:3], v14 offset0:192 offset1:208
	s_waitcnt lgkmcnt(0)
	v_fma_f64 v[30:31], v[0:1], v[22:23], v[30:31]
	v_fma_f64 v[8:9], v[2:3], v[22:23], v[8:9]
	;; [unrolled: 1-line block ×4, first 2 shown]
	ds_load_2addr_b64 v[18:21], v14 offset0:224 offset1:240
	s_waitcnt lgkmcnt(0)
	s_barrier
	buffer_gl0_inv
	v_fma_f64 v[10:11], v[18:19], v[24:25], v[30:31]
	v_fma_f64 v[8:9], v[20:21], v[24:25], v[8:9]
	;; [unrolled: 1-line block ×4, first 2 shown]
	s_cbranch_scc0 .LBB106_2
.LBB106_3:
	s_clause 0x2
	s_load_b32 s3, s[0:1], 0x50
	s_load_b64 s[6:7], s[0:1], 0x58
	s_load_b64 s[8:9], s[0:1], 0x48
	v_add_nc_u32_e32 v13, s13, v13
	v_add_nc_u32_e32 v4, s12, v12
	s_delay_alu instid0(VALU_DEP_2)
	v_cmp_gt_i32_e32 vcc_lo, s2, v13
	s_waitcnt lgkmcnt(0)
	v_mad_i64_i32 v[5:6], null, v13, s3, 0
	s_mul_i32 s1, s15, s7
	s_mul_hi_u32 s7, s15, s6
	s_mul_i32 s0, s15, s6
	s_add_i32 s1, s7, s1
	s_delay_alu instid0(SALU_CYCLE_1) | instskip(NEXT) | instid1(VALU_DEP_1)
	s_lshl_b64 s[6:7], s[0:1], 3
	v_lshlrev_b64 v[5:6], 3, v[5:6]
	s_add_u32 s6, s8, s6
	v_cmp_le_i32_e64 s0, v4, v13
	s_addc_u32 s7, s9, s7
	s_delay_alu instid0(VALU_DEP_2) | instskip(NEXT) | instid1(VALU_DEP_1)
	v_add_co_u32 v12, s1, s6, v5
	v_add_co_ci_u32_e64 v14, s1, s7, v6, s1
	s_delay_alu instid0(VALU_DEP_3) | instskip(NEXT) | instid1(SALU_CYCLE_1)
	s_and_b32 s0, vcc_lo, s0
	s_and_saveexec_b32 s1, s0
	s_cbranch_execz .LBB106_5
; %bb.4:
	v_mul_f64 v[6:7], v[10:11], s[4:5]
	v_ashrrev_i32_e32 v5, 31, v4
	s_delay_alu instid0(VALU_DEP_1) | instskip(NEXT) | instid1(VALU_DEP_1)
	v_lshlrev_b64 v[10:11], 3, v[4:5]
	v_add_co_u32 v10, s0, v12, v10
	s_delay_alu instid0(VALU_DEP_1)
	v_add_co_ci_u32_e64 v11, s0, v14, v11, s0
	global_store_b64 v[10:11], v[6:7], off
.LBB106_5:
	s_or_b32 exec_lo, exec_lo, s1
	v_add_nc_u32_e32 v6, 16, v4
	s_delay_alu instid0(VALU_DEP_1) | instskip(NEXT) | instid1(VALU_DEP_1)
	v_cmp_le_i32_e64 s0, v6, v13
	s_and_b32 s1, vcc_lo, s0
	s_delay_alu instid0(SALU_CYCLE_1)
	s_and_saveexec_b32 s0, s1
	s_cbranch_execz .LBB106_7
; %bb.6:
	v_mul_f64 v[8:9], v[8:9], s[4:5]
	v_ashrrev_i32_e32 v7, 31, v6
	s_delay_alu instid0(VALU_DEP_1) | instskip(NEXT) | instid1(VALU_DEP_1)
	v_lshlrev_b64 v[10:11], 3, v[6:7]
	v_add_co_u32 v10, vcc_lo, v12, v10
	s_delay_alu instid0(VALU_DEP_2)
	v_add_co_ci_u32_e32 v11, vcc_lo, v14, v11, vcc_lo
	global_store_b64 v[10:11], v[8:9], off
.LBB106_7:
	s_or_b32 exec_lo, exec_lo, s0
	v_add_nc_u32_e32 v7, 16, v13
	s_delay_alu instid0(VALU_DEP_1) | instskip(SKIP_2) | instid1(VALU_DEP_1)
	v_mad_i64_i32 v[8:9], null, v7, s3, 0
	v_cmp_gt_i32_e32 vcc_lo, s2, v7
	v_cmp_le_i32_e64 s0, v4, v7
	s_and_b32 s0, vcc_lo, s0
	s_delay_alu instid0(VALU_DEP_3) | instskip(NEXT) | instid1(VALU_DEP_1)
	v_lshlrev_b64 v[8:9], 3, v[8:9]
	v_add_co_u32 v8, s1, s6, v8
	s_delay_alu instid0(VALU_DEP_1)
	v_add_co_ci_u32_e64 v9, s1, s7, v9, s1
	s_and_saveexec_b32 s1, s0
	s_cbranch_execz .LBB106_9
; %bb.8:
	v_mul_f64 v[2:3], v[2:3], s[4:5]
	v_ashrrev_i32_e32 v5, 31, v4
	s_delay_alu instid0(VALU_DEP_1) | instskip(NEXT) | instid1(VALU_DEP_1)
	v_lshlrev_b64 v[4:5], 3, v[4:5]
	v_add_co_u32 v4, s0, v8, v4
	s_delay_alu instid0(VALU_DEP_1)
	v_add_co_ci_u32_e64 v5, s0, v9, v5, s0
	global_store_b64 v[4:5], v[2:3], off
.LBB106_9:
	s_or_b32 exec_lo, exec_lo, s1
	v_cmp_le_i32_e64 s0, v6, v7
	s_delay_alu instid0(VALU_DEP_1) | instskip(NEXT) | instid1(SALU_CYCLE_1)
	s_and_b32 s0, vcc_lo, s0
	s_and_saveexec_b32 s1, s0
	s_cbranch_execz .LBB106_11
; %bb.10:
	v_mul_f64 v[0:1], v[0:1], s[4:5]
	v_ashrrev_i32_e32 v7, 31, v6
	s_delay_alu instid0(VALU_DEP_1) | instskip(NEXT) | instid1(VALU_DEP_1)
	v_lshlrev_b64 v[2:3], 3, v[6:7]
	v_add_co_u32 v2, vcc_lo, v8, v2
	s_delay_alu instid0(VALU_DEP_2)
	v_add_co_ci_u32_e32 v3, vcc_lo, v9, v3, vcc_lo
	global_store_b64 v[2:3], v[0:1], off
.LBB106_11:
	s_nop 0
	s_sendmsg sendmsg(MSG_DEALLOC_VGPRS)
	s_endpgm
	.section	.rodata,"a",@progbits
	.p2align	6, 0x0
	.amdhsa_kernel _ZL37rocblas_syrkx_herkx_restricted_kernelIidLi16ELi32ELi8ELb1ELb0ELc84ELc85EKddEviT_T0_PT8_S1_lS4_S1_lS2_PT9_S1_li
		.amdhsa_group_segment_fixed_size 4096
		.amdhsa_private_segment_fixed_size 0
		.amdhsa_kernarg_size 100
		.amdhsa_user_sgpr_count 13
		.amdhsa_user_sgpr_dispatch_ptr 0
		.amdhsa_user_sgpr_queue_ptr 0
		.amdhsa_user_sgpr_kernarg_segment_ptr 1
		.amdhsa_user_sgpr_dispatch_id 0
		.amdhsa_user_sgpr_private_segment_size 0
		.amdhsa_wavefront_size32 1
		.amdhsa_uses_dynamic_stack 0
		.amdhsa_enable_private_segment 0
		.amdhsa_system_sgpr_workgroup_id_x 1
		.amdhsa_system_sgpr_workgroup_id_y 1
		.amdhsa_system_sgpr_workgroup_id_z 1
		.amdhsa_system_sgpr_workgroup_info 0
		.amdhsa_system_vgpr_workitem_id 1
		.amdhsa_next_free_vgpr 38
		.amdhsa_next_free_sgpr 20
		.amdhsa_reserve_vcc 1
		.amdhsa_float_round_mode_32 0
		.amdhsa_float_round_mode_16_64 0
		.amdhsa_float_denorm_mode_32 3
		.amdhsa_float_denorm_mode_16_64 3
		.amdhsa_dx10_clamp 1
		.amdhsa_ieee_mode 1
		.amdhsa_fp16_overflow 0
		.amdhsa_workgroup_processor_mode 1
		.amdhsa_memory_ordered 1
		.amdhsa_forward_progress 0
		.amdhsa_shared_vgpr_count 0
		.amdhsa_exception_fp_ieee_invalid_op 0
		.amdhsa_exception_fp_denorm_src 0
		.amdhsa_exception_fp_ieee_div_zero 0
		.amdhsa_exception_fp_ieee_overflow 0
		.amdhsa_exception_fp_ieee_underflow 0
		.amdhsa_exception_fp_ieee_inexact 0
		.amdhsa_exception_int_div_zero 0
	.end_amdhsa_kernel
	.section	.text._ZL37rocblas_syrkx_herkx_restricted_kernelIidLi16ELi32ELi8ELb1ELb0ELc84ELc85EKddEviT_T0_PT8_S1_lS4_S1_lS2_PT9_S1_li,"axG",@progbits,_ZL37rocblas_syrkx_herkx_restricted_kernelIidLi16ELi32ELi8ELb1ELb0ELc84ELc85EKddEviT_T0_PT8_S1_lS4_S1_lS2_PT9_S1_li,comdat
.Lfunc_end106:
	.size	_ZL37rocblas_syrkx_herkx_restricted_kernelIidLi16ELi32ELi8ELb1ELb0ELc84ELc85EKddEviT_T0_PT8_S1_lS4_S1_lS2_PT9_S1_li, .Lfunc_end106-_ZL37rocblas_syrkx_herkx_restricted_kernelIidLi16ELi32ELi8ELb1ELb0ELc84ELc85EKddEviT_T0_PT8_S1_lS4_S1_lS2_PT9_S1_li
                                        ; -- End function
	.section	.AMDGPU.csdata,"",@progbits
; Kernel info:
; codeLenInByte = 1408
; NumSgprs: 22
; NumVgprs: 38
; ScratchSize: 0
; MemoryBound: 0
; FloatMode: 240
; IeeeMode: 1
; LDSByteSize: 4096 bytes/workgroup (compile time only)
; SGPRBlocks: 2
; VGPRBlocks: 4
; NumSGPRsForWavesPerEU: 22
; NumVGPRsForWavesPerEU: 38
; Occupancy: 16
; WaveLimiterHint : 0
; COMPUTE_PGM_RSRC2:SCRATCH_EN: 0
; COMPUTE_PGM_RSRC2:USER_SGPR: 13
; COMPUTE_PGM_RSRC2:TRAP_HANDLER: 0
; COMPUTE_PGM_RSRC2:TGID_X_EN: 1
; COMPUTE_PGM_RSRC2:TGID_Y_EN: 1
; COMPUTE_PGM_RSRC2:TGID_Z_EN: 1
; COMPUTE_PGM_RSRC2:TIDIG_COMP_CNT: 1
	.section	.text._ZL37rocblas_syrkx_herkx_restricted_kernelIidLi16ELi32ELi8ELb1ELb0ELc67ELc85EKddEviT_T0_PT8_S1_lS4_S1_lS2_PT9_S1_li,"axG",@progbits,_ZL37rocblas_syrkx_herkx_restricted_kernelIidLi16ELi32ELi8ELb1ELb0ELc67ELc85EKddEviT_T0_PT8_S1_lS4_S1_lS2_PT9_S1_li,comdat
	.globl	_ZL37rocblas_syrkx_herkx_restricted_kernelIidLi16ELi32ELi8ELb1ELb0ELc67ELc85EKddEviT_T0_PT8_S1_lS4_S1_lS2_PT9_S1_li ; -- Begin function _ZL37rocblas_syrkx_herkx_restricted_kernelIidLi16ELi32ELi8ELb1ELb0ELc67ELc85EKddEviT_T0_PT8_S1_lS4_S1_lS2_PT9_S1_li
	.p2align	8
	.type	_ZL37rocblas_syrkx_herkx_restricted_kernelIidLi16ELi32ELi8ELb1ELb0ELc67ELc85EKddEviT_T0_PT8_S1_lS4_S1_lS2_PT9_S1_li,@function
_ZL37rocblas_syrkx_herkx_restricted_kernelIidLi16ELi32ELi8ELb1ELb0ELc67ELc85EKddEviT_T0_PT8_S1_lS4_S1_lS2_PT9_S1_li: ; @_ZL37rocblas_syrkx_herkx_restricted_kernelIidLi16ELi32ELi8ELb1ELb0ELc67ELc85EKddEviT_T0_PT8_S1_lS4_S1_lS2_PT9_S1_li
; %bb.0:
	s_clause 0x1
	s_load_b64 s[2:3], s[0:1], 0x0
	s_load_b128 s[4:7], s[0:1], 0x8
	v_mov_b32_e32 v10, 0
	v_dual_mov_b32 v11, 0 :: v_dual_and_b32 v12, 0x3ff, v0
	v_bfe_u32 v13, v0, 10, 10
	s_delay_alu instid0(VALU_DEP_3) | instskip(NEXT) | instid1(VALU_DEP_3)
	v_mov_b32_e32 v8, v10
	v_dual_mov_b32 v2, v10 :: v_dual_mov_b32 v3, v11
	v_dual_mov_b32 v9, v11 :: v_dual_mov_b32 v0, v10
	v_mov_b32_e32 v1, v11
	s_lshl_b32 s12, s13, 5
	s_lshl_b32 s13, s14, 5
	s_mov_b32 s14, 0
	s_waitcnt lgkmcnt(0)
	s_cmp_lt_i32 s3, 1
	s_cbranch_scc1 .LBB107_3
; %bb.1:
	s_clause 0x1
	s_load_b64 s[16:17], s[0:1], 0x38
	s_load_b32 s18, s[0:1], 0x30
	v_lshl_add_u32 v2, v13, 4, v12
	s_clause 0x1
	s_load_b32 s19, s[0:1], 0x18
	s_load_b128 s[8:11], s[0:1], 0x20
	v_dual_mov_b32 v1, 0 :: v_dual_and_b32 v0, 7, v12
	v_lshlrev_b32_e32 v14, 3, v12
	v_lshrrev_b32_e32 v4, 3, v2
	v_and_b32_e32 v5, 31, v2
	s_delay_alu instid0(VALU_DEP_4)
	v_lshlrev_b32_e32 v6, 3, v0
	v_lshrrev_b32_e32 v2, 5, v2
	v_mov_b32_e32 v3, v1
	v_add_nc_u32_e32 v7, s13, v4
	v_lshlrev_b32_e32 v8, 3, v5
	v_lshl_or_b32 v6, v4, 6, v6
	v_add_nc_u32_e32 v9, s12, v5
	v_lshl_add_u32 v17, v13, 6, 0x800
	s_delay_alu instid0(VALU_DEP_4)
	v_lshl_or_b32 v15, v2, 8, v8
	s_waitcnt lgkmcnt(0)
	s_mul_i32 s17, s17, s15
	v_mad_i64_i32 v[4:5], null, s18, v7, v[0:1]
	s_mul_hi_u32 s18, s16, s15
	s_mul_i32 s16, s16, s15
	s_add_i32 s17, s18, s17
	s_mul_i32 s9, s9, s15
	s_lshl_b64 s[16:17], s[16:17], 3
	s_delay_alu instid0(SALU_CYCLE_1) | instskip(NEXT) | instid1(VALU_DEP_1)
	s_add_u32 s10, s10, s16
	v_lshlrev_b64 v[0:1], 3, v[4:5]
	v_mad_i64_i32 v[4:5], null, s19, v9, v[2:3]
	s_mul_hi_u32 s16, s8, s15
	s_addc_u32 s11, s11, s17
	s_add_i32 s9, s16, s9
	s_mul_i32 s8, s8, s15
	s_delay_alu instid0(SALU_CYCLE_1) | instskip(NEXT) | instid1(VALU_DEP_1)
	s_lshl_b64 s[8:9], s[8:9], 3
	v_lshlrev_b64 v[2:3], 3, v[4:5]
	v_add_co_u32 v4, vcc_lo, s10, v0
	v_add_co_ci_u32_e32 v5, vcc_lo, s11, v1, vcc_lo
	v_mov_b32_e32 v0, 0
	v_mov_b32_e32 v1, 0
	s_add_u32 s6, s6, s8
	v_add_nc_u32_e32 v16, 0x800, v6
	s_addc_u32 s7, s7, s9
	v_add_co_u32 v6, vcc_lo, s6, v2
	v_mov_b32_e32 v9, v1
	v_add_co_ci_u32_e32 v7, vcc_lo, s7, v3, vcc_lo
	v_dual_mov_b32 v3, v1 :: v_dual_mov_b32 v2, v0
	v_dual_mov_b32 v8, v0 :: v_dual_mov_b32 v11, v1
	v_mov_b32_e32 v10, v0
.LBB107_2:                              ; =>This Inner Loop Header: Depth=1
	global_load_b64 v[18:19], v[6:7], off
	global_load_b64 v[20:21], v[4:5], off
	v_add_co_u32 v4, vcc_lo, v4, 64
	v_add_co_ci_u32_e32 v5, vcc_lo, 0, v5, vcc_lo
	v_add_co_u32 v6, vcc_lo, v6, 64
	v_add_co_ci_u32_e32 v7, vcc_lo, 0, v7, vcc_lo
	s_add_i32 s14, s14, 8
	s_waitcnt vmcnt(1)
	ds_store_b64 v15, v[18:19]
	s_waitcnt vmcnt(0)
	ds_store_b64 v16, v[20:21]
	s_waitcnt lgkmcnt(0)
	s_barrier
	buffer_gl0_inv
	ds_load_2addr_b64 v[18:21], v14 offset1:16
	ds_load_b128 v[22:25], v17
	ds_load_b128 v[26:29], v17 offset:1024
	ds_load_b128 v[30:33], v17 offset:16
	;; [unrolled: 1-line block ×3, first 2 shown]
	s_cmp_ge_i32 s14, s3
	s_waitcnt lgkmcnt(3)
	v_fma_f64 v[10:11], v[18:19], v[22:23], v[10:11]
	v_fma_f64 v[8:9], v[20:21], v[22:23], v[8:9]
	s_waitcnt lgkmcnt(2)
	v_fma_f64 v[18:19], v[18:19], v[26:27], v[2:3]
	v_fma_f64 v[20:21], v[20:21], v[26:27], v[0:1]
	ds_load_2addr_b64 v[0:3], v14 offset0:32 offset1:48
	s_waitcnt lgkmcnt(0)
	v_fma_f64 v[10:11], v[0:1], v[24:25], v[10:11]
	v_fma_f64 v[8:9], v[2:3], v[24:25], v[8:9]
	v_fma_f64 v[18:19], v[0:1], v[28:29], v[18:19]
	v_fma_f64 v[20:21], v[2:3], v[28:29], v[20:21]
	ds_load_2addr_b64 v[0:3], v14 offset0:64 offset1:80
	s_waitcnt lgkmcnt(0)
	v_fma_f64 v[10:11], v[0:1], v[30:31], v[10:11]
	v_fma_f64 v[8:9], v[2:3], v[30:31], v[8:9]
	;; [unrolled: 6-line block ×3, first 2 shown]
	v_fma_f64 v[34:35], v[0:1], v[36:37], v[18:19]
	v_fma_f64 v[36:37], v[2:3], v[36:37], v[20:21]
	ds_load_2addr_b64 v[0:3], v14 offset0:128 offset1:144
	ds_load_b128 v[8:11], v17 offset:32
	ds_load_b128 v[18:21], v17 offset:1056
	;; [unrolled: 1-line block ×4, first 2 shown]
	s_waitcnt lgkmcnt(3)
	v_fma_f64 v[30:31], v[0:1], v[8:9], v[30:31]
	v_fma_f64 v[8:9], v[2:3], v[8:9], v[32:33]
	s_waitcnt lgkmcnt(2)
	v_fma_f64 v[32:33], v[0:1], v[18:19], v[34:35]
	v_fma_f64 v[18:19], v[2:3], v[18:19], v[36:37]
	ds_load_2addr_b64 v[0:3], v14 offset0:160 offset1:176
	s_waitcnt lgkmcnt(0)
	v_fma_f64 v[30:31], v[0:1], v[10:11], v[30:31]
	v_fma_f64 v[8:9], v[2:3], v[10:11], v[8:9]
	;; [unrolled: 1-line block ×4, first 2 shown]
	ds_load_2addr_b64 v[0:3], v14 offset0:192 offset1:208
	s_waitcnt lgkmcnt(0)
	v_fma_f64 v[30:31], v[0:1], v[22:23], v[30:31]
	v_fma_f64 v[8:9], v[2:3], v[22:23], v[8:9]
	v_fma_f64 v[0:1], v[0:1], v[26:27], v[10:11]
	v_fma_f64 v[22:23], v[2:3], v[26:27], v[18:19]
	ds_load_2addr_b64 v[18:21], v14 offset0:224 offset1:240
	s_waitcnt lgkmcnt(0)
	s_barrier
	buffer_gl0_inv
	v_fma_f64 v[10:11], v[18:19], v[24:25], v[30:31]
	v_fma_f64 v[8:9], v[20:21], v[24:25], v[8:9]
	;; [unrolled: 1-line block ×4, first 2 shown]
	s_cbranch_scc0 .LBB107_2
.LBB107_3:
	s_clause 0x2
	s_load_b32 s3, s[0:1], 0x50
	s_load_b64 s[6:7], s[0:1], 0x58
	s_load_b64 s[8:9], s[0:1], 0x48
	v_add_nc_u32_e32 v13, s13, v13
	v_add_nc_u32_e32 v4, s12, v12
	s_delay_alu instid0(VALU_DEP_2)
	v_cmp_gt_i32_e32 vcc_lo, s2, v13
	s_waitcnt lgkmcnt(0)
	v_mad_i64_i32 v[5:6], null, v13, s3, 0
	s_mul_i32 s1, s15, s7
	s_mul_hi_u32 s7, s15, s6
	s_mul_i32 s0, s15, s6
	s_add_i32 s1, s7, s1
	s_delay_alu instid0(SALU_CYCLE_1) | instskip(NEXT) | instid1(VALU_DEP_1)
	s_lshl_b64 s[6:7], s[0:1], 3
	v_lshlrev_b64 v[5:6], 3, v[5:6]
	s_add_u32 s6, s8, s6
	v_cmp_le_i32_e64 s0, v4, v13
	s_addc_u32 s7, s9, s7
	s_delay_alu instid0(VALU_DEP_2) | instskip(NEXT) | instid1(VALU_DEP_1)
	v_add_co_u32 v12, s1, s6, v5
	v_add_co_ci_u32_e64 v14, s1, s7, v6, s1
	s_delay_alu instid0(VALU_DEP_3) | instskip(NEXT) | instid1(SALU_CYCLE_1)
	s_and_b32 s0, vcc_lo, s0
	s_and_saveexec_b32 s1, s0
	s_cbranch_execz .LBB107_5
; %bb.4:
	v_mul_f64 v[6:7], v[10:11], s[4:5]
	v_ashrrev_i32_e32 v5, 31, v4
	s_delay_alu instid0(VALU_DEP_1) | instskip(NEXT) | instid1(VALU_DEP_1)
	v_lshlrev_b64 v[10:11], 3, v[4:5]
	v_add_co_u32 v10, s0, v12, v10
	s_delay_alu instid0(VALU_DEP_1)
	v_add_co_ci_u32_e64 v11, s0, v14, v11, s0
	global_store_b64 v[10:11], v[6:7], off
.LBB107_5:
	s_or_b32 exec_lo, exec_lo, s1
	v_add_nc_u32_e32 v6, 16, v4
	s_delay_alu instid0(VALU_DEP_1) | instskip(NEXT) | instid1(VALU_DEP_1)
	v_cmp_le_i32_e64 s0, v6, v13
	s_and_b32 s1, vcc_lo, s0
	s_delay_alu instid0(SALU_CYCLE_1)
	s_and_saveexec_b32 s0, s1
	s_cbranch_execz .LBB107_7
; %bb.6:
	v_mul_f64 v[8:9], v[8:9], s[4:5]
	v_ashrrev_i32_e32 v7, 31, v6
	s_delay_alu instid0(VALU_DEP_1) | instskip(NEXT) | instid1(VALU_DEP_1)
	v_lshlrev_b64 v[10:11], 3, v[6:7]
	v_add_co_u32 v10, vcc_lo, v12, v10
	s_delay_alu instid0(VALU_DEP_2)
	v_add_co_ci_u32_e32 v11, vcc_lo, v14, v11, vcc_lo
	global_store_b64 v[10:11], v[8:9], off
.LBB107_7:
	s_or_b32 exec_lo, exec_lo, s0
	v_add_nc_u32_e32 v7, 16, v13
	s_delay_alu instid0(VALU_DEP_1) | instskip(SKIP_2) | instid1(VALU_DEP_1)
	v_mad_i64_i32 v[8:9], null, v7, s3, 0
	v_cmp_gt_i32_e32 vcc_lo, s2, v7
	v_cmp_le_i32_e64 s0, v4, v7
	s_and_b32 s0, vcc_lo, s0
	s_delay_alu instid0(VALU_DEP_3) | instskip(NEXT) | instid1(VALU_DEP_1)
	v_lshlrev_b64 v[8:9], 3, v[8:9]
	v_add_co_u32 v8, s1, s6, v8
	s_delay_alu instid0(VALU_DEP_1)
	v_add_co_ci_u32_e64 v9, s1, s7, v9, s1
	s_and_saveexec_b32 s1, s0
	s_cbranch_execz .LBB107_9
; %bb.8:
	v_mul_f64 v[2:3], v[2:3], s[4:5]
	v_ashrrev_i32_e32 v5, 31, v4
	s_delay_alu instid0(VALU_DEP_1) | instskip(NEXT) | instid1(VALU_DEP_1)
	v_lshlrev_b64 v[4:5], 3, v[4:5]
	v_add_co_u32 v4, s0, v8, v4
	s_delay_alu instid0(VALU_DEP_1)
	v_add_co_ci_u32_e64 v5, s0, v9, v5, s0
	global_store_b64 v[4:5], v[2:3], off
.LBB107_9:
	s_or_b32 exec_lo, exec_lo, s1
	v_cmp_le_i32_e64 s0, v6, v7
	s_delay_alu instid0(VALU_DEP_1) | instskip(NEXT) | instid1(SALU_CYCLE_1)
	s_and_b32 s0, vcc_lo, s0
	s_and_saveexec_b32 s1, s0
	s_cbranch_execz .LBB107_11
; %bb.10:
	v_mul_f64 v[0:1], v[0:1], s[4:5]
	v_ashrrev_i32_e32 v7, 31, v6
	s_delay_alu instid0(VALU_DEP_1) | instskip(NEXT) | instid1(VALU_DEP_1)
	v_lshlrev_b64 v[2:3], 3, v[6:7]
	v_add_co_u32 v2, vcc_lo, v8, v2
	s_delay_alu instid0(VALU_DEP_2)
	v_add_co_ci_u32_e32 v3, vcc_lo, v9, v3, vcc_lo
	global_store_b64 v[2:3], v[0:1], off
.LBB107_11:
	s_nop 0
	s_sendmsg sendmsg(MSG_DEALLOC_VGPRS)
	s_endpgm
	.section	.rodata,"a",@progbits
	.p2align	6, 0x0
	.amdhsa_kernel _ZL37rocblas_syrkx_herkx_restricted_kernelIidLi16ELi32ELi8ELb1ELb0ELc67ELc85EKddEviT_T0_PT8_S1_lS4_S1_lS2_PT9_S1_li
		.amdhsa_group_segment_fixed_size 4096
		.amdhsa_private_segment_fixed_size 0
		.amdhsa_kernarg_size 100
		.amdhsa_user_sgpr_count 13
		.amdhsa_user_sgpr_dispatch_ptr 0
		.amdhsa_user_sgpr_queue_ptr 0
		.amdhsa_user_sgpr_kernarg_segment_ptr 1
		.amdhsa_user_sgpr_dispatch_id 0
		.amdhsa_user_sgpr_private_segment_size 0
		.amdhsa_wavefront_size32 1
		.amdhsa_uses_dynamic_stack 0
		.amdhsa_enable_private_segment 0
		.amdhsa_system_sgpr_workgroup_id_x 1
		.amdhsa_system_sgpr_workgroup_id_y 1
		.amdhsa_system_sgpr_workgroup_id_z 1
		.amdhsa_system_sgpr_workgroup_info 0
		.amdhsa_system_vgpr_workitem_id 1
		.amdhsa_next_free_vgpr 38
		.amdhsa_next_free_sgpr 20
		.amdhsa_reserve_vcc 1
		.amdhsa_float_round_mode_32 0
		.amdhsa_float_round_mode_16_64 0
		.amdhsa_float_denorm_mode_32 3
		.amdhsa_float_denorm_mode_16_64 3
		.amdhsa_dx10_clamp 1
		.amdhsa_ieee_mode 1
		.amdhsa_fp16_overflow 0
		.amdhsa_workgroup_processor_mode 1
		.amdhsa_memory_ordered 1
		.amdhsa_forward_progress 0
		.amdhsa_shared_vgpr_count 0
		.amdhsa_exception_fp_ieee_invalid_op 0
		.amdhsa_exception_fp_denorm_src 0
		.amdhsa_exception_fp_ieee_div_zero 0
		.amdhsa_exception_fp_ieee_overflow 0
		.amdhsa_exception_fp_ieee_underflow 0
		.amdhsa_exception_fp_ieee_inexact 0
		.amdhsa_exception_int_div_zero 0
	.end_amdhsa_kernel
	.section	.text._ZL37rocblas_syrkx_herkx_restricted_kernelIidLi16ELi32ELi8ELb1ELb0ELc67ELc85EKddEviT_T0_PT8_S1_lS4_S1_lS2_PT9_S1_li,"axG",@progbits,_ZL37rocblas_syrkx_herkx_restricted_kernelIidLi16ELi32ELi8ELb1ELb0ELc67ELc85EKddEviT_T0_PT8_S1_lS4_S1_lS2_PT9_S1_li,comdat
.Lfunc_end107:
	.size	_ZL37rocblas_syrkx_herkx_restricted_kernelIidLi16ELi32ELi8ELb1ELb0ELc67ELc85EKddEviT_T0_PT8_S1_lS4_S1_lS2_PT9_S1_li, .Lfunc_end107-_ZL37rocblas_syrkx_herkx_restricted_kernelIidLi16ELi32ELi8ELb1ELb0ELc67ELc85EKddEviT_T0_PT8_S1_lS4_S1_lS2_PT9_S1_li
                                        ; -- End function
	.section	.AMDGPU.csdata,"",@progbits
; Kernel info:
; codeLenInByte = 1408
; NumSgprs: 22
; NumVgprs: 38
; ScratchSize: 0
; MemoryBound: 0
; FloatMode: 240
; IeeeMode: 1
; LDSByteSize: 4096 bytes/workgroup (compile time only)
; SGPRBlocks: 2
; VGPRBlocks: 4
; NumSGPRsForWavesPerEU: 22
; NumVGPRsForWavesPerEU: 38
; Occupancy: 16
; WaveLimiterHint : 0
; COMPUTE_PGM_RSRC2:SCRATCH_EN: 0
; COMPUTE_PGM_RSRC2:USER_SGPR: 13
; COMPUTE_PGM_RSRC2:TRAP_HANDLER: 0
; COMPUTE_PGM_RSRC2:TGID_X_EN: 1
; COMPUTE_PGM_RSRC2:TGID_Y_EN: 1
; COMPUTE_PGM_RSRC2:TGID_Z_EN: 1
; COMPUTE_PGM_RSRC2:TIDIG_COMP_CNT: 1
	.section	.text._ZL37rocblas_syrkx_herkx_restricted_kernelIidLi16ELi32ELi8ELb1ELb0ELc78ELc85EKddEviT_T0_PT8_S1_lS4_S1_lS2_PT9_S1_li,"axG",@progbits,_ZL37rocblas_syrkx_herkx_restricted_kernelIidLi16ELi32ELi8ELb1ELb0ELc78ELc85EKddEviT_T0_PT8_S1_lS4_S1_lS2_PT9_S1_li,comdat
	.globl	_ZL37rocblas_syrkx_herkx_restricted_kernelIidLi16ELi32ELi8ELb1ELb0ELc78ELc85EKddEviT_T0_PT8_S1_lS4_S1_lS2_PT9_S1_li ; -- Begin function _ZL37rocblas_syrkx_herkx_restricted_kernelIidLi16ELi32ELi8ELb1ELb0ELc78ELc85EKddEviT_T0_PT8_S1_lS4_S1_lS2_PT9_S1_li
	.p2align	8
	.type	_ZL37rocblas_syrkx_herkx_restricted_kernelIidLi16ELi32ELi8ELb1ELb0ELc78ELc85EKddEviT_T0_PT8_S1_lS4_S1_lS2_PT9_S1_li,@function
_ZL37rocblas_syrkx_herkx_restricted_kernelIidLi16ELi32ELi8ELb1ELb0ELc78ELc85EKddEviT_T0_PT8_S1_lS4_S1_lS2_PT9_S1_li: ; @_ZL37rocblas_syrkx_herkx_restricted_kernelIidLi16ELi32ELi8ELb1ELb0ELc78ELc85EKddEviT_T0_PT8_S1_lS4_S1_lS2_PT9_S1_li
; %bb.0:
	s_clause 0x1
	s_load_b64 s[2:3], s[0:1], 0x0
	s_load_b128 s[4:7], s[0:1], 0x8
	v_mov_b32_e32 v10, 0
	v_dual_mov_b32 v11, 0 :: v_dual_and_b32 v12, 0x3ff, v0
	v_bfe_u32 v13, v0, 10, 10
	s_delay_alu instid0(VALU_DEP_3) | instskip(NEXT) | instid1(VALU_DEP_3)
	v_mov_b32_e32 v8, v10
	v_dual_mov_b32 v2, v10 :: v_dual_mov_b32 v3, v11
	v_dual_mov_b32 v9, v11 :: v_dual_mov_b32 v0, v10
	v_mov_b32_e32 v1, v11
	s_lshl_b32 s12, s13, 5
	s_lshl_b32 s13, s14, 5
	s_mov_b32 s14, 0
	s_waitcnt lgkmcnt(0)
	s_cmp_lt_i32 s3, 1
	s_cbranch_scc1 .LBB108_3
; %bb.1:
	v_lshl_add_u32 v1, v13, 4, v12
	s_clause 0x2
	s_load_b32 s16, s[0:1], 0x30
	s_load_b32 s18, s[0:1], 0x18
	s_load_b64 s[20:21], s[0:1], 0x38
	v_and_b32_e32 v5, 7, v12
	s_load_b128 s[8:11], s[0:1], 0x20
	v_lshl_add_u32 v15, v13, 6, 0x800
	v_lshrrev_b32_e32 v2, 3, v1
	v_and_b32_e32 v3, 31, v1
	v_lshlrev_b32_e32 v4, 3, v5
	v_lshrrev_b32_e32 v8, 5, v1
	s_delay_alu instid0(VALU_DEP_4) | instskip(NEXT) | instid1(VALU_DEP_4)
	v_add_nc_u32_e32 v0, s13, v2
	v_lshlrev_b32_e32 v6, 3, v3
	s_delay_alu instid0(VALU_DEP_4) | instskip(SKIP_1) | instid1(VALU_DEP_4)
	v_lshl_or_b32 v4, v2, 6, v4
	v_add_nc_u32_e32 v2, s12, v3
	v_ashrrev_i32_e32 v1, 31, v0
	s_delay_alu instid0(VALU_DEP_4) | instskip(NEXT) | instid1(VALU_DEP_4)
	v_lshl_or_b32 v16, v8, 8, v6
	v_add_nc_u32_e32 v17, 0x800, v4
	s_waitcnt lgkmcnt(0)
	s_ashr_i32 s19, s18, 31
	v_mad_i64_i32 v[3:4], null, s16, v5, v[0:1]
	s_mul_i32 s17, s21, s15
	s_mul_hi_u32 s21, s20, s15
	s_mul_i32 s20, s20, s15
	s_add_i32 s21, s21, s17
	s_ashr_i32 s17, s16, 31
	s_lshl_b64 s[20:21], s[20:21], 3
	s_delay_alu instid0(VALU_DEP_1)
	v_lshlrev_b64 v[0:1], 3, v[3:4]
	s_add_u32 s10, s10, s20
	s_addc_u32 s11, s11, s21
	s_mul_i32 s9, s9, s15
	s_mul_hi_u32 s20, s8, s15
	s_mul_i32 s8, s8, s15
	v_add_co_u32 v4, vcc_lo, s10, v0
	v_add_co_ci_u32_e32 v5, vcc_lo, s11, v1, vcc_lo
	v_mov_b32_e32 v0, 0
	v_mov_b32_e32 v1, 0
	s_add_i32 s9, s20, s9
	v_lshlrev_b32_e32 v14, 3, v12
	s_lshl_b64 s[10:11], s[8:9], 3
	s_lshl_b64 s[8:9], s[16:17], 6
	v_mov_b32_e32 v11, v1
	v_ashrrev_i32_e32 v3, 31, v2
	s_add_u32 s6, s6, s10
	s_addc_u32 s7, s7, s11
	v_mov_b32_e32 v10, v0
	s_delay_alu instid0(VALU_DEP_2) | instskip(SKIP_1) | instid1(VALU_DEP_2)
	v_mad_i64_i32 v[6:7], null, s18, v8, v[2:3]
	v_dual_mov_b32 v9, v1 :: v_dual_mov_b32 v8, v0
	v_lshlrev_b64 v[2:3], 3, v[6:7]
	s_delay_alu instid0(VALU_DEP_1) | instskip(NEXT) | instid1(VALU_DEP_2)
	v_add_co_u32 v6, vcc_lo, s6, v2
	v_add_co_ci_u32_e32 v7, vcc_lo, s7, v3, vcc_lo
	v_dual_mov_b32 v3, v1 :: v_dual_mov_b32 v2, v0
	s_lshl_b64 s[6:7], s[18:19], 6
.LBB108_2:                              ; =>This Inner Loop Header: Depth=1
	global_load_b64 v[18:19], v[6:7], off
	global_load_b64 v[20:21], v[4:5], off
	v_add_co_u32 v4, vcc_lo, v4, s8
	v_add_co_ci_u32_e32 v5, vcc_lo, s9, v5, vcc_lo
	v_add_co_u32 v6, vcc_lo, v6, s6
	v_add_co_ci_u32_e32 v7, vcc_lo, s7, v7, vcc_lo
	s_add_i32 s14, s14, 8
	s_waitcnt vmcnt(1)
	ds_store_b64 v16, v[18:19]
	s_waitcnt vmcnt(0)
	ds_store_b64 v17, v[20:21]
	s_waitcnt lgkmcnt(0)
	s_barrier
	buffer_gl0_inv
	ds_load_2addr_b64 v[18:21], v14 offset1:16
	ds_load_b128 v[22:25], v15
	ds_load_b128 v[26:29], v15 offset:1024
	ds_load_b128 v[30:33], v15 offset:16
	;; [unrolled: 1-line block ×3, first 2 shown]
	s_cmp_ge_i32 s14, s3
	s_waitcnt lgkmcnt(3)
	v_fma_f64 v[10:11], v[18:19], v[22:23], v[10:11]
	v_fma_f64 v[8:9], v[20:21], v[22:23], v[8:9]
	s_waitcnt lgkmcnt(2)
	v_fma_f64 v[18:19], v[18:19], v[26:27], v[2:3]
	v_fma_f64 v[20:21], v[20:21], v[26:27], v[0:1]
	ds_load_2addr_b64 v[0:3], v14 offset0:32 offset1:48
	s_waitcnt lgkmcnt(0)
	v_fma_f64 v[10:11], v[0:1], v[24:25], v[10:11]
	v_fma_f64 v[8:9], v[2:3], v[24:25], v[8:9]
	v_fma_f64 v[18:19], v[0:1], v[28:29], v[18:19]
	v_fma_f64 v[20:21], v[2:3], v[28:29], v[20:21]
	ds_load_2addr_b64 v[0:3], v14 offset0:64 offset1:80
	s_waitcnt lgkmcnt(0)
	v_fma_f64 v[10:11], v[0:1], v[30:31], v[10:11]
	v_fma_f64 v[8:9], v[2:3], v[30:31], v[8:9]
	;; [unrolled: 6-line block ×3, first 2 shown]
	v_fma_f64 v[34:35], v[0:1], v[36:37], v[18:19]
	v_fma_f64 v[36:37], v[2:3], v[36:37], v[20:21]
	ds_load_2addr_b64 v[0:3], v14 offset0:128 offset1:144
	ds_load_b128 v[8:11], v15 offset:32
	ds_load_b128 v[18:21], v15 offset:1056
	;; [unrolled: 1-line block ×4, first 2 shown]
	s_waitcnt lgkmcnt(3)
	v_fma_f64 v[30:31], v[0:1], v[8:9], v[30:31]
	v_fma_f64 v[8:9], v[2:3], v[8:9], v[32:33]
	s_waitcnt lgkmcnt(2)
	v_fma_f64 v[32:33], v[0:1], v[18:19], v[34:35]
	v_fma_f64 v[18:19], v[2:3], v[18:19], v[36:37]
	ds_load_2addr_b64 v[0:3], v14 offset0:160 offset1:176
	s_waitcnt lgkmcnt(0)
	v_fma_f64 v[30:31], v[0:1], v[10:11], v[30:31]
	v_fma_f64 v[8:9], v[2:3], v[10:11], v[8:9]
	;; [unrolled: 1-line block ×4, first 2 shown]
	ds_load_2addr_b64 v[0:3], v14 offset0:192 offset1:208
	s_waitcnt lgkmcnt(0)
	v_fma_f64 v[30:31], v[0:1], v[22:23], v[30:31]
	v_fma_f64 v[8:9], v[2:3], v[22:23], v[8:9]
	;; [unrolled: 1-line block ×4, first 2 shown]
	ds_load_2addr_b64 v[18:21], v14 offset0:224 offset1:240
	s_waitcnt lgkmcnt(0)
	s_barrier
	buffer_gl0_inv
	v_fma_f64 v[10:11], v[18:19], v[24:25], v[30:31]
	v_fma_f64 v[8:9], v[20:21], v[24:25], v[8:9]
	;; [unrolled: 1-line block ×4, first 2 shown]
	s_cbranch_scc0 .LBB108_2
.LBB108_3:
	s_clause 0x2
	s_load_b32 s3, s[0:1], 0x50
	s_load_b64 s[6:7], s[0:1], 0x58
	s_load_b64 s[8:9], s[0:1], 0x48
	v_add_nc_u32_e32 v13, s13, v13
	v_add_nc_u32_e32 v4, s12, v12
	s_delay_alu instid0(VALU_DEP_2)
	v_cmp_gt_i32_e32 vcc_lo, s2, v13
	s_waitcnt lgkmcnt(0)
	v_mad_i64_i32 v[5:6], null, v13, s3, 0
	s_mul_i32 s1, s15, s7
	s_mul_hi_u32 s7, s15, s6
	s_mul_i32 s0, s15, s6
	s_add_i32 s1, s7, s1
	s_delay_alu instid0(SALU_CYCLE_1) | instskip(NEXT) | instid1(VALU_DEP_1)
	s_lshl_b64 s[6:7], s[0:1], 3
	v_lshlrev_b64 v[5:6], 3, v[5:6]
	s_add_u32 s6, s8, s6
	v_cmp_le_i32_e64 s0, v4, v13
	s_addc_u32 s7, s9, s7
	s_delay_alu instid0(VALU_DEP_2) | instskip(NEXT) | instid1(VALU_DEP_1)
	v_add_co_u32 v12, s1, s6, v5
	v_add_co_ci_u32_e64 v14, s1, s7, v6, s1
	s_delay_alu instid0(VALU_DEP_3) | instskip(NEXT) | instid1(SALU_CYCLE_1)
	s_and_b32 s0, vcc_lo, s0
	s_and_saveexec_b32 s1, s0
	s_cbranch_execz .LBB108_5
; %bb.4:
	v_mul_f64 v[6:7], v[10:11], s[4:5]
	v_ashrrev_i32_e32 v5, 31, v4
	s_delay_alu instid0(VALU_DEP_1) | instskip(NEXT) | instid1(VALU_DEP_1)
	v_lshlrev_b64 v[10:11], 3, v[4:5]
	v_add_co_u32 v10, s0, v12, v10
	s_delay_alu instid0(VALU_DEP_1)
	v_add_co_ci_u32_e64 v11, s0, v14, v11, s0
	global_store_b64 v[10:11], v[6:7], off
.LBB108_5:
	s_or_b32 exec_lo, exec_lo, s1
	v_add_nc_u32_e32 v6, 16, v4
	s_delay_alu instid0(VALU_DEP_1) | instskip(NEXT) | instid1(VALU_DEP_1)
	v_cmp_le_i32_e64 s0, v6, v13
	s_and_b32 s1, vcc_lo, s0
	s_delay_alu instid0(SALU_CYCLE_1)
	s_and_saveexec_b32 s0, s1
	s_cbranch_execz .LBB108_7
; %bb.6:
	v_mul_f64 v[8:9], v[8:9], s[4:5]
	v_ashrrev_i32_e32 v7, 31, v6
	s_delay_alu instid0(VALU_DEP_1) | instskip(NEXT) | instid1(VALU_DEP_1)
	v_lshlrev_b64 v[10:11], 3, v[6:7]
	v_add_co_u32 v10, vcc_lo, v12, v10
	s_delay_alu instid0(VALU_DEP_2)
	v_add_co_ci_u32_e32 v11, vcc_lo, v14, v11, vcc_lo
	global_store_b64 v[10:11], v[8:9], off
.LBB108_7:
	s_or_b32 exec_lo, exec_lo, s0
	v_add_nc_u32_e32 v7, 16, v13
	s_delay_alu instid0(VALU_DEP_1) | instskip(SKIP_2) | instid1(VALU_DEP_1)
	v_mad_i64_i32 v[8:9], null, v7, s3, 0
	v_cmp_gt_i32_e32 vcc_lo, s2, v7
	v_cmp_le_i32_e64 s0, v4, v7
	s_and_b32 s0, vcc_lo, s0
	s_delay_alu instid0(VALU_DEP_3) | instskip(NEXT) | instid1(VALU_DEP_1)
	v_lshlrev_b64 v[8:9], 3, v[8:9]
	v_add_co_u32 v8, s1, s6, v8
	s_delay_alu instid0(VALU_DEP_1)
	v_add_co_ci_u32_e64 v9, s1, s7, v9, s1
	s_and_saveexec_b32 s1, s0
	s_cbranch_execz .LBB108_9
; %bb.8:
	v_mul_f64 v[2:3], v[2:3], s[4:5]
	v_ashrrev_i32_e32 v5, 31, v4
	s_delay_alu instid0(VALU_DEP_1) | instskip(NEXT) | instid1(VALU_DEP_1)
	v_lshlrev_b64 v[4:5], 3, v[4:5]
	v_add_co_u32 v4, s0, v8, v4
	s_delay_alu instid0(VALU_DEP_1)
	v_add_co_ci_u32_e64 v5, s0, v9, v5, s0
	global_store_b64 v[4:5], v[2:3], off
.LBB108_9:
	s_or_b32 exec_lo, exec_lo, s1
	v_cmp_le_i32_e64 s0, v6, v7
	s_delay_alu instid0(VALU_DEP_1) | instskip(NEXT) | instid1(SALU_CYCLE_1)
	s_and_b32 s0, vcc_lo, s0
	s_and_saveexec_b32 s1, s0
	s_cbranch_execz .LBB108_11
; %bb.10:
	v_mul_f64 v[0:1], v[0:1], s[4:5]
	v_ashrrev_i32_e32 v7, 31, v6
	s_delay_alu instid0(VALU_DEP_1) | instskip(NEXT) | instid1(VALU_DEP_1)
	v_lshlrev_b64 v[2:3], 3, v[6:7]
	v_add_co_u32 v2, vcc_lo, v8, v2
	s_delay_alu instid0(VALU_DEP_2)
	v_add_co_ci_u32_e32 v3, vcc_lo, v9, v3, vcc_lo
	global_store_b64 v[2:3], v[0:1], off
.LBB108_11:
	s_nop 0
	s_sendmsg sendmsg(MSG_DEALLOC_VGPRS)
	s_endpgm
	.section	.rodata,"a",@progbits
	.p2align	6, 0x0
	.amdhsa_kernel _ZL37rocblas_syrkx_herkx_restricted_kernelIidLi16ELi32ELi8ELb1ELb0ELc78ELc85EKddEviT_T0_PT8_S1_lS4_S1_lS2_PT9_S1_li
		.amdhsa_group_segment_fixed_size 4096
		.amdhsa_private_segment_fixed_size 0
		.amdhsa_kernarg_size 100
		.amdhsa_user_sgpr_count 13
		.amdhsa_user_sgpr_dispatch_ptr 0
		.amdhsa_user_sgpr_queue_ptr 0
		.amdhsa_user_sgpr_kernarg_segment_ptr 1
		.amdhsa_user_sgpr_dispatch_id 0
		.amdhsa_user_sgpr_private_segment_size 0
		.amdhsa_wavefront_size32 1
		.amdhsa_uses_dynamic_stack 0
		.amdhsa_enable_private_segment 0
		.amdhsa_system_sgpr_workgroup_id_x 1
		.amdhsa_system_sgpr_workgroup_id_y 1
		.amdhsa_system_sgpr_workgroup_id_z 1
		.amdhsa_system_sgpr_workgroup_info 0
		.amdhsa_system_vgpr_workitem_id 1
		.amdhsa_next_free_vgpr 38
		.amdhsa_next_free_sgpr 22
		.amdhsa_reserve_vcc 1
		.amdhsa_float_round_mode_32 0
		.amdhsa_float_round_mode_16_64 0
		.amdhsa_float_denorm_mode_32 3
		.amdhsa_float_denorm_mode_16_64 3
		.amdhsa_dx10_clamp 1
		.amdhsa_ieee_mode 1
		.amdhsa_fp16_overflow 0
		.amdhsa_workgroup_processor_mode 1
		.amdhsa_memory_ordered 1
		.amdhsa_forward_progress 0
		.amdhsa_shared_vgpr_count 0
		.amdhsa_exception_fp_ieee_invalid_op 0
		.amdhsa_exception_fp_denorm_src 0
		.amdhsa_exception_fp_ieee_div_zero 0
		.amdhsa_exception_fp_ieee_overflow 0
		.amdhsa_exception_fp_ieee_underflow 0
		.amdhsa_exception_fp_ieee_inexact 0
		.amdhsa_exception_int_div_zero 0
	.end_amdhsa_kernel
	.section	.text._ZL37rocblas_syrkx_herkx_restricted_kernelIidLi16ELi32ELi8ELb1ELb0ELc78ELc85EKddEviT_T0_PT8_S1_lS4_S1_lS2_PT9_S1_li,"axG",@progbits,_ZL37rocblas_syrkx_herkx_restricted_kernelIidLi16ELi32ELi8ELb1ELb0ELc78ELc85EKddEviT_T0_PT8_S1_lS4_S1_lS2_PT9_S1_li,comdat
.Lfunc_end108:
	.size	_ZL37rocblas_syrkx_herkx_restricted_kernelIidLi16ELi32ELi8ELb1ELb0ELc78ELc85EKddEviT_T0_PT8_S1_lS4_S1_lS2_PT9_S1_li, .Lfunc_end108-_ZL37rocblas_syrkx_herkx_restricted_kernelIidLi16ELi32ELi8ELb1ELb0ELc78ELc85EKddEviT_T0_PT8_S1_lS4_S1_lS2_PT9_S1_li
                                        ; -- End function
	.section	.AMDGPU.csdata,"",@progbits
; Kernel info:
; codeLenInByte = 1428
; NumSgprs: 24
; NumVgprs: 38
; ScratchSize: 0
; MemoryBound: 0
; FloatMode: 240
; IeeeMode: 1
; LDSByteSize: 4096 bytes/workgroup (compile time only)
; SGPRBlocks: 2
; VGPRBlocks: 4
; NumSGPRsForWavesPerEU: 24
; NumVGPRsForWavesPerEU: 38
; Occupancy: 16
; WaveLimiterHint : 0
; COMPUTE_PGM_RSRC2:SCRATCH_EN: 0
; COMPUTE_PGM_RSRC2:USER_SGPR: 13
; COMPUTE_PGM_RSRC2:TRAP_HANDLER: 0
; COMPUTE_PGM_RSRC2:TGID_X_EN: 1
; COMPUTE_PGM_RSRC2:TGID_Y_EN: 1
; COMPUTE_PGM_RSRC2:TGID_Z_EN: 1
; COMPUTE_PGM_RSRC2:TIDIG_COMP_CNT: 1
	.section	.text._ZL37rocblas_syrkx_herkx_restricted_kernelIidLi16ELi32ELi8ELb0ELb0ELc84ELc76EKddEviT_T0_PT8_S1_lS4_S1_lS2_PT9_S1_li,"axG",@progbits,_ZL37rocblas_syrkx_herkx_restricted_kernelIidLi16ELi32ELi8ELb0ELb0ELc84ELc76EKddEviT_T0_PT8_S1_lS4_S1_lS2_PT9_S1_li,comdat
	.globl	_ZL37rocblas_syrkx_herkx_restricted_kernelIidLi16ELi32ELi8ELb0ELb0ELc84ELc76EKddEviT_T0_PT8_S1_lS4_S1_lS2_PT9_S1_li ; -- Begin function _ZL37rocblas_syrkx_herkx_restricted_kernelIidLi16ELi32ELi8ELb0ELb0ELc84ELc76EKddEviT_T0_PT8_S1_lS4_S1_lS2_PT9_S1_li
	.p2align	8
	.type	_ZL37rocblas_syrkx_herkx_restricted_kernelIidLi16ELi32ELi8ELb0ELb0ELc84ELc76EKddEviT_T0_PT8_S1_lS4_S1_lS2_PT9_S1_li,@function
_ZL37rocblas_syrkx_herkx_restricted_kernelIidLi16ELi32ELi8ELb0ELb0ELc84ELc76EKddEviT_T0_PT8_S1_lS4_S1_lS2_PT9_S1_li: ; @_ZL37rocblas_syrkx_herkx_restricted_kernelIidLi16ELi32ELi8ELb0ELb0ELc84ELc76EKddEviT_T0_PT8_S1_lS4_S1_lS2_PT9_S1_li
; %bb.0:
	s_clause 0x3
	s_load_b64 s[2:3], s[0:1], 0x0
	s_load_b128 s[4:7], s[0:1], 0x8
	s_load_b128 s[8:11], s[0:1], 0x38
	s_load_b64 s[20:21], s[0:1], 0x48
	v_mov_b32_e32 v10, 0
	v_dual_mov_b32 v11, 0 :: v_dual_and_b32 v12, 0x3ff, v0
	v_bfe_u32 v13, v0, 10, 10
	s_delay_alu instid0(VALU_DEP_3) | instskip(NEXT) | instid1(VALU_DEP_3)
	v_mov_b32_e32 v6, v10
	v_dual_mov_b32 v2, v10 :: v_dual_mov_b32 v3, v11
	v_dual_mov_b32 v7, v11 :: v_dual_mov_b32 v0, v10
	v_mov_b32_e32 v1, v11
	s_lshl_b32 s12, s13, 5
	s_lshl_b32 s13, s14, 5
	s_mov_b32 s14, 0
	s_waitcnt lgkmcnt(0)
	s_cmp_lt_i32 s3, 1
	s_cbranch_scc1 .LBB109_3
; %bb.1:
	s_clause 0x2
	s_load_b32 s22, s[0:1], 0x30
	s_load_b32 s23, s[0:1], 0x18
	s_load_b128 s[16:19], s[0:1], 0x20
	v_lshl_add_u32 v2, v13, 4, v12
	v_dual_mov_b32 v1, 0 :: v_dual_and_b32 v0, 7, v12
	v_lshlrev_b32_e32 v14, 3, v12
	s_mul_i32 s9, s9, s15
	s_delay_alu instid0(VALU_DEP_3)
	v_lshrrev_b32_e32 v3, 3, v2
	v_and_b32_e32 v6, 31, v2
	v_lshlrev_b32_e32 v4, 3, v0
	v_lshrrev_b32_e32 v2, 5, v2
	s_mul_hi_u32 s24, s8, s15
	v_add_nc_u32_e32 v7, s13, v3
	v_lshlrev_b32_e32 v8, 3, v6
	v_lshl_or_b32 v9, v3, 6, v4
	v_dual_mov_b32 v3, v1 :: v_dual_add_nc_u32 v6, s12, v6
	s_mul_i32 s8, s8, s15
	s_add_i32 s9, s24, s9
	s_waitcnt lgkmcnt(0)
	v_mad_i64_i32 v[4:5], null, s22, v7, v[0:1]
	v_mad_i64_i32 v[0:1], null, s23, v6, v[2:3]
	s_lshl_b64 s[8:9], s[8:9], 3
	v_lshl_or_b32 v15, v2, 8, v8
	s_add_u32 s18, s18, s8
	s_mul_i32 s8, s17, s15
	s_delay_alu instid0(VALU_DEP_3)
	v_lshlrev_b64 v[2:3], 3, v[4:5]
	s_mul_hi_u32 s17, s16, s15
	s_addc_u32 s19, s19, s9
	s_add_i32 s9, s17, s8
	s_mul_i32 s8, s16, s15
	v_lshlrev_b64 v[6:7], 3, v[0:1]
	s_lshl_b64 s[8:9], s[8:9], 3
	v_mov_b32_e32 v0, 0
	v_add_co_u32 v4, vcc_lo, s18, v2
	v_mov_b32_e32 v1, 0
	s_add_u32 s6, s6, s8
	v_add_co_ci_u32_e32 v5, vcc_lo, s19, v3, vcc_lo
	s_addc_u32 s7, s7, s9
	s_delay_alu instid0(VALU_DEP_2)
	v_mov_b32_e32 v11, v1
	v_add_co_u32 v8, vcc_lo, s6, v6
	v_add_nc_u32_e32 v16, 0x800, v9
	v_add_co_ci_u32_e32 v9, vcc_lo, s7, v7, vcc_lo
	v_mov_b32_e32 v3, v1
	v_mov_b32_e32 v7, v1
	v_lshl_add_u32 v17, v13, 6, 0x800
	v_mov_b32_e32 v2, v0
	v_mov_b32_e32 v6, v0
	;; [unrolled: 1-line block ×3, first 2 shown]
.LBB109_2:                              ; =>This Inner Loop Header: Depth=1
	global_load_b64 v[18:19], v[8:9], off
	global_load_b64 v[20:21], v[4:5], off
	v_add_co_u32 v4, vcc_lo, v4, 64
	v_add_co_ci_u32_e32 v5, vcc_lo, 0, v5, vcc_lo
	v_add_co_u32 v8, vcc_lo, v8, 64
	v_add_co_ci_u32_e32 v9, vcc_lo, 0, v9, vcc_lo
	s_add_i32 s14, s14, 8
	s_waitcnt vmcnt(1)
	ds_store_b64 v15, v[18:19]
	s_waitcnt vmcnt(0)
	ds_store_b64 v16, v[20:21]
	s_waitcnt lgkmcnt(0)
	s_barrier
	buffer_gl0_inv
	ds_load_2addr_b64 v[18:21], v14 offset1:16
	ds_load_b128 v[22:25], v17
	ds_load_b128 v[26:29], v17 offset:1024
	ds_load_b128 v[30:33], v17 offset:16
	;; [unrolled: 1-line block ×3, first 2 shown]
	s_cmp_ge_i32 s14, s3
	s_waitcnt lgkmcnt(3)
	v_fma_f64 v[10:11], v[18:19], v[22:23], v[10:11]
	v_fma_f64 v[6:7], v[20:21], v[22:23], v[6:7]
	s_waitcnt lgkmcnt(2)
	v_fma_f64 v[18:19], v[18:19], v[26:27], v[2:3]
	v_fma_f64 v[20:21], v[20:21], v[26:27], v[0:1]
	ds_load_2addr_b64 v[0:3], v14 offset0:32 offset1:48
	s_waitcnt lgkmcnt(0)
	v_fma_f64 v[10:11], v[0:1], v[24:25], v[10:11]
	v_fma_f64 v[6:7], v[2:3], v[24:25], v[6:7]
	v_fma_f64 v[18:19], v[0:1], v[28:29], v[18:19]
	v_fma_f64 v[20:21], v[2:3], v[28:29], v[20:21]
	ds_load_2addr_b64 v[0:3], v14 offset0:64 offset1:80
	s_waitcnt lgkmcnt(0)
	v_fma_f64 v[10:11], v[0:1], v[30:31], v[10:11]
	v_fma_f64 v[6:7], v[2:3], v[30:31], v[6:7]
	v_fma_f64 v[18:19], v[0:1], v[34:35], v[18:19]
	v_fma_f64 v[20:21], v[2:3], v[34:35], v[20:21]
	ds_load_2addr_b64 v[0:3], v14 offset0:96 offset1:112
	s_waitcnt lgkmcnt(0)
	v_fma_f64 v[10:11], v[0:1], v[32:33], v[10:11]
	v_fma_f64 v[6:7], v[2:3], v[32:33], v[6:7]
	v_fma_f64 v[34:35], v[0:1], v[36:37], v[18:19]
	v_fma_f64 v[36:37], v[2:3], v[36:37], v[20:21]
	ds_load_2addr_b64 v[0:3], v14 offset0:128 offset1:144
	ds_load_b128 v[18:21], v17 offset:32
	ds_load_b128 v[22:25], v17 offset:1056
	;; [unrolled: 1-line block ×4, first 2 shown]
	s_waitcnt lgkmcnt(3)
	v_fma_f64 v[10:11], v[0:1], v[18:19], v[10:11]
	v_fma_f64 v[6:7], v[2:3], v[18:19], v[6:7]
	s_waitcnt lgkmcnt(2)
	v_fma_f64 v[18:19], v[0:1], v[22:23], v[34:35]
	v_fma_f64 v[22:23], v[2:3], v[22:23], v[36:37]
	ds_load_2addr_b64 v[0:3], v14 offset0:160 offset1:176
	s_waitcnt lgkmcnt(0)
	v_fma_f64 v[10:11], v[0:1], v[20:21], v[10:11]
	v_fma_f64 v[6:7], v[2:3], v[20:21], v[6:7]
	;; [unrolled: 1-line block ×4, first 2 shown]
	ds_load_2addr_b64 v[0:3], v14 offset0:192 offset1:208
	s_waitcnt lgkmcnt(0)
	v_fma_f64 v[10:11], v[0:1], v[26:27], v[10:11]
	v_fma_f64 v[6:7], v[2:3], v[26:27], v[6:7]
	;; [unrolled: 1-line block ×4, first 2 shown]
	ds_load_2addr_b64 v[18:21], v14 offset0:224 offset1:240
	s_waitcnt lgkmcnt(0)
	s_barrier
	buffer_gl0_inv
	v_fma_f64 v[10:11], v[18:19], v[28:29], v[10:11]
	v_fma_f64 v[6:7], v[20:21], v[28:29], v[6:7]
	;; [unrolled: 1-line block ×4, first 2 shown]
	s_cbranch_scc0 .LBB109_2
.LBB109_3:
	s_clause 0x1
	s_load_b32 s3, s[0:1], 0x50
	s_load_b64 s[6:7], s[0:1], 0x58
	v_add_nc_u32_e32 v13, s13, v13
	v_add_nc_u32_e32 v4, s12, v12
	s_delay_alu instid0(VALU_DEP_1)
	v_cmp_le_i32_e64 s0, v13, v4
	v_cmp_gt_i32_e32 vcc_lo, s2, v4
	s_waitcnt lgkmcnt(0)
	v_mad_i64_i32 v[8:9], null, v13, s3, 0
	s_mul_i32 s1, s15, s7
	s_mul_hi_u32 s7, s15, s6
	s_mul_i32 s6, s15, s6
	s_add_i32 s7, s7, s1
	s_delay_alu instid0(SALU_CYCLE_1) | instskip(NEXT) | instid1(VALU_DEP_1)
	s_lshl_b64 s[6:7], s[6:7], 3
	v_lshlrev_b64 v[8:9], 3, v[8:9]
	s_add_u32 s6, s20, s6
	s_addc_u32 s7, s21, s7
	s_and_b32 s0, s0, vcc_lo
	s_delay_alu instid0(VALU_DEP_1) | instskip(NEXT) | instid1(VALU_DEP_1)
	v_add_co_u32 v12, s1, s6, v8
	v_add_co_ci_u32_e64 v14, s1, s7, v9, s1
	s_and_saveexec_b32 s1, s0
	s_cbranch_execz .LBB109_5
; %bb.4:
	v_ashrrev_i32_e32 v5, 31, v4
	s_delay_alu instid0(VALU_DEP_1) | instskip(NEXT) | instid1(VALU_DEP_1)
	v_lshlrev_b64 v[8:9], 3, v[4:5]
	v_add_co_u32 v8, s0, v12, v8
	s_delay_alu instid0(VALU_DEP_1) | instskip(SKIP_3) | instid1(VALU_DEP_1)
	v_add_co_ci_u32_e64 v9, s0, v14, v9, s0
	global_load_b64 v[15:16], v[8:9], off
	s_waitcnt vmcnt(0)
	v_mul_f64 v[15:16], v[15:16], s[10:11]
	v_fma_f64 v[10:11], v[10:11], s[4:5], v[15:16]
	global_store_b64 v[8:9], v[10:11], off
.LBB109_5:
	s_or_b32 exec_lo, exec_lo, s1
	v_add_nc_u32_e32 v8, 16, v4
	s_delay_alu instid0(VALU_DEP_1) | instskip(SKIP_1) | instid1(VALU_DEP_1)
	v_cmp_le_i32_e64 s1, v13, v8
	v_cmp_gt_i32_e64 s0, s2, v8
	s_and_b32 s1, s1, s0
	s_delay_alu instid0(SALU_CYCLE_1)
	s_and_saveexec_b32 s2, s1
	s_cbranch_execz .LBB109_7
; %bb.6:
	v_ashrrev_i32_e32 v9, 31, v8
	s_delay_alu instid0(VALU_DEP_1) | instskip(NEXT) | instid1(VALU_DEP_1)
	v_lshlrev_b64 v[9:10], 3, v[8:9]
	v_add_co_u32 v9, s1, v12, v9
	s_delay_alu instid0(VALU_DEP_1) | instskip(SKIP_3) | instid1(VALU_DEP_1)
	v_add_co_ci_u32_e64 v10, s1, v14, v10, s1
	global_load_b64 v[11:12], v[9:10], off
	s_waitcnt vmcnt(0)
	v_mul_f64 v[11:12], v[11:12], s[10:11]
	v_fma_f64 v[5:6], v[6:7], s[4:5], v[11:12]
	global_store_b64 v[9:10], v[5:6], off
.LBB109_7:
	s_or_b32 exec_lo, exec_lo, s2
	v_add_nc_u32_e32 v9, 16, v13
	s_delay_alu instid0(VALU_DEP_1) | instskip(SKIP_1) | instid1(VALU_DEP_2)
	v_mad_i64_i32 v[5:6], null, v9, s3, 0
	v_cmp_le_i32_e64 s1, v9, v4
	v_lshlrev_b64 v[6:7], 3, v[5:6]
	s_delay_alu instid0(VALU_DEP_1) | instskip(NEXT) | instid1(VALU_DEP_1)
	v_add_co_u32 v6, s2, s6, v6
	v_add_co_ci_u32_e64 v7, s2, s7, v7, s2
	s_delay_alu instid0(VALU_DEP_4) | instskip(NEXT) | instid1(SALU_CYCLE_1)
	s_and_b32 s2, s1, vcc_lo
	s_and_saveexec_b32 s1, s2
	s_cbranch_execz .LBB109_9
; %bb.8:
	v_ashrrev_i32_e32 v5, 31, v4
	s_delay_alu instid0(VALU_DEP_1) | instskip(NEXT) | instid1(VALU_DEP_1)
	v_lshlrev_b64 v[4:5], 3, v[4:5]
	v_add_co_u32 v4, vcc_lo, v6, v4
	s_delay_alu instid0(VALU_DEP_2) | instskip(SKIP_3) | instid1(VALU_DEP_1)
	v_add_co_ci_u32_e32 v5, vcc_lo, v7, v5, vcc_lo
	global_load_b64 v[10:11], v[4:5], off
	s_waitcnt vmcnt(0)
	v_mul_f64 v[10:11], v[10:11], s[10:11]
	v_fma_f64 v[2:3], v[2:3], s[4:5], v[10:11]
	global_store_b64 v[4:5], v[2:3], off
.LBB109_9:
	s_or_b32 exec_lo, exec_lo, s1
	v_cmp_le_i32_e32 vcc_lo, v9, v8
	s_and_b32 s0, vcc_lo, s0
	s_delay_alu instid0(SALU_CYCLE_1)
	s_and_saveexec_b32 s1, s0
	s_cbranch_execz .LBB109_11
; %bb.10:
	v_ashrrev_i32_e32 v9, 31, v8
	s_delay_alu instid0(VALU_DEP_1) | instskip(NEXT) | instid1(VALU_DEP_1)
	v_lshlrev_b64 v[2:3], 3, v[8:9]
	v_add_co_u32 v2, vcc_lo, v6, v2
	s_delay_alu instid0(VALU_DEP_2) | instskip(SKIP_3) | instid1(VALU_DEP_1)
	v_add_co_ci_u32_e32 v3, vcc_lo, v7, v3, vcc_lo
	global_load_b64 v[4:5], v[2:3], off
	s_waitcnt vmcnt(0)
	v_mul_f64 v[4:5], v[4:5], s[10:11]
	v_fma_f64 v[0:1], v[0:1], s[4:5], v[4:5]
	global_store_b64 v[2:3], v[0:1], off
.LBB109_11:
	s_nop 0
	s_sendmsg sendmsg(MSG_DEALLOC_VGPRS)
	s_endpgm
	.section	.rodata,"a",@progbits
	.p2align	6, 0x0
	.amdhsa_kernel _ZL37rocblas_syrkx_herkx_restricted_kernelIidLi16ELi32ELi8ELb0ELb0ELc84ELc76EKddEviT_T0_PT8_S1_lS4_S1_lS2_PT9_S1_li
		.amdhsa_group_segment_fixed_size 4096
		.amdhsa_private_segment_fixed_size 0
		.amdhsa_kernarg_size 100
		.amdhsa_user_sgpr_count 13
		.amdhsa_user_sgpr_dispatch_ptr 0
		.amdhsa_user_sgpr_queue_ptr 0
		.amdhsa_user_sgpr_kernarg_segment_ptr 1
		.amdhsa_user_sgpr_dispatch_id 0
		.amdhsa_user_sgpr_private_segment_size 0
		.amdhsa_wavefront_size32 1
		.amdhsa_uses_dynamic_stack 0
		.amdhsa_enable_private_segment 0
		.amdhsa_system_sgpr_workgroup_id_x 1
		.amdhsa_system_sgpr_workgroup_id_y 1
		.amdhsa_system_sgpr_workgroup_id_z 1
		.amdhsa_system_sgpr_workgroup_info 0
		.amdhsa_system_vgpr_workitem_id 1
		.amdhsa_next_free_vgpr 38
		.amdhsa_next_free_sgpr 25
		.amdhsa_reserve_vcc 1
		.amdhsa_float_round_mode_32 0
		.amdhsa_float_round_mode_16_64 0
		.amdhsa_float_denorm_mode_32 3
		.amdhsa_float_denorm_mode_16_64 3
		.amdhsa_dx10_clamp 1
		.amdhsa_ieee_mode 1
		.amdhsa_fp16_overflow 0
		.amdhsa_workgroup_processor_mode 1
		.amdhsa_memory_ordered 1
		.amdhsa_forward_progress 0
		.amdhsa_shared_vgpr_count 0
		.amdhsa_exception_fp_ieee_invalid_op 0
		.amdhsa_exception_fp_denorm_src 0
		.amdhsa_exception_fp_ieee_div_zero 0
		.amdhsa_exception_fp_ieee_overflow 0
		.amdhsa_exception_fp_ieee_underflow 0
		.amdhsa_exception_fp_ieee_inexact 0
		.amdhsa_exception_int_div_zero 0
	.end_amdhsa_kernel
	.section	.text._ZL37rocblas_syrkx_herkx_restricted_kernelIidLi16ELi32ELi8ELb0ELb0ELc84ELc76EKddEviT_T0_PT8_S1_lS4_S1_lS2_PT9_S1_li,"axG",@progbits,_ZL37rocblas_syrkx_herkx_restricted_kernelIidLi16ELi32ELi8ELb0ELb0ELc84ELc76EKddEviT_T0_PT8_S1_lS4_S1_lS2_PT9_S1_li,comdat
.Lfunc_end109:
	.size	_ZL37rocblas_syrkx_herkx_restricted_kernelIidLi16ELi32ELi8ELb0ELb0ELc84ELc76EKddEviT_T0_PT8_S1_lS4_S1_lS2_PT9_S1_li, .Lfunc_end109-_ZL37rocblas_syrkx_herkx_restricted_kernelIidLi16ELi32ELi8ELb0ELb0ELc84ELc76EKddEviT_T0_PT8_S1_lS4_S1_lS2_PT9_S1_li
                                        ; -- End function
	.section	.AMDGPU.csdata,"",@progbits
; Kernel info:
; codeLenInByte = 1476
; NumSgprs: 27
; NumVgprs: 38
; ScratchSize: 0
; MemoryBound: 0
; FloatMode: 240
; IeeeMode: 1
; LDSByteSize: 4096 bytes/workgroup (compile time only)
; SGPRBlocks: 3
; VGPRBlocks: 4
; NumSGPRsForWavesPerEU: 27
; NumVGPRsForWavesPerEU: 38
; Occupancy: 16
; WaveLimiterHint : 0
; COMPUTE_PGM_RSRC2:SCRATCH_EN: 0
; COMPUTE_PGM_RSRC2:USER_SGPR: 13
; COMPUTE_PGM_RSRC2:TRAP_HANDLER: 0
; COMPUTE_PGM_RSRC2:TGID_X_EN: 1
; COMPUTE_PGM_RSRC2:TGID_Y_EN: 1
; COMPUTE_PGM_RSRC2:TGID_Z_EN: 1
; COMPUTE_PGM_RSRC2:TIDIG_COMP_CNT: 1
	.section	.text._ZL37rocblas_syrkx_herkx_restricted_kernelIidLi16ELi32ELi8ELb0ELb0ELc67ELc76EKddEviT_T0_PT8_S1_lS4_S1_lS2_PT9_S1_li,"axG",@progbits,_ZL37rocblas_syrkx_herkx_restricted_kernelIidLi16ELi32ELi8ELb0ELb0ELc67ELc76EKddEviT_T0_PT8_S1_lS4_S1_lS2_PT9_S1_li,comdat
	.globl	_ZL37rocblas_syrkx_herkx_restricted_kernelIidLi16ELi32ELi8ELb0ELb0ELc67ELc76EKddEviT_T0_PT8_S1_lS4_S1_lS2_PT9_S1_li ; -- Begin function _ZL37rocblas_syrkx_herkx_restricted_kernelIidLi16ELi32ELi8ELb0ELb0ELc67ELc76EKddEviT_T0_PT8_S1_lS4_S1_lS2_PT9_S1_li
	.p2align	8
	.type	_ZL37rocblas_syrkx_herkx_restricted_kernelIidLi16ELi32ELi8ELb0ELb0ELc67ELc76EKddEviT_T0_PT8_S1_lS4_S1_lS2_PT9_S1_li,@function
_ZL37rocblas_syrkx_herkx_restricted_kernelIidLi16ELi32ELi8ELb0ELb0ELc67ELc76EKddEviT_T0_PT8_S1_lS4_S1_lS2_PT9_S1_li: ; @_ZL37rocblas_syrkx_herkx_restricted_kernelIidLi16ELi32ELi8ELb0ELb0ELc67ELc76EKddEviT_T0_PT8_S1_lS4_S1_lS2_PT9_S1_li
; %bb.0:
	s_clause 0x3
	s_load_b64 s[2:3], s[0:1], 0x0
	s_load_b128 s[4:7], s[0:1], 0x8
	s_load_b128 s[8:11], s[0:1], 0x38
	s_load_b64 s[20:21], s[0:1], 0x48
	v_mov_b32_e32 v10, 0
	v_dual_mov_b32 v11, 0 :: v_dual_and_b32 v12, 0x3ff, v0
	v_bfe_u32 v13, v0, 10, 10
	s_delay_alu instid0(VALU_DEP_3) | instskip(NEXT) | instid1(VALU_DEP_3)
	v_mov_b32_e32 v6, v10
	v_dual_mov_b32 v2, v10 :: v_dual_mov_b32 v3, v11
	v_dual_mov_b32 v7, v11 :: v_dual_mov_b32 v0, v10
	v_mov_b32_e32 v1, v11
	s_lshl_b32 s12, s13, 5
	s_lshl_b32 s13, s14, 5
	s_mov_b32 s14, 0
	s_waitcnt lgkmcnt(0)
	s_cmp_lt_i32 s3, 1
	s_cbranch_scc1 .LBB110_3
; %bb.1:
	s_clause 0x2
	s_load_b32 s22, s[0:1], 0x30
	s_load_b32 s23, s[0:1], 0x18
	s_load_b128 s[16:19], s[0:1], 0x20
	v_lshl_add_u32 v2, v13, 4, v12
	v_dual_mov_b32 v1, 0 :: v_dual_and_b32 v0, 7, v12
	v_lshlrev_b32_e32 v14, 3, v12
	s_mul_i32 s9, s9, s15
	s_delay_alu instid0(VALU_DEP_3)
	v_lshrrev_b32_e32 v3, 3, v2
	v_and_b32_e32 v6, 31, v2
	v_lshlrev_b32_e32 v4, 3, v0
	v_lshrrev_b32_e32 v2, 5, v2
	s_mul_hi_u32 s24, s8, s15
	v_add_nc_u32_e32 v7, s13, v3
	v_lshlrev_b32_e32 v8, 3, v6
	v_lshl_or_b32 v9, v3, 6, v4
	v_dual_mov_b32 v3, v1 :: v_dual_add_nc_u32 v6, s12, v6
	s_mul_i32 s8, s8, s15
	s_add_i32 s9, s24, s9
	s_waitcnt lgkmcnt(0)
	v_mad_i64_i32 v[4:5], null, s22, v7, v[0:1]
	v_mad_i64_i32 v[0:1], null, s23, v6, v[2:3]
	s_lshl_b64 s[8:9], s[8:9], 3
	v_lshl_or_b32 v15, v2, 8, v8
	s_add_u32 s18, s18, s8
	s_mul_i32 s8, s17, s15
	s_delay_alu instid0(VALU_DEP_3)
	v_lshlrev_b64 v[2:3], 3, v[4:5]
	s_mul_hi_u32 s17, s16, s15
	s_addc_u32 s19, s19, s9
	s_add_i32 s9, s17, s8
	s_mul_i32 s8, s16, s15
	v_lshlrev_b64 v[6:7], 3, v[0:1]
	s_lshl_b64 s[8:9], s[8:9], 3
	v_mov_b32_e32 v0, 0
	v_add_co_u32 v4, vcc_lo, s18, v2
	v_mov_b32_e32 v1, 0
	s_add_u32 s6, s6, s8
	v_add_co_ci_u32_e32 v5, vcc_lo, s19, v3, vcc_lo
	s_addc_u32 s7, s7, s9
	s_delay_alu instid0(VALU_DEP_2)
	v_mov_b32_e32 v11, v1
	v_add_co_u32 v8, vcc_lo, s6, v6
	v_add_nc_u32_e32 v16, 0x800, v9
	v_add_co_ci_u32_e32 v9, vcc_lo, s7, v7, vcc_lo
	v_mov_b32_e32 v3, v1
	v_mov_b32_e32 v7, v1
	v_lshl_add_u32 v17, v13, 6, 0x800
	v_mov_b32_e32 v2, v0
	v_mov_b32_e32 v6, v0
	;; [unrolled: 1-line block ×3, first 2 shown]
.LBB110_2:                              ; =>This Inner Loop Header: Depth=1
	global_load_b64 v[18:19], v[8:9], off
	global_load_b64 v[20:21], v[4:5], off
	v_add_co_u32 v4, vcc_lo, v4, 64
	v_add_co_ci_u32_e32 v5, vcc_lo, 0, v5, vcc_lo
	v_add_co_u32 v8, vcc_lo, v8, 64
	v_add_co_ci_u32_e32 v9, vcc_lo, 0, v9, vcc_lo
	s_add_i32 s14, s14, 8
	s_waitcnt vmcnt(1)
	ds_store_b64 v15, v[18:19]
	s_waitcnt vmcnt(0)
	ds_store_b64 v16, v[20:21]
	s_waitcnt lgkmcnt(0)
	s_barrier
	buffer_gl0_inv
	ds_load_2addr_b64 v[18:21], v14 offset1:16
	ds_load_b128 v[22:25], v17
	ds_load_b128 v[26:29], v17 offset:1024
	ds_load_b128 v[30:33], v17 offset:16
	;; [unrolled: 1-line block ×3, first 2 shown]
	s_cmp_ge_i32 s14, s3
	s_waitcnt lgkmcnt(3)
	v_fma_f64 v[10:11], v[18:19], v[22:23], v[10:11]
	v_fma_f64 v[6:7], v[20:21], v[22:23], v[6:7]
	s_waitcnt lgkmcnt(2)
	v_fma_f64 v[18:19], v[18:19], v[26:27], v[2:3]
	v_fma_f64 v[20:21], v[20:21], v[26:27], v[0:1]
	ds_load_2addr_b64 v[0:3], v14 offset0:32 offset1:48
	s_waitcnt lgkmcnt(0)
	v_fma_f64 v[10:11], v[0:1], v[24:25], v[10:11]
	v_fma_f64 v[6:7], v[2:3], v[24:25], v[6:7]
	v_fma_f64 v[18:19], v[0:1], v[28:29], v[18:19]
	v_fma_f64 v[20:21], v[2:3], v[28:29], v[20:21]
	ds_load_2addr_b64 v[0:3], v14 offset0:64 offset1:80
	s_waitcnt lgkmcnt(0)
	v_fma_f64 v[10:11], v[0:1], v[30:31], v[10:11]
	v_fma_f64 v[6:7], v[2:3], v[30:31], v[6:7]
	;; [unrolled: 6-line block ×3, first 2 shown]
	v_fma_f64 v[34:35], v[0:1], v[36:37], v[18:19]
	v_fma_f64 v[36:37], v[2:3], v[36:37], v[20:21]
	ds_load_2addr_b64 v[0:3], v14 offset0:128 offset1:144
	ds_load_b128 v[18:21], v17 offset:32
	ds_load_b128 v[22:25], v17 offset:1056
	;; [unrolled: 1-line block ×4, first 2 shown]
	s_waitcnt lgkmcnt(3)
	v_fma_f64 v[10:11], v[0:1], v[18:19], v[10:11]
	v_fma_f64 v[6:7], v[2:3], v[18:19], v[6:7]
	s_waitcnt lgkmcnt(2)
	v_fma_f64 v[18:19], v[0:1], v[22:23], v[34:35]
	v_fma_f64 v[22:23], v[2:3], v[22:23], v[36:37]
	ds_load_2addr_b64 v[0:3], v14 offset0:160 offset1:176
	s_waitcnt lgkmcnt(0)
	v_fma_f64 v[10:11], v[0:1], v[20:21], v[10:11]
	v_fma_f64 v[6:7], v[2:3], v[20:21], v[6:7]
	;; [unrolled: 1-line block ×4, first 2 shown]
	ds_load_2addr_b64 v[0:3], v14 offset0:192 offset1:208
	s_waitcnt lgkmcnt(0)
	v_fma_f64 v[10:11], v[0:1], v[26:27], v[10:11]
	v_fma_f64 v[6:7], v[2:3], v[26:27], v[6:7]
	;; [unrolled: 1-line block ×4, first 2 shown]
	ds_load_2addr_b64 v[18:21], v14 offset0:224 offset1:240
	s_waitcnt lgkmcnt(0)
	s_barrier
	buffer_gl0_inv
	v_fma_f64 v[10:11], v[18:19], v[28:29], v[10:11]
	v_fma_f64 v[6:7], v[20:21], v[28:29], v[6:7]
	;; [unrolled: 1-line block ×4, first 2 shown]
	s_cbranch_scc0 .LBB110_2
.LBB110_3:
	s_clause 0x1
	s_load_b32 s3, s[0:1], 0x50
	s_load_b64 s[6:7], s[0:1], 0x58
	v_add_nc_u32_e32 v13, s13, v13
	v_add_nc_u32_e32 v4, s12, v12
	s_delay_alu instid0(VALU_DEP_1)
	v_cmp_le_i32_e64 s0, v13, v4
	v_cmp_gt_i32_e32 vcc_lo, s2, v4
	s_waitcnt lgkmcnt(0)
	v_mad_i64_i32 v[8:9], null, v13, s3, 0
	s_mul_i32 s1, s15, s7
	s_mul_hi_u32 s7, s15, s6
	s_mul_i32 s6, s15, s6
	s_add_i32 s7, s7, s1
	s_delay_alu instid0(SALU_CYCLE_1) | instskip(NEXT) | instid1(VALU_DEP_1)
	s_lshl_b64 s[6:7], s[6:7], 3
	v_lshlrev_b64 v[8:9], 3, v[8:9]
	s_add_u32 s6, s20, s6
	s_addc_u32 s7, s21, s7
	s_and_b32 s0, s0, vcc_lo
	s_delay_alu instid0(VALU_DEP_1) | instskip(NEXT) | instid1(VALU_DEP_1)
	v_add_co_u32 v12, s1, s6, v8
	v_add_co_ci_u32_e64 v14, s1, s7, v9, s1
	s_and_saveexec_b32 s1, s0
	s_cbranch_execz .LBB110_5
; %bb.4:
	v_ashrrev_i32_e32 v5, 31, v4
	s_delay_alu instid0(VALU_DEP_1) | instskip(NEXT) | instid1(VALU_DEP_1)
	v_lshlrev_b64 v[8:9], 3, v[4:5]
	v_add_co_u32 v8, s0, v12, v8
	s_delay_alu instid0(VALU_DEP_1) | instskip(SKIP_3) | instid1(VALU_DEP_1)
	v_add_co_ci_u32_e64 v9, s0, v14, v9, s0
	global_load_b64 v[15:16], v[8:9], off
	s_waitcnt vmcnt(0)
	v_mul_f64 v[15:16], v[15:16], s[10:11]
	v_fma_f64 v[10:11], v[10:11], s[4:5], v[15:16]
	global_store_b64 v[8:9], v[10:11], off
.LBB110_5:
	s_or_b32 exec_lo, exec_lo, s1
	v_add_nc_u32_e32 v8, 16, v4
	s_delay_alu instid0(VALU_DEP_1) | instskip(SKIP_1) | instid1(VALU_DEP_1)
	v_cmp_le_i32_e64 s1, v13, v8
	v_cmp_gt_i32_e64 s0, s2, v8
	s_and_b32 s1, s1, s0
	s_delay_alu instid0(SALU_CYCLE_1)
	s_and_saveexec_b32 s2, s1
	s_cbranch_execz .LBB110_7
; %bb.6:
	v_ashrrev_i32_e32 v9, 31, v8
	s_delay_alu instid0(VALU_DEP_1) | instskip(NEXT) | instid1(VALU_DEP_1)
	v_lshlrev_b64 v[9:10], 3, v[8:9]
	v_add_co_u32 v9, s1, v12, v9
	s_delay_alu instid0(VALU_DEP_1) | instskip(SKIP_3) | instid1(VALU_DEP_1)
	v_add_co_ci_u32_e64 v10, s1, v14, v10, s1
	global_load_b64 v[11:12], v[9:10], off
	s_waitcnt vmcnt(0)
	v_mul_f64 v[11:12], v[11:12], s[10:11]
	v_fma_f64 v[5:6], v[6:7], s[4:5], v[11:12]
	global_store_b64 v[9:10], v[5:6], off
.LBB110_7:
	s_or_b32 exec_lo, exec_lo, s2
	v_add_nc_u32_e32 v9, 16, v13
	s_delay_alu instid0(VALU_DEP_1) | instskip(SKIP_1) | instid1(VALU_DEP_2)
	v_mad_i64_i32 v[5:6], null, v9, s3, 0
	v_cmp_le_i32_e64 s1, v9, v4
	v_lshlrev_b64 v[6:7], 3, v[5:6]
	s_delay_alu instid0(VALU_DEP_1) | instskip(NEXT) | instid1(VALU_DEP_1)
	v_add_co_u32 v6, s2, s6, v6
	v_add_co_ci_u32_e64 v7, s2, s7, v7, s2
	s_delay_alu instid0(VALU_DEP_4) | instskip(NEXT) | instid1(SALU_CYCLE_1)
	s_and_b32 s2, s1, vcc_lo
	s_and_saveexec_b32 s1, s2
	s_cbranch_execz .LBB110_9
; %bb.8:
	v_ashrrev_i32_e32 v5, 31, v4
	s_delay_alu instid0(VALU_DEP_1) | instskip(NEXT) | instid1(VALU_DEP_1)
	v_lshlrev_b64 v[4:5], 3, v[4:5]
	v_add_co_u32 v4, vcc_lo, v6, v4
	s_delay_alu instid0(VALU_DEP_2) | instskip(SKIP_3) | instid1(VALU_DEP_1)
	v_add_co_ci_u32_e32 v5, vcc_lo, v7, v5, vcc_lo
	global_load_b64 v[10:11], v[4:5], off
	s_waitcnt vmcnt(0)
	v_mul_f64 v[10:11], v[10:11], s[10:11]
	v_fma_f64 v[2:3], v[2:3], s[4:5], v[10:11]
	global_store_b64 v[4:5], v[2:3], off
.LBB110_9:
	s_or_b32 exec_lo, exec_lo, s1
	v_cmp_le_i32_e32 vcc_lo, v9, v8
	s_and_b32 s0, vcc_lo, s0
	s_delay_alu instid0(SALU_CYCLE_1)
	s_and_saveexec_b32 s1, s0
	s_cbranch_execz .LBB110_11
; %bb.10:
	v_ashrrev_i32_e32 v9, 31, v8
	s_delay_alu instid0(VALU_DEP_1) | instskip(NEXT) | instid1(VALU_DEP_1)
	v_lshlrev_b64 v[2:3], 3, v[8:9]
	v_add_co_u32 v2, vcc_lo, v6, v2
	s_delay_alu instid0(VALU_DEP_2) | instskip(SKIP_3) | instid1(VALU_DEP_1)
	v_add_co_ci_u32_e32 v3, vcc_lo, v7, v3, vcc_lo
	global_load_b64 v[4:5], v[2:3], off
	s_waitcnt vmcnt(0)
	v_mul_f64 v[4:5], v[4:5], s[10:11]
	v_fma_f64 v[0:1], v[0:1], s[4:5], v[4:5]
	global_store_b64 v[2:3], v[0:1], off
.LBB110_11:
	s_nop 0
	s_sendmsg sendmsg(MSG_DEALLOC_VGPRS)
	s_endpgm
	.section	.rodata,"a",@progbits
	.p2align	6, 0x0
	.amdhsa_kernel _ZL37rocblas_syrkx_herkx_restricted_kernelIidLi16ELi32ELi8ELb0ELb0ELc67ELc76EKddEviT_T0_PT8_S1_lS4_S1_lS2_PT9_S1_li
		.amdhsa_group_segment_fixed_size 4096
		.amdhsa_private_segment_fixed_size 0
		.amdhsa_kernarg_size 100
		.amdhsa_user_sgpr_count 13
		.amdhsa_user_sgpr_dispatch_ptr 0
		.amdhsa_user_sgpr_queue_ptr 0
		.amdhsa_user_sgpr_kernarg_segment_ptr 1
		.amdhsa_user_sgpr_dispatch_id 0
		.amdhsa_user_sgpr_private_segment_size 0
		.amdhsa_wavefront_size32 1
		.amdhsa_uses_dynamic_stack 0
		.amdhsa_enable_private_segment 0
		.amdhsa_system_sgpr_workgroup_id_x 1
		.amdhsa_system_sgpr_workgroup_id_y 1
		.amdhsa_system_sgpr_workgroup_id_z 1
		.amdhsa_system_sgpr_workgroup_info 0
		.amdhsa_system_vgpr_workitem_id 1
		.amdhsa_next_free_vgpr 38
		.amdhsa_next_free_sgpr 25
		.amdhsa_reserve_vcc 1
		.amdhsa_float_round_mode_32 0
		.amdhsa_float_round_mode_16_64 0
		.amdhsa_float_denorm_mode_32 3
		.amdhsa_float_denorm_mode_16_64 3
		.amdhsa_dx10_clamp 1
		.amdhsa_ieee_mode 1
		.amdhsa_fp16_overflow 0
		.amdhsa_workgroup_processor_mode 1
		.amdhsa_memory_ordered 1
		.amdhsa_forward_progress 0
		.amdhsa_shared_vgpr_count 0
		.amdhsa_exception_fp_ieee_invalid_op 0
		.amdhsa_exception_fp_denorm_src 0
		.amdhsa_exception_fp_ieee_div_zero 0
		.amdhsa_exception_fp_ieee_overflow 0
		.amdhsa_exception_fp_ieee_underflow 0
		.amdhsa_exception_fp_ieee_inexact 0
		.amdhsa_exception_int_div_zero 0
	.end_amdhsa_kernel
	.section	.text._ZL37rocblas_syrkx_herkx_restricted_kernelIidLi16ELi32ELi8ELb0ELb0ELc67ELc76EKddEviT_T0_PT8_S1_lS4_S1_lS2_PT9_S1_li,"axG",@progbits,_ZL37rocblas_syrkx_herkx_restricted_kernelIidLi16ELi32ELi8ELb0ELb0ELc67ELc76EKddEviT_T0_PT8_S1_lS4_S1_lS2_PT9_S1_li,comdat
.Lfunc_end110:
	.size	_ZL37rocblas_syrkx_herkx_restricted_kernelIidLi16ELi32ELi8ELb0ELb0ELc67ELc76EKddEviT_T0_PT8_S1_lS4_S1_lS2_PT9_S1_li, .Lfunc_end110-_ZL37rocblas_syrkx_herkx_restricted_kernelIidLi16ELi32ELi8ELb0ELb0ELc67ELc76EKddEviT_T0_PT8_S1_lS4_S1_lS2_PT9_S1_li
                                        ; -- End function
	.section	.AMDGPU.csdata,"",@progbits
; Kernel info:
; codeLenInByte = 1476
; NumSgprs: 27
; NumVgprs: 38
; ScratchSize: 0
; MemoryBound: 0
; FloatMode: 240
; IeeeMode: 1
; LDSByteSize: 4096 bytes/workgroup (compile time only)
; SGPRBlocks: 3
; VGPRBlocks: 4
; NumSGPRsForWavesPerEU: 27
; NumVGPRsForWavesPerEU: 38
; Occupancy: 16
; WaveLimiterHint : 0
; COMPUTE_PGM_RSRC2:SCRATCH_EN: 0
; COMPUTE_PGM_RSRC2:USER_SGPR: 13
; COMPUTE_PGM_RSRC2:TRAP_HANDLER: 0
; COMPUTE_PGM_RSRC2:TGID_X_EN: 1
; COMPUTE_PGM_RSRC2:TGID_Y_EN: 1
; COMPUTE_PGM_RSRC2:TGID_Z_EN: 1
; COMPUTE_PGM_RSRC2:TIDIG_COMP_CNT: 1
	.section	.text._ZL37rocblas_syrkx_herkx_restricted_kernelIidLi16ELi32ELi8ELb0ELb0ELc78ELc76EKddEviT_T0_PT8_S1_lS4_S1_lS2_PT9_S1_li,"axG",@progbits,_ZL37rocblas_syrkx_herkx_restricted_kernelIidLi16ELi32ELi8ELb0ELb0ELc78ELc76EKddEviT_T0_PT8_S1_lS4_S1_lS2_PT9_S1_li,comdat
	.globl	_ZL37rocblas_syrkx_herkx_restricted_kernelIidLi16ELi32ELi8ELb0ELb0ELc78ELc76EKddEviT_T0_PT8_S1_lS4_S1_lS2_PT9_S1_li ; -- Begin function _ZL37rocblas_syrkx_herkx_restricted_kernelIidLi16ELi32ELi8ELb0ELb0ELc78ELc76EKddEviT_T0_PT8_S1_lS4_S1_lS2_PT9_S1_li
	.p2align	8
	.type	_ZL37rocblas_syrkx_herkx_restricted_kernelIidLi16ELi32ELi8ELb0ELb0ELc78ELc76EKddEviT_T0_PT8_S1_lS4_S1_lS2_PT9_S1_li,@function
_ZL37rocblas_syrkx_herkx_restricted_kernelIidLi16ELi32ELi8ELb0ELb0ELc78ELc76EKddEviT_T0_PT8_S1_lS4_S1_lS2_PT9_S1_li: ; @_ZL37rocblas_syrkx_herkx_restricted_kernelIidLi16ELi32ELi8ELb0ELb0ELc78ELc76EKddEviT_T0_PT8_S1_lS4_S1_lS2_PT9_S1_li
; %bb.0:
	s_clause 0x3
	s_load_b64 s[2:3], s[0:1], 0x0
	s_load_b128 s[4:7], s[0:1], 0x8
	s_load_b128 s[8:11], s[0:1], 0x38
	s_load_b64 s[20:21], s[0:1], 0x48
	v_mov_b32_e32 v10, 0
	v_dual_mov_b32 v11, 0 :: v_dual_and_b32 v12, 0x3ff, v0
	v_bfe_u32 v13, v0, 10, 10
	s_delay_alu instid0(VALU_DEP_3) | instskip(NEXT) | instid1(VALU_DEP_3)
	v_mov_b32_e32 v6, v10
	v_dual_mov_b32 v2, v10 :: v_dual_mov_b32 v3, v11
	v_dual_mov_b32 v7, v11 :: v_dual_mov_b32 v0, v10
	v_mov_b32_e32 v1, v11
	s_lshl_b32 s12, s13, 5
	s_lshl_b32 s13, s14, 5
	s_mov_b32 s14, 0
	s_waitcnt lgkmcnt(0)
	s_cmp_lt_i32 s3, 1
	s_cbranch_scc1 .LBB111_3
; %bb.1:
	s_load_b32 s22, s[0:1], 0x30
	v_lshl_add_u32 v2, v13, 4, v12
	v_and_b32_e32 v4, 7, v12
	s_clause 0x1
	s_load_b32 s24, s[0:1], 0x18
	s_load_b128 s[16:19], s[0:1], 0x20
	s_mul_i32 s9, s9, s15
	s_mul_hi_u32 s23, s8, s15
	v_lshrrev_b32_e32 v3, 3, v2
	v_and_b32_e32 v5, 31, v2
	v_lshlrev_b32_e32 v6, 3, v4
	v_lshrrev_b32_e32 v8, 5, v2
	s_mul_i32 s8, s8, s15
	v_add_nc_u32_e32 v0, s13, v3
	v_lshlrev_b32_e32 v7, 3, v5
	v_lshl_or_b32 v6, v3, 6, v6
	s_add_i32 s9, s23, s9
	v_lshl_add_u32 v15, v13, 6, 0x800
	v_ashrrev_i32_e32 v1, 31, v0
	v_lshl_or_b32 v16, v8, 8, v7
	v_add_nc_u32_e32 v17, 0x800, v6
	s_lshl_b64 s[8:9], s[8:9], 3
	s_waitcnt lgkmcnt(0)
	s_ashr_i32 s23, s22, 31
	v_mad_i64_i32 v[2:3], null, s22, v4, v[0:1]
	v_add_nc_u32_e32 v0, s12, v5
	s_ashr_i32 s25, s24, 31
	s_add_u32 s18, s18, s8
	s_addc_u32 s19, s19, s9
	s_mul_i32 s8, s17, s15
	v_ashrrev_i32_e32 v1, 31, v0
	s_delay_alu instid0(VALU_DEP_3) | instskip(SKIP_1) | instid1(SALU_CYCLE_1)
	v_lshlrev_b64 v[2:3], 3, v[2:3]
	s_mul_hi_u32 s9, s16, s15
	s_add_i32 s9, s9, s8
	s_delay_alu instid0(VALU_DEP_2) | instskip(NEXT) | instid1(VALU_DEP_2)
	v_mad_i64_i32 v[6:7], null, s24, v8, v[0:1]
	v_add_co_u32 v4, vcc_lo, s18, v2
	s_mul_i32 s8, s16, s15
	v_add_co_ci_u32_e32 v5, vcc_lo, s19, v3, vcc_lo
	s_lshl_b64 s[16:17], s[8:9], 3
	s_delay_alu instid0(VALU_DEP_3)
	v_lshlrev_b64 v[2:3], 3, v[6:7]
	v_mov_b32_e32 v0, 0
	s_lshl_b64 s[8:9], s[22:23], 6
	v_mov_b32_e32 v1, 0
	s_add_u32 s6, s6, s16
	s_addc_u32 s7, s7, s17
	v_add_co_u32 v8, vcc_lo, s6, v2
	v_lshlrev_b32_e32 v14, 3, v12
	v_add_co_ci_u32_e32 v9, vcc_lo, s7, v3, vcc_lo
	v_mov_b32_e32 v3, v1
	v_mov_b32_e32 v7, v1
	v_dual_mov_b32 v11, v1 :: v_dual_mov_b32 v10, v0
	v_mov_b32_e32 v2, v0
	v_mov_b32_e32 v6, v0
	s_lshl_b64 s[6:7], s[24:25], 6
.LBB111_2:                              ; =>This Inner Loop Header: Depth=1
	global_load_b64 v[18:19], v[8:9], off
	global_load_b64 v[20:21], v[4:5], off
	v_add_co_u32 v4, vcc_lo, v4, s8
	v_add_co_ci_u32_e32 v5, vcc_lo, s9, v5, vcc_lo
	v_add_co_u32 v8, vcc_lo, v8, s6
	v_add_co_ci_u32_e32 v9, vcc_lo, s7, v9, vcc_lo
	s_add_i32 s14, s14, 8
	s_waitcnt vmcnt(1)
	ds_store_b64 v16, v[18:19]
	s_waitcnt vmcnt(0)
	ds_store_b64 v17, v[20:21]
	s_waitcnt lgkmcnt(0)
	s_barrier
	buffer_gl0_inv
	ds_load_2addr_b64 v[18:21], v14 offset1:16
	ds_load_b128 v[22:25], v15
	ds_load_b128 v[26:29], v15 offset:1024
	ds_load_b128 v[30:33], v15 offset:16
	;; [unrolled: 1-line block ×3, first 2 shown]
	s_cmp_ge_i32 s14, s3
	s_waitcnt lgkmcnt(3)
	v_fma_f64 v[10:11], v[18:19], v[22:23], v[10:11]
	v_fma_f64 v[6:7], v[20:21], v[22:23], v[6:7]
	s_waitcnt lgkmcnt(2)
	v_fma_f64 v[18:19], v[18:19], v[26:27], v[2:3]
	v_fma_f64 v[20:21], v[20:21], v[26:27], v[0:1]
	ds_load_2addr_b64 v[0:3], v14 offset0:32 offset1:48
	s_waitcnt lgkmcnt(0)
	v_fma_f64 v[10:11], v[0:1], v[24:25], v[10:11]
	v_fma_f64 v[6:7], v[2:3], v[24:25], v[6:7]
	v_fma_f64 v[18:19], v[0:1], v[28:29], v[18:19]
	v_fma_f64 v[20:21], v[2:3], v[28:29], v[20:21]
	ds_load_2addr_b64 v[0:3], v14 offset0:64 offset1:80
	s_waitcnt lgkmcnt(0)
	v_fma_f64 v[10:11], v[0:1], v[30:31], v[10:11]
	v_fma_f64 v[6:7], v[2:3], v[30:31], v[6:7]
	;; [unrolled: 6-line block ×3, first 2 shown]
	v_fma_f64 v[34:35], v[0:1], v[36:37], v[18:19]
	v_fma_f64 v[36:37], v[2:3], v[36:37], v[20:21]
	ds_load_2addr_b64 v[0:3], v14 offset0:128 offset1:144
	ds_load_b128 v[18:21], v15 offset:32
	ds_load_b128 v[22:25], v15 offset:1056
	;; [unrolled: 1-line block ×4, first 2 shown]
	s_waitcnt lgkmcnt(3)
	v_fma_f64 v[10:11], v[0:1], v[18:19], v[10:11]
	v_fma_f64 v[6:7], v[2:3], v[18:19], v[6:7]
	s_waitcnt lgkmcnt(2)
	v_fma_f64 v[18:19], v[0:1], v[22:23], v[34:35]
	v_fma_f64 v[22:23], v[2:3], v[22:23], v[36:37]
	ds_load_2addr_b64 v[0:3], v14 offset0:160 offset1:176
	s_waitcnt lgkmcnt(0)
	v_fma_f64 v[10:11], v[0:1], v[20:21], v[10:11]
	v_fma_f64 v[6:7], v[2:3], v[20:21], v[6:7]
	;; [unrolled: 1-line block ×4, first 2 shown]
	ds_load_2addr_b64 v[0:3], v14 offset0:192 offset1:208
	s_waitcnt lgkmcnt(0)
	v_fma_f64 v[10:11], v[0:1], v[26:27], v[10:11]
	v_fma_f64 v[6:7], v[2:3], v[26:27], v[6:7]
	;; [unrolled: 1-line block ×4, first 2 shown]
	ds_load_2addr_b64 v[18:21], v14 offset0:224 offset1:240
	s_waitcnt lgkmcnt(0)
	s_barrier
	buffer_gl0_inv
	v_fma_f64 v[10:11], v[18:19], v[28:29], v[10:11]
	v_fma_f64 v[6:7], v[20:21], v[28:29], v[6:7]
	;; [unrolled: 1-line block ×4, first 2 shown]
	s_cbranch_scc0 .LBB111_2
.LBB111_3:
	s_clause 0x1
	s_load_b32 s3, s[0:1], 0x50
	s_load_b64 s[6:7], s[0:1], 0x58
	v_add_nc_u32_e32 v13, s13, v13
	v_add_nc_u32_e32 v4, s12, v12
	s_delay_alu instid0(VALU_DEP_1)
	v_cmp_le_i32_e64 s0, v13, v4
	v_cmp_gt_i32_e32 vcc_lo, s2, v4
	s_waitcnt lgkmcnt(0)
	v_mad_i64_i32 v[8:9], null, v13, s3, 0
	s_mul_i32 s1, s15, s7
	s_mul_hi_u32 s7, s15, s6
	s_mul_i32 s6, s15, s6
	s_add_i32 s7, s7, s1
	s_delay_alu instid0(SALU_CYCLE_1) | instskip(NEXT) | instid1(VALU_DEP_1)
	s_lshl_b64 s[6:7], s[6:7], 3
	v_lshlrev_b64 v[8:9], 3, v[8:9]
	s_add_u32 s6, s20, s6
	s_addc_u32 s7, s21, s7
	s_and_b32 s0, s0, vcc_lo
	s_delay_alu instid0(VALU_DEP_1) | instskip(NEXT) | instid1(VALU_DEP_1)
	v_add_co_u32 v12, s1, s6, v8
	v_add_co_ci_u32_e64 v14, s1, s7, v9, s1
	s_and_saveexec_b32 s1, s0
	s_cbranch_execz .LBB111_5
; %bb.4:
	v_ashrrev_i32_e32 v5, 31, v4
	s_delay_alu instid0(VALU_DEP_1) | instskip(NEXT) | instid1(VALU_DEP_1)
	v_lshlrev_b64 v[8:9], 3, v[4:5]
	v_add_co_u32 v8, s0, v12, v8
	s_delay_alu instid0(VALU_DEP_1) | instskip(SKIP_3) | instid1(VALU_DEP_1)
	v_add_co_ci_u32_e64 v9, s0, v14, v9, s0
	global_load_b64 v[15:16], v[8:9], off
	s_waitcnt vmcnt(0)
	v_mul_f64 v[15:16], v[15:16], s[10:11]
	v_fma_f64 v[10:11], v[10:11], s[4:5], v[15:16]
	global_store_b64 v[8:9], v[10:11], off
.LBB111_5:
	s_or_b32 exec_lo, exec_lo, s1
	v_add_nc_u32_e32 v8, 16, v4
	s_delay_alu instid0(VALU_DEP_1) | instskip(SKIP_1) | instid1(VALU_DEP_1)
	v_cmp_le_i32_e64 s1, v13, v8
	v_cmp_gt_i32_e64 s0, s2, v8
	s_and_b32 s1, s1, s0
	s_delay_alu instid0(SALU_CYCLE_1)
	s_and_saveexec_b32 s2, s1
	s_cbranch_execz .LBB111_7
; %bb.6:
	v_ashrrev_i32_e32 v9, 31, v8
	s_delay_alu instid0(VALU_DEP_1) | instskip(NEXT) | instid1(VALU_DEP_1)
	v_lshlrev_b64 v[9:10], 3, v[8:9]
	v_add_co_u32 v9, s1, v12, v9
	s_delay_alu instid0(VALU_DEP_1) | instskip(SKIP_3) | instid1(VALU_DEP_1)
	v_add_co_ci_u32_e64 v10, s1, v14, v10, s1
	global_load_b64 v[11:12], v[9:10], off
	s_waitcnt vmcnt(0)
	v_mul_f64 v[11:12], v[11:12], s[10:11]
	v_fma_f64 v[5:6], v[6:7], s[4:5], v[11:12]
	global_store_b64 v[9:10], v[5:6], off
.LBB111_7:
	s_or_b32 exec_lo, exec_lo, s2
	v_add_nc_u32_e32 v9, 16, v13
	s_delay_alu instid0(VALU_DEP_1) | instskip(SKIP_1) | instid1(VALU_DEP_2)
	v_mad_i64_i32 v[5:6], null, v9, s3, 0
	v_cmp_le_i32_e64 s1, v9, v4
	v_lshlrev_b64 v[6:7], 3, v[5:6]
	s_delay_alu instid0(VALU_DEP_1) | instskip(NEXT) | instid1(VALU_DEP_1)
	v_add_co_u32 v6, s2, s6, v6
	v_add_co_ci_u32_e64 v7, s2, s7, v7, s2
	s_delay_alu instid0(VALU_DEP_4) | instskip(NEXT) | instid1(SALU_CYCLE_1)
	s_and_b32 s2, s1, vcc_lo
	s_and_saveexec_b32 s1, s2
	s_cbranch_execz .LBB111_9
; %bb.8:
	v_ashrrev_i32_e32 v5, 31, v4
	s_delay_alu instid0(VALU_DEP_1) | instskip(NEXT) | instid1(VALU_DEP_1)
	v_lshlrev_b64 v[4:5], 3, v[4:5]
	v_add_co_u32 v4, vcc_lo, v6, v4
	s_delay_alu instid0(VALU_DEP_2) | instskip(SKIP_3) | instid1(VALU_DEP_1)
	v_add_co_ci_u32_e32 v5, vcc_lo, v7, v5, vcc_lo
	global_load_b64 v[10:11], v[4:5], off
	s_waitcnt vmcnt(0)
	v_mul_f64 v[10:11], v[10:11], s[10:11]
	v_fma_f64 v[2:3], v[2:3], s[4:5], v[10:11]
	global_store_b64 v[4:5], v[2:3], off
.LBB111_9:
	s_or_b32 exec_lo, exec_lo, s1
	v_cmp_le_i32_e32 vcc_lo, v9, v8
	s_and_b32 s0, vcc_lo, s0
	s_delay_alu instid0(SALU_CYCLE_1)
	s_and_saveexec_b32 s1, s0
	s_cbranch_execz .LBB111_11
; %bb.10:
	v_ashrrev_i32_e32 v9, 31, v8
	s_delay_alu instid0(VALU_DEP_1) | instskip(NEXT) | instid1(VALU_DEP_1)
	v_lshlrev_b64 v[2:3], 3, v[8:9]
	v_add_co_u32 v2, vcc_lo, v6, v2
	s_delay_alu instid0(VALU_DEP_2) | instskip(SKIP_3) | instid1(VALU_DEP_1)
	v_add_co_ci_u32_e32 v3, vcc_lo, v7, v3, vcc_lo
	global_load_b64 v[4:5], v[2:3], off
	s_waitcnt vmcnt(0)
	v_mul_f64 v[4:5], v[4:5], s[10:11]
	v_fma_f64 v[0:1], v[0:1], s[4:5], v[4:5]
	global_store_b64 v[2:3], v[0:1], off
.LBB111_11:
	s_nop 0
	s_sendmsg sendmsg(MSG_DEALLOC_VGPRS)
	s_endpgm
	.section	.rodata,"a",@progbits
	.p2align	6, 0x0
	.amdhsa_kernel _ZL37rocblas_syrkx_herkx_restricted_kernelIidLi16ELi32ELi8ELb0ELb0ELc78ELc76EKddEviT_T0_PT8_S1_lS4_S1_lS2_PT9_S1_li
		.amdhsa_group_segment_fixed_size 4096
		.amdhsa_private_segment_fixed_size 0
		.amdhsa_kernarg_size 100
		.amdhsa_user_sgpr_count 13
		.amdhsa_user_sgpr_dispatch_ptr 0
		.amdhsa_user_sgpr_queue_ptr 0
		.amdhsa_user_sgpr_kernarg_segment_ptr 1
		.amdhsa_user_sgpr_dispatch_id 0
		.amdhsa_user_sgpr_private_segment_size 0
		.amdhsa_wavefront_size32 1
		.amdhsa_uses_dynamic_stack 0
		.amdhsa_enable_private_segment 0
		.amdhsa_system_sgpr_workgroup_id_x 1
		.amdhsa_system_sgpr_workgroup_id_y 1
		.amdhsa_system_sgpr_workgroup_id_z 1
		.amdhsa_system_sgpr_workgroup_info 0
		.amdhsa_system_vgpr_workitem_id 1
		.amdhsa_next_free_vgpr 38
		.amdhsa_next_free_sgpr 26
		.amdhsa_reserve_vcc 1
		.amdhsa_float_round_mode_32 0
		.amdhsa_float_round_mode_16_64 0
		.amdhsa_float_denorm_mode_32 3
		.amdhsa_float_denorm_mode_16_64 3
		.amdhsa_dx10_clamp 1
		.amdhsa_ieee_mode 1
		.amdhsa_fp16_overflow 0
		.amdhsa_workgroup_processor_mode 1
		.amdhsa_memory_ordered 1
		.amdhsa_forward_progress 0
		.amdhsa_shared_vgpr_count 0
		.amdhsa_exception_fp_ieee_invalid_op 0
		.amdhsa_exception_fp_denorm_src 0
		.amdhsa_exception_fp_ieee_div_zero 0
		.amdhsa_exception_fp_ieee_overflow 0
		.amdhsa_exception_fp_ieee_underflow 0
		.amdhsa_exception_fp_ieee_inexact 0
		.amdhsa_exception_int_div_zero 0
	.end_amdhsa_kernel
	.section	.text._ZL37rocblas_syrkx_herkx_restricted_kernelIidLi16ELi32ELi8ELb0ELb0ELc78ELc76EKddEviT_T0_PT8_S1_lS4_S1_lS2_PT9_S1_li,"axG",@progbits,_ZL37rocblas_syrkx_herkx_restricted_kernelIidLi16ELi32ELi8ELb0ELb0ELc78ELc76EKddEviT_T0_PT8_S1_lS4_S1_lS2_PT9_S1_li,comdat
.Lfunc_end111:
	.size	_ZL37rocblas_syrkx_herkx_restricted_kernelIidLi16ELi32ELi8ELb0ELb0ELc78ELc76EKddEviT_T0_PT8_S1_lS4_S1_lS2_PT9_S1_li, .Lfunc_end111-_ZL37rocblas_syrkx_herkx_restricted_kernelIidLi16ELi32ELi8ELb0ELb0ELc78ELc76EKddEviT_T0_PT8_S1_lS4_S1_lS2_PT9_S1_li
                                        ; -- End function
	.section	.AMDGPU.csdata,"",@progbits
; Kernel info:
; codeLenInByte = 1492
; NumSgprs: 28
; NumVgprs: 38
; ScratchSize: 0
; MemoryBound: 0
; FloatMode: 240
; IeeeMode: 1
; LDSByteSize: 4096 bytes/workgroup (compile time only)
; SGPRBlocks: 3
; VGPRBlocks: 4
; NumSGPRsForWavesPerEU: 28
; NumVGPRsForWavesPerEU: 38
; Occupancy: 16
; WaveLimiterHint : 0
; COMPUTE_PGM_RSRC2:SCRATCH_EN: 0
; COMPUTE_PGM_RSRC2:USER_SGPR: 13
; COMPUTE_PGM_RSRC2:TRAP_HANDLER: 0
; COMPUTE_PGM_RSRC2:TGID_X_EN: 1
; COMPUTE_PGM_RSRC2:TGID_Y_EN: 1
; COMPUTE_PGM_RSRC2:TGID_Z_EN: 1
; COMPUTE_PGM_RSRC2:TIDIG_COMP_CNT: 1
	.section	.text._ZL37rocblas_syrkx_herkx_restricted_kernelIidLi16ELi32ELi8ELb0ELb0ELc84ELc85EKddEviT_T0_PT8_S1_lS4_S1_lS2_PT9_S1_li,"axG",@progbits,_ZL37rocblas_syrkx_herkx_restricted_kernelIidLi16ELi32ELi8ELb0ELb0ELc84ELc85EKddEviT_T0_PT8_S1_lS4_S1_lS2_PT9_S1_li,comdat
	.globl	_ZL37rocblas_syrkx_herkx_restricted_kernelIidLi16ELi32ELi8ELb0ELb0ELc84ELc85EKddEviT_T0_PT8_S1_lS4_S1_lS2_PT9_S1_li ; -- Begin function _ZL37rocblas_syrkx_herkx_restricted_kernelIidLi16ELi32ELi8ELb0ELb0ELc84ELc85EKddEviT_T0_PT8_S1_lS4_S1_lS2_PT9_S1_li
	.p2align	8
	.type	_ZL37rocblas_syrkx_herkx_restricted_kernelIidLi16ELi32ELi8ELb0ELb0ELc84ELc85EKddEviT_T0_PT8_S1_lS4_S1_lS2_PT9_S1_li,@function
_ZL37rocblas_syrkx_herkx_restricted_kernelIidLi16ELi32ELi8ELb0ELb0ELc84ELc85EKddEviT_T0_PT8_S1_lS4_S1_lS2_PT9_S1_li: ; @_ZL37rocblas_syrkx_herkx_restricted_kernelIidLi16ELi32ELi8ELb0ELb0ELc84ELc85EKddEviT_T0_PT8_S1_lS4_S1_lS2_PT9_S1_li
; %bb.0:
	s_clause 0x3
	s_load_b64 s[2:3], s[0:1], 0x0
	s_load_b128 s[4:7], s[0:1], 0x8
	s_load_b128 s[8:11], s[0:1], 0x38
	s_load_b64 s[20:21], s[0:1], 0x48
	v_mov_b32_e32 v10, 0
	v_dual_mov_b32 v11, 0 :: v_dual_and_b32 v12, 0x3ff, v0
	v_bfe_u32 v13, v0, 10, 10
	s_delay_alu instid0(VALU_DEP_3) | instskip(NEXT) | instid1(VALU_DEP_3)
	v_mov_b32_e32 v6, v10
	v_dual_mov_b32 v2, v10 :: v_dual_mov_b32 v3, v11
	v_dual_mov_b32 v7, v11 :: v_dual_mov_b32 v0, v10
	v_mov_b32_e32 v1, v11
	s_lshl_b32 s12, s13, 5
	s_lshl_b32 s13, s14, 5
	s_mov_b32 s14, 0
	s_waitcnt lgkmcnt(0)
	s_cmp_lt_i32 s3, 1
	s_cbranch_scc1 .LBB112_3
; %bb.1:
	s_clause 0x2
	s_load_b32 s22, s[0:1], 0x30
	s_load_b32 s23, s[0:1], 0x18
	s_load_b128 s[16:19], s[0:1], 0x20
	v_lshl_add_u32 v2, v13, 4, v12
	v_dual_mov_b32 v1, 0 :: v_dual_and_b32 v0, 7, v12
	v_lshlrev_b32_e32 v14, 3, v12
	s_mul_i32 s9, s9, s15
	s_delay_alu instid0(VALU_DEP_3)
	v_lshrrev_b32_e32 v3, 3, v2
	v_and_b32_e32 v6, 31, v2
	v_lshlrev_b32_e32 v4, 3, v0
	v_lshrrev_b32_e32 v2, 5, v2
	s_mul_hi_u32 s24, s8, s15
	v_add_nc_u32_e32 v7, s13, v3
	v_lshlrev_b32_e32 v8, 3, v6
	v_lshl_or_b32 v9, v3, 6, v4
	v_dual_mov_b32 v3, v1 :: v_dual_add_nc_u32 v6, s12, v6
	s_mul_i32 s8, s8, s15
	s_add_i32 s9, s24, s9
	s_waitcnt lgkmcnt(0)
	v_mad_i64_i32 v[4:5], null, s22, v7, v[0:1]
	v_mad_i64_i32 v[0:1], null, s23, v6, v[2:3]
	s_lshl_b64 s[8:9], s[8:9], 3
	v_lshl_or_b32 v15, v2, 8, v8
	s_add_u32 s18, s18, s8
	s_mul_i32 s8, s17, s15
	s_delay_alu instid0(VALU_DEP_3)
	v_lshlrev_b64 v[2:3], 3, v[4:5]
	s_mul_hi_u32 s17, s16, s15
	s_addc_u32 s19, s19, s9
	s_add_i32 s9, s17, s8
	s_mul_i32 s8, s16, s15
	v_lshlrev_b64 v[6:7], 3, v[0:1]
	s_lshl_b64 s[8:9], s[8:9], 3
	v_mov_b32_e32 v0, 0
	v_add_co_u32 v4, vcc_lo, s18, v2
	v_mov_b32_e32 v1, 0
	s_add_u32 s6, s6, s8
	v_add_co_ci_u32_e32 v5, vcc_lo, s19, v3, vcc_lo
	s_addc_u32 s7, s7, s9
	s_delay_alu instid0(VALU_DEP_2)
	v_mov_b32_e32 v11, v1
	v_add_co_u32 v8, vcc_lo, s6, v6
	v_add_nc_u32_e32 v16, 0x800, v9
	v_add_co_ci_u32_e32 v9, vcc_lo, s7, v7, vcc_lo
	v_mov_b32_e32 v3, v1
	v_mov_b32_e32 v7, v1
	v_lshl_add_u32 v17, v13, 6, 0x800
	v_mov_b32_e32 v2, v0
	v_mov_b32_e32 v6, v0
	;; [unrolled: 1-line block ×3, first 2 shown]
.LBB112_2:                              ; =>This Inner Loop Header: Depth=1
	global_load_b64 v[18:19], v[8:9], off
	global_load_b64 v[20:21], v[4:5], off
	v_add_co_u32 v4, vcc_lo, v4, 64
	v_add_co_ci_u32_e32 v5, vcc_lo, 0, v5, vcc_lo
	v_add_co_u32 v8, vcc_lo, v8, 64
	v_add_co_ci_u32_e32 v9, vcc_lo, 0, v9, vcc_lo
	s_add_i32 s14, s14, 8
	s_waitcnt vmcnt(1)
	ds_store_b64 v15, v[18:19]
	s_waitcnt vmcnt(0)
	ds_store_b64 v16, v[20:21]
	s_waitcnt lgkmcnt(0)
	s_barrier
	buffer_gl0_inv
	ds_load_2addr_b64 v[18:21], v14 offset1:16
	ds_load_b128 v[22:25], v17
	ds_load_b128 v[26:29], v17 offset:1024
	ds_load_b128 v[30:33], v17 offset:16
	;; [unrolled: 1-line block ×3, first 2 shown]
	s_cmp_ge_i32 s14, s3
	s_waitcnt lgkmcnt(3)
	v_fma_f64 v[10:11], v[18:19], v[22:23], v[10:11]
	v_fma_f64 v[6:7], v[20:21], v[22:23], v[6:7]
	s_waitcnt lgkmcnt(2)
	v_fma_f64 v[18:19], v[18:19], v[26:27], v[2:3]
	v_fma_f64 v[20:21], v[20:21], v[26:27], v[0:1]
	ds_load_2addr_b64 v[0:3], v14 offset0:32 offset1:48
	s_waitcnt lgkmcnt(0)
	v_fma_f64 v[10:11], v[0:1], v[24:25], v[10:11]
	v_fma_f64 v[6:7], v[2:3], v[24:25], v[6:7]
	v_fma_f64 v[18:19], v[0:1], v[28:29], v[18:19]
	v_fma_f64 v[20:21], v[2:3], v[28:29], v[20:21]
	ds_load_2addr_b64 v[0:3], v14 offset0:64 offset1:80
	s_waitcnt lgkmcnt(0)
	v_fma_f64 v[10:11], v[0:1], v[30:31], v[10:11]
	v_fma_f64 v[6:7], v[2:3], v[30:31], v[6:7]
	;; [unrolled: 6-line block ×3, first 2 shown]
	v_fma_f64 v[34:35], v[0:1], v[36:37], v[18:19]
	v_fma_f64 v[36:37], v[2:3], v[36:37], v[20:21]
	ds_load_2addr_b64 v[0:3], v14 offset0:128 offset1:144
	ds_load_b128 v[18:21], v17 offset:32
	ds_load_b128 v[22:25], v17 offset:1056
	;; [unrolled: 1-line block ×4, first 2 shown]
	s_waitcnt lgkmcnt(3)
	v_fma_f64 v[10:11], v[0:1], v[18:19], v[10:11]
	v_fma_f64 v[6:7], v[2:3], v[18:19], v[6:7]
	s_waitcnt lgkmcnt(2)
	v_fma_f64 v[18:19], v[0:1], v[22:23], v[34:35]
	v_fma_f64 v[22:23], v[2:3], v[22:23], v[36:37]
	ds_load_2addr_b64 v[0:3], v14 offset0:160 offset1:176
	s_waitcnt lgkmcnt(0)
	v_fma_f64 v[10:11], v[0:1], v[20:21], v[10:11]
	v_fma_f64 v[6:7], v[2:3], v[20:21], v[6:7]
	;; [unrolled: 1-line block ×4, first 2 shown]
	ds_load_2addr_b64 v[0:3], v14 offset0:192 offset1:208
	s_waitcnt lgkmcnt(0)
	v_fma_f64 v[10:11], v[0:1], v[26:27], v[10:11]
	v_fma_f64 v[6:7], v[2:3], v[26:27], v[6:7]
	;; [unrolled: 1-line block ×4, first 2 shown]
	ds_load_2addr_b64 v[18:21], v14 offset0:224 offset1:240
	s_waitcnt lgkmcnt(0)
	s_barrier
	buffer_gl0_inv
	v_fma_f64 v[10:11], v[18:19], v[28:29], v[10:11]
	v_fma_f64 v[6:7], v[20:21], v[28:29], v[6:7]
	;; [unrolled: 1-line block ×4, first 2 shown]
	s_cbranch_scc0 .LBB112_2
.LBB112_3:
	s_clause 0x1
	s_load_b32 s3, s[0:1], 0x50
	s_load_b64 s[0:1], s[0:1], 0x58
	v_add_nc_u32_e32 v13, s13, v13
	v_add_nc_u32_e32 v4, s12, v12
	s_delay_alu instid0(VALU_DEP_2)
	v_cmp_gt_i32_e32 vcc_lo, s2, v13
	s_waitcnt lgkmcnt(0)
	v_mad_i64_i32 v[8:9], null, v13, s3, 0
	s_mul_i32 s1, s15, s1
	s_mul_hi_u32 s6, s15, s0
	s_mul_i32 s0, s15, s0
	s_add_i32 s1, s6, s1
	s_delay_alu instid0(SALU_CYCLE_1) | instskip(NEXT) | instid1(VALU_DEP_1)
	s_lshl_b64 s[6:7], s[0:1], 3
	v_lshlrev_b64 v[8:9], 3, v[8:9]
	s_add_u32 s6, s20, s6
	v_cmp_le_i32_e64 s0, v4, v13
	s_addc_u32 s7, s21, s7
	s_delay_alu instid0(VALU_DEP_2) | instskip(NEXT) | instid1(VALU_DEP_1)
	v_add_co_u32 v12, s1, s6, v8
	v_add_co_ci_u32_e64 v14, s1, s7, v9, s1
	s_delay_alu instid0(VALU_DEP_3) | instskip(NEXT) | instid1(SALU_CYCLE_1)
	s_and_b32 s0, vcc_lo, s0
	s_and_saveexec_b32 s1, s0
	s_cbranch_execz .LBB112_5
; %bb.4:
	v_ashrrev_i32_e32 v5, 31, v4
	s_delay_alu instid0(VALU_DEP_1) | instskip(NEXT) | instid1(VALU_DEP_1)
	v_lshlrev_b64 v[8:9], 3, v[4:5]
	v_add_co_u32 v8, s0, v12, v8
	s_delay_alu instid0(VALU_DEP_1) | instskip(SKIP_3) | instid1(VALU_DEP_1)
	v_add_co_ci_u32_e64 v9, s0, v14, v9, s0
	global_load_b64 v[15:16], v[8:9], off
	s_waitcnt vmcnt(0)
	v_mul_f64 v[15:16], v[15:16], s[10:11]
	v_fma_f64 v[10:11], v[10:11], s[4:5], v[15:16]
	global_store_b64 v[8:9], v[10:11], off
.LBB112_5:
	s_or_b32 exec_lo, exec_lo, s1
	v_add_nc_u32_e32 v8, 16, v4
	s_delay_alu instid0(VALU_DEP_1) | instskip(NEXT) | instid1(VALU_DEP_1)
	v_cmp_le_i32_e64 s0, v8, v13
	s_and_b32 s1, vcc_lo, s0
	s_delay_alu instid0(SALU_CYCLE_1)
	s_and_saveexec_b32 s0, s1
	s_cbranch_execz .LBB112_7
; %bb.6:
	v_ashrrev_i32_e32 v9, 31, v8
	s_delay_alu instid0(VALU_DEP_1) | instskip(NEXT) | instid1(VALU_DEP_1)
	v_lshlrev_b64 v[9:10], 3, v[8:9]
	v_add_co_u32 v9, vcc_lo, v12, v9
	s_delay_alu instid0(VALU_DEP_2) | instskip(SKIP_3) | instid1(VALU_DEP_1)
	v_add_co_ci_u32_e32 v10, vcc_lo, v14, v10, vcc_lo
	global_load_b64 v[11:12], v[9:10], off
	s_waitcnt vmcnt(0)
	v_mul_f64 v[11:12], v[11:12], s[10:11]
	v_fma_f64 v[5:6], v[6:7], s[4:5], v[11:12]
	global_store_b64 v[9:10], v[5:6], off
.LBB112_7:
	s_or_b32 exec_lo, exec_lo, s0
	v_add_nc_u32_e32 v9, 16, v13
	s_delay_alu instid0(VALU_DEP_1) | instskip(SKIP_2) | instid1(VALU_DEP_1)
	v_mad_i64_i32 v[5:6], null, v9, s3, 0
	v_cmp_gt_i32_e32 vcc_lo, s2, v9
	v_cmp_le_i32_e64 s0, v4, v9
	s_and_b32 s0, vcc_lo, s0
	s_delay_alu instid0(VALU_DEP_3) | instskip(NEXT) | instid1(VALU_DEP_1)
	v_lshlrev_b64 v[6:7], 3, v[5:6]
	v_add_co_u32 v6, s1, s6, v6
	s_delay_alu instid0(VALU_DEP_1)
	v_add_co_ci_u32_e64 v7, s1, s7, v7, s1
	s_and_saveexec_b32 s1, s0
	s_cbranch_execz .LBB112_9
; %bb.8:
	v_ashrrev_i32_e32 v5, 31, v4
	s_delay_alu instid0(VALU_DEP_1) | instskip(NEXT) | instid1(VALU_DEP_1)
	v_lshlrev_b64 v[4:5], 3, v[4:5]
	v_add_co_u32 v4, s0, v6, v4
	s_delay_alu instid0(VALU_DEP_1) | instskip(SKIP_3) | instid1(VALU_DEP_1)
	v_add_co_ci_u32_e64 v5, s0, v7, v5, s0
	global_load_b64 v[10:11], v[4:5], off
	s_waitcnt vmcnt(0)
	v_mul_f64 v[10:11], v[10:11], s[10:11]
	v_fma_f64 v[2:3], v[2:3], s[4:5], v[10:11]
	global_store_b64 v[4:5], v[2:3], off
.LBB112_9:
	s_or_b32 exec_lo, exec_lo, s1
	v_cmp_le_i32_e64 s0, v8, v9
	s_delay_alu instid0(VALU_DEP_1) | instskip(NEXT) | instid1(SALU_CYCLE_1)
	s_and_b32 s0, vcc_lo, s0
	s_and_saveexec_b32 s1, s0
	s_cbranch_execz .LBB112_11
; %bb.10:
	v_ashrrev_i32_e32 v9, 31, v8
	s_delay_alu instid0(VALU_DEP_1) | instskip(NEXT) | instid1(VALU_DEP_1)
	v_lshlrev_b64 v[2:3], 3, v[8:9]
	v_add_co_u32 v2, vcc_lo, v6, v2
	s_delay_alu instid0(VALU_DEP_2) | instskip(SKIP_3) | instid1(VALU_DEP_1)
	v_add_co_ci_u32_e32 v3, vcc_lo, v7, v3, vcc_lo
	global_load_b64 v[4:5], v[2:3], off
	s_waitcnt vmcnt(0)
	v_mul_f64 v[4:5], v[4:5], s[10:11]
	v_fma_f64 v[0:1], v[0:1], s[4:5], v[4:5]
	global_store_b64 v[2:3], v[0:1], off
.LBB112_11:
	s_nop 0
	s_sendmsg sendmsg(MSG_DEALLOC_VGPRS)
	s_endpgm
	.section	.rodata,"a",@progbits
	.p2align	6, 0x0
	.amdhsa_kernel _ZL37rocblas_syrkx_herkx_restricted_kernelIidLi16ELi32ELi8ELb0ELb0ELc84ELc85EKddEviT_T0_PT8_S1_lS4_S1_lS2_PT9_S1_li
		.amdhsa_group_segment_fixed_size 4096
		.amdhsa_private_segment_fixed_size 0
		.amdhsa_kernarg_size 100
		.amdhsa_user_sgpr_count 13
		.amdhsa_user_sgpr_dispatch_ptr 0
		.amdhsa_user_sgpr_queue_ptr 0
		.amdhsa_user_sgpr_kernarg_segment_ptr 1
		.amdhsa_user_sgpr_dispatch_id 0
		.amdhsa_user_sgpr_private_segment_size 0
		.amdhsa_wavefront_size32 1
		.amdhsa_uses_dynamic_stack 0
		.amdhsa_enable_private_segment 0
		.amdhsa_system_sgpr_workgroup_id_x 1
		.amdhsa_system_sgpr_workgroup_id_y 1
		.amdhsa_system_sgpr_workgroup_id_z 1
		.amdhsa_system_sgpr_workgroup_info 0
		.amdhsa_system_vgpr_workitem_id 1
		.amdhsa_next_free_vgpr 38
		.amdhsa_next_free_sgpr 25
		.amdhsa_reserve_vcc 1
		.amdhsa_float_round_mode_32 0
		.amdhsa_float_round_mode_16_64 0
		.amdhsa_float_denorm_mode_32 3
		.amdhsa_float_denorm_mode_16_64 3
		.amdhsa_dx10_clamp 1
		.amdhsa_ieee_mode 1
		.amdhsa_fp16_overflow 0
		.amdhsa_workgroup_processor_mode 1
		.amdhsa_memory_ordered 1
		.amdhsa_forward_progress 0
		.amdhsa_shared_vgpr_count 0
		.amdhsa_exception_fp_ieee_invalid_op 0
		.amdhsa_exception_fp_denorm_src 0
		.amdhsa_exception_fp_ieee_div_zero 0
		.amdhsa_exception_fp_ieee_overflow 0
		.amdhsa_exception_fp_ieee_underflow 0
		.amdhsa_exception_fp_ieee_inexact 0
		.amdhsa_exception_int_div_zero 0
	.end_amdhsa_kernel
	.section	.text._ZL37rocblas_syrkx_herkx_restricted_kernelIidLi16ELi32ELi8ELb0ELb0ELc84ELc85EKddEviT_T0_PT8_S1_lS4_S1_lS2_PT9_S1_li,"axG",@progbits,_ZL37rocblas_syrkx_herkx_restricted_kernelIidLi16ELi32ELi8ELb0ELb0ELc84ELc85EKddEviT_T0_PT8_S1_lS4_S1_lS2_PT9_S1_li,comdat
.Lfunc_end112:
	.size	_ZL37rocblas_syrkx_herkx_restricted_kernelIidLi16ELi32ELi8ELb0ELb0ELc84ELc85EKddEviT_T0_PT8_S1_lS4_S1_lS2_PT9_S1_li, .Lfunc_end112-_ZL37rocblas_syrkx_herkx_restricted_kernelIidLi16ELi32ELi8ELb0ELb0ELc84ELc85EKddEviT_T0_PT8_S1_lS4_S1_lS2_PT9_S1_li
                                        ; -- End function
	.section	.AMDGPU.csdata,"",@progbits
; Kernel info:
; codeLenInByte = 1480
; NumSgprs: 27
; NumVgprs: 38
; ScratchSize: 0
; MemoryBound: 0
; FloatMode: 240
; IeeeMode: 1
; LDSByteSize: 4096 bytes/workgroup (compile time only)
; SGPRBlocks: 3
; VGPRBlocks: 4
; NumSGPRsForWavesPerEU: 27
; NumVGPRsForWavesPerEU: 38
; Occupancy: 16
; WaveLimiterHint : 0
; COMPUTE_PGM_RSRC2:SCRATCH_EN: 0
; COMPUTE_PGM_RSRC2:USER_SGPR: 13
; COMPUTE_PGM_RSRC2:TRAP_HANDLER: 0
; COMPUTE_PGM_RSRC2:TGID_X_EN: 1
; COMPUTE_PGM_RSRC2:TGID_Y_EN: 1
; COMPUTE_PGM_RSRC2:TGID_Z_EN: 1
; COMPUTE_PGM_RSRC2:TIDIG_COMP_CNT: 1
	.section	.text._ZL37rocblas_syrkx_herkx_restricted_kernelIidLi16ELi32ELi8ELb0ELb0ELc67ELc85EKddEviT_T0_PT8_S1_lS4_S1_lS2_PT9_S1_li,"axG",@progbits,_ZL37rocblas_syrkx_herkx_restricted_kernelIidLi16ELi32ELi8ELb0ELb0ELc67ELc85EKddEviT_T0_PT8_S1_lS4_S1_lS2_PT9_S1_li,comdat
	.globl	_ZL37rocblas_syrkx_herkx_restricted_kernelIidLi16ELi32ELi8ELb0ELb0ELc67ELc85EKddEviT_T0_PT8_S1_lS4_S1_lS2_PT9_S1_li ; -- Begin function _ZL37rocblas_syrkx_herkx_restricted_kernelIidLi16ELi32ELi8ELb0ELb0ELc67ELc85EKddEviT_T0_PT8_S1_lS4_S1_lS2_PT9_S1_li
	.p2align	8
	.type	_ZL37rocblas_syrkx_herkx_restricted_kernelIidLi16ELi32ELi8ELb0ELb0ELc67ELc85EKddEviT_T0_PT8_S1_lS4_S1_lS2_PT9_S1_li,@function
_ZL37rocblas_syrkx_herkx_restricted_kernelIidLi16ELi32ELi8ELb0ELb0ELc67ELc85EKddEviT_T0_PT8_S1_lS4_S1_lS2_PT9_S1_li: ; @_ZL37rocblas_syrkx_herkx_restricted_kernelIidLi16ELi32ELi8ELb0ELb0ELc67ELc85EKddEviT_T0_PT8_S1_lS4_S1_lS2_PT9_S1_li
; %bb.0:
	s_clause 0x3
	s_load_b64 s[2:3], s[0:1], 0x0
	s_load_b128 s[4:7], s[0:1], 0x8
	s_load_b128 s[8:11], s[0:1], 0x38
	s_load_b64 s[20:21], s[0:1], 0x48
	v_mov_b32_e32 v10, 0
	v_dual_mov_b32 v11, 0 :: v_dual_and_b32 v12, 0x3ff, v0
	v_bfe_u32 v13, v0, 10, 10
	s_delay_alu instid0(VALU_DEP_3) | instskip(NEXT) | instid1(VALU_DEP_3)
	v_mov_b32_e32 v6, v10
	v_dual_mov_b32 v2, v10 :: v_dual_mov_b32 v3, v11
	v_dual_mov_b32 v7, v11 :: v_dual_mov_b32 v0, v10
	v_mov_b32_e32 v1, v11
	s_lshl_b32 s12, s13, 5
	s_lshl_b32 s13, s14, 5
	s_mov_b32 s14, 0
	s_waitcnt lgkmcnt(0)
	s_cmp_lt_i32 s3, 1
	s_cbranch_scc1 .LBB113_3
; %bb.1:
	s_clause 0x2
	s_load_b32 s22, s[0:1], 0x30
	s_load_b32 s23, s[0:1], 0x18
	s_load_b128 s[16:19], s[0:1], 0x20
	v_lshl_add_u32 v2, v13, 4, v12
	v_dual_mov_b32 v1, 0 :: v_dual_and_b32 v0, 7, v12
	v_lshlrev_b32_e32 v14, 3, v12
	s_mul_i32 s9, s9, s15
	s_delay_alu instid0(VALU_DEP_3)
	v_lshrrev_b32_e32 v3, 3, v2
	v_and_b32_e32 v6, 31, v2
	v_lshlrev_b32_e32 v4, 3, v0
	v_lshrrev_b32_e32 v2, 5, v2
	s_mul_hi_u32 s24, s8, s15
	v_add_nc_u32_e32 v7, s13, v3
	v_lshlrev_b32_e32 v8, 3, v6
	v_lshl_or_b32 v9, v3, 6, v4
	v_dual_mov_b32 v3, v1 :: v_dual_add_nc_u32 v6, s12, v6
	s_mul_i32 s8, s8, s15
	s_add_i32 s9, s24, s9
	s_waitcnt lgkmcnt(0)
	v_mad_i64_i32 v[4:5], null, s22, v7, v[0:1]
	v_mad_i64_i32 v[0:1], null, s23, v6, v[2:3]
	s_lshl_b64 s[8:9], s[8:9], 3
	v_lshl_or_b32 v15, v2, 8, v8
	s_add_u32 s18, s18, s8
	s_mul_i32 s8, s17, s15
	s_delay_alu instid0(VALU_DEP_3)
	v_lshlrev_b64 v[2:3], 3, v[4:5]
	s_mul_hi_u32 s17, s16, s15
	s_addc_u32 s19, s19, s9
	s_add_i32 s9, s17, s8
	s_mul_i32 s8, s16, s15
	v_lshlrev_b64 v[6:7], 3, v[0:1]
	s_lshl_b64 s[8:9], s[8:9], 3
	v_mov_b32_e32 v0, 0
	v_add_co_u32 v4, vcc_lo, s18, v2
	v_mov_b32_e32 v1, 0
	s_add_u32 s6, s6, s8
	v_add_co_ci_u32_e32 v5, vcc_lo, s19, v3, vcc_lo
	s_addc_u32 s7, s7, s9
	s_delay_alu instid0(VALU_DEP_2)
	v_mov_b32_e32 v11, v1
	v_add_co_u32 v8, vcc_lo, s6, v6
	v_add_nc_u32_e32 v16, 0x800, v9
	v_add_co_ci_u32_e32 v9, vcc_lo, s7, v7, vcc_lo
	v_mov_b32_e32 v3, v1
	v_mov_b32_e32 v7, v1
	v_lshl_add_u32 v17, v13, 6, 0x800
	v_mov_b32_e32 v2, v0
	v_mov_b32_e32 v6, v0
	v_mov_b32_e32 v10, v0
.LBB113_2:                              ; =>This Inner Loop Header: Depth=1
	global_load_b64 v[18:19], v[8:9], off
	global_load_b64 v[20:21], v[4:5], off
	v_add_co_u32 v4, vcc_lo, v4, 64
	v_add_co_ci_u32_e32 v5, vcc_lo, 0, v5, vcc_lo
	v_add_co_u32 v8, vcc_lo, v8, 64
	v_add_co_ci_u32_e32 v9, vcc_lo, 0, v9, vcc_lo
	s_add_i32 s14, s14, 8
	s_waitcnt vmcnt(1)
	ds_store_b64 v15, v[18:19]
	s_waitcnt vmcnt(0)
	ds_store_b64 v16, v[20:21]
	s_waitcnt lgkmcnt(0)
	s_barrier
	buffer_gl0_inv
	ds_load_2addr_b64 v[18:21], v14 offset1:16
	ds_load_b128 v[22:25], v17
	ds_load_b128 v[26:29], v17 offset:1024
	ds_load_b128 v[30:33], v17 offset:16
	;; [unrolled: 1-line block ×3, first 2 shown]
	s_cmp_ge_i32 s14, s3
	s_waitcnt lgkmcnt(3)
	v_fma_f64 v[10:11], v[18:19], v[22:23], v[10:11]
	v_fma_f64 v[6:7], v[20:21], v[22:23], v[6:7]
	s_waitcnt lgkmcnt(2)
	v_fma_f64 v[18:19], v[18:19], v[26:27], v[2:3]
	v_fma_f64 v[20:21], v[20:21], v[26:27], v[0:1]
	ds_load_2addr_b64 v[0:3], v14 offset0:32 offset1:48
	s_waitcnt lgkmcnt(0)
	v_fma_f64 v[10:11], v[0:1], v[24:25], v[10:11]
	v_fma_f64 v[6:7], v[2:3], v[24:25], v[6:7]
	v_fma_f64 v[18:19], v[0:1], v[28:29], v[18:19]
	v_fma_f64 v[20:21], v[2:3], v[28:29], v[20:21]
	ds_load_2addr_b64 v[0:3], v14 offset0:64 offset1:80
	s_waitcnt lgkmcnt(0)
	v_fma_f64 v[10:11], v[0:1], v[30:31], v[10:11]
	v_fma_f64 v[6:7], v[2:3], v[30:31], v[6:7]
	;; [unrolled: 6-line block ×3, first 2 shown]
	v_fma_f64 v[34:35], v[0:1], v[36:37], v[18:19]
	v_fma_f64 v[36:37], v[2:3], v[36:37], v[20:21]
	ds_load_2addr_b64 v[0:3], v14 offset0:128 offset1:144
	ds_load_b128 v[18:21], v17 offset:32
	ds_load_b128 v[22:25], v17 offset:1056
	ds_load_b128 v[26:29], v17 offset:48
	ds_load_b128 v[30:33], v17 offset:1072
	s_waitcnt lgkmcnt(3)
	v_fma_f64 v[10:11], v[0:1], v[18:19], v[10:11]
	v_fma_f64 v[6:7], v[2:3], v[18:19], v[6:7]
	s_waitcnt lgkmcnt(2)
	v_fma_f64 v[18:19], v[0:1], v[22:23], v[34:35]
	v_fma_f64 v[22:23], v[2:3], v[22:23], v[36:37]
	ds_load_2addr_b64 v[0:3], v14 offset0:160 offset1:176
	s_waitcnt lgkmcnt(0)
	v_fma_f64 v[10:11], v[0:1], v[20:21], v[10:11]
	v_fma_f64 v[6:7], v[2:3], v[20:21], v[6:7]
	v_fma_f64 v[18:19], v[0:1], v[24:25], v[18:19]
	v_fma_f64 v[20:21], v[2:3], v[24:25], v[22:23]
	ds_load_2addr_b64 v[0:3], v14 offset0:192 offset1:208
	s_waitcnt lgkmcnt(0)
	v_fma_f64 v[10:11], v[0:1], v[26:27], v[10:11]
	v_fma_f64 v[6:7], v[2:3], v[26:27], v[6:7]
	;; [unrolled: 1-line block ×4, first 2 shown]
	ds_load_2addr_b64 v[18:21], v14 offset0:224 offset1:240
	s_waitcnt lgkmcnt(0)
	s_barrier
	buffer_gl0_inv
	v_fma_f64 v[10:11], v[18:19], v[28:29], v[10:11]
	v_fma_f64 v[6:7], v[20:21], v[28:29], v[6:7]
	;; [unrolled: 1-line block ×4, first 2 shown]
	s_cbranch_scc0 .LBB113_2
.LBB113_3:
	s_clause 0x1
	s_load_b32 s3, s[0:1], 0x50
	s_load_b64 s[0:1], s[0:1], 0x58
	v_add_nc_u32_e32 v13, s13, v13
	v_add_nc_u32_e32 v4, s12, v12
	s_delay_alu instid0(VALU_DEP_2)
	v_cmp_gt_i32_e32 vcc_lo, s2, v13
	s_waitcnt lgkmcnt(0)
	v_mad_i64_i32 v[8:9], null, v13, s3, 0
	s_mul_i32 s1, s15, s1
	s_mul_hi_u32 s6, s15, s0
	s_mul_i32 s0, s15, s0
	s_add_i32 s1, s6, s1
	s_delay_alu instid0(SALU_CYCLE_1) | instskip(NEXT) | instid1(VALU_DEP_1)
	s_lshl_b64 s[6:7], s[0:1], 3
	v_lshlrev_b64 v[8:9], 3, v[8:9]
	s_add_u32 s6, s20, s6
	v_cmp_le_i32_e64 s0, v4, v13
	s_addc_u32 s7, s21, s7
	s_delay_alu instid0(VALU_DEP_2) | instskip(NEXT) | instid1(VALU_DEP_1)
	v_add_co_u32 v12, s1, s6, v8
	v_add_co_ci_u32_e64 v14, s1, s7, v9, s1
	s_delay_alu instid0(VALU_DEP_3) | instskip(NEXT) | instid1(SALU_CYCLE_1)
	s_and_b32 s0, vcc_lo, s0
	s_and_saveexec_b32 s1, s0
	s_cbranch_execz .LBB113_5
; %bb.4:
	v_ashrrev_i32_e32 v5, 31, v4
	s_delay_alu instid0(VALU_DEP_1) | instskip(NEXT) | instid1(VALU_DEP_1)
	v_lshlrev_b64 v[8:9], 3, v[4:5]
	v_add_co_u32 v8, s0, v12, v8
	s_delay_alu instid0(VALU_DEP_1) | instskip(SKIP_3) | instid1(VALU_DEP_1)
	v_add_co_ci_u32_e64 v9, s0, v14, v9, s0
	global_load_b64 v[15:16], v[8:9], off
	s_waitcnt vmcnt(0)
	v_mul_f64 v[15:16], v[15:16], s[10:11]
	v_fma_f64 v[10:11], v[10:11], s[4:5], v[15:16]
	global_store_b64 v[8:9], v[10:11], off
.LBB113_5:
	s_or_b32 exec_lo, exec_lo, s1
	v_add_nc_u32_e32 v8, 16, v4
	s_delay_alu instid0(VALU_DEP_1) | instskip(NEXT) | instid1(VALU_DEP_1)
	v_cmp_le_i32_e64 s0, v8, v13
	s_and_b32 s1, vcc_lo, s0
	s_delay_alu instid0(SALU_CYCLE_1)
	s_and_saveexec_b32 s0, s1
	s_cbranch_execz .LBB113_7
; %bb.6:
	v_ashrrev_i32_e32 v9, 31, v8
	s_delay_alu instid0(VALU_DEP_1) | instskip(NEXT) | instid1(VALU_DEP_1)
	v_lshlrev_b64 v[9:10], 3, v[8:9]
	v_add_co_u32 v9, vcc_lo, v12, v9
	s_delay_alu instid0(VALU_DEP_2) | instskip(SKIP_3) | instid1(VALU_DEP_1)
	v_add_co_ci_u32_e32 v10, vcc_lo, v14, v10, vcc_lo
	global_load_b64 v[11:12], v[9:10], off
	s_waitcnt vmcnt(0)
	v_mul_f64 v[11:12], v[11:12], s[10:11]
	v_fma_f64 v[5:6], v[6:7], s[4:5], v[11:12]
	global_store_b64 v[9:10], v[5:6], off
.LBB113_7:
	s_or_b32 exec_lo, exec_lo, s0
	v_add_nc_u32_e32 v9, 16, v13
	s_delay_alu instid0(VALU_DEP_1) | instskip(SKIP_2) | instid1(VALU_DEP_1)
	v_mad_i64_i32 v[5:6], null, v9, s3, 0
	v_cmp_gt_i32_e32 vcc_lo, s2, v9
	v_cmp_le_i32_e64 s0, v4, v9
	s_and_b32 s0, vcc_lo, s0
	s_delay_alu instid0(VALU_DEP_3) | instskip(NEXT) | instid1(VALU_DEP_1)
	v_lshlrev_b64 v[6:7], 3, v[5:6]
	v_add_co_u32 v6, s1, s6, v6
	s_delay_alu instid0(VALU_DEP_1)
	v_add_co_ci_u32_e64 v7, s1, s7, v7, s1
	s_and_saveexec_b32 s1, s0
	s_cbranch_execz .LBB113_9
; %bb.8:
	v_ashrrev_i32_e32 v5, 31, v4
	s_delay_alu instid0(VALU_DEP_1) | instskip(NEXT) | instid1(VALU_DEP_1)
	v_lshlrev_b64 v[4:5], 3, v[4:5]
	v_add_co_u32 v4, s0, v6, v4
	s_delay_alu instid0(VALU_DEP_1) | instskip(SKIP_3) | instid1(VALU_DEP_1)
	v_add_co_ci_u32_e64 v5, s0, v7, v5, s0
	global_load_b64 v[10:11], v[4:5], off
	s_waitcnt vmcnt(0)
	v_mul_f64 v[10:11], v[10:11], s[10:11]
	v_fma_f64 v[2:3], v[2:3], s[4:5], v[10:11]
	global_store_b64 v[4:5], v[2:3], off
.LBB113_9:
	s_or_b32 exec_lo, exec_lo, s1
	v_cmp_le_i32_e64 s0, v8, v9
	s_delay_alu instid0(VALU_DEP_1) | instskip(NEXT) | instid1(SALU_CYCLE_1)
	s_and_b32 s0, vcc_lo, s0
	s_and_saveexec_b32 s1, s0
	s_cbranch_execz .LBB113_11
; %bb.10:
	v_ashrrev_i32_e32 v9, 31, v8
	s_delay_alu instid0(VALU_DEP_1) | instskip(NEXT) | instid1(VALU_DEP_1)
	v_lshlrev_b64 v[2:3], 3, v[8:9]
	v_add_co_u32 v2, vcc_lo, v6, v2
	s_delay_alu instid0(VALU_DEP_2) | instskip(SKIP_3) | instid1(VALU_DEP_1)
	v_add_co_ci_u32_e32 v3, vcc_lo, v7, v3, vcc_lo
	global_load_b64 v[4:5], v[2:3], off
	s_waitcnt vmcnt(0)
	v_mul_f64 v[4:5], v[4:5], s[10:11]
	v_fma_f64 v[0:1], v[0:1], s[4:5], v[4:5]
	global_store_b64 v[2:3], v[0:1], off
.LBB113_11:
	s_nop 0
	s_sendmsg sendmsg(MSG_DEALLOC_VGPRS)
	s_endpgm
	.section	.rodata,"a",@progbits
	.p2align	6, 0x0
	.amdhsa_kernel _ZL37rocblas_syrkx_herkx_restricted_kernelIidLi16ELi32ELi8ELb0ELb0ELc67ELc85EKddEviT_T0_PT8_S1_lS4_S1_lS2_PT9_S1_li
		.amdhsa_group_segment_fixed_size 4096
		.amdhsa_private_segment_fixed_size 0
		.amdhsa_kernarg_size 100
		.amdhsa_user_sgpr_count 13
		.amdhsa_user_sgpr_dispatch_ptr 0
		.amdhsa_user_sgpr_queue_ptr 0
		.amdhsa_user_sgpr_kernarg_segment_ptr 1
		.amdhsa_user_sgpr_dispatch_id 0
		.amdhsa_user_sgpr_private_segment_size 0
		.amdhsa_wavefront_size32 1
		.amdhsa_uses_dynamic_stack 0
		.amdhsa_enable_private_segment 0
		.amdhsa_system_sgpr_workgroup_id_x 1
		.amdhsa_system_sgpr_workgroup_id_y 1
		.amdhsa_system_sgpr_workgroup_id_z 1
		.amdhsa_system_sgpr_workgroup_info 0
		.amdhsa_system_vgpr_workitem_id 1
		.amdhsa_next_free_vgpr 38
		.amdhsa_next_free_sgpr 25
		.amdhsa_reserve_vcc 1
		.amdhsa_float_round_mode_32 0
		.amdhsa_float_round_mode_16_64 0
		.amdhsa_float_denorm_mode_32 3
		.amdhsa_float_denorm_mode_16_64 3
		.amdhsa_dx10_clamp 1
		.amdhsa_ieee_mode 1
		.amdhsa_fp16_overflow 0
		.amdhsa_workgroup_processor_mode 1
		.amdhsa_memory_ordered 1
		.amdhsa_forward_progress 0
		.amdhsa_shared_vgpr_count 0
		.amdhsa_exception_fp_ieee_invalid_op 0
		.amdhsa_exception_fp_denorm_src 0
		.amdhsa_exception_fp_ieee_div_zero 0
		.amdhsa_exception_fp_ieee_overflow 0
		.amdhsa_exception_fp_ieee_underflow 0
		.amdhsa_exception_fp_ieee_inexact 0
		.amdhsa_exception_int_div_zero 0
	.end_amdhsa_kernel
	.section	.text._ZL37rocblas_syrkx_herkx_restricted_kernelIidLi16ELi32ELi8ELb0ELb0ELc67ELc85EKddEviT_T0_PT8_S1_lS4_S1_lS2_PT9_S1_li,"axG",@progbits,_ZL37rocblas_syrkx_herkx_restricted_kernelIidLi16ELi32ELi8ELb0ELb0ELc67ELc85EKddEviT_T0_PT8_S1_lS4_S1_lS2_PT9_S1_li,comdat
.Lfunc_end113:
	.size	_ZL37rocblas_syrkx_herkx_restricted_kernelIidLi16ELi32ELi8ELb0ELb0ELc67ELc85EKddEviT_T0_PT8_S1_lS4_S1_lS2_PT9_S1_li, .Lfunc_end113-_ZL37rocblas_syrkx_herkx_restricted_kernelIidLi16ELi32ELi8ELb0ELb0ELc67ELc85EKddEviT_T0_PT8_S1_lS4_S1_lS2_PT9_S1_li
                                        ; -- End function
	.section	.AMDGPU.csdata,"",@progbits
; Kernel info:
; codeLenInByte = 1480
; NumSgprs: 27
; NumVgprs: 38
; ScratchSize: 0
; MemoryBound: 0
; FloatMode: 240
; IeeeMode: 1
; LDSByteSize: 4096 bytes/workgroup (compile time only)
; SGPRBlocks: 3
; VGPRBlocks: 4
; NumSGPRsForWavesPerEU: 27
; NumVGPRsForWavesPerEU: 38
; Occupancy: 16
; WaveLimiterHint : 0
; COMPUTE_PGM_RSRC2:SCRATCH_EN: 0
; COMPUTE_PGM_RSRC2:USER_SGPR: 13
; COMPUTE_PGM_RSRC2:TRAP_HANDLER: 0
; COMPUTE_PGM_RSRC2:TGID_X_EN: 1
; COMPUTE_PGM_RSRC2:TGID_Y_EN: 1
; COMPUTE_PGM_RSRC2:TGID_Z_EN: 1
; COMPUTE_PGM_RSRC2:TIDIG_COMP_CNT: 1
	.section	.text._ZL37rocblas_syrkx_herkx_restricted_kernelIidLi16ELi32ELi8ELb0ELb0ELc78ELc85EKddEviT_T0_PT8_S1_lS4_S1_lS2_PT9_S1_li,"axG",@progbits,_ZL37rocblas_syrkx_herkx_restricted_kernelIidLi16ELi32ELi8ELb0ELb0ELc78ELc85EKddEviT_T0_PT8_S1_lS4_S1_lS2_PT9_S1_li,comdat
	.globl	_ZL37rocblas_syrkx_herkx_restricted_kernelIidLi16ELi32ELi8ELb0ELb0ELc78ELc85EKddEviT_T0_PT8_S1_lS4_S1_lS2_PT9_S1_li ; -- Begin function _ZL37rocblas_syrkx_herkx_restricted_kernelIidLi16ELi32ELi8ELb0ELb0ELc78ELc85EKddEviT_T0_PT8_S1_lS4_S1_lS2_PT9_S1_li
	.p2align	8
	.type	_ZL37rocblas_syrkx_herkx_restricted_kernelIidLi16ELi32ELi8ELb0ELb0ELc78ELc85EKddEviT_T0_PT8_S1_lS4_S1_lS2_PT9_S1_li,@function
_ZL37rocblas_syrkx_herkx_restricted_kernelIidLi16ELi32ELi8ELb0ELb0ELc78ELc85EKddEviT_T0_PT8_S1_lS4_S1_lS2_PT9_S1_li: ; @_ZL37rocblas_syrkx_herkx_restricted_kernelIidLi16ELi32ELi8ELb0ELb0ELc78ELc85EKddEviT_T0_PT8_S1_lS4_S1_lS2_PT9_S1_li
; %bb.0:
	s_clause 0x3
	s_load_b64 s[2:3], s[0:1], 0x0
	s_load_b128 s[4:7], s[0:1], 0x8
	s_load_b128 s[8:11], s[0:1], 0x38
	s_load_b64 s[20:21], s[0:1], 0x48
	v_mov_b32_e32 v10, 0
	v_dual_mov_b32 v11, 0 :: v_dual_and_b32 v12, 0x3ff, v0
	v_bfe_u32 v13, v0, 10, 10
	s_delay_alu instid0(VALU_DEP_3) | instskip(NEXT) | instid1(VALU_DEP_3)
	v_mov_b32_e32 v6, v10
	v_dual_mov_b32 v2, v10 :: v_dual_mov_b32 v3, v11
	v_dual_mov_b32 v7, v11 :: v_dual_mov_b32 v0, v10
	v_mov_b32_e32 v1, v11
	s_lshl_b32 s12, s13, 5
	s_lshl_b32 s13, s14, 5
	s_mov_b32 s14, 0
	s_waitcnt lgkmcnt(0)
	s_cmp_lt_i32 s3, 1
	s_cbranch_scc1 .LBB114_3
; %bb.1:
	s_load_b32 s22, s[0:1], 0x30
	v_lshl_add_u32 v2, v13, 4, v12
	v_and_b32_e32 v4, 7, v12
	s_clause 0x1
	s_load_b32 s24, s[0:1], 0x18
	s_load_b128 s[16:19], s[0:1], 0x20
	s_mul_i32 s9, s9, s15
	s_mul_hi_u32 s23, s8, s15
	v_lshrrev_b32_e32 v3, 3, v2
	v_and_b32_e32 v5, 31, v2
	v_lshlrev_b32_e32 v6, 3, v4
	v_lshrrev_b32_e32 v8, 5, v2
	s_mul_i32 s8, s8, s15
	v_add_nc_u32_e32 v0, s13, v3
	v_lshlrev_b32_e32 v7, 3, v5
	v_lshl_or_b32 v6, v3, 6, v6
	s_add_i32 s9, s23, s9
	v_lshl_add_u32 v15, v13, 6, 0x800
	v_ashrrev_i32_e32 v1, 31, v0
	v_lshl_or_b32 v16, v8, 8, v7
	v_add_nc_u32_e32 v17, 0x800, v6
	s_lshl_b64 s[8:9], s[8:9], 3
	s_waitcnt lgkmcnt(0)
	s_ashr_i32 s23, s22, 31
	v_mad_i64_i32 v[2:3], null, s22, v4, v[0:1]
	v_add_nc_u32_e32 v0, s12, v5
	s_ashr_i32 s25, s24, 31
	s_add_u32 s18, s18, s8
	s_addc_u32 s19, s19, s9
	s_mul_i32 s8, s17, s15
	v_ashrrev_i32_e32 v1, 31, v0
	s_delay_alu instid0(VALU_DEP_3) | instskip(SKIP_1) | instid1(SALU_CYCLE_1)
	v_lshlrev_b64 v[2:3], 3, v[2:3]
	s_mul_hi_u32 s9, s16, s15
	s_add_i32 s9, s9, s8
	s_delay_alu instid0(VALU_DEP_2) | instskip(NEXT) | instid1(VALU_DEP_2)
	v_mad_i64_i32 v[6:7], null, s24, v8, v[0:1]
	v_add_co_u32 v4, vcc_lo, s18, v2
	s_mul_i32 s8, s16, s15
	v_add_co_ci_u32_e32 v5, vcc_lo, s19, v3, vcc_lo
	s_lshl_b64 s[16:17], s[8:9], 3
	s_delay_alu instid0(VALU_DEP_3)
	v_lshlrev_b64 v[2:3], 3, v[6:7]
	v_mov_b32_e32 v0, 0
	s_lshl_b64 s[8:9], s[22:23], 6
	v_mov_b32_e32 v1, 0
	s_add_u32 s6, s6, s16
	s_addc_u32 s7, s7, s17
	v_add_co_u32 v8, vcc_lo, s6, v2
	v_lshlrev_b32_e32 v14, 3, v12
	v_add_co_ci_u32_e32 v9, vcc_lo, s7, v3, vcc_lo
	v_mov_b32_e32 v3, v1
	v_mov_b32_e32 v7, v1
	v_dual_mov_b32 v11, v1 :: v_dual_mov_b32 v10, v0
	v_mov_b32_e32 v2, v0
	v_mov_b32_e32 v6, v0
	s_lshl_b64 s[6:7], s[24:25], 6
.LBB114_2:                              ; =>This Inner Loop Header: Depth=1
	global_load_b64 v[18:19], v[8:9], off
	global_load_b64 v[20:21], v[4:5], off
	v_add_co_u32 v4, vcc_lo, v4, s8
	v_add_co_ci_u32_e32 v5, vcc_lo, s9, v5, vcc_lo
	v_add_co_u32 v8, vcc_lo, v8, s6
	v_add_co_ci_u32_e32 v9, vcc_lo, s7, v9, vcc_lo
	s_add_i32 s14, s14, 8
	s_waitcnt vmcnt(1)
	ds_store_b64 v16, v[18:19]
	s_waitcnt vmcnt(0)
	ds_store_b64 v17, v[20:21]
	s_waitcnt lgkmcnt(0)
	s_barrier
	buffer_gl0_inv
	ds_load_2addr_b64 v[18:21], v14 offset1:16
	ds_load_b128 v[22:25], v15
	ds_load_b128 v[26:29], v15 offset:1024
	ds_load_b128 v[30:33], v15 offset:16
	;; [unrolled: 1-line block ×3, first 2 shown]
	s_cmp_ge_i32 s14, s3
	s_waitcnt lgkmcnt(3)
	v_fma_f64 v[10:11], v[18:19], v[22:23], v[10:11]
	v_fma_f64 v[6:7], v[20:21], v[22:23], v[6:7]
	s_waitcnt lgkmcnt(2)
	v_fma_f64 v[18:19], v[18:19], v[26:27], v[2:3]
	v_fma_f64 v[20:21], v[20:21], v[26:27], v[0:1]
	ds_load_2addr_b64 v[0:3], v14 offset0:32 offset1:48
	s_waitcnt lgkmcnt(0)
	v_fma_f64 v[10:11], v[0:1], v[24:25], v[10:11]
	v_fma_f64 v[6:7], v[2:3], v[24:25], v[6:7]
	v_fma_f64 v[18:19], v[0:1], v[28:29], v[18:19]
	v_fma_f64 v[20:21], v[2:3], v[28:29], v[20:21]
	ds_load_2addr_b64 v[0:3], v14 offset0:64 offset1:80
	s_waitcnt lgkmcnt(0)
	v_fma_f64 v[10:11], v[0:1], v[30:31], v[10:11]
	v_fma_f64 v[6:7], v[2:3], v[30:31], v[6:7]
	;; [unrolled: 6-line block ×3, first 2 shown]
	v_fma_f64 v[34:35], v[0:1], v[36:37], v[18:19]
	v_fma_f64 v[36:37], v[2:3], v[36:37], v[20:21]
	ds_load_2addr_b64 v[0:3], v14 offset0:128 offset1:144
	ds_load_b128 v[18:21], v15 offset:32
	ds_load_b128 v[22:25], v15 offset:1056
	;; [unrolled: 1-line block ×4, first 2 shown]
	s_waitcnt lgkmcnt(3)
	v_fma_f64 v[10:11], v[0:1], v[18:19], v[10:11]
	v_fma_f64 v[6:7], v[2:3], v[18:19], v[6:7]
	s_waitcnt lgkmcnt(2)
	v_fma_f64 v[18:19], v[0:1], v[22:23], v[34:35]
	v_fma_f64 v[22:23], v[2:3], v[22:23], v[36:37]
	ds_load_2addr_b64 v[0:3], v14 offset0:160 offset1:176
	s_waitcnt lgkmcnt(0)
	v_fma_f64 v[10:11], v[0:1], v[20:21], v[10:11]
	v_fma_f64 v[6:7], v[2:3], v[20:21], v[6:7]
	;; [unrolled: 1-line block ×4, first 2 shown]
	ds_load_2addr_b64 v[0:3], v14 offset0:192 offset1:208
	s_waitcnt lgkmcnt(0)
	v_fma_f64 v[10:11], v[0:1], v[26:27], v[10:11]
	v_fma_f64 v[6:7], v[2:3], v[26:27], v[6:7]
	;; [unrolled: 1-line block ×4, first 2 shown]
	ds_load_2addr_b64 v[18:21], v14 offset0:224 offset1:240
	s_waitcnt lgkmcnt(0)
	s_barrier
	buffer_gl0_inv
	v_fma_f64 v[10:11], v[18:19], v[28:29], v[10:11]
	v_fma_f64 v[6:7], v[20:21], v[28:29], v[6:7]
	;; [unrolled: 1-line block ×4, first 2 shown]
	s_cbranch_scc0 .LBB114_2
.LBB114_3:
	s_clause 0x1
	s_load_b32 s3, s[0:1], 0x50
	s_load_b64 s[0:1], s[0:1], 0x58
	v_add_nc_u32_e32 v13, s13, v13
	v_add_nc_u32_e32 v4, s12, v12
	s_delay_alu instid0(VALU_DEP_2)
	v_cmp_gt_i32_e32 vcc_lo, s2, v13
	s_waitcnt lgkmcnt(0)
	v_mad_i64_i32 v[8:9], null, v13, s3, 0
	s_mul_i32 s1, s15, s1
	s_mul_hi_u32 s6, s15, s0
	s_mul_i32 s0, s15, s0
	s_add_i32 s1, s6, s1
	s_delay_alu instid0(SALU_CYCLE_1) | instskip(NEXT) | instid1(VALU_DEP_1)
	s_lshl_b64 s[6:7], s[0:1], 3
	v_lshlrev_b64 v[8:9], 3, v[8:9]
	s_add_u32 s6, s20, s6
	v_cmp_le_i32_e64 s0, v4, v13
	s_addc_u32 s7, s21, s7
	s_delay_alu instid0(VALU_DEP_2) | instskip(NEXT) | instid1(VALU_DEP_1)
	v_add_co_u32 v12, s1, s6, v8
	v_add_co_ci_u32_e64 v14, s1, s7, v9, s1
	s_delay_alu instid0(VALU_DEP_3) | instskip(NEXT) | instid1(SALU_CYCLE_1)
	s_and_b32 s0, vcc_lo, s0
	s_and_saveexec_b32 s1, s0
	s_cbranch_execz .LBB114_5
; %bb.4:
	v_ashrrev_i32_e32 v5, 31, v4
	s_delay_alu instid0(VALU_DEP_1) | instskip(NEXT) | instid1(VALU_DEP_1)
	v_lshlrev_b64 v[8:9], 3, v[4:5]
	v_add_co_u32 v8, s0, v12, v8
	s_delay_alu instid0(VALU_DEP_1) | instskip(SKIP_3) | instid1(VALU_DEP_1)
	v_add_co_ci_u32_e64 v9, s0, v14, v9, s0
	global_load_b64 v[15:16], v[8:9], off
	s_waitcnt vmcnt(0)
	v_mul_f64 v[15:16], v[15:16], s[10:11]
	v_fma_f64 v[10:11], v[10:11], s[4:5], v[15:16]
	global_store_b64 v[8:9], v[10:11], off
.LBB114_5:
	s_or_b32 exec_lo, exec_lo, s1
	v_add_nc_u32_e32 v8, 16, v4
	s_delay_alu instid0(VALU_DEP_1) | instskip(NEXT) | instid1(VALU_DEP_1)
	v_cmp_le_i32_e64 s0, v8, v13
	s_and_b32 s1, vcc_lo, s0
	s_delay_alu instid0(SALU_CYCLE_1)
	s_and_saveexec_b32 s0, s1
	s_cbranch_execz .LBB114_7
; %bb.6:
	v_ashrrev_i32_e32 v9, 31, v8
	s_delay_alu instid0(VALU_DEP_1) | instskip(NEXT) | instid1(VALU_DEP_1)
	v_lshlrev_b64 v[9:10], 3, v[8:9]
	v_add_co_u32 v9, vcc_lo, v12, v9
	s_delay_alu instid0(VALU_DEP_2) | instskip(SKIP_3) | instid1(VALU_DEP_1)
	v_add_co_ci_u32_e32 v10, vcc_lo, v14, v10, vcc_lo
	global_load_b64 v[11:12], v[9:10], off
	s_waitcnt vmcnt(0)
	v_mul_f64 v[11:12], v[11:12], s[10:11]
	v_fma_f64 v[5:6], v[6:7], s[4:5], v[11:12]
	global_store_b64 v[9:10], v[5:6], off
.LBB114_7:
	s_or_b32 exec_lo, exec_lo, s0
	v_add_nc_u32_e32 v9, 16, v13
	s_delay_alu instid0(VALU_DEP_1) | instskip(SKIP_2) | instid1(VALU_DEP_1)
	v_mad_i64_i32 v[5:6], null, v9, s3, 0
	v_cmp_gt_i32_e32 vcc_lo, s2, v9
	v_cmp_le_i32_e64 s0, v4, v9
	s_and_b32 s0, vcc_lo, s0
	s_delay_alu instid0(VALU_DEP_3) | instskip(NEXT) | instid1(VALU_DEP_1)
	v_lshlrev_b64 v[6:7], 3, v[5:6]
	v_add_co_u32 v6, s1, s6, v6
	s_delay_alu instid0(VALU_DEP_1)
	v_add_co_ci_u32_e64 v7, s1, s7, v7, s1
	s_and_saveexec_b32 s1, s0
	s_cbranch_execz .LBB114_9
; %bb.8:
	v_ashrrev_i32_e32 v5, 31, v4
	s_delay_alu instid0(VALU_DEP_1) | instskip(NEXT) | instid1(VALU_DEP_1)
	v_lshlrev_b64 v[4:5], 3, v[4:5]
	v_add_co_u32 v4, s0, v6, v4
	s_delay_alu instid0(VALU_DEP_1) | instskip(SKIP_3) | instid1(VALU_DEP_1)
	v_add_co_ci_u32_e64 v5, s0, v7, v5, s0
	global_load_b64 v[10:11], v[4:5], off
	s_waitcnt vmcnt(0)
	v_mul_f64 v[10:11], v[10:11], s[10:11]
	v_fma_f64 v[2:3], v[2:3], s[4:5], v[10:11]
	global_store_b64 v[4:5], v[2:3], off
.LBB114_9:
	s_or_b32 exec_lo, exec_lo, s1
	v_cmp_le_i32_e64 s0, v8, v9
	s_delay_alu instid0(VALU_DEP_1) | instskip(NEXT) | instid1(SALU_CYCLE_1)
	s_and_b32 s0, vcc_lo, s0
	s_and_saveexec_b32 s1, s0
	s_cbranch_execz .LBB114_11
; %bb.10:
	v_ashrrev_i32_e32 v9, 31, v8
	s_delay_alu instid0(VALU_DEP_1) | instskip(NEXT) | instid1(VALU_DEP_1)
	v_lshlrev_b64 v[2:3], 3, v[8:9]
	v_add_co_u32 v2, vcc_lo, v6, v2
	s_delay_alu instid0(VALU_DEP_2) | instskip(SKIP_3) | instid1(VALU_DEP_1)
	v_add_co_ci_u32_e32 v3, vcc_lo, v7, v3, vcc_lo
	global_load_b64 v[4:5], v[2:3], off
	s_waitcnt vmcnt(0)
	v_mul_f64 v[4:5], v[4:5], s[10:11]
	v_fma_f64 v[0:1], v[0:1], s[4:5], v[4:5]
	global_store_b64 v[2:3], v[0:1], off
.LBB114_11:
	s_nop 0
	s_sendmsg sendmsg(MSG_DEALLOC_VGPRS)
	s_endpgm
	.section	.rodata,"a",@progbits
	.p2align	6, 0x0
	.amdhsa_kernel _ZL37rocblas_syrkx_herkx_restricted_kernelIidLi16ELi32ELi8ELb0ELb0ELc78ELc85EKddEviT_T0_PT8_S1_lS4_S1_lS2_PT9_S1_li
		.amdhsa_group_segment_fixed_size 4096
		.amdhsa_private_segment_fixed_size 0
		.amdhsa_kernarg_size 100
		.amdhsa_user_sgpr_count 13
		.amdhsa_user_sgpr_dispatch_ptr 0
		.amdhsa_user_sgpr_queue_ptr 0
		.amdhsa_user_sgpr_kernarg_segment_ptr 1
		.amdhsa_user_sgpr_dispatch_id 0
		.amdhsa_user_sgpr_private_segment_size 0
		.amdhsa_wavefront_size32 1
		.amdhsa_uses_dynamic_stack 0
		.amdhsa_enable_private_segment 0
		.amdhsa_system_sgpr_workgroup_id_x 1
		.amdhsa_system_sgpr_workgroup_id_y 1
		.amdhsa_system_sgpr_workgroup_id_z 1
		.amdhsa_system_sgpr_workgroup_info 0
		.amdhsa_system_vgpr_workitem_id 1
		.amdhsa_next_free_vgpr 38
		.amdhsa_next_free_sgpr 26
		.amdhsa_reserve_vcc 1
		.amdhsa_float_round_mode_32 0
		.amdhsa_float_round_mode_16_64 0
		.amdhsa_float_denorm_mode_32 3
		.amdhsa_float_denorm_mode_16_64 3
		.amdhsa_dx10_clamp 1
		.amdhsa_ieee_mode 1
		.amdhsa_fp16_overflow 0
		.amdhsa_workgroup_processor_mode 1
		.amdhsa_memory_ordered 1
		.amdhsa_forward_progress 0
		.amdhsa_shared_vgpr_count 0
		.amdhsa_exception_fp_ieee_invalid_op 0
		.amdhsa_exception_fp_denorm_src 0
		.amdhsa_exception_fp_ieee_div_zero 0
		.amdhsa_exception_fp_ieee_overflow 0
		.amdhsa_exception_fp_ieee_underflow 0
		.amdhsa_exception_fp_ieee_inexact 0
		.amdhsa_exception_int_div_zero 0
	.end_amdhsa_kernel
	.section	.text._ZL37rocblas_syrkx_herkx_restricted_kernelIidLi16ELi32ELi8ELb0ELb0ELc78ELc85EKddEviT_T0_PT8_S1_lS4_S1_lS2_PT9_S1_li,"axG",@progbits,_ZL37rocblas_syrkx_herkx_restricted_kernelIidLi16ELi32ELi8ELb0ELb0ELc78ELc85EKddEviT_T0_PT8_S1_lS4_S1_lS2_PT9_S1_li,comdat
.Lfunc_end114:
	.size	_ZL37rocblas_syrkx_herkx_restricted_kernelIidLi16ELi32ELi8ELb0ELb0ELc78ELc85EKddEviT_T0_PT8_S1_lS4_S1_lS2_PT9_S1_li, .Lfunc_end114-_ZL37rocblas_syrkx_herkx_restricted_kernelIidLi16ELi32ELi8ELb0ELb0ELc78ELc85EKddEviT_T0_PT8_S1_lS4_S1_lS2_PT9_S1_li
                                        ; -- End function
	.section	.AMDGPU.csdata,"",@progbits
; Kernel info:
; codeLenInByte = 1496
; NumSgprs: 28
; NumVgprs: 38
; ScratchSize: 0
; MemoryBound: 0
; FloatMode: 240
; IeeeMode: 1
; LDSByteSize: 4096 bytes/workgroup (compile time only)
; SGPRBlocks: 3
; VGPRBlocks: 4
; NumSGPRsForWavesPerEU: 28
; NumVGPRsForWavesPerEU: 38
; Occupancy: 16
; WaveLimiterHint : 0
; COMPUTE_PGM_RSRC2:SCRATCH_EN: 0
; COMPUTE_PGM_RSRC2:USER_SGPR: 13
; COMPUTE_PGM_RSRC2:TRAP_HANDLER: 0
; COMPUTE_PGM_RSRC2:TGID_X_EN: 1
; COMPUTE_PGM_RSRC2:TGID_Y_EN: 1
; COMPUTE_PGM_RSRC2:TGID_Z_EN: 1
; COMPUTE_PGM_RSRC2:TIDIG_COMP_CNT: 1
	.section	.text._ZL41rocblas_syrkx_herkx_small_restrict_kernelIidLi16ELb1ELb0ELc84ELc76EKddEviT_T0_PT6_S1_lS4_S1_lS2_PT7_S1_li,"axG",@progbits,_ZL41rocblas_syrkx_herkx_small_restrict_kernelIidLi16ELb1ELb0ELc84ELc76EKddEviT_T0_PT6_S1_lS4_S1_lS2_PT7_S1_li,comdat
	.globl	_ZL41rocblas_syrkx_herkx_small_restrict_kernelIidLi16ELb1ELb0ELc84ELc76EKddEviT_T0_PT6_S1_lS4_S1_lS2_PT7_S1_li ; -- Begin function _ZL41rocblas_syrkx_herkx_small_restrict_kernelIidLi16ELb1ELb0ELc84ELc76EKddEviT_T0_PT6_S1_lS4_S1_lS2_PT7_S1_li
	.p2align	8
	.type	_ZL41rocblas_syrkx_herkx_small_restrict_kernelIidLi16ELb1ELb0ELc84ELc76EKddEviT_T0_PT6_S1_lS4_S1_lS2_PT7_S1_li,@function
_ZL41rocblas_syrkx_herkx_small_restrict_kernelIidLi16ELb1ELb0ELc84ELc76EKddEviT_T0_PT6_S1_lS4_S1_lS2_PT7_S1_li: ; @_ZL41rocblas_syrkx_herkx_small_restrict_kernelIidLi16ELb1ELb0ELc84ELc76EKddEviT_T0_PT6_S1_lS4_S1_lS2_PT7_S1_li
; %bb.0:
	s_clause 0x1
	s_load_b32 s2, s[0:1], 0x4
	s_load_b128 s[4:7], s[0:1], 0x8
	v_and_b32_e32 v2, 0x3ff, v0
	v_bfe_u32 v1, v0, 10, 10
	s_mov_b32 s3, 0
	s_delay_alu instid0(VALU_DEP_2) | instskip(NEXT) | instid1(VALU_DEP_2)
	v_lshl_add_u32 v0, s13, 4, v2
	v_lshl_add_u32 v7, s14, 4, v1
	s_waitcnt lgkmcnt(0)
	s_cmp_lt_i32 s2, 1
	s_cbranch_scc1 .LBB115_6
; %bb.1:
	s_clause 0x3
	s_load_b32 s14, s[0:1], 0x30
	s_load_b64 s[12:13], s[0:1], 0x38
	s_load_b32 s16, s[0:1], 0x18
	s_load_b128 s[8:11], s[0:1], 0x20
	v_lshlrev_b32_e32 v3, 7, v1
	v_lshlrev_b32_e32 v8, 3, v2
	;; [unrolled: 1-line block ×3, first 2 shown]
	s_delay_alu instid0(VALU_DEP_3) | instskip(NEXT) | instid1(VALU_DEP_3)
	v_add_nc_u32_e32 v9, 0x800, v3
	v_add_nc_u32_e32 v10, v8, v3
	s_waitcnt lgkmcnt(0)
	v_mad_i64_i32 v[1:2], null, s14, v7, 0
	s_mul_i32 s13, s13, s15
	s_mul_hi_u32 s14, s12, s15
	v_mad_i64_i32 v[3:4], null, s16, v0, 0
	s_mul_i32 s12, s12, s15
	s_add_i32 s13, s14, s13
	s_delay_alu instid0(VALU_DEP_2)
	v_lshlrev_b64 v[1:2], 3, v[1:2]
	s_lshl_b64 s[12:13], s[12:13], 3
	s_mul_i32 s9, s9, s15
	s_mul_hi_u32 s16, s8, s15
	s_mul_i32 s8, s8, s15
	s_add_i32 s9, s16, s9
	v_add_co_u32 v6, vcc_lo, v1, s12
	v_add_co_ci_u32_e32 v12, vcc_lo, s13, v2, vcc_lo
	v_lshlrev_b64 v[1:2], 3, v[3:4]
	s_delay_alu instid0(VALU_DEP_3) | instskip(SKIP_1) | instid1(VALU_DEP_3)
	v_add_co_u32 v3, vcc_lo, v6, v8
	s_lshl_b64 s[8:9], s[8:9], 3
	v_add_co_ci_u32_e32 v4, vcc_lo, 0, v12, vcc_lo
	s_delay_alu instid0(VALU_DEP_3) | instskip(NEXT) | instid1(VALU_DEP_4)
	v_add_co_u32 v6, vcc_lo, v1, s8
	v_add_co_ci_u32_e32 v12, vcc_lo, s9, v2, vcc_lo
	v_add_co_u32 v1, vcc_lo, s10, v3
	s_delay_alu instid0(VALU_DEP_4) | instskip(NEXT) | instid1(VALU_DEP_4)
	v_add_co_ci_u32_e32 v2, vcc_lo, s11, v4, vcc_lo
	v_add_co_u32 v3, vcc_lo, v6, v5
	v_mov_b32_e32 v5, 0
	v_add_co_ci_u32_e32 v4, vcc_lo, 0, v12, vcc_lo
	s_delay_alu instid0(VALU_DEP_3) | instskip(SKIP_1) | instid1(VALU_DEP_3)
	v_add_co_u32 v3, vcc_lo, s6, v3
	v_dual_mov_b32 v6, 0 :: v_dual_add_nc_u32 v11, v9, v8
	v_add_co_ci_u32_e32 v4, vcc_lo, s7, v4, vcc_lo
.LBB115_2:                              ; =>This Inner Loop Header: Depth=1
	global_load_b64 v[12:13], v[3:4], off
	global_load_b64 v[14:15], v[1:2], off
	v_add_co_u32 v1, vcc_lo, 0x80, v1
	v_add_co_ci_u32_e32 v2, vcc_lo, 0, v2, vcc_lo
	v_add_co_u32 v3, vcc_lo, 0x80, v3
	v_add_co_ci_u32_e32 v4, vcc_lo, 0, v4, vcc_lo
	s_add_i32 s3, s3, 16
	s_waitcnt vmcnt(1)
	ds_store_b64 v10, v[12:13]
	s_waitcnt vmcnt(0)
	ds_store_b64 v11, v[14:15]
	s_waitcnt lgkmcnt(0)
	s_barrier
	buffer_gl0_inv
	ds_load_2addr_b64 v[12:15], v8 offset1:16
	ds_load_b128 v[16:19], v9
	ds_load_b128 v[20:23], v9 offset:16
	s_cmp_lt_i32 s3, s2
	s_waitcnt lgkmcnt(1)
	v_fma_f64 v[5:6], v[12:13], v[16:17], v[5:6]
	s_delay_alu instid0(VALU_DEP_1) | instskip(SKIP_3) | instid1(VALU_DEP_1)
	v_fma_f64 v[5:6], v[14:15], v[18:19], v[5:6]
	ds_load_2addr_b64 v[12:15], v8 offset0:32 offset1:48
	s_waitcnt lgkmcnt(0)
	v_fma_f64 v[5:6], v[12:13], v[20:21], v[5:6]
	v_fma_f64 v[5:6], v[14:15], v[22:23], v[5:6]
	ds_load_2addr_b64 v[12:15], v8 offset0:64 offset1:80
	ds_load_b128 v[16:19], v9 offset:32
	ds_load_b128 v[20:23], v9 offset:48
	s_waitcnt lgkmcnt(1)
	v_fma_f64 v[5:6], v[12:13], v[16:17], v[5:6]
	s_delay_alu instid0(VALU_DEP_1) | instskip(SKIP_3) | instid1(VALU_DEP_1)
	v_fma_f64 v[5:6], v[14:15], v[18:19], v[5:6]
	ds_load_2addr_b64 v[12:15], v8 offset0:96 offset1:112
	s_waitcnt lgkmcnt(0)
	v_fma_f64 v[5:6], v[12:13], v[20:21], v[5:6]
	v_fma_f64 v[5:6], v[14:15], v[22:23], v[5:6]
	ds_load_2addr_b64 v[12:15], v8 offset0:128 offset1:144
	ds_load_b128 v[16:19], v9 offset:64
	ds_load_b128 v[20:23], v9 offset:80
	;; [unrolled: 11-line block ×3, first 2 shown]
	s_waitcnt lgkmcnt(1)
	v_fma_f64 v[5:6], v[12:13], v[16:17], v[5:6]
	s_delay_alu instid0(VALU_DEP_1)
	v_fma_f64 v[5:6], v[14:15], v[18:19], v[5:6]
	ds_load_2addr_b64 v[12:15], v8 offset0:224 offset1:240
	s_waitcnt lgkmcnt(0)
	s_barrier
	buffer_gl0_inv
	v_fma_f64 v[5:6], v[12:13], v[20:21], v[5:6]
	s_delay_alu instid0(VALU_DEP_1)
	v_fma_f64 v[5:6], v[14:15], v[22:23], v[5:6]
	s_cbranch_scc1 .LBB115_2
; %bb.3:
	s_mov_b32 s2, exec_lo
	v_cmpx_le_i32_e64 v7, v0
	s_cbranch_execz .LBB115_5
.LBB115_4:
	s_clause 0x1
	s_load_b32 s6, s[0:1], 0x50
	s_load_b64 s[2:3], s[0:1], 0x58
	s_delay_alu instid0(VALU_DEP_2) | instskip(SKIP_2) | instid1(VALU_DEP_1)
	v_mul_f64 v[2:3], v[5:6], s[4:5]
	s_load_b64 s[0:1], s[0:1], 0x48
	v_ashrrev_i32_e32 v1, 31, v0
	v_lshlrev_b64 v[0:1], 3, v[0:1]
	s_waitcnt lgkmcnt(0)
	v_mad_i64_i32 v[4:5], null, s6, v7, 0
	s_mul_i32 s3, s15, s3
	s_mul_hi_u32 s4, s15, s2
	s_mul_i32 s2, s15, s2
	s_add_i32 s3, s4, s3
	s_delay_alu instid0(SALU_CYCLE_1) | instskip(NEXT) | instid1(VALU_DEP_1)
	s_lshl_b64 s[2:3], s[2:3], 3
	v_lshlrev_b64 v[4:5], 3, v[4:5]
	s_add_u32 s0, s0, s2
	s_addc_u32 s1, s1, s3
	s_delay_alu instid0(VALU_DEP_1) | instskip(NEXT) | instid1(VALU_DEP_2)
	v_add_co_u32 v4, vcc_lo, s0, v4
	v_add_co_ci_u32_e32 v5, vcc_lo, s1, v5, vcc_lo
	s_delay_alu instid0(VALU_DEP_2) | instskip(NEXT) | instid1(VALU_DEP_2)
	v_add_co_u32 v0, vcc_lo, v4, v0
	v_add_co_ci_u32_e32 v1, vcc_lo, v5, v1, vcc_lo
	global_store_b64 v[0:1], v[2:3], off
.LBB115_5:
	s_nop 0
	s_sendmsg sendmsg(MSG_DEALLOC_VGPRS)
	s_endpgm
.LBB115_6:
	v_mov_b32_e32 v5, 0
	v_mov_b32_e32 v6, 0
	s_mov_b32 s2, exec_lo
	v_cmpx_le_i32_e64 v7, v0
	s_cbranch_execnz .LBB115_4
	s_branch .LBB115_5
	.section	.rodata,"a",@progbits
	.p2align	6, 0x0
	.amdhsa_kernel _ZL41rocblas_syrkx_herkx_small_restrict_kernelIidLi16ELb1ELb0ELc84ELc76EKddEviT_T0_PT6_S1_lS4_S1_lS2_PT7_S1_li
		.amdhsa_group_segment_fixed_size 4096
		.amdhsa_private_segment_fixed_size 0
		.amdhsa_kernarg_size 100
		.amdhsa_user_sgpr_count 13
		.amdhsa_user_sgpr_dispatch_ptr 0
		.amdhsa_user_sgpr_queue_ptr 0
		.amdhsa_user_sgpr_kernarg_segment_ptr 1
		.amdhsa_user_sgpr_dispatch_id 0
		.amdhsa_user_sgpr_private_segment_size 0
		.amdhsa_wavefront_size32 1
		.amdhsa_uses_dynamic_stack 0
		.amdhsa_enable_private_segment 0
		.amdhsa_system_sgpr_workgroup_id_x 1
		.amdhsa_system_sgpr_workgroup_id_y 1
		.amdhsa_system_sgpr_workgroup_id_z 1
		.amdhsa_system_sgpr_workgroup_info 0
		.amdhsa_system_vgpr_workitem_id 1
		.amdhsa_next_free_vgpr 24
		.amdhsa_next_free_sgpr 17
		.amdhsa_reserve_vcc 1
		.amdhsa_float_round_mode_32 0
		.amdhsa_float_round_mode_16_64 0
		.amdhsa_float_denorm_mode_32 3
		.amdhsa_float_denorm_mode_16_64 3
		.amdhsa_dx10_clamp 1
		.amdhsa_ieee_mode 1
		.amdhsa_fp16_overflow 0
		.amdhsa_workgroup_processor_mode 1
		.amdhsa_memory_ordered 1
		.amdhsa_forward_progress 0
		.amdhsa_shared_vgpr_count 0
		.amdhsa_exception_fp_ieee_invalid_op 0
		.amdhsa_exception_fp_denorm_src 0
		.amdhsa_exception_fp_ieee_div_zero 0
		.amdhsa_exception_fp_ieee_overflow 0
		.amdhsa_exception_fp_ieee_underflow 0
		.amdhsa_exception_fp_ieee_inexact 0
		.amdhsa_exception_int_div_zero 0
	.end_amdhsa_kernel
	.section	.text._ZL41rocblas_syrkx_herkx_small_restrict_kernelIidLi16ELb1ELb0ELc84ELc76EKddEviT_T0_PT6_S1_lS4_S1_lS2_PT7_S1_li,"axG",@progbits,_ZL41rocblas_syrkx_herkx_small_restrict_kernelIidLi16ELb1ELb0ELc84ELc76EKddEviT_T0_PT6_S1_lS4_S1_lS2_PT7_S1_li,comdat
.Lfunc_end115:
	.size	_ZL41rocblas_syrkx_herkx_small_restrict_kernelIidLi16ELb1ELb0ELc84ELc76EKddEviT_T0_PT6_S1_lS4_S1_lS2_PT7_S1_li, .Lfunc_end115-_ZL41rocblas_syrkx_herkx_small_restrict_kernelIidLi16ELb1ELb0ELc84ELc76EKddEviT_T0_PT6_S1_lS4_S1_lS2_PT7_S1_li
                                        ; -- End function
	.section	.AMDGPU.csdata,"",@progbits
; Kernel info:
; codeLenInByte = 936
; NumSgprs: 19
; NumVgprs: 24
; ScratchSize: 0
; MemoryBound: 0
; FloatMode: 240
; IeeeMode: 1
; LDSByteSize: 4096 bytes/workgroup (compile time only)
; SGPRBlocks: 2
; VGPRBlocks: 2
; NumSGPRsForWavesPerEU: 19
; NumVGPRsForWavesPerEU: 24
; Occupancy: 16
; WaveLimiterHint : 0
; COMPUTE_PGM_RSRC2:SCRATCH_EN: 0
; COMPUTE_PGM_RSRC2:USER_SGPR: 13
; COMPUTE_PGM_RSRC2:TRAP_HANDLER: 0
; COMPUTE_PGM_RSRC2:TGID_X_EN: 1
; COMPUTE_PGM_RSRC2:TGID_Y_EN: 1
; COMPUTE_PGM_RSRC2:TGID_Z_EN: 1
; COMPUTE_PGM_RSRC2:TIDIG_COMP_CNT: 1
	.section	.text._ZL41rocblas_syrkx_herkx_small_restrict_kernelIidLi16ELb1ELb0ELc67ELc76EKddEviT_T0_PT6_S1_lS4_S1_lS2_PT7_S1_li,"axG",@progbits,_ZL41rocblas_syrkx_herkx_small_restrict_kernelIidLi16ELb1ELb0ELc67ELc76EKddEviT_T0_PT6_S1_lS4_S1_lS2_PT7_S1_li,comdat
	.globl	_ZL41rocblas_syrkx_herkx_small_restrict_kernelIidLi16ELb1ELb0ELc67ELc76EKddEviT_T0_PT6_S1_lS4_S1_lS2_PT7_S1_li ; -- Begin function _ZL41rocblas_syrkx_herkx_small_restrict_kernelIidLi16ELb1ELb0ELc67ELc76EKddEviT_T0_PT6_S1_lS4_S1_lS2_PT7_S1_li
	.p2align	8
	.type	_ZL41rocblas_syrkx_herkx_small_restrict_kernelIidLi16ELb1ELb0ELc67ELc76EKddEviT_T0_PT6_S1_lS4_S1_lS2_PT7_S1_li,@function
_ZL41rocblas_syrkx_herkx_small_restrict_kernelIidLi16ELb1ELb0ELc67ELc76EKddEviT_T0_PT6_S1_lS4_S1_lS2_PT7_S1_li: ; @_ZL41rocblas_syrkx_herkx_small_restrict_kernelIidLi16ELb1ELb0ELc67ELc76EKddEviT_T0_PT6_S1_lS4_S1_lS2_PT7_S1_li
; %bb.0:
	s_clause 0x1
	s_load_b32 s2, s[0:1], 0x4
	s_load_b128 s[4:7], s[0:1], 0x8
	v_and_b32_e32 v2, 0x3ff, v0
	v_bfe_u32 v1, v0, 10, 10
	s_mov_b32 s3, 0
	s_delay_alu instid0(VALU_DEP_2) | instskip(NEXT) | instid1(VALU_DEP_2)
	v_lshl_add_u32 v0, s13, 4, v2
	v_lshl_add_u32 v7, s14, 4, v1
	s_waitcnt lgkmcnt(0)
	s_cmp_lt_i32 s2, 1
	s_cbranch_scc1 .LBB116_6
; %bb.1:
	s_clause 0x3
	s_load_b32 s14, s[0:1], 0x30
	s_load_b64 s[12:13], s[0:1], 0x38
	s_load_b32 s16, s[0:1], 0x18
	s_load_b128 s[8:11], s[0:1], 0x20
	v_lshlrev_b32_e32 v3, 7, v1
	v_lshlrev_b32_e32 v8, 3, v2
	;; [unrolled: 1-line block ×3, first 2 shown]
	s_delay_alu instid0(VALU_DEP_3) | instskip(NEXT) | instid1(VALU_DEP_3)
	v_add_nc_u32_e32 v9, 0x800, v3
	v_add_nc_u32_e32 v10, v8, v3
	s_waitcnt lgkmcnt(0)
	v_mad_i64_i32 v[1:2], null, s14, v7, 0
	s_mul_i32 s13, s13, s15
	s_mul_hi_u32 s14, s12, s15
	v_mad_i64_i32 v[3:4], null, s16, v0, 0
	s_mul_i32 s12, s12, s15
	s_add_i32 s13, s14, s13
	s_delay_alu instid0(VALU_DEP_2)
	v_lshlrev_b64 v[1:2], 3, v[1:2]
	s_lshl_b64 s[12:13], s[12:13], 3
	s_mul_i32 s9, s9, s15
	s_mul_hi_u32 s16, s8, s15
	s_mul_i32 s8, s8, s15
	s_add_i32 s9, s16, s9
	v_add_co_u32 v6, vcc_lo, v1, s12
	v_add_co_ci_u32_e32 v12, vcc_lo, s13, v2, vcc_lo
	v_lshlrev_b64 v[1:2], 3, v[3:4]
	s_delay_alu instid0(VALU_DEP_3) | instskip(SKIP_1) | instid1(VALU_DEP_3)
	v_add_co_u32 v3, vcc_lo, v6, v8
	s_lshl_b64 s[8:9], s[8:9], 3
	v_add_co_ci_u32_e32 v4, vcc_lo, 0, v12, vcc_lo
	s_delay_alu instid0(VALU_DEP_3) | instskip(NEXT) | instid1(VALU_DEP_4)
	v_add_co_u32 v6, vcc_lo, v1, s8
	v_add_co_ci_u32_e32 v12, vcc_lo, s9, v2, vcc_lo
	v_add_co_u32 v1, vcc_lo, s10, v3
	s_delay_alu instid0(VALU_DEP_4) | instskip(NEXT) | instid1(VALU_DEP_4)
	v_add_co_ci_u32_e32 v2, vcc_lo, s11, v4, vcc_lo
	v_add_co_u32 v3, vcc_lo, v6, v5
	v_mov_b32_e32 v5, 0
	v_add_co_ci_u32_e32 v4, vcc_lo, 0, v12, vcc_lo
	s_delay_alu instid0(VALU_DEP_3) | instskip(SKIP_1) | instid1(VALU_DEP_3)
	v_add_co_u32 v3, vcc_lo, s6, v3
	v_dual_mov_b32 v6, 0 :: v_dual_add_nc_u32 v11, v9, v8
	v_add_co_ci_u32_e32 v4, vcc_lo, s7, v4, vcc_lo
.LBB116_2:                              ; =>This Inner Loop Header: Depth=1
	global_load_b64 v[12:13], v[3:4], off
	global_load_b64 v[14:15], v[1:2], off
	v_add_co_u32 v1, vcc_lo, 0x80, v1
	v_add_co_ci_u32_e32 v2, vcc_lo, 0, v2, vcc_lo
	v_add_co_u32 v3, vcc_lo, 0x80, v3
	v_add_co_ci_u32_e32 v4, vcc_lo, 0, v4, vcc_lo
	s_add_i32 s3, s3, 16
	s_waitcnt vmcnt(1)
	ds_store_b64 v10, v[12:13]
	s_waitcnt vmcnt(0)
	ds_store_b64 v11, v[14:15]
	s_waitcnt lgkmcnt(0)
	s_barrier
	buffer_gl0_inv
	ds_load_2addr_b64 v[12:15], v8 offset1:16
	ds_load_b128 v[16:19], v9
	ds_load_b128 v[20:23], v9 offset:16
	s_cmp_lt_i32 s3, s2
	s_waitcnt lgkmcnt(1)
	v_fma_f64 v[5:6], v[12:13], v[16:17], v[5:6]
	s_delay_alu instid0(VALU_DEP_1) | instskip(SKIP_3) | instid1(VALU_DEP_1)
	v_fma_f64 v[5:6], v[14:15], v[18:19], v[5:6]
	ds_load_2addr_b64 v[12:15], v8 offset0:32 offset1:48
	s_waitcnt lgkmcnt(0)
	v_fma_f64 v[5:6], v[12:13], v[20:21], v[5:6]
	v_fma_f64 v[5:6], v[14:15], v[22:23], v[5:6]
	ds_load_2addr_b64 v[12:15], v8 offset0:64 offset1:80
	ds_load_b128 v[16:19], v9 offset:32
	ds_load_b128 v[20:23], v9 offset:48
	s_waitcnt lgkmcnt(1)
	v_fma_f64 v[5:6], v[12:13], v[16:17], v[5:6]
	s_delay_alu instid0(VALU_DEP_1) | instskip(SKIP_3) | instid1(VALU_DEP_1)
	v_fma_f64 v[5:6], v[14:15], v[18:19], v[5:6]
	ds_load_2addr_b64 v[12:15], v8 offset0:96 offset1:112
	s_waitcnt lgkmcnt(0)
	v_fma_f64 v[5:6], v[12:13], v[20:21], v[5:6]
	v_fma_f64 v[5:6], v[14:15], v[22:23], v[5:6]
	ds_load_2addr_b64 v[12:15], v8 offset0:128 offset1:144
	ds_load_b128 v[16:19], v9 offset:64
	ds_load_b128 v[20:23], v9 offset:80
	;; [unrolled: 11-line block ×3, first 2 shown]
	s_waitcnt lgkmcnt(1)
	v_fma_f64 v[5:6], v[12:13], v[16:17], v[5:6]
	s_delay_alu instid0(VALU_DEP_1)
	v_fma_f64 v[5:6], v[14:15], v[18:19], v[5:6]
	ds_load_2addr_b64 v[12:15], v8 offset0:224 offset1:240
	s_waitcnt lgkmcnt(0)
	s_barrier
	buffer_gl0_inv
	v_fma_f64 v[5:6], v[12:13], v[20:21], v[5:6]
	s_delay_alu instid0(VALU_DEP_1)
	v_fma_f64 v[5:6], v[14:15], v[22:23], v[5:6]
	s_cbranch_scc1 .LBB116_2
; %bb.3:
	s_mov_b32 s2, exec_lo
	v_cmpx_le_i32_e64 v7, v0
	s_cbranch_execz .LBB116_5
.LBB116_4:
	s_clause 0x1
	s_load_b32 s6, s[0:1], 0x50
	s_load_b64 s[2:3], s[0:1], 0x58
	s_delay_alu instid0(VALU_DEP_2) | instskip(SKIP_2) | instid1(VALU_DEP_1)
	v_mul_f64 v[2:3], v[5:6], s[4:5]
	s_load_b64 s[0:1], s[0:1], 0x48
	v_ashrrev_i32_e32 v1, 31, v0
	v_lshlrev_b64 v[0:1], 3, v[0:1]
	s_waitcnt lgkmcnt(0)
	v_mad_i64_i32 v[4:5], null, s6, v7, 0
	s_mul_i32 s3, s15, s3
	s_mul_hi_u32 s4, s15, s2
	s_mul_i32 s2, s15, s2
	s_add_i32 s3, s4, s3
	s_delay_alu instid0(SALU_CYCLE_1) | instskip(NEXT) | instid1(VALU_DEP_1)
	s_lshl_b64 s[2:3], s[2:3], 3
	v_lshlrev_b64 v[4:5], 3, v[4:5]
	s_add_u32 s0, s0, s2
	s_addc_u32 s1, s1, s3
	s_delay_alu instid0(VALU_DEP_1) | instskip(NEXT) | instid1(VALU_DEP_2)
	v_add_co_u32 v4, vcc_lo, s0, v4
	v_add_co_ci_u32_e32 v5, vcc_lo, s1, v5, vcc_lo
	s_delay_alu instid0(VALU_DEP_2) | instskip(NEXT) | instid1(VALU_DEP_2)
	v_add_co_u32 v0, vcc_lo, v4, v0
	v_add_co_ci_u32_e32 v1, vcc_lo, v5, v1, vcc_lo
	global_store_b64 v[0:1], v[2:3], off
.LBB116_5:
	s_nop 0
	s_sendmsg sendmsg(MSG_DEALLOC_VGPRS)
	s_endpgm
.LBB116_6:
	v_mov_b32_e32 v5, 0
	v_mov_b32_e32 v6, 0
	s_mov_b32 s2, exec_lo
	v_cmpx_le_i32_e64 v7, v0
	s_cbranch_execnz .LBB116_4
	s_branch .LBB116_5
	.section	.rodata,"a",@progbits
	.p2align	6, 0x0
	.amdhsa_kernel _ZL41rocblas_syrkx_herkx_small_restrict_kernelIidLi16ELb1ELb0ELc67ELc76EKddEviT_T0_PT6_S1_lS4_S1_lS2_PT7_S1_li
		.amdhsa_group_segment_fixed_size 4096
		.amdhsa_private_segment_fixed_size 0
		.amdhsa_kernarg_size 100
		.amdhsa_user_sgpr_count 13
		.amdhsa_user_sgpr_dispatch_ptr 0
		.amdhsa_user_sgpr_queue_ptr 0
		.amdhsa_user_sgpr_kernarg_segment_ptr 1
		.amdhsa_user_sgpr_dispatch_id 0
		.amdhsa_user_sgpr_private_segment_size 0
		.amdhsa_wavefront_size32 1
		.amdhsa_uses_dynamic_stack 0
		.amdhsa_enable_private_segment 0
		.amdhsa_system_sgpr_workgroup_id_x 1
		.amdhsa_system_sgpr_workgroup_id_y 1
		.amdhsa_system_sgpr_workgroup_id_z 1
		.amdhsa_system_sgpr_workgroup_info 0
		.amdhsa_system_vgpr_workitem_id 1
		.amdhsa_next_free_vgpr 24
		.amdhsa_next_free_sgpr 17
		.amdhsa_reserve_vcc 1
		.amdhsa_float_round_mode_32 0
		.amdhsa_float_round_mode_16_64 0
		.amdhsa_float_denorm_mode_32 3
		.amdhsa_float_denorm_mode_16_64 3
		.amdhsa_dx10_clamp 1
		.amdhsa_ieee_mode 1
		.amdhsa_fp16_overflow 0
		.amdhsa_workgroup_processor_mode 1
		.amdhsa_memory_ordered 1
		.amdhsa_forward_progress 0
		.amdhsa_shared_vgpr_count 0
		.amdhsa_exception_fp_ieee_invalid_op 0
		.amdhsa_exception_fp_denorm_src 0
		.amdhsa_exception_fp_ieee_div_zero 0
		.amdhsa_exception_fp_ieee_overflow 0
		.amdhsa_exception_fp_ieee_underflow 0
		.amdhsa_exception_fp_ieee_inexact 0
		.amdhsa_exception_int_div_zero 0
	.end_amdhsa_kernel
	.section	.text._ZL41rocblas_syrkx_herkx_small_restrict_kernelIidLi16ELb1ELb0ELc67ELc76EKddEviT_T0_PT6_S1_lS4_S1_lS2_PT7_S1_li,"axG",@progbits,_ZL41rocblas_syrkx_herkx_small_restrict_kernelIidLi16ELb1ELb0ELc67ELc76EKddEviT_T0_PT6_S1_lS4_S1_lS2_PT7_S1_li,comdat
.Lfunc_end116:
	.size	_ZL41rocblas_syrkx_herkx_small_restrict_kernelIidLi16ELb1ELb0ELc67ELc76EKddEviT_T0_PT6_S1_lS4_S1_lS2_PT7_S1_li, .Lfunc_end116-_ZL41rocblas_syrkx_herkx_small_restrict_kernelIidLi16ELb1ELb0ELc67ELc76EKddEviT_T0_PT6_S1_lS4_S1_lS2_PT7_S1_li
                                        ; -- End function
	.section	.AMDGPU.csdata,"",@progbits
; Kernel info:
; codeLenInByte = 936
; NumSgprs: 19
; NumVgprs: 24
; ScratchSize: 0
; MemoryBound: 0
; FloatMode: 240
; IeeeMode: 1
; LDSByteSize: 4096 bytes/workgroup (compile time only)
; SGPRBlocks: 2
; VGPRBlocks: 2
; NumSGPRsForWavesPerEU: 19
; NumVGPRsForWavesPerEU: 24
; Occupancy: 16
; WaveLimiterHint : 0
; COMPUTE_PGM_RSRC2:SCRATCH_EN: 0
; COMPUTE_PGM_RSRC2:USER_SGPR: 13
; COMPUTE_PGM_RSRC2:TRAP_HANDLER: 0
; COMPUTE_PGM_RSRC2:TGID_X_EN: 1
; COMPUTE_PGM_RSRC2:TGID_Y_EN: 1
; COMPUTE_PGM_RSRC2:TGID_Z_EN: 1
; COMPUTE_PGM_RSRC2:TIDIG_COMP_CNT: 1
	.section	.text._ZL41rocblas_syrkx_herkx_small_restrict_kernelIidLi16ELb1ELb0ELc78ELc76EKddEviT_T0_PT6_S1_lS4_S1_lS2_PT7_S1_li,"axG",@progbits,_ZL41rocblas_syrkx_herkx_small_restrict_kernelIidLi16ELb1ELb0ELc78ELc76EKddEviT_T0_PT6_S1_lS4_S1_lS2_PT7_S1_li,comdat
	.globl	_ZL41rocblas_syrkx_herkx_small_restrict_kernelIidLi16ELb1ELb0ELc78ELc76EKddEviT_T0_PT6_S1_lS4_S1_lS2_PT7_S1_li ; -- Begin function _ZL41rocblas_syrkx_herkx_small_restrict_kernelIidLi16ELb1ELb0ELc78ELc76EKddEviT_T0_PT6_S1_lS4_S1_lS2_PT7_S1_li
	.p2align	8
	.type	_ZL41rocblas_syrkx_herkx_small_restrict_kernelIidLi16ELb1ELb0ELc78ELc76EKddEviT_T0_PT6_S1_lS4_S1_lS2_PT7_S1_li,@function
_ZL41rocblas_syrkx_herkx_small_restrict_kernelIidLi16ELb1ELb0ELc78ELc76EKddEviT_T0_PT6_S1_lS4_S1_lS2_PT7_S1_li: ; @_ZL41rocblas_syrkx_herkx_small_restrict_kernelIidLi16ELb1ELb0ELc78ELc76EKddEviT_T0_PT6_S1_lS4_S1_lS2_PT7_S1_li
; %bb.0:
	s_clause 0x1
	s_load_b32 s12, s[0:1], 0x4
	s_load_b128 s[4:7], s[0:1], 0x8
	v_and_b32_e32 v5, 0x3ff, v0
	v_bfe_u32 v4, v0, 10, 10
	s_delay_alu instid0(VALU_DEP_2) | instskip(NEXT) | instid1(VALU_DEP_2)
	v_lshl_add_u32 v0, s13, 4, v5
	v_lshl_add_u32 v2, s14, 4, v4
	s_mov_b32 s13, 0
	s_delay_alu instid0(VALU_DEP_2)
	v_ashrrev_i32_e32 v1, 31, v0
	s_waitcnt lgkmcnt(0)
	s_cmp_lt_i32 s12, 1
	s_cbranch_scc1 .LBB117_6
; %bb.1:
	s_clause 0x3
	s_load_b32 s2, s[0:1], 0x30
	s_load_b64 s[16:17], s[0:1], 0x38
	s_load_b128 s[8:11], s[0:1], 0x20
	s_load_b32 s18, s[0:1], 0x18
	v_ashrrev_i32_e32 v3, 31, v2
	v_lshlrev_b32_e32 v8, 7, v4
	v_lshlrev_b32_e32 v9, 3, v5
	v_lshlrev_b64 v[6:7], 3, v[0:1]
	s_delay_alu instid0(VALU_DEP_4) | instskip(NEXT) | instid1(VALU_DEP_4)
	v_lshlrev_b64 v[13:14], 3, v[2:3]
	v_add_nc_u32_e32 v10, 0x800, v8
	s_delay_alu instid0(VALU_DEP_4)
	v_add_nc_u32_e32 v11, v9, v8
	s_waitcnt lgkmcnt(0)
	v_mad_i64_i32 v[15:16], null, s2, v5, 0
	s_mul_i32 s14, s17, s15
	s_mul_hi_u32 s17, s16, s15
	v_mad_i64_i32 v[17:18], null, s18, v4, 0
	s_mul_i32 s16, s16, s15
	s_add_i32 s17, s17, s14
	s_delay_alu instid0(VALU_DEP_2)
	v_lshlrev_b64 v[3:4], 3, v[15:16]
	s_lshl_b64 s[16:17], s[16:17], 3
	s_mul_i32 s9, s9, s15
	s_mul_hi_u32 s19, s8, s15
	s_mul_i32 s8, s8, s15
	s_add_i32 s9, s19, s9
	v_add_co_u32 v5, vcc_lo, s16, v3
	v_add_co_ci_u32_e32 v8, vcc_lo, s17, v4, vcc_lo
	v_lshlrev_b64 v[3:4], 3, v[17:18]
	s_delay_alu instid0(VALU_DEP_3) | instskip(SKIP_1) | instid1(VALU_DEP_3)
	v_add_co_u32 v5, vcc_lo, v5, v13
	s_lshl_b64 s[8:9], s[8:9], 3
	v_add_co_ci_u32_e32 v8, vcc_lo, v8, v14, vcc_lo
	s_delay_alu instid0(VALU_DEP_3) | instskip(NEXT) | instid1(VALU_DEP_4)
	v_add_co_u32 v13, vcc_lo, s8, v3
	v_add_co_ci_u32_e32 v14, vcc_lo, s9, v4, vcc_lo
	v_add_co_u32 v3, vcc_lo, s10, v5
	s_delay_alu instid0(VALU_DEP_4) | instskip(NEXT) | instid1(VALU_DEP_4)
	v_add_co_ci_u32_e32 v4, vcc_lo, s11, v8, vcc_lo
	v_add_co_u32 v5, vcc_lo, v13, v6
	s_delay_alu instid0(VALU_DEP_4) | instskip(SKIP_1) | instid1(VALU_DEP_3)
	v_add_co_ci_u32_e32 v6, vcc_lo, v14, v7, vcc_lo
	v_mov_b32_e32 v7, 0
	v_add_co_u32 v5, vcc_lo, s6, v5
	v_mov_b32_e32 v8, 0
	v_add_nc_u32_e32 v12, v10, v9
	v_add_co_ci_u32_e32 v6, vcc_lo, s7, v6, vcc_lo
	s_ashr_i32 s3, s2, 31
	s_ashr_i32 s19, s18, 31
	s_lshl_b64 s[2:3], s[2:3], 7
	s_lshl_b64 s[6:7], s[18:19], 7
.LBB117_2:                              ; =>This Inner Loop Header: Depth=1
	global_load_b64 v[13:14], v[5:6], off
	global_load_b64 v[15:16], v[3:4], off
	v_add_co_u32 v3, vcc_lo, v3, s2
	v_add_co_ci_u32_e32 v4, vcc_lo, s3, v4, vcc_lo
	v_add_co_u32 v5, vcc_lo, v5, s6
	v_add_co_ci_u32_e32 v6, vcc_lo, s7, v6, vcc_lo
	s_add_i32 s13, s13, 16
	s_waitcnt vmcnt(1)
	ds_store_b64 v11, v[13:14]
	s_waitcnt vmcnt(0)
	ds_store_b64 v12, v[15:16]
	s_waitcnt lgkmcnt(0)
	s_barrier
	buffer_gl0_inv
	ds_load_2addr_b64 v[13:16], v9 offset1:16
	ds_load_b128 v[17:20], v10
	ds_load_b128 v[21:24], v10 offset:16
	s_cmp_lt_i32 s13, s12
	s_waitcnt lgkmcnt(1)
	v_fma_f64 v[7:8], v[13:14], v[17:18], v[7:8]
	s_delay_alu instid0(VALU_DEP_1) | instskip(SKIP_3) | instid1(VALU_DEP_1)
	v_fma_f64 v[7:8], v[15:16], v[19:20], v[7:8]
	ds_load_2addr_b64 v[13:16], v9 offset0:32 offset1:48
	s_waitcnt lgkmcnt(0)
	v_fma_f64 v[7:8], v[13:14], v[21:22], v[7:8]
	v_fma_f64 v[7:8], v[15:16], v[23:24], v[7:8]
	ds_load_2addr_b64 v[13:16], v9 offset0:64 offset1:80
	ds_load_b128 v[17:20], v10 offset:32
	ds_load_b128 v[21:24], v10 offset:48
	s_waitcnt lgkmcnt(1)
	v_fma_f64 v[7:8], v[13:14], v[17:18], v[7:8]
	s_delay_alu instid0(VALU_DEP_1) | instskip(SKIP_3) | instid1(VALU_DEP_1)
	v_fma_f64 v[7:8], v[15:16], v[19:20], v[7:8]
	ds_load_2addr_b64 v[13:16], v9 offset0:96 offset1:112
	s_waitcnt lgkmcnt(0)
	v_fma_f64 v[7:8], v[13:14], v[21:22], v[7:8]
	v_fma_f64 v[7:8], v[15:16], v[23:24], v[7:8]
	ds_load_2addr_b64 v[13:16], v9 offset0:128 offset1:144
	ds_load_b128 v[17:20], v10 offset:64
	ds_load_b128 v[21:24], v10 offset:80
	;; [unrolled: 11-line block ×3, first 2 shown]
	s_waitcnt lgkmcnt(1)
	v_fma_f64 v[7:8], v[13:14], v[17:18], v[7:8]
	s_delay_alu instid0(VALU_DEP_1)
	v_fma_f64 v[7:8], v[15:16], v[19:20], v[7:8]
	ds_load_2addr_b64 v[13:16], v9 offset0:224 offset1:240
	s_waitcnt lgkmcnt(0)
	s_barrier
	buffer_gl0_inv
	v_fma_f64 v[7:8], v[13:14], v[21:22], v[7:8]
	s_delay_alu instid0(VALU_DEP_1)
	v_fma_f64 v[7:8], v[15:16], v[23:24], v[7:8]
	s_cbranch_scc1 .LBB117_2
; %bb.3:
	s_mov_b32 s2, exec_lo
	v_cmpx_le_i32_e64 v2, v0
	s_cbranch_execz .LBB117_5
.LBB117_4:
	s_clause 0x1
	s_load_b32 s6, s[0:1], 0x50
	s_load_b64 s[2:3], s[0:1], 0x58
	s_delay_alu instid0(VALU_DEP_2)
	v_mul_f64 v[3:4], v[7:8], s[4:5]
	s_load_b64 s[0:1], s[0:1], 0x48
	v_lshlrev_b64 v[0:1], 3, v[0:1]
	s_waitcnt lgkmcnt(0)
	v_mad_i64_i32 v[5:6], null, s6, v2, 0
	s_mul_i32 s3, s15, s3
	s_mul_hi_u32 s4, s15, s2
	s_mul_i32 s2, s15, s2
	s_add_i32 s3, s4, s3
	s_delay_alu instid0(SALU_CYCLE_1) | instskip(NEXT) | instid1(VALU_DEP_1)
	s_lshl_b64 s[2:3], s[2:3], 3
	v_lshlrev_b64 v[5:6], 3, v[5:6]
	s_add_u32 s0, s0, s2
	s_addc_u32 s1, s1, s3
	s_delay_alu instid0(VALU_DEP_1) | instskip(NEXT) | instid1(VALU_DEP_2)
	v_add_co_u32 v2, vcc_lo, s0, v5
	v_add_co_ci_u32_e32 v5, vcc_lo, s1, v6, vcc_lo
	s_delay_alu instid0(VALU_DEP_2) | instskip(NEXT) | instid1(VALU_DEP_2)
	v_add_co_u32 v0, vcc_lo, v2, v0
	v_add_co_ci_u32_e32 v1, vcc_lo, v5, v1, vcc_lo
	global_store_b64 v[0:1], v[3:4], off
.LBB117_5:
	s_nop 0
	s_sendmsg sendmsg(MSG_DEALLOC_VGPRS)
	s_endpgm
.LBB117_6:
	v_mov_b32_e32 v7, 0
	v_mov_b32_e32 v8, 0
	s_mov_b32 s2, exec_lo
	v_cmpx_le_i32_e64 v2, v0
	s_cbranch_execnz .LBB117_4
	s_branch .LBB117_5
	.section	.rodata,"a",@progbits
	.p2align	6, 0x0
	.amdhsa_kernel _ZL41rocblas_syrkx_herkx_small_restrict_kernelIidLi16ELb1ELb0ELc78ELc76EKddEviT_T0_PT6_S1_lS4_S1_lS2_PT7_S1_li
		.amdhsa_group_segment_fixed_size 4096
		.amdhsa_private_segment_fixed_size 0
		.amdhsa_kernarg_size 100
		.amdhsa_user_sgpr_count 13
		.amdhsa_user_sgpr_dispatch_ptr 0
		.amdhsa_user_sgpr_queue_ptr 0
		.amdhsa_user_sgpr_kernarg_segment_ptr 1
		.amdhsa_user_sgpr_dispatch_id 0
		.amdhsa_user_sgpr_private_segment_size 0
		.amdhsa_wavefront_size32 1
		.amdhsa_uses_dynamic_stack 0
		.amdhsa_enable_private_segment 0
		.amdhsa_system_sgpr_workgroup_id_x 1
		.amdhsa_system_sgpr_workgroup_id_y 1
		.amdhsa_system_sgpr_workgroup_id_z 1
		.amdhsa_system_sgpr_workgroup_info 0
		.amdhsa_system_vgpr_workitem_id 1
		.amdhsa_next_free_vgpr 25
		.amdhsa_next_free_sgpr 20
		.amdhsa_reserve_vcc 1
		.amdhsa_float_round_mode_32 0
		.amdhsa_float_round_mode_16_64 0
		.amdhsa_float_denorm_mode_32 3
		.amdhsa_float_denorm_mode_16_64 3
		.amdhsa_dx10_clamp 1
		.amdhsa_ieee_mode 1
		.amdhsa_fp16_overflow 0
		.amdhsa_workgroup_processor_mode 1
		.amdhsa_memory_ordered 1
		.amdhsa_forward_progress 0
		.amdhsa_shared_vgpr_count 0
		.amdhsa_exception_fp_ieee_invalid_op 0
		.amdhsa_exception_fp_denorm_src 0
		.amdhsa_exception_fp_ieee_div_zero 0
		.amdhsa_exception_fp_ieee_overflow 0
		.amdhsa_exception_fp_ieee_underflow 0
		.amdhsa_exception_fp_ieee_inexact 0
		.amdhsa_exception_int_div_zero 0
	.end_amdhsa_kernel
	.section	.text._ZL41rocblas_syrkx_herkx_small_restrict_kernelIidLi16ELb1ELb0ELc78ELc76EKddEviT_T0_PT6_S1_lS4_S1_lS2_PT7_S1_li,"axG",@progbits,_ZL41rocblas_syrkx_herkx_small_restrict_kernelIidLi16ELb1ELb0ELc78ELc76EKddEviT_T0_PT6_S1_lS4_S1_lS2_PT7_S1_li,comdat
.Lfunc_end117:
	.size	_ZL41rocblas_syrkx_herkx_small_restrict_kernelIidLi16ELb1ELb0ELc78ELc76EKddEviT_T0_PT6_S1_lS4_S1_lS2_PT7_S1_li, .Lfunc_end117-_ZL41rocblas_syrkx_herkx_small_restrict_kernelIidLi16ELb1ELb0ELc78ELc76EKddEviT_T0_PT6_S1_lS4_S1_lS2_PT7_S1_li
                                        ; -- End function
	.section	.AMDGPU.csdata,"",@progbits
; Kernel info:
; codeLenInByte = 968
; NumSgprs: 22
; NumVgprs: 25
; ScratchSize: 0
; MemoryBound: 0
; FloatMode: 240
; IeeeMode: 1
; LDSByteSize: 4096 bytes/workgroup (compile time only)
; SGPRBlocks: 2
; VGPRBlocks: 3
; NumSGPRsForWavesPerEU: 22
; NumVGPRsForWavesPerEU: 25
; Occupancy: 16
; WaveLimiterHint : 0
; COMPUTE_PGM_RSRC2:SCRATCH_EN: 0
; COMPUTE_PGM_RSRC2:USER_SGPR: 13
; COMPUTE_PGM_RSRC2:TRAP_HANDLER: 0
; COMPUTE_PGM_RSRC2:TGID_X_EN: 1
; COMPUTE_PGM_RSRC2:TGID_Y_EN: 1
; COMPUTE_PGM_RSRC2:TGID_Z_EN: 1
; COMPUTE_PGM_RSRC2:TIDIG_COMP_CNT: 1
	.section	.text._ZL41rocblas_syrkx_herkx_small_restrict_kernelIidLi16ELb1ELb0ELc84ELc85EKddEviT_T0_PT6_S1_lS4_S1_lS2_PT7_S1_li,"axG",@progbits,_ZL41rocblas_syrkx_herkx_small_restrict_kernelIidLi16ELb1ELb0ELc84ELc85EKddEviT_T0_PT6_S1_lS4_S1_lS2_PT7_S1_li,comdat
	.globl	_ZL41rocblas_syrkx_herkx_small_restrict_kernelIidLi16ELb1ELb0ELc84ELc85EKddEviT_T0_PT6_S1_lS4_S1_lS2_PT7_S1_li ; -- Begin function _ZL41rocblas_syrkx_herkx_small_restrict_kernelIidLi16ELb1ELb0ELc84ELc85EKddEviT_T0_PT6_S1_lS4_S1_lS2_PT7_S1_li
	.p2align	8
	.type	_ZL41rocblas_syrkx_herkx_small_restrict_kernelIidLi16ELb1ELb0ELc84ELc85EKddEviT_T0_PT6_S1_lS4_S1_lS2_PT7_S1_li,@function
_ZL41rocblas_syrkx_herkx_small_restrict_kernelIidLi16ELb1ELb0ELc84ELc85EKddEviT_T0_PT6_S1_lS4_S1_lS2_PT7_S1_li: ; @_ZL41rocblas_syrkx_herkx_small_restrict_kernelIidLi16ELb1ELb0ELc84ELc85EKddEviT_T0_PT6_S1_lS4_S1_lS2_PT7_S1_li
; %bb.0:
	s_clause 0x1
	s_load_b32 s2, s[0:1], 0x4
	s_load_b128 s[4:7], s[0:1], 0x8
	v_and_b32_e32 v2, 0x3ff, v0
	v_bfe_u32 v1, v0, 10, 10
	s_mov_b32 s3, 0
	s_delay_alu instid0(VALU_DEP_2) | instskip(NEXT) | instid1(VALU_DEP_2)
	v_lshl_add_u32 v0, s13, 4, v2
	v_lshl_add_u32 v7, s14, 4, v1
	s_waitcnt lgkmcnt(0)
	s_cmp_lt_i32 s2, 1
	s_cbranch_scc1 .LBB118_6
; %bb.1:
	s_clause 0x3
	s_load_b32 s14, s[0:1], 0x30
	s_load_b64 s[12:13], s[0:1], 0x38
	s_load_b32 s16, s[0:1], 0x18
	s_load_b128 s[8:11], s[0:1], 0x20
	v_lshlrev_b32_e32 v3, 7, v1
	v_lshlrev_b32_e32 v8, 3, v2
	;; [unrolled: 1-line block ×3, first 2 shown]
	s_delay_alu instid0(VALU_DEP_3) | instskip(NEXT) | instid1(VALU_DEP_3)
	v_add_nc_u32_e32 v9, 0x800, v3
	v_add_nc_u32_e32 v10, v8, v3
	s_waitcnt lgkmcnt(0)
	v_mad_i64_i32 v[1:2], null, s14, v7, 0
	s_mul_i32 s13, s13, s15
	s_mul_hi_u32 s14, s12, s15
	v_mad_i64_i32 v[3:4], null, s16, v0, 0
	s_mul_i32 s12, s12, s15
	s_add_i32 s13, s14, s13
	s_delay_alu instid0(VALU_DEP_2)
	v_lshlrev_b64 v[1:2], 3, v[1:2]
	s_lshl_b64 s[12:13], s[12:13], 3
	s_mul_i32 s9, s9, s15
	s_mul_hi_u32 s16, s8, s15
	s_mul_i32 s8, s8, s15
	s_add_i32 s9, s16, s9
	v_add_co_u32 v6, vcc_lo, v1, s12
	v_add_co_ci_u32_e32 v12, vcc_lo, s13, v2, vcc_lo
	v_lshlrev_b64 v[1:2], 3, v[3:4]
	s_delay_alu instid0(VALU_DEP_3) | instskip(SKIP_1) | instid1(VALU_DEP_3)
	v_add_co_u32 v3, vcc_lo, v6, v8
	s_lshl_b64 s[8:9], s[8:9], 3
	v_add_co_ci_u32_e32 v4, vcc_lo, 0, v12, vcc_lo
	s_delay_alu instid0(VALU_DEP_3) | instskip(NEXT) | instid1(VALU_DEP_4)
	v_add_co_u32 v6, vcc_lo, v1, s8
	v_add_co_ci_u32_e32 v12, vcc_lo, s9, v2, vcc_lo
	v_add_co_u32 v1, vcc_lo, s10, v3
	s_delay_alu instid0(VALU_DEP_4) | instskip(NEXT) | instid1(VALU_DEP_4)
	v_add_co_ci_u32_e32 v2, vcc_lo, s11, v4, vcc_lo
	v_add_co_u32 v3, vcc_lo, v6, v5
	v_mov_b32_e32 v5, 0
	v_add_co_ci_u32_e32 v4, vcc_lo, 0, v12, vcc_lo
	s_delay_alu instid0(VALU_DEP_3) | instskip(SKIP_1) | instid1(VALU_DEP_3)
	v_add_co_u32 v3, vcc_lo, s6, v3
	v_dual_mov_b32 v6, 0 :: v_dual_add_nc_u32 v11, v9, v8
	v_add_co_ci_u32_e32 v4, vcc_lo, s7, v4, vcc_lo
.LBB118_2:                              ; =>This Inner Loop Header: Depth=1
	global_load_b64 v[12:13], v[3:4], off
	global_load_b64 v[14:15], v[1:2], off
	v_add_co_u32 v1, vcc_lo, 0x80, v1
	v_add_co_ci_u32_e32 v2, vcc_lo, 0, v2, vcc_lo
	v_add_co_u32 v3, vcc_lo, 0x80, v3
	v_add_co_ci_u32_e32 v4, vcc_lo, 0, v4, vcc_lo
	s_add_i32 s3, s3, 16
	s_waitcnt vmcnt(1)
	ds_store_b64 v10, v[12:13]
	s_waitcnt vmcnt(0)
	ds_store_b64 v11, v[14:15]
	s_waitcnt lgkmcnt(0)
	s_barrier
	buffer_gl0_inv
	ds_load_2addr_b64 v[12:15], v8 offset1:16
	ds_load_b128 v[16:19], v9
	ds_load_b128 v[20:23], v9 offset:16
	s_cmp_lt_i32 s3, s2
	s_waitcnt lgkmcnt(1)
	v_fma_f64 v[5:6], v[12:13], v[16:17], v[5:6]
	s_delay_alu instid0(VALU_DEP_1) | instskip(SKIP_3) | instid1(VALU_DEP_1)
	v_fma_f64 v[5:6], v[14:15], v[18:19], v[5:6]
	ds_load_2addr_b64 v[12:15], v8 offset0:32 offset1:48
	s_waitcnt lgkmcnt(0)
	v_fma_f64 v[5:6], v[12:13], v[20:21], v[5:6]
	v_fma_f64 v[5:6], v[14:15], v[22:23], v[5:6]
	ds_load_2addr_b64 v[12:15], v8 offset0:64 offset1:80
	ds_load_b128 v[16:19], v9 offset:32
	ds_load_b128 v[20:23], v9 offset:48
	s_waitcnt lgkmcnt(1)
	v_fma_f64 v[5:6], v[12:13], v[16:17], v[5:6]
	s_delay_alu instid0(VALU_DEP_1) | instskip(SKIP_3) | instid1(VALU_DEP_1)
	v_fma_f64 v[5:6], v[14:15], v[18:19], v[5:6]
	ds_load_2addr_b64 v[12:15], v8 offset0:96 offset1:112
	s_waitcnt lgkmcnt(0)
	v_fma_f64 v[5:6], v[12:13], v[20:21], v[5:6]
	v_fma_f64 v[5:6], v[14:15], v[22:23], v[5:6]
	ds_load_2addr_b64 v[12:15], v8 offset0:128 offset1:144
	ds_load_b128 v[16:19], v9 offset:64
	ds_load_b128 v[20:23], v9 offset:80
	;; [unrolled: 11-line block ×3, first 2 shown]
	s_waitcnt lgkmcnt(1)
	v_fma_f64 v[5:6], v[12:13], v[16:17], v[5:6]
	s_delay_alu instid0(VALU_DEP_1)
	v_fma_f64 v[5:6], v[14:15], v[18:19], v[5:6]
	ds_load_2addr_b64 v[12:15], v8 offset0:224 offset1:240
	s_waitcnt lgkmcnt(0)
	s_barrier
	buffer_gl0_inv
	v_fma_f64 v[5:6], v[12:13], v[20:21], v[5:6]
	s_delay_alu instid0(VALU_DEP_1)
	v_fma_f64 v[5:6], v[14:15], v[22:23], v[5:6]
	s_cbranch_scc1 .LBB118_2
; %bb.3:
	s_mov_b32 s2, exec_lo
	v_cmpx_le_i32_e64 v0, v7
	s_cbranch_execz .LBB118_5
.LBB118_4:
	s_clause 0x1
	s_load_b32 s6, s[0:1], 0x50
	s_load_b64 s[2:3], s[0:1], 0x58
	s_delay_alu instid0(VALU_DEP_2) | instskip(SKIP_2) | instid1(VALU_DEP_1)
	v_mul_f64 v[2:3], v[5:6], s[4:5]
	s_load_b64 s[0:1], s[0:1], 0x48
	v_ashrrev_i32_e32 v1, 31, v0
	v_lshlrev_b64 v[0:1], 3, v[0:1]
	s_waitcnt lgkmcnt(0)
	v_mad_i64_i32 v[4:5], null, s6, v7, 0
	s_mul_i32 s3, s15, s3
	s_mul_hi_u32 s4, s15, s2
	s_mul_i32 s2, s15, s2
	s_add_i32 s3, s4, s3
	s_delay_alu instid0(SALU_CYCLE_1) | instskip(NEXT) | instid1(VALU_DEP_1)
	s_lshl_b64 s[2:3], s[2:3], 3
	v_lshlrev_b64 v[4:5], 3, v[4:5]
	s_add_u32 s0, s0, s2
	s_addc_u32 s1, s1, s3
	s_delay_alu instid0(VALU_DEP_1) | instskip(NEXT) | instid1(VALU_DEP_2)
	v_add_co_u32 v4, vcc_lo, s0, v4
	v_add_co_ci_u32_e32 v5, vcc_lo, s1, v5, vcc_lo
	s_delay_alu instid0(VALU_DEP_2) | instskip(NEXT) | instid1(VALU_DEP_2)
	v_add_co_u32 v0, vcc_lo, v4, v0
	v_add_co_ci_u32_e32 v1, vcc_lo, v5, v1, vcc_lo
	global_store_b64 v[0:1], v[2:3], off
.LBB118_5:
	s_nop 0
	s_sendmsg sendmsg(MSG_DEALLOC_VGPRS)
	s_endpgm
.LBB118_6:
	v_mov_b32_e32 v5, 0
	v_mov_b32_e32 v6, 0
	s_mov_b32 s2, exec_lo
	v_cmpx_le_i32_e64 v0, v7
	s_cbranch_execnz .LBB118_4
	s_branch .LBB118_5
	.section	.rodata,"a",@progbits
	.p2align	6, 0x0
	.amdhsa_kernel _ZL41rocblas_syrkx_herkx_small_restrict_kernelIidLi16ELb1ELb0ELc84ELc85EKddEviT_T0_PT6_S1_lS4_S1_lS2_PT7_S1_li
		.amdhsa_group_segment_fixed_size 4096
		.amdhsa_private_segment_fixed_size 0
		.amdhsa_kernarg_size 100
		.amdhsa_user_sgpr_count 13
		.amdhsa_user_sgpr_dispatch_ptr 0
		.amdhsa_user_sgpr_queue_ptr 0
		.amdhsa_user_sgpr_kernarg_segment_ptr 1
		.amdhsa_user_sgpr_dispatch_id 0
		.amdhsa_user_sgpr_private_segment_size 0
		.amdhsa_wavefront_size32 1
		.amdhsa_uses_dynamic_stack 0
		.amdhsa_enable_private_segment 0
		.amdhsa_system_sgpr_workgroup_id_x 1
		.amdhsa_system_sgpr_workgroup_id_y 1
		.amdhsa_system_sgpr_workgroup_id_z 1
		.amdhsa_system_sgpr_workgroup_info 0
		.amdhsa_system_vgpr_workitem_id 1
		.amdhsa_next_free_vgpr 24
		.amdhsa_next_free_sgpr 17
		.amdhsa_reserve_vcc 1
		.amdhsa_float_round_mode_32 0
		.amdhsa_float_round_mode_16_64 0
		.amdhsa_float_denorm_mode_32 3
		.amdhsa_float_denorm_mode_16_64 3
		.amdhsa_dx10_clamp 1
		.amdhsa_ieee_mode 1
		.amdhsa_fp16_overflow 0
		.amdhsa_workgroup_processor_mode 1
		.amdhsa_memory_ordered 1
		.amdhsa_forward_progress 0
		.amdhsa_shared_vgpr_count 0
		.amdhsa_exception_fp_ieee_invalid_op 0
		.amdhsa_exception_fp_denorm_src 0
		.amdhsa_exception_fp_ieee_div_zero 0
		.amdhsa_exception_fp_ieee_overflow 0
		.amdhsa_exception_fp_ieee_underflow 0
		.amdhsa_exception_fp_ieee_inexact 0
		.amdhsa_exception_int_div_zero 0
	.end_amdhsa_kernel
	.section	.text._ZL41rocblas_syrkx_herkx_small_restrict_kernelIidLi16ELb1ELb0ELc84ELc85EKddEviT_T0_PT6_S1_lS4_S1_lS2_PT7_S1_li,"axG",@progbits,_ZL41rocblas_syrkx_herkx_small_restrict_kernelIidLi16ELb1ELb0ELc84ELc85EKddEviT_T0_PT6_S1_lS4_S1_lS2_PT7_S1_li,comdat
.Lfunc_end118:
	.size	_ZL41rocblas_syrkx_herkx_small_restrict_kernelIidLi16ELb1ELb0ELc84ELc85EKddEviT_T0_PT6_S1_lS4_S1_lS2_PT7_S1_li, .Lfunc_end118-_ZL41rocblas_syrkx_herkx_small_restrict_kernelIidLi16ELb1ELb0ELc84ELc85EKddEviT_T0_PT6_S1_lS4_S1_lS2_PT7_S1_li
                                        ; -- End function
	.section	.AMDGPU.csdata,"",@progbits
; Kernel info:
; codeLenInByte = 936
; NumSgprs: 19
; NumVgprs: 24
; ScratchSize: 0
; MemoryBound: 0
; FloatMode: 240
; IeeeMode: 1
; LDSByteSize: 4096 bytes/workgroup (compile time only)
; SGPRBlocks: 2
; VGPRBlocks: 2
; NumSGPRsForWavesPerEU: 19
; NumVGPRsForWavesPerEU: 24
; Occupancy: 16
; WaveLimiterHint : 0
; COMPUTE_PGM_RSRC2:SCRATCH_EN: 0
; COMPUTE_PGM_RSRC2:USER_SGPR: 13
; COMPUTE_PGM_RSRC2:TRAP_HANDLER: 0
; COMPUTE_PGM_RSRC2:TGID_X_EN: 1
; COMPUTE_PGM_RSRC2:TGID_Y_EN: 1
; COMPUTE_PGM_RSRC2:TGID_Z_EN: 1
; COMPUTE_PGM_RSRC2:TIDIG_COMP_CNT: 1
	.section	.text._ZL41rocblas_syrkx_herkx_small_restrict_kernelIidLi16ELb1ELb0ELc67ELc85EKddEviT_T0_PT6_S1_lS4_S1_lS2_PT7_S1_li,"axG",@progbits,_ZL41rocblas_syrkx_herkx_small_restrict_kernelIidLi16ELb1ELb0ELc67ELc85EKddEviT_T0_PT6_S1_lS4_S1_lS2_PT7_S1_li,comdat
	.globl	_ZL41rocblas_syrkx_herkx_small_restrict_kernelIidLi16ELb1ELb0ELc67ELc85EKddEviT_T0_PT6_S1_lS4_S1_lS2_PT7_S1_li ; -- Begin function _ZL41rocblas_syrkx_herkx_small_restrict_kernelIidLi16ELb1ELb0ELc67ELc85EKddEviT_T0_PT6_S1_lS4_S1_lS2_PT7_S1_li
	.p2align	8
	.type	_ZL41rocblas_syrkx_herkx_small_restrict_kernelIidLi16ELb1ELb0ELc67ELc85EKddEviT_T0_PT6_S1_lS4_S1_lS2_PT7_S1_li,@function
_ZL41rocblas_syrkx_herkx_small_restrict_kernelIidLi16ELb1ELb0ELc67ELc85EKddEviT_T0_PT6_S1_lS4_S1_lS2_PT7_S1_li: ; @_ZL41rocblas_syrkx_herkx_small_restrict_kernelIidLi16ELb1ELb0ELc67ELc85EKddEviT_T0_PT6_S1_lS4_S1_lS2_PT7_S1_li
; %bb.0:
	s_clause 0x1
	s_load_b32 s2, s[0:1], 0x4
	s_load_b128 s[4:7], s[0:1], 0x8
	v_and_b32_e32 v2, 0x3ff, v0
	v_bfe_u32 v1, v0, 10, 10
	s_mov_b32 s3, 0
	s_delay_alu instid0(VALU_DEP_2) | instskip(NEXT) | instid1(VALU_DEP_2)
	v_lshl_add_u32 v0, s13, 4, v2
	v_lshl_add_u32 v7, s14, 4, v1
	s_waitcnt lgkmcnt(0)
	s_cmp_lt_i32 s2, 1
	s_cbranch_scc1 .LBB119_6
; %bb.1:
	s_clause 0x3
	s_load_b32 s14, s[0:1], 0x30
	s_load_b64 s[12:13], s[0:1], 0x38
	s_load_b32 s16, s[0:1], 0x18
	s_load_b128 s[8:11], s[0:1], 0x20
	v_lshlrev_b32_e32 v3, 7, v1
	v_lshlrev_b32_e32 v8, 3, v2
	;; [unrolled: 1-line block ×3, first 2 shown]
	s_delay_alu instid0(VALU_DEP_3) | instskip(NEXT) | instid1(VALU_DEP_3)
	v_add_nc_u32_e32 v9, 0x800, v3
	v_add_nc_u32_e32 v10, v8, v3
	s_waitcnt lgkmcnt(0)
	v_mad_i64_i32 v[1:2], null, s14, v7, 0
	s_mul_i32 s13, s13, s15
	s_mul_hi_u32 s14, s12, s15
	v_mad_i64_i32 v[3:4], null, s16, v0, 0
	s_mul_i32 s12, s12, s15
	s_add_i32 s13, s14, s13
	s_delay_alu instid0(VALU_DEP_2)
	v_lshlrev_b64 v[1:2], 3, v[1:2]
	s_lshl_b64 s[12:13], s[12:13], 3
	s_mul_i32 s9, s9, s15
	s_mul_hi_u32 s16, s8, s15
	s_mul_i32 s8, s8, s15
	s_add_i32 s9, s16, s9
	v_add_co_u32 v6, vcc_lo, v1, s12
	v_add_co_ci_u32_e32 v12, vcc_lo, s13, v2, vcc_lo
	v_lshlrev_b64 v[1:2], 3, v[3:4]
	s_delay_alu instid0(VALU_DEP_3) | instskip(SKIP_1) | instid1(VALU_DEP_3)
	v_add_co_u32 v3, vcc_lo, v6, v8
	s_lshl_b64 s[8:9], s[8:9], 3
	v_add_co_ci_u32_e32 v4, vcc_lo, 0, v12, vcc_lo
	s_delay_alu instid0(VALU_DEP_3) | instskip(NEXT) | instid1(VALU_DEP_4)
	v_add_co_u32 v6, vcc_lo, v1, s8
	v_add_co_ci_u32_e32 v12, vcc_lo, s9, v2, vcc_lo
	v_add_co_u32 v1, vcc_lo, s10, v3
	s_delay_alu instid0(VALU_DEP_4) | instskip(NEXT) | instid1(VALU_DEP_4)
	v_add_co_ci_u32_e32 v2, vcc_lo, s11, v4, vcc_lo
	v_add_co_u32 v3, vcc_lo, v6, v5
	v_mov_b32_e32 v5, 0
	v_add_co_ci_u32_e32 v4, vcc_lo, 0, v12, vcc_lo
	s_delay_alu instid0(VALU_DEP_3) | instskip(SKIP_1) | instid1(VALU_DEP_3)
	v_add_co_u32 v3, vcc_lo, s6, v3
	v_dual_mov_b32 v6, 0 :: v_dual_add_nc_u32 v11, v9, v8
	v_add_co_ci_u32_e32 v4, vcc_lo, s7, v4, vcc_lo
.LBB119_2:                              ; =>This Inner Loop Header: Depth=1
	global_load_b64 v[12:13], v[3:4], off
	global_load_b64 v[14:15], v[1:2], off
	v_add_co_u32 v1, vcc_lo, 0x80, v1
	v_add_co_ci_u32_e32 v2, vcc_lo, 0, v2, vcc_lo
	v_add_co_u32 v3, vcc_lo, 0x80, v3
	v_add_co_ci_u32_e32 v4, vcc_lo, 0, v4, vcc_lo
	s_add_i32 s3, s3, 16
	s_waitcnt vmcnt(1)
	ds_store_b64 v10, v[12:13]
	s_waitcnt vmcnt(0)
	ds_store_b64 v11, v[14:15]
	s_waitcnt lgkmcnt(0)
	s_barrier
	buffer_gl0_inv
	ds_load_2addr_b64 v[12:15], v8 offset1:16
	ds_load_b128 v[16:19], v9
	ds_load_b128 v[20:23], v9 offset:16
	s_cmp_lt_i32 s3, s2
	s_waitcnt lgkmcnt(1)
	v_fma_f64 v[5:6], v[12:13], v[16:17], v[5:6]
	s_delay_alu instid0(VALU_DEP_1) | instskip(SKIP_3) | instid1(VALU_DEP_1)
	v_fma_f64 v[5:6], v[14:15], v[18:19], v[5:6]
	ds_load_2addr_b64 v[12:15], v8 offset0:32 offset1:48
	s_waitcnt lgkmcnt(0)
	v_fma_f64 v[5:6], v[12:13], v[20:21], v[5:6]
	v_fma_f64 v[5:6], v[14:15], v[22:23], v[5:6]
	ds_load_2addr_b64 v[12:15], v8 offset0:64 offset1:80
	ds_load_b128 v[16:19], v9 offset:32
	ds_load_b128 v[20:23], v9 offset:48
	s_waitcnt lgkmcnt(1)
	v_fma_f64 v[5:6], v[12:13], v[16:17], v[5:6]
	s_delay_alu instid0(VALU_DEP_1) | instskip(SKIP_3) | instid1(VALU_DEP_1)
	v_fma_f64 v[5:6], v[14:15], v[18:19], v[5:6]
	ds_load_2addr_b64 v[12:15], v8 offset0:96 offset1:112
	s_waitcnt lgkmcnt(0)
	v_fma_f64 v[5:6], v[12:13], v[20:21], v[5:6]
	v_fma_f64 v[5:6], v[14:15], v[22:23], v[5:6]
	ds_load_2addr_b64 v[12:15], v8 offset0:128 offset1:144
	ds_load_b128 v[16:19], v9 offset:64
	ds_load_b128 v[20:23], v9 offset:80
	;; [unrolled: 11-line block ×3, first 2 shown]
	s_waitcnt lgkmcnt(1)
	v_fma_f64 v[5:6], v[12:13], v[16:17], v[5:6]
	s_delay_alu instid0(VALU_DEP_1)
	v_fma_f64 v[5:6], v[14:15], v[18:19], v[5:6]
	ds_load_2addr_b64 v[12:15], v8 offset0:224 offset1:240
	s_waitcnt lgkmcnt(0)
	s_barrier
	buffer_gl0_inv
	v_fma_f64 v[5:6], v[12:13], v[20:21], v[5:6]
	s_delay_alu instid0(VALU_DEP_1)
	v_fma_f64 v[5:6], v[14:15], v[22:23], v[5:6]
	s_cbranch_scc1 .LBB119_2
; %bb.3:
	s_mov_b32 s2, exec_lo
	v_cmpx_le_i32_e64 v0, v7
	s_cbranch_execz .LBB119_5
.LBB119_4:
	s_clause 0x1
	s_load_b32 s6, s[0:1], 0x50
	s_load_b64 s[2:3], s[0:1], 0x58
	s_delay_alu instid0(VALU_DEP_2) | instskip(SKIP_2) | instid1(VALU_DEP_1)
	v_mul_f64 v[2:3], v[5:6], s[4:5]
	s_load_b64 s[0:1], s[0:1], 0x48
	v_ashrrev_i32_e32 v1, 31, v0
	v_lshlrev_b64 v[0:1], 3, v[0:1]
	s_waitcnt lgkmcnt(0)
	v_mad_i64_i32 v[4:5], null, s6, v7, 0
	s_mul_i32 s3, s15, s3
	s_mul_hi_u32 s4, s15, s2
	s_mul_i32 s2, s15, s2
	s_add_i32 s3, s4, s3
	s_delay_alu instid0(SALU_CYCLE_1) | instskip(NEXT) | instid1(VALU_DEP_1)
	s_lshl_b64 s[2:3], s[2:3], 3
	v_lshlrev_b64 v[4:5], 3, v[4:5]
	s_add_u32 s0, s0, s2
	s_addc_u32 s1, s1, s3
	s_delay_alu instid0(VALU_DEP_1) | instskip(NEXT) | instid1(VALU_DEP_2)
	v_add_co_u32 v4, vcc_lo, s0, v4
	v_add_co_ci_u32_e32 v5, vcc_lo, s1, v5, vcc_lo
	s_delay_alu instid0(VALU_DEP_2) | instskip(NEXT) | instid1(VALU_DEP_2)
	v_add_co_u32 v0, vcc_lo, v4, v0
	v_add_co_ci_u32_e32 v1, vcc_lo, v5, v1, vcc_lo
	global_store_b64 v[0:1], v[2:3], off
.LBB119_5:
	s_nop 0
	s_sendmsg sendmsg(MSG_DEALLOC_VGPRS)
	s_endpgm
.LBB119_6:
	v_mov_b32_e32 v5, 0
	v_mov_b32_e32 v6, 0
	s_mov_b32 s2, exec_lo
	v_cmpx_le_i32_e64 v0, v7
	s_cbranch_execnz .LBB119_4
	s_branch .LBB119_5
	.section	.rodata,"a",@progbits
	.p2align	6, 0x0
	.amdhsa_kernel _ZL41rocblas_syrkx_herkx_small_restrict_kernelIidLi16ELb1ELb0ELc67ELc85EKddEviT_T0_PT6_S1_lS4_S1_lS2_PT7_S1_li
		.amdhsa_group_segment_fixed_size 4096
		.amdhsa_private_segment_fixed_size 0
		.amdhsa_kernarg_size 100
		.amdhsa_user_sgpr_count 13
		.amdhsa_user_sgpr_dispatch_ptr 0
		.amdhsa_user_sgpr_queue_ptr 0
		.amdhsa_user_sgpr_kernarg_segment_ptr 1
		.amdhsa_user_sgpr_dispatch_id 0
		.amdhsa_user_sgpr_private_segment_size 0
		.amdhsa_wavefront_size32 1
		.amdhsa_uses_dynamic_stack 0
		.amdhsa_enable_private_segment 0
		.amdhsa_system_sgpr_workgroup_id_x 1
		.amdhsa_system_sgpr_workgroup_id_y 1
		.amdhsa_system_sgpr_workgroup_id_z 1
		.amdhsa_system_sgpr_workgroup_info 0
		.amdhsa_system_vgpr_workitem_id 1
		.amdhsa_next_free_vgpr 24
		.amdhsa_next_free_sgpr 17
		.amdhsa_reserve_vcc 1
		.amdhsa_float_round_mode_32 0
		.amdhsa_float_round_mode_16_64 0
		.amdhsa_float_denorm_mode_32 3
		.amdhsa_float_denorm_mode_16_64 3
		.amdhsa_dx10_clamp 1
		.amdhsa_ieee_mode 1
		.amdhsa_fp16_overflow 0
		.amdhsa_workgroup_processor_mode 1
		.amdhsa_memory_ordered 1
		.amdhsa_forward_progress 0
		.amdhsa_shared_vgpr_count 0
		.amdhsa_exception_fp_ieee_invalid_op 0
		.amdhsa_exception_fp_denorm_src 0
		.amdhsa_exception_fp_ieee_div_zero 0
		.amdhsa_exception_fp_ieee_overflow 0
		.amdhsa_exception_fp_ieee_underflow 0
		.amdhsa_exception_fp_ieee_inexact 0
		.amdhsa_exception_int_div_zero 0
	.end_amdhsa_kernel
	.section	.text._ZL41rocblas_syrkx_herkx_small_restrict_kernelIidLi16ELb1ELb0ELc67ELc85EKddEviT_T0_PT6_S1_lS4_S1_lS2_PT7_S1_li,"axG",@progbits,_ZL41rocblas_syrkx_herkx_small_restrict_kernelIidLi16ELb1ELb0ELc67ELc85EKddEviT_T0_PT6_S1_lS4_S1_lS2_PT7_S1_li,comdat
.Lfunc_end119:
	.size	_ZL41rocblas_syrkx_herkx_small_restrict_kernelIidLi16ELb1ELb0ELc67ELc85EKddEviT_T0_PT6_S1_lS4_S1_lS2_PT7_S1_li, .Lfunc_end119-_ZL41rocblas_syrkx_herkx_small_restrict_kernelIidLi16ELb1ELb0ELc67ELc85EKddEviT_T0_PT6_S1_lS4_S1_lS2_PT7_S1_li
                                        ; -- End function
	.section	.AMDGPU.csdata,"",@progbits
; Kernel info:
; codeLenInByte = 936
; NumSgprs: 19
; NumVgprs: 24
; ScratchSize: 0
; MemoryBound: 0
; FloatMode: 240
; IeeeMode: 1
; LDSByteSize: 4096 bytes/workgroup (compile time only)
; SGPRBlocks: 2
; VGPRBlocks: 2
; NumSGPRsForWavesPerEU: 19
; NumVGPRsForWavesPerEU: 24
; Occupancy: 16
; WaveLimiterHint : 0
; COMPUTE_PGM_RSRC2:SCRATCH_EN: 0
; COMPUTE_PGM_RSRC2:USER_SGPR: 13
; COMPUTE_PGM_RSRC2:TRAP_HANDLER: 0
; COMPUTE_PGM_RSRC2:TGID_X_EN: 1
; COMPUTE_PGM_RSRC2:TGID_Y_EN: 1
; COMPUTE_PGM_RSRC2:TGID_Z_EN: 1
; COMPUTE_PGM_RSRC2:TIDIG_COMP_CNT: 1
	.section	.text._ZL41rocblas_syrkx_herkx_small_restrict_kernelIidLi16ELb1ELb0ELc78ELc85EKddEviT_T0_PT6_S1_lS4_S1_lS2_PT7_S1_li,"axG",@progbits,_ZL41rocblas_syrkx_herkx_small_restrict_kernelIidLi16ELb1ELb0ELc78ELc85EKddEviT_T0_PT6_S1_lS4_S1_lS2_PT7_S1_li,comdat
	.globl	_ZL41rocblas_syrkx_herkx_small_restrict_kernelIidLi16ELb1ELb0ELc78ELc85EKddEviT_T0_PT6_S1_lS4_S1_lS2_PT7_S1_li ; -- Begin function _ZL41rocblas_syrkx_herkx_small_restrict_kernelIidLi16ELb1ELb0ELc78ELc85EKddEviT_T0_PT6_S1_lS4_S1_lS2_PT7_S1_li
	.p2align	8
	.type	_ZL41rocblas_syrkx_herkx_small_restrict_kernelIidLi16ELb1ELb0ELc78ELc85EKddEviT_T0_PT6_S1_lS4_S1_lS2_PT7_S1_li,@function
_ZL41rocblas_syrkx_herkx_small_restrict_kernelIidLi16ELb1ELb0ELc78ELc85EKddEviT_T0_PT6_S1_lS4_S1_lS2_PT7_S1_li: ; @_ZL41rocblas_syrkx_herkx_small_restrict_kernelIidLi16ELb1ELb0ELc78ELc85EKddEviT_T0_PT6_S1_lS4_S1_lS2_PT7_S1_li
; %bb.0:
	s_clause 0x1
	s_load_b32 s12, s[0:1], 0x4
	s_load_b128 s[4:7], s[0:1], 0x8
	v_and_b32_e32 v5, 0x3ff, v0
	v_bfe_u32 v4, v0, 10, 10
	s_delay_alu instid0(VALU_DEP_2) | instskip(NEXT) | instid1(VALU_DEP_2)
	v_lshl_add_u32 v0, s13, 4, v5
	v_lshl_add_u32 v2, s14, 4, v4
	s_mov_b32 s13, 0
	s_delay_alu instid0(VALU_DEP_2)
	v_ashrrev_i32_e32 v1, 31, v0
	s_waitcnt lgkmcnt(0)
	s_cmp_lt_i32 s12, 1
	s_cbranch_scc1 .LBB120_6
; %bb.1:
	s_clause 0x3
	s_load_b32 s2, s[0:1], 0x30
	s_load_b64 s[16:17], s[0:1], 0x38
	s_load_b128 s[8:11], s[0:1], 0x20
	s_load_b32 s18, s[0:1], 0x18
	v_ashrrev_i32_e32 v3, 31, v2
	v_lshlrev_b32_e32 v8, 7, v4
	v_lshlrev_b32_e32 v9, 3, v5
	v_lshlrev_b64 v[6:7], 3, v[0:1]
	s_delay_alu instid0(VALU_DEP_4) | instskip(NEXT) | instid1(VALU_DEP_4)
	v_lshlrev_b64 v[13:14], 3, v[2:3]
	v_add_nc_u32_e32 v10, 0x800, v8
	s_delay_alu instid0(VALU_DEP_4)
	v_add_nc_u32_e32 v11, v9, v8
	s_waitcnt lgkmcnt(0)
	v_mad_i64_i32 v[15:16], null, s2, v5, 0
	s_mul_i32 s14, s17, s15
	s_mul_hi_u32 s17, s16, s15
	v_mad_i64_i32 v[17:18], null, s18, v4, 0
	s_mul_i32 s16, s16, s15
	s_add_i32 s17, s17, s14
	s_delay_alu instid0(VALU_DEP_2)
	v_lshlrev_b64 v[3:4], 3, v[15:16]
	s_lshl_b64 s[16:17], s[16:17], 3
	s_mul_i32 s9, s9, s15
	s_mul_hi_u32 s19, s8, s15
	s_mul_i32 s8, s8, s15
	s_add_i32 s9, s19, s9
	v_add_co_u32 v5, vcc_lo, s16, v3
	v_add_co_ci_u32_e32 v8, vcc_lo, s17, v4, vcc_lo
	v_lshlrev_b64 v[3:4], 3, v[17:18]
	s_delay_alu instid0(VALU_DEP_3) | instskip(SKIP_1) | instid1(VALU_DEP_3)
	v_add_co_u32 v5, vcc_lo, v5, v13
	s_lshl_b64 s[8:9], s[8:9], 3
	v_add_co_ci_u32_e32 v8, vcc_lo, v8, v14, vcc_lo
	s_delay_alu instid0(VALU_DEP_3) | instskip(NEXT) | instid1(VALU_DEP_4)
	v_add_co_u32 v13, vcc_lo, s8, v3
	v_add_co_ci_u32_e32 v14, vcc_lo, s9, v4, vcc_lo
	v_add_co_u32 v3, vcc_lo, s10, v5
	s_delay_alu instid0(VALU_DEP_4) | instskip(NEXT) | instid1(VALU_DEP_4)
	v_add_co_ci_u32_e32 v4, vcc_lo, s11, v8, vcc_lo
	v_add_co_u32 v5, vcc_lo, v13, v6
	s_delay_alu instid0(VALU_DEP_4) | instskip(SKIP_1) | instid1(VALU_DEP_3)
	v_add_co_ci_u32_e32 v6, vcc_lo, v14, v7, vcc_lo
	v_mov_b32_e32 v7, 0
	v_add_co_u32 v5, vcc_lo, s6, v5
	v_mov_b32_e32 v8, 0
	v_add_nc_u32_e32 v12, v10, v9
	v_add_co_ci_u32_e32 v6, vcc_lo, s7, v6, vcc_lo
	s_ashr_i32 s3, s2, 31
	s_ashr_i32 s19, s18, 31
	s_lshl_b64 s[2:3], s[2:3], 7
	s_lshl_b64 s[6:7], s[18:19], 7
.LBB120_2:                              ; =>This Inner Loop Header: Depth=1
	global_load_b64 v[13:14], v[5:6], off
	global_load_b64 v[15:16], v[3:4], off
	v_add_co_u32 v3, vcc_lo, v3, s2
	v_add_co_ci_u32_e32 v4, vcc_lo, s3, v4, vcc_lo
	v_add_co_u32 v5, vcc_lo, v5, s6
	v_add_co_ci_u32_e32 v6, vcc_lo, s7, v6, vcc_lo
	s_add_i32 s13, s13, 16
	s_waitcnt vmcnt(1)
	ds_store_b64 v11, v[13:14]
	s_waitcnt vmcnt(0)
	ds_store_b64 v12, v[15:16]
	s_waitcnt lgkmcnt(0)
	s_barrier
	buffer_gl0_inv
	ds_load_2addr_b64 v[13:16], v9 offset1:16
	ds_load_b128 v[17:20], v10
	ds_load_b128 v[21:24], v10 offset:16
	s_cmp_lt_i32 s13, s12
	s_waitcnt lgkmcnt(1)
	v_fma_f64 v[7:8], v[13:14], v[17:18], v[7:8]
	s_delay_alu instid0(VALU_DEP_1) | instskip(SKIP_3) | instid1(VALU_DEP_1)
	v_fma_f64 v[7:8], v[15:16], v[19:20], v[7:8]
	ds_load_2addr_b64 v[13:16], v9 offset0:32 offset1:48
	s_waitcnt lgkmcnt(0)
	v_fma_f64 v[7:8], v[13:14], v[21:22], v[7:8]
	v_fma_f64 v[7:8], v[15:16], v[23:24], v[7:8]
	ds_load_2addr_b64 v[13:16], v9 offset0:64 offset1:80
	ds_load_b128 v[17:20], v10 offset:32
	ds_load_b128 v[21:24], v10 offset:48
	s_waitcnt lgkmcnt(1)
	v_fma_f64 v[7:8], v[13:14], v[17:18], v[7:8]
	s_delay_alu instid0(VALU_DEP_1) | instskip(SKIP_3) | instid1(VALU_DEP_1)
	v_fma_f64 v[7:8], v[15:16], v[19:20], v[7:8]
	ds_load_2addr_b64 v[13:16], v9 offset0:96 offset1:112
	s_waitcnt lgkmcnt(0)
	v_fma_f64 v[7:8], v[13:14], v[21:22], v[7:8]
	v_fma_f64 v[7:8], v[15:16], v[23:24], v[7:8]
	ds_load_2addr_b64 v[13:16], v9 offset0:128 offset1:144
	ds_load_b128 v[17:20], v10 offset:64
	ds_load_b128 v[21:24], v10 offset:80
	;; [unrolled: 11-line block ×3, first 2 shown]
	s_waitcnt lgkmcnt(1)
	v_fma_f64 v[7:8], v[13:14], v[17:18], v[7:8]
	s_delay_alu instid0(VALU_DEP_1)
	v_fma_f64 v[7:8], v[15:16], v[19:20], v[7:8]
	ds_load_2addr_b64 v[13:16], v9 offset0:224 offset1:240
	s_waitcnt lgkmcnt(0)
	s_barrier
	buffer_gl0_inv
	v_fma_f64 v[7:8], v[13:14], v[21:22], v[7:8]
	s_delay_alu instid0(VALU_DEP_1)
	v_fma_f64 v[7:8], v[15:16], v[23:24], v[7:8]
	s_cbranch_scc1 .LBB120_2
; %bb.3:
	s_mov_b32 s2, exec_lo
	v_cmpx_le_i32_e64 v0, v2
	s_cbranch_execz .LBB120_5
.LBB120_4:
	s_clause 0x1
	s_load_b32 s6, s[0:1], 0x50
	s_load_b64 s[2:3], s[0:1], 0x58
	s_delay_alu instid0(VALU_DEP_2)
	v_mul_f64 v[3:4], v[7:8], s[4:5]
	s_load_b64 s[0:1], s[0:1], 0x48
	v_lshlrev_b64 v[0:1], 3, v[0:1]
	s_waitcnt lgkmcnt(0)
	v_mad_i64_i32 v[5:6], null, s6, v2, 0
	s_mul_i32 s3, s15, s3
	s_mul_hi_u32 s4, s15, s2
	s_mul_i32 s2, s15, s2
	s_add_i32 s3, s4, s3
	s_delay_alu instid0(SALU_CYCLE_1) | instskip(NEXT) | instid1(VALU_DEP_1)
	s_lshl_b64 s[2:3], s[2:3], 3
	v_lshlrev_b64 v[5:6], 3, v[5:6]
	s_add_u32 s0, s0, s2
	s_addc_u32 s1, s1, s3
	s_delay_alu instid0(VALU_DEP_1) | instskip(NEXT) | instid1(VALU_DEP_2)
	v_add_co_u32 v2, vcc_lo, s0, v5
	v_add_co_ci_u32_e32 v5, vcc_lo, s1, v6, vcc_lo
	s_delay_alu instid0(VALU_DEP_2) | instskip(NEXT) | instid1(VALU_DEP_2)
	v_add_co_u32 v0, vcc_lo, v2, v0
	v_add_co_ci_u32_e32 v1, vcc_lo, v5, v1, vcc_lo
	global_store_b64 v[0:1], v[3:4], off
.LBB120_5:
	s_nop 0
	s_sendmsg sendmsg(MSG_DEALLOC_VGPRS)
	s_endpgm
.LBB120_6:
	v_mov_b32_e32 v7, 0
	v_mov_b32_e32 v8, 0
	s_mov_b32 s2, exec_lo
	v_cmpx_le_i32_e64 v0, v2
	s_cbranch_execnz .LBB120_4
	s_branch .LBB120_5
	.section	.rodata,"a",@progbits
	.p2align	6, 0x0
	.amdhsa_kernel _ZL41rocblas_syrkx_herkx_small_restrict_kernelIidLi16ELb1ELb0ELc78ELc85EKddEviT_T0_PT6_S1_lS4_S1_lS2_PT7_S1_li
		.amdhsa_group_segment_fixed_size 4096
		.amdhsa_private_segment_fixed_size 0
		.amdhsa_kernarg_size 100
		.amdhsa_user_sgpr_count 13
		.amdhsa_user_sgpr_dispatch_ptr 0
		.amdhsa_user_sgpr_queue_ptr 0
		.amdhsa_user_sgpr_kernarg_segment_ptr 1
		.amdhsa_user_sgpr_dispatch_id 0
		.amdhsa_user_sgpr_private_segment_size 0
		.amdhsa_wavefront_size32 1
		.amdhsa_uses_dynamic_stack 0
		.amdhsa_enable_private_segment 0
		.amdhsa_system_sgpr_workgroup_id_x 1
		.amdhsa_system_sgpr_workgroup_id_y 1
		.amdhsa_system_sgpr_workgroup_id_z 1
		.amdhsa_system_sgpr_workgroup_info 0
		.amdhsa_system_vgpr_workitem_id 1
		.amdhsa_next_free_vgpr 25
		.amdhsa_next_free_sgpr 20
		.amdhsa_reserve_vcc 1
		.amdhsa_float_round_mode_32 0
		.amdhsa_float_round_mode_16_64 0
		.amdhsa_float_denorm_mode_32 3
		.amdhsa_float_denorm_mode_16_64 3
		.amdhsa_dx10_clamp 1
		.amdhsa_ieee_mode 1
		.amdhsa_fp16_overflow 0
		.amdhsa_workgroup_processor_mode 1
		.amdhsa_memory_ordered 1
		.amdhsa_forward_progress 0
		.amdhsa_shared_vgpr_count 0
		.amdhsa_exception_fp_ieee_invalid_op 0
		.amdhsa_exception_fp_denorm_src 0
		.amdhsa_exception_fp_ieee_div_zero 0
		.amdhsa_exception_fp_ieee_overflow 0
		.amdhsa_exception_fp_ieee_underflow 0
		.amdhsa_exception_fp_ieee_inexact 0
		.amdhsa_exception_int_div_zero 0
	.end_amdhsa_kernel
	.section	.text._ZL41rocblas_syrkx_herkx_small_restrict_kernelIidLi16ELb1ELb0ELc78ELc85EKddEviT_T0_PT6_S1_lS4_S1_lS2_PT7_S1_li,"axG",@progbits,_ZL41rocblas_syrkx_herkx_small_restrict_kernelIidLi16ELb1ELb0ELc78ELc85EKddEviT_T0_PT6_S1_lS4_S1_lS2_PT7_S1_li,comdat
.Lfunc_end120:
	.size	_ZL41rocblas_syrkx_herkx_small_restrict_kernelIidLi16ELb1ELb0ELc78ELc85EKddEviT_T0_PT6_S1_lS4_S1_lS2_PT7_S1_li, .Lfunc_end120-_ZL41rocblas_syrkx_herkx_small_restrict_kernelIidLi16ELb1ELb0ELc78ELc85EKddEviT_T0_PT6_S1_lS4_S1_lS2_PT7_S1_li
                                        ; -- End function
	.section	.AMDGPU.csdata,"",@progbits
; Kernel info:
; codeLenInByte = 968
; NumSgprs: 22
; NumVgprs: 25
; ScratchSize: 0
; MemoryBound: 0
; FloatMode: 240
; IeeeMode: 1
; LDSByteSize: 4096 bytes/workgroup (compile time only)
; SGPRBlocks: 2
; VGPRBlocks: 3
; NumSGPRsForWavesPerEU: 22
; NumVGPRsForWavesPerEU: 25
; Occupancy: 16
; WaveLimiterHint : 0
; COMPUTE_PGM_RSRC2:SCRATCH_EN: 0
; COMPUTE_PGM_RSRC2:USER_SGPR: 13
; COMPUTE_PGM_RSRC2:TRAP_HANDLER: 0
; COMPUTE_PGM_RSRC2:TGID_X_EN: 1
; COMPUTE_PGM_RSRC2:TGID_Y_EN: 1
; COMPUTE_PGM_RSRC2:TGID_Z_EN: 1
; COMPUTE_PGM_RSRC2:TIDIG_COMP_CNT: 1
	.section	.text._ZL41rocblas_syrkx_herkx_small_restrict_kernelIidLi16ELb0ELb0ELc84ELc76EKddEviT_T0_PT6_S1_lS4_S1_lS2_PT7_S1_li,"axG",@progbits,_ZL41rocblas_syrkx_herkx_small_restrict_kernelIidLi16ELb0ELb0ELc84ELc76EKddEviT_T0_PT6_S1_lS4_S1_lS2_PT7_S1_li,comdat
	.globl	_ZL41rocblas_syrkx_herkx_small_restrict_kernelIidLi16ELb0ELb0ELc84ELc76EKddEviT_T0_PT6_S1_lS4_S1_lS2_PT7_S1_li ; -- Begin function _ZL41rocblas_syrkx_herkx_small_restrict_kernelIidLi16ELb0ELb0ELc84ELc76EKddEviT_T0_PT6_S1_lS4_S1_lS2_PT7_S1_li
	.p2align	8
	.type	_ZL41rocblas_syrkx_herkx_small_restrict_kernelIidLi16ELb0ELb0ELc84ELc76EKddEviT_T0_PT6_S1_lS4_S1_lS2_PT7_S1_li,@function
_ZL41rocblas_syrkx_herkx_small_restrict_kernelIidLi16ELb0ELb0ELc84ELc76EKddEviT_T0_PT6_S1_lS4_S1_lS2_PT7_S1_li: ; @_ZL41rocblas_syrkx_herkx_small_restrict_kernelIidLi16ELb0ELb0ELc84ELc76EKddEviT_T0_PT6_S1_lS4_S1_lS2_PT7_S1_li
; %bb.0:
	s_clause 0x3
	s_load_b32 s12, s[0:1], 0x4
	s_load_b128 s[4:7], s[0:1], 0x8
	s_load_b128 s[8:11], s[0:1], 0x38
	s_load_b64 s[2:3], s[0:1], 0x48
	v_and_b32_e32 v2, 0x3ff, v0
	v_bfe_u32 v1, v0, 10, 10
	s_delay_alu instid0(VALU_DEP_2) | instskip(NEXT) | instid1(VALU_DEP_2)
	v_lshl_add_u32 v0, s13, 4, v2
	v_lshl_add_u32 v7, s14, 4, v1
	s_mov_b32 s13, 0
	s_waitcnt lgkmcnt(0)
	s_cmp_lt_i32 s12, 1
	s_cbranch_scc1 .LBB121_6
; %bb.1:
	s_clause 0x2
	s_load_b32 s14, s[0:1], 0x30
	s_load_b32 s20, s[0:1], 0x18
	s_load_b128 s[16:19], s[0:1], 0x20
	v_lshlrev_b32_e32 v3, 7, v1
	v_lshlrev_b32_e32 v8, 3, v2
	;; [unrolled: 1-line block ×3, first 2 shown]
	s_mul_i32 s9, s9, s15
	s_mul_hi_u32 s21, s8, s15
	v_add_nc_u32_e32 v10, 0x800, v3
	v_add_nc_u32_e32 v9, v8, v3
	s_mul_i32 s8, s8, s15
	s_add_i32 s9, s21, s9
	s_delay_alu instid0(SALU_CYCLE_1)
	s_lshl_b64 s[8:9], s[8:9], 3
	s_waitcnt lgkmcnt(0)
	v_mad_i64_i32 v[1:2], null, s14, v7, 0
	v_mad_i64_i32 v[3:4], null, s20, v0, 0
	s_mul_i32 s14, s17, s15
	s_mul_hi_u32 s17, s16, s15
	s_mul_i32 s16, s16, s15
	s_add_i32 s17, s17, s14
	s_delay_alu instid0(VALU_DEP_2) | instskip(SKIP_1) | instid1(VALU_DEP_2)
	v_lshlrev_b64 v[1:2], 3, v[1:2]
	s_lshl_b64 s[16:17], s[16:17], 3
	v_lshlrev_b64 v[3:4], 3, v[3:4]
	s_delay_alu instid0(VALU_DEP_2) | instskip(NEXT) | instid1(VALU_DEP_3)
	v_add_co_u32 v1, vcc_lo, v1, s8
	v_add_co_ci_u32_e32 v2, vcc_lo, s9, v2, vcc_lo
	s_delay_alu instid0(VALU_DEP_3) | instskip(NEXT) | instid1(VALU_DEP_4)
	v_add_co_u32 v3, vcc_lo, v3, s16
	v_add_co_ci_u32_e32 v4, vcc_lo, s17, v4, vcc_lo
	s_delay_alu instid0(VALU_DEP_4) | instskip(NEXT) | instid1(VALU_DEP_4)
	v_add_co_u32 v1, vcc_lo, v1, v8
	v_add_co_ci_u32_e32 v2, vcc_lo, 0, v2, vcc_lo
	s_delay_alu instid0(VALU_DEP_4)
	v_add_co_u32 v3, vcc_lo, v3, v5
	v_mov_b32_e32 v5, 0
	v_add_co_ci_u32_e32 v4, vcc_lo, 0, v4, vcc_lo
	v_add_co_u32 v1, vcc_lo, s18, v1
	v_add_co_ci_u32_e32 v2, vcc_lo, s19, v2, vcc_lo
	v_add_co_u32 v3, vcc_lo, s6, v3
	v_dual_mov_b32 v6, 0 :: v_dual_add_nc_u32 v11, v10, v8
	v_add_co_ci_u32_e32 v4, vcc_lo, s7, v4, vcc_lo
.LBB121_2:                              ; =>This Inner Loop Header: Depth=1
	global_load_b64 v[12:13], v[3:4], off
	global_load_b64 v[14:15], v[1:2], off
	v_add_co_u32 v1, vcc_lo, 0x80, v1
	v_add_co_ci_u32_e32 v2, vcc_lo, 0, v2, vcc_lo
	v_add_co_u32 v3, vcc_lo, 0x80, v3
	v_add_co_ci_u32_e32 v4, vcc_lo, 0, v4, vcc_lo
	s_add_i32 s13, s13, 16
	s_waitcnt vmcnt(1)
	ds_store_b64 v9, v[12:13]
	s_waitcnt vmcnt(0)
	ds_store_b64 v11, v[14:15]
	s_waitcnt lgkmcnt(0)
	s_barrier
	buffer_gl0_inv
	ds_load_2addr_b64 v[12:15], v8 offset1:16
	ds_load_b128 v[16:19], v10
	ds_load_b128 v[20:23], v10 offset:16
	s_cmp_lt_i32 s13, s12
	s_waitcnt lgkmcnt(1)
	v_fma_f64 v[5:6], v[12:13], v[16:17], v[5:6]
	s_delay_alu instid0(VALU_DEP_1) | instskip(SKIP_3) | instid1(VALU_DEP_1)
	v_fma_f64 v[5:6], v[14:15], v[18:19], v[5:6]
	ds_load_2addr_b64 v[12:15], v8 offset0:32 offset1:48
	s_waitcnt lgkmcnt(0)
	v_fma_f64 v[5:6], v[12:13], v[20:21], v[5:6]
	v_fma_f64 v[5:6], v[14:15], v[22:23], v[5:6]
	ds_load_2addr_b64 v[12:15], v8 offset0:64 offset1:80
	ds_load_b128 v[16:19], v10 offset:32
	ds_load_b128 v[20:23], v10 offset:48
	s_waitcnt lgkmcnt(1)
	v_fma_f64 v[5:6], v[12:13], v[16:17], v[5:6]
	s_delay_alu instid0(VALU_DEP_1) | instskip(SKIP_3) | instid1(VALU_DEP_1)
	v_fma_f64 v[5:6], v[14:15], v[18:19], v[5:6]
	ds_load_2addr_b64 v[12:15], v8 offset0:96 offset1:112
	s_waitcnt lgkmcnt(0)
	v_fma_f64 v[5:6], v[12:13], v[20:21], v[5:6]
	v_fma_f64 v[5:6], v[14:15], v[22:23], v[5:6]
	ds_load_2addr_b64 v[12:15], v8 offset0:128 offset1:144
	ds_load_b128 v[16:19], v10 offset:64
	ds_load_b128 v[20:23], v10 offset:80
	;; [unrolled: 11-line block ×3, first 2 shown]
	s_waitcnt lgkmcnt(1)
	v_fma_f64 v[5:6], v[12:13], v[16:17], v[5:6]
	s_delay_alu instid0(VALU_DEP_1)
	v_fma_f64 v[5:6], v[14:15], v[18:19], v[5:6]
	ds_load_2addr_b64 v[12:15], v8 offset0:224 offset1:240
	s_waitcnt lgkmcnt(0)
	s_barrier
	buffer_gl0_inv
	v_fma_f64 v[5:6], v[12:13], v[20:21], v[5:6]
	s_delay_alu instid0(VALU_DEP_1)
	v_fma_f64 v[5:6], v[14:15], v[22:23], v[5:6]
	s_cbranch_scc1 .LBB121_2
; %bb.3:
	s_mov_b32 s6, exec_lo
	v_cmpx_le_i32_e64 v7, v0
	s_cbranch_execz .LBB121_5
.LBB121_4:
	s_clause 0x1
	s_load_b32 s6, s[0:1], 0x50
	s_load_b64 s[0:1], s[0:1], 0x58
	v_ashrrev_i32_e32 v1, 31, v0
	s_delay_alu instid0(VALU_DEP_1)
	v_lshlrev_b64 v[0:1], 3, v[0:1]
	s_waitcnt lgkmcnt(0)
	v_mad_i64_i32 v[2:3], null, s6, v7, 0
	s_mul_i32 s1, s15, s1
	s_mul_hi_u32 s6, s15, s0
	s_mul_i32 s0, s15, s0
	s_add_i32 s1, s6, s1
	s_delay_alu instid0(SALU_CYCLE_1) | instskip(NEXT) | instid1(VALU_DEP_1)
	s_lshl_b64 s[0:1], s[0:1], 3
	v_lshlrev_b64 v[2:3], 3, v[2:3]
	s_add_u32 s0, s2, s0
	s_addc_u32 s1, s3, s1
	s_delay_alu instid0(VALU_DEP_1) | instskip(NEXT) | instid1(VALU_DEP_2)
	v_add_co_u32 v2, vcc_lo, s0, v2
	v_add_co_ci_u32_e32 v3, vcc_lo, s1, v3, vcc_lo
	s_delay_alu instid0(VALU_DEP_2) | instskip(NEXT) | instid1(VALU_DEP_2)
	v_add_co_u32 v0, vcc_lo, v2, v0
	v_add_co_ci_u32_e32 v1, vcc_lo, v3, v1, vcc_lo
	global_load_b64 v[2:3], v[0:1], off
	s_waitcnt vmcnt(0)
	v_mul_f64 v[2:3], v[2:3], s[10:11]
	s_delay_alu instid0(VALU_DEP_1)
	v_fma_f64 v[2:3], v[5:6], s[4:5], v[2:3]
	global_store_b64 v[0:1], v[2:3], off
.LBB121_5:
	s_nop 0
	s_sendmsg sendmsg(MSG_DEALLOC_VGPRS)
	s_endpgm
.LBB121_6:
	v_mov_b32_e32 v5, 0
	v_mov_b32_e32 v6, 0
	s_mov_b32 s6, exec_lo
	v_cmpx_le_i32_e64 v7, v0
	s_cbranch_execnz .LBB121_4
	s_branch .LBB121_5
	.section	.rodata,"a",@progbits
	.p2align	6, 0x0
	.amdhsa_kernel _ZL41rocblas_syrkx_herkx_small_restrict_kernelIidLi16ELb0ELb0ELc84ELc76EKddEviT_T0_PT6_S1_lS4_S1_lS2_PT7_S1_li
		.amdhsa_group_segment_fixed_size 4096
		.amdhsa_private_segment_fixed_size 0
		.amdhsa_kernarg_size 100
		.amdhsa_user_sgpr_count 13
		.amdhsa_user_sgpr_dispatch_ptr 0
		.amdhsa_user_sgpr_queue_ptr 0
		.amdhsa_user_sgpr_kernarg_segment_ptr 1
		.amdhsa_user_sgpr_dispatch_id 0
		.amdhsa_user_sgpr_private_segment_size 0
		.amdhsa_wavefront_size32 1
		.amdhsa_uses_dynamic_stack 0
		.amdhsa_enable_private_segment 0
		.amdhsa_system_sgpr_workgroup_id_x 1
		.amdhsa_system_sgpr_workgroup_id_y 1
		.amdhsa_system_sgpr_workgroup_id_z 1
		.amdhsa_system_sgpr_workgroup_info 0
		.amdhsa_system_vgpr_workitem_id 1
		.amdhsa_next_free_vgpr 24
		.amdhsa_next_free_sgpr 22
		.amdhsa_reserve_vcc 1
		.amdhsa_float_round_mode_32 0
		.amdhsa_float_round_mode_16_64 0
		.amdhsa_float_denorm_mode_32 3
		.amdhsa_float_denorm_mode_16_64 3
		.amdhsa_dx10_clamp 1
		.amdhsa_ieee_mode 1
		.amdhsa_fp16_overflow 0
		.amdhsa_workgroup_processor_mode 1
		.amdhsa_memory_ordered 1
		.amdhsa_forward_progress 0
		.amdhsa_shared_vgpr_count 0
		.amdhsa_exception_fp_ieee_invalid_op 0
		.amdhsa_exception_fp_denorm_src 0
		.amdhsa_exception_fp_ieee_div_zero 0
		.amdhsa_exception_fp_ieee_overflow 0
		.amdhsa_exception_fp_ieee_underflow 0
		.amdhsa_exception_fp_ieee_inexact 0
		.amdhsa_exception_int_div_zero 0
	.end_amdhsa_kernel
	.section	.text._ZL41rocblas_syrkx_herkx_small_restrict_kernelIidLi16ELb0ELb0ELc84ELc76EKddEviT_T0_PT6_S1_lS4_S1_lS2_PT7_S1_li,"axG",@progbits,_ZL41rocblas_syrkx_herkx_small_restrict_kernelIidLi16ELb0ELb0ELc84ELc76EKddEviT_T0_PT6_S1_lS4_S1_lS2_PT7_S1_li,comdat
.Lfunc_end121:
	.size	_ZL41rocblas_syrkx_herkx_small_restrict_kernelIidLi16ELb0ELb0ELc84ELc76EKddEviT_T0_PT6_S1_lS4_S1_lS2_PT7_S1_li, .Lfunc_end121-_ZL41rocblas_syrkx_herkx_small_restrict_kernelIidLi16ELb0ELb0ELc84ELc76EKddEviT_T0_PT6_S1_lS4_S1_lS2_PT7_S1_li
                                        ; -- End function
	.section	.AMDGPU.csdata,"",@progbits
; Kernel info:
; codeLenInByte = 960
; NumSgprs: 24
; NumVgprs: 24
; ScratchSize: 0
; MemoryBound: 0
; FloatMode: 240
; IeeeMode: 1
; LDSByteSize: 4096 bytes/workgroup (compile time only)
; SGPRBlocks: 2
; VGPRBlocks: 2
; NumSGPRsForWavesPerEU: 24
; NumVGPRsForWavesPerEU: 24
; Occupancy: 16
; WaveLimiterHint : 0
; COMPUTE_PGM_RSRC2:SCRATCH_EN: 0
; COMPUTE_PGM_RSRC2:USER_SGPR: 13
; COMPUTE_PGM_RSRC2:TRAP_HANDLER: 0
; COMPUTE_PGM_RSRC2:TGID_X_EN: 1
; COMPUTE_PGM_RSRC2:TGID_Y_EN: 1
; COMPUTE_PGM_RSRC2:TGID_Z_EN: 1
; COMPUTE_PGM_RSRC2:TIDIG_COMP_CNT: 1
	.section	.text._ZL41rocblas_syrkx_herkx_small_restrict_kernelIidLi16ELb0ELb0ELc67ELc76EKddEviT_T0_PT6_S1_lS4_S1_lS2_PT7_S1_li,"axG",@progbits,_ZL41rocblas_syrkx_herkx_small_restrict_kernelIidLi16ELb0ELb0ELc67ELc76EKddEviT_T0_PT6_S1_lS4_S1_lS2_PT7_S1_li,comdat
	.globl	_ZL41rocblas_syrkx_herkx_small_restrict_kernelIidLi16ELb0ELb0ELc67ELc76EKddEviT_T0_PT6_S1_lS4_S1_lS2_PT7_S1_li ; -- Begin function _ZL41rocblas_syrkx_herkx_small_restrict_kernelIidLi16ELb0ELb0ELc67ELc76EKddEviT_T0_PT6_S1_lS4_S1_lS2_PT7_S1_li
	.p2align	8
	.type	_ZL41rocblas_syrkx_herkx_small_restrict_kernelIidLi16ELb0ELb0ELc67ELc76EKddEviT_T0_PT6_S1_lS4_S1_lS2_PT7_S1_li,@function
_ZL41rocblas_syrkx_herkx_small_restrict_kernelIidLi16ELb0ELb0ELc67ELc76EKddEviT_T0_PT6_S1_lS4_S1_lS2_PT7_S1_li: ; @_ZL41rocblas_syrkx_herkx_small_restrict_kernelIidLi16ELb0ELb0ELc67ELc76EKddEviT_T0_PT6_S1_lS4_S1_lS2_PT7_S1_li
; %bb.0:
	s_clause 0x3
	s_load_b32 s12, s[0:1], 0x4
	s_load_b128 s[4:7], s[0:1], 0x8
	s_load_b128 s[8:11], s[0:1], 0x38
	s_load_b64 s[2:3], s[0:1], 0x48
	v_and_b32_e32 v2, 0x3ff, v0
	v_bfe_u32 v1, v0, 10, 10
	s_delay_alu instid0(VALU_DEP_2) | instskip(NEXT) | instid1(VALU_DEP_2)
	v_lshl_add_u32 v0, s13, 4, v2
	v_lshl_add_u32 v7, s14, 4, v1
	s_mov_b32 s13, 0
	s_waitcnt lgkmcnt(0)
	s_cmp_lt_i32 s12, 1
	s_cbranch_scc1 .LBB122_6
; %bb.1:
	s_clause 0x2
	s_load_b32 s14, s[0:1], 0x30
	s_load_b32 s20, s[0:1], 0x18
	s_load_b128 s[16:19], s[0:1], 0x20
	v_lshlrev_b32_e32 v3, 7, v1
	v_lshlrev_b32_e32 v8, 3, v2
	;; [unrolled: 1-line block ×3, first 2 shown]
	s_mul_i32 s9, s9, s15
	s_mul_hi_u32 s21, s8, s15
	v_add_nc_u32_e32 v10, 0x800, v3
	v_add_nc_u32_e32 v9, v8, v3
	s_mul_i32 s8, s8, s15
	s_add_i32 s9, s21, s9
	s_delay_alu instid0(SALU_CYCLE_1)
	s_lshl_b64 s[8:9], s[8:9], 3
	s_waitcnt lgkmcnt(0)
	v_mad_i64_i32 v[1:2], null, s14, v7, 0
	v_mad_i64_i32 v[3:4], null, s20, v0, 0
	s_mul_i32 s14, s17, s15
	s_mul_hi_u32 s17, s16, s15
	s_mul_i32 s16, s16, s15
	s_add_i32 s17, s17, s14
	s_delay_alu instid0(VALU_DEP_2) | instskip(SKIP_1) | instid1(VALU_DEP_2)
	v_lshlrev_b64 v[1:2], 3, v[1:2]
	s_lshl_b64 s[16:17], s[16:17], 3
	v_lshlrev_b64 v[3:4], 3, v[3:4]
	s_delay_alu instid0(VALU_DEP_2) | instskip(NEXT) | instid1(VALU_DEP_3)
	v_add_co_u32 v1, vcc_lo, v1, s8
	v_add_co_ci_u32_e32 v2, vcc_lo, s9, v2, vcc_lo
	s_delay_alu instid0(VALU_DEP_3) | instskip(NEXT) | instid1(VALU_DEP_4)
	v_add_co_u32 v3, vcc_lo, v3, s16
	v_add_co_ci_u32_e32 v4, vcc_lo, s17, v4, vcc_lo
	s_delay_alu instid0(VALU_DEP_4) | instskip(NEXT) | instid1(VALU_DEP_4)
	v_add_co_u32 v1, vcc_lo, v1, v8
	v_add_co_ci_u32_e32 v2, vcc_lo, 0, v2, vcc_lo
	s_delay_alu instid0(VALU_DEP_4)
	v_add_co_u32 v3, vcc_lo, v3, v5
	v_mov_b32_e32 v5, 0
	v_add_co_ci_u32_e32 v4, vcc_lo, 0, v4, vcc_lo
	v_add_co_u32 v1, vcc_lo, s18, v1
	v_add_co_ci_u32_e32 v2, vcc_lo, s19, v2, vcc_lo
	v_add_co_u32 v3, vcc_lo, s6, v3
	v_dual_mov_b32 v6, 0 :: v_dual_add_nc_u32 v11, v10, v8
	v_add_co_ci_u32_e32 v4, vcc_lo, s7, v4, vcc_lo
.LBB122_2:                              ; =>This Inner Loop Header: Depth=1
	global_load_b64 v[12:13], v[3:4], off
	global_load_b64 v[14:15], v[1:2], off
	v_add_co_u32 v1, vcc_lo, 0x80, v1
	v_add_co_ci_u32_e32 v2, vcc_lo, 0, v2, vcc_lo
	v_add_co_u32 v3, vcc_lo, 0x80, v3
	v_add_co_ci_u32_e32 v4, vcc_lo, 0, v4, vcc_lo
	s_add_i32 s13, s13, 16
	s_waitcnt vmcnt(1)
	ds_store_b64 v9, v[12:13]
	s_waitcnt vmcnt(0)
	ds_store_b64 v11, v[14:15]
	s_waitcnt lgkmcnt(0)
	s_barrier
	buffer_gl0_inv
	ds_load_2addr_b64 v[12:15], v8 offset1:16
	ds_load_b128 v[16:19], v10
	ds_load_b128 v[20:23], v10 offset:16
	s_cmp_lt_i32 s13, s12
	s_waitcnt lgkmcnt(1)
	v_fma_f64 v[5:6], v[12:13], v[16:17], v[5:6]
	s_delay_alu instid0(VALU_DEP_1) | instskip(SKIP_3) | instid1(VALU_DEP_1)
	v_fma_f64 v[5:6], v[14:15], v[18:19], v[5:6]
	ds_load_2addr_b64 v[12:15], v8 offset0:32 offset1:48
	s_waitcnt lgkmcnt(0)
	v_fma_f64 v[5:6], v[12:13], v[20:21], v[5:6]
	v_fma_f64 v[5:6], v[14:15], v[22:23], v[5:6]
	ds_load_2addr_b64 v[12:15], v8 offset0:64 offset1:80
	ds_load_b128 v[16:19], v10 offset:32
	ds_load_b128 v[20:23], v10 offset:48
	s_waitcnt lgkmcnt(1)
	v_fma_f64 v[5:6], v[12:13], v[16:17], v[5:6]
	s_delay_alu instid0(VALU_DEP_1) | instskip(SKIP_3) | instid1(VALU_DEP_1)
	v_fma_f64 v[5:6], v[14:15], v[18:19], v[5:6]
	ds_load_2addr_b64 v[12:15], v8 offset0:96 offset1:112
	s_waitcnt lgkmcnt(0)
	v_fma_f64 v[5:6], v[12:13], v[20:21], v[5:6]
	v_fma_f64 v[5:6], v[14:15], v[22:23], v[5:6]
	ds_load_2addr_b64 v[12:15], v8 offset0:128 offset1:144
	ds_load_b128 v[16:19], v10 offset:64
	ds_load_b128 v[20:23], v10 offset:80
	s_waitcnt lgkmcnt(1)
	v_fma_f64 v[5:6], v[12:13], v[16:17], v[5:6]
	s_delay_alu instid0(VALU_DEP_1) | instskip(SKIP_3) | instid1(VALU_DEP_1)
	v_fma_f64 v[5:6], v[14:15], v[18:19], v[5:6]
	ds_load_2addr_b64 v[12:15], v8 offset0:160 offset1:176
	s_waitcnt lgkmcnt(0)
	v_fma_f64 v[5:6], v[12:13], v[20:21], v[5:6]
	v_fma_f64 v[5:6], v[14:15], v[22:23], v[5:6]
	ds_load_2addr_b64 v[12:15], v8 offset0:192 offset1:208
	ds_load_b128 v[16:19], v10 offset:96
	ds_load_b128 v[20:23], v10 offset:112
	s_waitcnt lgkmcnt(1)
	v_fma_f64 v[5:6], v[12:13], v[16:17], v[5:6]
	s_delay_alu instid0(VALU_DEP_1)
	v_fma_f64 v[5:6], v[14:15], v[18:19], v[5:6]
	ds_load_2addr_b64 v[12:15], v8 offset0:224 offset1:240
	s_waitcnt lgkmcnt(0)
	s_barrier
	buffer_gl0_inv
	v_fma_f64 v[5:6], v[12:13], v[20:21], v[5:6]
	s_delay_alu instid0(VALU_DEP_1)
	v_fma_f64 v[5:6], v[14:15], v[22:23], v[5:6]
	s_cbranch_scc1 .LBB122_2
; %bb.3:
	s_mov_b32 s6, exec_lo
	v_cmpx_le_i32_e64 v7, v0
	s_cbranch_execz .LBB122_5
.LBB122_4:
	s_clause 0x1
	s_load_b32 s6, s[0:1], 0x50
	s_load_b64 s[0:1], s[0:1], 0x58
	v_ashrrev_i32_e32 v1, 31, v0
	s_delay_alu instid0(VALU_DEP_1)
	v_lshlrev_b64 v[0:1], 3, v[0:1]
	s_waitcnt lgkmcnt(0)
	v_mad_i64_i32 v[2:3], null, s6, v7, 0
	s_mul_i32 s1, s15, s1
	s_mul_hi_u32 s6, s15, s0
	s_mul_i32 s0, s15, s0
	s_add_i32 s1, s6, s1
	s_delay_alu instid0(SALU_CYCLE_1) | instskip(NEXT) | instid1(VALU_DEP_1)
	s_lshl_b64 s[0:1], s[0:1], 3
	v_lshlrev_b64 v[2:3], 3, v[2:3]
	s_add_u32 s0, s2, s0
	s_addc_u32 s1, s3, s1
	s_delay_alu instid0(VALU_DEP_1) | instskip(NEXT) | instid1(VALU_DEP_2)
	v_add_co_u32 v2, vcc_lo, s0, v2
	v_add_co_ci_u32_e32 v3, vcc_lo, s1, v3, vcc_lo
	s_delay_alu instid0(VALU_DEP_2) | instskip(NEXT) | instid1(VALU_DEP_2)
	v_add_co_u32 v0, vcc_lo, v2, v0
	v_add_co_ci_u32_e32 v1, vcc_lo, v3, v1, vcc_lo
	global_load_b64 v[2:3], v[0:1], off
	s_waitcnt vmcnt(0)
	v_mul_f64 v[2:3], v[2:3], s[10:11]
	s_delay_alu instid0(VALU_DEP_1)
	v_fma_f64 v[2:3], v[5:6], s[4:5], v[2:3]
	global_store_b64 v[0:1], v[2:3], off
.LBB122_5:
	s_nop 0
	s_sendmsg sendmsg(MSG_DEALLOC_VGPRS)
	s_endpgm
.LBB122_6:
	v_mov_b32_e32 v5, 0
	v_mov_b32_e32 v6, 0
	s_mov_b32 s6, exec_lo
	v_cmpx_le_i32_e64 v7, v0
	s_cbranch_execnz .LBB122_4
	s_branch .LBB122_5
	.section	.rodata,"a",@progbits
	.p2align	6, 0x0
	.amdhsa_kernel _ZL41rocblas_syrkx_herkx_small_restrict_kernelIidLi16ELb0ELb0ELc67ELc76EKddEviT_T0_PT6_S1_lS4_S1_lS2_PT7_S1_li
		.amdhsa_group_segment_fixed_size 4096
		.amdhsa_private_segment_fixed_size 0
		.amdhsa_kernarg_size 100
		.amdhsa_user_sgpr_count 13
		.amdhsa_user_sgpr_dispatch_ptr 0
		.amdhsa_user_sgpr_queue_ptr 0
		.amdhsa_user_sgpr_kernarg_segment_ptr 1
		.amdhsa_user_sgpr_dispatch_id 0
		.amdhsa_user_sgpr_private_segment_size 0
		.amdhsa_wavefront_size32 1
		.amdhsa_uses_dynamic_stack 0
		.amdhsa_enable_private_segment 0
		.amdhsa_system_sgpr_workgroup_id_x 1
		.amdhsa_system_sgpr_workgroup_id_y 1
		.amdhsa_system_sgpr_workgroup_id_z 1
		.amdhsa_system_sgpr_workgroup_info 0
		.amdhsa_system_vgpr_workitem_id 1
		.amdhsa_next_free_vgpr 24
		.amdhsa_next_free_sgpr 22
		.amdhsa_reserve_vcc 1
		.amdhsa_float_round_mode_32 0
		.amdhsa_float_round_mode_16_64 0
		.amdhsa_float_denorm_mode_32 3
		.amdhsa_float_denorm_mode_16_64 3
		.amdhsa_dx10_clamp 1
		.amdhsa_ieee_mode 1
		.amdhsa_fp16_overflow 0
		.amdhsa_workgroup_processor_mode 1
		.amdhsa_memory_ordered 1
		.amdhsa_forward_progress 0
		.amdhsa_shared_vgpr_count 0
		.amdhsa_exception_fp_ieee_invalid_op 0
		.amdhsa_exception_fp_denorm_src 0
		.amdhsa_exception_fp_ieee_div_zero 0
		.amdhsa_exception_fp_ieee_overflow 0
		.amdhsa_exception_fp_ieee_underflow 0
		.amdhsa_exception_fp_ieee_inexact 0
		.amdhsa_exception_int_div_zero 0
	.end_amdhsa_kernel
	.section	.text._ZL41rocblas_syrkx_herkx_small_restrict_kernelIidLi16ELb0ELb0ELc67ELc76EKddEviT_T0_PT6_S1_lS4_S1_lS2_PT7_S1_li,"axG",@progbits,_ZL41rocblas_syrkx_herkx_small_restrict_kernelIidLi16ELb0ELb0ELc67ELc76EKddEviT_T0_PT6_S1_lS4_S1_lS2_PT7_S1_li,comdat
.Lfunc_end122:
	.size	_ZL41rocblas_syrkx_herkx_small_restrict_kernelIidLi16ELb0ELb0ELc67ELc76EKddEviT_T0_PT6_S1_lS4_S1_lS2_PT7_S1_li, .Lfunc_end122-_ZL41rocblas_syrkx_herkx_small_restrict_kernelIidLi16ELb0ELb0ELc67ELc76EKddEviT_T0_PT6_S1_lS4_S1_lS2_PT7_S1_li
                                        ; -- End function
	.section	.AMDGPU.csdata,"",@progbits
; Kernel info:
; codeLenInByte = 960
; NumSgprs: 24
; NumVgprs: 24
; ScratchSize: 0
; MemoryBound: 0
; FloatMode: 240
; IeeeMode: 1
; LDSByteSize: 4096 bytes/workgroup (compile time only)
; SGPRBlocks: 2
; VGPRBlocks: 2
; NumSGPRsForWavesPerEU: 24
; NumVGPRsForWavesPerEU: 24
; Occupancy: 16
; WaveLimiterHint : 0
; COMPUTE_PGM_RSRC2:SCRATCH_EN: 0
; COMPUTE_PGM_RSRC2:USER_SGPR: 13
; COMPUTE_PGM_RSRC2:TRAP_HANDLER: 0
; COMPUTE_PGM_RSRC2:TGID_X_EN: 1
; COMPUTE_PGM_RSRC2:TGID_Y_EN: 1
; COMPUTE_PGM_RSRC2:TGID_Z_EN: 1
; COMPUTE_PGM_RSRC2:TIDIG_COMP_CNT: 1
	.section	.text._ZL41rocblas_syrkx_herkx_small_restrict_kernelIidLi16ELb0ELb0ELc78ELc76EKddEviT_T0_PT6_S1_lS4_S1_lS2_PT7_S1_li,"axG",@progbits,_ZL41rocblas_syrkx_herkx_small_restrict_kernelIidLi16ELb0ELb0ELc78ELc76EKddEviT_T0_PT6_S1_lS4_S1_lS2_PT7_S1_li,comdat
	.globl	_ZL41rocblas_syrkx_herkx_small_restrict_kernelIidLi16ELb0ELb0ELc78ELc76EKddEviT_T0_PT6_S1_lS4_S1_lS2_PT7_S1_li ; -- Begin function _ZL41rocblas_syrkx_herkx_small_restrict_kernelIidLi16ELb0ELb0ELc78ELc76EKddEviT_T0_PT6_S1_lS4_S1_lS2_PT7_S1_li
	.p2align	8
	.type	_ZL41rocblas_syrkx_herkx_small_restrict_kernelIidLi16ELb0ELb0ELc78ELc76EKddEviT_T0_PT6_S1_lS4_S1_lS2_PT7_S1_li,@function
_ZL41rocblas_syrkx_herkx_small_restrict_kernelIidLi16ELb0ELb0ELc78ELc76EKddEviT_T0_PT6_S1_lS4_S1_lS2_PT7_S1_li: ; @_ZL41rocblas_syrkx_herkx_small_restrict_kernelIidLi16ELb0ELb0ELc78ELc76EKddEviT_T0_PT6_S1_lS4_S1_lS2_PT7_S1_li
; %bb.0:
	s_clause 0x3
	s_load_b32 s12, s[0:1], 0x4
	s_load_b128 s[4:7], s[0:1], 0x8
	s_load_b128 s[8:11], s[0:1], 0x38
	s_load_b64 s[2:3], s[0:1], 0x48
	v_and_b32_e32 v5, 0x3ff, v0
	v_bfe_u32 v4, v0, 10, 10
	s_delay_alu instid0(VALU_DEP_2) | instskip(NEXT) | instid1(VALU_DEP_2)
	v_lshl_add_u32 v0, s13, 4, v5
	v_lshl_add_u32 v2, s14, 4, v4
	s_mov_b32 s13, 0
	s_delay_alu instid0(VALU_DEP_2)
	v_ashrrev_i32_e32 v1, 31, v0
	s_waitcnt lgkmcnt(0)
	s_cmp_lt_i32 s12, 1
	s_cbranch_scc1 .LBB123_6
; %bb.1:
	s_clause 0x2
	s_load_b32 s20, s[0:1], 0x30
	s_load_b128 s[16:19], s[0:1], 0x20
	s_load_b32 s22, s[0:1], 0x18
	v_ashrrev_i32_e32 v3, 31, v2
	s_mul_i32 s9, s9, s15
	s_mul_hi_u32 s14, s8, s15
	s_mul_i32 s8, s8, s15
	s_add_i32 s9, s14, s9
	v_lshlrev_b32_e32 v8, 7, v4
	v_lshlrev_b32_e32 v9, 3, v5
	s_lshl_b64 s[8:9], s[8:9], 3
	v_lshlrev_b64 v[15:16], 3, v[2:3]
	v_lshlrev_b64 v[6:7], 3, v[0:1]
	v_add_nc_u32_e32 v10, 0x800, v8
	v_add_nc_u32_e32 v11, v9, v8
	s_waitcnt lgkmcnt(0)
	v_mad_i64_i32 v[13:14], null, s20, v5, 0
	v_mad_i64_i32 v[17:18], null, s22, v4, 0
	s_mul_i32 s14, s17, s15
	s_mul_hi_u32 s17, s16, s15
	s_mul_i32 s16, s16, s15
	s_add_i32 s17, s17, s14
	s_delay_alu instid0(VALU_DEP_2) | instskip(SKIP_1) | instid1(VALU_DEP_2)
	v_lshlrev_b64 v[13:14], 3, v[13:14]
	s_lshl_b64 s[16:17], s[16:17], 3
	v_lshlrev_b64 v[3:4], 3, v[17:18]
	s_ashr_i32 s21, s20, 31
	s_ashr_i32 s23, s22, 31
	s_delay_alu instid0(VALU_DEP_2) | instskip(SKIP_2) | instid1(VALU_DEP_2)
	v_add_co_u32 v5, vcc_lo, s8, v13
	v_add_co_ci_u32_e32 v8, vcc_lo, s9, v14, vcc_lo
	s_lshl_b64 s[8:9], s[22:23], 7
	v_add_co_u32 v5, vcc_lo, v5, v15
	s_delay_alu instid0(VALU_DEP_2) | instskip(SKIP_2) | instid1(VALU_DEP_4)
	v_add_co_ci_u32_e32 v8, vcc_lo, v8, v16, vcc_lo
	v_add_co_u32 v13, vcc_lo, s16, v3
	v_add_co_ci_u32_e32 v14, vcc_lo, s17, v4, vcc_lo
	v_add_co_u32 v3, vcc_lo, s18, v5
	s_delay_alu instid0(VALU_DEP_4) | instskip(NEXT) | instid1(VALU_DEP_4)
	v_add_co_ci_u32_e32 v4, vcc_lo, s19, v8, vcc_lo
	v_add_co_u32 v5, vcc_lo, v13, v6
	s_delay_alu instid0(VALU_DEP_4) | instskip(SKIP_1) | instid1(VALU_DEP_3)
	v_add_co_ci_u32_e32 v6, vcc_lo, v14, v7, vcc_lo
	v_mov_b32_e32 v7, 0
	v_add_co_u32 v5, vcc_lo, s6, v5
	v_mov_b32_e32 v8, 0
	v_add_nc_u32_e32 v12, v10, v9
	v_add_co_ci_u32_e32 v6, vcc_lo, s7, v6, vcc_lo
	s_lshl_b64 s[6:7], s[20:21], 7
.LBB123_2:                              ; =>This Inner Loop Header: Depth=1
	global_load_b64 v[13:14], v[5:6], off
	global_load_b64 v[15:16], v[3:4], off
	v_add_co_u32 v3, vcc_lo, v3, s6
	v_add_co_ci_u32_e32 v4, vcc_lo, s7, v4, vcc_lo
	v_add_co_u32 v5, vcc_lo, v5, s8
	v_add_co_ci_u32_e32 v6, vcc_lo, s9, v6, vcc_lo
	s_add_i32 s13, s13, 16
	s_waitcnt vmcnt(1)
	ds_store_b64 v11, v[13:14]
	s_waitcnt vmcnt(0)
	ds_store_b64 v12, v[15:16]
	s_waitcnt lgkmcnt(0)
	s_barrier
	buffer_gl0_inv
	ds_load_2addr_b64 v[13:16], v9 offset1:16
	ds_load_b128 v[17:20], v10
	ds_load_b128 v[21:24], v10 offset:16
	s_cmp_lt_i32 s13, s12
	s_waitcnt lgkmcnt(1)
	v_fma_f64 v[7:8], v[13:14], v[17:18], v[7:8]
	s_delay_alu instid0(VALU_DEP_1) | instskip(SKIP_3) | instid1(VALU_DEP_1)
	v_fma_f64 v[7:8], v[15:16], v[19:20], v[7:8]
	ds_load_2addr_b64 v[13:16], v9 offset0:32 offset1:48
	s_waitcnt lgkmcnt(0)
	v_fma_f64 v[7:8], v[13:14], v[21:22], v[7:8]
	v_fma_f64 v[7:8], v[15:16], v[23:24], v[7:8]
	ds_load_2addr_b64 v[13:16], v9 offset0:64 offset1:80
	ds_load_b128 v[17:20], v10 offset:32
	ds_load_b128 v[21:24], v10 offset:48
	s_waitcnt lgkmcnt(1)
	v_fma_f64 v[7:8], v[13:14], v[17:18], v[7:8]
	s_delay_alu instid0(VALU_DEP_1) | instskip(SKIP_3) | instid1(VALU_DEP_1)
	v_fma_f64 v[7:8], v[15:16], v[19:20], v[7:8]
	ds_load_2addr_b64 v[13:16], v9 offset0:96 offset1:112
	s_waitcnt lgkmcnt(0)
	v_fma_f64 v[7:8], v[13:14], v[21:22], v[7:8]
	v_fma_f64 v[7:8], v[15:16], v[23:24], v[7:8]
	ds_load_2addr_b64 v[13:16], v9 offset0:128 offset1:144
	ds_load_b128 v[17:20], v10 offset:64
	ds_load_b128 v[21:24], v10 offset:80
	;; [unrolled: 11-line block ×3, first 2 shown]
	s_waitcnt lgkmcnt(1)
	v_fma_f64 v[7:8], v[13:14], v[17:18], v[7:8]
	s_delay_alu instid0(VALU_DEP_1)
	v_fma_f64 v[7:8], v[15:16], v[19:20], v[7:8]
	ds_load_2addr_b64 v[13:16], v9 offset0:224 offset1:240
	s_waitcnt lgkmcnt(0)
	s_barrier
	buffer_gl0_inv
	v_fma_f64 v[7:8], v[13:14], v[21:22], v[7:8]
	s_delay_alu instid0(VALU_DEP_1)
	v_fma_f64 v[7:8], v[15:16], v[23:24], v[7:8]
	s_cbranch_scc1 .LBB123_2
; %bb.3:
	s_mov_b32 s6, exec_lo
	v_cmpx_le_i32_e64 v2, v0
	s_cbranch_execz .LBB123_5
.LBB123_4:
	s_clause 0x1
	s_load_b32 s6, s[0:1], 0x50
	s_load_b64 s[0:1], s[0:1], 0x58
	v_lshlrev_b64 v[0:1], 3, v[0:1]
	s_waitcnt lgkmcnt(0)
	v_mad_i64_i32 v[3:4], null, s6, v2, 0
	s_mul_i32 s1, s15, s1
	s_mul_hi_u32 s6, s15, s0
	s_mul_i32 s0, s15, s0
	s_add_i32 s1, s6, s1
	s_delay_alu instid0(SALU_CYCLE_1) | instskip(NEXT) | instid1(VALU_DEP_1)
	s_lshl_b64 s[0:1], s[0:1], 3
	v_lshlrev_b64 v[2:3], 3, v[3:4]
	s_add_u32 s0, s2, s0
	s_addc_u32 s1, s3, s1
	s_delay_alu instid0(VALU_DEP_1) | instskip(NEXT) | instid1(VALU_DEP_2)
	v_add_co_u32 v2, vcc_lo, s0, v2
	v_add_co_ci_u32_e32 v3, vcc_lo, s1, v3, vcc_lo
	s_delay_alu instid0(VALU_DEP_2) | instskip(NEXT) | instid1(VALU_DEP_2)
	v_add_co_u32 v0, vcc_lo, v2, v0
	v_add_co_ci_u32_e32 v1, vcc_lo, v3, v1, vcc_lo
	global_load_b64 v[2:3], v[0:1], off
	s_waitcnt vmcnt(0)
	v_mul_f64 v[2:3], v[2:3], s[10:11]
	s_delay_alu instid0(VALU_DEP_1)
	v_fma_f64 v[2:3], v[7:8], s[4:5], v[2:3]
	global_store_b64 v[0:1], v[2:3], off
.LBB123_5:
	s_nop 0
	s_sendmsg sendmsg(MSG_DEALLOC_VGPRS)
	s_endpgm
.LBB123_6:
	v_mov_b32_e32 v7, 0
	v_mov_b32_e32 v8, 0
	s_mov_b32 s6, exec_lo
	v_cmpx_le_i32_e64 v2, v0
	s_cbranch_execnz .LBB123_4
	s_branch .LBB123_5
	.section	.rodata,"a",@progbits
	.p2align	6, 0x0
	.amdhsa_kernel _ZL41rocblas_syrkx_herkx_small_restrict_kernelIidLi16ELb0ELb0ELc78ELc76EKddEviT_T0_PT6_S1_lS4_S1_lS2_PT7_S1_li
		.amdhsa_group_segment_fixed_size 4096
		.amdhsa_private_segment_fixed_size 0
		.amdhsa_kernarg_size 100
		.amdhsa_user_sgpr_count 13
		.amdhsa_user_sgpr_dispatch_ptr 0
		.amdhsa_user_sgpr_queue_ptr 0
		.amdhsa_user_sgpr_kernarg_segment_ptr 1
		.amdhsa_user_sgpr_dispatch_id 0
		.amdhsa_user_sgpr_private_segment_size 0
		.amdhsa_wavefront_size32 1
		.amdhsa_uses_dynamic_stack 0
		.amdhsa_enable_private_segment 0
		.amdhsa_system_sgpr_workgroup_id_x 1
		.amdhsa_system_sgpr_workgroup_id_y 1
		.amdhsa_system_sgpr_workgroup_id_z 1
		.amdhsa_system_sgpr_workgroup_info 0
		.amdhsa_system_vgpr_workitem_id 1
		.amdhsa_next_free_vgpr 25
		.amdhsa_next_free_sgpr 24
		.amdhsa_reserve_vcc 1
		.amdhsa_float_round_mode_32 0
		.amdhsa_float_round_mode_16_64 0
		.amdhsa_float_denorm_mode_32 3
		.amdhsa_float_denorm_mode_16_64 3
		.amdhsa_dx10_clamp 1
		.amdhsa_ieee_mode 1
		.amdhsa_fp16_overflow 0
		.amdhsa_workgroup_processor_mode 1
		.amdhsa_memory_ordered 1
		.amdhsa_forward_progress 0
		.amdhsa_shared_vgpr_count 0
		.amdhsa_exception_fp_ieee_invalid_op 0
		.amdhsa_exception_fp_denorm_src 0
		.amdhsa_exception_fp_ieee_div_zero 0
		.amdhsa_exception_fp_ieee_overflow 0
		.amdhsa_exception_fp_ieee_underflow 0
		.amdhsa_exception_fp_ieee_inexact 0
		.amdhsa_exception_int_div_zero 0
	.end_amdhsa_kernel
	.section	.text._ZL41rocblas_syrkx_herkx_small_restrict_kernelIidLi16ELb0ELb0ELc78ELc76EKddEviT_T0_PT6_S1_lS4_S1_lS2_PT7_S1_li,"axG",@progbits,_ZL41rocblas_syrkx_herkx_small_restrict_kernelIidLi16ELb0ELb0ELc78ELc76EKddEviT_T0_PT6_S1_lS4_S1_lS2_PT7_S1_li,comdat
.Lfunc_end123:
	.size	_ZL41rocblas_syrkx_herkx_small_restrict_kernelIidLi16ELb0ELb0ELc78ELc76EKddEviT_T0_PT6_S1_lS4_S1_lS2_PT7_S1_li, .Lfunc_end123-_ZL41rocblas_syrkx_herkx_small_restrict_kernelIidLi16ELb0ELb0ELc78ELc76EKddEviT_T0_PT6_S1_lS4_S1_lS2_PT7_S1_li
                                        ; -- End function
	.section	.AMDGPU.csdata,"",@progbits
; Kernel info:
; codeLenInByte = 980
; NumSgprs: 26
; NumVgprs: 25
; ScratchSize: 0
; MemoryBound: 0
; FloatMode: 240
; IeeeMode: 1
; LDSByteSize: 4096 bytes/workgroup (compile time only)
; SGPRBlocks: 3
; VGPRBlocks: 3
; NumSGPRsForWavesPerEU: 26
; NumVGPRsForWavesPerEU: 25
; Occupancy: 16
; WaveLimiterHint : 0
; COMPUTE_PGM_RSRC2:SCRATCH_EN: 0
; COMPUTE_PGM_RSRC2:USER_SGPR: 13
; COMPUTE_PGM_RSRC2:TRAP_HANDLER: 0
; COMPUTE_PGM_RSRC2:TGID_X_EN: 1
; COMPUTE_PGM_RSRC2:TGID_Y_EN: 1
; COMPUTE_PGM_RSRC2:TGID_Z_EN: 1
; COMPUTE_PGM_RSRC2:TIDIG_COMP_CNT: 1
	.section	.text._ZL41rocblas_syrkx_herkx_small_restrict_kernelIidLi16ELb0ELb0ELc84ELc85EKddEviT_T0_PT6_S1_lS4_S1_lS2_PT7_S1_li,"axG",@progbits,_ZL41rocblas_syrkx_herkx_small_restrict_kernelIidLi16ELb0ELb0ELc84ELc85EKddEviT_T0_PT6_S1_lS4_S1_lS2_PT7_S1_li,comdat
	.globl	_ZL41rocblas_syrkx_herkx_small_restrict_kernelIidLi16ELb0ELb0ELc84ELc85EKddEviT_T0_PT6_S1_lS4_S1_lS2_PT7_S1_li ; -- Begin function _ZL41rocblas_syrkx_herkx_small_restrict_kernelIidLi16ELb0ELb0ELc84ELc85EKddEviT_T0_PT6_S1_lS4_S1_lS2_PT7_S1_li
	.p2align	8
	.type	_ZL41rocblas_syrkx_herkx_small_restrict_kernelIidLi16ELb0ELb0ELc84ELc85EKddEviT_T0_PT6_S1_lS4_S1_lS2_PT7_S1_li,@function
_ZL41rocblas_syrkx_herkx_small_restrict_kernelIidLi16ELb0ELb0ELc84ELc85EKddEviT_T0_PT6_S1_lS4_S1_lS2_PT7_S1_li: ; @_ZL41rocblas_syrkx_herkx_small_restrict_kernelIidLi16ELb0ELb0ELc84ELc85EKddEviT_T0_PT6_S1_lS4_S1_lS2_PT7_S1_li
; %bb.0:
	s_clause 0x3
	s_load_b32 s12, s[0:1], 0x4
	s_load_b128 s[4:7], s[0:1], 0x8
	s_load_b128 s[8:11], s[0:1], 0x38
	s_load_b64 s[2:3], s[0:1], 0x48
	v_and_b32_e32 v2, 0x3ff, v0
	v_bfe_u32 v1, v0, 10, 10
	s_delay_alu instid0(VALU_DEP_2) | instskip(NEXT) | instid1(VALU_DEP_2)
	v_lshl_add_u32 v0, s13, 4, v2
	v_lshl_add_u32 v7, s14, 4, v1
	s_mov_b32 s13, 0
	s_waitcnt lgkmcnt(0)
	s_cmp_lt_i32 s12, 1
	s_cbranch_scc1 .LBB124_6
; %bb.1:
	s_clause 0x2
	s_load_b32 s14, s[0:1], 0x30
	s_load_b32 s20, s[0:1], 0x18
	s_load_b128 s[16:19], s[0:1], 0x20
	v_lshlrev_b32_e32 v3, 7, v1
	v_lshlrev_b32_e32 v8, 3, v2
	;; [unrolled: 1-line block ×3, first 2 shown]
	s_mul_i32 s9, s9, s15
	s_mul_hi_u32 s21, s8, s15
	v_add_nc_u32_e32 v10, 0x800, v3
	v_add_nc_u32_e32 v9, v8, v3
	s_mul_i32 s8, s8, s15
	s_add_i32 s9, s21, s9
	s_delay_alu instid0(SALU_CYCLE_1)
	s_lshl_b64 s[8:9], s[8:9], 3
	s_waitcnt lgkmcnt(0)
	v_mad_i64_i32 v[1:2], null, s14, v7, 0
	v_mad_i64_i32 v[3:4], null, s20, v0, 0
	s_mul_i32 s14, s17, s15
	s_mul_hi_u32 s17, s16, s15
	s_mul_i32 s16, s16, s15
	s_add_i32 s17, s17, s14
	s_delay_alu instid0(VALU_DEP_2) | instskip(SKIP_1) | instid1(VALU_DEP_2)
	v_lshlrev_b64 v[1:2], 3, v[1:2]
	s_lshl_b64 s[16:17], s[16:17], 3
	v_lshlrev_b64 v[3:4], 3, v[3:4]
	s_delay_alu instid0(VALU_DEP_2) | instskip(NEXT) | instid1(VALU_DEP_3)
	v_add_co_u32 v1, vcc_lo, v1, s8
	v_add_co_ci_u32_e32 v2, vcc_lo, s9, v2, vcc_lo
	s_delay_alu instid0(VALU_DEP_3) | instskip(NEXT) | instid1(VALU_DEP_4)
	v_add_co_u32 v3, vcc_lo, v3, s16
	v_add_co_ci_u32_e32 v4, vcc_lo, s17, v4, vcc_lo
	s_delay_alu instid0(VALU_DEP_4) | instskip(NEXT) | instid1(VALU_DEP_4)
	v_add_co_u32 v1, vcc_lo, v1, v8
	v_add_co_ci_u32_e32 v2, vcc_lo, 0, v2, vcc_lo
	s_delay_alu instid0(VALU_DEP_4)
	v_add_co_u32 v3, vcc_lo, v3, v5
	v_mov_b32_e32 v5, 0
	v_add_co_ci_u32_e32 v4, vcc_lo, 0, v4, vcc_lo
	v_add_co_u32 v1, vcc_lo, s18, v1
	v_add_co_ci_u32_e32 v2, vcc_lo, s19, v2, vcc_lo
	v_add_co_u32 v3, vcc_lo, s6, v3
	v_dual_mov_b32 v6, 0 :: v_dual_add_nc_u32 v11, v10, v8
	v_add_co_ci_u32_e32 v4, vcc_lo, s7, v4, vcc_lo
.LBB124_2:                              ; =>This Inner Loop Header: Depth=1
	global_load_b64 v[12:13], v[3:4], off
	global_load_b64 v[14:15], v[1:2], off
	v_add_co_u32 v1, vcc_lo, 0x80, v1
	v_add_co_ci_u32_e32 v2, vcc_lo, 0, v2, vcc_lo
	v_add_co_u32 v3, vcc_lo, 0x80, v3
	v_add_co_ci_u32_e32 v4, vcc_lo, 0, v4, vcc_lo
	s_add_i32 s13, s13, 16
	s_waitcnt vmcnt(1)
	ds_store_b64 v9, v[12:13]
	s_waitcnt vmcnt(0)
	ds_store_b64 v11, v[14:15]
	s_waitcnt lgkmcnt(0)
	s_barrier
	buffer_gl0_inv
	ds_load_2addr_b64 v[12:15], v8 offset1:16
	ds_load_b128 v[16:19], v10
	ds_load_b128 v[20:23], v10 offset:16
	s_cmp_lt_i32 s13, s12
	s_waitcnt lgkmcnt(1)
	v_fma_f64 v[5:6], v[12:13], v[16:17], v[5:6]
	s_delay_alu instid0(VALU_DEP_1) | instskip(SKIP_3) | instid1(VALU_DEP_1)
	v_fma_f64 v[5:6], v[14:15], v[18:19], v[5:6]
	ds_load_2addr_b64 v[12:15], v8 offset0:32 offset1:48
	s_waitcnt lgkmcnt(0)
	v_fma_f64 v[5:6], v[12:13], v[20:21], v[5:6]
	v_fma_f64 v[5:6], v[14:15], v[22:23], v[5:6]
	ds_load_2addr_b64 v[12:15], v8 offset0:64 offset1:80
	ds_load_b128 v[16:19], v10 offset:32
	ds_load_b128 v[20:23], v10 offset:48
	s_waitcnt lgkmcnt(1)
	v_fma_f64 v[5:6], v[12:13], v[16:17], v[5:6]
	s_delay_alu instid0(VALU_DEP_1) | instskip(SKIP_3) | instid1(VALU_DEP_1)
	v_fma_f64 v[5:6], v[14:15], v[18:19], v[5:6]
	ds_load_2addr_b64 v[12:15], v8 offset0:96 offset1:112
	s_waitcnt lgkmcnt(0)
	v_fma_f64 v[5:6], v[12:13], v[20:21], v[5:6]
	v_fma_f64 v[5:6], v[14:15], v[22:23], v[5:6]
	ds_load_2addr_b64 v[12:15], v8 offset0:128 offset1:144
	ds_load_b128 v[16:19], v10 offset:64
	ds_load_b128 v[20:23], v10 offset:80
	;; [unrolled: 11-line block ×3, first 2 shown]
	s_waitcnt lgkmcnt(1)
	v_fma_f64 v[5:6], v[12:13], v[16:17], v[5:6]
	s_delay_alu instid0(VALU_DEP_1)
	v_fma_f64 v[5:6], v[14:15], v[18:19], v[5:6]
	ds_load_2addr_b64 v[12:15], v8 offset0:224 offset1:240
	s_waitcnt lgkmcnt(0)
	s_barrier
	buffer_gl0_inv
	v_fma_f64 v[5:6], v[12:13], v[20:21], v[5:6]
	s_delay_alu instid0(VALU_DEP_1)
	v_fma_f64 v[5:6], v[14:15], v[22:23], v[5:6]
	s_cbranch_scc1 .LBB124_2
; %bb.3:
	s_mov_b32 s6, exec_lo
	v_cmpx_le_i32_e64 v0, v7
	s_cbranch_execz .LBB124_5
.LBB124_4:
	s_clause 0x1
	s_load_b32 s6, s[0:1], 0x50
	s_load_b64 s[0:1], s[0:1], 0x58
	v_ashrrev_i32_e32 v1, 31, v0
	s_delay_alu instid0(VALU_DEP_1)
	v_lshlrev_b64 v[0:1], 3, v[0:1]
	s_waitcnt lgkmcnt(0)
	v_mad_i64_i32 v[2:3], null, s6, v7, 0
	s_mul_i32 s1, s15, s1
	s_mul_hi_u32 s6, s15, s0
	s_mul_i32 s0, s15, s0
	s_add_i32 s1, s6, s1
	s_delay_alu instid0(SALU_CYCLE_1) | instskip(NEXT) | instid1(VALU_DEP_1)
	s_lshl_b64 s[0:1], s[0:1], 3
	v_lshlrev_b64 v[2:3], 3, v[2:3]
	s_add_u32 s0, s2, s0
	s_addc_u32 s1, s3, s1
	s_delay_alu instid0(VALU_DEP_1) | instskip(NEXT) | instid1(VALU_DEP_2)
	v_add_co_u32 v2, vcc_lo, s0, v2
	v_add_co_ci_u32_e32 v3, vcc_lo, s1, v3, vcc_lo
	s_delay_alu instid0(VALU_DEP_2) | instskip(NEXT) | instid1(VALU_DEP_2)
	v_add_co_u32 v0, vcc_lo, v2, v0
	v_add_co_ci_u32_e32 v1, vcc_lo, v3, v1, vcc_lo
	global_load_b64 v[2:3], v[0:1], off
	s_waitcnt vmcnt(0)
	v_mul_f64 v[2:3], v[2:3], s[10:11]
	s_delay_alu instid0(VALU_DEP_1)
	v_fma_f64 v[2:3], v[5:6], s[4:5], v[2:3]
	global_store_b64 v[0:1], v[2:3], off
.LBB124_5:
	s_nop 0
	s_sendmsg sendmsg(MSG_DEALLOC_VGPRS)
	s_endpgm
.LBB124_6:
	v_mov_b32_e32 v5, 0
	v_mov_b32_e32 v6, 0
	s_mov_b32 s6, exec_lo
	v_cmpx_le_i32_e64 v0, v7
	s_cbranch_execnz .LBB124_4
	s_branch .LBB124_5
	.section	.rodata,"a",@progbits
	.p2align	6, 0x0
	.amdhsa_kernel _ZL41rocblas_syrkx_herkx_small_restrict_kernelIidLi16ELb0ELb0ELc84ELc85EKddEviT_T0_PT6_S1_lS4_S1_lS2_PT7_S1_li
		.amdhsa_group_segment_fixed_size 4096
		.amdhsa_private_segment_fixed_size 0
		.amdhsa_kernarg_size 100
		.amdhsa_user_sgpr_count 13
		.amdhsa_user_sgpr_dispatch_ptr 0
		.amdhsa_user_sgpr_queue_ptr 0
		.amdhsa_user_sgpr_kernarg_segment_ptr 1
		.amdhsa_user_sgpr_dispatch_id 0
		.amdhsa_user_sgpr_private_segment_size 0
		.amdhsa_wavefront_size32 1
		.amdhsa_uses_dynamic_stack 0
		.amdhsa_enable_private_segment 0
		.amdhsa_system_sgpr_workgroup_id_x 1
		.amdhsa_system_sgpr_workgroup_id_y 1
		.amdhsa_system_sgpr_workgroup_id_z 1
		.amdhsa_system_sgpr_workgroup_info 0
		.amdhsa_system_vgpr_workitem_id 1
		.amdhsa_next_free_vgpr 24
		.amdhsa_next_free_sgpr 22
		.amdhsa_reserve_vcc 1
		.amdhsa_float_round_mode_32 0
		.amdhsa_float_round_mode_16_64 0
		.amdhsa_float_denorm_mode_32 3
		.amdhsa_float_denorm_mode_16_64 3
		.amdhsa_dx10_clamp 1
		.amdhsa_ieee_mode 1
		.amdhsa_fp16_overflow 0
		.amdhsa_workgroup_processor_mode 1
		.amdhsa_memory_ordered 1
		.amdhsa_forward_progress 0
		.amdhsa_shared_vgpr_count 0
		.amdhsa_exception_fp_ieee_invalid_op 0
		.amdhsa_exception_fp_denorm_src 0
		.amdhsa_exception_fp_ieee_div_zero 0
		.amdhsa_exception_fp_ieee_overflow 0
		.amdhsa_exception_fp_ieee_underflow 0
		.amdhsa_exception_fp_ieee_inexact 0
		.amdhsa_exception_int_div_zero 0
	.end_amdhsa_kernel
	.section	.text._ZL41rocblas_syrkx_herkx_small_restrict_kernelIidLi16ELb0ELb0ELc84ELc85EKddEviT_T0_PT6_S1_lS4_S1_lS2_PT7_S1_li,"axG",@progbits,_ZL41rocblas_syrkx_herkx_small_restrict_kernelIidLi16ELb0ELb0ELc84ELc85EKddEviT_T0_PT6_S1_lS4_S1_lS2_PT7_S1_li,comdat
.Lfunc_end124:
	.size	_ZL41rocblas_syrkx_herkx_small_restrict_kernelIidLi16ELb0ELb0ELc84ELc85EKddEviT_T0_PT6_S1_lS4_S1_lS2_PT7_S1_li, .Lfunc_end124-_ZL41rocblas_syrkx_herkx_small_restrict_kernelIidLi16ELb0ELb0ELc84ELc85EKddEviT_T0_PT6_S1_lS4_S1_lS2_PT7_S1_li
                                        ; -- End function
	.section	.AMDGPU.csdata,"",@progbits
; Kernel info:
; codeLenInByte = 960
; NumSgprs: 24
; NumVgprs: 24
; ScratchSize: 0
; MemoryBound: 0
; FloatMode: 240
; IeeeMode: 1
; LDSByteSize: 4096 bytes/workgroup (compile time only)
; SGPRBlocks: 2
; VGPRBlocks: 2
; NumSGPRsForWavesPerEU: 24
; NumVGPRsForWavesPerEU: 24
; Occupancy: 16
; WaveLimiterHint : 0
; COMPUTE_PGM_RSRC2:SCRATCH_EN: 0
; COMPUTE_PGM_RSRC2:USER_SGPR: 13
; COMPUTE_PGM_RSRC2:TRAP_HANDLER: 0
; COMPUTE_PGM_RSRC2:TGID_X_EN: 1
; COMPUTE_PGM_RSRC2:TGID_Y_EN: 1
; COMPUTE_PGM_RSRC2:TGID_Z_EN: 1
; COMPUTE_PGM_RSRC2:TIDIG_COMP_CNT: 1
	.section	.text._ZL41rocblas_syrkx_herkx_small_restrict_kernelIidLi16ELb0ELb0ELc67ELc85EKddEviT_T0_PT6_S1_lS4_S1_lS2_PT7_S1_li,"axG",@progbits,_ZL41rocblas_syrkx_herkx_small_restrict_kernelIidLi16ELb0ELb0ELc67ELc85EKddEviT_T0_PT6_S1_lS4_S1_lS2_PT7_S1_li,comdat
	.globl	_ZL41rocblas_syrkx_herkx_small_restrict_kernelIidLi16ELb0ELb0ELc67ELc85EKddEviT_T0_PT6_S1_lS4_S1_lS2_PT7_S1_li ; -- Begin function _ZL41rocblas_syrkx_herkx_small_restrict_kernelIidLi16ELb0ELb0ELc67ELc85EKddEviT_T0_PT6_S1_lS4_S1_lS2_PT7_S1_li
	.p2align	8
	.type	_ZL41rocblas_syrkx_herkx_small_restrict_kernelIidLi16ELb0ELb0ELc67ELc85EKddEviT_T0_PT6_S1_lS4_S1_lS2_PT7_S1_li,@function
_ZL41rocblas_syrkx_herkx_small_restrict_kernelIidLi16ELb0ELb0ELc67ELc85EKddEviT_T0_PT6_S1_lS4_S1_lS2_PT7_S1_li: ; @_ZL41rocblas_syrkx_herkx_small_restrict_kernelIidLi16ELb0ELb0ELc67ELc85EKddEviT_T0_PT6_S1_lS4_S1_lS2_PT7_S1_li
; %bb.0:
	s_clause 0x3
	s_load_b32 s12, s[0:1], 0x4
	s_load_b128 s[4:7], s[0:1], 0x8
	s_load_b128 s[8:11], s[0:1], 0x38
	s_load_b64 s[2:3], s[0:1], 0x48
	v_and_b32_e32 v2, 0x3ff, v0
	v_bfe_u32 v1, v0, 10, 10
	s_delay_alu instid0(VALU_DEP_2) | instskip(NEXT) | instid1(VALU_DEP_2)
	v_lshl_add_u32 v0, s13, 4, v2
	v_lshl_add_u32 v7, s14, 4, v1
	s_mov_b32 s13, 0
	s_waitcnt lgkmcnt(0)
	s_cmp_lt_i32 s12, 1
	s_cbranch_scc1 .LBB125_6
; %bb.1:
	s_clause 0x2
	s_load_b32 s14, s[0:1], 0x30
	s_load_b32 s20, s[0:1], 0x18
	s_load_b128 s[16:19], s[0:1], 0x20
	v_lshlrev_b32_e32 v3, 7, v1
	v_lshlrev_b32_e32 v8, 3, v2
	v_lshlrev_b32_e32 v5, 3, v1
	s_mul_i32 s9, s9, s15
	s_mul_hi_u32 s21, s8, s15
	v_add_nc_u32_e32 v10, 0x800, v3
	v_add_nc_u32_e32 v9, v8, v3
	s_mul_i32 s8, s8, s15
	s_add_i32 s9, s21, s9
	s_delay_alu instid0(SALU_CYCLE_1)
	s_lshl_b64 s[8:9], s[8:9], 3
	s_waitcnt lgkmcnt(0)
	v_mad_i64_i32 v[1:2], null, s14, v7, 0
	v_mad_i64_i32 v[3:4], null, s20, v0, 0
	s_mul_i32 s14, s17, s15
	s_mul_hi_u32 s17, s16, s15
	s_mul_i32 s16, s16, s15
	s_add_i32 s17, s17, s14
	s_delay_alu instid0(VALU_DEP_2) | instskip(SKIP_1) | instid1(VALU_DEP_2)
	v_lshlrev_b64 v[1:2], 3, v[1:2]
	s_lshl_b64 s[16:17], s[16:17], 3
	v_lshlrev_b64 v[3:4], 3, v[3:4]
	s_delay_alu instid0(VALU_DEP_2) | instskip(NEXT) | instid1(VALU_DEP_3)
	v_add_co_u32 v1, vcc_lo, v1, s8
	v_add_co_ci_u32_e32 v2, vcc_lo, s9, v2, vcc_lo
	s_delay_alu instid0(VALU_DEP_3) | instskip(NEXT) | instid1(VALU_DEP_4)
	v_add_co_u32 v3, vcc_lo, v3, s16
	v_add_co_ci_u32_e32 v4, vcc_lo, s17, v4, vcc_lo
	s_delay_alu instid0(VALU_DEP_4) | instskip(NEXT) | instid1(VALU_DEP_4)
	v_add_co_u32 v1, vcc_lo, v1, v8
	v_add_co_ci_u32_e32 v2, vcc_lo, 0, v2, vcc_lo
	s_delay_alu instid0(VALU_DEP_4)
	v_add_co_u32 v3, vcc_lo, v3, v5
	v_mov_b32_e32 v5, 0
	v_add_co_ci_u32_e32 v4, vcc_lo, 0, v4, vcc_lo
	v_add_co_u32 v1, vcc_lo, s18, v1
	v_add_co_ci_u32_e32 v2, vcc_lo, s19, v2, vcc_lo
	v_add_co_u32 v3, vcc_lo, s6, v3
	v_dual_mov_b32 v6, 0 :: v_dual_add_nc_u32 v11, v10, v8
	v_add_co_ci_u32_e32 v4, vcc_lo, s7, v4, vcc_lo
.LBB125_2:                              ; =>This Inner Loop Header: Depth=1
	global_load_b64 v[12:13], v[3:4], off
	global_load_b64 v[14:15], v[1:2], off
	v_add_co_u32 v1, vcc_lo, 0x80, v1
	v_add_co_ci_u32_e32 v2, vcc_lo, 0, v2, vcc_lo
	v_add_co_u32 v3, vcc_lo, 0x80, v3
	v_add_co_ci_u32_e32 v4, vcc_lo, 0, v4, vcc_lo
	s_add_i32 s13, s13, 16
	s_waitcnt vmcnt(1)
	ds_store_b64 v9, v[12:13]
	s_waitcnt vmcnt(0)
	ds_store_b64 v11, v[14:15]
	s_waitcnt lgkmcnt(0)
	s_barrier
	buffer_gl0_inv
	ds_load_2addr_b64 v[12:15], v8 offset1:16
	ds_load_b128 v[16:19], v10
	ds_load_b128 v[20:23], v10 offset:16
	s_cmp_lt_i32 s13, s12
	s_waitcnt lgkmcnt(1)
	v_fma_f64 v[5:6], v[12:13], v[16:17], v[5:6]
	s_delay_alu instid0(VALU_DEP_1) | instskip(SKIP_3) | instid1(VALU_DEP_1)
	v_fma_f64 v[5:6], v[14:15], v[18:19], v[5:6]
	ds_load_2addr_b64 v[12:15], v8 offset0:32 offset1:48
	s_waitcnt lgkmcnt(0)
	v_fma_f64 v[5:6], v[12:13], v[20:21], v[5:6]
	v_fma_f64 v[5:6], v[14:15], v[22:23], v[5:6]
	ds_load_2addr_b64 v[12:15], v8 offset0:64 offset1:80
	ds_load_b128 v[16:19], v10 offset:32
	ds_load_b128 v[20:23], v10 offset:48
	s_waitcnt lgkmcnt(1)
	v_fma_f64 v[5:6], v[12:13], v[16:17], v[5:6]
	s_delay_alu instid0(VALU_DEP_1) | instskip(SKIP_3) | instid1(VALU_DEP_1)
	v_fma_f64 v[5:6], v[14:15], v[18:19], v[5:6]
	ds_load_2addr_b64 v[12:15], v8 offset0:96 offset1:112
	s_waitcnt lgkmcnt(0)
	v_fma_f64 v[5:6], v[12:13], v[20:21], v[5:6]
	v_fma_f64 v[5:6], v[14:15], v[22:23], v[5:6]
	ds_load_2addr_b64 v[12:15], v8 offset0:128 offset1:144
	ds_load_b128 v[16:19], v10 offset:64
	ds_load_b128 v[20:23], v10 offset:80
	;; [unrolled: 11-line block ×3, first 2 shown]
	s_waitcnt lgkmcnt(1)
	v_fma_f64 v[5:6], v[12:13], v[16:17], v[5:6]
	s_delay_alu instid0(VALU_DEP_1)
	v_fma_f64 v[5:6], v[14:15], v[18:19], v[5:6]
	ds_load_2addr_b64 v[12:15], v8 offset0:224 offset1:240
	s_waitcnt lgkmcnt(0)
	s_barrier
	buffer_gl0_inv
	v_fma_f64 v[5:6], v[12:13], v[20:21], v[5:6]
	s_delay_alu instid0(VALU_DEP_1)
	v_fma_f64 v[5:6], v[14:15], v[22:23], v[5:6]
	s_cbranch_scc1 .LBB125_2
; %bb.3:
	s_mov_b32 s6, exec_lo
	v_cmpx_le_i32_e64 v0, v7
	s_cbranch_execz .LBB125_5
.LBB125_4:
	s_clause 0x1
	s_load_b32 s6, s[0:1], 0x50
	s_load_b64 s[0:1], s[0:1], 0x58
	v_ashrrev_i32_e32 v1, 31, v0
	s_delay_alu instid0(VALU_DEP_1)
	v_lshlrev_b64 v[0:1], 3, v[0:1]
	s_waitcnt lgkmcnt(0)
	v_mad_i64_i32 v[2:3], null, s6, v7, 0
	s_mul_i32 s1, s15, s1
	s_mul_hi_u32 s6, s15, s0
	s_mul_i32 s0, s15, s0
	s_add_i32 s1, s6, s1
	s_delay_alu instid0(SALU_CYCLE_1) | instskip(NEXT) | instid1(VALU_DEP_1)
	s_lshl_b64 s[0:1], s[0:1], 3
	v_lshlrev_b64 v[2:3], 3, v[2:3]
	s_add_u32 s0, s2, s0
	s_addc_u32 s1, s3, s1
	s_delay_alu instid0(VALU_DEP_1) | instskip(NEXT) | instid1(VALU_DEP_2)
	v_add_co_u32 v2, vcc_lo, s0, v2
	v_add_co_ci_u32_e32 v3, vcc_lo, s1, v3, vcc_lo
	s_delay_alu instid0(VALU_DEP_2) | instskip(NEXT) | instid1(VALU_DEP_2)
	v_add_co_u32 v0, vcc_lo, v2, v0
	v_add_co_ci_u32_e32 v1, vcc_lo, v3, v1, vcc_lo
	global_load_b64 v[2:3], v[0:1], off
	s_waitcnt vmcnt(0)
	v_mul_f64 v[2:3], v[2:3], s[10:11]
	s_delay_alu instid0(VALU_DEP_1)
	v_fma_f64 v[2:3], v[5:6], s[4:5], v[2:3]
	global_store_b64 v[0:1], v[2:3], off
.LBB125_5:
	s_nop 0
	s_sendmsg sendmsg(MSG_DEALLOC_VGPRS)
	s_endpgm
.LBB125_6:
	v_mov_b32_e32 v5, 0
	v_mov_b32_e32 v6, 0
	s_mov_b32 s6, exec_lo
	v_cmpx_le_i32_e64 v0, v7
	s_cbranch_execnz .LBB125_4
	s_branch .LBB125_5
	.section	.rodata,"a",@progbits
	.p2align	6, 0x0
	.amdhsa_kernel _ZL41rocblas_syrkx_herkx_small_restrict_kernelIidLi16ELb0ELb0ELc67ELc85EKddEviT_T0_PT6_S1_lS4_S1_lS2_PT7_S1_li
		.amdhsa_group_segment_fixed_size 4096
		.amdhsa_private_segment_fixed_size 0
		.amdhsa_kernarg_size 100
		.amdhsa_user_sgpr_count 13
		.amdhsa_user_sgpr_dispatch_ptr 0
		.amdhsa_user_sgpr_queue_ptr 0
		.amdhsa_user_sgpr_kernarg_segment_ptr 1
		.amdhsa_user_sgpr_dispatch_id 0
		.amdhsa_user_sgpr_private_segment_size 0
		.amdhsa_wavefront_size32 1
		.amdhsa_uses_dynamic_stack 0
		.amdhsa_enable_private_segment 0
		.amdhsa_system_sgpr_workgroup_id_x 1
		.amdhsa_system_sgpr_workgroup_id_y 1
		.amdhsa_system_sgpr_workgroup_id_z 1
		.amdhsa_system_sgpr_workgroup_info 0
		.amdhsa_system_vgpr_workitem_id 1
		.amdhsa_next_free_vgpr 24
		.amdhsa_next_free_sgpr 22
		.amdhsa_reserve_vcc 1
		.amdhsa_float_round_mode_32 0
		.amdhsa_float_round_mode_16_64 0
		.amdhsa_float_denorm_mode_32 3
		.amdhsa_float_denorm_mode_16_64 3
		.amdhsa_dx10_clamp 1
		.amdhsa_ieee_mode 1
		.amdhsa_fp16_overflow 0
		.amdhsa_workgroup_processor_mode 1
		.amdhsa_memory_ordered 1
		.amdhsa_forward_progress 0
		.amdhsa_shared_vgpr_count 0
		.amdhsa_exception_fp_ieee_invalid_op 0
		.amdhsa_exception_fp_denorm_src 0
		.amdhsa_exception_fp_ieee_div_zero 0
		.amdhsa_exception_fp_ieee_overflow 0
		.amdhsa_exception_fp_ieee_underflow 0
		.amdhsa_exception_fp_ieee_inexact 0
		.amdhsa_exception_int_div_zero 0
	.end_amdhsa_kernel
	.section	.text._ZL41rocblas_syrkx_herkx_small_restrict_kernelIidLi16ELb0ELb0ELc67ELc85EKddEviT_T0_PT6_S1_lS4_S1_lS2_PT7_S1_li,"axG",@progbits,_ZL41rocblas_syrkx_herkx_small_restrict_kernelIidLi16ELb0ELb0ELc67ELc85EKddEviT_T0_PT6_S1_lS4_S1_lS2_PT7_S1_li,comdat
.Lfunc_end125:
	.size	_ZL41rocblas_syrkx_herkx_small_restrict_kernelIidLi16ELb0ELb0ELc67ELc85EKddEviT_T0_PT6_S1_lS4_S1_lS2_PT7_S1_li, .Lfunc_end125-_ZL41rocblas_syrkx_herkx_small_restrict_kernelIidLi16ELb0ELb0ELc67ELc85EKddEviT_T0_PT6_S1_lS4_S1_lS2_PT7_S1_li
                                        ; -- End function
	.section	.AMDGPU.csdata,"",@progbits
; Kernel info:
; codeLenInByte = 960
; NumSgprs: 24
; NumVgprs: 24
; ScratchSize: 0
; MemoryBound: 0
; FloatMode: 240
; IeeeMode: 1
; LDSByteSize: 4096 bytes/workgroup (compile time only)
; SGPRBlocks: 2
; VGPRBlocks: 2
; NumSGPRsForWavesPerEU: 24
; NumVGPRsForWavesPerEU: 24
; Occupancy: 16
; WaveLimiterHint : 0
; COMPUTE_PGM_RSRC2:SCRATCH_EN: 0
; COMPUTE_PGM_RSRC2:USER_SGPR: 13
; COMPUTE_PGM_RSRC2:TRAP_HANDLER: 0
; COMPUTE_PGM_RSRC2:TGID_X_EN: 1
; COMPUTE_PGM_RSRC2:TGID_Y_EN: 1
; COMPUTE_PGM_RSRC2:TGID_Z_EN: 1
; COMPUTE_PGM_RSRC2:TIDIG_COMP_CNT: 1
	.section	.text._ZL41rocblas_syrkx_herkx_small_restrict_kernelIidLi16ELb0ELb0ELc78ELc85EKddEviT_T0_PT6_S1_lS4_S1_lS2_PT7_S1_li,"axG",@progbits,_ZL41rocblas_syrkx_herkx_small_restrict_kernelIidLi16ELb0ELb0ELc78ELc85EKddEviT_T0_PT6_S1_lS4_S1_lS2_PT7_S1_li,comdat
	.globl	_ZL41rocblas_syrkx_herkx_small_restrict_kernelIidLi16ELb0ELb0ELc78ELc85EKddEviT_T0_PT6_S1_lS4_S1_lS2_PT7_S1_li ; -- Begin function _ZL41rocblas_syrkx_herkx_small_restrict_kernelIidLi16ELb0ELb0ELc78ELc85EKddEviT_T0_PT6_S1_lS4_S1_lS2_PT7_S1_li
	.p2align	8
	.type	_ZL41rocblas_syrkx_herkx_small_restrict_kernelIidLi16ELb0ELb0ELc78ELc85EKddEviT_T0_PT6_S1_lS4_S1_lS2_PT7_S1_li,@function
_ZL41rocblas_syrkx_herkx_small_restrict_kernelIidLi16ELb0ELb0ELc78ELc85EKddEviT_T0_PT6_S1_lS4_S1_lS2_PT7_S1_li: ; @_ZL41rocblas_syrkx_herkx_small_restrict_kernelIidLi16ELb0ELb0ELc78ELc85EKddEviT_T0_PT6_S1_lS4_S1_lS2_PT7_S1_li
; %bb.0:
	s_clause 0x3
	s_load_b32 s12, s[0:1], 0x4
	s_load_b128 s[4:7], s[0:1], 0x8
	s_load_b128 s[8:11], s[0:1], 0x38
	s_load_b64 s[2:3], s[0:1], 0x48
	v_and_b32_e32 v5, 0x3ff, v0
	v_bfe_u32 v4, v0, 10, 10
	s_delay_alu instid0(VALU_DEP_2) | instskip(NEXT) | instid1(VALU_DEP_2)
	v_lshl_add_u32 v0, s13, 4, v5
	v_lshl_add_u32 v2, s14, 4, v4
	s_mov_b32 s13, 0
	s_delay_alu instid0(VALU_DEP_2)
	v_ashrrev_i32_e32 v1, 31, v0
	s_waitcnt lgkmcnt(0)
	s_cmp_lt_i32 s12, 1
	s_cbranch_scc1 .LBB126_6
; %bb.1:
	s_clause 0x2
	s_load_b32 s20, s[0:1], 0x30
	s_load_b128 s[16:19], s[0:1], 0x20
	s_load_b32 s22, s[0:1], 0x18
	v_ashrrev_i32_e32 v3, 31, v2
	s_mul_i32 s9, s9, s15
	s_mul_hi_u32 s14, s8, s15
	s_mul_i32 s8, s8, s15
	s_add_i32 s9, s14, s9
	v_lshlrev_b32_e32 v8, 7, v4
	v_lshlrev_b32_e32 v9, 3, v5
	s_lshl_b64 s[8:9], s[8:9], 3
	v_lshlrev_b64 v[15:16], 3, v[2:3]
	v_lshlrev_b64 v[6:7], 3, v[0:1]
	v_add_nc_u32_e32 v10, 0x800, v8
	v_add_nc_u32_e32 v11, v9, v8
	s_waitcnt lgkmcnt(0)
	v_mad_i64_i32 v[13:14], null, s20, v5, 0
	v_mad_i64_i32 v[17:18], null, s22, v4, 0
	s_mul_i32 s14, s17, s15
	s_mul_hi_u32 s17, s16, s15
	s_mul_i32 s16, s16, s15
	s_add_i32 s17, s17, s14
	s_delay_alu instid0(VALU_DEP_2) | instskip(SKIP_1) | instid1(VALU_DEP_2)
	v_lshlrev_b64 v[13:14], 3, v[13:14]
	s_lshl_b64 s[16:17], s[16:17], 3
	v_lshlrev_b64 v[3:4], 3, v[17:18]
	s_ashr_i32 s21, s20, 31
	s_ashr_i32 s23, s22, 31
	s_delay_alu instid0(VALU_DEP_2) | instskip(SKIP_2) | instid1(VALU_DEP_2)
	v_add_co_u32 v5, vcc_lo, s8, v13
	v_add_co_ci_u32_e32 v8, vcc_lo, s9, v14, vcc_lo
	s_lshl_b64 s[8:9], s[22:23], 7
	v_add_co_u32 v5, vcc_lo, v5, v15
	s_delay_alu instid0(VALU_DEP_2) | instskip(SKIP_2) | instid1(VALU_DEP_4)
	v_add_co_ci_u32_e32 v8, vcc_lo, v8, v16, vcc_lo
	v_add_co_u32 v13, vcc_lo, s16, v3
	v_add_co_ci_u32_e32 v14, vcc_lo, s17, v4, vcc_lo
	v_add_co_u32 v3, vcc_lo, s18, v5
	s_delay_alu instid0(VALU_DEP_4) | instskip(NEXT) | instid1(VALU_DEP_4)
	v_add_co_ci_u32_e32 v4, vcc_lo, s19, v8, vcc_lo
	v_add_co_u32 v5, vcc_lo, v13, v6
	s_delay_alu instid0(VALU_DEP_4) | instskip(SKIP_1) | instid1(VALU_DEP_3)
	v_add_co_ci_u32_e32 v6, vcc_lo, v14, v7, vcc_lo
	v_mov_b32_e32 v7, 0
	v_add_co_u32 v5, vcc_lo, s6, v5
	v_mov_b32_e32 v8, 0
	v_add_nc_u32_e32 v12, v10, v9
	v_add_co_ci_u32_e32 v6, vcc_lo, s7, v6, vcc_lo
	s_lshl_b64 s[6:7], s[20:21], 7
.LBB126_2:                              ; =>This Inner Loop Header: Depth=1
	global_load_b64 v[13:14], v[5:6], off
	global_load_b64 v[15:16], v[3:4], off
	v_add_co_u32 v3, vcc_lo, v3, s6
	v_add_co_ci_u32_e32 v4, vcc_lo, s7, v4, vcc_lo
	v_add_co_u32 v5, vcc_lo, v5, s8
	v_add_co_ci_u32_e32 v6, vcc_lo, s9, v6, vcc_lo
	s_add_i32 s13, s13, 16
	s_waitcnt vmcnt(1)
	ds_store_b64 v11, v[13:14]
	s_waitcnt vmcnt(0)
	ds_store_b64 v12, v[15:16]
	s_waitcnt lgkmcnt(0)
	s_barrier
	buffer_gl0_inv
	ds_load_2addr_b64 v[13:16], v9 offset1:16
	ds_load_b128 v[17:20], v10
	ds_load_b128 v[21:24], v10 offset:16
	s_cmp_lt_i32 s13, s12
	s_waitcnt lgkmcnt(1)
	v_fma_f64 v[7:8], v[13:14], v[17:18], v[7:8]
	s_delay_alu instid0(VALU_DEP_1) | instskip(SKIP_3) | instid1(VALU_DEP_1)
	v_fma_f64 v[7:8], v[15:16], v[19:20], v[7:8]
	ds_load_2addr_b64 v[13:16], v9 offset0:32 offset1:48
	s_waitcnt lgkmcnt(0)
	v_fma_f64 v[7:8], v[13:14], v[21:22], v[7:8]
	v_fma_f64 v[7:8], v[15:16], v[23:24], v[7:8]
	ds_load_2addr_b64 v[13:16], v9 offset0:64 offset1:80
	ds_load_b128 v[17:20], v10 offset:32
	ds_load_b128 v[21:24], v10 offset:48
	s_waitcnt lgkmcnt(1)
	v_fma_f64 v[7:8], v[13:14], v[17:18], v[7:8]
	s_delay_alu instid0(VALU_DEP_1) | instskip(SKIP_3) | instid1(VALU_DEP_1)
	v_fma_f64 v[7:8], v[15:16], v[19:20], v[7:8]
	ds_load_2addr_b64 v[13:16], v9 offset0:96 offset1:112
	s_waitcnt lgkmcnt(0)
	v_fma_f64 v[7:8], v[13:14], v[21:22], v[7:8]
	v_fma_f64 v[7:8], v[15:16], v[23:24], v[7:8]
	ds_load_2addr_b64 v[13:16], v9 offset0:128 offset1:144
	ds_load_b128 v[17:20], v10 offset:64
	ds_load_b128 v[21:24], v10 offset:80
	;; [unrolled: 11-line block ×3, first 2 shown]
	s_waitcnt lgkmcnt(1)
	v_fma_f64 v[7:8], v[13:14], v[17:18], v[7:8]
	s_delay_alu instid0(VALU_DEP_1)
	v_fma_f64 v[7:8], v[15:16], v[19:20], v[7:8]
	ds_load_2addr_b64 v[13:16], v9 offset0:224 offset1:240
	s_waitcnt lgkmcnt(0)
	s_barrier
	buffer_gl0_inv
	v_fma_f64 v[7:8], v[13:14], v[21:22], v[7:8]
	s_delay_alu instid0(VALU_DEP_1)
	v_fma_f64 v[7:8], v[15:16], v[23:24], v[7:8]
	s_cbranch_scc1 .LBB126_2
; %bb.3:
	s_mov_b32 s6, exec_lo
	v_cmpx_le_i32_e64 v0, v2
	s_cbranch_execz .LBB126_5
.LBB126_4:
	s_clause 0x1
	s_load_b32 s6, s[0:1], 0x50
	s_load_b64 s[0:1], s[0:1], 0x58
	v_lshlrev_b64 v[0:1], 3, v[0:1]
	s_waitcnt lgkmcnt(0)
	v_mad_i64_i32 v[3:4], null, s6, v2, 0
	s_mul_i32 s1, s15, s1
	s_mul_hi_u32 s6, s15, s0
	s_mul_i32 s0, s15, s0
	s_add_i32 s1, s6, s1
	s_delay_alu instid0(SALU_CYCLE_1) | instskip(NEXT) | instid1(VALU_DEP_1)
	s_lshl_b64 s[0:1], s[0:1], 3
	v_lshlrev_b64 v[2:3], 3, v[3:4]
	s_add_u32 s0, s2, s0
	s_addc_u32 s1, s3, s1
	s_delay_alu instid0(VALU_DEP_1) | instskip(NEXT) | instid1(VALU_DEP_2)
	v_add_co_u32 v2, vcc_lo, s0, v2
	v_add_co_ci_u32_e32 v3, vcc_lo, s1, v3, vcc_lo
	s_delay_alu instid0(VALU_DEP_2) | instskip(NEXT) | instid1(VALU_DEP_2)
	v_add_co_u32 v0, vcc_lo, v2, v0
	v_add_co_ci_u32_e32 v1, vcc_lo, v3, v1, vcc_lo
	global_load_b64 v[2:3], v[0:1], off
	s_waitcnt vmcnt(0)
	v_mul_f64 v[2:3], v[2:3], s[10:11]
	s_delay_alu instid0(VALU_DEP_1)
	v_fma_f64 v[2:3], v[7:8], s[4:5], v[2:3]
	global_store_b64 v[0:1], v[2:3], off
.LBB126_5:
	s_nop 0
	s_sendmsg sendmsg(MSG_DEALLOC_VGPRS)
	s_endpgm
.LBB126_6:
	v_mov_b32_e32 v7, 0
	v_mov_b32_e32 v8, 0
	s_mov_b32 s6, exec_lo
	v_cmpx_le_i32_e64 v0, v2
	s_cbranch_execnz .LBB126_4
	s_branch .LBB126_5
	.section	.rodata,"a",@progbits
	.p2align	6, 0x0
	.amdhsa_kernel _ZL41rocblas_syrkx_herkx_small_restrict_kernelIidLi16ELb0ELb0ELc78ELc85EKddEviT_T0_PT6_S1_lS4_S1_lS2_PT7_S1_li
		.amdhsa_group_segment_fixed_size 4096
		.amdhsa_private_segment_fixed_size 0
		.amdhsa_kernarg_size 100
		.amdhsa_user_sgpr_count 13
		.amdhsa_user_sgpr_dispatch_ptr 0
		.amdhsa_user_sgpr_queue_ptr 0
		.amdhsa_user_sgpr_kernarg_segment_ptr 1
		.amdhsa_user_sgpr_dispatch_id 0
		.amdhsa_user_sgpr_private_segment_size 0
		.amdhsa_wavefront_size32 1
		.amdhsa_uses_dynamic_stack 0
		.amdhsa_enable_private_segment 0
		.amdhsa_system_sgpr_workgroup_id_x 1
		.amdhsa_system_sgpr_workgroup_id_y 1
		.amdhsa_system_sgpr_workgroup_id_z 1
		.amdhsa_system_sgpr_workgroup_info 0
		.amdhsa_system_vgpr_workitem_id 1
		.amdhsa_next_free_vgpr 25
		.amdhsa_next_free_sgpr 24
		.amdhsa_reserve_vcc 1
		.amdhsa_float_round_mode_32 0
		.amdhsa_float_round_mode_16_64 0
		.amdhsa_float_denorm_mode_32 3
		.amdhsa_float_denorm_mode_16_64 3
		.amdhsa_dx10_clamp 1
		.amdhsa_ieee_mode 1
		.amdhsa_fp16_overflow 0
		.amdhsa_workgroup_processor_mode 1
		.amdhsa_memory_ordered 1
		.amdhsa_forward_progress 0
		.amdhsa_shared_vgpr_count 0
		.amdhsa_exception_fp_ieee_invalid_op 0
		.amdhsa_exception_fp_denorm_src 0
		.amdhsa_exception_fp_ieee_div_zero 0
		.amdhsa_exception_fp_ieee_overflow 0
		.amdhsa_exception_fp_ieee_underflow 0
		.amdhsa_exception_fp_ieee_inexact 0
		.amdhsa_exception_int_div_zero 0
	.end_amdhsa_kernel
	.section	.text._ZL41rocblas_syrkx_herkx_small_restrict_kernelIidLi16ELb0ELb0ELc78ELc85EKddEviT_T0_PT6_S1_lS4_S1_lS2_PT7_S1_li,"axG",@progbits,_ZL41rocblas_syrkx_herkx_small_restrict_kernelIidLi16ELb0ELb0ELc78ELc85EKddEviT_T0_PT6_S1_lS4_S1_lS2_PT7_S1_li,comdat
.Lfunc_end126:
	.size	_ZL41rocblas_syrkx_herkx_small_restrict_kernelIidLi16ELb0ELb0ELc78ELc85EKddEviT_T0_PT6_S1_lS4_S1_lS2_PT7_S1_li, .Lfunc_end126-_ZL41rocblas_syrkx_herkx_small_restrict_kernelIidLi16ELb0ELb0ELc78ELc85EKddEviT_T0_PT6_S1_lS4_S1_lS2_PT7_S1_li
                                        ; -- End function
	.section	.AMDGPU.csdata,"",@progbits
; Kernel info:
; codeLenInByte = 980
; NumSgprs: 26
; NumVgprs: 25
; ScratchSize: 0
; MemoryBound: 0
; FloatMode: 240
; IeeeMode: 1
; LDSByteSize: 4096 bytes/workgroup (compile time only)
; SGPRBlocks: 3
; VGPRBlocks: 3
; NumSGPRsForWavesPerEU: 26
; NumVGPRsForWavesPerEU: 25
; Occupancy: 16
; WaveLimiterHint : 0
; COMPUTE_PGM_RSRC2:SCRATCH_EN: 0
; COMPUTE_PGM_RSRC2:USER_SGPR: 13
; COMPUTE_PGM_RSRC2:TRAP_HANDLER: 0
; COMPUTE_PGM_RSRC2:TGID_X_EN: 1
; COMPUTE_PGM_RSRC2:TGID_Y_EN: 1
; COMPUTE_PGM_RSRC2:TGID_Z_EN: 1
; COMPUTE_PGM_RSRC2:TIDIG_COMP_CNT: 1
	.section	.text._ZL32rocblas_syrkx_herkx_small_kernelIidLi16ELb1ELb0ELc84ELc76EKddEviT_T0_PT6_S1_lS4_S1_lS2_PT7_S1_li,"axG",@progbits,_ZL32rocblas_syrkx_herkx_small_kernelIidLi16ELb1ELb0ELc84ELc76EKddEviT_T0_PT6_S1_lS4_S1_lS2_PT7_S1_li,comdat
	.globl	_ZL32rocblas_syrkx_herkx_small_kernelIidLi16ELb1ELb0ELc84ELc76EKddEviT_T0_PT6_S1_lS4_S1_lS2_PT7_S1_li ; -- Begin function _ZL32rocblas_syrkx_herkx_small_kernelIidLi16ELb1ELb0ELc84ELc76EKddEviT_T0_PT6_S1_lS4_S1_lS2_PT7_S1_li
	.p2align	8
	.type	_ZL32rocblas_syrkx_herkx_small_kernelIidLi16ELb1ELb0ELc84ELc76EKddEviT_T0_PT6_S1_lS4_S1_lS2_PT7_S1_li,@function
_ZL32rocblas_syrkx_herkx_small_kernelIidLi16ELb1ELb0ELc84ELc76EKddEviT_T0_PT6_S1_lS4_S1_lS2_PT7_S1_li: ; @_ZL32rocblas_syrkx_herkx_small_kernelIidLi16ELb1ELb0ELc84ELc76EKddEviT_T0_PT6_S1_lS4_S1_lS2_PT7_S1_li
; %bb.0:
	s_clause 0x1
	s_load_b64 s[16:17], s[0:1], 0x0
	s_load_b128 s[4:7], s[0:1], 0x8
	v_and_b32_e32 v14, 0x3ff, v0
	v_bfe_u32 v15, v0, 10, 10
	s_mov_b32 s12, 0
	s_delay_alu instid0(VALU_DEP_2) | instskip(NEXT) | instid1(VALU_DEP_2)
	v_lshl_add_u32 v0, s13, 4, v14
	v_lshl_add_u32 v13, s14, 4, v15
	s_waitcnt lgkmcnt(0)
	s_delay_alu instid0(VALU_DEP_2)
	v_cmp_gt_i32_e32 vcc_lo, s16, v0
	s_cmp_lt_i32 s17, 1
	s_cbranch_scc1 .LBB127_7
; %bb.1:
	s_clause 0x3
	s_load_b32 s3, s[0:1], 0x30
	s_load_b64 s[18:19], s[0:1], 0x38
	s_load_b32 s13, s[0:1], 0x18
	s_load_b128 s[8:11], s[0:1], 0x20
	v_lshlrev_b32_e32 v1, 7, v15
	v_lshlrev_b32_e32 v16, 3, v14
	v_cmp_gt_i32_e64 s2, s16, v13
	s_delay_alu instid0(VALU_DEP_3) | instskip(NEXT) | instid1(VALU_DEP_3)
	v_add_nc_u32_e32 v17, 0x800, v1
	v_add_nc_u32_e32 v18, v16, v1
	s_waitcnt lgkmcnt(0)
	v_mad_i64_i32 v[1:2], null, s3, v13, 0
	v_mad_i64_i32 v[3:4], null, s13, v0, 0
	s_mul_i32 s3, s19, s15
	s_mul_hi_u32 s14, s18, s15
	s_mul_i32 s18, s18, s15
	s_add_i32 s19, s14, s3
	s_delay_alu instid0(VALU_DEP_2)
	v_lshlrev_b64 v[1:2], 3, v[1:2]
	s_mul_i32 s9, s9, s15
	s_mul_hi_u32 s13, s8, s15
	v_lshlrev_b64 v[3:4], 3, v[3:4]
	s_lshl_b64 s[18:19], s[18:19], 3
	s_mul_i32 s8, s8, s15
	s_add_i32 s9, s13, s9
	v_add_co_u32 v1, s3, v1, s18
	s_lshl_b64 s[8:9], s[8:9], 3
	v_add_co_ci_u32_e64 v2, s3, s19, v2, s3
	v_add_co_u32 v3, s3, v3, s8
	s_delay_alu instid0(VALU_DEP_1) | instskip(SKIP_1) | instid1(VALU_DEP_1)
	v_add_co_ci_u32_e64 v4, s3, s9, v4, s3
	v_add_co_u32 v6, s3, v1, v16
	v_add_co_ci_u32_e64 v7, s3, 0, v2, s3
	v_mov_b32_e32 v1, 0
	v_dual_mov_b32 v2, 0 :: v_dual_lshlrev_b32 v5, 3, v15
	v_add_nc_u32_e32 v19, v17, v16
	s_delay_alu instid0(VALU_DEP_2) | instskip(NEXT) | instid1(VALU_DEP_1)
	v_add_co_u32 v5, s3, v3, v5
	v_add_co_ci_u32_e64 v8, s3, 0, v4, s3
	v_add_co_u32 v3, s3, s10, v6
	s_delay_alu instid0(VALU_DEP_1) | instskip(NEXT) | instid1(VALU_DEP_4)
	v_add_co_ci_u32_e64 v4, s3, s11, v7, s3
	v_add_co_u32 v5, s3, s6, v5
	s_delay_alu instid0(VALU_DEP_1)
	v_add_co_ci_u32_e64 v6, s3, s7, v8, s3
	v_dual_mov_b32 v8, v2 :: v_dual_mov_b32 v7, v1
	s_branch .LBB127_3
.LBB127_2:                              ;   in Loop: Header=BB127_3 Depth=1
	s_or_b32 exec_lo, exec_lo, s3
	s_waitcnt vmcnt(0)
	ds_store_b64 v19, v[11:12]
	s_waitcnt lgkmcnt(0)
	s_barrier
	buffer_gl0_inv
	ds_load_2addr_b64 v[9:12], v16 offset1:16
	ds_load_b128 v[20:23], v17
	ds_load_b128 v[24:27], v17 offset:16
	v_add_co_u32 v3, s3, 0x80, v3
	s_delay_alu instid0(VALU_DEP_1) | instskip(SKIP_1) | instid1(VALU_DEP_1)
	v_add_co_ci_u32_e64 v4, s3, 0, v4, s3
	v_add_co_u32 v5, s3, 0x80, v5
	v_add_co_ci_u32_e64 v6, s3, 0, v6, s3
	s_add_i32 s12, s12, 16
	s_delay_alu instid0(SALU_CYCLE_1) | instskip(SKIP_2) | instid1(VALU_DEP_1)
	s_cmp_ge_i32 s12, s17
	s_waitcnt lgkmcnt(1)
	v_fma_f64 v[7:8], v[9:10], v[20:21], v[7:8]
	v_fma_f64 v[11:12], v[11:12], v[22:23], v[7:8]
	ds_load_2addr_b64 v[7:10], v16 offset0:32 offset1:48
	s_waitcnt lgkmcnt(0)
	v_fma_f64 v[7:8], v[7:8], v[24:25], v[11:12]
	s_delay_alu instid0(VALU_DEP_1)
	v_fma_f64 v[11:12], v[9:10], v[26:27], v[7:8]
	ds_load_2addr_b64 v[7:10], v16 offset0:64 offset1:80
	ds_load_b128 v[20:23], v17 offset:32
	ds_load_b128 v[24:27], v17 offset:48
	s_waitcnt lgkmcnt(1)
	v_fma_f64 v[7:8], v[7:8], v[20:21], v[11:12]
	s_delay_alu instid0(VALU_DEP_1) | instskip(SKIP_3) | instid1(VALU_DEP_1)
	v_fma_f64 v[11:12], v[9:10], v[22:23], v[7:8]
	ds_load_2addr_b64 v[7:10], v16 offset0:96 offset1:112
	s_waitcnt lgkmcnt(0)
	v_fma_f64 v[7:8], v[7:8], v[24:25], v[11:12]
	v_fma_f64 v[11:12], v[9:10], v[26:27], v[7:8]
	ds_load_2addr_b64 v[7:10], v16 offset0:128 offset1:144
	ds_load_b128 v[20:23], v17 offset:64
	ds_load_b128 v[24:27], v17 offset:80
	s_waitcnt lgkmcnt(1)
	v_fma_f64 v[7:8], v[7:8], v[20:21], v[11:12]
	s_delay_alu instid0(VALU_DEP_1) | instskip(SKIP_3) | instid1(VALU_DEP_1)
	v_fma_f64 v[11:12], v[9:10], v[22:23], v[7:8]
	ds_load_2addr_b64 v[7:10], v16 offset0:160 offset1:176
	s_waitcnt lgkmcnt(0)
	v_fma_f64 v[7:8], v[7:8], v[24:25], v[11:12]
	v_fma_f64 v[11:12], v[9:10], v[26:27], v[7:8]
	ds_load_2addr_b64 v[7:10], v16 offset0:192 offset1:208
	ds_load_b128 v[20:23], v17 offset:96
	ds_load_b128 v[24:27], v17 offset:112
	s_waitcnt lgkmcnt(1)
	v_fma_f64 v[7:8], v[7:8], v[20:21], v[11:12]
	s_delay_alu instid0(VALU_DEP_1)
	v_fma_f64 v[11:12], v[9:10], v[22:23], v[7:8]
	ds_load_2addr_b64 v[7:10], v16 offset0:224 offset1:240
	s_waitcnt lgkmcnt(0)
	s_barrier
	buffer_gl0_inv
	v_fma_f64 v[7:8], v[7:8], v[24:25], v[11:12]
	s_delay_alu instid0(VALU_DEP_1)
	v_fma_f64 v[7:8], v[9:10], v[26:27], v[7:8]
	s_cbranch_scc1 .LBB127_8
.LBB127_3:                              ; =>This Inner Loop Header: Depth=1
	v_add_nc_u32_e32 v9, s12, v15
	s_delay_alu instid0(VALU_DEP_1) | instskip(SKIP_1) | instid1(VALU_DEP_2)
	v_cmp_gt_i32_e64 s3, s17, v9
	v_dual_mov_b32 v10, v2 :: v_dual_mov_b32 v9, v1
	s_and_b32 s6, vcc_lo, s3
	s_delay_alu instid0(SALU_CYCLE_1)
	s_and_saveexec_b32 s3, s6
	s_cbranch_execz .LBB127_5
; %bb.4:                                ;   in Loop: Header=BB127_3 Depth=1
	global_load_b64 v[9:10], v[5:6], off
.LBB127_5:                              ;   in Loop: Header=BB127_3 Depth=1
	s_or_b32 exec_lo, exec_lo, s3
	v_add_nc_u32_e32 v11, s12, v14
	s_waitcnt vmcnt(0)
	ds_store_b64 v18, v[9:10]
	v_cmp_gt_i32_e64 s3, s17, v11
	v_mov_b32_e32 v11, 0
	v_mov_b32_e32 v12, 0
	s_delay_alu instid0(VALU_DEP_3) | instskip(NEXT) | instid1(SALU_CYCLE_1)
	s_and_b32 s6, s2, s3
	s_and_saveexec_b32 s3, s6
	s_cbranch_execz .LBB127_2
; %bb.6:                                ;   in Loop: Header=BB127_3 Depth=1
	global_load_b64 v[11:12], v[3:4], off
	s_branch .LBB127_2
.LBB127_7:
	v_mov_b32_e32 v7, 0
	v_mov_b32_e32 v8, 0
.LBB127_8:
	v_cmp_le_i32_e32 vcc_lo, v13, v0
	v_cmp_gt_i32_e64 s2, s16, v0
	s_delay_alu instid0(VALU_DEP_1) | instskip(NEXT) | instid1(SALU_CYCLE_1)
	s_and_b32 s2, vcc_lo, s2
	s_and_saveexec_b32 s3, s2
	s_cbranch_execz .LBB127_10
; %bb.9:
	s_clause 0x1
	s_load_b32 s6, s[0:1], 0x50
	s_load_b64 s[2:3], s[0:1], 0x58
	s_delay_alu instid0(VALU_DEP_3) | instskip(SKIP_2) | instid1(VALU_DEP_1)
	v_mul_f64 v[2:3], v[7:8], s[4:5]
	s_load_b64 s[0:1], s[0:1], 0x48
	v_ashrrev_i32_e32 v1, 31, v0
	v_lshlrev_b64 v[0:1], 3, v[0:1]
	s_waitcnt lgkmcnt(0)
	v_mad_i64_i32 v[4:5], null, s6, v13, 0
	s_mul_i32 s3, s15, s3
	s_mul_hi_u32 s4, s15, s2
	s_mul_i32 s2, s15, s2
	s_add_i32 s3, s4, s3
	s_delay_alu instid0(SALU_CYCLE_1) | instskip(NEXT) | instid1(VALU_DEP_1)
	s_lshl_b64 s[2:3], s[2:3], 3
	v_lshlrev_b64 v[4:5], 3, v[4:5]
	s_add_u32 s0, s0, s2
	s_addc_u32 s1, s1, s3
	s_delay_alu instid0(VALU_DEP_1) | instskip(NEXT) | instid1(VALU_DEP_2)
	v_add_co_u32 v4, vcc_lo, s0, v4
	v_add_co_ci_u32_e32 v5, vcc_lo, s1, v5, vcc_lo
	s_delay_alu instid0(VALU_DEP_2) | instskip(NEXT) | instid1(VALU_DEP_2)
	v_add_co_u32 v0, vcc_lo, v4, v0
	v_add_co_ci_u32_e32 v1, vcc_lo, v5, v1, vcc_lo
	global_store_b64 v[0:1], v[2:3], off
.LBB127_10:
	s_nop 0
	s_sendmsg sendmsg(MSG_DEALLOC_VGPRS)
	s_endpgm
	.section	.rodata,"a",@progbits
	.p2align	6, 0x0
	.amdhsa_kernel _ZL32rocblas_syrkx_herkx_small_kernelIidLi16ELb1ELb0ELc84ELc76EKddEviT_T0_PT6_S1_lS4_S1_lS2_PT7_S1_li
		.amdhsa_group_segment_fixed_size 4096
		.amdhsa_private_segment_fixed_size 0
		.amdhsa_kernarg_size 100
		.amdhsa_user_sgpr_count 13
		.amdhsa_user_sgpr_dispatch_ptr 0
		.amdhsa_user_sgpr_queue_ptr 0
		.amdhsa_user_sgpr_kernarg_segment_ptr 1
		.amdhsa_user_sgpr_dispatch_id 0
		.amdhsa_user_sgpr_private_segment_size 0
		.amdhsa_wavefront_size32 1
		.amdhsa_uses_dynamic_stack 0
		.amdhsa_enable_private_segment 0
		.amdhsa_system_sgpr_workgroup_id_x 1
		.amdhsa_system_sgpr_workgroup_id_y 1
		.amdhsa_system_sgpr_workgroup_id_z 1
		.amdhsa_system_sgpr_workgroup_info 0
		.amdhsa_system_vgpr_workitem_id 1
		.amdhsa_next_free_vgpr 28
		.amdhsa_next_free_sgpr 20
		.amdhsa_reserve_vcc 1
		.amdhsa_float_round_mode_32 0
		.amdhsa_float_round_mode_16_64 0
		.amdhsa_float_denorm_mode_32 3
		.amdhsa_float_denorm_mode_16_64 3
		.amdhsa_dx10_clamp 1
		.amdhsa_ieee_mode 1
		.amdhsa_fp16_overflow 0
		.amdhsa_workgroup_processor_mode 1
		.amdhsa_memory_ordered 1
		.amdhsa_forward_progress 0
		.amdhsa_shared_vgpr_count 0
		.amdhsa_exception_fp_ieee_invalid_op 0
		.amdhsa_exception_fp_denorm_src 0
		.amdhsa_exception_fp_ieee_div_zero 0
		.amdhsa_exception_fp_ieee_overflow 0
		.amdhsa_exception_fp_ieee_underflow 0
		.amdhsa_exception_fp_ieee_inexact 0
		.amdhsa_exception_int_div_zero 0
	.end_amdhsa_kernel
	.section	.text._ZL32rocblas_syrkx_herkx_small_kernelIidLi16ELb1ELb0ELc84ELc76EKddEviT_T0_PT6_S1_lS4_S1_lS2_PT7_S1_li,"axG",@progbits,_ZL32rocblas_syrkx_herkx_small_kernelIidLi16ELb1ELb0ELc84ELc76EKddEviT_T0_PT6_S1_lS4_S1_lS2_PT7_S1_li,comdat
.Lfunc_end127:
	.size	_ZL32rocblas_syrkx_herkx_small_kernelIidLi16ELb1ELb0ELc84ELc76EKddEviT_T0_PT6_S1_lS4_S1_lS2_PT7_S1_li, .Lfunc_end127-_ZL32rocblas_syrkx_herkx_small_kernelIidLi16ELb1ELb0ELc84ELc76EKddEviT_T0_PT6_S1_lS4_S1_lS2_PT7_S1_li
                                        ; -- End function
	.section	.AMDGPU.csdata,"",@progbits
; Kernel info:
; codeLenInByte = 1084
; NumSgprs: 22
; NumVgprs: 28
; ScratchSize: 0
; MemoryBound: 0
; FloatMode: 240
; IeeeMode: 1
; LDSByteSize: 4096 bytes/workgroup (compile time only)
; SGPRBlocks: 2
; VGPRBlocks: 3
; NumSGPRsForWavesPerEU: 22
; NumVGPRsForWavesPerEU: 28
; Occupancy: 16
; WaveLimiterHint : 0
; COMPUTE_PGM_RSRC2:SCRATCH_EN: 0
; COMPUTE_PGM_RSRC2:USER_SGPR: 13
; COMPUTE_PGM_RSRC2:TRAP_HANDLER: 0
; COMPUTE_PGM_RSRC2:TGID_X_EN: 1
; COMPUTE_PGM_RSRC2:TGID_Y_EN: 1
; COMPUTE_PGM_RSRC2:TGID_Z_EN: 1
; COMPUTE_PGM_RSRC2:TIDIG_COMP_CNT: 1
	.section	.text._ZL32rocblas_syrkx_herkx_small_kernelIidLi16ELb1ELb0ELc67ELc76EKddEviT_T0_PT6_S1_lS4_S1_lS2_PT7_S1_li,"axG",@progbits,_ZL32rocblas_syrkx_herkx_small_kernelIidLi16ELb1ELb0ELc67ELc76EKddEviT_T0_PT6_S1_lS4_S1_lS2_PT7_S1_li,comdat
	.globl	_ZL32rocblas_syrkx_herkx_small_kernelIidLi16ELb1ELb0ELc67ELc76EKddEviT_T0_PT6_S1_lS4_S1_lS2_PT7_S1_li ; -- Begin function _ZL32rocblas_syrkx_herkx_small_kernelIidLi16ELb1ELb0ELc67ELc76EKddEviT_T0_PT6_S1_lS4_S1_lS2_PT7_S1_li
	.p2align	8
	.type	_ZL32rocblas_syrkx_herkx_small_kernelIidLi16ELb1ELb0ELc67ELc76EKddEviT_T0_PT6_S1_lS4_S1_lS2_PT7_S1_li,@function
_ZL32rocblas_syrkx_herkx_small_kernelIidLi16ELb1ELb0ELc67ELc76EKddEviT_T0_PT6_S1_lS4_S1_lS2_PT7_S1_li: ; @_ZL32rocblas_syrkx_herkx_small_kernelIidLi16ELb1ELb0ELc67ELc76EKddEviT_T0_PT6_S1_lS4_S1_lS2_PT7_S1_li
; %bb.0:
	s_clause 0x1
	s_load_b64 s[16:17], s[0:1], 0x0
	s_load_b128 s[4:7], s[0:1], 0x8
	v_and_b32_e32 v14, 0x3ff, v0
	v_bfe_u32 v15, v0, 10, 10
	s_mov_b32 s12, 0
	s_delay_alu instid0(VALU_DEP_2) | instskip(NEXT) | instid1(VALU_DEP_2)
	v_lshl_add_u32 v0, s13, 4, v14
	v_lshl_add_u32 v13, s14, 4, v15
	s_waitcnt lgkmcnt(0)
	s_delay_alu instid0(VALU_DEP_2)
	v_cmp_gt_i32_e32 vcc_lo, s16, v0
	s_cmp_lt_i32 s17, 1
	s_cbranch_scc1 .LBB128_7
; %bb.1:
	s_clause 0x3
	s_load_b32 s3, s[0:1], 0x30
	s_load_b64 s[18:19], s[0:1], 0x38
	s_load_b32 s13, s[0:1], 0x18
	s_load_b128 s[8:11], s[0:1], 0x20
	v_lshlrev_b32_e32 v1, 7, v15
	v_lshlrev_b32_e32 v16, 3, v14
	v_cmp_gt_i32_e64 s2, s16, v13
	s_delay_alu instid0(VALU_DEP_3) | instskip(NEXT) | instid1(VALU_DEP_3)
	v_add_nc_u32_e32 v17, 0x800, v1
	v_add_nc_u32_e32 v18, v16, v1
	s_waitcnt lgkmcnt(0)
	v_mad_i64_i32 v[1:2], null, s3, v13, 0
	v_mad_i64_i32 v[3:4], null, s13, v0, 0
	s_mul_i32 s3, s19, s15
	s_mul_hi_u32 s14, s18, s15
	s_mul_i32 s18, s18, s15
	s_add_i32 s19, s14, s3
	s_delay_alu instid0(VALU_DEP_2)
	v_lshlrev_b64 v[1:2], 3, v[1:2]
	s_mul_i32 s9, s9, s15
	s_mul_hi_u32 s13, s8, s15
	v_lshlrev_b64 v[3:4], 3, v[3:4]
	s_lshl_b64 s[18:19], s[18:19], 3
	s_mul_i32 s8, s8, s15
	s_add_i32 s9, s13, s9
	v_add_co_u32 v1, s3, v1, s18
	s_lshl_b64 s[8:9], s[8:9], 3
	v_add_co_ci_u32_e64 v2, s3, s19, v2, s3
	v_add_co_u32 v3, s3, v3, s8
	s_delay_alu instid0(VALU_DEP_1) | instskip(SKIP_1) | instid1(VALU_DEP_1)
	v_add_co_ci_u32_e64 v4, s3, s9, v4, s3
	v_add_co_u32 v6, s3, v1, v16
	v_add_co_ci_u32_e64 v7, s3, 0, v2, s3
	v_mov_b32_e32 v1, 0
	v_dual_mov_b32 v2, 0 :: v_dual_lshlrev_b32 v5, 3, v15
	v_add_nc_u32_e32 v19, v17, v16
	s_delay_alu instid0(VALU_DEP_2) | instskip(NEXT) | instid1(VALU_DEP_1)
	v_add_co_u32 v5, s3, v3, v5
	v_add_co_ci_u32_e64 v8, s3, 0, v4, s3
	v_add_co_u32 v3, s3, s10, v6
	s_delay_alu instid0(VALU_DEP_1) | instskip(NEXT) | instid1(VALU_DEP_4)
	v_add_co_ci_u32_e64 v4, s3, s11, v7, s3
	v_add_co_u32 v5, s3, s6, v5
	s_delay_alu instid0(VALU_DEP_1)
	v_add_co_ci_u32_e64 v6, s3, s7, v8, s3
	v_dual_mov_b32 v8, v2 :: v_dual_mov_b32 v7, v1
	s_branch .LBB128_3
.LBB128_2:                              ;   in Loop: Header=BB128_3 Depth=1
	s_or_b32 exec_lo, exec_lo, s3
	s_waitcnt vmcnt(0)
	ds_store_b64 v19, v[11:12]
	s_waitcnt lgkmcnt(0)
	s_barrier
	buffer_gl0_inv
	ds_load_2addr_b64 v[9:12], v16 offset1:16
	ds_load_b128 v[20:23], v17
	ds_load_b128 v[24:27], v17 offset:16
	v_add_co_u32 v3, s3, 0x80, v3
	s_delay_alu instid0(VALU_DEP_1) | instskip(SKIP_1) | instid1(VALU_DEP_1)
	v_add_co_ci_u32_e64 v4, s3, 0, v4, s3
	v_add_co_u32 v5, s3, 0x80, v5
	v_add_co_ci_u32_e64 v6, s3, 0, v6, s3
	s_add_i32 s12, s12, 16
	s_delay_alu instid0(SALU_CYCLE_1) | instskip(SKIP_2) | instid1(VALU_DEP_1)
	s_cmp_ge_i32 s12, s17
	s_waitcnt lgkmcnt(1)
	v_fma_f64 v[7:8], v[9:10], v[20:21], v[7:8]
	v_fma_f64 v[11:12], v[11:12], v[22:23], v[7:8]
	ds_load_2addr_b64 v[7:10], v16 offset0:32 offset1:48
	s_waitcnt lgkmcnt(0)
	v_fma_f64 v[7:8], v[7:8], v[24:25], v[11:12]
	s_delay_alu instid0(VALU_DEP_1)
	v_fma_f64 v[11:12], v[9:10], v[26:27], v[7:8]
	ds_load_2addr_b64 v[7:10], v16 offset0:64 offset1:80
	ds_load_b128 v[20:23], v17 offset:32
	ds_load_b128 v[24:27], v17 offset:48
	s_waitcnt lgkmcnt(1)
	v_fma_f64 v[7:8], v[7:8], v[20:21], v[11:12]
	s_delay_alu instid0(VALU_DEP_1) | instskip(SKIP_3) | instid1(VALU_DEP_1)
	v_fma_f64 v[11:12], v[9:10], v[22:23], v[7:8]
	ds_load_2addr_b64 v[7:10], v16 offset0:96 offset1:112
	s_waitcnt lgkmcnt(0)
	v_fma_f64 v[7:8], v[7:8], v[24:25], v[11:12]
	v_fma_f64 v[11:12], v[9:10], v[26:27], v[7:8]
	ds_load_2addr_b64 v[7:10], v16 offset0:128 offset1:144
	ds_load_b128 v[20:23], v17 offset:64
	ds_load_b128 v[24:27], v17 offset:80
	s_waitcnt lgkmcnt(1)
	v_fma_f64 v[7:8], v[7:8], v[20:21], v[11:12]
	s_delay_alu instid0(VALU_DEP_1) | instskip(SKIP_3) | instid1(VALU_DEP_1)
	v_fma_f64 v[11:12], v[9:10], v[22:23], v[7:8]
	ds_load_2addr_b64 v[7:10], v16 offset0:160 offset1:176
	s_waitcnt lgkmcnt(0)
	v_fma_f64 v[7:8], v[7:8], v[24:25], v[11:12]
	v_fma_f64 v[11:12], v[9:10], v[26:27], v[7:8]
	ds_load_2addr_b64 v[7:10], v16 offset0:192 offset1:208
	ds_load_b128 v[20:23], v17 offset:96
	ds_load_b128 v[24:27], v17 offset:112
	s_waitcnt lgkmcnt(1)
	v_fma_f64 v[7:8], v[7:8], v[20:21], v[11:12]
	s_delay_alu instid0(VALU_DEP_1)
	v_fma_f64 v[11:12], v[9:10], v[22:23], v[7:8]
	ds_load_2addr_b64 v[7:10], v16 offset0:224 offset1:240
	s_waitcnt lgkmcnt(0)
	s_barrier
	buffer_gl0_inv
	v_fma_f64 v[7:8], v[7:8], v[24:25], v[11:12]
	s_delay_alu instid0(VALU_DEP_1)
	v_fma_f64 v[7:8], v[9:10], v[26:27], v[7:8]
	s_cbranch_scc1 .LBB128_8
.LBB128_3:                              ; =>This Inner Loop Header: Depth=1
	v_add_nc_u32_e32 v9, s12, v15
	s_delay_alu instid0(VALU_DEP_1) | instskip(SKIP_1) | instid1(VALU_DEP_2)
	v_cmp_gt_i32_e64 s3, s17, v9
	v_dual_mov_b32 v10, v2 :: v_dual_mov_b32 v9, v1
	s_and_b32 s6, vcc_lo, s3
	s_delay_alu instid0(SALU_CYCLE_1)
	s_and_saveexec_b32 s3, s6
	s_cbranch_execz .LBB128_5
; %bb.4:                                ;   in Loop: Header=BB128_3 Depth=1
	global_load_b64 v[9:10], v[5:6], off
.LBB128_5:                              ;   in Loop: Header=BB128_3 Depth=1
	s_or_b32 exec_lo, exec_lo, s3
	v_add_nc_u32_e32 v11, s12, v14
	s_waitcnt vmcnt(0)
	ds_store_b64 v18, v[9:10]
	v_cmp_gt_i32_e64 s3, s17, v11
	v_mov_b32_e32 v11, 0
	v_mov_b32_e32 v12, 0
	s_delay_alu instid0(VALU_DEP_3) | instskip(NEXT) | instid1(SALU_CYCLE_1)
	s_and_b32 s6, s2, s3
	s_and_saveexec_b32 s3, s6
	s_cbranch_execz .LBB128_2
; %bb.6:                                ;   in Loop: Header=BB128_3 Depth=1
	global_load_b64 v[11:12], v[3:4], off
	s_branch .LBB128_2
.LBB128_7:
	v_mov_b32_e32 v7, 0
	v_mov_b32_e32 v8, 0
.LBB128_8:
	v_cmp_le_i32_e32 vcc_lo, v13, v0
	v_cmp_gt_i32_e64 s2, s16, v0
	s_delay_alu instid0(VALU_DEP_1) | instskip(NEXT) | instid1(SALU_CYCLE_1)
	s_and_b32 s2, vcc_lo, s2
	s_and_saveexec_b32 s3, s2
	s_cbranch_execz .LBB128_10
; %bb.9:
	s_clause 0x1
	s_load_b32 s6, s[0:1], 0x50
	s_load_b64 s[2:3], s[0:1], 0x58
	s_delay_alu instid0(VALU_DEP_3) | instskip(SKIP_2) | instid1(VALU_DEP_1)
	v_mul_f64 v[2:3], v[7:8], s[4:5]
	s_load_b64 s[0:1], s[0:1], 0x48
	v_ashrrev_i32_e32 v1, 31, v0
	v_lshlrev_b64 v[0:1], 3, v[0:1]
	s_waitcnt lgkmcnt(0)
	v_mad_i64_i32 v[4:5], null, s6, v13, 0
	s_mul_i32 s3, s15, s3
	s_mul_hi_u32 s4, s15, s2
	s_mul_i32 s2, s15, s2
	s_add_i32 s3, s4, s3
	s_delay_alu instid0(SALU_CYCLE_1) | instskip(NEXT) | instid1(VALU_DEP_1)
	s_lshl_b64 s[2:3], s[2:3], 3
	v_lshlrev_b64 v[4:5], 3, v[4:5]
	s_add_u32 s0, s0, s2
	s_addc_u32 s1, s1, s3
	s_delay_alu instid0(VALU_DEP_1) | instskip(NEXT) | instid1(VALU_DEP_2)
	v_add_co_u32 v4, vcc_lo, s0, v4
	v_add_co_ci_u32_e32 v5, vcc_lo, s1, v5, vcc_lo
	s_delay_alu instid0(VALU_DEP_2) | instskip(NEXT) | instid1(VALU_DEP_2)
	v_add_co_u32 v0, vcc_lo, v4, v0
	v_add_co_ci_u32_e32 v1, vcc_lo, v5, v1, vcc_lo
	global_store_b64 v[0:1], v[2:3], off
.LBB128_10:
	s_nop 0
	s_sendmsg sendmsg(MSG_DEALLOC_VGPRS)
	s_endpgm
	.section	.rodata,"a",@progbits
	.p2align	6, 0x0
	.amdhsa_kernel _ZL32rocblas_syrkx_herkx_small_kernelIidLi16ELb1ELb0ELc67ELc76EKddEviT_T0_PT6_S1_lS4_S1_lS2_PT7_S1_li
		.amdhsa_group_segment_fixed_size 4096
		.amdhsa_private_segment_fixed_size 0
		.amdhsa_kernarg_size 100
		.amdhsa_user_sgpr_count 13
		.amdhsa_user_sgpr_dispatch_ptr 0
		.amdhsa_user_sgpr_queue_ptr 0
		.amdhsa_user_sgpr_kernarg_segment_ptr 1
		.amdhsa_user_sgpr_dispatch_id 0
		.amdhsa_user_sgpr_private_segment_size 0
		.amdhsa_wavefront_size32 1
		.amdhsa_uses_dynamic_stack 0
		.amdhsa_enable_private_segment 0
		.amdhsa_system_sgpr_workgroup_id_x 1
		.amdhsa_system_sgpr_workgroup_id_y 1
		.amdhsa_system_sgpr_workgroup_id_z 1
		.amdhsa_system_sgpr_workgroup_info 0
		.amdhsa_system_vgpr_workitem_id 1
		.amdhsa_next_free_vgpr 28
		.amdhsa_next_free_sgpr 20
		.amdhsa_reserve_vcc 1
		.amdhsa_float_round_mode_32 0
		.amdhsa_float_round_mode_16_64 0
		.amdhsa_float_denorm_mode_32 3
		.amdhsa_float_denorm_mode_16_64 3
		.amdhsa_dx10_clamp 1
		.amdhsa_ieee_mode 1
		.amdhsa_fp16_overflow 0
		.amdhsa_workgroup_processor_mode 1
		.amdhsa_memory_ordered 1
		.amdhsa_forward_progress 0
		.amdhsa_shared_vgpr_count 0
		.amdhsa_exception_fp_ieee_invalid_op 0
		.amdhsa_exception_fp_denorm_src 0
		.amdhsa_exception_fp_ieee_div_zero 0
		.amdhsa_exception_fp_ieee_overflow 0
		.amdhsa_exception_fp_ieee_underflow 0
		.amdhsa_exception_fp_ieee_inexact 0
		.amdhsa_exception_int_div_zero 0
	.end_amdhsa_kernel
	.section	.text._ZL32rocblas_syrkx_herkx_small_kernelIidLi16ELb1ELb0ELc67ELc76EKddEviT_T0_PT6_S1_lS4_S1_lS2_PT7_S1_li,"axG",@progbits,_ZL32rocblas_syrkx_herkx_small_kernelIidLi16ELb1ELb0ELc67ELc76EKddEviT_T0_PT6_S1_lS4_S1_lS2_PT7_S1_li,comdat
.Lfunc_end128:
	.size	_ZL32rocblas_syrkx_herkx_small_kernelIidLi16ELb1ELb0ELc67ELc76EKddEviT_T0_PT6_S1_lS4_S1_lS2_PT7_S1_li, .Lfunc_end128-_ZL32rocblas_syrkx_herkx_small_kernelIidLi16ELb1ELb0ELc67ELc76EKddEviT_T0_PT6_S1_lS4_S1_lS2_PT7_S1_li
                                        ; -- End function
	.section	.AMDGPU.csdata,"",@progbits
; Kernel info:
; codeLenInByte = 1084
; NumSgprs: 22
; NumVgprs: 28
; ScratchSize: 0
; MemoryBound: 0
; FloatMode: 240
; IeeeMode: 1
; LDSByteSize: 4096 bytes/workgroup (compile time only)
; SGPRBlocks: 2
; VGPRBlocks: 3
; NumSGPRsForWavesPerEU: 22
; NumVGPRsForWavesPerEU: 28
; Occupancy: 16
; WaveLimiterHint : 0
; COMPUTE_PGM_RSRC2:SCRATCH_EN: 0
; COMPUTE_PGM_RSRC2:USER_SGPR: 13
; COMPUTE_PGM_RSRC2:TRAP_HANDLER: 0
; COMPUTE_PGM_RSRC2:TGID_X_EN: 1
; COMPUTE_PGM_RSRC2:TGID_Y_EN: 1
; COMPUTE_PGM_RSRC2:TGID_Z_EN: 1
; COMPUTE_PGM_RSRC2:TIDIG_COMP_CNT: 1
	.section	.text._ZL32rocblas_syrkx_herkx_small_kernelIidLi16ELb1ELb0ELc78ELc76EKddEviT_T0_PT6_S1_lS4_S1_lS2_PT7_S1_li,"axG",@progbits,_ZL32rocblas_syrkx_herkx_small_kernelIidLi16ELb1ELb0ELc78ELc76EKddEviT_T0_PT6_S1_lS4_S1_lS2_PT7_S1_li,comdat
	.globl	_ZL32rocblas_syrkx_herkx_small_kernelIidLi16ELb1ELb0ELc78ELc76EKddEviT_T0_PT6_S1_lS4_S1_lS2_PT7_S1_li ; -- Begin function _ZL32rocblas_syrkx_herkx_small_kernelIidLi16ELb1ELb0ELc78ELc76EKddEviT_T0_PT6_S1_lS4_S1_lS2_PT7_S1_li
	.p2align	8
	.type	_ZL32rocblas_syrkx_herkx_small_kernelIidLi16ELb1ELb0ELc78ELc76EKddEviT_T0_PT6_S1_lS4_S1_lS2_PT7_S1_li,@function
_ZL32rocblas_syrkx_herkx_small_kernelIidLi16ELb1ELb0ELc78ELc76EKddEviT_T0_PT6_S1_lS4_S1_lS2_PT7_S1_li: ; @_ZL32rocblas_syrkx_herkx_small_kernelIidLi16ELb1ELb0ELc78ELc76EKddEviT_T0_PT6_S1_lS4_S1_lS2_PT7_S1_li
; %bb.0:
	s_clause 0x1
	s_load_b64 s[16:17], s[0:1], 0x0
	s_load_b128 s[4:7], s[0:1], 0x8
	v_and_b32_e32 v15, 0x3ff, v0
	v_bfe_u32 v16, v0, 10, 10
	s_mov_b32 s12, 0
	s_delay_alu instid0(VALU_DEP_2) | instskip(NEXT) | instid1(VALU_DEP_2)
	v_lshl_add_u32 v0, s13, 4, v15
	v_lshl_add_u32 v2, s14, 4, v16
	s_delay_alu instid0(VALU_DEP_2)
	v_ashrrev_i32_e32 v1, 31, v0
	s_waitcnt lgkmcnt(0)
	v_cmp_gt_i32_e32 vcc_lo, s16, v0
	s_cmp_lt_i32 s17, 1
	s_cbranch_scc1 .LBB129_7
; %bb.1:
	s_clause 0x3
	s_load_b32 s18, s[0:1], 0x30
	s_load_b64 s[20:21], s[0:1], 0x38
	s_load_b128 s[8:11], s[0:1], 0x20
	s_load_b32 s22, s[0:1], 0x18
	v_lshlrev_b32_e32 v6, 7, v16
	v_lshlrev_b32_e32 v17, 3, v15
	v_ashrrev_i32_e32 v3, 31, v2
	v_lshlrev_b64 v[4:5], 3, v[0:1]
	v_cmp_gt_i32_e64 s2, s16, v2
	v_add_nc_u32_e32 v18, 0x800, v6
	v_add_nc_u32_e32 v19, v17, v6
	v_lshlrev_b64 v[6:7], 3, v[2:3]
	s_waitcnt lgkmcnt(0)
	v_mad_i64_i32 v[8:9], null, s18, v15, 0
	s_mul_i32 s3, s21, s15
	v_mad_i64_i32 v[10:11], null, s22, v16, 0
	s_mul_hi_u32 s13, s20, s15
	s_mul_i32 s20, s20, s15
	s_add_i32 s21, s13, s3
	s_delay_alu instid0(VALU_DEP_2) | instskip(SKIP_2) | instid1(VALU_DEP_2)
	v_lshlrev_b64 v[8:9], 3, v[8:9]
	s_mul_i32 s9, s9, s15
	s_mul_hi_u32 s14, s8, s15
	v_lshlrev_b64 v[10:11], 3, v[10:11]
	s_lshl_b64 s[20:21], s[20:21], 3
	s_mul_i32 s8, s8, s15
	s_add_i32 s9, s14, s9
	v_add_co_u32 v3, s3, s20, v8
	s_lshl_b64 s[8:9], s[8:9], 3
	v_add_co_ci_u32_e64 v8, s3, s21, v9, s3
	v_add_co_u32 v9, s3, s8, v10
	s_delay_alu instid0(VALU_DEP_1) | instskip(SKIP_1) | instid1(VALU_DEP_1)
	v_add_co_ci_u32_e64 v10, s3, s9, v11, s3
	v_add_co_u32 v6, s3, v3, v6
	v_add_co_ci_u32_e64 v7, s3, v8, v7, s3
	s_delay_alu instid0(VALU_DEP_4) | instskip(NEXT) | instid1(VALU_DEP_1)
	v_add_co_u32 v8, s3, v9, v4
	v_add_co_ci_u32_e64 v9, s3, v10, v5, s3
	v_mov_b32_e32 v3, 0
	v_mov_b32_e32 v4, 0
	v_add_co_u32 v5, s3, s10, v6
	s_delay_alu instid0(VALU_DEP_1) | instskip(SKIP_1) | instid1(VALU_DEP_1)
	v_add_co_ci_u32_e64 v6, s3, s11, v7, s3
	v_add_co_u32 v7, s3, s6, v8
	v_add_co_ci_u32_e64 v8, s3, s7, v9, s3
	v_dual_mov_b32 v10, v4 :: v_dual_mov_b32 v9, v3
	v_add_nc_u32_e32 v20, v18, v17
	s_ashr_i32 s19, s18, 31
	s_ashr_i32 s23, s22, 31
	s_lshl_b64 s[6:7], s[18:19], 7
	s_lshl_b64 s[8:9], s[22:23], 7
	s_branch .LBB129_3
.LBB129_2:                              ;   in Loop: Header=BB129_3 Depth=1
	s_or_b32 exec_lo, exec_lo, s3
	s_waitcnt vmcnt(0)
	ds_store_b64 v20, v[13:14]
	s_waitcnt lgkmcnt(0)
	s_barrier
	buffer_gl0_inv
	ds_load_2addr_b64 v[11:14], v17 offset1:16
	ds_load_b128 v[21:24], v18
	ds_load_b128 v[25:28], v18 offset:16
	v_add_co_u32 v5, s3, v5, s6
	s_delay_alu instid0(VALU_DEP_1) | instskip(SKIP_1) | instid1(VALU_DEP_1)
	v_add_co_ci_u32_e64 v6, s3, s7, v6, s3
	v_add_co_u32 v7, s3, v7, s8
	v_add_co_ci_u32_e64 v8, s3, s9, v8, s3
	s_add_i32 s12, s12, 16
	s_delay_alu instid0(SALU_CYCLE_1) | instskip(SKIP_2) | instid1(VALU_DEP_1)
	s_cmp_ge_i32 s12, s17
	s_waitcnt lgkmcnt(1)
	v_fma_f64 v[9:10], v[11:12], v[21:22], v[9:10]
	v_fma_f64 v[13:14], v[13:14], v[23:24], v[9:10]
	ds_load_2addr_b64 v[9:12], v17 offset0:32 offset1:48
	s_waitcnt lgkmcnt(0)
	v_fma_f64 v[9:10], v[9:10], v[25:26], v[13:14]
	s_delay_alu instid0(VALU_DEP_1)
	v_fma_f64 v[13:14], v[11:12], v[27:28], v[9:10]
	ds_load_2addr_b64 v[9:12], v17 offset0:64 offset1:80
	ds_load_b128 v[21:24], v18 offset:32
	ds_load_b128 v[25:28], v18 offset:48
	s_waitcnt lgkmcnt(1)
	v_fma_f64 v[9:10], v[9:10], v[21:22], v[13:14]
	s_delay_alu instid0(VALU_DEP_1) | instskip(SKIP_3) | instid1(VALU_DEP_1)
	v_fma_f64 v[13:14], v[11:12], v[23:24], v[9:10]
	ds_load_2addr_b64 v[9:12], v17 offset0:96 offset1:112
	s_waitcnt lgkmcnt(0)
	v_fma_f64 v[9:10], v[9:10], v[25:26], v[13:14]
	v_fma_f64 v[13:14], v[11:12], v[27:28], v[9:10]
	ds_load_2addr_b64 v[9:12], v17 offset0:128 offset1:144
	ds_load_b128 v[21:24], v18 offset:64
	ds_load_b128 v[25:28], v18 offset:80
	s_waitcnt lgkmcnt(1)
	v_fma_f64 v[9:10], v[9:10], v[21:22], v[13:14]
	s_delay_alu instid0(VALU_DEP_1) | instskip(SKIP_3) | instid1(VALU_DEP_1)
	v_fma_f64 v[13:14], v[11:12], v[23:24], v[9:10]
	ds_load_2addr_b64 v[9:12], v17 offset0:160 offset1:176
	s_waitcnt lgkmcnt(0)
	v_fma_f64 v[9:10], v[9:10], v[25:26], v[13:14]
	v_fma_f64 v[13:14], v[11:12], v[27:28], v[9:10]
	ds_load_2addr_b64 v[9:12], v17 offset0:192 offset1:208
	ds_load_b128 v[21:24], v18 offset:96
	ds_load_b128 v[25:28], v18 offset:112
	s_waitcnt lgkmcnt(1)
	v_fma_f64 v[9:10], v[9:10], v[21:22], v[13:14]
	s_delay_alu instid0(VALU_DEP_1)
	v_fma_f64 v[13:14], v[11:12], v[23:24], v[9:10]
	ds_load_2addr_b64 v[9:12], v17 offset0:224 offset1:240
	s_waitcnt lgkmcnt(0)
	s_barrier
	buffer_gl0_inv
	v_fma_f64 v[9:10], v[9:10], v[25:26], v[13:14]
	s_delay_alu instid0(VALU_DEP_1)
	v_fma_f64 v[9:10], v[11:12], v[27:28], v[9:10]
	s_cbranch_scc1 .LBB129_8
.LBB129_3:                              ; =>This Inner Loop Header: Depth=1
	v_add_nc_u32_e32 v11, s12, v16
	s_delay_alu instid0(VALU_DEP_1) | instskip(SKIP_1) | instid1(VALU_DEP_2)
	v_cmp_gt_i32_e64 s3, s17, v11
	v_dual_mov_b32 v12, v4 :: v_dual_mov_b32 v11, v3
	s_and_b32 s10, vcc_lo, s3
	s_delay_alu instid0(SALU_CYCLE_1)
	s_and_saveexec_b32 s3, s10
	s_cbranch_execz .LBB129_5
; %bb.4:                                ;   in Loop: Header=BB129_3 Depth=1
	global_load_b64 v[11:12], v[7:8], off
.LBB129_5:                              ;   in Loop: Header=BB129_3 Depth=1
	s_or_b32 exec_lo, exec_lo, s3
	v_add_nc_u32_e32 v13, s12, v15
	s_waitcnt vmcnt(0)
	ds_store_b64 v19, v[11:12]
	v_cmp_gt_i32_e64 s3, s17, v13
	v_mov_b32_e32 v13, 0
	v_mov_b32_e32 v14, 0
	s_delay_alu instid0(VALU_DEP_3) | instskip(NEXT) | instid1(SALU_CYCLE_1)
	s_and_b32 s10, s2, s3
	s_and_saveexec_b32 s3, s10
	s_cbranch_execz .LBB129_2
; %bb.6:                                ;   in Loop: Header=BB129_3 Depth=1
	global_load_b64 v[13:14], v[5:6], off
	s_branch .LBB129_2
.LBB129_7:
	v_mov_b32_e32 v9, 0
	v_mov_b32_e32 v10, 0
.LBB129_8:
	v_cmp_le_i32_e32 vcc_lo, v2, v0
	v_cmp_gt_i32_e64 s2, s16, v0
	s_delay_alu instid0(VALU_DEP_1) | instskip(NEXT) | instid1(SALU_CYCLE_1)
	s_and_b32 s2, vcc_lo, s2
	s_and_saveexec_b32 s3, s2
	s_cbranch_execz .LBB129_10
; %bb.9:
	s_clause 0x1
	s_load_b32 s6, s[0:1], 0x50
	s_load_b64 s[2:3], s[0:1], 0x58
	s_delay_alu instid0(VALU_DEP_3)
	v_mul_f64 v[3:4], v[9:10], s[4:5]
	s_load_b64 s[0:1], s[0:1], 0x48
	v_lshlrev_b64 v[0:1], 3, v[0:1]
	s_waitcnt lgkmcnt(0)
	v_mad_i64_i32 v[5:6], null, s6, v2, 0
	s_mul_i32 s3, s15, s3
	s_mul_hi_u32 s4, s15, s2
	s_mul_i32 s2, s15, s2
	s_add_i32 s3, s4, s3
	s_delay_alu instid0(SALU_CYCLE_1) | instskip(NEXT) | instid1(VALU_DEP_1)
	s_lshl_b64 s[2:3], s[2:3], 3
	v_lshlrev_b64 v[5:6], 3, v[5:6]
	s_add_u32 s0, s0, s2
	s_addc_u32 s1, s1, s3
	s_delay_alu instid0(VALU_DEP_1) | instskip(NEXT) | instid1(VALU_DEP_2)
	v_add_co_u32 v2, vcc_lo, s0, v5
	v_add_co_ci_u32_e32 v5, vcc_lo, s1, v6, vcc_lo
	s_delay_alu instid0(VALU_DEP_2) | instskip(NEXT) | instid1(VALU_DEP_2)
	v_add_co_u32 v0, vcc_lo, v2, v0
	v_add_co_ci_u32_e32 v1, vcc_lo, v5, v1, vcc_lo
	global_store_b64 v[0:1], v[3:4], off
.LBB129_10:
	s_nop 0
	s_sendmsg sendmsg(MSG_DEALLOC_VGPRS)
	s_endpgm
	.section	.rodata,"a",@progbits
	.p2align	6, 0x0
	.amdhsa_kernel _ZL32rocblas_syrkx_herkx_small_kernelIidLi16ELb1ELb0ELc78ELc76EKddEviT_T0_PT6_S1_lS4_S1_lS2_PT7_S1_li
		.amdhsa_group_segment_fixed_size 4096
		.amdhsa_private_segment_fixed_size 0
		.amdhsa_kernarg_size 100
		.amdhsa_user_sgpr_count 13
		.amdhsa_user_sgpr_dispatch_ptr 0
		.amdhsa_user_sgpr_queue_ptr 0
		.amdhsa_user_sgpr_kernarg_segment_ptr 1
		.amdhsa_user_sgpr_dispatch_id 0
		.amdhsa_user_sgpr_private_segment_size 0
		.amdhsa_wavefront_size32 1
		.amdhsa_uses_dynamic_stack 0
		.amdhsa_enable_private_segment 0
		.amdhsa_system_sgpr_workgroup_id_x 1
		.amdhsa_system_sgpr_workgroup_id_y 1
		.amdhsa_system_sgpr_workgroup_id_z 1
		.amdhsa_system_sgpr_workgroup_info 0
		.amdhsa_system_vgpr_workitem_id 1
		.amdhsa_next_free_vgpr 29
		.amdhsa_next_free_sgpr 24
		.amdhsa_reserve_vcc 1
		.amdhsa_float_round_mode_32 0
		.amdhsa_float_round_mode_16_64 0
		.amdhsa_float_denorm_mode_32 3
		.amdhsa_float_denorm_mode_16_64 3
		.amdhsa_dx10_clamp 1
		.amdhsa_ieee_mode 1
		.amdhsa_fp16_overflow 0
		.amdhsa_workgroup_processor_mode 1
		.amdhsa_memory_ordered 1
		.amdhsa_forward_progress 0
		.amdhsa_shared_vgpr_count 0
		.amdhsa_exception_fp_ieee_invalid_op 0
		.amdhsa_exception_fp_denorm_src 0
		.amdhsa_exception_fp_ieee_div_zero 0
		.amdhsa_exception_fp_ieee_overflow 0
		.amdhsa_exception_fp_ieee_underflow 0
		.amdhsa_exception_fp_ieee_inexact 0
		.amdhsa_exception_int_div_zero 0
	.end_amdhsa_kernel
	.section	.text._ZL32rocblas_syrkx_herkx_small_kernelIidLi16ELb1ELb0ELc78ELc76EKddEviT_T0_PT6_S1_lS4_S1_lS2_PT7_S1_li,"axG",@progbits,_ZL32rocblas_syrkx_herkx_small_kernelIidLi16ELb1ELb0ELc78ELc76EKddEviT_T0_PT6_S1_lS4_S1_lS2_PT7_S1_li,comdat
.Lfunc_end129:
	.size	_ZL32rocblas_syrkx_herkx_small_kernelIidLi16ELb1ELb0ELc78ELc76EKddEviT_T0_PT6_S1_lS4_S1_lS2_PT7_S1_li, .Lfunc_end129-_ZL32rocblas_syrkx_herkx_small_kernelIidLi16ELb1ELb0ELc78ELc76EKddEviT_T0_PT6_S1_lS4_S1_lS2_PT7_S1_li
                                        ; -- End function
	.section	.AMDGPU.csdata,"",@progbits
; Kernel info:
; codeLenInByte = 1100
; NumSgprs: 26
; NumVgprs: 29
; ScratchSize: 0
; MemoryBound: 0
; FloatMode: 240
; IeeeMode: 1
; LDSByteSize: 4096 bytes/workgroup (compile time only)
; SGPRBlocks: 3
; VGPRBlocks: 3
; NumSGPRsForWavesPerEU: 26
; NumVGPRsForWavesPerEU: 29
; Occupancy: 16
; WaveLimiterHint : 0
; COMPUTE_PGM_RSRC2:SCRATCH_EN: 0
; COMPUTE_PGM_RSRC2:USER_SGPR: 13
; COMPUTE_PGM_RSRC2:TRAP_HANDLER: 0
; COMPUTE_PGM_RSRC2:TGID_X_EN: 1
; COMPUTE_PGM_RSRC2:TGID_Y_EN: 1
; COMPUTE_PGM_RSRC2:TGID_Z_EN: 1
; COMPUTE_PGM_RSRC2:TIDIG_COMP_CNT: 1
	.section	.text._ZL32rocblas_syrkx_herkx_small_kernelIidLi16ELb1ELb0ELc84ELc85EKddEviT_T0_PT6_S1_lS4_S1_lS2_PT7_S1_li,"axG",@progbits,_ZL32rocblas_syrkx_herkx_small_kernelIidLi16ELb1ELb0ELc84ELc85EKddEviT_T0_PT6_S1_lS4_S1_lS2_PT7_S1_li,comdat
	.globl	_ZL32rocblas_syrkx_herkx_small_kernelIidLi16ELb1ELb0ELc84ELc85EKddEviT_T0_PT6_S1_lS4_S1_lS2_PT7_S1_li ; -- Begin function _ZL32rocblas_syrkx_herkx_small_kernelIidLi16ELb1ELb0ELc84ELc85EKddEviT_T0_PT6_S1_lS4_S1_lS2_PT7_S1_li
	.p2align	8
	.type	_ZL32rocblas_syrkx_herkx_small_kernelIidLi16ELb1ELb0ELc84ELc85EKddEviT_T0_PT6_S1_lS4_S1_lS2_PT7_S1_li,@function
_ZL32rocblas_syrkx_herkx_small_kernelIidLi16ELb1ELb0ELc84ELc85EKddEviT_T0_PT6_S1_lS4_S1_lS2_PT7_S1_li: ; @_ZL32rocblas_syrkx_herkx_small_kernelIidLi16ELb1ELb0ELc84ELc85EKddEviT_T0_PT6_S1_lS4_S1_lS2_PT7_S1_li
; %bb.0:
	s_clause 0x1
	s_load_b64 s[16:17], s[0:1], 0x0
	s_load_b128 s[4:7], s[0:1], 0x8
	v_bfe_u32 v14, v0, 10, 10
	v_and_b32_e32 v15, 0x3ff, v0
	s_mov_b32 s12, 0
	s_delay_alu instid0(VALU_DEP_2) | instskip(NEXT) | instid1(VALU_DEP_2)
	v_lshl_add_u32 v13, s14, 4, v14
	v_lshl_add_u32 v0, s13, 4, v15
	s_waitcnt lgkmcnt(0)
	s_delay_alu instid0(VALU_DEP_2)
	v_cmp_gt_i32_e32 vcc_lo, s16, v13
	s_cmp_lt_i32 s17, 1
	s_cbranch_scc1 .LBB130_7
; %bb.1:
	s_clause 0x3
	s_load_b32 s3, s[0:1], 0x30
	s_load_b64 s[18:19], s[0:1], 0x38
	s_load_b32 s13, s[0:1], 0x18
	s_load_b128 s[8:11], s[0:1], 0x20
	v_lshlrev_b32_e32 v1, 7, v14
	v_lshlrev_b32_e32 v16, 3, v15
	v_cmp_gt_i32_e64 s2, s16, v0
	s_delay_alu instid0(VALU_DEP_3) | instskip(NEXT) | instid1(VALU_DEP_3)
	v_add_nc_u32_e32 v17, 0x800, v1
	v_add_nc_u32_e32 v18, v16, v1
	s_waitcnt lgkmcnt(0)
	v_mad_i64_i32 v[1:2], null, s3, v13, 0
	v_mad_i64_i32 v[3:4], null, s13, v0, 0
	s_mul_i32 s3, s19, s15
	s_mul_hi_u32 s14, s18, s15
	s_mul_i32 s18, s18, s15
	s_add_i32 s19, s14, s3
	s_delay_alu instid0(VALU_DEP_2)
	v_lshlrev_b64 v[1:2], 3, v[1:2]
	s_mul_i32 s9, s9, s15
	s_mul_hi_u32 s13, s8, s15
	v_lshlrev_b64 v[3:4], 3, v[3:4]
	s_lshl_b64 s[18:19], s[18:19], 3
	s_mul_i32 s8, s8, s15
	s_add_i32 s9, s13, s9
	v_add_co_u32 v1, s3, v1, s18
	s_lshl_b64 s[8:9], s[8:9], 3
	v_add_co_ci_u32_e64 v2, s3, s19, v2, s3
	v_add_co_u32 v3, s3, v3, s8
	s_delay_alu instid0(VALU_DEP_1) | instskip(SKIP_1) | instid1(VALU_DEP_1)
	v_add_co_ci_u32_e64 v4, s3, s9, v4, s3
	v_add_co_u32 v6, s3, v1, v16
	v_add_co_ci_u32_e64 v7, s3, 0, v2, s3
	v_mov_b32_e32 v1, 0
	v_dual_mov_b32 v2, 0 :: v_dual_lshlrev_b32 v5, 3, v14
	v_add_nc_u32_e32 v19, v17, v16
	s_delay_alu instid0(VALU_DEP_2) | instskip(NEXT) | instid1(VALU_DEP_1)
	v_add_co_u32 v5, s3, v3, v5
	v_add_co_ci_u32_e64 v8, s3, 0, v4, s3
	v_add_co_u32 v3, s3, s10, v6
	s_delay_alu instid0(VALU_DEP_1) | instskip(NEXT) | instid1(VALU_DEP_4)
	v_add_co_ci_u32_e64 v4, s3, s11, v7, s3
	v_add_co_u32 v5, s3, s6, v5
	s_delay_alu instid0(VALU_DEP_1)
	v_add_co_ci_u32_e64 v6, s3, s7, v8, s3
	v_dual_mov_b32 v8, v2 :: v_dual_mov_b32 v7, v1
	s_branch .LBB130_3
.LBB130_2:                              ;   in Loop: Header=BB130_3 Depth=1
	s_or_b32 exec_lo, exec_lo, s3
	s_waitcnt vmcnt(0)
	ds_store_b64 v19, v[11:12]
	s_waitcnt lgkmcnt(0)
	s_barrier
	buffer_gl0_inv
	ds_load_2addr_b64 v[9:12], v16 offset1:16
	ds_load_b128 v[20:23], v17
	ds_load_b128 v[24:27], v17 offset:16
	v_add_co_u32 v3, s3, 0x80, v3
	s_delay_alu instid0(VALU_DEP_1) | instskip(SKIP_1) | instid1(VALU_DEP_1)
	v_add_co_ci_u32_e64 v4, s3, 0, v4, s3
	v_add_co_u32 v5, s3, 0x80, v5
	v_add_co_ci_u32_e64 v6, s3, 0, v6, s3
	s_add_i32 s12, s12, 16
	s_delay_alu instid0(SALU_CYCLE_1) | instskip(SKIP_2) | instid1(VALU_DEP_1)
	s_cmp_ge_i32 s12, s17
	s_waitcnt lgkmcnt(1)
	v_fma_f64 v[7:8], v[9:10], v[20:21], v[7:8]
	v_fma_f64 v[11:12], v[11:12], v[22:23], v[7:8]
	ds_load_2addr_b64 v[7:10], v16 offset0:32 offset1:48
	s_waitcnt lgkmcnt(0)
	v_fma_f64 v[7:8], v[7:8], v[24:25], v[11:12]
	s_delay_alu instid0(VALU_DEP_1)
	v_fma_f64 v[11:12], v[9:10], v[26:27], v[7:8]
	ds_load_2addr_b64 v[7:10], v16 offset0:64 offset1:80
	ds_load_b128 v[20:23], v17 offset:32
	ds_load_b128 v[24:27], v17 offset:48
	s_waitcnt lgkmcnt(1)
	v_fma_f64 v[7:8], v[7:8], v[20:21], v[11:12]
	s_delay_alu instid0(VALU_DEP_1) | instskip(SKIP_3) | instid1(VALU_DEP_1)
	v_fma_f64 v[11:12], v[9:10], v[22:23], v[7:8]
	ds_load_2addr_b64 v[7:10], v16 offset0:96 offset1:112
	s_waitcnt lgkmcnt(0)
	v_fma_f64 v[7:8], v[7:8], v[24:25], v[11:12]
	v_fma_f64 v[11:12], v[9:10], v[26:27], v[7:8]
	ds_load_2addr_b64 v[7:10], v16 offset0:128 offset1:144
	ds_load_b128 v[20:23], v17 offset:64
	ds_load_b128 v[24:27], v17 offset:80
	s_waitcnt lgkmcnt(1)
	v_fma_f64 v[7:8], v[7:8], v[20:21], v[11:12]
	s_delay_alu instid0(VALU_DEP_1) | instskip(SKIP_3) | instid1(VALU_DEP_1)
	v_fma_f64 v[11:12], v[9:10], v[22:23], v[7:8]
	ds_load_2addr_b64 v[7:10], v16 offset0:160 offset1:176
	s_waitcnt lgkmcnt(0)
	v_fma_f64 v[7:8], v[7:8], v[24:25], v[11:12]
	v_fma_f64 v[11:12], v[9:10], v[26:27], v[7:8]
	ds_load_2addr_b64 v[7:10], v16 offset0:192 offset1:208
	ds_load_b128 v[20:23], v17 offset:96
	ds_load_b128 v[24:27], v17 offset:112
	s_waitcnt lgkmcnt(1)
	v_fma_f64 v[7:8], v[7:8], v[20:21], v[11:12]
	s_delay_alu instid0(VALU_DEP_1)
	v_fma_f64 v[11:12], v[9:10], v[22:23], v[7:8]
	ds_load_2addr_b64 v[7:10], v16 offset0:224 offset1:240
	s_waitcnt lgkmcnt(0)
	s_barrier
	buffer_gl0_inv
	v_fma_f64 v[7:8], v[7:8], v[24:25], v[11:12]
	s_delay_alu instid0(VALU_DEP_1)
	v_fma_f64 v[7:8], v[9:10], v[26:27], v[7:8]
	s_cbranch_scc1 .LBB130_8
.LBB130_3:                              ; =>This Inner Loop Header: Depth=1
	v_add_nc_u32_e32 v9, s12, v14
	s_delay_alu instid0(VALU_DEP_1) | instskip(SKIP_1) | instid1(VALU_DEP_2)
	v_cmp_gt_i32_e64 s3, s17, v9
	v_dual_mov_b32 v10, v2 :: v_dual_mov_b32 v9, v1
	s_and_b32 s6, s2, s3
	s_delay_alu instid0(SALU_CYCLE_1)
	s_and_saveexec_b32 s3, s6
	s_cbranch_execz .LBB130_5
; %bb.4:                                ;   in Loop: Header=BB130_3 Depth=1
	global_load_b64 v[9:10], v[5:6], off
.LBB130_5:                              ;   in Loop: Header=BB130_3 Depth=1
	s_or_b32 exec_lo, exec_lo, s3
	v_add_nc_u32_e32 v11, s12, v15
	s_waitcnt vmcnt(0)
	ds_store_b64 v18, v[9:10]
	v_cmp_gt_i32_e64 s3, s17, v11
	v_mov_b32_e32 v11, 0
	v_mov_b32_e32 v12, 0
	s_delay_alu instid0(VALU_DEP_3) | instskip(NEXT) | instid1(SALU_CYCLE_1)
	s_and_b32 s6, vcc_lo, s3
	s_and_saveexec_b32 s3, s6
	s_cbranch_execz .LBB130_2
; %bb.6:                                ;   in Loop: Header=BB130_3 Depth=1
	global_load_b64 v[11:12], v[3:4], off
	s_branch .LBB130_2
.LBB130_7:
	v_mov_b32_e32 v7, 0
	v_mov_b32_e32 v8, 0
.LBB130_8:
	v_cmp_le_i32_e32 vcc_lo, v0, v13
	v_cmp_gt_i32_e64 s2, s16, v13
	s_delay_alu instid0(VALU_DEP_1) | instskip(NEXT) | instid1(SALU_CYCLE_1)
	s_and_b32 s2, vcc_lo, s2
	s_and_saveexec_b32 s3, s2
	s_cbranch_execz .LBB130_10
; %bb.9:
	s_clause 0x1
	s_load_b32 s6, s[0:1], 0x50
	s_load_b64 s[2:3], s[0:1], 0x58
	s_delay_alu instid0(VALU_DEP_3) | instskip(SKIP_2) | instid1(VALU_DEP_1)
	v_mul_f64 v[2:3], v[7:8], s[4:5]
	s_load_b64 s[0:1], s[0:1], 0x48
	v_ashrrev_i32_e32 v1, 31, v0
	v_lshlrev_b64 v[0:1], 3, v[0:1]
	s_waitcnt lgkmcnt(0)
	v_mad_i64_i32 v[4:5], null, s6, v13, 0
	s_mul_i32 s3, s15, s3
	s_mul_hi_u32 s4, s15, s2
	s_mul_i32 s2, s15, s2
	s_add_i32 s3, s4, s3
	s_delay_alu instid0(SALU_CYCLE_1) | instskip(NEXT) | instid1(VALU_DEP_1)
	s_lshl_b64 s[2:3], s[2:3], 3
	v_lshlrev_b64 v[4:5], 3, v[4:5]
	s_add_u32 s0, s0, s2
	s_addc_u32 s1, s1, s3
	s_delay_alu instid0(VALU_DEP_1) | instskip(NEXT) | instid1(VALU_DEP_2)
	v_add_co_u32 v4, vcc_lo, s0, v4
	v_add_co_ci_u32_e32 v5, vcc_lo, s1, v5, vcc_lo
	s_delay_alu instid0(VALU_DEP_2) | instskip(NEXT) | instid1(VALU_DEP_2)
	v_add_co_u32 v0, vcc_lo, v4, v0
	v_add_co_ci_u32_e32 v1, vcc_lo, v5, v1, vcc_lo
	global_store_b64 v[0:1], v[2:3], off
.LBB130_10:
	s_nop 0
	s_sendmsg sendmsg(MSG_DEALLOC_VGPRS)
	s_endpgm
	.section	.rodata,"a",@progbits
	.p2align	6, 0x0
	.amdhsa_kernel _ZL32rocblas_syrkx_herkx_small_kernelIidLi16ELb1ELb0ELc84ELc85EKddEviT_T0_PT6_S1_lS4_S1_lS2_PT7_S1_li
		.amdhsa_group_segment_fixed_size 4096
		.amdhsa_private_segment_fixed_size 0
		.amdhsa_kernarg_size 100
		.amdhsa_user_sgpr_count 13
		.amdhsa_user_sgpr_dispatch_ptr 0
		.amdhsa_user_sgpr_queue_ptr 0
		.amdhsa_user_sgpr_kernarg_segment_ptr 1
		.amdhsa_user_sgpr_dispatch_id 0
		.amdhsa_user_sgpr_private_segment_size 0
		.amdhsa_wavefront_size32 1
		.amdhsa_uses_dynamic_stack 0
		.amdhsa_enable_private_segment 0
		.amdhsa_system_sgpr_workgroup_id_x 1
		.amdhsa_system_sgpr_workgroup_id_y 1
		.amdhsa_system_sgpr_workgroup_id_z 1
		.amdhsa_system_sgpr_workgroup_info 0
		.amdhsa_system_vgpr_workitem_id 1
		.amdhsa_next_free_vgpr 28
		.amdhsa_next_free_sgpr 20
		.amdhsa_reserve_vcc 1
		.amdhsa_float_round_mode_32 0
		.amdhsa_float_round_mode_16_64 0
		.amdhsa_float_denorm_mode_32 3
		.amdhsa_float_denorm_mode_16_64 3
		.amdhsa_dx10_clamp 1
		.amdhsa_ieee_mode 1
		.amdhsa_fp16_overflow 0
		.amdhsa_workgroup_processor_mode 1
		.amdhsa_memory_ordered 1
		.amdhsa_forward_progress 0
		.amdhsa_shared_vgpr_count 0
		.amdhsa_exception_fp_ieee_invalid_op 0
		.amdhsa_exception_fp_denorm_src 0
		.amdhsa_exception_fp_ieee_div_zero 0
		.amdhsa_exception_fp_ieee_overflow 0
		.amdhsa_exception_fp_ieee_underflow 0
		.amdhsa_exception_fp_ieee_inexact 0
		.amdhsa_exception_int_div_zero 0
	.end_amdhsa_kernel
	.section	.text._ZL32rocblas_syrkx_herkx_small_kernelIidLi16ELb1ELb0ELc84ELc85EKddEviT_T0_PT6_S1_lS4_S1_lS2_PT7_S1_li,"axG",@progbits,_ZL32rocblas_syrkx_herkx_small_kernelIidLi16ELb1ELb0ELc84ELc85EKddEviT_T0_PT6_S1_lS4_S1_lS2_PT7_S1_li,comdat
.Lfunc_end130:
	.size	_ZL32rocblas_syrkx_herkx_small_kernelIidLi16ELb1ELb0ELc84ELc85EKddEviT_T0_PT6_S1_lS4_S1_lS2_PT7_S1_li, .Lfunc_end130-_ZL32rocblas_syrkx_herkx_small_kernelIidLi16ELb1ELb0ELc84ELc85EKddEviT_T0_PT6_S1_lS4_S1_lS2_PT7_S1_li
                                        ; -- End function
	.section	.AMDGPU.csdata,"",@progbits
; Kernel info:
; codeLenInByte = 1084
; NumSgprs: 22
; NumVgprs: 28
; ScratchSize: 0
; MemoryBound: 0
; FloatMode: 240
; IeeeMode: 1
; LDSByteSize: 4096 bytes/workgroup (compile time only)
; SGPRBlocks: 2
; VGPRBlocks: 3
; NumSGPRsForWavesPerEU: 22
; NumVGPRsForWavesPerEU: 28
; Occupancy: 16
; WaveLimiterHint : 0
; COMPUTE_PGM_RSRC2:SCRATCH_EN: 0
; COMPUTE_PGM_RSRC2:USER_SGPR: 13
; COMPUTE_PGM_RSRC2:TRAP_HANDLER: 0
; COMPUTE_PGM_RSRC2:TGID_X_EN: 1
; COMPUTE_PGM_RSRC2:TGID_Y_EN: 1
; COMPUTE_PGM_RSRC2:TGID_Z_EN: 1
; COMPUTE_PGM_RSRC2:TIDIG_COMP_CNT: 1
	.section	.text._ZL32rocblas_syrkx_herkx_small_kernelIidLi16ELb1ELb0ELc67ELc85EKddEviT_T0_PT6_S1_lS4_S1_lS2_PT7_S1_li,"axG",@progbits,_ZL32rocblas_syrkx_herkx_small_kernelIidLi16ELb1ELb0ELc67ELc85EKddEviT_T0_PT6_S1_lS4_S1_lS2_PT7_S1_li,comdat
	.globl	_ZL32rocblas_syrkx_herkx_small_kernelIidLi16ELb1ELb0ELc67ELc85EKddEviT_T0_PT6_S1_lS4_S1_lS2_PT7_S1_li ; -- Begin function _ZL32rocblas_syrkx_herkx_small_kernelIidLi16ELb1ELb0ELc67ELc85EKddEviT_T0_PT6_S1_lS4_S1_lS2_PT7_S1_li
	.p2align	8
	.type	_ZL32rocblas_syrkx_herkx_small_kernelIidLi16ELb1ELb0ELc67ELc85EKddEviT_T0_PT6_S1_lS4_S1_lS2_PT7_S1_li,@function
_ZL32rocblas_syrkx_herkx_small_kernelIidLi16ELb1ELb0ELc67ELc85EKddEviT_T0_PT6_S1_lS4_S1_lS2_PT7_S1_li: ; @_ZL32rocblas_syrkx_herkx_small_kernelIidLi16ELb1ELb0ELc67ELc85EKddEviT_T0_PT6_S1_lS4_S1_lS2_PT7_S1_li
; %bb.0:
	s_clause 0x1
	s_load_b64 s[16:17], s[0:1], 0x0
	s_load_b128 s[4:7], s[0:1], 0x8
	v_bfe_u32 v14, v0, 10, 10
	v_and_b32_e32 v15, 0x3ff, v0
	s_mov_b32 s12, 0
	s_delay_alu instid0(VALU_DEP_2) | instskip(NEXT) | instid1(VALU_DEP_2)
	v_lshl_add_u32 v13, s14, 4, v14
	v_lshl_add_u32 v0, s13, 4, v15
	s_waitcnt lgkmcnt(0)
	s_delay_alu instid0(VALU_DEP_2)
	v_cmp_gt_i32_e32 vcc_lo, s16, v13
	s_cmp_lt_i32 s17, 1
	s_cbranch_scc1 .LBB131_7
; %bb.1:
	s_clause 0x3
	s_load_b32 s3, s[0:1], 0x30
	s_load_b64 s[18:19], s[0:1], 0x38
	s_load_b32 s13, s[0:1], 0x18
	s_load_b128 s[8:11], s[0:1], 0x20
	v_lshlrev_b32_e32 v1, 7, v14
	v_lshlrev_b32_e32 v16, 3, v15
	v_cmp_gt_i32_e64 s2, s16, v0
	s_delay_alu instid0(VALU_DEP_3) | instskip(NEXT) | instid1(VALU_DEP_3)
	v_add_nc_u32_e32 v17, 0x800, v1
	v_add_nc_u32_e32 v18, v16, v1
	s_waitcnt lgkmcnt(0)
	v_mad_i64_i32 v[1:2], null, s3, v13, 0
	v_mad_i64_i32 v[3:4], null, s13, v0, 0
	s_mul_i32 s3, s19, s15
	s_mul_hi_u32 s14, s18, s15
	s_mul_i32 s18, s18, s15
	s_add_i32 s19, s14, s3
	s_delay_alu instid0(VALU_DEP_2)
	v_lshlrev_b64 v[1:2], 3, v[1:2]
	s_mul_i32 s9, s9, s15
	s_mul_hi_u32 s13, s8, s15
	v_lshlrev_b64 v[3:4], 3, v[3:4]
	s_lshl_b64 s[18:19], s[18:19], 3
	s_mul_i32 s8, s8, s15
	s_add_i32 s9, s13, s9
	v_add_co_u32 v1, s3, v1, s18
	s_lshl_b64 s[8:9], s[8:9], 3
	v_add_co_ci_u32_e64 v2, s3, s19, v2, s3
	v_add_co_u32 v3, s3, v3, s8
	s_delay_alu instid0(VALU_DEP_1) | instskip(SKIP_1) | instid1(VALU_DEP_1)
	v_add_co_ci_u32_e64 v4, s3, s9, v4, s3
	v_add_co_u32 v6, s3, v1, v16
	v_add_co_ci_u32_e64 v7, s3, 0, v2, s3
	v_mov_b32_e32 v1, 0
	v_dual_mov_b32 v2, 0 :: v_dual_lshlrev_b32 v5, 3, v14
	v_add_nc_u32_e32 v19, v17, v16
	s_delay_alu instid0(VALU_DEP_2) | instskip(NEXT) | instid1(VALU_DEP_1)
	v_add_co_u32 v5, s3, v3, v5
	v_add_co_ci_u32_e64 v8, s3, 0, v4, s3
	v_add_co_u32 v3, s3, s10, v6
	s_delay_alu instid0(VALU_DEP_1) | instskip(NEXT) | instid1(VALU_DEP_4)
	v_add_co_ci_u32_e64 v4, s3, s11, v7, s3
	v_add_co_u32 v5, s3, s6, v5
	s_delay_alu instid0(VALU_DEP_1)
	v_add_co_ci_u32_e64 v6, s3, s7, v8, s3
	v_dual_mov_b32 v8, v2 :: v_dual_mov_b32 v7, v1
	s_branch .LBB131_3
.LBB131_2:                              ;   in Loop: Header=BB131_3 Depth=1
	s_or_b32 exec_lo, exec_lo, s3
	s_waitcnt vmcnt(0)
	ds_store_b64 v19, v[11:12]
	s_waitcnt lgkmcnt(0)
	s_barrier
	buffer_gl0_inv
	ds_load_2addr_b64 v[9:12], v16 offset1:16
	ds_load_b128 v[20:23], v17
	ds_load_b128 v[24:27], v17 offset:16
	v_add_co_u32 v3, s3, 0x80, v3
	s_delay_alu instid0(VALU_DEP_1) | instskip(SKIP_1) | instid1(VALU_DEP_1)
	v_add_co_ci_u32_e64 v4, s3, 0, v4, s3
	v_add_co_u32 v5, s3, 0x80, v5
	v_add_co_ci_u32_e64 v6, s3, 0, v6, s3
	s_add_i32 s12, s12, 16
	s_delay_alu instid0(SALU_CYCLE_1) | instskip(SKIP_2) | instid1(VALU_DEP_1)
	s_cmp_ge_i32 s12, s17
	s_waitcnt lgkmcnt(1)
	v_fma_f64 v[7:8], v[9:10], v[20:21], v[7:8]
	v_fma_f64 v[11:12], v[11:12], v[22:23], v[7:8]
	ds_load_2addr_b64 v[7:10], v16 offset0:32 offset1:48
	s_waitcnt lgkmcnt(0)
	v_fma_f64 v[7:8], v[7:8], v[24:25], v[11:12]
	s_delay_alu instid0(VALU_DEP_1)
	v_fma_f64 v[11:12], v[9:10], v[26:27], v[7:8]
	ds_load_2addr_b64 v[7:10], v16 offset0:64 offset1:80
	ds_load_b128 v[20:23], v17 offset:32
	ds_load_b128 v[24:27], v17 offset:48
	s_waitcnt lgkmcnt(1)
	v_fma_f64 v[7:8], v[7:8], v[20:21], v[11:12]
	s_delay_alu instid0(VALU_DEP_1) | instskip(SKIP_3) | instid1(VALU_DEP_1)
	v_fma_f64 v[11:12], v[9:10], v[22:23], v[7:8]
	ds_load_2addr_b64 v[7:10], v16 offset0:96 offset1:112
	s_waitcnt lgkmcnt(0)
	v_fma_f64 v[7:8], v[7:8], v[24:25], v[11:12]
	v_fma_f64 v[11:12], v[9:10], v[26:27], v[7:8]
	ds_load_2addr_b64 v[7:10], v16 offset0:128 offset1:144
	ds_load_b128 v[20:23], v17 offset:64
	ds_load_b128 v[24:27], v17 offset:80
	s_waitcnt lgkmcnt(1)
	v_fma_f64 v[7:8], v[7:8], v[20:21], v[11:12]
	s_delay_alu instid0(VALU_DEP_1) | instskip(SKIP_3) | instid1(VALU_DEP_1)
	v_fma_f64 v[11:12], v[9:10], v[22:23], v[7:8]
	ds_load_2addr_b64 v[7:10], v16 offset0:160 offset1:176
	s_waitcnt lgkmcnt(0)
	v_fma_f64 v[7:8], v[7:8], v[24:25], v[11:12]
	v_fma_f64 v[11:12], v[9:10], v[26:27], v[7:8]
	ds_load_2addr_b64 v[7:10], v16 offset0:192 offset1:208
	ds_load_b128 v[20:23], v17 offset:96
	ds_load_b128 v[24:27], v17 offset:112
	s_waitcnt lgkmcnt(1)
	v_fma_f64 v[7:8], v[7:8], v[20:21], v[11:12]
	s_delay_alu instid0(VALU_DEP_1)
	v_fma_f64 v[11:12], v[9:10], v[22:23], v[7:8]
	ds_load_2addr_b64 v[7:10], v16 offset0:224 offset1:240
	s_waitcnt lgkmcnt(0)
	s_barrier
	buffer_gl0_inv
	v_fma_f64 v[7:8], v[7:8], v[24:25], v[11:12]
	s_delay_alu instid0(VALU_DEP_1)
	v_fma_f64 v[7:8], v[9:10], v[26:27], v[7:8]
	s_cbranch_scc1 .LBB131_8
.LBB131_3:                              ; =>This Inner Loop Header: Depth=1
	v_add_nc_u32_e32 v9, s12, v14
	s_delay_alu instid0(VALU_DEP_1) | instskip(SKIP_1) | instid1(VALU_DEP_2)
	v_cmp_gt_i32_e64 s3, s17, v9
	v_dual_mov_b32 v10, v2 :: v_dual_mov_b32 v9, v1
	s_and_b32 s6, s2, s3
	s_delay_alu instid0(SALU_CYCLE_1)
	s_and_saveexec_b32 s3, s6
	s_cbranch_execz .LBB131_5
; %bb.4:                                ;   in Loop: Header=BB131_3 Depth=1
	global_load_b64 v[9:10], v[5:6], off
.LBB131_5:                              ;   in Loop: Header=BB131_3 Depth=1
	s_or_b32 exec_lo, exec_lo, s3
	v_add_nc_u32_e32 v11, s12, v15
	s_waitcnt vmcnt(0)
	ds_store_b64 v18, v[9:10]
	v_cmp_gt_i32_e64 s3, s17, v11
	v_mov_b32_e32 v11, 0
	v_mov_b32_e32 v12, 0
	s_delay_alu instid0(VALU_DEP_3) | instskip(NEXT) | instid1(SALU_CYCLE_1)
	s_and_b32 s6, vcc_lo, s3
	s_and_saveexec_b32 s3, s6
	s_cbranch_execz .LBB131_2
; %bb.6:                                ;   in Loop: Header=BB131_3 Depth=1
	global_load_b64 v[11:12], v[3:4], off
	s_branch .LBB131_2
.LBB131_7:
	v_mov_b32_e32 v7, 0
	v_mov_b32_e32 v8, 0
.LBB131_8:
	v_cmp_le_i32_e32 vcc_lo, v0, v13
	v_cmp_gt_i32_e64 s2, s16, v13
	s_delay_alu instid0(VALU_DEP_1) | instskip(NEXT) | instid1(SALU_CYCLE_1)
	s_and_b32 s2, vcc_lo, s2
	s_and_saveexec_b32 s3, s2
	s_cbranch_execz .LBB131_10
; %bb.9:
	s_clause 0x1
	s_load_b32 s6, s[0:1], 0x50
	s_load_b64 s[2:3], s[0:1], 0x58
	s_delay_alu instid0(VALU_DEP_3) | instskip(SKIP_2) | instid1(VALU_DEP_1)
	v_mul_f64 v[2:3], v[7:8], s[4:5]
	s_load_b64 s[0:1], s[0:1], 0x48
	v_ashrrev_i32_e32 v1, 31, v0
	v_lshlrev_b64 v[0:1], 3, v[0:1]
	s_waitcnt lgkmcnt(0)
	v_mad_i64_i32 v[4:5], null, s6, v13, 0
	s_mul_i32 s3, s15, s3
	s_mul_hi_u32 s4, s15, s2
	s_mul_i32 s2, s15, s2
	s_add_i32 s3, s4, s3
	s_delay_alu instid0(SALU_CYCLE_1) | instskip(NEXT) | instid1(VALU_DEP_1)
	s_lshl_b64 s[2:3], s[2:3], 3
	v_lshlrev_b64 v[4:5], 3, v[4:5]
	s_add_u32 s0, s0, s2
	s_addc_u32 s1, s1, s3
	s_delay_alu instid0(VALU_DEP_1) | instskip(NEXT) | instid1(VALU_DEP_2)
	v_add_co_u32 v4, vcc_lo, s0, v4
	v_add_co_ci_u32_e32 v5, vcc_lo, s1, v5, vcc_lo
	s_delay_alu instid0(VALU_DEP_2) | instskip(NEXT) | instid1(VALU_DEP_2)
	v_add_co_u32 v0, vcc_lo, v4, v0
	v_add_co_ci_u32_e32 v1, vcc_lo, v5, v1, vcc_lo
	global_store_b64 v[0:1], v[2:3], off
.LBB131_10:
	s_nop 0
	s_sendmsg sendmsg(MSG_DEALLOC_VGPRS)
	s_endpgm
	.section	.rodata,"a",@progbits
	.p2align	6, 0x0
	.amdhsa_kernel _ZL32rocblas_syrkx_herkx_small_kernelIidLi16ELb1ELb0ELc67ELc85EKddEviT_T0_PT6_S1_lS4_S1_lS2_PT7_S1_li
		.amdhsa_group_segment_fixed_size 4096
		.amdhsa_private_segment_fixed_size 0
		.amdhsa_kernarg_size 100
		.amdhsa_user_sgpr_count 13
		.amdhsa_user_sgpr_dispatch_ptr 0
		.amdhsa_user_sgpr_queue_ptr 0
		.amdhsa_user_sgpr_kernarg_segment_ptr 1
		.amdhsa_user_sgpr_dispatch_id 0
		.amdhsa_user_sgpr_private_segment_size 0
		.amdhsa_wavefront_size32 1
		.amdhsa_uses_dynamic_stack 0
		.amdhsa_enable_private_segment 0
		.amdhsa_system_sgpr_workgroup_id_x 1
		.amdhsa_system_sgpr_workgroup_id_y 1
		.amdhsa_system_sgpr_workgroup_id_z 1
		.amdhsa_system_sgpr_workgroup_info 0
		.amdhsa_system_vgpr_workitem_id 1
		.amdhsa_next_free_vgpr 28
		.amdhsa_next_free_sgpr 20
		.amdhsa_reserve_vcc 1
		.amdhsa_float_round_mode_32 0
		.amdhsa_float_round_mode_16_64 0
		.amdhsa_float_denorm_mode_32 3
		.amdhsa_float_denorm_mode_16_64 3
		.amdhsa_dx10_clamp 1
		.amdhsa_ieee_mode 1
		.amdhsa_fp16_overflow 0
		.amdhsa_workgroup_processor_mode 1
		.amdhsa_memory_ordered 1
		.amdhsa_forward_progress 0
		.amdhsa_shared_vgpr_count 0
		.amdhsa_exception_fp_ieee_invalid_op 0
		.amdhsa_exception_fp_denorm_src 0
		.amdhsa_exception_fp_ieee_div_zero 0
		.amdhsa_exception_fp_ieee_overflow 0
		.amdhsa_exception_fp_ieee_underflow 0
		.amdhsa_exception_fp_ieee_inexact 0
		.amdhsa_exception_int_div_zero 0
	.end_amdhsa_kernel
	.section	.text._ZL32rocblas_syrkx_herkx_small_kernelIidLi16ELb1ELb0ELc67ELc85EKddEviT_T0_PT6_S1_lS4_S1_lS2_PT7_S1_li,"axG",@progbits,_ZL32rocblas_syrkx_herkx_small_kernelIidLi16ELb1ELb0ELc67ELc85EKddEviT_T0_PT6_S1_lS4_S1_lS2_PT7_S1_li,comdat
.Lfunc_end131:
	.size	_ZL32rocblas_syrkx_herkx_small_kernelIidLi16ELb1ELb0ELc67ELc85EKddEviT_T0_PT6_S1_lS4_S1_lS2_PT7_S1_li, .Lfunc_end131-_ZL32rocblas_syrkx_herkx_small_kernelIidLi16ELb1ELb0ELc67ELc85EKddEviT_T0_PT6_S1_lS4_S1_lS2_PT7_S1_li
                                        ; -- End function
	.section	.AMDGPU.csdata,"",@progbits
; Kernel info:
; codeLenInByte = 1084
; NumSgprs: 22
; NumVgprs: 28
; ScratchSize: 0
; MemoryBound: 0
; FloatMode: 240
; IeeeMode: 1
; LDSByteSize: 4096 bytes/workgroup (compile time only)
; SGPRBlocks: 2
; VGPRBlocks: 3
; NumSGPRsForWavesPerEU: 22
; NumVGPRsForWavesPerEU: 28
; Occupancy: 16
; WaveLimiterHint : 0
; COMPUTE_PGM_RSRC2:SCRATCH_EN: 0
; COMPUTE_PGM_RSRC2:USER_SGPR: 13
; COMPUTE_PGM_RSRC2:TRAP_HANDLER: 0
; COMPUTE_PGM_RSRC2:TGID_X_EN: 1
; COMPUTE_PGM_RSRC2:TGID_Y_EN: 1
; COMPUTE_PGM_RSRC2:TGID_Z_EN: 1
; COMPUTE_PGM_RSRC2:TIDIG_COMP_CNT: 1
	.section	.text._ZL32rocblas_syrkx_herkx_small_kernelIidLi16ELb1ELb0ELc78ELc85EKddEviT_T0_PT6_S1_lS4_S1_lS2_PT7_S1_li,"axG",@progbits,_ZL32rocblas_syrkx_herkx_small_kernelIidLi16ELb1ELb0ELc78ELc85EKddEviT_T0_PT6_S1_lS4_S1_lS2_PT7_S1_li,comdat
	.globl	_ZL32rocblas_syrkx_herkx_small_kernelIidLi16ELb1ELb0ELc78ELc85EKddEviT_T0_PT6_S1_lS4_S1_lS2_PT7_S1_li ; -- Begin function _ZL32rocblas_syrkx_herkx_small_kernelIidLi16ELb1ELb0ELc78ELc85EKddEviT_T0_PT6_S1_lS4_S1_lS2_PT7_S1_li
	.p2align	8
	.type	_ZL32rocblas_syrkx_herkx_small_kernelIidLi16ELb1ELb0ELc78ELc85EKddEviT_T0_PT6_S1_lS4_S1_lS2_PT7_S1_li,@function
_ZL32rocblas_syrkx_herkx_small_kernelIidLi16ELb1ELb0ELc78ELc85EKddEviT_T0_PT6_S1_lS4_S1_lS2_PT7_S1_li: ; @_ZL32rocblas_syrkx_herkx_small_kernelIidLi16ELb1ELb0ELc78ELc85EKddEviT_T0_PT6_S1_lS4_S1_lS2_PT7_S1_li
; %bb.0:
	s_clause 0x1
	s_load_b64 s[16:17], s[0:1], 0x0
	s_load_b128 s[4:7], s[0:1], 0x8
	v_and_b32_e32 v15, 0x3ff, v0
	v_bfe_u32 v16, v0, 10, 10
	s_mov_b32 s12, 0
	s_delay_alu instid0(VALU_DEP_2) | instskip(NEXT) | instid1(VALU_DEP_2)
	v_lshl_add_u32 v0, s13, 4, v15
	v_lshl_add_u32 v2, s14, 4, v16
	s_delay_alu instid0(VALU_DEP_2) | instskip(SKIP_1) | instid1(VALU_DEP_2)
	v_ashrrev_i32_e32 v1, 31, v0
	s_waitcnt lgkmcnt(0)
	v_cmp_gt_i32_e32 vcc_lo, s16, v2
	s_cmp_lt_i32 s17, 1
	s_cbranch_scc1 .LBB132_7
; %bb.1:
	s_clause 0x3
	s_load_b32 s18, s[0:1], 0x30
	s_load_b64 s[20:21], s[0:1], 0x38
	s_load_b128 s[8:11], s[0:1], 0x20
	s_load_b32 s22, s[0:1], 0x18
	v_lshlrev_b32_e32 v6, 7, v16
	v_lshlrev_b32_e32 v17, 3, v15
	v_ashrrev_i32_e32 v3, 31, v2
	v_lshlrev_b64 v[4:5], 3, v[0:1]
	v_cmp_gt_i32_e64 s2, s16, v0
	v_add_nc_u32_e32 v18, 0x800, v6
	v_add_nc_u32_e32 v19, v17, v6
	v_lshlrev_b64 v[6:7], 3, v[2:3]
	s_waitcnt lgkmcnt(0)
	v_mad_i64_i32 v[8:9], null, s18, v15, 0
	s_mul_i32 s3, s21, s15
	v_mad_i64_i32 v[10:11], null, s22, v16, 0
	s_mul_hi_u32 s13, s20, s15
	s_mul_i32 s20, s20, s15
	s_add_i32 s21, s13, s3
	s_delay_alu instid0(VALU_DEP_2) | instskip(SKIP_2) | instid1(VALU_DEP_2)
	v_lshlrev_b64 v[8:9], 3, v[8:9]
	s_mul_i32 s9, s9, s15
	s_mul_hi_u32 s14, s8, s15
	v_lshlrev_b64 v[10:11], 3, v[10:11]
	s_lshl_b64 s[20:21], s[20:21], 3
	s_mul_i32 s8, s8, s15
	s_add_i32 s9, s14, s9
	v_add_co_u32 v3, s3, s20, v8
	s_lshl_b64 s[8:9], s[8:9], 3
	v_add_co_ci_u32_e64 v8, s3, s21, v9, s3
	v_add_co_u32 v9, s3, s8, v10
	s_delay_alu instid0(VALU_DEP_1) | instskip(SKIP_1) | instid1(VALU_DEP_1)
	v_add_co_ci_u32_e64 v10, s3, s9, v11, s3
	v_add_co_u32 v6, s3, v3, v6
	v_add_co_ci_u32_e64 v7, s3, v8, v7, s3
	s_delay_alu instid0(VALU_DEP_4) | instskip(NEXT) | instid1(VALU_DEP_1)
	v_add_co_u32 v8, s3, v9, v4
	v_add_co_ci_u32_e64 v9, s3, v10, v5, s3
	v_mov_b32_e32 v3, 0
	v_mov_b32_e32 v4, 0
	v_add_co_u32 v5, s3, s10, v6
	s_delay_alu instid0(VALU_DEP_1) | instskip(SKIP_1) | instid1(VALU_DEP_1)
	v_add_co_ci_u32_e64 v6, s3, s11, v7, s3
	v_add_co_u32 v7, s3, s6, v8
	v_add_co_ci_u32_e64 v8, s3, s7, v9, s3
	v_dual_mov_b32 v10, v4 :: v_dual_mov_b32 v9, v3
	v_add_nc_u32_e32 v20, v18, v17
	s_ashr_i32 s19, s18, 31
	s_ashr_i32 s23, s22, 31
	s_lshl_b64 s[6:7], s[18:19], 7
	s_lshl_b64 s[8:9], s[22:23], 7
	s_branch .LBB132_3
.LBB132_2:                              ;   in Loop: Header=BB132_3 Depth=1
	s_or_b32 exec_lo, exec_lo, s3
	s_waitcnt vmcnt(0)
	ds_store_b64 v20, v[13:14]
	s_waitcnt lgkmcnt(0)
	s_barrier
	buffer_gl0_inv
	ds_load_2addr_b64 v[11:14], v17 offset1:16
	ds_load_b128 v[21:24], v18
	ds_load_b128 v[25:28], v18 offset:16
	v_add_co_u32 v5, s3, v5, s6
	s_delay_alu instid0(VALU_DEP_1) | instskip(SKIP_1) | instid1(VALU_DEP_1)
	v_add_co_ci_u32_e64 v6, s3, s7, v6, s3
	v_add_co_u32 v7, s3, v7, s8
	v_add_co_ci_u32_e64 v8, s3, s9, v8, s3
	s_add_i32 s12, s12, 16
	s_delay_alu instid0(SALU_CYCLE_1) | instskip(SKIP_2) | instid1(VALU_DEP_1)
	s_cmp_ge_i32 s12, s17
	s_waitcnt lgkmcnt(1)
	v_fma_f64 v[9:10], v[11:12], v[21:22], v[9:10]
	v_fma_f64 v[13:14], v[13:14], v[23:24], v[9:10]
	ds_load_2addr_b64 v[9:12], v17 offset0:32 offset1:48
	s_waitcnt lgkmcnt(0)
	v_fma_f64 v[9:10], v[9:10], v[25:26], v[13:14]
	s_delay_alu instid0(VALU_DEP_1)
	v_fma_f64 v[13:14], v[11:12], v[27:28], v[9:10]
	ds_load_2addr_b64 v[9:12], v17 offset0:64 offset1:80
	ds_load_b128 v[21:24], v18 offset:32
	ds_load_b128 v[25:28], v18 offset:48
	s_waitcnt lgkmcnt(1)
	v_fma_f64 v[9:10], v[9:10], v[21:22], v[13:14]
	s_delay_alu instid0(VALU_DEP_1) | instskip(SKIP_3) | instid1(VALU_DEP_1)
	v_fma_f64 v[13:14], v[11:12], v[23:24], v[9:10]
	ds_load_2addr_b64 v[9:12], v17 offset0:96 offset1:112
	s_waitcnt lgkmcnt(0)
	v_fma_f64 v[9:10], v[9:10], v[25:26], v[13:14]
	v_fma_f64 v[13:14], v[11:12], v[27:28], v[9:10]
	ds_load_2addr_b64 v[9:12], v17 offset0:128 offset1:144
	ds_load_b128 v[21:24], v18 offset:64
	ds_load_b128 v[25:28], v18 offset:80
	s_waitcnt lgkmcnt(1)
	v_fma_f64 v[9:10], v[9:10], v[21:22], v[13:14]
	s_delay_alu instid0(VALU_DEP_1) | instskip(SKIP_3) | instid1(VALU_DEP_1)
	v_fma_f64 v[13:14], v[11:12], v[23:24], v[9:10]
	ds_load_2addr_b64 v[9:12], v17 offset0:160 offset1:176
	s_waitcnt lgkmcnt(0)
	v_fma_f64 v[9:10], v[9:10], v[25:26], v[13:14]
	v_fma_f64 v[13:14], v[11:12], v[27:28], v[9:10]
	ds_load_2addr_b64 v[9:12], v17 offset0:192 offset1:208
	ds_load_b128 v[21:24], v18 offset:96
	ds_load_b128 v[25:28], v18 offset:112
	s_waitcnt lgkmcnt(1)
	v_fma_f64 v[9:10], v[9:10], v[21:22], v[13:14]
	s_delay_alu instid0(VALU_DEP_1)
	v_fma_f64 v[13:14], v[11:12], v[23:24], v[9:10]
	ds_load_2addr_b64 v[9:12], v17 offset0:224 offset1:240
	s_waitcnt lgkmcnt(0)
	s_barrier
	buffer_gl0_inv
	v_fma_f64 v[9:10], v[9:10], v[25:26], v[13:14]
	s_delay_alu instid0(VALU_DEP_1)
	v_fma_f64 v[9:10], v[11:12], v[27:28], v[9:10]
	s_cbranch_scc1 .LBB132_8
.LBB132_3:                              ; =>This Inner Loop Header: Depth=1
	v_add_nc_u32_e32 v11, s12, v16
	s_delay_alu instid0(VALU_DEP_1) | instskip(SKIP_1) | instid1(VALU_DEP_2)
	v_cmp_gt_i32_e64 s3, s17, v11
	v_dual_mov_b32 v12, v4 :: v_dual_mov_b32 v11, v3
	s_and_b32 s10, s2, s3
	s_delay_alu instid0(SALU_CYCLE_1)
	s_and_saveexec_b32 s3, s10
	s_cbranch_execz .LBB132_5
; %bb.4:                                ;   in Loop: Header=BB132_3 Depth=1
	global_load_b64 v[11:12], v[7:8], off
.LBB132_5:                              ;   in Loop: Header=BB132_3 Depth=1
	s_or_b32 exec_lo, exec_lo, s3
	v_add_nc_u32_e32 v13, s12, v15
	s_waitcnt vmcnt(0)
	ds_store_b64 v19, v[11:12]
	v_cmp_gt_i32_e64 s3, s17, v13
	v_mov_b32_e32 v13, 0
	v_mov_b32_e32 v14, 0
	s_delay_alu instid0(VALU_DEP_3) | instskip(NEXT) | instid1(SALU_CYCLE_1)
	s_and_b32 s10, vcc_lo, s3
	s_and_saveexec_b32 s3, s10
	s_cbranch_execz .LBB132_2
; %bb.6:                                ;   in Loop: Header=BB132_3 Depth=1
	global_load_b64 v[13:14], v[5:6], off
	s_branch .LBB132_2
.LBB132_7:
	v_mov_b32_e32 v9, 0
	v_mov_b32_e32 v10, 0
.LBB132_8:
	v_cmp_le_i32_e32 vcc_lo, v0, v2
	v_cmp_gt_i32_e64 s2, s16, v2
	s_delay_alu instid0(VALU_DEP_1) | instskip(NEXT) | instid1(SALU_CYCLE_1)
	s_and_b32 s2, vcc_lo, s2
	s_and_saveexec_b32 s3, s2
	s_cbranch_execz .LBB132_10
; %bb.9:
	s_clause 0x1
	s_load_b32 s6, s[0:1], 0x50
	s_load_b64 s[2:3], s[0:1], 0x58
	s_delay_alu instid0(VALU_DEP_3)
	v_mul_f64 v[3:4], v[9:10], s[4:5]
	s_load_b64 s[0:1], s[0:1], 0x48
	v_lshlrev_b64 v[0:1], 3, v[0:1]
	s_waitcnt lgkmcnt(0)
	v_mad_i64_i32 v[5:6], null, s6, v2, 0
	s_mul_i32 s3, s15, s3
	s_mul_hi_u32 s4, s15, s2
	s_mul_i32 s2, s15, s2
	s_add_i32 s3, s4, s3
	s_delay_alu instid0(SALU_CYCLE_1) | instskip(NEXT) | instid1(VALU_DEP_1)
	s_lshl_b64 s[2:3], s[2:3], 3
	v_lshlrev_b64 v[5:6], 3, v[5:6]
	s_add_u32 s0, s0, s2
	s_addc_u32 s1, s1, s3
	s_delay_alu instid0(VALU_DEP_1) | instskip(NEXT) | instid1(VALU_DEP_2)
	v_add_co_u32 v2, vcc_lo, s0, v5
	v_add_co_ci_u32_e32 v5, vcc_lo, s1, v6, vcc_lo
	s_delay_alu instid0(VALU_DEP_2) | instskip(NEXT) | instid1(VALU_DEP_2)
	v_add_co_u32 v0, vcc_lo, v2, v0
	v_add_co_ci_u32_e32 v1, vcc_lo, v5, v1, vcc_lo
	global_store_b64 v[0:1], v[3:4], off
.LBB132_10:
	s_nop 0
	s_sendmsg sendmsg(MSG_DEALLOC_VGPRS)
	s_endpgm
	.section	.rodata,"a",@progbits
	.p2align	6, 0x0
	.amdhsa_kernel _ZL32rocblas_syrkx_herkx_small_kernelIidLi16ELb1ELb0ELc78ELc85EKddEviT_T0_PT6_S1_lS4_S1_lS2_PT7_S1_li
		.amdhsa_group_segment_fixed_size 4096
		.amdhsa_private_segment_fixed_size 0
		.amdhsa_kernarg_size 100
		.amdhsa_user_sgpr_count 13
		.amdhsa_user_sgpr_dispatch_ptr 0
		.amdhsa_user_sgpr_queue_ptr 0
		.amdhsa_user_sgpr_kernarg_segment_ptr 1
		.amdhsa_user_sgpr_dispatch_id 0
		.amdhsa_user_sgpr_private_segment_size 0
		.amdhsa_wavefront_size32 1
		.amdhsa_uses_dynamic_stack 0
		.amdhsa_enable_private_segment 0
		.amdhsa_system_sgpr_workgroup_id_x 1
		.amdhsa_system_sgpr_workgroup_id_y 1
		.amdhsa_system_sgpr_workgroup_id_z 1
		.amdhsa_system_sgpr_workgroup_info 0
		.amdhsa_system_vgpr_workitem_id 1
		.amdhsa_next_free_vgpr 29
		.amdhsa_next_free_sgpr 24
		.amdhsa_reserve_vcc 1
		.amdhsa_float_round_mode_32 0
		.amdhsa_float_round_mode_16_64 0
		.amdhsa_float_denorm_mode_32 3
		.amdhsa_float_denorm_mode_16_64 3
		.amdhsa_dx10_clamp 1
		.amdhsa_ieee_mode 1
		.amdhsa_fp16_overflow 0
		.amdhsa_workgroup_processor_mode 1
		.amdhsa_memory_ordered 1
		.amdhsa_forward_progress 0
		.amdhsa_shared_vgpr_count 0
		.amdhsa_exception_fp_ieee_invalid_op 0
		.amdhsa_exception_fp_denorm_src 0
		.amdhsa_exception_fp_ieee_div_zero 0
		.amdhsa_exception_fp_ieee_overflow 0
		.amdhsa_exception_fp_ieee_underflow 0
		.amdhsa_exception_fp_ieee_inexact 0
		.amdhsa_exception_int_div_zero 0
	.end_amdhsa_kernel
	.section	.text._ZL32rocblas_syrkx_herkx_small_kernelIidLi16ELb1ELb0ELc78ELc85EKddEviT_T0_PT6_S1_lS4_S1_lS2_PT7_S1_li,"axG",@progbits,_ZL32rocblas_syrkx_herkx_small_kernelIidLi16ELb1ELb0ELc78ELc85EKddEviT_T0_PT6_S1_lS4_S1_lS2_PT7_S1_li,comdat
.Lfunc_end132:
	.size	_ZL32rocblas_syrkx_herkx_small_kernelIidLi16ELb1ELb0ELc78ELc85EKddEviT_T0_PT6_S1_lS4_S1_lS2_PT7_S1_li, .Lfunc_end132-_ZL32rocblas_syrkx_herkx_small_kernelIidLi16ELb1ELb0ELc78ELc85EKddEviT_T0_PT6_S1_lS4_S1_lS2_PT7_S1_li
                                        ; -- End function
	.section	.AMDGPU.csdata,"",@progbits
; Kernel info:
; codeLenInByte = 1100
; NumSgprs: 26
; NumVgprs: 29
; ScratchSize: 0
; MemoryBound: 0
; FloatMode: 240
; IeeeMode: 1
; LDSByteSize: 4096 bytes/workgroup (compile time only)
; SGPRBlocks: 3
; VGPRBlocks: 3
; NumSGPRsForWavesPerEU: 26
; NumVGPRsForWavesPerEU: 29
; Occupancy: 16
; WaveLimiterHint : 0
; COMPUTE_PGM_RSRC2:SCRATCH_EN: 0
; COMPUTE_PGM_RSRC2:USER_SGPR: 13
; COMPUTE_PGM_RSRC2:TRAP_HANDLER: 0
; COMPUTE_PGM_RSRC2:TGID_X_EN: 1
; COMPUTE_PGM_RSRC2:TGID_Y_EN: 1
; COMPUTE_PGM_RSRC2:TGID_Z_EN: 1
; COMPUTE_PGM_RSRC2:TIDIG_COMP_CNT: 1
	.section	.text._ZL32rocblas_syrkx_herkx_small_kernelIidLi16ELb0ELb0ELc84ELc76EKddEviT_T0_PT6_S1_lS4_S1_lS2_PT7_S1_li,"axG",@progbits,_ZL32rocblas_syrkx_herkx_small_kernelIidLi16ELb0ELb0ELc84ELc76EKddEviT_T0_PT6_S1_lS4_S1_lS2_PT7_S1_li,comdat
	.globl	_ZL32rocblas_syrkx_herkx_small_kernelIidLi16ELb0ELb0ELc84ELc76EKddEviT_T0_PT6_S1_lS4_S1_lS2_PT7_S1_li ; -- Begin function _ZL32rocblas_syrkx_herkx_small_kernelIidLi16ELb0ELb0ELc84ELc76EKddEviT_T0_PT6_S1_lS4_S1_lS2_PT7_S1_li
	.p2align	8
	.type	_ZL32rocblas_syrkx_herkx_small_kernelIidLi16ELb0ELb0ELc84ELc76EKddEviT_T0_PT6_S1_lS4_S1_lS2_PT7_S1_li,@function
_ZL32rocblas_syrkx_herkx_small_kernelIidLi16ELb0ELb0ELc84ELc76EKddEviT_T0_PT6_S1_lS4_S1_lS2_PT7_S1_li: ; @_ZL32rocblas_syrkx_herkx_small_kernelIidLi16ELb0ELb0ELc84ELc76EKddEviT_T0_PT6_S1_lS4_S1_lS2_PT7_S1_li
; %bb.0:
	s_clause 0x3
	s_load_b64 s[22:23], s[0:1], 0x0
	s_load_b128 s[4:7], s[0:1], 0x8
	s_load_b128 s[8:11], s[0:1], 0x38
	s_load_b64 s[20:21], s[0:1], 0x48
	v_and_b32_e32 v14, 0x3ff, v0
	v_bfe_u32 v15, v0, 10, 10
	s_mov_b32 s12, 0
	s_delay_alu instid0(VALU_DEP_2) | instskip(NEXT) | instid1(VALU_DEP_2)
	v_lshl_add_u32 v0, s13, 4, v14
	v_lshl_add_u32 v13, s14, 4, v15
	s_waitcnt lgkmcnt(0)
	s_delay_alu instid0(VALU_DEP_2)
	v_cmp_gt_i32_e32 vcc_lo, s22, v0
	s_cmp_lt_i32 s23, 1
	s_cbranch_scc1 .LBB133_7
; %bb.1:
	s_clause 0x2
	s_load_b32 s3, s[0:1], 0x30
	s_load_b32 s13, s[0:1], 0x18
	s_load_b128 s[16:19], s[0:1], 0x20
	v_lshlrev_b32_e32 v5, 7, v15
	v_dual_mov_b32 v1, 0 :: v_dual_lshlrev_b32 v16, 3, v14
	v_mov_b32_e32 v2, 0
	s_mul_i32 s9, s9, s15
	s_delay_alu instid0(VALU_DEP_3) | instskip(NEXT) | instid1(VALU_DEP_3)
	v_add_nc_u32_e32 v18, 0x800, v5
	v_add_nc_u32_e32 v17, v16, v5
	s_mul_hi_u32 s14, s8, s15
	s_mul_i32 s8, s8, s15
	s_add_i32 s9, s14, s9
	v_lshlrev_b32_e32 v7, 3, v15
	s_lshl_b64 s[8:9], s[8:9], 3
	v_cmp_gt_i32_e64 s2, s22, v13
	s_waitcnt lgkmcnt(0)
	v_mad_i64_i32 v[3:4], null, s3, v13, 0
	v_mad_i64_i32 v[5:6], null, s13, v0, 0
	s_mul_i32 s3, s17, s15
	s_mul_hi_u32 s13, s16, s15
	s_mul_i32 s16, s16, s15
	s_add_i32 s17, s13, s3
	s_delay_alu instid0(VALU_DEP_2) | instskip(SKIP_1) | instid1(VALU_DEP_2)
	v_lshlrev_b64 v[3:4], 3, v[3:4]
	s_lshl_b64 s[16:17], s[16:17], 3
	v_lshlrev_b64 v[5:6], 3, v[5:6]
	s_delay_alu instid0(VALU_DEP_2) | instskip(NEXT) | instid1(VALU_DEP_1)
	v_add_co_u32 v3, s3, v3, s8
	v_add_co_ci_u32_e64 v4, s3, s9, v4, s3
	s_delay_alu instid0(VALU_DEP_3) | instskip(NEXT) | instid1(VALU_DEP_1)
	v_add_co_u32 v5, s3, v5, s16
	v_add_co_ci_u32_e64 v6, s3, s17, v6, s3
	s_delay_alu instid0(VALU_DEP_4) | instskip(NEXT) | instid1(VALU_DEP_1)
	v_add_co_u32 v3, s3, v3, v16
	v_add_co_ci_u32_e64 v4, s3, 0, v4, s3
	s_delay_alu instid0(VALU_DEP_4) | instskip(SKIP_3) | instid1(VALU_DEP_1)
	v_add_co_u32 v5, s3, v5, v7
	v_mov_b32_e32 v8, v2
	v_add_co_ci_u32_e64 v6, s3, 0, v6, s3
	v_add_co_u32 v3, s3, s18, v3
	v_add_co_ci_u32_e64 v4, s3, s19, v4, s3
	v_add_co_u32 v5, s3, s6, v5
	s_delay_alu instid0(VALU_DEP_1)
	v_add_co_ci_u32_e64 v6, s3, s7, v6, s3
	v_mov_b32_e32 v7, v1
	v_add_nc_u32_e32 v19, v18, v16
	s_branch .LBB133_3
.LBB133_2:                              ;   in Loop: Header=BB133_3 Depth=1
	s_or_b32 exec_lo, exec_lo, s3
	s_waitcnt vmcnt(0)
	ds_store_b64 v19, v[11:12]
	s_waitcnt lgkmcnt(0)
	s_barrier
	buffer_gl0_inv
	ds_load_2addr_b64 v[9:12], v16 offset1:16
	ds_load_b128 v[20:23], v18
	ds_load_b128 v[24:27], v18 offset:16
	v_add_co_u32 v3, s3, 0x80, v3
	s_delay_alu instid0(VALU_DEP_1) | instskip(SKIP_1) | instid1(VALU_DEP_1)
	v_add_co_ci_u32_e64 v4, s3, 0, v4, s3
	v_add_co_u32 v5, s3, 0x80, v5
	v_add_co_ci_u32_e64 v6, s3, 0, v6, s3
	s_add_i32 s12, s12, 16
	s_delay_alu instid0(SALU_CYCLE_1) | instskip(SKIP_2) | instid1(VALU_DEP_1)
	s_cmp_ge_i32 s12, s23
	s_waitcnt lgkmcnt(1)
	v_fma_f64 v[7:8], v[9:10], v[20:21], v[7:8]
	v_fma_f64 v[11:12], v[11:12], v[22:23], v[7:8]
	ds_load_2addr_b64 v[7:10], v16 offset0:32 offset1:48
	s_waitcnt lgkmcnt(0)
	v_fma_f64 v[7:8], v[7:8], v[24:25], v[11:12]
	s_delay_alu instid0(VALU_DEP_1)
	v_fma_f64 v[11:12], v[9:10], v[26:27], v[7:8]
	ds_load_2addr_b64 v[7:10], v16 offset0:64 offset1:80
	ds_load_b128 v[20:23], v18 offset:32
	ds_load_b128 v[24:27], v18 offset:48
	s_waitcnt lgkmcnt(1)
	v_fma_f64 v[7:8], v[7:8], v[20:21], v[11:12]
	s_delay_alu instid0(VALU_DEP_1) | instskip(SKIP_3) | instid1(VALU_DEP_1)
	v_fma_f64 v[11:12], v[9:10], v[22:23], v[7:8]
	ds_load_2addr_b64 v[7:10], v16 offset0:96 offset1:112
	s_waitcnt lgkmcnt(0)
	v_fma_f64 v[7:8], v[7:8], v[24:25], v[11:12]
	v_fma_f64 v[11:12], v[9:10], v[26:27], v[7:8]
	ds_load_2addr_b64 v[7:10], v16 offset0:128 offset1:144
	ds_load_b128 v[20:23], v18 offset:64
	ds_load_b128 v[24:27], v18 offset:80
	s_waitcnt lgkmcnt(1)
	v_fma_f64 v[7:8], v[7:8], v[20:21], v[11:12]
	s_delay_alu instid0(VALU_DEP_1) | instskip(SKIP_3) | instid1(VALU_DEP_1)
	v_fma_f64 v[11:12], v[9:10], v[22:23], v[7:8]
	ds_load_2addr_b64 v[7:10], v16 offset0:160 offset1:176
	s_waitcnt lgkmcnt(0)
	v_fma_f64 v[7:8], v[7:8], v[24:25], v[11:12]
	v_fma_f64 v[11:12], v[9:10], v[26:27], v[7:8]
	ds_load_2addr_b64 v[7:10], v16 offset0:192 offset1:208
	ds_load_b128 v[20:23], v18 offset:96
	ds_load_b128 v[24:27], v18 offset:112
	s_waitcnt lgkmcnt(1)
	v_fma_f64 v[7:8], v[7:8], v[20:21], v[11:12]
	s_delay_alu instid0(VALU_DEP_1)
	v_fma_f64 v[11:12], v[9:10], v[22:23], v[7:8]
	ds_load_2addr_b64 v[7:10], v16 offset0:224 offset1:240
	s_waitcnt lgkmcnt(0)
	s_barrier
	buffer_gl0_inv
	v_fma_f64 v[7:8], v[7:8], v[24:25], v[11:12]
	s_delay_alu instid0(VALU_DEP_1)
	v_fma_f64 v[7:8], v[9:10], v[26:27], v[7:8]
	s_cbranch_scc1 .LBB133_8
.LBB133_3:                              ; =>This Inner Loop Header: Depth=1
	v_add_nc_u32_e32 v9, s12, v15
	s_delay_alu instid0(VALU_DEP_1) | instskip(SKIP_1) | instid1(VALU_DEP_2)
	v_cmp_gt_i32_e64 s3, s23, v9
	v_dual_mov_b32 v10, v2 :: v_dual_mov_b32 v9, v1
	s_and_b32 s6, vcc_lo, s3
	s_delay_alu instid0(SALU_CYCLE_1)
	s_and_saveexec_b32 s3, s6
	s_cbranch_execz .LBB133_5
; %bb.4:                                ;   in Loop: Header=BB133_3 Depth=1
	global_load_b64 v[9:10], v[5:6], off
.LBB133_5:                              ;   in Loop: Header=BB133_3 Depth=1
	s_or_b32 exec_lo, exec_lo, s3
	v_add_nc_u32_e32 v11, s12, v14
	s_waitcnt vmcnt(0)
	ds_store_b64 v17, v[9:10]
	v_cmp_gt_i32_e64 s3, s23, v11
	v_mov_b32_e32 v11, 0
	v_mov_b32_e32 v12, 0
	s_delay_alu instid0(VALU_DEP_3) | instskip(NEXT) | instid1(SALU_CYCLE_1)
	s_and_b32 s6, s2, s3
	s_and_saveexec_b32 s3, s6
	s_cbranch_execz .LBB133_2
; %bb.6:                                ;   in Loop: Header=BB133_3 Depth=1
	global_load_b64 v[11:12], v[3:4], off
	s_branch .LBB133_2
.LBB133_7:
	v_mov_b32_e32 v7, 0
	v_mov_b32_e32 v8, 0
.LBB133_8:
	v_cmp_le_i32_e32 vcc_lo, v13, v0
	v_cmp_gt_i32_e64 s2, s22, v0
	s_delay_alu instid0(VALU_DEP_1) | instskip(NEXT) | instid1(SALU_CYCLE_1)
	s_and_b32 s2, vcc_lo, s2
	s_and_saveexec_b32 s3, s2
	s_cbranch_execz .LBB133_10
; %bb.9:
	s_clause 0x1
	s_load_b32 s2, s[0:1], 0x50
	s_load_b64 s[0:1], s[0:1], 0x58
	v_ashrrev_i32_e32 v1, 31, v0
	s_delay_alu instid0(VALU_DEP_1)
	v_lshlrev_b64 v[0:1], 3, v[0:1]
	s_waitcnt lgkmcnt(0)
	v_mad_i64_i32 v[2:3], null, s2, v13, 0
	s_mul_i32 s1, s15, s1
	s_mul_hi_u32 s2, s15, s0
	s_mul_i32 s0, s15, s0
	s_add_i32 s1, s2, s1
	s_delay_alu instid0(SALU_CYCLE_1) | instskip(NEXT) | instid1(VALU_DEP_1)
	s_lshl_b64 s[0:1], s[0:1], 3
	v_lshlrev_b64 v[2:3], 3, v[2:3]
	s_add_u32 s0, s20, s0
	s_addc_u32 s1, s21, s1
	s_delay_alu instid0(VALU_DEP_1) | instskip(NEXT) | instid1(VALU_DEP_2)
	v_add_co_u32 v2, vcc_lo, s0, v2
	v_add_co_ci_u32_e32 v3, vcc_lo, s1, v3, vcc_lo
	s_delay_alu instid0(VALU_DEP_2) | instskip(NEXT) | instid1(VALU_DEP_2)
	v_add_co_u32 v0, vcc_lo, v2, v0
	v_add_co_ci_u32_e32 v1, vcc_lo, v3, v1, vcc_lo
	global_load_b64 v[2:3], v[0:1], off
	s_waitcnt vmcnt(0)
	v_mul_f64 v[2:3], v[2:3], s[10:11]
	s_delay_alu instid0(VALU_DEP_1)
	v_fma_f64 v[2:3], v[7:8], s[4:5], v[2:3]
	global_store_b64 v[0:1], v[2:3], off
.LBB133_10:
	s_nop 0
	s_sendmsg sendmsg(MSG_DEALLOC_VGPRS)
	s_endpgm
	.section	.rodata,"a",@progbits
	.p2align	6, 0x0
	.amdhsa_kernel _ZL32rocblas_syrkx_herkx_small_kernelIidLi16ELb0ELb0ELc84ELc76EKddEviT_T0_PT6_S1_lS4_S1_lS2_PT7_S1_li
		.amdhsa_group_segment_fixed_size 4096
		.amdhsa_private_segment_fixed_size 0
		.amdhsa_kernarg_size 100
		.amdhsa_user_sgpr_count 13
		.amdhsa_user_sgpr_dispatch_ptr 0
		.amdhsa_user_sgpr_queue_ptr 0
		.amdhsa_user_sgpr_kernarg_segment_ptr 1
		.amdhsa_user_sgpr_dispatch_id 0
		.amdhsa_user_sgpr_private_segment_size 0
		.amdhsa_wavefront_size32 1
		.amdhsa_uses_dynamic_stack 0
		.amdhsa_enable_private_segment 0
		.amdhsa_system_sgpr_workgroup_id_x 1
		.amdhsa_system_sgpr_workgroup_id_y 1
		.amdhsa_system_sgpr_workgroup_id_z 1
		.amdhsa_system_sgpr_workgroup_info 0
		.amdhsa_system_vgpr_workitem_id 1
		.amdhsa_next_free_vgpr 28
		.amdhsa_next_free_sgpr 24
		.amdhsa_reserve_vcc 1
		.amdhsa_float_round_mode_32 0
		.amdhsa_float_round_mode_16_64 0
		.amdhsa_float_denorm_mode_32 3
		.amdhsa_float_denorm_mode_16_64 3
		.amdhsa_dx10_clamp 1
		.amdhsa_ieee_mode 1
		.amdhsa_fp16_overflow 0
		.amdhsa_workgroup_processor_mode 1
		.amdhsa_memory_ordered 1
		.amdhsa_forward_progress 0
		.amdhsa_shared_vgpr_count 0
		.amdhsa_exception_fp_ieee_invalid_op 0
		.amdhsa_exception_fp_denorm_src 0
		.amdhsa_exception_fp_ieee_div_zero 0
		.amdhsa_exception_fp_ieee_overflow 0
		.amdhsa_exception_fp_ieee_underflow 0
		.amdhsa_exception_fp_ieee_inexact 0
		.amdhsa_exception_int_div_zero 0
	.end_amdhsa_kernel
	.section	.text._ZL32rocblas_syrkx_herkx_small_kernelIidLi16ELb0ELb0ELc84ELc76EKddEviT_T0_PT6_S1_lS4_S1_lS2_PT7_S1_li,"axG",@progbits,_ZL32rocblas_syrkx_herkx_small_kernelIidLi16ELb0ELb0ELc84ELc76EKddEviT_T0_PT6_S1_lS4_S1_lS2_PT7_S1_li,comdat
.Lfunc_end133:
	.size	_ZL32rocblas_syrkx_herkx_small_kernelIidLi16ELb0ELb0ELc84ELc76EKddEviT_T0_PT6_S1_lS4_S1_lS2_PT7_S1_li, .Lfunc_end133-_ZL32rocblas_syrkx_herkx_small_kernelIidLi16ELb0ELb0ELc84ELc76EKddEviT_T0_PT6_S1_lS4_S1_lS2_PT7_S1_li
                                        ; -- End function
	.section	.AMDGPU.csdata,"",@progbits
; Kernel info:
; codeLenInByte = 1112
; NumSgprs: 26
; NumVgprs: 28
; ScratchSize: 0
; MemoryBound: 0
; FloatMode: 240
; IeeeMode: 1
; LDSByteSize: 4096 bytes/workgroup (compile time only)
; SGPRBlocks: 3
; VGPRBlocks: 3
; NumSGPRsForWavesPerEU: 26
; NumVGPRsForWavesPerEU: 28
; Occupancy: 16
; WaveLimiterHint : 0
; COMPUTE_PGM_RSRC2:SCRATCH_EN: 0
; COMPUTE_PGM_RSRC2:USER_SGPR: 13
; COMPUTE_PGM_RSRC2:TRAP_HANDLER: 0
; COMPUTE_PGM_RSRC2:TGID_X_EN: 1
; COMPUTE_PGM_RSRC2:TGID_Y_EN: 1
; COMPUTE_PGM_RSRC2:TGID_Z_EN: 1
; COMPUTE_PGM_RSRC2:TIDIG_COMP_CNT: 1
	.section	.text._ZL32rocblas_syrkx_herkx_small_kernelIidLi16ELb0ELb0ELc67ELc76EKddEviT_T0_PT6_S1_lS4_S1_lS2_PT7_S1_li,"axG",@progbits,_ZL32rocblas_syrkx_herkx_small_kernelIidLi16ELb0ELb0ELc67ELc76EKddEviT_T0_PT6_S1_lS4_S1_lS2_PT7_S1_li,comdat
	.globl	_ZL32rocblas_syrkx_herkx_small_kernelIidLi16ELb0ELb0ELc67ELc76EKddEviT_T0_PT6_S1_lS4_S1_lS2_PT7_S1_li ; -- Begin function _ZL32rocblas_syrkx_herkx_small_kernelIidLi16ELb0ELb0ELc67ELc76EKddEviT_T0_PT6_S1_lS4_S1_lS2_PT7_S1_li
	.p2align	8
	.type	_ZL32rocblas_syrkx_herkx_small_kernelIidLi16ELb0ELb0ELc67ELc76EKddEviT_T0_PT6_S1_lS4_S1_lS2_PT7_S1_li,@function
_ZL32rocblas_syrkx_herkx_small_kernelIidLi16ELb0ELb0ELc67ELc76EKddEviT_T0_PT6_S1_lS4_S1_lS2_PT7_S1_li: ; @_ZL32rocblas_syrkx_herkx_small_kernelIidLi16ELb0ELb0ELc67ELc76EKddEviT_T0_PT6_S1_lS4_S1_lS2_PT7_S1_li
; %bb.0:
	s_clause 0x3
	s_load_b64 s[22:23], s[0:1], 0x0
	s_load_b128 s[4:7], s[0:1], 0x8
	s_load_b128 s[8:11], s[0:1], 0x38
	s_load_b64 s[20:21], s[0:1], 0x48
	v_and_b32_e32 v14, 0x3ff, v0
	v_bfe_u32 v15, v0, 10, 10
	s_mov_b32 s12, 0
	s_delay_alu instid0(VALU_DEP_2) | instskip(NEXT) | instid1(VALU_DEP_2)
	v_lshl_add_u32 v0, s13, 4, v14
	v_lshl_add_u32 v13, s14, 4, v15
	s_waitcnt lgkmcnt(0)
	s_delay_alu instid0(VALU_DEP_2)
	v_cmp_gt_i32_e32 vcc_lo, s22, v0
	s_cmp_lt_i32 s23, 1
	s_cbranch_scc1 .LBB134_7
; %bb.1:
	s_clause 0x2
	s_load_b32 s3, s[0:1], 0x30
	s_load_b32 s13, s[0:1], 0x18
	s_load_b128 s[16:19], s[0:1], 0x20
	v_lshlrev_b32_e32 v5, 7, v15
	v_dual_mov_b32 v1, 0 :: v_dual_lshlrev_b32 v16, 3, v14
	v_mov_b32_e32 v2, 0
	s_mul_i32 s9, s9, s15
	s_delay_alu instid0(VALU_DEP_3) | instskip(NEXT) | instid1(VALU_DEP_3)
	v_add_nc_u32_e32 v18, 0x800, v5
	v_add_nc_u32_e32 v17, v16, v5
	s_mul_hi_u32 s14, s8, s15
	s_mul_i32 s8, s8, s15
	s_add_i32 s9, s14, s9
	v_lshlrev_b32_e32 v7, 3, v15
	s_lshl_b64 s[8:9], s[8:9], 3
	v_cmp_gt_i32_e64 s2, s22, v13
	s_waitcnt lgkmcnt(0)
	v_mad_i64_i32 v[3:4], null, s3, v13, 0
	v_mad_i64_i32 v[5:6], null, s13, v0, 0
	s_mul_i32 s3, s17, s15
	s_mul_hi_u32 s13, s16, s15
	s_mul_i32 s16, s16, s15
	s_add_i32 s17, s13, s3
	s_delay_alu instid0(VALU_DEP_2) | instskip(SKIP_1) | instid1(VALU_DEP_2)
	v_lshlrev_b64 v[3:4], 3, v[3:4]
	s_lshl_b64 s[16:17], s[16:17], 3
	v_lshlrev_b64 v[5:6], 3, v[5:6]
	s_delay_alu instid0(VALU_DEP_2) | instskip(NEXT) | instid1(VALU_DEP_1)
	v_add_co_u32 v3, s3, v3, s8
	v_add_co_ci_u32_e64 v4, s3, s9, v4, s3
	s_delay_alu instid0(VALU_DEP_3) | instskip(NEXT) | instid1(VALU_DEP_1)
	v_add_co_u32 v5, s3, v5, s16
	v_add_co_ci_u32_e64 v6, s3, s17, v6, s3
	s_delay_alu instid0(VALU_DEP_4) | instskip(NEXT) | instid1(VALU_DEP_1)
	v_add_co_u32 v3, s3, v3, v16
	v_add_co_ci_u32_e64 v4, s3, 0, v4, s3
	s_delay_alu instid0(VALU_DEP_4) | instskip(SKIP_3) | instid1(VALU_DEP_1)
	v_add_co_u32 v5, s3, v5, v7
	v_mov_b32_e32 v8, v2
	v_add_co_ci_u32_e64 v6, s3, 0, v6, s3
	v_add_co_u32 v3, s3, s18, v3
	v_add_co_ci_u32_e64 v4, s3, s19, v4, s3
	v_add_co_u32 v5, s3, s6, v5
	s_delay_alu instid0(VALU_DEP_1)
	v_add_co_ci_u32_e64 v6, s3, s7, v6, s3
	v_mov_b32_e32 v7, v1
	v_add_nc_u32_e32 v19, v18, v16
	s_branch .LBB134_3
.LBB134_2:                              ;   in Loop: Header=BB134_3 Depth=1
	s_or_b32 exec_lo, exec_lo, s3
	s_waitcnt vmcnt(0)
	ds_store_b64 v19, v[11:12]
	s_waitcnt lgkmcnt(0)
	s_barrier
	buffer_gl0_inv
	ds_load_2addr_b64 v[9:12], v16 offset1:16
	ds_load_b128 v[20:23], v18
	ds_load_b128 v[24:27], v18 offset:16
	v_add_co_u32 v3, s3, 0x80, v3
	s_delay_alu instid0(VALU_DEP_1) | instskip(SKIP_1) | instid1(VALU_DEP_1)
	v_add_co_ci_u32_e64 v4, s3, 0, v4, s3
	v_add_co_u32 v5, s3, 0x80, v5
	v_add_co_ci_u32_e64 v6, s3, 0, v6, s3
	s_add_i32 s12, s12, 16
	s_delay_alu instid0(SALU_CYCLE_1) | instskip(SKIP_2) | instid1(VALU_DEP_1)
	s_cmp_ge_i32 s12, s23
	s_waitcnt lgkmcnt(1)
	v_fma_f64 v[7:8], v[9:10], v[20:21], v[7:8]
	v_fma_f64 v[11:12], v[11:12], v[22:23], v[7:8]
	ds_load_2addr_b64 v[7:10], v16 offset0:32 offset1:48
	s_waitcnt lgkmcnt(0)
	v_fma_f64 v[7:8], v[7:8], v[24:25], v[11:12]
	s_delay_alu instid0(VALU_DEP_1)
	v_fma_f64 v[11:12], v[9:10], v[26:27], v[7:8]
	ds_load_2addr_b64 v[7:10], v16 offset0:64 offset1:80
	ds_load_b128 v[20:23], v18 offset:32
	ds_load_b128 v[24:27], v18 offset:48
	s_waitcnt lgkmcnt(1)
	v_fma_f64 v[7:8], v[7:8], v[20:21], v[11:12]
	s_delay_alu instid0(VALU_DEP_1) | instskip(SKIP_3) | instid1(VALU_DEP_1)
	v_fma_f64 v[11:12], v[9:10], v[22:23], v[7:8]
	ds_load_2addr_b64 v[7:10], v16 offset0:96 offset1:112
	s_waitcnt lgkmcnt(0)
	v_fma_f64 v[7:8], v[7:8], v[24:25], v[11:12]
	v_fma_f64 v[11:12], v[9:10], v[26:27], v[7:8]
	ds_load_2addr_b64 v[7:10], v16 offset0:128 offset1:144
	ds_load_b128 v[20:23], v18 offset:64
	ds_load_b128 v[24:27], v18 offset:80
	s_waitcnt lgkmcnt(1)
	v_fma_f64 v[7:8], v[7:8], v[20:21], v[11:12]
	s_delay_alu instid0(VALU_DEP_1) | instskip(SKIP_3) | instid1(VALU_DEP_1)
	v_fma_f64 v[11:12], v[9:10], v[22:23], v[7:8]
	ds_load_2addr_b64 v[7:10], v16 offset0:160 offset1:176
	s_waitcnt lgkmcnt(0)
	v_fma_f64 v[7:8], v[7:8], v[24:25], v[11:12]
	v_fma_f64 v[11:12], v[9:10], v[26:27], v[7:8]
	ds_load_2addr_b64 v[7:10], v16 offset0:192 offset1:208
	ds_load_b128 v[20:23], v18 offset:96
	ds_load_b128 v[24:27], v18 offset:112
	s_waitcnt lgkmcnt(1)
	v_fma_f64 v[7:8], v[7:8], v[20:21], v[11:12]
	s_delay_alu instid0(VALU_DEP_1)
	v_fma_f64 v[11:12], v[9:10], v[22:23], v[7:8]
	ds_load_2addr_b64 v[7:10], v16 offset0:224 offset1:240
	s_waitcnt lgkmcnt(0)
	s_barrier
	buffer_gl0_inv
	v_fma_f64 v[7:8], v[7:8], v[24:25], v[11:12]
	s_delay_alu instid0(VALU_DEP_1)
	v_fma_f64 v[7:8], v[9:10], v[26:27], v[7:8]
	s_cbranch_scc1 .LBB134_8
.LBB134_3:                              ; =>This Inner Loop Header: Depth=1
	v_add_nc_u32_e32 v9, s12, v15
	s_delay_alu instid0(VALU_DEP_1) | instskip(SKIP_1) | instid1(VALU_DEP_2)
	v_cmp_gt_i32_e64 s3, s23, v9
	v_dual_mov_b32 v10, v2 :: v_dual_mov_b32 v9, v1
	s_and_b32 s6, vcc_lo, s3
	s_delay_alu instid0(SALU_CYCLE_1)
	s_and_saveexec_b32 s3, s6
	s_cbranch_execz .LBB134_5
; %bb.4:                                ;   in Loop: Header=BB134_3 Depth=1
	global_load_b64 v[9:10], v[5:6], off
.LBB134_5:                              ;   in Loop: Header=BB134_3 Depth=1
	s_or_b32 exec_lo, exec_lo, s3
	v_add_nc_u32_e32 v11, s12, v14
	s_waitcnt vmcnt(0)
	ds_store_b64 v17, v[9:10]
	v_cmp_gt_i32_e64 s3, s23, v11
	v_mov_b32_e32 v11, 0
	v_mov_b32_e32 v12, 0
	s_delay_alu instid0(VALU_DEP_3) | instskip(NEXT) | instid1(SALU_CYCLE_1)
	s_and_b32 s6, s2, s3
	s_and_saveexec_b32 s3, s6
	s_cbranch_execz .LBB134_2
; %bb.6:                                ;   in Loop: Header=BB134_3 Depth=1
	global_load_b64 v[11:12], v[3:4], off
	s_branch .LBB134_2
.LBB134_7:
	v_mov_b32_e32 v7, 0
	v_mov_b32_e32 v8, 0
.LBB134_8:
	v_cmp_le_i32_e32 vcc_lo, v13, v0
	v_cmp_gt_i32_e64 s2, s22, v0
	s_delay_alu instid0(VALU_DEP_1) | instskip(NEXT) | instid1(SALU_CYCLE_1)
	s_and_b32 s2, vcc_lo, s2
	s_and_saveexec_b32 s3, s2
	s_cbranch_execz .LBB134_10
; %bb.9:
	s_clause 0x1
	s_load_b32 s2, s[0:1], 0x50
	s_load_b64 s[0:1], s[0:1], 0x58
	v_ashrrev_i32_e32 v1, 31, v0
	s_delay_alu instid0(VALU_DEP_1)
	v_lshlrev_b64 v[0:1], 3, v[0:1]
	s_waitcnt lgkmcnt(0)
	v_mad_i64_i32 v[2:3], null, s2, v13, 0
	s_mul_i32 s1, s15, s1
	s_mul_hi_u32 s2, s15, s0
	s_mul_i32 s0, s15, s0
	s_add_i32 s1, s2, s1
	s_delay_alu instid0(SALU_CYCLE_1) | instskip(NEXT) | instid1(VALU_DEP_1)
	s_lshl_b64 s[0:1], s[0:1], 3
	v_lshlrev_b64 v[2:3], 3, v[2:3]
	s_add_u32 s0, s20, s0
	s_addc_u32 s1, s21, s1
	s_delay_alu instid0(VALU_DEP_1) | instskip(NEXT) | instid1(VALU_DEP_2)
	v_add_co_u32 v2, vcc_lo, s0, v2
	v_add_co_ci_u32_e32 v3, vcc_lo, s1, v3, vcc_lo
	s_delay_alu instid0(VALU_DEP_2) | instskip(NEXT) | instid1(VALU_DEP_2)
	v_add_co_u32 v0, vcc_lo, v2, v0
	v_add_co_ci_u32_e32 v1, vcc_lo, v3, v1, vcc_lo
	global_load_b64 v[2:3], v[0:1], off
	s_waitcnt vmcnt(0)
	v_mul_f64 v[2:3], v[2:3], s[10:11]
	s_delay_alu instid0(VALU_DEP_1)
	v_fma_f64 v[2:3], v[7:8], s[4:5], v[2:3]
	global_store_b64 v[0:1], v[2:3], off
.LBB134_10:
	s_nop 0
	s_sendmsg sendmsg(MSG_DEALLOC_VGPRS)
	s_endpgm
	.section	.rodata,"a",@progbits
	.p2align	6, 0x0
	.amdhsa_kernel _ZL32rocblas_syrkx_herkx_small_kernelIidLi16ELb0ELb0ELc67ELc76EKddEviT_T0_PT6_S1_lS4_S1_lS2_PT7_S1_li
		.amdhsa_group_segment_fixed_size 4096
		.amdhsa_private_segment_fixed_size 0
		.amdhsa_kernarg_size 100
		.amdhsa_user_sgpr_count 13
		.amdhsa_user_sgpr_dispatch_ptr 0
		.amdhsa_user_sgpr_queue_ptr 0
		.amdhsa_user_sgpr_kernarg_segment_ptr 1
		.amdhsa_user_sgpr_dispatch_id 0
		.amdhsa_user_sgpr_private_segment_size 0
		.amdhsa_wavefront_size32 1
		.amdhsa_uses_dynamic_stack 0
		.amdhsa_enable_private_segment 0
		.amdhsa_system_sgpr_workgroup_id_x 1
		.amdhsa_system_sgpr_workgroup_id_y 1
		.amdhsa_system_sgpr_workgroup_id_z 1
		.amdhsa_system_sgpr_workgroup_info 0
		.amdhsa_system_vgpr_workitem_id 1
		.amdhsa_next_free_vgpr 28
		.amdhsa_next_free_sgpr 24
		.amdhsa_reserve_vcc 1
		.amdhsa_float_round_mode_32 0
		.amdhsa_float_round_mode_16_64 0
		.amdhsa_float_denorm_mode_32 3
		.amdhsa_float_denorm_mode_16_64 3
		.amdhsa_dx10_clamp 1
		.amdhsa_ieee_mode 1
		.amdhsa_fp16_overflow 0
		.amdhsa_workgroup_processor_mode 1
		.amdhsa_memory_ordered 1
		.amdhsa_forward_progress 0
		.amdhsa_shared_vgpr_count 0
		.amdhsa_exception_fp_ieee_invalid_op 0
		.amdhsa_exception_fp_denorm_src 0
		.amdhsa_exception_fp_ieee_div_zero 0
		.amdhsa_exception_fp_ieee_overflow 0
		.amdhsa_exception_fp_ieee_underflow 0
		.amdhsa_exception_fp_ieee_inexact 0
		.amdhsa_exception_int_div_zero 0
	.end_amdhsa_kernel
	.section	.text._ZL32rocblas_syrkx_herkx_small_kernelIidLi16ELb0ELb0ELc67ELc76EKddEviT_T0_PT6_S1_lS4_S1_lS2_PT7_S1_li,"axG",@progbits,_ZL32rocblas_syrkx_herkx_small_kernelIidLi16ELb0ELb0ELc67ELc76EKddEviT_T0_PT6_S1_lS4_S1_lS2_PT7_S1_li,comdat
.Lfunc_end134:
	.size	_ZL32rocblas_syrkx_herkx_small_kernelIidLi16ELb0ELb0ELc67ELc76EKddEviT_T0_PT6_S1_lS4_S1_lS2_PT7_S1_li, .Lfunc_end134-_ZL32rocblas_syrkx_herkx_small_kernelIidLi16ELb0ELb0ELc67ELc76EKddEviT_T0_PT6_S1_lS4_S1_lS2_PT7_S1_li
                                        ; -- End function
	.section	.AMDGPU.csdata,"",@progbits
; Kernel info:
; codeLenInByte = 1112
; NumSgprs: 26
; NumVgprs: 28
; ScratchSize: 0
; MemoryBound: 0
; FloatMode: 240
; IeeeMode: 1
; LDSByteSize: 4096 bytes/workgroup (compile time only)
; SGPRBlocks: 3
; VGPRBlocks: 3
; NumSGPRsForWavesPerEU: 26
; NumVGPRsForWavesPerEU: 28
; Occupancy: 16
; WaveLimiterHint : 0
; COMPUTE_PGM_RSRC2:SCRATCH_EN: 0
; COMPUTE_PGM_RSRC2:USER_SGPR: 13
; COMPUTE_PGM_RSRC2:TRAP_HANDLER: 0
; COMPUTE_PGM_RSRC2:TGID_X_EN: 1
; COMPUTE_PGM_RSRC2:TGID_Y_EN: 1
; COMPUTE_PGM_RSRC2:TGID_Z_EN: 1
; COMPUTE_PGM_RSRC2:TIDIG_COMP_CNT: 1
	.section	.text._ZL32rocblas_syrkx_herkx_small_kernelIidLi16ELb0ELb0ELc78ELc76EKddEviT_T0_PT6_S1_lS4_S1_lS2_PT7_S1_li,"axG",@progbits,_ZL32rocblas_syrkx_herkx_small_kernelIidLi16ELb0ELb0ELc78ELc76EKddEviT_T0_PT6_S1_lS4_S1_lS2_PT7_S1_li,comdat
	.globl	_ZL32rocblas_syrkx_herkx_small_kernelIidLi16ELb0ELb0ELc78ELc76EKddEviT_T0_PT6_S1_lS4_S1_lS2_PT7_S1_li ; -- Begin function _ZL32rocblas_syrkx_herkx_small_kernelIidLi16ELb0ELb0ELc78ELc76EKddEviT_T0_PT6_S1_lS4_S1_lS2_PT7_S1_li
	.p2align	8
	.type	_ZL32rocblas_syrkx_herkx_small_kernelIidLi16ELb0ELb0ELc78ELc76EKddEviT_T0_PT6_S1_lS4_S1_lS2_PT7_S1_li,@function
_ZL32rocblas_syrkx_herkx_small_kernelIidLi16ELb0ELb0ELc78ELc76EKddEviT_T0_PT6_S1_lS4_S1_lS2_PT7_S1_li: ; @_ZL32rocblas_syrkx_herkx_small_kernelIidLi16ELb0ELb0ELc78ELc76EKddEviT_T0_PT6_S1_lS4_S1_lS2_PT7_S1_li
; %bb.0:
	s_clause 0x3
	s_load_b64 s[22:23], s[0:1], 0x0
	s_load_b128 s[4:7], s[0:1], 0x8
	s_load_b128 s[8:11], s[0:1], 0x38
	s_load_b64 s[20:21], s[0:1], 0x48
	v_and_b32_e32 v15, 0x3ff, v0
	v_bfe_u32 v16, v0, 10, 10
	s_mov_b32 s12, 0
	s_delay_alu instid0(VALU_DEP_2) | instskip(NEXT) | instid1(VALU_DEP_2)
	v_lshl_add_u32 v0, s13, 4, v15
	v_lshl_add_u32 v2, s14, 4, v16
	s_delay_alu instid0(VALU_DEP_2)
	v_ashrrev_i32_e32 v1, 31, v0
	s_waitcnt lgkmcnt(0)
	v_cmp_gt_i32_e32 vcc_lo, s22, v0
	s_cmp_lt_i32 s23, 1
	s_cbranch_scc1 .LBB135_7
; %bb.1:
	s_clause 0x2
	s_load_b32 s24, s[0:1], 0x30
	s_load_b32 s26, s[0:1], 0x18
	s_load_b128 s[16:19], s[0:1], 0x20
	v_lshlrev_b32_e32 v6, 7, v16
	v_lshlrev_b32_e32 v17, 3, v15
	s_mul_i32 s3, s9, s15
	s_mul_hi_u32 s9, s8, s15
	v_ashrrev_i32_e32 v3, 31, v2
	v_add_nc_u32_e32 v18, 0x800, v6
	v_add_nc_u32_e32 v19, v17, v6
	s_mul_i32 s8, s8, s15
	s_add_i32 s9, s9, s3
	v_lshlrev_b64 v[8:9], 3, v[2:3]
	s_lshl_b64 s[8:9], s[8:9], 3
	v_lshlrev_b64 v[4:5], 3, v[0:1]
	v_cmp_gt_i32_e64 s2, s22, v2
	s_waitcnt lgkmcnt(0)
	v_mad_i64_i32 v[6:7], null, s24, v15, 0
	v_mad_i64_i32 v[10:11], null, s26, v16, 0
	s_mul_i32 s3, s17, s15
	s_mul_hi_u32 s13, s16, s15
	s_mul_i32 s16, s16, s15
	s_add_i32 s17, s13, s3
	s_delay_alu instid0(VALU_DEP_2) | instskip(SKIP_1) | instid1(VALU_DEP_2)
	v_lshlrev_b64 v[6:7], 3, v[6:7]
	s_lshl_b64 s[16:17], s[16:17], 3
	v_lshlrev_b64 v[10:11], 3, v[10:11]
	s_ashr_i32 s25, s24, 31
	s_ashr_i32 s27, s26, 31
	s_delay_alu instid0(VALU_DEP_2) | instskip(NEXT) | instid1(VALU_DEP_1)
	v_add_co_u32 v3, s3, s8, v6
	v_add_co_ci_u32_e64 v6, s3, s9, v7, s3
	s_delay_alu instid0(VALU_DEP_3) | instskip(NEXT) | instid1(VALU_DEP_1)
	v_add_co_u32 v7, s3, s16, v10
	v_add_co_ci_u32_e64 v10, s3, s17, v11, s3
	s_delay_alu instid0(VALU_DEP_4) | instskip(NEXT) | instid1(VALU_DEP_1)
	v_add_co_u32 v8, s3, v3, v8
	v_add_co_ci_u32_e64 v6, s3, v6, v9, s3
	s_delay_alu instid0(VALU_DEP_4) | instskip(NEXT) | instid1(VALU_DEP_1)
	v_add_co_u32 v7, s3, v7, v4
	v_add_co_ci_u32_e64 v9, s3, v10, v5, s3
	v_mov_b32_e32 v3, 0
	v_mov_b32_e32 v4, 0
	v_add_co_u32 v5, s3, s18, v8
	s_delay_alu instid0(VALU_DEP_1) | instskip(SKIP_1) | instid1(VALU_DEP_1)
	v_add_co_ci_u32_e64 v6, s3, s19, v6, s3
	v_add_co_u32 v7, s3, s6, v7
	v_add_co_ci_u32_e64 v8, s3, s7, v9, s3
	v_dual_mov_b32 v10, v4 :: v_dual_mov_b32 v9, v3
	v_add_nc_u32_e32 v20, v18, v17
	s_lshl_b64 s[6:7], s[24:25], 7
	s_lshl_b64 s[8:9], s[26:27], 7
	s_branch .LBB135_3
.LBB135_2:                              ;   in Loop: Header=BB135_3 Depth=1
	s_or_b32 exec_lo, exec_lo, s3
	s_waitcnt vmcnt(0)
	ds_store_b64 v20, v[13:14]
	s_waitcnt lgkmcnt(0)
	s_barrier
	buffer_gl0_inv
	ds_load_2addr_b64 v[11:14], v17 offset1:16
	ds_load_b128 v[21:24], v18
	ds_load_b128 v[25:28], v18 offset:16
	v_add_co_u32 v5, s3, v5, s6
	s_delay_alu instid0(VALU_DEP_1) | instskip(SKIP_1) | instid1(VALU_DEP_1)
	v_add_co_ci_u32_e64 v6, s3, s7, v6, s3
	v_add_co_u32 v7, s3, v7, s8
	v_add_co_ci_u32_e64 v8, s3, s9, v8, s3
	s_add_i32 s12, s12, 16
	s_delay_alu instid0(SALU_CYCLE_1) | instskip(SKIP_2) | instid1(VALU_DEP_1)
	s_cmp_ge_i32 s12, s23
	s_waitcnt lgkmcnt(1)
	v_fma_f64 v[9:10], v[11:12], v[21:22], v[9:10]
	v_fma_f64 v[13:14], v[13:14], v[23:24], v[9:10]
	ds_load_2addr_b64 v[9:12], v17 offset0:32 offset1:48
	s_waitcnt lgkmcnt(0)
	v_fma_f64 v[9:10], v[9:10], v[25:26], v[13:14]
	s_delay_alu instid0(VALU_DEP_1)
	v_fma_f64 v[13:14], v[11:12], v[27:28], v[9:10]
	ds_load_2addr_b64 v[9:12], v17 offset0:64 offset1:80
	ds_load_b128 v[21:24], v18 offset:32
	ds_load_b128 v[25:28], v18 offset:48
	s_waitcnt lgkmcnt(1)
	v_fma_f64 v[9:10], v[9:10], v[21:22], v[13:14]
	s_delay_alu instid0(VALU_DEP_1) | instskip(SKIP_3) | instid1(VALU_DEP_1)
	v_fma_f64 v[13:14], v[11:12], v[23:24], v[9:10]
	ds_load_2addr_b64 v[9:12], v17 offset0:96 offset1:112
	s_waitcnt lgkmcnt(0)
	v_fma_f64 v[9:10], v[9:10], v[25:26], v[13:14]
	v_fma_f64 v[13:14], v[11:12], v[27:28], v[9:10]
	ds_load_2addr_b64 v[9:12], v17 offset0:128 offset1:144
	ds_load_b128 v[21:24], v18 offset:64
	ds_load_b128 v[25:28], v18 offset:80
	s_waitcnt lgkmcnt(1)
	v_fma_f64 v[9:10], v[9:10], v[21:22], v[13:14]
	s_delay_alu instid0(VALU_DEP_1) | instskip(SKIP_3) | instid1(VALU_DEP_1)
	v_fma_f64 v[13:14], v[11:12], v[23:24], v[9:10]
	ds_load_2addr_b64 v[9:12], v17 offset0:160 offset1:176
	s_waitcnt lgkmcnt(0)
	v_fma_f64 v[9:10], v[9:10], v[25:26], v[13:14]
	v_fma_f64 v[13:14], v[11:12], v[27:28], v[9:10]
	ds_load_2addr_b64 v[9:12], v17 offset0:192 offset1:208
	ds_load_b128 v[21:24], v18 offset:96
	ds_load_b128 v[25:28], v18 offset:112
	s_waitcnt lgkmcnt(1)
	v_fma_f64 v[9:10], v[9:10], v[21:22], v[13:14]
	s_delay_alu instid0(VALU_DEP_1)
	v_fma_f64 v[13:14], v[11:12], v[23:24], v[9:10]
	ds_load_2addr_b64 v[9:12], v17 offset0:224 offset1:240
	s_waitcnt lgkmcnt(0)
	s_barrier
	buffer_gl0_inv
	v_fma_f64 v[9:10], v[9:10], v[25:26], v[13:14]
	s_delay_alu instid0(VALU_DEP_1)
	v_fma_f64 v[9:10], v[11:12], v[27:28], v[9:10]
	s_cbranch_scc1 .LBB135_8
.LBB135_3:                              ; =>This Inner Loop Header: Depth=1
	v_add_nc_u32_e32 v11, s12, v16
	s_delay_alu instid0(VALU_DEP_1) | instskip(SKIP_1) | instid1(VALU_DEP_2)
	v_cmp_gt_i32_e64 s3, s23, v11
	v_dual_mov_b32 v12, v4 :: v_dual_mov_b32 v11, v3
	s_and_b32 s13, vcc_lo, s3
	s_delay_alu instid0(SALU_CYCLE_1)
	s_and_saveexec_b32 s3, s13
	s_cbranch_execz .LBB135_5
; %bb.4:                                ;   in Loop: Header=BB135_3 Depth=1
	global_load_b64 v[11:12], v[7:8], off
.LBB135_5:                              ;   in Loop: Header=BB135_3 Depth=1
	s_or_b32 exec_lo, exec_lo, s3
	v_add_nc_u32_e32 v13, s12, v15
	s_waitcnt vmcnt(0)
	ds_store_b64 v19, v[11:12]
	v_cmp_gt_i32_e64 s3, s23, v13
	v_mov_b32_e32 v13, 0
	v_mov_b32_e32 v14, 0
	s_delay_alu instid0(VALU_DEP_3) | instskip(NEXT) | instid1(SALU_CYCLE_1)
	s_and_b32 s13, s2, s3
	s_and_saveexec_b32 s3, s13
	s_cbranch_execz .LBB135_2
; %bb.6:                                ;   in Loop: Header=BB135_3 Depth=1
	global_load_b64 v[13:14], v[5:6], off
	s_branch .LBB135_2
.LBB135_7:
	v_mov_b32_e32 v9, 0
	v_mov_b32_e32 v10, 0
.LBB135_8:
	v_cmp_le_i32_e32 vcc_lo, v2, v0
	v_cmp_gt_i32_e64 s2, s22, v0
	s_delay_alu instid0(VALU_DEP_1) | instskip(NEXT) | instid1(SALU_CYCLE_1)
	s_and_b32 s2, vcc_lo, s2
	s_and_saveexec_b32 s3, s2
	s_cbranch_execz .LBB135_10
; %bb.9:
	s_clause 0x1
	s_load_b32 s2, s[0:1], 0x50
	s_load_b64 s[0:1], s[0:1], 0x58
	v_lshlrev_b64 v[0:1], 3, v[0:1]
	s_waitcnt lgkmcnt(0)
	v_mad_i64_i32 v[3:4], null, s2, v2, 0
	s_mul_i32 s1, s15, s1
	s_mul_hi_u32 s2, s15, s0
	s_mul_i32 s0, s15, s0
	s_add_i32 s1, s2, s1
	s_delay_alu instid0(SALU_CYCLE_1) | instskip(NEXT) | instid1(VALU_DEP_1)
	s_lshl_b64 s[0:1], s[0:1], 3
	v_lshlrev_b64 v[2:3], 3, v[3:4]
	s_add_u32 s0, s20, s0
	s_addc_u32 s1, s21, s1
	s_delay_alu instid0(VALU_DEP_1) | instskip(NEXT) | instid1(VALU_DEP_2)
	v_add_co_u32 v2, vcc_lo, s0, v2
	v_add_co_ci_u32_e32 v3, vcc_lo, s1, v3, vcc_lo
	s_delay_alu instid0(VALU_DEP_2) | instskip(NEXT) | instid1(VALU_DEP_2)
	v_add_co_u32 v0, vcc_lo, v2, v0
	v_add_co_ci_u32_e32 v1, vcc_lo, v3, v1, vcc_lo
	global_load_b64 v[2:3], v[0:1], off
	s_waitcnt vmcnt(0)
	v_mul_f64 v[2:3], v[2:3], s[10:11]
	s_delay_alu instid0(VALU_DEP_1)
	v_fma_f64 v[2:3], v[9:10], s[4:5], v[2:3]
	global_store_b64 v[0:1], v[2:3], off
.LBB135_10:
	s_nop 0
	s_sendmsg sendmsg(MSG_DEALLOC_VGPRS)
	s_endpgm
	.section	.rodata,"a",@progbits
	.p2align	6, 0x0
	.amdhsa_kernel _ZL32rocblas_syrkx_herkx_small_kernelIidLi16ELb0ELb0ELc78ELc76EKddEviT_T0_PT6_S1_lS4_S1_lS2_PT7_S1_li
		.amdhsa_group_segment_fixed_size 4096
		.amdhsa_private_segment_fixed_size 0
		.amdhsa_kernarg_size 100
		.amdhsa_user_sgpr_count 13
		.amdhsa_user_sgpr_dispatch_ptr 0
		.amdhsa_user_sgpr_queue_ptr 0
		.amdhsa_user_sgpr_kernarg_segment_ptr 1
		.amdhsa_user_sgpr_dispatch_id 0
		.amdhsa_user_sgpr_private_segment_size 0
		.amdhsa_wavefront_size32 1
		.amdhsa_uses_dynamic_stack 0
		.amdhsa_enable_private_segment 0
		.amdhsa_system_sgpr_workgroup_id_x 1
		.amdhsa_system_sgpr_workgroup_id_y 1
		.amdhsa_system_sgpr_workgroup_id_z 1
		.amdhsa_system_sgpr_workgroup_info 0
		.amdhsa_system_vgpr_workitem_id 1
		.amdhsa_next_free_vgpr 29
		.amdhsa_next_free_sgpr 28
		.amdhsa_reserve_vcc 1
		.amdhsa_float_round_mode_32 0
		.amdhsa_float_round_mode_16_64 0
		.amdhsa_float_denorm_mode_32 3
		.amdhsa_float_denorm_mode_16_64 3
		.amdhsa_dx10_clamp 1
		.amdhsa_ieee_mode 1
		.amdhsa_fp16_overflow 0
		.amdhsa_workgroup_processor_mode 1
		.amdhsa_memory_ordered 1
		.amdhsa_forward_progress 0
		.amdhsa_shared_vgpr_count 0
		.amdhsa_exception_fp_ieee_invalid_op 0
		.amdhsa_exception_fp_denorm_src 0
		.amdhsa_exception_fp_ieee_div_zero 0
		.amdhsa_exception_fp_ieee_overflow 0
		.amdhsa_exception_fp_ieee_underflow 0
		.amdhsa_exception_fp_ieee_inexact 0
		.amdhsa_exception_int_div_zero 0
	.end_amdhsa_kernel
	.section	.text._ZL32rocblas_syrkx_herkx_small_kernelIidLi16ELb0ELb0ELc78ELc76EKddEviT_T0_PT6_S1_lS4_S1_lS2_PT7_S1_li,"axG",@progbits,_ZL32rocblas_syrkx_herkx_small_kernelIidLi16ELb0ELb0ELc78ELc76EKddEviT_T0_PT6_S1_lS4_S1_lS2_PT7_S1_li,comdat
.Lfunc_end135:
	.size	_ZL32rocblas_syrkx_herkx_small_kernelIidLi16ELb0ELb0ELc78ELc76EKddEviT_T0_PT6_S1_lS4_S1_lS2_PT7_S1_li, .Lfunc_end135-_ZL32rocblas_syrkx_herkx_small_kernelIidLi16ELb0ELb0ELc78ELc76EKddEviT_T0_PT6_S1_lS4_S1_lS2_PT7_S1_li
                                        ; -- End function
	.section	.AMDGPU.csdata,"",@progbits
; Kernel info:
; codeLenInByte = 1128
; NumSgprs: 30
; NumVgprs: 29
; ScratchSize: 0
; MemoryBound: 0
; FloatMode: 240
; IeeeMode: 1
; LDSByteSize: 4096 bytes/workgroup (compile time only)
; SGPRBlocks: 3
; VGPRBlocks: 3
; NumSGPRsForWavesPerEU: 30
; NumVGPRsForWavesPerEU: 29
; Occupancy: 16
; WaveLimiterHint : 0
; COMPUTE_PGM_RSRC2:SCRATCH_EN: 0
; COMPUTE_PGM_RSRC2:USER_SGPR: 13
; COMPUTE_PGM_RSRC2:TRAP_HANDLER: 0
; COMPUTE_PGM_RSRC2:TGID_X_EN: 1
; COMPUTE_PGM_RSRC2:TGID_Y_EN: 1
; COMPUTE_PGM_RSRC2:TGID_Z_EN: 1
; COMPUTE_PGM_RSRC2:TIDIG_COMP_CNT: 1
	.section	.text._ZL32rocblas_syrkx_herkx_small_kernelIidLi16ELb0ELb0ELc84ELc85EKddEviT_T0_PT6_S1_lS4_S1_lS2_PT7_S1_li,"axG",@progbits,_ZL32rocblas_syrkx_herkx_small_kernelIidLi16ELb0ELb0ELc84ELc85EKddEviT_T0_PT6_S1_lS4_S1_lS2_PT7_S1_li,comdat
	.globl	_ZL32rocblas_syrkx_herkx_small_kernelIidLi16ELb0ELb0ELc84ELc85EKddEviT_T0_PT6_S1_lS4_S1_lS2_PT7_S1_li ; -- Begin function _ZL32rocblas_syrkx_herkx_small_kernelIidLi16ELb0ELb0ELc84ELc85EKddEviT_T0_PT6_S1_lS4_S1_lS2_PT7_S1_li
	.p2align	8
	.type	_ZL32rocblas_syrkx_herkx_small_kernelIidLi16ELb0ELb0ELc84ELc85EKddEviT_T0_PT6_S1_lS4_S1_lS2_PT7_S1_li,@function
_ZL32rocblas_syrkx_herkx_small_kernelIidLi16ELb0ELb0ELc84ELc85EKddEviT_T0_PT6_S1_lS4_S1_lS2_PT7_S1_li: ; @_ZL32rocblas_syrkx_herkx_small_kernelIidLi16ELb0ELb0ELc84ELc85EKddEviT_T0_PT6_S1_lS4_S1_lS2_PT7_S1_li
; %bb.0:
	s_clause 0x3
	s_load_b64 s[22:23], s[0:1], 0x0
	s_load_b128 s[4:7], s[0:1], 0x8
	s_load_b128 s[8:11], s[0:1], 0x38
	s_load_b64 s[20:21], s[0:1], 0x48
	v_bfe_u32 v14, v0, 10, 10
	v_and_b32_e32 v15, 0x3ff, v0
	s_mov_b32 s12, 0
	s_delay_alu instid0(VALU_DEP_2) | instskip(NEXT) | instid1(VALU_DEP_2)
	v_lshl_add_u32 v13, s14, 4, v14
	v_lshl_add_u32 v0, s13, 4, v15
	s_waitcnt lgkmcnt(0)
	s_delay_alu instid0(VALU_DEP_2)
	v_cmp_gt_i32_e32 vcc_lo, s22, v13
	s_cmp_lt_i32 s23, 1
	s_cbranch_scc1 .LBB136_7
; %bb.1:
	s_clause 0x2
	s_load_b32 s3, s[0:1], 0x30
	s_load_b32 s13, s[0:1], 0x18
	s_load_b128 s[16:19], s[0:1], 0x20
	v_lshlrev_b32_e32 v5, 7, v14
	v_dual_mov_b32 v1, 0 :: v_dual_lshlrev_b32 v16, 3, v15
	v_mov_b32_e32 v2, 0
	s_mul_i32 s9, s9, s15
	s_delay_alu instid0(VALU_DEP_3) | instskip(NEXT) | instid1(VALU_DEP_3)
	v_add_nc_u32_e32 v18, 0x800, v5
	v_add_nc_u32_e32 v17, v16, v5
	s_mul_hi_u32 s14, s8, s15
	s_mul_i32 s8, s8, s15
	s_add_i32 s9, s14, s9
	v_lshlrev_b32_e32 v7, 3, v14
	s_lshl_b64 s[8:9], s[8:9], 3
	v_cmp_gt_i32_e64 s2, s22, v0
	s_waitcnt lgkmcnt(0)
	v_mad_i64_i32 v[3:4], null, s3, v13, 0
	v_mad_i64_i32 v[5:6], null, s13, v0, 0
	s_mul_i32 s3, s17, s15
	s_mul_hi_u32 s13, s16, s15
	s_mul_i32 s16, s16, s15
	s_add_i32 s17, s13, s3
	s_delay_alu instid0(VALU_DEP_2) | instskip(SKIP_1) | instid1(VALU_DEP_2)
	v_lshlrev_b64 v[3:4], 3, v[3:4]
	s_lshl_b64 s[16:17], s[16:17], 3
	v_lshlrev_b64 v[5:6], 3, v[5:6]
	s_delay_alu instid0(VALU_DEP_2) | instskip(NEXT) | instid1(VALU_DEP_1)
	v_add_co_u32 v3, s3, v3, s8
	v_add_co_ci_u32_e64 v4, s3, s9, v4, s3
	s_delay_alu instid0(VALU_DEP_3) | instskip(NEXT) | instid1(VALU_DEP_1)
	v_add_co_u32 v5, s3, v5, s16
	v_add_co_ci_u32_e64 v6, s3, s17, v6, s3
	s_delay_alu instid0(VALU_DEP_4) | instskip(NEXT) | instid1(VALU_DEP_1)
	v_add_co_u32 v3, s3, v3, v16
	v_add_co_ci_u32_e64 v4, s3, 0, v4, s3
	s_delay_alu instid0(VALU_DEP_4) | instskip(SKIP_3) | instid1(VALU_DEP_1)
	v_add_co_u32 v5, s3, v5, v7
	v_mov_b32_e32 v8, v2
	v_add_co_ci_u32_e64 v6, s3, 0, v6, s3
	v_add_co_u32 v3, s3, s18, v3
	v_add_co_ci_u32_e64 v4, s3, s19, v4, s3
	v_add_co_u32 v5, s3, s6, v5
	s_delay_alu instid0(VALU_DEP_1)
	v_add_co_ci_u32_e64 v6, s3, s7, v6, s3
	v_mov_b32_e32 v7, v1
	v_add_nc_u32_e32 v19, v18, v16
	s_branch .LBB136_3
.LBB136_2:                              ;   in Loop: Header=BB136_3 Depth=1
	s_or_b32 exec_lo, exec_lo, s3
	s_waitcnt vmcnt(0)
	ds_store_b64 v19, v[11:12]
	s_waitcnt lgkmcnt(0)
	s_barrier
	buffer_gl0_inv
	ds_load_2addr_b64 v[9:12], v16 offset1:16
	ds_load_b128 v[20:23], v18
	ds_load_b128 v[24:27], v18 offset:16
	v_add_co_u32 v3, s3, 0x80, v3
	s_delay_alu instid0(VALU_DEP_1) | instskip(SKIP_1) | instid1(VALU_DEP_1)
	v_add_co_ci_u32_e64 v4, s3, 0, v4, s3
	v_add_co_u32 v5, s3, 0x80, v5
	v_add_co_ci_u32_e64 v6, s3, 0, v6, s3
	s_add_i32 s12, s12, 16
	s_delay_alu instid0(SALU_CYCLE_1) | instskip(SKIP_2) | instid1(VALU_DEP_1)
	s_cmp_ge_i32 s12, s23
	s_waitcnt lgkmcnt(1)
	v_fma_f64 v[7:8], v[9:10], v[20:21], v[7:8]
	v_fma_f64 v[11:12], v[11:12], v[22:23], v[7:8]
	ds_load_2addr_b64 v[7:10], v16 offset0:32 offset1:48
	s_waitcnt lgkmcnt(0)
	v_fma_f64 v[7:8], v[7:8], v[24:25], v[11:12]
	s_delay_alu instid0(VALU_DEP_1)
	v_fma_f64 v[11:12], v[9:10], v[26:27], v[7:8]
	ds_load_2addr_b64 v[7:10], v16 offset0:64 offset1:80
	ds_load_b128 v[20:23], v18 offset:32
	ds_load_b128 v[24:27], v18 offset:48
	s_waitcnt lgkmcnt(1)
	v_fma_f64 v[7:8], v[7:8], v[20:21], v[11:12]
	s_delay_alu instid0(VALU_DEP_1) | instskip(SKIP_3) | instid1(VALU_DEP_1)
	v_fma_f64 v[11:12], v[9:10], v[22:23], v[7:8]
	ds_load_2addr_b64 v[7:10], v16 offset0:96 offset1:112
	s_waitcnt lgkmcnt(0)
	v_fma_f64 v[7:8], v[7:8], v[24:25], v[11:12]
	v_fma_f64 v[11:12], v[9:10], v[26:27], v[7:8]
	ds_load_2addr_b64 v[7:10], v16 offset0:128 offset1:144
	ds_load_b128 v[20:23], v18 offset:64
	ds_load_b128 v[24:27], v18 offset:80
	s_waitcnt lgkmcnt(1)
	v_fma_f64 v[7:8], v[7:8], v[20:21], v[11:12]
	s_delay_alu instid0(VALU_DEP_1) | instskip(SKIP_3) | instid1(VALU_DEP_1)
	v_fma_f64 v[11:12], v[9:10], v[22:23], v[7:8]
	ds_load_2addr_b64 v[7:10], v16 offset0:160 offset1:176
	s_waitcnt lgkmcnt(0)
	v_fma_f64 v[7:8], v[7:8], v[24:25], v[11:12]
	v_fma_f64 v[11:12], v[9:10], v[26:27], v[7:8]
	ds_load_2addr_b64 v[7:10], v16 offset0:192 offset1:208
	ds_load_b128 v[20:23], v18 offset:96
	ds_load_b128 v[24:27], v18 offset:112
	s_waitcnt lgkmcnt(1)
	v_fma_f64 v[7:8], v[7:8], v[20:21], v[11:12]
	s_delay_alu instid0(VALU_DEP_1)
	v_fma_f64 v[11:12], v[9:10], v[22:23], v[7:8]
	ds_load_2addr_b64 v[7:10], v16 offset0:224 offset1:240
	s_waitcnt lgkmcnt(0)
	s_barrier
	buffer_gl0_inv
	v_fma_f64 v[7:8], v[7:8], v[24:25], v[11:12]
	s_delay_alu instid0(VALU_DEP_1)
	v_fma_f64 v[7:8], v[9:10], v[26:27], v[7:8]
	s_cbranch_scc1 .LBB136_8
.LBB136_3:                              ; =>This Inner Loop Header: Depth=1
	v_add_nc_u32_e32 v9, s12, v14
	s_delay_alu instid0(VALU_DEP_1) | instskip(SKIP_1) | instid1(VALU_DEP_2)
	v_cmp_gt_i32_e64 s3, s23, v9
	v_dual_mov_b32 v10, v2 :: v_dual_mov_b32 v9, v1
	s_and_b32 s6, s2, s3
	s_delay_alu instid0(SALU_CYCLE_1)
	s_and_saveexec_b32 s3, s6
	s_cbranch_execz .LBB136_5
; %bb.4:                                ;   in Loop: Header=BB136_3 Depth=1
	global_load_b64 v[9:10], v[5:6], off
.LBB136_5:                              ;   in Loop: Header=BB136_3 Depth=1
	s_or_b32 exec_lo, exec_lo, s3
	v_add_nc_u32_e32 v11, s12, v15
	s_waitcnt vmcnt(0)
	ds_store_b64 v17, v[9:10]
	v_cmp_gt_i32_e64 s3, s23, v11
	v_mov_b32_e32 v11, 0
	v_mov_b32_e32 v12, 0
	s_delay_alu instid0(VALU_DEP_3) | instskip(NEXT) | instid1(SALU_CYCLE_1)
	s_and_b32 s6, vcc_lo, s3
	s_and_saveexec_b32 s3, s6
	s_cbranch_execz .LBB136_2
; %bb.6:                                ;   in Loop: Header=BB136_3 Depth=1
	global_load_b64 v[11:12], v[3:4], off
	s_branch .LBB136_2
.LBB136_7:
	v_mov_b32_e32 v7, 0
	v_mov_b32_e32 v8, 0
.LBB136_8:
	v_cmp_le_i32_e32 vcc_lo, v0, v13
	v_cmp_gt_i32_e64 s2, s22, v13
	s_delay_alu instid0(VALU_DEP_1) | instskip(NEXT) | instid1(SALU_CYCLE_1)
	s_and_b32 s2, vcc_lo, s2
	s_and_saveexec_b32 s3, s2
	s_cbranch_execz .LBB136_10
; %bb.9:
	s_clause 0x1
	s_load_b32 s2, s[0:1], 0x50
	s_load_b64 s[0:1], s[0:1], 0x58
	v_ashrrev_i32_e32 v1, 31, v0
	s_delay_alu instid0(VALU_DEP_1)
	v_lshlrev_b64 v[0:1], 3, v[0:1]
	s_waitcnt lgkmcnt(0)
	v_mad_i64_i32 v[2:3], null, s2, v13, 0
	s_mul_i32 s1, s15, s1
	s_mul_hi_u32 s2, s15, s0
	s_mul_i32 s0, s15, s0
	s_add_i32 s1, s2, s1
	s_delay_alu instid0(SALU_CYCLE_1) | instskip(NEXT) | instid1(VALU_DEP_1)
	s_lshl_b64 s[0:1], s[0:1], 3
	v_lshlrev_b64 v[2:3], 3, v[2:3]
	s_add_u32 s0, s20, s0
	s_addc_u32 s1, s21, s1
	s_delay_alu instid0(VALU_DEP_1) | instskip(NEXT) | instid1(VALU_DEP_2)
	v_add_co_u32 v2, vcc_lo, s0, v2
	v_add_co_ci_u32_e32 v3, vcc_lo, s1, v3, vcc_lo
	s_delay_alu instid0(VALU_DEP_2) | instskip(NEXT) | instid1(VALU_DEP_2)
	v_add_co_u32 v0, vcc_lo, v2, v0
	v_add_co_ci_u32_e32 v1, vcc_lo, v3, v1, vcc_lo
	global_load_b64 v[2:3], v[0:1], off
	s_waitcnt vmcnt(0)
	v_mul_f64 v[2:3], v[2:3], s[10:11]
	s_delay_alu instid0(VALU_DEP_1)
	v_fma_f64 v[2:3], v[7:8], s[4:5], v[2:3]
	global_store_b64 v[0:1], v[2:3], off
.LBB136_10:
	s_nop 0
	s_sendmsg sendmsg(MSG_DEALLOC_VGPRS)
	s_endpgm
	.section	.rodata,"a",@progbits
	.p2align	6, 0x0
	.amdhsa_kernel _ZL32rocblas_syrkx_herkx_small_kernelIidLi16ELb0ELb0ELc84ELc85EKddEviT_T0_PT6_S1_lS4_S1_lS2_PT7_S1_li
		.amdhsa_group_segment_fixed_size 4096
		.amdhsa_private_segment_fixed_size 0
		.amdhsa_kernarg_size 100
		.amdhsa_user_sgpr_count 13
		.amdhsa_user_sgpr_dispatch_ptr 0
		.amdhsa_user_sgpr_queue_ptr 0
		.amdhsa_user_sgpr_kernarg_segment_ptr 1
		.amdhsa_user_sgpr_dispatch_id 0
		.amdhsa_user_sgpr_private_segment_size 0
		.amdhsa_wavefront_size32 1
		.amdhsa_uses_dynamic_stack 0
		.amdhsa_enable_private_segment 0
		.amdhsa_system_sgpr_workgroup_id_x 1
		.amdhsa_system_sgpr_workgroup_id_y 1
		.amdhsa_system_sgpr_workgroup_id_z 1
		.amdhsa_system_sgpr_workgroup_info 0
		.amdhsa_system_vgpr_workitem_id 1
		.amdhsa_next_free_vgpr 28
		.amdhsa_next_free_sgpr 24
		.amdhsa_reserve_vcc 1
		.amdhsa_float_round_mode_32 0
		.amdhsa_float_round_mode_16_64 0
		.amdhsa_float_denorm_mode_32 3
		.amdhsa_float_denorm_mode_16_64 3
		.amdhsa_dx10_clamp 1
		.amdhsa_ieee_mode 1
		.amdhsa_fp16_overflow 0
		.amdhsa_workgroup_processor_mode 1
		.amdhsa_memory_ordered 1
		.amdhsa_forward_progress 0
		.amdhsa_shared_vgpr_count 0
		.amdhsa_exception_fp_ieee_invalid_op 0
		.amdhsa_exception_fp_denorm_src 0
		.amdhsa_exception_fp_ieee_div_zero 0
		.amdhsa_exception_fp_ieee_overflow 0
		.amdhsa_exception_fp_ieee_underflow 0
		.amdhsa_exception_fp_ieee_inexact 0
		.amdhsa_exception_int_div_zero 0
	.end_amdhsa_kernel
	.section	.text._ZL32rocblas_syrkx_herkx_small_kernelIidLi16ELb0ELb0ELc84ELc85EKddEviT_T0_PT6_S1_lS4_S1_lS2_PT7_S1_li,"axG",@progbits,_ZL32rocblas_syrkx_herkx_small_kernelIidLi16ELb0ELb0ELc84ELc85EKddEviT_T0_PT6_S1_lS4_S1_lS2_PT7_S1_li,comdat
.Lfunc_end136:
	.size	_ZL32rocblas_syrkx_herkx_small_kernelIidLi16ELb0ELb0ELc84ELc85EKddEviT_T0_PT6_S1_lS4_S1_lS2_PT7_S1_li, .Lfunc_end136-_ZL32rocblas_syrkx_herkx_small_kernelIidLi16ELb0ELb0ELc84ELc85EKddEviT_T0_PT6_S1_lS4_S1_lS2_PT7_S1_li
                                        ; -- End function
	.section	.AMDGPU.csdata,"",@progbits
; Kernel info:
; codeLenInByte = 1112
; NumSgprs: 26
; NumVgprs: 28
; ScratchSize: 0
; MemoryBound: 0
; FloatMode: 240
; IeeeMode: 1
; LDSByteSize: 4096 bytes/workgroup (compile time only)
; SGPRBlocks: 3
; VGPRBlocks: 3
; NumSGPRsForWavesPerEU: 26
; NumVGPRsForWavesPerEU: 28
; Occupancy: 16
; WaveLimiterHint : 0
; COMPUTE_PGM_RSRC2:SCRATCH_EN: 0
; COMPUTE_PGM_RSRC2:USER_SGPR: 13
; COMPUTE_PGM_RSRC2:TRAP_HANDLER: 0
; COMPUTE_PGM_RSRC2:TGID_X_EN: 1
; COMPUTE_PGM_RSRC2:TGID_Y_EN: 1
; COMPUTE_PGM_RSRC2:TGID_Z_EN: 1
; COMPUTE_PGM_RSRC2:TIDIG_COMP_CNT: 1
	.section	.text._ZL32rocblas_syrkx_herkx_small_kernelIidLi16ELb0ELb0ELc67ELc85EKddEviT_T0_PT6_S1_lS4_S1_lS2_PT7_S1_li,"axG",@progbits,_ZL32rocblas_syrkx_herkx_small_kernelIidLi16ELb0ELb0ELc67ELc85EKddEviT_T0_PT6_S1_lS4_S1_lS2_PT7_S1_li,comdat
	.globl	_ZL32rocblas_syrkx_herkx_small_kernelIidLi16ELb0ELb0ELc67ELc85EKddEviT_T0_PT6_S1_lS4_S1_lS2_PT7_S1_li ; -- Begin function _ZL32rocblas_syrkx_herkx_small_kernelIidLi16ELb0ELb0ELc67ELc85EKddEviT_T0_PT6_S1_lS4_S1_lS2_PT7_S1_li
	.p2align	8
	.type	_ZL32rocblas_syrkx_herkx_small_kernelIidLi16ELb0ELb0ELc67ELc85EKddEviT_T0_PT6_S1_lS4_S1_lS2_PT7_S1_li,@function
_ZL32rocblas_syrkx_herkx_small_kernelIidLi16ELb0ELb0ELc67ELc85EKddEviT_T0_PT6_S1_lS4_S1_lS2_PT7_S1_li: ; @_ZL32rocblas_syrkx_herkx_small_kernelIidLi16ELb0ELb0ELc67ELc85EKddEviT_T0_PT6_S1_lS4_S1_lS2_PT7_S1_li
; %bb.0:
	s_clause 0x3
	s_load_b64 s[22:23], s[0:1], 0x0
	s_load_b128 s[4:7], s[0:1], 0x8
	s_load_b128 s[8:11], s[0:1], 0x38
	s_load_b64 s[20:21], s[0:1], 0x48
	v_bfe_u32 v14, v0, 10, 10
	v_and_b32_e32 v15, 0x3ff, v0
	s_mov_b32 s12, 0
	s_delay_alu instid0(VALU_DEP_2) | instskip(NEXT) | instid1(VALU_DEP_2)
	v_lshl_add_u32 v13, s14, 4, v14
	v_lshl_add_u32 v0, s13, 4, v15
	s_waitcnt lgkmcnt(0)
	s_delay_alu instid0(VALU_DEP_2)
	v_cmp_gt_i32_e32 vcc_lo, s22, v13
	s_cmp_lt_i32 s23, 1
	s_cbranch_scc1 .LBB137_7
; %bb.1:
	s_clause 0x2
	s_load_b32 s3, s[0:1], 0x30
	s_load_b32 s13, s[0:1], 0x18
	s_load_b128 s[16:19], s[0:1], 0x20
	v_lshlrev_b32_e32 v5, 7, v14
	v_dual_mov_b32 v1, 0 :: v_dual_lshlrev_b32 v16, 3, v15
	v_mov_b32_e32 v2, 0
	s_mul_i32 s9, s9, s15
	s_delay_alu instid0(VALU_DEP_3) | instskip(NEXT) | instid1(VALU_DEP_3)
	v_add_nc_u32_e32 v18, 0x800, v5
	v_add_nc_u32_e32 v17, v16, v5
	s_mul_hi_u32 s14, s8, s15
	s_mul_i32 s8, s8, s15
	s_add_i32 s9, s14, s9
	v_lshlrev_b32_e32 v7, 3, v14
	s_lshl_b64 s[8:9], s[8:9], 3
	v_cmp_gt_i32_e64 s2, s22, v0
	s_waitcnt lgkmcnt(0)
	v_mad_i64_i32 v[3:4], null, s3, v13, 0
	v_mad_i64_i32 v[5:6], null, s13, v0, 0
	s_mul_i32 s3, s17, s15
	s_mul_hi_u32 s13, s16, s15
	s_mul_i32 s16, s16, s15
	s_add_i32 s17, s13, s3
	s_delay_alu instid0(VALU_DEP_2) | instskip(SKIP_1) | instid1(VALU_DEP_2)
	v_lshlrev_b64 v[3:4], 3, v[3:4]
	s_lshl_b64 s[16:17], s[16:17], 3
	v_lshlrev_b64 v[5:6], 3, v[5:6]
	s_delay_alu instid0(VALU_DEP_2) | instskip(NEXT) | instid1(VALU_DEP_1)
	v_add_co_u32 v3, s3, v3, s8
	v_add_co_ci_u32_e64 v4, s3, s9, v4, s3
	s_delay_alu instid0(VALU_DEP_3) | instskip(NEXT) | instid1(VALU_DEP_1)
	v_add_co_u32 v5, s3, v5, s16
	v_add_co_ci_u32_e64 v6, s3, s17, v6, s3
	s_delay_alu instid0(VALU_DEP_4) | instskip(NEXT) | instid1(VALU_DEP_1)
	v_add_co_u32 v3, s3, v3, v16
	v_add_co_ci_u32_e64 v4, s3, 0, v4, s3
	s_delay_alu instid0(VALU_DEP_4) | instskip(SKIP_3) | instid1(VALU_DEP_1)
	v_add_co_u32 v5, s3, v5, v7
	v_mov_b32_e32 v8, v2
	v_add_co_ci_u32_e64 v6, s3, 0, v6, s3
	v_add_co_u32 v3, s3, s18, v3
	v_add_co_ci_u32_e64 v4, s3, s19, v4, s3
	v_add_co_u32 v5, s3, s6, v5
	s_delay_alu instid0(VALU_DEP_1)
	v_add_co_ci_u32_e64 v6, s3, s7, v6, s3
	v_mov_b32_e32 v7, v1
	v_add_nc_u32_e32 v19, v18, v16
	s_branch .LBB137_3
.LBB137_2:                              ;   in Loop: Header=BB137_3 Depth=1
	s_or_b32 exec_lo, exec_lo, s3
	s_waitcnt vmcnt(0)
	ds_store_b64 v19, v[11:12]
	s_waitcnt lgkmcnt(0)
	s_barrier
	buffer_gl0_inv
	ds_load_2addr_b64 v[9:12], v16 offset1:16
	ds_load_b128 v[20:23], v18
	ds_load_b128 v[24:27], v18 offset:16
	v_add_co_u32 v3, s3, 0x80, v3
	s_delay_alu instid0(VALU_DEP_1) | instskip(SKIP_1) | instid1(VALU_DEP_1)
	v_add_co_ci_u32_e64 v4, s3, 0, v4, s3
	v_add_co_u32 v5, s3, 0x80, v5
	v_add_co_ci_u32_e64 v6, s3, 0, v6, s3
	s_add_i32 s12, s12, 16
	s_delay_alu instid0(SALU_CYCLE_1) | instskip(SKIP_2) | instid1(VALU_DEP_1)
	s_cmp_ge_i32 s12, s23
	s_waitcnt lgkmcnt(1)
	v_fma_f64 v[7:8], v[9:10], v[20:21], v[7:8]
	v_fma_f64 v[11:12], v[11:12], v[22:23], v[7:8]
	ds_load_2addr_b64 v[7:10], v16 offset0:32 offset1:48
	s_waitcnt lgkmcnt(0)
	v_fma_f64 v[7:8], v[7:8], v[24:25], v[11:12]
	s_delay_alu instid0(VALU_DEP_1)
	v_fma_f64 v[11:12], v[9:10], v[26:27], v[7:8]
	ds_load_2addr_b64 v[7:10], v16 offset0:64 offset1:80
	ds_load_b128 v[20:23], v18 offset:32
	ds_load_b128 v[24:27], v18 offset:48
	s_waitcnt lgkmcnt(1)
	v_fma_f64 v[7:8], v[7:8], v[20:21], v[11:12]
	s_delay_alu instid0(VALU_DEP_1) | instskip(SKIP_3) | instid1(VALU_DEP_1)
	v_fma_f64 v[11:12], v[9:10], v[22:23], v[7:8]
	ds_load_2addr_b64 v[7:10], v16 offset0:96 offset1:112
	s_waitcnt lgkmcnt(0)
	v_fma_f64 v[7:8], v[7:8], v[24:25], v[11:12]
	v_fma_f64 v[11:12], v[9:10], v[26:27], v[7:8]
	ds_load_2addr_b64 v[7:10], v16 offset0:128 offset1:144
	ds_load_b128 v[20:23], v18 offset:64
	ds_load_b128 v[24:27], v18 offset:80
	s_waitcnt lgkmcnt(1)
	v_fma_f64 v[7:8], v[7:8], v[20:21], v[11:12]
	s_delay_alu instid0(VALU_DEP_1) | instskip(SKIP_3) | instid1(VALU_DEP_1)
	v_fma_f64 v[11:12], v[9:10], v[22:23], v[7:8]
	ds_load_2addr_b64 v[7:10], v16 offset0:160 offset1:176
	s_waitcnt lgkmcnt(0)
	v_fma_f64 v[7:8], v[7:8], v[24:25], v[11:12]
	v_fma_f64 v[11:12], v[9:10], v[26:27], v[7:8]
	ds_load_2addr_b64 v[7:10], v16 offset0:192 offset1:208
	ds_load_b128 v[20:23], v18 offset:96
	ds_load_b128 v[24:27], v18 offset:112
	s_waitcnt lgkmcnt(1)
	v_fma_f64 v[7:8], v[7:8], v[20:21], v[11:12]
	s_delay_alu instid0(VALU_DEP_1)
	v_fma_f64 v[11:12], v[9:10], v[22:23], v[7:8]
	ds_load_2addr_b64 v[7:10], v16 offset0:224 offset1:240
	s_waitcnt lgkmcnt(0)
	s_barrier
	buffer_gl0_inv
	v_fma_f64 v[7:8], v[7:8], v[24:25], v[11:12]
	s_delay_alu instid0(VALU_DEP_1)
	v_fma_f64 v[7:8], v[9:10], v[26:27], v[7:8]
	s_cbranch_scc1 .LBB137_8
.LBB137_3:                              ; =>This Inner Loop Header: Depth=1
	v_add_nc_u32_e32 v9, s12, v14
	s_delay_alu instid0(VALU_DEP_1) | instskip(SKIP_1) | instid1(VALU_DEP_2)
	v_cmp_gt_i32_e64 s3, s23, v9
	v_dual_mov_b32 v10, v2 :: v_dual_mov_b32 v9, v1
	s_and_b32 s6, s2, s3
	s_delay_alu instid0(SALU_CYCLE_1)
	s_and_saveexec_b32 s3, s6
	s_cbranch_execz .LBB137_5
; %bb.4:                                ;   in Loop: Header=BB137_3 Depth=1
	global_load_b64 v[9:10], v[5:6], off
.LBB137_5:                              ;   in Loop: Header=BB137_3 Depth=1
	s_or_b32 exec_lo, exec_lo, s3
	v_add_nc_u32_e32 v11, s12, v15
	s_waitcnt vmcnt(0)
	ds_store_b64 v17, v[9:10]
	v_cmp_gt_i32_e64 s3, s23, v11
	v_mov_b32_e32 v11, 0
	v_mov_b32_e32 v12, 0
	s_delay_alu instid0(VALU_DEP_3) | instskip(NEXT) | instid1(SALU_CYCLE_1)
	s_and_b32 s6, vcc_lo, s3
	s_and_saveexec_b32 s3, s6
	s_cbranch_execz .LBB137_2
; %bb.6:                                ;   in Loop: Header=BB137_3 Depth=1
	global_load_b64 v[11:12], v[3:4], off
	s_branch .LBB137_2
.LBB137_7:
	v_mov_b32_e32 v7, 0
	v_mov_b32_e32 v8, 0
.LBB137_8:
	v_cmp_le_i32_e32 vcc_lo, v0, v13
	v_cmp_gt_i32_e64 s2, s22, v13
	s_delay_alu instid0(VALU_DEP_1) | instskip(NEXT) | instid1(SALU_CYCLE_1)
	s_and_b32 s2, vcc_lo, s2
	s_and_saveexec_b32 s3, s2
	s_cbranch_execz .LBB137_10
; %bb.9:
	s_clause 0x1
	s_load_b32 s2, s[0:1], 0x50
	s_load_b64 s[0:1], s[0:1], 0x58
	v_ashrrev_i32_e32 v1, 31, v0
	s_delay_alu instid0(VALU_DEP_1)
	v_lshlrev_b64 v[0:1], 3, v[0:1]
	s_waitcnt lgkmcnt(0)
	v_mad_i64_i32 v[2:3], null, s2, v13, 0
	s_mul_i32 s1, s15, s1
	s_mul_hi_u32 s2, s15, s0
	s_mul_i32 s0, s15, s0
	s_add_i32 s1, s2, s1
	s_delay_alu instid0(SALU_CYCLE_1) | instskip(NEXT) | instid1(VALU_DEP_1)
	s_lshl_b64 s[0:1], s[0:1], 3
	v_lshlrev_b64 v[2:3], 3, v[2:3]
	s_add_u32 s0, s20, s0
	s_addc_u32 s1, s21, s1
	s_delay_alu instid0(VALU_DEP_1) | instskip(NEXT) | instid1(VALU_DEP_2)
	v_add_co_u32 v2, vcc_lo, s0, v2
	v_add_co_ci_u32_e32 v3, vcc_lo, s1, v3, vcc_lo
	s_delay_alu instid0(VALU_DEP_2) | instskip(NEXT) | instid1(VALU_DEP_2)
	v_add_co_u32 v0, vcc_lo, v2, v0
	v_add_co_ci_u32_e32 v1, vcc_lo, v3, v1, vcc_lo
	global_load_b64 v[2:3], v[0:1], off
	s_waitcnt vmcnt(0)
	v_mul_f64 v[2:3], v[2:3], s[10:11]
	s_delay_alu instid0(VALU_DEP_1)
	v_fma_f64 v[2:3], v[7:8], s[4:5], v[2:3]
	global_store_b64 v[0:1], v[2:3], off
.LBB137_10:
	s_nop 0
	s_sendmsg sendmsg(MSG_DEALLOC_VGPRS)
	s_endpgm
	.section	.rodata,"a",@progbits
	.p2align	6, 0x0
	.amdhsa_kernel _ZL32rocblas_syrkx_herkx_small_kernelIidLi16ELb0ELb0ELc67ELc85EKddEviT_T0_PT6_S1_lS4_S1_lS2_PT7_S1_li
		.amdhsa_group_segment_fixed_size 4096
		.amdhsa_private_segment_fixed_size 0
		.amdhsa_kernarg_size 100
		.amdhsa_user_sgpr_count 13
		.amdhsa_user_sgpr_dispatch_ptr 0
		.amdhsa_user_sgpr_queue_ptr 0
		.amdhsa_user_sgpr_kernarg_segment_ptr 1
		.amdhsa_user_sgpr_dispatch_id 0
		.amdhsa_user_sgpr_private_segment_size 0
		.amdhsa_wavefront_size32 1
		.amdhsa_uses_dynamic_stack 0
		.amdhsa_enable_private_segment 0
		.amdhsa_system_sgpr_workgroup_id_x 1
		.amdhsa_system_sgpr_workgroup_id_y 1
		.amdhsa_system_sgpr_workgroup_id_z 1
		.amdhsa_system_sgpr_workgroup_info 0
		.amdhsa_system_vgpr_workitem_id 1
		.amdhsa_next_free_vgpr 28
		.amdhsa_next_free_sgpr 24
		.amdhsa_reserve_vcc 1
		.amdhsa_float_round_mode_32 0
		.amdhsa_float_round_mode_16_64 0
		.amdhsa_float_denorm_mode_32 3
		.amdhsa_float_denorm_mode_16_64 3
		.amdhsa_dx10_clamp 1
		.amdhsa_ieee_mode 1
		.amdhsa_fp16_overflow 0
		.amdhsa_workgroup_processor_mode 1
		.amdhsa_memory_ordered 1
		.amdhsa_forward_progress 0
		.amdhsa_shared_vgpr_count 0
		.amdhsa_exception_fp_ieee_invalid_op 0
		.amdhsa_exception_fp_denorm_src 0
		.amdhsa_exception_fp_ieee_div_zero 0
		.amdhsa_exception_fp_ieee_overflow 0
		.amdhsa_exception_fp_ieee_underflow 0
		.amdhsa_exception_fp_ieee_inexact 0
		.amdhsa_exception_int_div_zero 0
	.end_amdhsa_kernel
	.section	.text._ZL32rocblas_syrkx_herkx_small_kernelIidLi16ELb0ELb0ELc67ELc85EKddEviT_T0_PT6_S1_lS4_S1_lS2_PT7_S1_li,"axG",@progbits,_ZL32rocblas_syrkx_herkx_small_kernelIidLi16ELb0ELb0ELc67ELc85EKddEviT_T0_PT6_S1_lS4_S1_lS2_PT7_S1_li,comdat
.Lfunc_end137:
	.size	_ZL32rocblas_syrkx_herkx_small_kernelIidLi16ELb0ELb0ELc67ELc85EKddEviT_T0_PT6_S1_lS4_S1_lS2_PT7_S1_li, .Lfunc_end137-_ZL32rocblas_syrkx_herkx_small_kernelIidLi16ELb0ELb0ELc67ELc85EKddEviT_T0_PT6_S1_lS4_S1_lS2_PT7_S1_li
                                        ; -- End function
	.section	.AMDGPU.csdata,"",@progbits
; Kernel info:
; codeLenInByte = 1112
; NumSgprs: 26
; NumVgprs: 28
; ScratchSize: 0
; MemoryBound: 0
; FloatMode: 240
; IeeeMode: 1
; LDSByteSize: 4096 bytes/workgroup (compile time only)
; SGPRBlocks: 3
; VGPRBlocks: 3
; NumSGPRsForWavesPerEU: 26
; NumVGPRsForWavesPerEU: 28
; Occupancy: 16
; WaveLimiterHint : 0
; COMPUTE_PGM_RSRC2:SCRATCH_EN: 0
; COMPUTE_PGM_RSRC2:USER_SGPR: 13
; COMPUTE_PGM_RSRC2:TRAP_HANDLER: 0
; COMPUTE_PGM_RSRC2:TGID_X_EN: 1
; COMPUTE_PGM_RSRC2:TGID_Y_EN: 1
; COMPUTE_PGM_RSRC2:TGID_Z_EN: 1
; COMPUTE_PGM_RSRC2:TIDIG_COMP_CNT: 1
	.section	.text._ZL32rocblas_syrkx_herkx_small_kernelIidLi16ELb0ELb0ELc78ELc85EKddEviT_T0_PT6_S1_lS4_S1_lS2_PT7_S1_li,"axG",@progbits,_ZL32rocblas_syrkx_herkx_small_kernelIidLi16ELb0ELb0ELc78ELc85EKddEviT_T0_PT6_S1_lS4_S1_lS2_PT7_S1_li,comdat
	.globl	_ZL32rocblas_syrkx_herkx_small_kernelIidLi16ELb0ELb0ELc78ELc85EKddEviT_T0_PT6_S1_lS4_S1_lS2_PT7_S1_li ; -- Begin function _ZL32rocblas_syrkx_herkx_small_kernelIidLi16ELb0ELb0ELc78ELc85EKddEviT_T0_PT6_S1_lS4_S1_lS2_PT7_S1_li
	.p2align	8
	.type	_ZL32rocblas_syrkx_herkx_small_kernelIidLi16ELb0ELb0ELc78ELc85EKddEviT_T0_PT6_S1_lS4_S1_lS2_PT7_S1_li,@function
_ZL32rocblas_syrkx_herkx_small_kernelIidLi16ELb0ELb0ELc78ELc85EKddEviT_T0_PT6_S1_lS4_S1_lS2_PT7_S1_li: ; @_ZL32rocblas_syrkx_herkx_small_kernelIidLi16ELb0ELb0ELc78ELc85EKddEviT_T0_PT6_S1_lS4_S1_lS2_PT7_S1_li
; %bb.0:
	s_clause 0x3
	s_load_b64 s[22:23], s[0:1], 0x0
	s_load_b128 s[4:7], s[0:1], 0x8
	s_load_b128 s[8:11], s[0:1], 0x38
	s_load_b64 s[20:21], s[0:1], 0x48
	v_and_b32_e32 v15, 0x3ff, v0
	v_bfe_u32 v16, v0, 10, 10
	s_mov_b32 s12, 0
	s_delay_alu instid0(VALU_DEP_2) | instskip(NEXT) | instid1(VALU_DEP_2)
	v_lshl_add_u32 v0, s13, 4, v15
	v_lshl_add_u32 v2, s14, 4, v16
	s_delay_alu instid0(VALU_DEP_2) | instskip(SKIP_1) | instid1(VALU_DEP_2)
	v_ashrrev_i32_e32 v1, 31, v0
	s_waitcnt lgkmcnt(0)
	v_cmp_gt_i32_e32 vcc_lo, s22, v2
	s_cmp_lt_i32 s23, 1
	s_cbranch_scc1 .LBB138_7
; %bb.1:
	s_clause 0x2
	s_load_b32 s24, s[0:1], 0x30
	s_load_b32 s26, s[0:1], 0x18
	s_load_b128 s[16:19], s[0:1], 0x20
	v_lshlrev_b32_e32 v6, 7, v16
	v_lshlrev_b32_e32 v17, 3, v15
	s_mul_i32 s3, s9, s15
	s_mul_hi_u32 s9, s8, s15
	v_ashrrev_i32_e32 v3, 31, v2
	v_add_nc_u32_e32 v18, 0x800, v6
	v_add_nc_u32_e32 v19, v17, v6
	s_mul_i32 s8, s8, s15
	s_add_i32 s9, s9, s3
	v_lshlrev_b64 v[8:9], 3, v[2:3]
	s_lshl_b64 s[8:9], s[8:9], 3
	v_lshlrev_b64 v[4:5], 3, v[0:1]
	v_cmp_gt_i32_e64 s2, s22, v0
	s_waitcnt lgkmcnt(0)
	v_mad_i64_i32 v[6:7], null, s24, v15, 0
	v_mad_i64_i32 v[10:11], null, s26, v16, 0
	s_mul_i32 s3, s17, s15
	s_mul_hi_u32 s13, s16, s15
	s_mul_i32 s16, s16, s15
	s_add_i32 s17, s13, s3
	s_delay_alu instid0(VALU_DEP_2) | instskip(SKIP_1) | instid1(VALU_DEP_2)
	v_lshlrev_b64 v[6:7], 3, v[6:7]
	s_lshl_b64 s[16:17], s[16:17], 3
	v_lshlrev_b64 v[10:11], 3, v[10:11]
	s_ashr_i32 s25, s24, 31
	s_ashr_i32 s27, s26, 31
	s_delay_alu instid0(VALU_DEP_2) | instskip(NEXT) | instid1(VALU_DEP_1)
	v_add_co_u32 v3, s3, s8, v6
	v_add_co_ci_u32_e64 v6, s3, s9, v7, s3
	s_delay_alu instid0(VALU_DEP_3) | instskip(NEXT) | instid1(VALU_DEP_1)
	v_add_co_u32 v7, s3, s16, v10
	v_add_co_ci_u32_e64 v10, s3, s17, v11, s3
	s_delay_alu instid0(VALU_DEP_4) | instskip(NEXT) | instid1(VALU_DEP_1)
	v_add_co_u32 v8, s3, v3, v8
	v_add_co_ci_u32_e64 v6, s3, v6, v9, s3
	s_delay_alu instid0(VALU_DEP_4) | instskip(NEXT) | instid1(VALU_DEP_1)
	v_add_co_u32 v7, s3, v7, v4
	v_add_co_ci_u32_e64 v9, s3, v10, v5, s3
	v_mov_b32_e32 v3, 0
	v_mov_b32_e32 v4, 0
	v_add_co_u32 v5, s3, s18, v8
	s_delay_alu instid0(VALU_DEP_1) | instskip(SKIP_1) | instid1(VALU_DEP_1)
	v_add_co_ci_u32_e64 v6, s3, s19, v6, s3
	v_add_co_u32 v7, s3, s6, v7
	v_add_co_ci_u32_e64 v8, s3, s7, v9, s3
	v_dual_mov_b32 v10, v4 :: v_dual_mov_b32 v9, v3
	v_add_nc_u32_e32 v20, v18, v17
	s_lshl_b64 s[6:7], s[24:25], 7
	s_lshl_b64 s[8:9], s[26:27], 7
	s_branch .LBB138_3
.LBB138_2:                              ;   in Loop: Header=BB138_3 Depth=1
	s_or_b32 exec_lo, exec_lo, s3
	s_waitcnt vmcnt(0)
	ds_store_b64 v20, v[13:14]
	s_waitcnt lgkmcnt(0)
	s_barrier
	buffer_gl0_inv
	ds_load_2addr_b64 v[11:14], v17 offset1:16
	ds_load_b128 v[21:24], v18
	ds_load_b128 v[25:28], v18 offset:16
	v_add_co_u32 v5, s3, v5, s6
	s_delay_alu instid0(VALU_DEP_1) | instskip(SKIP_1) | instid1(VALU_DEP_1)
	v_add_co_ci_u32_e64 v6, s3, s7, v6, s3
	v_add_co_u32 v7, s3, v7, s8
	v_add_co_ci_u32_e64 v8, s3, s9, v8, s3
	s_add_i32 s12, s12, 16
	s_delay_alu instid0(SALU_CYCLE_1) | instskip(SKIP_2) | instid1(VALU_DEP_1)
	s_cmp_ge_i32 s12, s23
	s_waitcnt lgkmcnt(1)
	v_fma_f64 v[9:10], v[11:12], v[21:22], v[9:10]
	v_fma_f64 v[13:14], v[13:14], v[23:24], v[9:10]
	ds_load_2addr_b64 v[9:12], v17 offset0:32 offset1:48
	s_waitcnt lgkmcnt(0)
	v_fma_f64 v[9:10], v[9:10], v[25:26], v[13:14]
	s_delay_alu instid0(VALU_DEP_1)
	v_fma_f64 v[13:14], v[11:12], v[27:28], v[9:10]
	ds_load_2addr_b64 v[9:12], v17 offset0:64 offset1:80
	ds_load_b128 v[21:24], v18 offset:32
	ds_load_b128 v[25:28], v18 offset:48
	s_waitcnt lgkmcnt(1)
	v_fma_f64 v[9:10], v[9:10], v[21:22], v[13:14]
	s_delay_alu instid0(VALU_DEP_1) | instskip(SKIP_3) | instid1(VALU_DEP_1)
	v_fma_f64 v[13:14], v[11:12], v[23:24], v[9:10]
	ds_load_2addr_b64 v[9:12], v17 offset0:96 offset1:112
	s_waitcnt lgkmcnt(0)
	v_fma_f64 v[9:10], v[9:10], v[25:26], v[13:14]
	v_fma_f64 v[13:14], v[11:12], v[27:28], v[9:10]
	ds_load_2addr_b64 v[9:12], v17 offset0:128 offset1:144
	ds_load_b128 v[21:24], v18 offset:64
	ds_load_b128 v[25:28], v18 offset:80
	s_waitcnt lgkmcnt(1)
	v_fma_f64 v[9:10], v[9:10], v[21:22], v[13:14]
	s_delay_alu instid0(VALU_DEP_1) | instskip(SKIP_3) | instid1(VALU_DEP_1)
	v_fma_f64 v[13:14], v[11:12], v[23:24], v[9:10]
	ds_load_2addr_b64 v[9:12], v17 offset0:160 offset1:176
	s_waitcnt lgkmcnt(0)
	v_fma_f64 v[9:10], v[9:10], v[25:26], v[13:14]
	v_fma_f64 v[13:14], v[11:12], v[27:28], v[9:10]
	ds_load_2addr_b64 v[9:12], v17 offset0:192 offset1:208
	ds_load_b128 v[21:24], v18 offset:96
	ds_load_b128 v[25:28], v18 offset:112
	s_waitcnt lgkmcnt(1)
	v_fma_f64 v[9:10], v[9:10], v[21:22], v[13:14]
	s_delay_alu instid0(VALU_DEP_1)
	v_fma_f64 v[13:14], v[11:12], v[23:24], v[9:10]
	ds_load_2addr_b64 v[9:12], v17 offset0:224 offset1:240
	s_waitcnt lgkmcnt(0)
	s_barrier
	buffer_gl0_inv
	v_fma_f64 v[9:10], v[9:10], v[25:26], v[13:14]
	s_delay_alu instid0(VALU_DEP_1)
	v_fma_f64 v[9:10], v[11:12], v[27:28], v[9:10]
	s_cbranch_scc1 .LBB138_8
.LBB138_3:                              ; =>This Inner Loop Header: Depth=1
	v_add_nc_u32_e32 v11, s12, v16
	s_delay_alu instid0(VALU_DEP_1) | instskip(SKIP_1) | instid1(VALU_DEP_2)
	v_cmp_gt_i32_e64 s3, s23, v11
	v_dual_mov_b32 v12, v4 :: v_dual_mov_b32 v11, v3
	s_and_b32 s13, s2, s3
	s_delay_alu instid0(SALU_CYCLE_1)
	s_and_saveexec_b32 s3, s13
	s_cbranch_execz .LBB138_5
; %bb.4:                                ;   in Loop: Header=BB138_3 Depth=1
	global_load_b64 v[11:12], v[7:8], off
.LBB138_5:                              ;   in Loop: Header=BB138_3 Depth=1
	s_or_b32 exec_lo, exec_lo, s3
	v_add_nc_u32_e32 v13, s12, v15
	s_waitcnt vmcnt(0)
	ds_store_b64 v19, v[11:12]
	v_cmp_gt_i32_e64 s3, s23, v13
	v_mov_b32_e32 v13, 0
	v_mov_b32_e32 v14, 0
	s_delay_alu instid0(VALU_DEP_3) | instskip(NEXT) | instid1(SALU_CYCLE_1)
	s_and_b32 s13, vcc_lo, s3
	s_and_saveexec_b32 s3, s13
	s_cbranch_execz .LBB138_2
; %bb.6:                                ;   in Loop: Header=BB138_3 Depth=1
	global_load_b64 v[13:14], v[5:6], off
	s_branch .LBB138_2
.LBB138_7:
	v_mov_b32_e32 v9, 0
	v_mov_b32_e32 v10, 0
.LBB138_8:
	v_cmp_le_i32_e32 vcc_lo, v0, v2
	v_cmp_gt_i32_e64 s2, s22, v2
	s_delay_alu instid0(VALU_DEP_1) | instskip(NEXT) | instid1(SALU_CYCLE_1)
	s_and_b32 s2, vcc_lo, s2
	s_and_saveexec_b32 s3, s2
	s_cbranch_execz .LBB138_10
; %bb.9:
	s_clause 0x1
	s_load_b32 s2, s[0:1], 0x50
	s_load_b64 s[0:1], s[0:1], 0x58
	v_lshlrev_b64 v[0:1], 3, v[0:1]
	s_waitcnt lgkmcnt(0)
	v_mad_i64_i32 v[3:4], null, s2, v2, 0
	s_mul_i32 s1, s15, s1
	s_mul_hi_u32 s2, s15, s0
	s_mul_i32 s0, s15, s0
	s_add_i32 s1, s2, s1
	s_delay_alu instid0(SALU_CYCLE_1) | instskip(NEXT) | instid1(VALU_DEP_1)
	s_lshl_b64 s[0:1], s[0:1], 3
	v_lshlrev_b64 v[2:3], 3, v[3:4]
	s_add_u32 s0, s20, s0
	s_addc_u32 s1, s21, s1
	s_delay_alu instid0(VALU_DEP_1) | instskip(NEXT) | instid1(VALU_DEP_2)
	v_add_co_u32 v2, vcc_lo, s0, v2
	v_add_co_ci_u32_e32 v3, vcc_lo, s1, v3, vcc_lo
	s_delay_alu instid0(VALU_DEP_2) | instskip(NEXT) | instid1(VALU_DEP_2)
	v_add_co_u32 v0, vcc_lo, v2, v0
	v_add_co_ci_u32_e32 v1, vcc_lo, v3, v1, vcc_lo
	global_load_b64 v[2:3], v[0:1], off
	s_waitcnt vmcnt(0)
	v_mul_f64 v[2:3], v[2:3], s[10:11]
	s_delay_alu instid0(VALU_DEP_1)
	v_fma_f64 v[2:3], v[9:10], s[4:5], v[2:3]
	global_store_b64 v[0:1], v[2:3], off
.LBB138_10:
	s_nop 0
	s_sendmsg sendmsg(MSG_DEALLOC_VGPRS)
	s_endpgm
	.section	.rodata,"a",@progbits
	.p2align	6, 0x0
	.amdhsa_kernel _ZL32rocblas_syrkx_herkx_small_kernelIidLi16ELb0ELb0ELc78ELc85EKddEviT_T0_PT6_S1_lS4_S1_lS2_PT7_S1_li
		.amdhsa_group_segment_fixed_size 4096
		.amdhsa_private_segment_fixed_size 0
		.amdhsa_kernarg_size 100
		.amdhsa_user_sgpr_count 13
		.amdhsa_user_sgpr_dispatch_ptr 0
		.amdhsa_user_sgpr_queue_ptr 0
		.amdhsa_user_sgpr_kernarg_segment_ptr 1
		.amdhsa_user_sgpr_dispatch_id 0
		.amdhsa_user_sgpr_private_segment_size 0
		.amdhsa_wavefront_size32 1
		.amdhsa_uses_dynamic_stack 0
		.amdhsa_enable_private_segment 0
		.amdhsa_system_sgpr_workgroup_id_x 1
		.amdhsa_system_sgpr_workgroup_id_y 1
		.amdhsa_system_sgpr_workgroup_id_z 1
		.amdhsa_system_sgpr_workgroup_info 0
		.amdhsa_system_vgpr_workitem_id 1
		.amdhsa_next_free_vgpr 29
		.amdhsa_next_free_sgpr 28
		.amdhsa_reserve_vcc 1
		.amdhsa_float_round_mode_32 0
		.amdhsa_float_round_mode_16_64 0
		.amdhsa_float_denorm_mode_32 3
		.amdhsa_float_denorm_mode_16_64 3
		.amdhsa_dx10_clamp 1
		.amdhsa_ieee_mode 1
		.amdhsa_fp16_overflow 0
		.amdhsa_workgroup_processor_mode 1
		.amdhsa_memory_ordered 1
		.amdhsa_forward_progress 0
		.amdhsa_shared_vgpr_count 0
		.amdhsa_exception_fp_ieee_invalid_op 0
		.amdhsa_exception_fp_denorm_src 0
		.amdhsa_exception_fp_ieee_div_zero 0
		.amdhsa_exception_fp_ieee_overflow 0
		.amdhsa_exception_fp_ieee_underflow 0
		.amdhsa_exception_fp_ieee_inexact 0
		.amdhsa_exception_int_div_zero 0
	.end_amdhsa_kernel
	.section	.text._ZL32rocblas_syrkx_herkx_small_kernelIidLi16ELb0ELb0ELc78ELc85EKddEviT_T0_PT6_S1_lS4_S1_lS2_PT7_S1_li,"axG",@progbits,_ZL32rocblas_syrkx_herkx_small_kernelIidLi16ELb0ELb0ELc78ELc85EKddEviT_T0_PT6_S1_lS4_S1_lS2_PT7_S1_li,comdat
.Lfunc_end138:
	.size	_ZL32rocblas_syrkx_herkx_small_kernelIidLi16ELb0ELb0ELc78ELc85EKddEviT_T0_PT6_S1_lS4_S1_lS2_PT7_S1_li, .Lfunc_end138-_ZL32rocblas_syrkx_herkx_small_kernelIidLi16ELb0ELb0ELc78ELc85EKddEviT_T0_PT6_S1_lS4_S1_lS2_PT7_S1_li
                                        ; -- End function
	.section	.AMDGPU.csdata,"",@progbits
; Kernel info:
; codeLenInByte = 1128
; NumSgprs: 30
; NumVgprs: 29
; ScratchSize: 0
; MemoryBound: 0
; FloatMode: 240
; IeeeMode: 1
; LDSByteSize: 4096 bytes/workgroup (compile time only)
; SGPRBlocks: 3
; VGPRBlocks: 3
; NumSGPRsForWavesPerEU: 30
; NumVGPRsForWavesPerEU: 29
; Occupancy: 16
; WaveLimiterHint : 0
; COMPUTE_PGM_RSRC2:SCRATCH_EN: 0
; COMPUTE_PGM_RSRC2:USER_SGPR: 13
; COMPUTE_PGM_RSRC2:TRAP_HANDLER: 0
; COMPUTE_PGM_RSRC2:TGID_X_EN: 1
; COMPUTE_PGM_RSRC2:TGID_Y_EN: 1
; COMPUTE_PGM_RSRC2:TGID_Z_EN: 1
; COMPUTE_PGM_RSRC2:TIDIG_COMP_CNT: 1
	.section	.text._ZL34rocblas_syrkx_herkx_general_kernelIidLi16ELi32ELi8ELb1ELb0ELc84ELc76EKddEviT_T0_PT8_S1_lS4_S1_lS2_PT9_S1_li,"axG",@progbits,_ZL34rocblas_syrkx_herkx_general_kernelIidLi16ELi32ELi8ELb1ELb0ELc84ELc76EKddEviT_T0_PT8_S1_lS4_S1_lS2_PT9_S1_li,comdat
	.globl	_ZL34rocblas_syrkx_herkx_general_kernelIidLi16ELi32ELi8ELb1ELb0ELc84ELc76EKddEviT_T0_PT8_S1_lS4_S1_lS2_PT9_S1_li ; -- Begin function _ZL34rocblas_syrkx_herkx_general_kernelIidLi16ELi32ELi8ELb1ELb0ELc84ELc76EKddEviT_T0_PT8_S1_lS4_S1_lS2_PT9_S1_li
	.p2align	8
	.type	_ZL34rocblas_syrkx_herkx_general_kernelIidLi16ELi32ELi8ELb1ELb0ELc84ELc76EKddEviT_T0_PT8_S1_lS4_S1_lS2_PT9_S1_li,@function
_ZL34rocblas_syrkx_herkx_general_kernelIidLi16ELi32ELi8ELb1ELb0ELc84ELc76EKddEviT_T0_PT8_S1_lS4_S1_lS2_PT9_S1_li: ; @_ZL34rocblas_syrkx_herkx_general_kernelIidLi16ELi32ELi8ELb1ELb0ELc84ELc76EKddEviT_T0_PT8_S1_lS4_S1_lS2_PT9_S1_li
; %bb.0:
	s_clause 0x1
	s_load_b64 s[16:17], s[0:1], 0x0
	s_load_b128 s[4:7], s[0:1], 0x8
	v_mov_b32_e32 v12, 0
	v_dual_mov_b32 v13, 0 :: v_dual_and_b32 v18, 0x3ff, v0
	v_bfe_u32 v19, v0, 10, 10
	s_delay_alu instid0(VALU_DEP_3) | instskip(NEXT) | instid1(VALU_DEP_3)
	v_mov_b32_e32 v10, v12
	v_dual_mov_b32 v2, v12 :: v_dual_mov_b32 v3, v13
	v_dual_mov_b32 v11, v13 :: v_dual_mov_b32 v0, v12
	v_mov_b32_e32 v1, v13
	s_lshl_b32 s12, s13, 5
	s_lshl_b32 s13, s14, 5
	s_mov_b32 s14, 0
	s_waitcnt lgkmcnt(0)
	s_cmp_lt_i32 s17, 1
	s_cbranch_scc1 .LBB139_7
; %bb.1:
	s_load_b32 s2, s[0:1], 0x18
	v_lshl_add_u32 v0, v19, 4, v18
	s_clause 0x2
	s_load_b128 s[8:11], s[0:1], 0x20
	s_load_b32 s3, s[0:1], 0x30
	s_load_b64 s[18:19], s[0:1], 0x38
	v_and_b32_e32 v20, 7, v18
	v_lshlrev_b32_e32 v21, 3, v18
	v_lshl_add_u32 v22, v19, 6, 0x800
	v_and_b32_e32 v2, 31, v0
	v_lshrrev_b32_e32 v1, 3, v0
	v_lshlrev_b32_e32 v4, 3, v20
	v_lshrrev_b32_e32 v23, 5, v0
	s_delay_alu instid0(VALU_DEP_4) | instskip(NEXT) | instid1(VALU_DEP_4)
	v_add_nc_u32_e32 v3, s12, v2
	v_add_nc_u32_e32 v5, s13, v1
	s_delay_alu instid0(VALU_DEP_4) | instskip(SKIP_2) | instid1(VALU_DEP_2)
	v_lshl_or_b32 v7, v1, 6, v4
	v_or_b32_e32 v6, s12, v2
	v_lshlrev_b32_e32 v2, 3, v2
	v_cmp_gt_i32_e32 vcc_lo, s16, v6
	s_waitcnt lgkmcnt(0)
	v_mad_i64_i32 v[0:1], null, s2, v3, 0
	s_mul_i32 s9, s9, s15
	s_mul_hi_u32 s20, s8, s15
	v_lshl_or_b32 v24, v23, 8, v2
	v_mad_i64_i32 v[2:3], null, s3, v5, 0
	s_mul_i32 s8, s8, s15
	s_delay_alu instid0(VALU_DEP_3)
	v_lshlrev_b64 v[0:1], 3, v[0:1]
	s_add_i32 s9, s20, s9
	v_cmp_gt_i32_e64 s2, s16, v5
	s_lshl_b64 s[8:9], s[8:9], 3
	s_delay_alu instid0(VALU_DEP_2) | instid1(SALU_CYCLE_1)
	v_add_co_u32 v5, s3, v0, s8
	s_delay_alu instid0(VALU_DEP_1)
	v_add_co_ci_u32_e64 v6, s3, s9, v1, s3
	s_mul_i32 s3, s19, s15
	s_mul_hi_u32 s8, s18, s15
	v_lshlrev_b64 v[0:1], 3, v[2:3]
	s_add_i32 s9, s8, s3
	s_mul_i32 s8, s18, s15
	v_lshlrev_b32_e32 v2, 3, v23
	s_lshl_b64 s[8:9], s[8:9], 3
	s_delay_alu instid0(VALU_DEP_2) | instid1(SALU_CYCLE_1)
	v_add_co_u32 v0, s3, v0, s8
	s_delay_alu instid0(VALU_DEP_1) | instskip(NEXT) | instid1(VALU_DEP_3)
	v_add_co_ci_u32_e64 v1, s3, s9, v1, s3
	v_add_co_u32 v2, s3, v5, v2
	s_delay_alu instid0(VALU_DEP_1) | instskip(NEXT) | instid1(VALU_DEP_4)
	v_add_co_ci_u32_e64 v3, s3, 0, v6, s3
	v_add_co_u32 v0, s3, v0, v4
	v_mov_b32_e32 v4, 0
	v_add_co_ci_u32_e64 v1, s3, 0, v1, s3
	v_mov_b32_e32 v5, 0
	v_add_co_u32 v6, s3, s6, v2
	v_add_nc_u32_e32 v25, 0x800, v7
	v_add_co_ci_u32_e64 v7, s3, s7, v3, s3
	v_mov_b32_e32 v2, v4
	v_add_co_u32 v8, s3, s10, v0
	v_mov_b32_e32 v11, v5
	v_add_co_ci_u32_e64 v9, s3, s11, v1, s3
	v_mov_b32_e32 v0, v4
	v_dual_mov_b32 v10, v4 :: v_dual_mov_b32 v13, v5
	v_mov_b32_e32 v1, v5
	v_dual_mov_b32 v3, v5 :: v_dual_mov_b32 v12, v4
	s_branch .LBB139_3
.LBB139_2:                              ;   in Loop: Header=BB139_3 Depth=1
	s_or_b32 exec_lo, exec_lo, s3
	s_waitcnt vmcnt(0)
	ds_store_b64 v25, v[16:17]
	s_waitcnt lgkmcnt(0)
	s_barrier
	buffer_gl0_inv
	ds_load_2addr_b64 v[14:17], v21 offset1:16
	ds_load_b128 v[26:29], v22
	ds_load_b128 v[30:33], v22 offset:1024
	ds_load_b128 v[34:37], v22 offset:16
	ds_load_b128 v[38:41], v22 offset:1040
	v_add_co_u32 v6, s3, v6, 64
	s_delay_alu instid0(VALU_DEP_1) | instskip(SKIP_1) | instid1(VALU_DEP_1)
	v_add_co_ci_u32_e64 v7, s3, 0, v7, s3
	v_add_co_u32 v8, s3, v8, 64
	v_add_co_ci_u32_e64 v9, s3, 0, v9, s3
	s_add_i32 s14, s14, 8
	s_delay_alu instid0(SALU_CYCLE_1)
	s_cmp_ge_i32 s14, s17
	s_waitcnt lgkmcnt(3)
	v_fma_f64 v[12:13], v[14:15], v[26:27], v[12:13]
	v_fma_f64 v[10:11], v[16:17], v[26:27], v[10:11]
	s_waitcnt lgkmcnt(2)
	v_fma_f64 v[14:15], v[14:15], v[30:31], v[2:3]
	v_fma_f64 v[16:17], v[16:17], v[30:31], v[0:1]
	ds_load_2addr_b64 v[0:3], v21 offset0:32 offset1:48
	s_waitcnt lgkmcnt(0)
	v_fma_f64 v[12:13], v[0:1], v[28:29], v[12:13]
	v_fma_f64 v[10:11], v[2:3], v[28:29], v[10:11]
	v_fma_f64 v[14:15], v[0:1], v[32:33], v[14:15]
	v_fma_f64 v[16:17], v[2:3], v[32:33], v[16:17]
	ds_load_2addr_b64 v[0:3], v21 offset0:64 offset1:80
	s_waitcnt lgkmcnt(0)
	v_fma_f64 v[12:13], v[0:1], v[34:35], v[12:13]
	v_fma_f64 v[10:11], v[2:3], v[34:35], v[10:11]
	;; [unrolled: 6-line block ×3, first 2 shown]
	v_fma_f64 v[38:39], v[0:1], v[40:41], v[14:15]
	v_fma_f64 v[40:41], v[2:3], v[40:41], v[16:17]
	ds_load_2addr_b64 v[0:3], v21 offset0:128 offset1:144
	ds_load_b128 v[10:13], v22 offset:32
	ds_load_b128 v[14:17], v22 offset:1056
	;; [unrolled: 1-line block ×4, first 2 shown]
	s_waitcnt lgkmcnt(3)
	v_fma_f64 v[34:35], v[0:1], v[10:11], v[34:35]
	v_fma_f64 v[10:11], v[2:3], v[10:11], v[36:37]
	s_waitcnt lgkmcnt(2)
	v_fma_f64 v[36:37], v[0:1], v[14:15], v[38:39]
	v_fma_f64 v[14:15], v[2:3], v[14:15], v[40:41]
	ds_load_2addr_b64 v[0:3], v21 offset0:160 offset1:176
	s_waitcnt lgkmcnt(0)
	v_fma_f64 v[34:35], v[0:1], v[12:13], v[34:35]
	v_fma_f64 v[10:11], v[2:3], v[12:13], v[10:11]
	;; [unrolled: 1-line block ×4, first 2 shown]
	ds_load_2addr_b64 v[0:3], v21 offset0:192 offset1:208
	s_waitcnt lgkmcnt(0)
	v_fma_f64 v[34:35], v[0:1], v[26:27], v[34:35]
	v_fma_f64 v[10:11], v[2:3], v[26:27], v[10:11]
	;; [unrolled: 1-line block ×4, first 2 shown]
	ds_load_2addr_b64 v[14:17], v21 offset0:224 offset1:240
	s_waitcnt lgkmcnt(0)
	s_barrier
	buffer_gl0_inv
	v_fma_f64 v[12:13], v[14:15], v[28:29], v[34:35]
	v_fma_f64 v[10:11], v[16:17], v[28:29], v[10:11]
	;; [unrolled: 1-line block ×4, first 2 shown]
	s_cbranch_scc1 .LBB139_7
.LBB139_3:                              ; =>This Inner Loop Header: Depth=1
	v_add_nc_u32_e32 v14, s14, v23
	s_delay_alu instid0(VALU_DEP_1) | instskip(SKIP_1) | instid1(VALU_DEP_2)
	v_cmp_gt_i32_e64 s3, s17, v14
	v_dual_mov_b32 v15, v5 :: v_dual_mov_b32 v14, v4
	s_and_b32 s6, vcc_lo, s3
	s_delay_alu instid0(SALU_CYCLE_1)
	s_and_saveexec_b32 s3, s6
	s_cbranch_execz .LBB139_5
; %bb.4:                                ;   in Loop: Header=BB139_3 Depth=1
	global_load_b64 v[14:15], v[6:7], off
.LBB139_5:                              ;   in Loop: Header=BB139_3 Depth=1
	s_or_b32 exec_lo, exec_lo, s3
	v_add_nc_u32_e32 v16, s14, v20
	s_waitcnt vmcnt(0)
	ds_store_b64 v24, v[14:15]
	v_cmp_gt_i32_e64 s3, s17, v16
	v_dual_mov_b32 v17, v5 :: v_dual_mov_b32 v16, v4
	s_delay_alu instid0(VALU_DEP_2) | instskip(NEXT) | instid1(SALU_CYCLE_1)
	s_and_b32 s6, s3, s2
	s_and_saveexec_b32 s3, s6
	s_cbranch_execz .LBB139_2
; %bb.6:                                ;   in Loop: Header=BB139_3 Depth=1
	global_load_b64 v[16:17], v[8:9], off
	s_branch .LBB139_2
.LBB139_7:
	s_clause 0x2
	s_load_b32 s2, s[0:1], 0x50
	s_load_b64 s[6:7], s[0:1], 0x58
	s_load_b64 s[8:9], s[0:1], 0x48
	v_add_nc_u32_e32 v8, s13, v19
	v_add_nc_u32_e32 v4, s12, v18
	s_delay_alu instid0(VALU_DEP_1)
	v_cmp_le_i32_e64 s0, v8, v4
	v_cmp_gt_i32_e32 vcc_lo, s16, v4
	s_waitcnt lgkmcnt(0)
	v_mad_i64_i32 v[5:6], null, v8, s2, 0
	s_mul_i32 s1, s15, s7
	s_mul_hi_u32 s3, s15, s6
	s_mul_i32 s6, s15, s6
	s_add_i32 s7, s3, s1
	s_delay_alu instid0(SALU_CYCLE_1) | instskip(NEXT) | instid1(VALU_DEP_1)
	s_lshl_b64 s[6:7], s[6:7], 3
	v_lshlrev_b64 v[5:6], 3, v[5:6]
	s_add_u32 s3, s8, s6
	s_addc_u32 s6, s9, s7
	s_and_b32 s0, s0, vcc_lo
	s_delay_alu instid0(VALU_DEP_1) | instskip(NEXT) | instid1(VALU_DEP_1)
	v_add_co_u32 v9, s1, s3, v5
	v_add_co_ci_u32_e64 v14, s1, s6, v6, s1
	s_and_saveexec_b32 s1, s0
	s_cbranch_execz .LBB139_9
; %bb.8:
	v_mul_f64 v[6:7], v[12:13], s[4:5]
	v_ashrrev_i32_e32 v5, 31, v4
	s_delay_alu instid0(VALU_DEP_1) | instskip(NEXT) | instid1(VALU_DEP_1)
	v_lshlrev_b64 v[12:13], 3, v[4:5]
	v_add_co_u32 v12, s0, v9, v12
	s_delay_alu instid0(VALU_DEP_1)
	v_add_co_ci_u32_e64 v13, s0, v14, v13, s0
	global_store_b64 v[12:13], v[6:7], off
.LBB139_9:
	s_or_b32 exec_lo, exec_lo, s1
	v_add_nc_u32_e32 v6, 16, v4
	s_delay_alu instid0(VALU_DEP_1) | instskip(SKIP_1) | instid1(VALU_DEP_1)
	v_cmp_le_i32_e64 s1, v8, v6
	v_cmp_gt_i32_e64 s0, s16, v6
	s_and_b32 s1, s1, s0
	s_delay_alu instid0(SALU_CYCLE_1)
	s_and_saveexec_b32 s7, s1
	s_cbranch_execz .LBB139_11
; %bb.10:
	v_mul_f64 v[10:11], v[10:11], s[4:5]
	v_ashrrev_i32_e32 v7, 31, v6
	s_delay_alu instid0(VALU_DEP_1) | instskip(NEXT) | instid1(VALU_DEP_1)
	v_lshlrev_b64 v[12:13], 3, v[6:7]
	v_add_co_u32 v12, s1, v9, v12
	s_delay_alu instid0(VALU_DEP_1)
	v_add_co_ci_u32_e64 v13, s1, v14, v13, s1
	global_store_b64 v[12:13], v[10:11], off
.LBB139_11:
	s_or_b32 exec_lo, exec_lo, s7
	v_add_nc_u32_e32 v7, 16, v8
	s_delay_alu instid0(VALU_DEP_1) | instskip(SKIP_1) | instid1(VALU_DEP_2)
	v_mad_i64_i32 v[8:9], null, v7, s2, 0
	v_cmp_le_i32_e64 s1, v7, v4
	v_lshlrev_b64 v[8:9], 3, v[8:9]
	s_delay_alu instid0(VALU_DEP_1) | instskip(NEXT) | instid1(VALU_DEP_1)
	v_add_co_u32 v8, s2, s3, v8
	v_add_co_ci_u32_e64 v9, s2, s6, v9, s2
	s_delay_alu instid0(VALU_DEP_4) | instskip(NEXT) | instid1(SALU_CYCLE_1)
	s_and_b32 s2, s1, vcc_lo
	s_and_saveexec_b32 s1, s2
	s_cbranch_execz .LBB139_13
; %bb.12:
	v_mul_f64 v[2:3], v[2:3], s[4:5]
	v_ashrrev_i32_e32 v5, 31, v4
	s_delay_alu instid0(VALU_DEP_1) | instskip(NEXT) | instid1(VALU_DEP_1)
	v_lshlrev_b64 v[4:5], 3, v[4:5]
	v_add_co_u32 v4, vcc_lo, v8, v4
	s_delay_alu instid0(VALU_DEP_2)
	v_add_co_ci_u32_e32 v5, vcc_lo, v9, v5, vcc_lo
	global_store_b64 v[4:5], v[2:3], off
.LBB139_13:
	s_or_b32 exec_lo, exec_lo, s1
	v_cmp_le_i32_e32 vcc_lo, v7, v6
	s_and_b32 s0, vcc_lo, s0
	s_delay_alu instid0(SALU_CYCLE_1)
	s_and_saveexec_b32 s1, s0
	s_cbranch_execz .LBB139_15
; %bb.14:
	v_mul_f64 v[0:1], v[0:1], s[4:5]
	v_ashrrev_i32_e32 v7, 31, v6
	s_delay_alu instid0(VALU_DEP_1) | instskip(NEXT) | instid1(VALU_DEP_1)
	v_lshlrev_b64 v[2:3], 3, v[6:7]
	v_add_co_u32 v2, vcc_lo, v8, v2
	s_delay_alu instid0(VALU_DEP_2)
	v_add_co_ci_u32_e32 v3, vcc_lo, v9, v3, vcc_lo
	global_store_b64 v[2:3], v[0:1], off
.LBB139_15:
	s_nop 0
	s_sendmsg sendmsg(MSG_DEALLOC_VGPRS)
	s_endpgm
	.section	.rodata,"a",@progbits
	.p2align	6, 0x0
	.amdhsa_kernel _ZL34rocblas_syrkx_herkx_general_kernelIidLi16ELi32ELi8ELb1ELb0ELc84ELc76EKddEviT_T0_PT8_S1_lS4_S1_lS2_PT9_S1_li
		.amdhsa_group_segment_fixed_size 4096
		.amdhsa_private_segment_fixed_size 0
		.amdhsa_kernarg_size 100
		.amdhsa_user_sgpr_count 13
		.amdhsa_user_sgpr_dispatch_ptr 0
		.amdhsa_user_sgpr_queue_ptr 0
		.amdhsa_user_sgpr_kernarg_segment_ptr 1
		.amdhsa_user_sgpr_dispatch_id 0
		.amdhsa_user_sgpr_private_segment_size 0
		.amdhsa_wavefront_size32 1
		.amdhsa_uses_dynamic_stack 0
		.amdhsa_enable_private_segment 0
		.amdhsa_system_sgpr_workgroup_id_x 1
		.amdhsa_system_sgpr_workgroup_id_y 1
		.amdhsa_system_sgpr_workgroup_id_z 1
		.amdhsa_system_sgpr_workgroup_info 0
		.amdhsa_system_vgpr_workitem_id 1
		.amdhsa_next_free_vgpr 42
		.amdhsa_next_free_sgpr 21
		.amdhsa_reserve_vcc 1
		.amdhsa_float_round_mode_32 0
		.amdhsa_float_round_mode_16_64 0
		.amdhsa_float_denorm_mode_32 3
		.amdhsa_float_denorm_mode_16_64 3
		.amdhsa_dx10_clamp 1
		.amdhsa_ieee_mode 1
		.amdhsa_fp16_overflow 0
		.amdhsa_workgroup_processor_mode 1
		.amdhsa_memory_ordered 1
		.amdhsa_forward_progress 0
		.amdhsa_shared_vgpr_count 0
		.amdhsa_exception_fp_ieee_invalid_op 0
		.amdhsa_exception_fp_denorm_src 0
		.amdhsa_exception_fp_ieee_div_zero 0
		.amdhsa_exception_fp_ieee_overflow 0
		.amdhsa_exception_fp_ieee_underflow 0
		.amdhsa_exception_fp_ieee_inexact 0
		.amdhsa_exception_int_div_zero 0
	.end_amdhsa_kernel
	.section	.text._ZL34rocblas_syrkx_herkx_general_kernelIidLi16ELi32ELi8ELb1ELb0ELc84ELc76EKddEviT_T0_PT8_S1_lS4_S1_lS2_PT9_S1_li,"axG",@progbits,_ZL34rocblas_syrkx_herkx_general_kernelIidLi16ELi32ELi8ELb1ELb0ELc84ELc76EKddEviT_T0_PT8_S1_lS4_S1_lS2_PT9_S1_li,comdat
.Lfunc_end139:
	.size	_ZL34rocblas_syrkx_herkx_general_kernelIidLi16ELi32ELi8ELb1ELb0ELc84ELc76EKddEviT_T0_PT8_S1_lS4_S1_lS2_PT9_S1_li, .Lfunc_end139-_ZL34rocblas_syrkx_herkx_general_kernelIidLi16ELi32ELi8ELb1ELb0ELc84ELc76EKddEviT_T0_PT8_S1_lS4_S1_lS2_PT9_S1_li
                                        ; -- End function
	.section	.AMDGPU.csdata,"",@progbits
; Kernel info:
; codeLenInByte = 1600
; NumSgprs: 23
; NumVgprs: 42
; ScratchSize: 0
; MemoryBound: 0
; FloatMode: 240
; IeeeMode: 1
; LDSByteSize: 4096 bytes/workgroup (compile time only)
; SGPRBlocks: 2
; VGPRBlocks: 5
; NumSGPRsForWavesPerEU: 23
; NumVGPRsForWavesPerEU: 42
; Occupancy: 16
; WaveLimiterHint : 0
; COMPUTE_PGM_RSRC2:SCRATCH_EN: 0
; COMPUTE_PGM_RSRC2:USER_SGPR: 13
; COMPUTE_PGM_RSRC2:TRAP_HANDLER: 0
; COMPUTE_PGM_RSRC2:TGID_X_EN: 1
; COMPUTE_PGM_RSRC2:TGID_Y_EN: 1
; COMPUTE_PGM_RSRC2:TGID_Z_EN: 1
; COMPUTE_PGM_RSRC2:TIDIG_COMP_CNT: 1
	.section	.text._ZL34rocblas_syrkx_herkx_general_kernelIidLi16ELi32ELi8ELb1ELb0ELc67ELc76EKddEviT_T0_PT8_S1_lS4_S1_lS2_PT9_S1_li,"axG",@progbits,_ZL34rocblas_syrkx_herkx_general_kernelIidLi16ELi32ELi8ELb1ELb0ELc67ELc76EKddEviT_T0_PT8_S1_lS4_S1_lS2_PT9_S1_li,comdat
	.globl	_ZL34rocblas_syrkx_herkx_general_kernelIidLi16ELi32ELi8ELb1ELb0ELc67ELc76EKddEviT_T0_PT8_S1_lS4_S1_lS2_PT9_S1_li ; -- Begin function _ZL34rocblas_syrkx_herkx_general_kernelIidLi16ELi32ELi8ELb1ELb0ELc67ELc76EKddEviT_T0_PT8_S1_lS4_S1_lS2_PT9_S1_li
	.p2align	8
	.type	_ZL34rocblas_syrkx_herkx_general_kernelIidLi16ELi32ELi8ELb1ELb0ELc67ELc76EKddEviT_T0_PT8_S1_lS4_S1_lS2_PT9_S1_li,@function
_ZL34rocblas_syrkx_herkx_general_kernelIidLi16ELi32ELi8ELb1ELb0ELc67ELc76EKddEviT_T0_PT8_S1_lS4_S1_lS2_PT9_S1_li: ; @_ZL34rocblas_syrkx_herkx_general_kernelIidLi16ELi32ELi8ELb1ELb0ELc67ELc76EKddEviT_T0_PT8_S1_lS4_S1_lS2_PT9_S1_li
; %bb.0:
	s_clause 0x1
	s_load_b64 s[16:17], s[0:1], 0x0
	s_load_b128 s[4:7], s[0:1], 0x8
	v_mov_b32_e32 v12, 0
	v_dual_mov_b32 v13, 0 :: v_dual_and_b32 v18, 0x3ff, v0
	v_bfe_u32 v19, v0, 10, 10
	s_delay_alu instid0(VALU_DEP_3) | instskip(NEXT) | instid1(VALU_DEP_3)
	v_mov_b32_e32 v10, v12
	v_dual_mov_b32 v2, v12 :: v_dual_mov_b32 v3, v13
	v_dual_mov_b32 v11, v13 :: v_dual_mov_b32 v0, v12
	v_mov_b32_e32 v1, v13
	s_lshl_b32 s12, s13, 5
	s_lshl_b32 s13, s14, 5
	s_mov_b32 s14, 0
	s_waitcnt lgkmcnt(0)
	s_cmp_lt_i32 s17, 1
	s_cbranch_scc1 .LBB140_7
; %bb.1:
	s_load_b32 s2, s[0:1], 0x18
	v_lshl_add_u32 v0, v19, 4, v18
	s_clause 0x2
	s_load_b128 s[8:11], s[0:1], 0x20
	s_load_b32 s3, s[0:1], 0x30
	s_load_b64 s[18:19], s[0:1], 0x38
	v_and_b32_e32 v20, 7, v18
	v_lshlrev_b32_e32 v21, 3, v18
	v_lshl_add_u32 v22, v19, 6, 0x800
	v_and_b32_e32 v2, 31, v0
	v_lshrrev_b32_e32 v1, 3, v0
	v_lshlrev_b32_e32 v4, 3, v20
	v_lshrrev_b32_e32 v23, 5, v0
	s_delay_alu instid0(VALU_DEP_4) | instskip(NEXT) | instid1(VALU_DEP_4)
	v_add_nc_u32_e32 v3, s12, v2
	v_add_nc_u32_e32 v5, s13, v1
	s_delay_alu instid0(VALU_DEP_4) | instskip(SKIP_2) | instid1(VALU_DEP_2)
	v_lshl_or_b32 v7, v1, 6, v4
	v_or_b32_e32 v6, s12, v2
	v_lshlrev_b32_e32 v2, 3, v2
	v_cmp_gt_i32_e32 vcc_lo, s16, v6
	s_waitcnt lgkmcnt(0)
	v_mad_i64_i32 v[0:1], null, s2, v3, 0
	s_mul_i32 s9, s9, s15
	s_mul_hi_u32 s20, s8, s15
	v_lshl_or_b32 v24, v23, 8, v2
	v_mad_i64_i32 v[2:3], null, s3, v5, 0
	s_mul_i32 s8, s8, s15
	s_delay_alu instid0(VALU_DEP_3)
	v_lshlrev_b64 v[0:1], 3, v[0:1]
	s_add_i32 s9, s20, s9
	v_cmp_gt_i32_e64 s2, s16, v5
	s_lshl_b64 s[8:9], s[8:9], 3
	s_delay_alu instid0(VALU_DEP_2) | instid1(SALU_CYCLE_1)
	v_add_co_u32 v5, s3, v0, s8
	s_delay_alu instid0(VALU_DEP_1)
	v_add_co_ci_u32_e64 v6, s3, s9, v1, s3
	s_mul_i32 s3, s19, s15
	s_mul_hi_u32 s8, s18, s15
	v_lshlrev_b64 v[0:1], 3, v[2:3]
	s_add_i32 s9, s8, s3
	s_mul_i32 s8, s18, s15
	v_lshlrev_b32_e32 v2, 3, v23
	s_lshl_b64 s[8:9], s[8:9], 3
	s_delay_alu instid0(VALU_DEP_2) | instid1(SALU_CYCLE_1)
	v_add_co_u32 v0, s3, v0, s8
	s_delay_alu instid0(VALU_DEP_1) | instskip(NEXT) | instid1(VALU_DEP_3)
	v_add_co_ci_u32_e64 v1, s3, s9, v1, s3
	v_add_co_u32 v2, s3, v5, v2
	s_delay_alu instid0(VALU_DEP_1) | instskip(NEXT) | instid1(VALU_DEP_4)
	v_add_co_ci_u32_e64 v3, s3, 0, v6, s3
	v_add_co_u32 v0, s3, v0, v4
	v_mov_b32_e32 v4, 0
	v_add_co_ci_u32_e64 v1, s3, 0, v1, s3
	v_mov_b32_e32 v5, 0
	v_add_co_u32 v6, s3, s6, v2
	v_add_nc_u32_e32 v25, 0x800, v7
	v_add_co_ci_u32_e64 v7, s3, s7, v3, s3
	v_mov_b32_e32 v2, v4
	v_add_co_u32 v8, s3, s10, v0
	v_mov_b32_e32 v11, v5
	v_add_co_ci_u32_e64 v9, s3, s11, v1, s3
	v_mov_b32_e32 v0, v4
	v_dual_mov_b32 v10, v4 :: v_dual_mov_b32 v13, v5
	v_mov_b32_e32 v1, v5
	v_dual_mov_b32 v3, v5 :: v_dual_mov_b32 v12, v4
	s_branch .LBB140_3
.LBB140_2:                              ;   in Loop: Header=BB140_3 Depth=1
	s_or_b32 exec_lo, exec_lo, s3
	s_waitcnt vmcnt(0)
	ds_store_b64 v25, v[16:17]
	s_waitcnt lgkmcnt(0)
	s_barrier
	buffer_gl0_inv
	ds_load_2addr_b64 v[14:17], v21 offset1:16
	ds_load_b128 v[26:29], v22
	ds_load_b128 v[30:33], v22 offset:1024
	ds_load_b128 v[34:37], v22 offset:16
	;; [unrolled: 1-line block ×3, first 2 shown]
	v_add_co_u32 v6, s3, v6, 64
	s_delay_alu instid0(VALU_DEP_1) | instskip(SKIP_1) | instid1(VALU_DEP_1)
	v_add_co_ci_u32_e64 v7, s3, 0, v7, s3
	v_add_co_u32 v8, s3, v8, 64
	v_add_co_ci_u32_e64 v9, s3, 0, v9, s3
	s_add_i32 s14, s14, 8
	s_delay_alu instid0(SALU_CYCLE_1)
	s_cmp_ge_i32 s14, s17
	s_waitcnt lgkmcnt(3)
	v_fma_f64 v[12:13], v[14:15], v[26:27], v[12:13]
	v_fma_f64 v[10:11], v[16:17], v[26:27], v[10:11]
	s_waitcnt lgkmcnt(2)
	v_fma_f64 v[14:15], v[14:15], v[30:31], v[2:3]
	v_fma_f64 v[16:17], v[16:17], v[30:31], v[0:1]
	ds_load_2addr_b64 v[0:3], v21 offset0:32 offset1:48
	s_waitcnt lgkmcnt(0)
	v_fma_f64 v[12:13], v[0:1], v[28:29], v[12:13]
	v_fma_f64 v[10:11], v[2:3], v[28:29], v[10:11]
	v_fma_f64 v[14:15], v[0:1], v[32:33], v[14:15]
	v_fma_f64 v[16:17], v[2:3], v[32:33], v[16:17]
	ds_load_2addr_b64 v[0:3], v21 offset0:64 offset1:80
	s_waitcnt lgkmcnt(0)
	v_fma_f64 v[12:13], v[0:1], v[34:35], v[12:13]
	v_fma_f64 v[10:11], v[2:3], v[34:35], v[10:11]
	;; [unrolled: 6-line block ×3, first 2 shown]
	v_fma_f64 v[38:39], v[0:1], v[40:41], v[14:15]
	v_fma_f64 v[40:41], v[2:3], v[40:41], v[16:17]
	ds_load_2addr_b64 v[0:3], v21 offset0:128 offset1:144
	ds_load_b128 v[10:13], v22 offset:32
	ds_load_b128 v[14:17], v22 offset:1056
	;; [unrolled: 1-line block ×4, first 2 shown]
	s_waitcnt lgkmcnt(3)
	v_fma_f64 v[34:35], v[0:1], v[10:11], v[34:35]
	v_fma_f64 v[10:11], v[2:3], v[10:11], v[36:37]
	s_waitcnt lgkmcnt(2)
	v_fma_f64 v[36:37], v[0:1], v[14:15], v[38:39]
	v_fma_f64 v[14:15], v[2:3], v[14:15], v[40:41]
	ds_load_2addr_b64 v[0:3], v21 offset0:160 offset1:176
	s_waitcnt lgkmcnt(0)
	v_fma_f64 v[34:35], v[0:1], v[12:13], v[34:35]
	v_fma_f64 v[10:11], v[2:3], v[12:13], v[10:11]
	;; [unrolled: 1-line block ×4, first 2 shown]
	ds_load_2addr_b64 v[0:3], v21 offset0:192 offset1:208
	s_waitcnt lgkmcnt(0)
	v_fma_f64 v[34:35], v[0:1], v[26:27], v[34:35]
	v_fma_f64 v[10:11], v[2:3], v[26:27], v[10:11]
	;; [unrolled: 1-line block ×4, first 2 shown]
	ds_load_2addr_b64 v[14:17], v21 offset0:224 offset1:240
	s_waitcnt lgkmcnt(0)
	s_barrier
	buffer_gl0_inv
	v_fma_f64 v[12:13], v[14:15], v[28:29], v[34:35]
	v_fma_f64 v[10:11], v[16:17], v[28:29], v[10:11]
	;; [unrolled: 1-line block ×4, first 2 shown]
	s_cbranch_scc1 .LBB140_7
.LBB140_3:                              ; =>This Inner Loop Header: Depth=1
	v_add_nc_u32_e32 v14, s14, v23
	s_delay_alu instid0(VALU_DEP_1) | instskip(SKIP_1) | instid1(VALU_DEP_2)
	v_cmp_gt_i32_e64 s3, s17, v14
	v_dual_mov_b32 v15, v5 :: v_dual_mov_b32 v14, v4
	s_and_b32 s6, vcc_lo, s3
	s_delay_alu instid0(SALU_CYCLE_1)
	s_and_saveexec_b32 s3, s6
	s_cbranch_execz .LBB140_5
; %bb.4:                                ;   in Loop: Header=BB140_3 Depth=1
	global_load_b64 v[14:15], v[6:7], off
.LBB140_5:                              ;   in Loop: Header=BB140_3 Depth=1
	s_or_b32 exec_lo, exec_lo, s3
	v_add_nc_u32_e32 v16, s14, v20
	s_waitcnt vmcnt(0)
	ds_store_b64 v24, v[14:15]
	v_cmp_gt_i32_e64 s3, s17, v16
	v_dual_mov_b32 v17, v5 :: v_dual_mov_b32 v16, v4
	s_delay_alu instid0(VALU_DEP_2) | instskip(NEXT) | instid1(SALU_CYCLE_1)
	s_and_b32 s6, s3, s2
	s_and_saveexec_b32 s3, s6
	s_cbranch_execz .LBB140_2
; %bb.6:                                ;   in Loop: Header=BB140_3 Depth=1
	global_load_b64 v[16:17], v[8:9], off
	s_branch .LBB140_2
.LBB140_7:
	s_clause 0x2
	s_load_b32 s2, s[0:1], 0x50
	s_load_b64 s[6:7], s[0:1], 0x58
	s_load_b64 s[8:9], s[0:1], 0x48
	v_add_nc_u32_e32 v8, s13, v19
	v_add_nc_u32_e32 v4, s12, v18
	s_delay_alu instid0(VALU_DEP_1)
	v_cmp_le_i32_e64 s0, v8, v4
	v_cmp_gt_i32_e32 vcc_lo, s16, v4
	s_waitcnt lgkmcnt(0)
	v_mad_i64_i32 v[5:6], null, v8, s2, 0
	s_mul_i32 s1, s15, s7
	s_mul_hi_u32 s3, s15, s6
	s_mul_i32 s6, s15, s6
	s_add_i32 s7, s3, s1
	s_delay_alu instid0(SALU_CYCLE_1) | instskip(NEXT) | instid1(VALU_DEP_1)
	s_lshl_b64 s[6:7], s[6:7], 3
	v_lshlrev_b64 v[5:6], 3, v[5:6]
	s_add_u32 s3, s8, s6
	s_addc_u32 s6, s9, s7
	s_and_b32 s0, s0, vcc_lo
	s_delay_alu instid0(VALU_DEP_1) | instskip(NEXT) | instid1(VALU_DEP_1)
	v_add_co_u32 v9, s1, s3, v5
	v_add_co_ci_u32_e64 v14, s1, s6, v6, s1
	s_and_saveexec_b32 s1, s0
	s_cbranch_execz .LBB140_9
; %bb.8:
	v_mul_f64 v[6:7], v[12:13], s[4:5]
	v_ashrrev_i32_e32 v5, 31, v4
	s_delay_alu instid0(VALU_DEP_1) | instskip(NEXT) | instid1(VALU_DEP_1)
	v_lshlrev_b64 v[12:13], 3, v[4:5]
	v_add_co_u32 v12, s0, v9, v12
	s_delay_alu instid0(VALU_DEP_1)
	v_add_co_ci_u32_e64 v13, s0, v14, v13, s0
	global_store_b64 v[12:13], v[6:7], off
.LBB140_9:
	s_or_b32 exec_lo, exec_lo, s1
	v_add_nc_u32_e32 v6, 16, v4
	s_delay_alu instid0(VALU_DEP_1) | instskip(SKIP_1) | instid1(VALU_DEP_1)
	v_cmp_le_i32_e64 s1, v8, v6
	v_cmp_gt_i32_e64 s0, s16, v6
	s_and_b32 s1, s1, s0
	s_delay_alu instid0(SALU_CYCLE_1)
	s_and_saveexec_b32 s7, s1
	s_cbranch_execz .LBB140_11
; %bb.10:
	v_mul_f64 v[10:11], v[10:11], s[4:5]
	v_ashrrev_i32_e32 v7, 31, v6
	s_delay_alu instid0(VALU_DEP_1) | instskip(NEXT) | instid1(VALU_DEP_1)
	v_lshlrev_b64 v[12:13], 3, v[6:7]
	v_add_co_u32 v12, s1, v9, v12
	s_delay_alu instid0(VALU_DEP_1)
	v_add_co_ci_u32_e64 v13, s1, v14, v13, s1
	global_store_b64 v[12:13], v[10:11], off
.LBB140_11:
	s_or_b32 exec_lo, exec_lo, s7
	v_add_nc_u32_e32 v7, 16, v8
	s_delay_alu instid0(VALU_DEP_1) | instskip(SKIP_1) | instid1(VALU_DEP_2)
	v_mad_i64_i32 v[8:9], null, v7, s2, 0
	v_cmp_le_i32_e64 s1, v7, v4
	v_lshlrev_b64 v[8:9], 3, v[8:9]
	s_delay_alu instid0(VALU_DEP_1) | instskip(NEXT) | instid1(VALU_DEP_1)
	v_add_co_u32 v8, s2, s3, v8
	v_add_co_ci_u32_e64 v9, s2, s6, v9, s2
	s_delay_alu instid0(VALU_DEP_4) | instskip(NEXT) | instid1(SALU_CYCLE_1)
	s_and_b32 s2, s1, vcc_lo
	s_and_saveexec_b32 s1, s2
	s_cbranch_execz .LBB140_13
; %bb.12:
	v_mul_f64 v[2:3], v[2:3], s[4:5]
	v_ashrrev_i32_e32 v5, 31, v4
	s_delay_alu instid0(VALU_DEP_1) | instskip(NEXT) | instid1(VALU_DEP_1)
	v_lshlrev_b64 v[4:5], 3, v[4:5]
	v_add_co_u32 v4, vcc_lo, v8, v4
	s_delay_alu instid0(VALU_DEP_2)
	v_add_co_ci_u32_e32 v5, vcc_lo, v9, v5, vcc_lo
	global_store_b64 v[4:5], v[2:3], off
.LBB140_13:
	s_or_b32 exec_lo, exec_lo, s1
	v_cmp_le_i32_e32 vcc_lo, v7, v6
	s_and_b32 s0, vcc_lo, s0
	s_delay_alu instid0(SALU_CYCLE_1)
	s_and_saveexec_b32 s1, s0
	s_cbranch_execz .LBB140_15
; %bb.14:
	v_mul_f64 v[0:1], v[0:1], s[4:5]
	v_ashrrev_i32_e32 v7, 31, v6
	s_delay_alu instid0(VALU_DEP_1) | instskip(NEXT) | instid1(VALU_DEP_1)
	v_lshlrev_b64 v[2:3], 3, v[6:7]
	v_add_co_u32 v2, vcc_lo, v8, v2
	s_delay_alu instid0(VALU_DEP_2)
	v_add_co_ci_u32_e32 v3, vcc_lo, v9, v3, vcc_lo
	global_store_b64 v[2:3], v[0:1], off
.LBB140_15:
	s_nop 0
	s_sendmsg sendmsg(MSG_DEALLOC_VGPRS)
	s_endpgm
	.section	.rodata,"a",@progbits
	.p2align	6, 0x0
	.amdhsa_kernel _ZL34rocblas_syrkx_herkx_general_kernelIidLi16ELi32ELi8ELb1ELb0ELc67ELc76EKddEviT_T0_PT8_S1_lS4_S1_lS2_PT9_S1_li
		.amdhsa_group_segment_fixed_size 4096
		.amdhsa_private_segment_fixed_size 0
		.amdhsa_kernarg_size 100
		.amdhsa_user_sgpr_count 13
		.amdhsa_user_sgpr_dispatch_ptr 0
		.amdhsa_user_sgpr_queue_ptr 0
		.amdhsa_user_sgpr_kernarg_segment_ptr 1
		.amdhsa_user_sgpr_dispatch_id 0
		.amdhsa_user_sgpr_private_segment_size 0
		.amdhsa_wavefront_size32 1
		.amdhsa_uses_dynamic_stack 0
		.amdhsa_enable_private_segment 0
		.amdhsa_system_sgpr_workgroup_id_x 1
		.amdhsa_system_sgpr_workgroup_id_y 1
		.amdhsa_system_sgpr_workgroup_id_z 1
		.amdhsa_system_sgpr_workgroup_info 0
		.amdhsa_system_vgpr_workitem_id 1
		.amdhsa_next_free_vgpr 42
		.amdhsa_next_free_sgpr 21
		.amdhsa_reserve_vcc 1
		.amdhsa_float_round_mode_32 0
		.amdhsa_float_round_mode_16_64 0
		.amdhsa_float_denorm_mode_32 3
		.amdhsa_float_denorm_mode_16_64 3
		.amdhsa_dx10_clamp 1
		.amdhsa_ieee_mode 1
		.amdhsa_fp16_overflow 0
		.amdhsa_workgroup_processor_mode 1
		.amdhsa_memory_ordered 1
		.amdhsa_forward_progress 0
		.amdhsa_shared_vgpr_count 0
		.amdhsa_exception_fp_ieee_invalid_op 0
		.amdhsa_exception_fp_denorm_src 0
		.amdhsa_exception_fp_ieee_div_zero 0
		.amdhsa_exception_fp_ieee_overflow 0
		.amdhsa_exception_fp_ieee_underflow 0
		.amdhsa_exception_fp_ieee_inexact 0
		.amdhsa_exception_int_div_zero 0
	.end_amdhsa_kernel
	.section	.text._ZL34rocblas_syrkx_herkx_general_kernelIidLi16ELi32ELi8ELb1ELb0ELc67ELc76EKddEviT_T0_PT8_S1_lS4_S1_lS2_PT9_S1_li,"axG",@progbits,_ZL34rocblas_syrkx_herkx_general_kernelIidLi16ELi32ELi8ELb1ELb0ELc67ELc76EKddEviT_T0_PT8_S1_lS4_S1_lS2_PT9_S1_li,comdat
.Lfunc_end140:
	.size	_ZL34rocblas_syrkx_herkx_general_kernelIidLi16ELi32ELi8ELb1ELb0ELc67ELc76EKddEviT_T0_PT8_S1_lS4_S1_lS2_PT9_S1_li, .Lfunc_end140-_ZL34rocblas_syrkx_herkx_general_kernelIidLi16ELi32ELi8ELb1ELb0ELc67ELc76EKddEviT_T0_PT8_S1_lS4_S1_lS2_PT9_S1_li
                                        ; -- End function
	.section	.AMDGPU.csdata,"",@progbits
; Kernel info:
; codeLenInByte = 1600
; NumSgprs: 23
; NumVgprs: 42
; ScratchSize: 0
; MemoryBound: 0
; FloatMode: 240
; IeeeMode: 1
; LDSByteSize: 4096 bytes/workgroup (compile time only)
; SGPRBlocks: 2
; VGPRBlocks: 5
; NumSGPRsForWavesPerEU: 23
; NumVGPRsForWavesPerEU: 42
; Occupancy: 16
; WaveLimiterHint : 0
; COMPUTE_PGM_RSRC2:SCRATCH_EN: 0
; COMPUTE_PGM_RSRC2:USER_SGPR: 13
; COMPUTE_PGM_RSRC2:TRAP_HANDLER: 0
; COMPUTE_PGM_RSRC2:TGID_X_EN: 1
; COMPUTE_PGM_RSRC2:TGID_Y_EN: 1
; COMPUTE_PGM_RSRC2:TGID_Z_EN: 1
; COMPUTE_PGM_RSRC2:TIDIG_COMP_CNT: 1
	.section	.text._ZL34rocblas_syrkx_herkx_general_kernelIidLi16ELi32ELi8ELb1ELb0ELc78ELc76EKddEviT_T0_PT8_S1_lS4_S1_lS2_PT9_S1_li,"axG",@progbits,_ZL34rocblas_syrkx_herkx_general_kernelIidLi16ELi32ELi8ELb1ELb0ELc78ELc76EKddEviT_T0_PT8_S1_lS4_S1_lS2_PT9_S1_li,comdat
	.globl	_ZL34rocblas_syrkx_herkx_general_kernelIidLi16ELi32ELi8ELb1ELb0ELc78ELc76EKddEviT_T0_PT8_S1_lS4_S1_lS2_PT9_S1_li ; -- Begin function _ZL34rocblas_syrkx_herkx_general_kernelIidLi16ELi32ELi8ELb1ELb0ELc78ELc76EKddEviT_T0_PT8_S1_lS4_S1_lS2_PT9_S1_li
	.p2align	8
	.type	_ZL34rocblas_syrkx_herkx_general_kernelIidLi16ELi32ELi8ELb1ELb0ELc78ELc76EKddEviT_T0_PT8_S1_lS4_S1_lS2_PT9_S1_li,@function
_ZL34rocblas_syrkx_herkx_general_kernelIidLi16ELi32ELi8ELb1ELb0ELc78ELc76EKddEviT_T0_PT8_S1_lS4_S1_lS2_PT9_S1_li: ; @_ZL34rocblas_syrkx_herkx_general_kernelIidLi16ELi32ELi8ELb1ELb0ELc78ELc76EKddEviT_T0_PT8_S1_lS4_S1_lS2_PT9_S1_li
; %bb.0:
	s_clause 0x1
	s_load_b64 s[16:17], s[0:1], 0x0
	s_load_b128 s[4:7], s[0:1], 0x8
	v_mov_b32_e32 v12, 0
	v_dual_mov_b32 v13, 0 :: v_dual_and_b32 v18, 0x3ff, v0
	v_bfe_u32 v19, v0, 10, 10
	s_delay_alu instid0(VALU_DEP_3) | instskip(NEXT) | instid1(VALU_DEP_3)
	v_mov_b32_e32 v10, v12
	v_dual_mov_b32 v2, v12 :: v_dual_mov_b32 v3, v13
	v_dual_mov_b32 v11, v13 :: v_dual_mov_b32 v0, v12
	v_mov_b32_e32 v1, v13
	s_lshl_b32 s20, s13, 5
	s_lshl_b32 s14, s14, 5
	s_mov_b32 s21, 0
	s_waitcnt lgkmcnt(0)
	s_cmp_lt_i32 s17, 1
	s_cbranch_scc1 .LBB141_7
; %bb.1:
	s_load_b32 s12, s[0:1], 0x18
	v_lshl_add_u32 v0, v19, 4, v18
	s_clause 0x2
	s_load_b128 s[8:11], s[0:1], 0x20
	s_load_b32 s18, s[0:1], 0x30
	s_load_b64 s[22:23], s[0:1], 0x38
	v_and_b32_e32 v20, 7, v18
	v_lshlrev_b32_e32 v21, 3, v18
	v_lshl_add_u32 v22, v19, 6, 0x800
	v_and_b32_e32 v1, 31, v0
	v_lshrrev_b32_e32 v2, 3, v0
	v_lshlrev_b32_e32 v3, 3, v20
	v_lshrrev_b32_e32 v23, 5, v0
	s_delay_alu instid0(VALU_DEP_4) | instskip(SKIP_1) | instid1(VALU_DEP_4)
	v_or_b32_e32 v4, s20, v1
	v_lshlrev_b32_e32 v5, 3, v1
	v_lshl_or_b32 v6, v2, 6, v3
	v_add_nc_u32_e32 v0, s14, v2
	v_add_nc_u32_e32 v2, s20, v1
	v_cmp_gt_i32_e32 vcc_lo, s16, v4
	v_lshl_or_b32 v24, v23, 8, v5
	v_add_nc_u32_e32 v25, 0x800, v6
	v_ashrrev_i32_e32 v1, 31, v0
	s_waitcnt lgkmcnt(0)
	v_mad_i64_i32 v[3:4], null, v23, s12, 0
	s_mul_i32 s3, s9, s15
	s_mul_hi_u32 s9, s8, s15
	v_mad_i64_i32 v[5:6], null, s18, v20, 0
	s_mul_i32 s8, s8, s15
	s_add_i32 s9, s9, s3
	s_delay_alu instid0(VALU_DEP_2)
	v_lshlrev_b64 v[3:4], 3, v[3:4]
	s_lshl_b64 s[8:9], s[8:9], 3
	v_cmp_gt_i32_e64 s2, s16, v0
	v_lshlrev_b64 v[0:1], 3, v[0:1]
	s_ashr_i32 s13, s12, 31
	s_ashr_i32 s19, s18, 31
	v_add_co_u32 v7, s3, v3, s8
	v_ashrrev_i32_e32 v3, 31, v2
	v_add_co_ci_u32_e64 v8, s3, s9, v4, s3
	s_mul_i32 s3, s23, s15
	s_mul_hi_u32 s8, s22, s15
	v_lshlrev_b64 v[4:5], 3, v[5:6]
	s_add_i32 s9, s8, s3
	s_mul_i32 s8, s22, s15
	v_lshlrev_b64 v[2:3], 3, v[2:3]
	s_lshl_b64 s[8:9], s[8:9], 3
	s_delay_alu instid0(VALU_DEP_2) | instid1(SALU_CYCLE_1)
	v_add_co_u32 v4, s3, s8, v4
	s_delay_alu instid0(VALU_DEP_1) | instskip(NEXT) | instid1(VALU_DEP_3)
	v_add_co_ci_u32_e64 v5, s3, s9, v5, s3
	v_add_co_u32 v2, s3, v7, v2
	s_delay_alu instid0(VALU_DEP_1) | instskip(NEXT) | instid1(VALU_DEP_4)
	v_add_co_ci_u32_e64 v3, s3, v8, v3, s3
	v_add_co_u32 v0, s3, v4, v0
	s_delay_alu instid0(VALU_DEP_1) | instskip(SKIP_3) | instid1(VALU_DEP_1)
	v_add_co_ci_u32_e64 v1, s3, v5, v1, s3
	v_mov_b32_e32 v4, 0
	v_mov_b32_e32 v5, 0
	v_add_co_u32 v6, s3, s6, v2
	v_add_co_ci_u32_e64 v7, s3, s7, v3, s3
	v_add_co_u32 v8, s3, s10, v0
	s_delay_alu instid0(VALU_DEP_1)
	v_add_co_ci_u32_e64 v9, s3, s11, v1, s3
	v_mov_b32_e32 v0, v4
	v_dual_mov_b32 v2, v4 :: v_dual_mov_b32 v11, v5
	v_dual_mov_b32 v13, v5 :: v_dual_mov_b32 v12, v4
	v_mov_b32_e32 v1, v5
	v_dual_mov_b32 v3, v5 :: v_dual_mov_b32 v10, v4
	s_lshl_b64 s[6:7], s[12:13], 6
	s_lshl_b64 s[8:9], s[18:19], 6
	s_branch .LBB141_3
.LBB141_2:                              ;   in Loop: Header=BB141_3 Depth=1
	s_or_b32 exec_lo, exec_lo, s3
	s_waitcnt vmcnt(0)
	ds_store_b64 v25, v[16:17]
	s_waitcnt lgkmcnt(0)
	s_barrier
	buffer_gl0_inv
	ds_load_2addr_b64 v[14:17], v21 offset1:16
	ds_load_b128 v[26:29], v22
	ds_load_b128 v[30:33], v22 offset:1024
	ds_load_b128 v[34:37], v22 offset:16
	;; [unrolled: 1-line block ×3, first 2 shown]
	v_add_co_u32 v6, s3, v6, s6
	s_delay_alu instid0(VALU_DEP_1) | instskip(SKIP_1) | instid1(VALU_DEP_1)
	v_add_co_ci_u32_e64 v7, s3, s7, v7, s3
	v_add_co_u32 v8, s3, v8, s8
	v_add_co_ci_u32_e64 v9, s3, s9, v9, s3
	s_add_i32 s21, s21, 8
	s_delay_alu instid0(SALU_CYCLE_1)
	s_cmp_ge_i32 s21, s17
	s_waitcnt lgkmcnt(3)
	v_fma_f64 v[12:13], v[14:15], v[26:27], v[12:13]
	v_fma_f64 v[10:11], v[16:17], v[26:27], v[10:11]
	s_waitcnt lgkmcnt(2)
	v_fma_f64 v[14:15], v[14:15], v[30:31], v[2:3]
	v_fma_f64 v[16:17], v[16:17], v[30:31], v[0:1]
	ds_load_2addr_b64 v[0:3], v21 offset0:32 offset1:48
	s_waitcnt lgkmcnt(0)
	v_fma_f64 v[12:13], v[0:1], v[28:29], v[12:13]
	v_fma_f64 v[10:11], v[2:3], v[28:29], v[10:11]
	v_fma_f64 v[14:15], v[0:1], v[32:33], v[14:15]
	v_fma_f64 v[16:17], v[2:3], v[32:33], v[16:17]
	ds_load_2addr_b64 v[0:3], v21 offset0:64 offset1:80
	s_waitcnt lgkmcnt(0)
	v_fma_f64 v[12:13], v[0:1], v[34:35], v[12:13]
	v_fma_f64 v[10:11], v[2:3], v[34:35], v[10:11]
	;; [unrolled: 6-line block ×3, first 2 shown]
	v_fma_f64 v[38:39], v[0:1], v[40:41], v[14:15]
	v_fma_f64 v[40:41], v[2:3], v[40:41], v[16:17]
	ds_load_2addr_b64 v[0:3], v21 offset0:128 offset1:144
	ds_load_b128 v[10:13], v22 offset:32
	ds_load_b128 v[14:17], v22 offset:1056
	;; [unrolled: 1-line block ×4, first 2 shown]
	s_waitcnt lgkmcnt(3)
	v_fma_f64 v[34:35], v[0:1], v[10:11], v[34:35]
	v_fma_f64 v[10:11], v[2:3], v[10:11], v[36:37]
	s_waitcnt lgkmcnt(2)
	v_fma_f64 v[36:37], v[0:1], v[14:15], v[38:39]
	v_fma_f64 v[14:15], v[2:3], v[14:15], v[40:41]
	ds_load_2addr_b64 v[0:3], v21 offset0:160 offset1:176
	s_waitcnt lgkmcnt(0)
	v_fma_f64 v[34:35], v[0:1], v[12:13], v[34:35]
	v_fma_f64 v[10:11], v[2:3], v[12:13], v[10:11]
	;; [unrolled: 1-line block ×4, first 2 shown]
	ds_load_2addr_b64 v[0:3], v21 offset0:192 offset1:208
	s_waitcnt lgkmcnt(0)
	v_fma_f64 v[34:35], v[0:1], v[26:27], v[34:35]
	v_fma_f64 v[10:11], v[2:3], v[26:27], v[10:11]
	;; [unrolled: 1-line block ×4, first 2 shown]
	ds_load_2addr_b64 v[14:17], v21 offset0:224 offset1:240
	s_waitcnt lgkmcnt(0)
	s_barrier
	buffer_gl0_inv
	v_fma_f64 v[12:13], v[14:15], v[28:29], v[34:35]
	v_fma_f64 v[10:11], v[16:17], v[28:29], v[10:11]
	;; [unrolled: 1-line block ×4, first 2 shown]
	s_cbranch_scc1 .LBB141_7
.LBB141_3:                              ; =>This Inner Loop Header: Depth=1
	v_add_nc_u32_e32 v14, s21, v23
	s_delay_alu instid0(VALU_DEP_1) | instskip(SKIP_1) | instid1(VALU_DEP_2)
	v_cmp_gt_i32_e64 s3, s17, v14
	v_dual_mov_b32 v15, v5 :: v_dual_mov_b32 v14, v4
	s_and_b32 s10, vcc_lo, s3
	s_delay_alu instid0(SALU_CYCLE_1)
	s_and_saveexec_b32 s3, s10
	s_cbranch_execz .LBB141_5
; %bb.4:                                ;   in Loop: Header=BB141_3 Depth=1
	global_load_b64 v[14:15], v[6:7], off
.LBB141_5:                              ;   in Loop: Header=BB141_3 Depth=1
	s_or_b32 exec_lo, exec_lo, s3
	v_add_nc_u32_e32 v16, s21, v20
	s_waitcnt vmcnt(0)
	ds_store_b64 v24, v[14:15]
	v_cmp_gt_i32_e64 s3, s17, v16
	v_dual_mov_b32 v17, v5 :: v_dual_mov_b32 v16, v4
	s_delay_alu instid0(VALU_DEP_2) | instskip(NEXT) | instid1(SALU_CYCLE_1)
	s_and_b32 s10, s3, s2
	s_and_saveexec_b32 s3, s10
	s_cbranch_execz .LBB141_2
; %bb.6:                                ;   in Loop: Header=BB141_3 Depth=1
	global_load_b64 v[16:17], v[8:9], off
	s_branch .LBB141_2
.LBB141_7:
	s_clause 0x2
	s_load_b32 s2, s[0:1], 0x50
	s_load_b64 s[6:7], s[0:1], 0x58
	s_load_b64 s[8:9], s[0:1], 0x48
	v_add_nc_u32_e32 v8, s14, v19
	v_add_nc_u32_e32 v4, s20, v18
	s_delay_alu instid0(VALU_DEP_1)
	v_cmp_le_i32_e64 s0, v8, v4
	v_cmp_gt_i32_e32 vcc_lo, s16, v4
	s_waitcnt lgkmcnt(0)
	v_mad_i64_i32 v[5:6], null, v8, s2, 0
	s_mul_i32 s1, s15, s7
	s_mul_hi_u32 s3, s15, s6
	s_mul_i32 s6, s15, s6
	s_add_i32 s7, s3, s1
	s_delay_alu instid0(SALU_CYCLE_1) | instskip(NEXT) | instid1(VALU_DEP_1)
	s_lshl_b64 s[6:7], s[6:7], 3
	v_lshlrev_b64 v[5:6], 3, v[5:6]
	s_add_u32 s3, s8, s6
	s_addc_u32 s6, s9, s7
	s_and_b32 s0, s0, vcc_lo
	s_delay_alu instid0(VALU_DEP_1) | instskip(NEXT) | instid1(VALU_DEP_1)
	v_add_co_u32 v9, s1, s3, v5
	v_add_co_ci_u32_e64 v14, s1, s6, v6, s1
	s_and_saveexec_b32 s1, s0
	s_cbranch_execz .LBB141_9
; %bb.8:
	v_mul_f64 v[6:7], v[12:13], s[4:5]
	v_ashrrev_i32_e32 v5, 31, v4
	s_delay_alu instid0(VALU_DEP_1) | instskip(NEXT) | instid1(VALU_DEP_1)
	v_lshlrev_b64 v[12:13], 3, v[4:5]
	v_add_co_u32 v12, s0, v9, v12
	s_delay_alu instid0(VALU_DEP_1)
	v_add_co_ci_u32_e64 v13, s0, v14, v13, s0
	global_store_b64 v[12:13], v[6:7], off
.LBB141_9:
	s_or_b32 exec_lo, exec_lo, s1
	v_add_nc_u32_e32 v6, 16, v4
	s_delay_alu instid0(VALU_DEP_1) | instskip(SKIP_1) | instid1(VALU_DEP_1)
	v_cmp_le_i32_e64 s1, v8, v6
	v_cmp_gt_i32_e64 s0, s16, v6
	s_and_b32 s1, s1, s0
	s_delay_alu instid0(SALU_CYCLE_1)
	s_and_saveexec_b32 s7, s1
	s_cbranch_execz .LBB141_11
; %bb.10:
	v_mul_f64 v[10:11], v[10:11], s[4:5]
	v_ashrrev_i32_e32 v7, 31, v6
	s_delay_alu instid0(VALU_DEP_1) | instskip(NEXT) | instid1(VALU_DEP_1)
	v_lshlrev_b64 v[12:13], 3, v[6:7]
	v_add_co_u32 v12, s1, v9, v12
	s_delay_alu instid0(VALU_DEP_1)
	v_add_co_ci_u32_e64 v13, s1, v14, v13, s1
	global_store_b64 v[12:13], v[10:11], off
.LBB141_11:
	s_or_b32 exec_lo, exec_lo, s7
	v_add_nc_u32_e32 v7, 16, v8
	s_delay_alu instid0(VALU_DEP_1) | instskip(SKIP_1) | instid1(VALU_DEP_2)
	v_mad_i64_i32 v[8:9], null, v7, s2, 0
	v_cmp_le_i32_e64 s1, v7, v4
	v_lshlrev_b64 v[8:9], 3, v[8:9]
	s_delay_alu instid0(VALU_DEP_1) | instskip(NEXT) | instid1(VALU_DEP_1)
	v_add_co_u32 v8, s2, s3, v8
	v_add_co_ci_u32_e64 v9, s2, s6, v9, s2
	s_delay_alu instid0(VALU_DEP_4) | instskip(NEXT) | instid1(SALU_CYCLE_1)
	s_and_b32 s2, s1, vcc_lo
	s_and_saveexec_b32 s1, s2
	s_cbranch_execz .LBB141_13
; %bb.12:
	v_mul_f64 v[2:3], v[2:3], s[4:5]
	v_ashrrev_i32_e32 v5, 31, v4
	s_delay_alu instid0(VALU_DEP_1) | instskip(NEXT) | instid1(VALU_DEP_1)
	v_lshlrev_b64 v[4:5], 3, v[4:5]
	v_add_co_u32 v4, vcc_lo, v8, v4
	s_delay_alu instid0(VALU_DEP_2)
	v_add_co_ci_u32_e32 v5, vcc_lo, v9, v5, vcc_lo
	global_store_b64 v[4:5], v[2:3], off
.LBB141_13:
	s_or_b32 exec_lo, exec_lo, s1
	v_cmp_le_i32_e32 vcc_lo, v7, v6
	s_and_b32 s0, vcc_lo, s0
	s_delay_alu instid0(SALU_CYCLE_1)
	s_and_saveexec_b32 s1, s0
	s_cbranch_execz .LBB141_15
; %bb.14:
	v_mul_f64 v[0:1], v[0:1], s[4:5]
	v_ashrrev_i32_e32 v7, 31, v6
	s_delay_alu instid0(VALU_DEP_1) | instskip(NEXT) | instid1(VALU_DEP_1)
	v_lshlrev_b64 v[2:3], 3, v[6:7]
	v_add_co_u32 v2, vcc_lo, v8, v2
	s_delay_alu instid0(VALU_DEP_2)
	v_add_co_ci_u32_e32 v3, vcc_lo, v9, v3, vcc_lo
	global_store_b64 v[2:3], v[0:1], off
.LBB141_15:
	s_nop 0
	s_sendmsg sendmsg(MSG_DEALLOC_VGPRS)
	s_endpgm
	.section	.rodata,"a",@progbits
	.p2align	6, 0x0
	.amdhsa_kernel _ZL34rocblas_syrkx_herkx_general_kernelIidLi16ELi32ELi8ELb1ELb0ELc78ELc76EKddEviT_T0_PT8_S1_lS4_S1_lS2_PT9_S1_li
		.amdhsa_group_segment_fixed_size 4096
		.amdhsa_private_segment_fixed_size 0
		.amdhsa_kernarg_size 100
		.amdhsa_user_sgpr_count 13
		.amdhsa_user_sgpr_dispatch_ptr 0
		.amdhsa_user_sgpr_queue_ptr 0
		.amdhsa_user_sgpr_kernarg_segment_ptr 1
		.amdhsa_user_sgpr_dispatch_id 0
		.amdhsa_user_sgpr_private_segment_size 0
		.amdhsa_wavefront_size32 1
		.amdhsa_uses_dynamic_stack 0
		.amdhsa_enable_private_segment 0
		.amdhsa_system_sgpr_workgroup_id_x 1
		.amdhsa_system_sgpr_workgroup_id_y 1
		.amdhsa_system_sgpr_workgroup_id_z 1
		.amdhsa_system_sgpr_workgroup_info 0
		.amdhsa_system_vgpr_workitem_id 1
		.amdhsa_next_free_vgpr 42
		.amdhsa_next_free_sgpr 24
		.amdhsa_reserve_vcc 1
		.amdhsa_float_round_mode_32 0
		.amdhsa_float_round_mode_16_64 0
		.amdhsa_float_denorm_mode_32 3
		.amdhsa_float_denorm_mode_16_64 3
		.amdhsa_dx10_clamp 1
		.amdhsa_ieee_mode 1
		.amdhsa_fp16_overflow 0
		.amdhsa_workgroup_processor_mode 1
		.amdhsa_memory_ordered 1
		.amdhsa_forward_progress 0
		.amdhsa_shared_vgpr_count 0
		.amdhsa_exception_fp_ieee_invalid_op 0
		.amdhsa_exception_fp_denorm_src 0
		.amdhsa_exception_fp_ieee_div_zero 0
		.amdhsa_exception_fp_ieee_overflow 0
		.amdhsa_exception_fp_ieee_underflow 0
		.amdhsa_exception_fp_ieee_inexact 0
		.amdhsa_exception_int_div_zero 0
	.end_amdhsa_kernel
	.section	.text._ZL34rocblas_syrkx_herkx_general_kernelIidLi16ELi32ELi8ELb1ELb0ELc78ELc76EKddEviT_T0_PT8_S1_lS4_S1_lS2_PT9_S1_li,"axG",@progbits,_ZL34rocblas_syrkx_herkx_general_kernelIidLi16ELi32ELi8ELb1ELb0ELc78ELc76EKddEviT_T0_PT8_S1_lS4_S1_lS2_PT9_S1_li,comdat
.Lfunc_end141:
	.size	_ZL34rocblas_syrkx_herkx_general_kernelIidLi16ELi32ELi8ELb1ELb0ELc78ELc76EKddEviT_T0_PT8_S1_lS4_S1_lS2_PT9_S1_li, .Lfunc_end141-_ZL34rocblas_syrkx_herkx_general_kernelIidLi16ELi32ELi8ELb1ELb0ELc78ELc76EKddEviT_T0_PT8_S1_lS4_S1_lS2_PT9_S1_li
                                        ; -- End function
	.section	.AMDGPU.csdata,"",@progbits
; Kernel info:
; codeLenInByte = 1632
; NumSgprs: 26
; NumVgprs: 42
; ScratchSize: 0
; MemoryBound: 0
; FloatMode: 240
; IeeeMode: 1
; LDSByteSize: 4096 bytes/workgroup (compile time only)
; SGPRBlocks: 3
; VGPRBlocks: 5
; NumSGPRsForWavesPerEU: 26
; NumVGPRsForWavesPerEU: 42
; Occupancy: 16
; WaveLimiterHint : 0
; COMPUTE_PGM_RSRC2:SCRATCH_EN: 0
; COMPUTE_PGM_RSRC2:USER_SGPR: 13
; COMPUTE_PGM_RSRC2:TRAP_HANDLER: 0
; COMPUTE_PGM_RSRC2:TGID_X_EN: 1
; COMPUTE_PGM_RSRC2:TGID_Y_EN: 1
; COMPUTE_PGM_RSRC2:TGID_Z_EN: 1
; COMPUTE_PGM_RSRC2:TIDIG_COMP_CNT: 1
	.section	.text._ZL34rocblas_syrkx_herkx_general_kernelIidLi16ELi32ELi8ELb1ELb0ELc84ELc85EKddEviT_T0_PT8_S1_lS4_S1_lS2_PT9_S1_li,"axG",@progbits,_ZL34rocblas_syrkx_herkx_general_kernelIidLi16ELi32ELi8ELb1ELb0ELc84ELc85EKddEviT_T0_PT8_S1_lS4_S1_lS2_PT9_S1_li,comdat
	.globl	_ZL34rocblas_syrkx_herkx_general_kernelIidLi16ELi32ELi8ELb1ELb0ELc84ELc85EKddEviT_T0_PT8_S1_lS4_S1_lS2_PT9_S1_li ; -- Begin function _ZL34rocblas_syrkx_herkx_general_kernelIidLi16ELi32ELi8ELb1ELb0ELc84ELc85EKddEviT_T0_PT8_S1_lS4_S1_lS2_PT9_S1_li
	.p2align	8
	.type	_ZL34rocblas_syrkx_herkx_general_kernelIidLi16ELi32ELi8ELb1ELb0ELc84ELc85EKddEviT_T0_PT8_S1_lS4_S1_lS2_PT9_S1_li,@function
_ZL34rocblas_syrkx_herkx_general_kernelIidLi16ELi32ELi8ELb1ELb0ELc84ELc85EKddEviT_T0_PT8_S1_lS4_S1_lS2_PT9_S1_li: ; @_ZL34rocblas_syrkx_herkx_general_kernelIidLi16ELi32ELi8ELb1ELb0ELc84ELc85EKddEviT_T0_PT8_S1_lS4_S1_lS2_PT9_S1_li
; %bb.0:
	s_clause 0x1
	s_load_b64 s[16:17], s[0:1], 0x0
	s_load_b128 s[4:7], s[0:1], 0x8
	v_mov_b32_e32 v12, 0
	v_dual_mov_b32 v13, 0 :: v_dual_and_b32 v18, 0x3ff, v0
	v_bfe_u32 v19, v0, 10, 10
	s_delay_alu instid0(VALU_DEP_3) | instskip(NEXT) | instid1(VALU_DEP_3)
	v_mov_b32_e32 v10, v12
	v_dual_mov_b32 v2, v12 :: v_dual_mov_b32 v3, v13
	v_dual_mov_b32 v11, v13 :: v_dual_mov_b32 v0, v12
	v_mov_b32_e32 v1, v13
	s_lshl_b32 s12, s13, 5
	s_lshl_b32 s13, s14, 5
	s_mov_b32 s14, 0
	s_waitcnt lgkmcnt(0)
	s_cmp_lt_i32 s17, 1
	s_cbranch_scc1 .LBB142_7
; %bb.1:
	s_load_b32 s2, s[0:1], 0x18
	v_lshl_add_u32 v0, v19, 4, v18
	s_clause 0x2
	s_load_b128 s[8:11], s[0:1], 0x20
	s_load_b32 s3, s[0:1], 0x30
	s_load_b64 s[18:19], s[0:1], 0x38
	v_and_b32_e32 v20, 7, v18
	v_lshlrev_b32_e32 v21, 3, v18
	v_lshl_add_u32 v22, v19, 6, 0x800
	v_and_b32_e32 v2, 31, v0
	v_lshrrev_b32_e32 v1, 3, v0
	v_lshlrev_b32_e32 v4, 3, v20
	v_lshrrev_b32_e32 v23, 5, v0
	s_delay_alu instid0(VALU_DEP_4) | instskip(NEXT) | instid1(VALU_DEP_4)
	v_add_nc_u32_e32 v3, s12, v2
	v_add_nc_u32_e32 v5, s13, v1
	s_delay_alu instid0(VALU_DEP_4) | instskip(SKIP_2) | instid1(VALU_DEP_2)
	v_lshl_or_b32 v7, v1, 6, v4
	v_or_b32_e32 v6, s12, v2
	v_lshlrev_b32_e32 v2, 3, v2
	v_cmp_gt_i32_e32 vcc_lo, s16, v6
	s_waitcnt lgkmcnt(0)
	v_mad_i64_i32 v[0:1], null, s2, v3, 0
	s_mul_i32 s9, s9, s15
	s_mul_hi_u32 s20, s8, s15
	v_lshl_or_b32 v24, v23, 8, v2
	v_mad_i64_i32 v[2:3], null, s3, v5, 0
	s_mul_i32 s8, s8, s15
	s_delay_alu instid0(VALU_DEP_3)
	v_lshlrev_b64 v[0:1], 3, v[0:1]
	s_add_i32 s9, s20, s9
	v_cmp_gt_i32_e64 s2, s16, v5
	s_lshl_b64 s[8:9], s[8:9], 3
	s_delay_alu instid0(VALU_DEP_2) | instid1(SALU_CYCLE_1)
	v_add_co_u32 v5, s3, v0, s8
	s_delay_alu instid0(VALU_DEP_1)
	v_add_co_ci_u32_e64 v6, s3, s9, v1, s3
	s_mul_i32 s3, s19, s15
	s_mul_hi_u32 s8, s18, s15
	v_lshlrev_b64 v[0:1], 3, v[2:3]
	s_add_i32 s9, s8, s3
	s_mul_i32 s8, s18, s15
	v_lshlrev_b32_e32 v2, 3, v23
	s_lshl_b64 s[8:9], s[8:9], 3
	s_delay_alu instid0(VALU_DEP_2) | instid1(SALU_CYCLE_1)
	v_add_co_u32 v0, s3, v0, s8
	s_delay_alu instid0(VALU_DEP_1) | instskip(NEXT) | instid1(VALU_DEP_3)
	v_add_co_ci_u32_e64 v1, s3, s9, v1, s3
	v_add_co_u32 v2, s3, v5, v2
	s_delay_alu instid0(VALU_DEP_1) | instskip(NEXT) | instid1(VALU_DEP_4)
	v_add_co_ci_u32_e64 v3, s3, 0, v6, s3
	v_add_co_u32 v0, s3, v0, v4
	v_mov_b32_e32 v4, 0
	v_add_co_ci_u32_e64 v1, s3, 0, v1, s3
	v_mov_b32_e32 v5, 0
	v_add_co_u32 v6, s3, s6, v2
	v_add_nc_u32_e32 v25, 0x800, v7
	v_add_co_ci_u32_e64 v7, s3, s7, v3, s3
	v_mov_b32_e32 v2, v4
	v_add_co_u32 v8, s3, s10, v0
	v_mov_b32_e32 v11, v5
	v_add_co_ci_u32_e64 v9, s3, s11, v1, s3
	v_mov_b32_e32 v0, v4
	v_dual_mov_b32 v10, v4 :: v_dual_mov_b32 v13, v5
	v_mov_b32_e32 v1, v5
	v_dual_mov_b32 v3, v5 :: v_dual_mov_b32 v12, v4
	s_branch .LBB142_3
.LBB142_2:                              ;   in Loop: Header=BB142_3 Depth=1
	s_or_b32 exec_lo, exec_lo, s3
	s_waitcnt vmcnt(0)
	ds_store_b64 v25, v[16:17]
	s_waitcnt lgkmcnt(0)
	s_barrier
	buffer_gl0_inv
	ds_load_2addr_b64 v[14:17], v21 offset1:16
	ds_load_b128 v[26:29], v22
	ds_load_b128 v[30:33], v22 offset:1024
	ds_load_b128 v[34:37], v22 offset:16
	;; [unrolled: 1-line block ×3, first 2 shown]
	v_add_co_u32 v6, s3, v6, 64
	s_delay_alu instid0(VALU_DEP_1) | instskip(SKIP_1) | instid1(VALU_DEP_1)
	v_add_co_ci_u32_e64 v7, s3, 0, v7, s3
	v_add_co_u32 v8, s3, v8, 64
	v_add_co_ci_u32_e64 v9, s3, 0, v9, s3
	s_add_i32 s14, s14, 8
	s_delay_alu instid0(SALU_CYCLE_1)
	s_cmp_ge_i32 s14, s17
	s_waitcnt lgkmcnt(3)
	v_fma_f64 v[12:13], v[14:15], v[26:27], v[12:13]
	v_fma_f64 v[10:11], v[16:17], v[26:27], v[10:11]
	s_waitcnt lgkmcnt(2)
	v_fma_f64 v[14:15], v[14:15], v[30:31], v[2:3]
	v_fma_f64 v[16:17], v[16:17], v[30:31], v[0:1]
	ds_load_2addr_b64 v[0:3], v21 offset0:32 offset1:48
	s_waitcnt lgkmcnt(0)
	v_fma_f64 v[12:13], v[0:1], v[28:29], v[12:13]
	v_fma_f64 v[10:11], v[2:3], v[28:29], v[10:11]
	v_fma_f64 v[14:15], v[0:1], v[32:33], v[14:15]
	v_fma_f64 v[16:17], v[2:3], v[32:33], v[16:17]
	ds_load_2addr_b64 v[0:3], v21 offset0:64 offset1:80
	s_waitcnt lgkmcnt(0)
	v_fma_f64 v[12:13], v[0:1], v[34:35], v[12:13]
	v_fma_f64 v[10:11], v[2:3], v[34:35], v[10:11]
	;; [unrolled: 6-line block ×3, first 2 shown]
	v_fma_f64 v[38:39], v[0:1], v[40:41], v[14:15]
	v_fma_f64 v[40:41], v[2:3], v[40:41], v[16:17]
	ds_load_2addr_b64 v[0:3], v21 offset0:128 offset1:144
	ds_load_b128 v[10:13], v22 offset:32
	ds_load_b128 v[14:17], v22 offset:1056
	;; [unrolled: 1-line block ×4, first 2 shown]
	s_waitcnt lgkmcnt(3)
	v_fma_f64 v[34:35], v[0:1], v[10:11], v[34:35]
	v_fma_f64 v[10:11], v[2:3], v[10:11], v[36:37]
	s_waitcnt lgkmcnt(2)
	v_fma_f64 v[36:37], v[0:1], v[14:15], v[38:39]
	v_fma_f64 v[14:15], v[2:3], v[14:15], v[40:41]
	ds_load_2addr_b64 v[0:3], v21 offset0:160 offset1:176
	s_waitcnt lgkmcnt(0)
	v_fma_f64 v[34:35], v[0:1], v[12:13], v[34:35]
	v_fma_f64 v[10:11], v[2:3], v[12:13], v[10:11]
	;; [unrolled: 1-line block ×4, first 2 shown]
	ds_load_2addr_b64 v[0:3], v21 offset0:192 offset1:208
	s_waitcnt lgkmcnt(0)
	v_fma_f64 v[34:35], v[0:1], v[26:27], v[34:35]
	v_fma_f64 v[10:11], v[2:3], v[26:27], v[10:11]
	;; [unrolled: 1-line block ×4, first 2 shown]
	ds_load_2addr_b64 v[14:17], v21 offset0:224 offset1:240
	s_waitcnt lgkmcnt(0)
	s_barrier
	buffer_gl0_inv
	v_fma_f64 v[12:13], v[14:15], v[28:29], v[34:35]
	v_fma_f64 v[10:11], v[16:17], v[28:29], v[10:11]
	;; [unrolled: 1-line block ×4, first 2 shown]
	s_cbranch_scc1 .LBB142_7
.LBB142_3:                              ; =>This Inner Loop Header: Depth=1
	v_add_nc_u32_e32 v14, s14, v23
	s_delay_alu instid0(VALU_DEP_1) | instskip(SKIP_1) | instid1(VALU_DEP_2)
	v_cmp_gt_i32_e64 s3, s17, v14
	v_dual_mov_b32 v15, v5 :: v_dual_mov_b32 v14, v4
	s_and_b32 s6, vcc_lo, s3
	s_delay_alu instid0(SALU_CYCLE_1)
	s_and_saveexec_b32 s3, s6
	s_cbranch_execz .LBB142_5
; %bb.4:                                ;   in Loop: Header=BB142_3 Depth=1
	global_load_b64 v[14:15], v[6:7], off
.LBB142_5:                              ;   in Loop: Header=BB142_3 Depth=1
	s_or_b32 exec_lo, exec_lo, s3
	v_add_nc_u32_e32 v16, s14, v20
	s_waitcnt vmcnt(0)
	ds_store_b64 v24, v[14:15]
	v_cmp_gt_i32_e64 s3, s17, v16
	v_dual_mov_b32 v17, v5 :: v_dual_mov_b32 v16, v4
	s_delay_alu instid0(VALU_DEP_2) | instskip(NEXT) | instid1(SALU_CYCLE_1)
	s_and_b32 s6, s3, s2
	s_and_saveexec_b32 s3, s6
	s_cbranch_execz .LBB142_2
; %bb.6:                                ;   in Loop: Header=BB142_3 Depth=1
	global_load_b64 v[16:17], v[8:9], off
	s_branch .LBB142_2
.LBB142_7:
	s_clause 0x2
	s_load_b32 s2, s[0:1], 0x50
	s_load_b64 s[6:7], s[0:1], 0x58
	s_load_b64 s[8:9], s[0:1], 0x48
	v_add_nc_u32_e32 v8, s13, v19
	v_add_nc_u32_e32 v4, s12, v18
	s_delay_alu instid0(VALU_DEP_2)
	v_cmp_gt_i32_e32 vcc_lo, s16, v8
	s_waitcnt lgkmcnt(0)
	v_mad_i64_i32 v[5:6], null, v8, s2, 0
	s_mul_i32 s1, s15, s7
	s_mul_hi_u32 s3, s15, s6
	s_mul_i32 s0, s15, s6
	s_add_i32 s1, s3, s1
	s_delay_alu instid0(SALU_CYCLE_1) | instskip(NEXT) | instid1(VALU_DEP_1)
	s_lshl_b64 s[6:7], s[0:1], 3
	v_lshlrev_b64 v[5:6], 3, v[5:6]
	s_add_u32 s3, s8, s6
	v_cmp_le_i32_e64 s0, v4, v8
	s_addc_u32 s6, s9, s7
	s_delay_alu instid0(VALU_DEP_2) | instskip(NEXT) | instid1(VALU_DEP_1)
	v_add_co_u32 v9, s1, s3, v5
	v_add_co_ci_u32_e64 v14, s1, s6, v6, s1
	s_delay_alu instid0(VALU_DEP_3) | instskip(NEXT) | instid1(SALU_CYCLE_1)
	s_and_b32 s0, vcc_lo, s0
	s_and_saveexec_b32 s1, s0
	s_cbranch_execz .LBB142_9
; %bb.8:
	v_mul_f64 v[6:7], v[12:13], s[4:5]
	v_ashrrev_i32_e32 v5, 31, v4
	s_delay_alu instid0(VALU_DEP_1) | instskip(NEXT) | instid1(VALU_DEP_1)
	v_lshlrev_b64 v[12:13], 3, v[4:5]
	v_add_co_u32 v12, s0, v9, v12
	s_delay_alu instid0(VALU_DEP_1)
	v_add_co_ci_u32_e64 v13, s0, v14, v13, s0
	global_store_b64 v[12:13], v[6:7], off
.LBB142_9:
	s_or_b32 exec_lo, exec_lo, s1
	v_add_nc_u32_e32 v6, 16, v4
	s_delay_alu instid0(VALU_DEP_1) | instskip(NEXT) | instid1(VALU_DEP_1)
	v_cmp_le_i32_e64 s0, v6, v8
	s_and_b32 s1, vcc_lo, s0
	s_delay_alu instid0(SALU_CYCLE_1)
	s_and_saveexec_b32 s0, s1
	s_cbranch_execz .LBB142_11
; %bb.10:
	v_mul_f64 v[10:11], v[10:11], s[4:5]
	v_ashrrev_i32_e32 v7, 31, v6
	s_delay_alu instid0(VALU_DEP_1) | instskip(NEXT) | instid1(VALU_DEP_1)
	v_lshlrev_b64 v[12:13], 3, v[6:7]
	v_add_co_u32 v12, vcc_lo, v9, v12
	s_delay_alu instid0(VALU_DEP_2)
	v_add_co_ci_u32_e32 v13, vcc_lo, v14, v13, vcc_lo
	global_store_b64 v[12:13], v[10:11], off
.LBB142_11:
	s_or_b32 exec_lo, exec_lo, s0
	v_add_nc_u32_e32 v7, 16, v8
	s_delay_alu instid0(VALU_DEP_1) | instskip(SKIP_2) | instid1(VALU_DEP_1)
	v_mad_i64_i32 v[8:9], null, v7, s2, 0
	v_cmp_gt_i32_e32 vcc_lo, s16, v7
	v_cmp_le_i32_e64 s0, v4, v7
	s_and_b32 s0, vcc_lo, s0
	s_delay_alu instid0(VALU_DEP_3) | instskip(NEXT) | instid1(VALU_DEP_1)
	v_lshlrev_b64 v[8:9], 3, v[8:9]
	v_add_co_u32 v8, s1, s3, v8
	s_delay_alu instid0(VALU_DEP_1)
	v_add_co_ci_u32_e64 v9, s1, s6, v9, s1
	s_and_saveexec_b32 s1, s0
	s_cbranch_execz .LBB142_13
; %bb.12:
	v_mul_f64 v[2:3], v[2:3], s[4:5]
	v_ashrrev_i32_e32 v5, 31, v4
	s_delay_alu instid0(VALU_DEP_1) | instskip(NEXT) | instid1(VALU_DEP_1)
	v_lshlrev_b64 v[4:5], 3, v[4:5]
	v_add_co_u32 v4, s0, v8, v4
	s_delay_alu instid0(VALU_DEP_1)
	v_add_co_ci_u32_e64 v5, s0, v9, v5, s0
	global_store_b64 v[4:5], v[2:3], off
.LBB142_13:
	s_or_b32 exec_lo, exec_lo, s1
	v_cmp_le_i32_e64 s0, v6, v7
	s_delay_alu instid0(VALU_DEP_1) | instskip(NEXT) | instid1(SALU_CYCLE_1)
	s_and_b32 s0, vcc_lo, s0
	s_and_saveexec_b32 s1, s0
	s_cbranch_execz .LBB142_15
; %bb.14:
	v_mul_f64 v[0:1], v[0:1], s[4:5]
	v_ashrrev_i32_e32 v7, 31, v6
	s_delay_alu instid0(VALU_DEP_1) | instskip(NEXT) | instid1(VALU_DEP_1)
	v_lshlrev_b64 v[2:3], 3, v[6:7]
	v_add_co_u32 v2, vcc_lo, v8, v2
	s_delay_alu instid0(VALU_DEP_2)
	v_add_co_ci_u32_e32 v3, vcc_lo, v9, v3, vcc_lo
	global_store_b64 v[2:3], v[0:1], off
.LBB142_15:
	s_nop 0
	s_sendmsg sendmsg(MSG_DEALLOC_VGPRS)
	s_endpgm
	.section	.rodata,"a",@progbits
	.p2align	6, 0x0
	.amdhsa_kernel _ZL34rocblas_syrkx_herkx_general_kernelIidLi16ELi32ELi8ELb1ELb0ELc84ELc85EKddEviT_T0_PT8_S1_lS4_S1_lS2_PT9_S1_li
		.amdhsa_group_segment_fixed_size 4096
		.amdhsa_private_segment_fixed_size 0
		.amdhsa_kernarg_size 100
		.amdhsa_user_sgpr_count 13
		.amdhsa_user_sgpr_dispatch_ptr 0
		.amdhsa_user_sgpr_queue_ptr 0
		.amdhsa_user_sgpr_kernarg_segment_ptr 1
		.amdhsa_user_sgpr_dispatch_id 0
		.amdhsa_user_sgpr_private_segment_size 0
		.amdhsa_wavefront_size32 1
		.amdhsa_uses_dynamic_stack 0
		.amdhsa_enable_private_segment 0
		.amdhsa_system_sgpr_workgroup_id_x 1
		.amdhsa_system_sgpr_workgroup_id_y 1
		.amdhsa_system_sgpr_workgroup_id_z 1
		.amdhsa_system_sgpr_workgroup_info 0
		.amdhsa_system_vgpr_workitem_id 1
		.amdhsa_next_free_vgpr 42
		.amdhsa_next_free_sgpr 21
		.amdhsa_reserve_vcc 1
		.amdhsa_float_round_mode_32 0
		.amdhsa_float_round_mode_16_64 0
		.amdhsa_float_denorm_mode_32 3
		.amdhsa_float_denorm_mode_16_64 3
		.amdhsa_dx10_clamp 1
		.amdhsa_ieee_mode 1
		.amdhsa_fp16_overflow 0
		.amdhsa_workgroup_processor_mode 1
		.amdhsa_memory_ordered 1
		.amdhsa_forward_progress 0
		.amdhsa_shared_vgpr_count 0
		.amdhsa_exception_fp_ieee_invalid_op 0
		.amdhsa_exception_fp_denorm_src 0
		.amdhsa_exception_fp_ieee_div_zero 0
		.amdhsa_exception_fp_ieee_overflow 0
		.amdhsa_exception_fp_ieee_underflow 0
		.amdhsa_exception_fp_ieee_inexact 0
		.amdhsa_exception_int_div_zero 0
	.end_amdhsa_kernel
	.section	.text._ZL34rocblas_syrkx_herkx_general_kernelIidLi16ELi32ELi8ELb1ELb0ELc84ELc85EKddEviT_T0_PT8_S1_lS4_S1_lS2_PT9_S1_li,"axG",@progbits,_ZL34rocblas_syrkx_herkx_general_kernelIidLi16ELi32ELi8ELb1ELb0ELc84ELc85EKddEviT_T0_PT8_S1_lS4_S1_lS2_PT9_S1_li,comdat
.Lfunc_end142:
	.size	_ZL34rocblas_syrkx_herkx_general_kernelIidLi16ELi32ELi8ELb1ELb0ELc84ELc85EKddEviT_T0_PT8_S1_lS4_S1_lS2_PT9_S1_li, .Lfunc_end142-_ZL34rocblas_syrkx_herkx_general_kernelIidLi16ELi32ELi8ELb1ELb0ELc84ELc85EKddEviT_T0_PT8_S1_lS4_S1_lS2_PT9_S1_li
                                        ; -- End function
	.section	.AMDGPU.csdata,"",@progbits
; Kernel info:
; codeLenInByte = 1604
; NumSgprs: 23
; NumVgprs: 42
; ScratchSize: 0
; MemoryBound: 0
; FloatMode: 240
; IeeeMode: 1
; LDSByteSize: 4096 bytes/workgroup (compile time only)
; SGPRBlocks: 2
; VGPRBlocks: 5
; NumSGPRsForWavesPerEU: 23
; NumVGPRsForWavesPerEU: 42
; Occupancy: 16
; WaveLimiterHint : 0
; COMPUTE_PGM_RSRC2:SCRATCH_EN: 0
; COMPUTE_PGM_RSRC2:USER_SGPR: 13
; COMPUTE_PGM_RSRC2:TRAP_HANDLER: 0
; COMPUTE_PGM_RSRC2:TGID_X_EN: 1
; COMPUTE_PGM_RSRC2:TGID_Y_EN: 1
; COMPUTE_PGM_RSRC2:TGID_Z_EN: 1
; COMPUTE_PGM_RSRC2:TIDIG_COMP_CNT: 1
	.section	.text._ZL34rocblas_syrkx_herkx_general_kernelIidLi16ELi32ELi8ELb1ELb0ELc67ELc85EKddEviT_T0_PT8_S1_lS4_S1_lS2_PT9_S1_li,"axG",@progbits,_ZL34rocblas_syrkx_herkx_general_kernelIidLi16ELi32ELi8ELb1ELb0ELc67ELc85EKddEviT_T0_PT8_S1_lS4_S1_lS2_PT9_S1_li,comdat
	.globl	_ZL34rocblas_syrkx_herkx_general_kernelIidLi16ELi32ELi8ELb1ELb0ELc67ELc85EKddEviT_T0_PT8_S1_lS4_S1_lS2_PT9_S1_li ; -- Begin function _ZL34rocblas_syrkx_herkx_general_kernelIidLi16ELi32ELi8ELb1ELb0ELc67ELc85EKddEviT_T0_PT8_S1_lS4_S1_lS2_PT9_S1_li
	.p2align	8
	.type	_ZL34rocblas_syrkx_herkx_general_kernelIidLi16ELi32ELi8ELb1ELb0ELc67ELc85EKddEviT_T0_PT8_S1_lS4_S1_lS2_PT9_S1_li,@function
_ZL34rocblas_syrkx_herkx_general_kernelIidLi16ELi32ELi8ELb1ELb0ELc67ELc85EKddEviT_T0_PT8_S1_lS4_S1_lS2_PT9_S1_li: ; @_ZL34rocblas_syrkx_herkx_general_kernelIidLi16ELi32ELi8ELb1ELb0ELc67ELc85EKddEviT_T0_PT8_S1_lS4_S1_lS2_PT9_S1_li
; %bb.0:
	s_clause 0x1
	s_load_b64 s[16:17], s[0:1], 0x0
	s_load_b128 s[4:7], s[0:1], 0x8
	v_mov_b32_e32 v12, 0
	v_dual_mov_b32 v13, 0 :: v_dual_and_b32 v18, 0x3ff, v0
	v_bfe_u32 v19, v0, 10, 10
	s_delay_alu instid0(VALU_DEP_3) | instskip(NEXT) | instid1(VALU_DEP_3)
	v_mov_b32_e32 v10, v12
	v_dual_mov_b32 v2, v12 :: v_dual_mov_b32 v3, v13
	v_dual_mov_b32 v11, v13 :: v_dual_mov_b32 v0, v12
	v_mov_b32_e32 v1, v13
	s_lshl_b32 s12, s13, 5
	s_lshl_b32 s13, s14, 5
	s_mov_b32 s14, 0
	s_waitcnt lgkmcnt(0)
	s_cmp_lt_i32 s17, 1
	s_cbranch_scc1 .LBB143_7
; %bb.1:
	s_load_b32 s2, s[0:1], 0x18
	v_lshl_add_u32 v0, v19, 4, v18
	s_clause 0x2
	s_load_b128 s[8:11], s[0:1], 0x20
	s_load_b32 s3, s[0:1], 0x30
	s_load_b64 s[18:19], s[0:1], 0x38
	v_and_b32_e32 v20, 7, v18
	v_lshlrev_b32_e32 v21, 3, v18
	v_lshl_add_u32 v22, v19, 6, 0x800
	v_and_b32_e32 v2, 31, v0
	v_lshrrev_b32_e32 v1, 3, v0
	v_lshlrev_b32_e32 v4, 3, v20
	v_lshrrev_b32_e32 v23, 5, v0
	s_delay_alu instid0(VALU_DEP_4) | instskip(NEXT) | instid1(VALU_DEP_4)
	v_add_nc_u32_e32 v3, s12, v2
	v_add_nc_u32_e32 v5, s13, v1
	s_delay_alu instid0(VALU_DEP_4) | instskip(SKIP_2) | instid1(VALU_DEP_2)
	v_lshl_or_b32 v7, v1, 6, v4
	v_or_b32_e32 v6, s12, v2
	v_lshlrev_b32_e32 v2, 3, v2
	v_cmp_gt_i32_e32 vcc_lo, s16, v6
	s_waitcnt lgkmcnt(0)
	v_mad_i64_i32 v[0:1], null, s2, v3, 0
	s_mul_i32 s9, s9, s15
	s_mul_hi_u32 s20, s8, s15
	v_lshl_or_b32 v24, v23, 8, v2
	v_mad_i64_i32 v[2:3], null, s3, v5, 0
	s_mul_i32 s8, s8, s15
	s_delay_alu instid0(VALU_DEP_3)
	v_lshlrev_b64 v[0:1], 3, v[0:1]
	s_add_i32 s9, s20, s9
	v_cmp_gt_i32_e64 s2, s16, v5
	s_lshl_b64 s[8:9], s[8:9], 3
	s_delay_alu instid0(VALU_DEP_2) | instid1(SALU_CYCLE_1)
	v_add_co_u32 v5, s3, v0, s8
	s_delay_alu instid0(VALU_DEP_1)
	v_add_co_ci_u32_e64 v6, s3, s9, v1, s3
	s_mul_i32 s3, s19, s15
	s_mul_hi_u32 s8, s18, s15
	v_lshlrev_b64 v[0:1], 3, v[2:3]
	s_add_i32 s9, s8, s3
	s_mul_i32 s8, s18, s15
	v_lshlrev_b32_e32 v2, 3, v23
	s_lshl_b64 s[8:9], s[8:9], 3
	s_delay_alu instid0(VALU_DEP_2) | instid1(SALU_CYCLE_1)
	v_add_co_u32 v0, s3, v0, s8
	s_delay_alu instid0(VALU_DEP_1) | instskip(NEXT) | instid1(VALU_DEP_3)
	v_add_co_ci_u32_e64 v1, s3, s9, v1, s3
	v_add_co_u32 v2, s3, v5, v2
	s_delay_alu instid0(VALU_DEP_1) | instskip(NEXT) | instid1(VALU_DEP_4)
	v_add_co_ci_u32_e64 v3, s3, 0, v6, s3
	v_add_co_u32 v0, s3, v0, v4
	v_mov_b32_e32 v4, 0
	v_add_co_ci_u32_e64 v1, s3, 0, v1, s3
	v_mov_b32_e32 v5, 0
	v_add_co_u32 v6, s3, s6, v2
	v_add_nc_u32_e32 v25, 0x800, v7
	v_add_co_ci_u32_e64 v7, s3, s7, v3, s3
	v_mov_b32_e32 v2, v4
	v_add_co_u32 v8, s3, s10, v0
	v_mov_b32_e32 v11, v5
	v_add_co_ci_u32_e64 v9, s3, s11, v1, s3
	v_mov_b32_e32 v0, v4
	v_dual_mov_b32 v10, v4 :: v_dual_mov_b32 v13, v5
	v_mov_b32_e32 v1, v5
	v_dual_mov_b32 v3, v5 :: v_dual_mov_b32 v12, v4
	s_branch .LBB143_3
.LBB143_2:                              ;   in Loop: Header=BB143_3 Depth=1
	s_or_b32 exec_lo, exec_lo, s3
	s_waitcnt vmcnt(0)
	ds_store_b64 v25, v[16:17]
	s_waitcnt lgkmcnt(0)
	s_barrier
	buffer_gl0_inv
	ds_load_2addr_b64 v[14:17], v21 offset1:16
	ds_load_b128 v[26:29], v22
	ds_load_b128 v[30:33], v22 offset:1024
	ds_load_b128 v[34:37], v22 offset:16
	;; [unrolled: 1-line block ×3, first 2 shown]
	v_add_co_u32 v6, s3, v6, 64
	s_delay_alu instid0(VALU_DEP_1) | instskip(SKIP_1) | instid1(VALU_DEP_1)
	v_add_co_ci_u32_e64 v7, s3, 0, v7, s3
	v_add_co_u32 v8, s3, v8, 64
	v_add_co_ci_u32_e64 v9, s3, 0, v9, s3
	s_add_i32 s14, s14, 8
	s_delay_alu instid0(SALU_CYCLE_1)
	s_cmp_ge_i32 s14, s17
	s_waitcnt lgkmcnt(3)
	v_fma_f64 v[12:13], v[14:15], v[26:27], v[12:13]
	v_fma_f64 v[10:11], v[16:17], v[26:27], v[10:11]
	s_waitcnt lgkmcnt(2)
	v_fma_f64 v[14:15], v[14:15], v[30:31], v[2:3]
	v_fma_f64 v[16:17], v[16:17], v[30:31], v[0:1]
	ds_load_2addr_b64 v[0:3], v21 offset0:32 offset1:48
	s_waitcnt lgkmcnt(0)
	v_fma_f64 v[12:13], v[0:1], v[28:29], v[12:13]
	v_fma_f64 v[10:11], v[2:3], v[28:29], v[10:11]
	v_fma_f64 v[14:15], v[0:1], v[32:33], v[14:15]
	v_fma_f64 v[16:17], v[2:3], v[32:33], v[16:17]
	ds_load_2addr_b64 v[0:3], v21 offset0:64 offset1:80
	s_waitcnt lgkmcnt(0)
	v_fma_f64 v[12:13], v[0:1], v[34:35], v[12:13]
	v_fma_f64 v[10:11], v[2:3], v[34:35], v[10:11]
	;; [unrolled: 6-line block ×3, first 2 shown]
	v_fma_f64 v[38:39], v[0:1], v[40:41], v[14:15]
	v_fma_f64 v[40:41], v[2:3], v[40:41], v[16:17]
	ds_load_2addr_b64 v[0:3], v21 offset0:128 offset1:144
	ds_load_b128 v[10:13], v22 offset:32
	ds_load_b128 v[14:17], v22 offset:1056
	;; [unrolled: 1-line block ×4, first 2 shown]
	s_waitcnt lgkmcnt(3)
	v_fma_f64 v[34:35], v[0:1], v[10:11], v[34:35]
	v_fma_f64 v[10:11], v[2:3], v[10:11], v[36:37]
	s_waitcnt lgkmcnt(2)
	v_fma_f64 v[36:37], v[0:1], v[14:15], v[38:39]
	v_fma_f64 v[14:15], v[2:3], v[14:15], v[40:41]
	ds_load_2addr_b64 v[0:3], v21 offset0:160 offset1:176
	s_waitcnt lgkmcnt(0)
	v_fma_f64 v[34:35], v[0:1], v[12:13], v[34:35]
	v_fma_f64 v[10:11], v[2:3], v[12:13], v[10:11]
	;; [unrolled: 1-line block ×4, first 2 shown]
	ds_load_2addr_b64 v[0:3], v21 offset0:192 offset1:208
	s_waitcnt lgkmcnt(0)
	v_fma_f64 v[34:35], v[0:1], v[26:27], v[34:35]
	v_fma_f64 v[10:11], v[2:3], v[26:27], v[10:11]
	;; [unrolled: 1-line block ×4, first 2 shown]
	ds_load_2addr_b64 v[14:17], v21 offset0:224 offset1:240
	s_waitcnt lgkmcnt(0)
	s_barrier
	buffer_gl0_inv
	v_fma_f64 v[12:13], v[14:15], v[28:29], v[34:35]
	v_fma_f64 v[10:11], v[16:17], v[28:29], v[10:11]
	;; [unrolled: 1-line block ×4, first 2 shown]
	s_cbranch_scc1 .LBB143_7
.LBB143_3:                              ; =>This Inner Loop Header: Depth=1
	v_add_nc_u32_e32 v14, s14, v23
	s_delay_alu instid0(VALU_DEP_1) | instskip(SKIP_1) | instid1(VALU_DEP_2)
	v_cmp_gt_i32_e64 s3, s17, v14
	v_dual_mov_b32 v15, v5 :: v_dual_mov_b32 v14, v4
	s_and_b32 s6, vcc_lo, s3
	s_delay_alu instid0(SALU_CYCLE_1)
	s_and_saveexec_b32 s3, s6
	s_cbranch_execz .LBB143_5
; %bb.4:                                ;   in Loop: Header=BB143_3 Depth=1
	global_load_b64 v[14:15], v[6:7], off
.LBB143_5:                              ;   in Loop: Header=BB143_3 Depth=1
	s_or_b32 exec_lo, exec_lo, s3
	v_add_nc_u32_e32 v16, s14, v20
	s_waitcnt vmcnt(0)
	ds_store_b64 v24, v[14:15]
	v_cmp_gt_i32_e64 s3, s17, v16
	v_dual_mov_b32 v17, v5 :: v_dual_mov_b32 v16, v4
	s_delay_alu instid0(VALU_DEP_2) | instskip(NEXT) | instid1(SALU_CYCLE_1)
	s_and_b32 s6, s3, s2
	s_and_saveexec_b32 s3, s6
	s_cbranch_execz .LBB143_2
; %bb.6:                                ;   in Loop: Header=BB143_3 Depth=1
	global_load_b64 v[16:17], v[8:9], off
	s_branch .LBB143_2
.LBB143_7:
	s_clause 0x2
	s_load_b32 s2, s[0:1], 0x50
	s_load_b64 s[6:7], s[0:1], 0x58
	s_load_b64 s[8:9], s[0:1], 0x48
	v_add_nc_u32_e32 v8, s13, v19
	v_add_nc_u32_e32 v4, s12, v18
	s_delay_alu instid0(VALU_DEP_2)
	v_cmp_gt_i32_e32 vcc_lo, s16, v8
	s_waitcnt lgkmcnt(0)
	v_mad_i64_i32 v[5:6], null, v8, s2, 0
	s_mul_i32 s1, s15, s7
	s_mul_hi_u32 s3, s15, s6
	s_mul_i32 s0, s15, s6
	s_add_i32 s1, s3, s1
	s_delay_alu instid0(SALU_CYCLE_1) | instskip(NEXT) | instid1(VALU_DEP_1)
	s_lshl_b64 s[6:7], s[0:1], 3
	v_lshlrev_b64 v[5:6], 3, v[5:6]
	s_add_u32 s3, s8, s6
	v_cmp_le_i32_e64 s0, v4, v8
	s_addc_u32 s6, s9, s7
	s_delay_alu instid0(VALU_DEP_2) | instskip(NEXT) | instid1(VALU_DEP_1)
	v_add_co_u32 v9, s1, s3, v5
	v_add_co_ci_u32_e64 v14, s1, s6, v6, s1
	s_delay_alu instid0(VALU_DEP_3) | instskip(NEXT) | instid1(SALU_CYCLE_1)
	s_and_b32 s0, vcc_lo, s0
	s_and_saveexec_b32 s1, s0
	s_cbranch_execz .LBB143_9
; %bb.8:
	v_mul_f64 v[6:7], v[12:13], s[4:5]
	v_ashrrev_i32_e32 v5, 31, v4
	s_delay_alu instid0(VALU_DEP_1) | instskip(NEXT) | instid1(VALU_DEP_1)
	v_lshlrev_b64 v[12:13], 3, v[4:5]
	v_add_co_u32 v12, s0, v9, v12
	s_delay_alu instid0(VALU_DEP_1)
	v_add_co_ci_u32_e64 v13, s0, v14, v13, s0
	global_store_b64 v[12:13], v[6:7], off
.LBB143_9:
	s_or_b32 exec_lo, exec_lo, s1
	v_add_nc_u32_e32 v6, 16, v4
	s_delay_alu instid0(VALU_DEP_1) | instskip(NEXT) | instid1(VALU_DEP_1)
	v_cmp_le_i32_e64 s0, v6, v8
	s_and_b32 s1, vcc_lo, s0
	s_delay_alu instid0(SALU_CYCLE_1)
	s_and_saveexec_b32 s0, s1
	s_cbranch_execz .LBB143_11
; %bb.10:
	v_mul_f64 v[10:11], v[10:11], s[4:5]
	v_ashrrev_i32_e32 v7, 31, v6
	s_delay_alu instid0(VALU_DEP_1) | instskip(NEXT) | instid1(VALU_DEP_1)
	v_lshlrev_b64 v[12:13], 3, v[6:7]
	v_add_co_u32 v12, vcc_lo, v9, v12
	s_delay_alu instid0(VALU_DEP_2)
	v_add_co_ci_u32_e32 v13, vcc_lo, v14, v13, vcc_lo
	global_store_b64 v[12:13], v[10:11], off
.LBB143_11:
	s_or_b32 exec_lo, exec_lo, s0
	v_add_nc_u32_e32 v7, 16, v8
	s_delay_alu instid0(VALU_DEP_1) | instskip(SKIP_2) | instid1(VALU_DEP_1)
	v_mad_i64_i32 v[8:9], null, v7, s2, 0
	v_cmp_gt_i32_e32 vcc_lo, s16, v7
	v_cmp_le_i32_e64 s0, v4, v7
	s_and_b32 s0, vcc_lo, s0
	s_delay_alu instid0(VALU_DEP_3) | instskip(NEXT) | instid1(VALU_DEP_1)
	v_lshlrev_b64 v[8:9], 3, v[8:9]
	v_add_co_u32 v8, s1, s3, v8
	s_delay_alu instid0(VALU_DEP_1)
	v_add_co_ci_u32_e64 v9, s1, s6, v9, s1
	s_and_saveexec_b32 s1, s0
	s_cbranch_execz .LBB143_13
; %bb.12:
	v_mul_f64 v[2:3], v[2:3], s[4:5]
	v_ashrrev_i32_e32 v5, 31, v4
	s_delay_alu instid0(VALU_DEP_1) | instskip(NEXT) | instid1(VALU_DEP_1)
	v_lshlrev_b64 v[4:5], 3, v[4:5]
	v_add_co_u32 v4, s0, v8, v4
	s_delay_alu instid0(VALU_DEP_1)
	v_add_co_ci_u32_e64 v5, s0, v9, v5, s0
	global_store_b64 v[4:5], v[2:3], off
.LBB143_13:
	s_or_b32 exec_lo, exec_lo, s1
	v_cmp_le_i32_e64 s0, v6, v7
	s_delay_alu instid0(VALU_DEP_1) | instskip(NEXT) | instid1(SALU_CYCLE_1)
	s_and_b32 s0, vcc_lo, s0
	s_and_saveexec_b32 s1, s0
	s_cbranch_execz .LBB143_15
; %bb.14:
	v_mul_f64 v[0:1], v[0:1], s[4:5]
	v_ashrrev_i32_e32 v7, 31, v6
	s_delay_alu instid0(VALU_DEP_1) | instskip(NEXT) | instid1(VALU_DEP_1)
	v_lshlrev_b64 v[2:3], 3, v[6:7]
	v_add_co_u32 v2, vcc_lo, v8, v2
	s_delay_alu instid0(VALU_DEP_2)
	v_add_co_ci_u32_e32 v3, vcc_lo, v9, v3, vcc_lo
	global_store_b64 v[2:3], v[0:1], off
.LBB143_15:
	s_nop 0
	s_sendmsg sendmsg(MSG_DEALLOC_VGPRS)
	s_endpgm
	.section	.rodata,"a",@progbits
	.p2align	6, 0x0
	.amdhsa_kernel _ZL34rocblas_syrkx_herkx_general_kernelIidLi16ELi32ELi8ELb1ELb0ELc67ELc85EKddEviT_T0_PT8_S1_lS4_S1_lS2_PT9_S1_li
		.amdhsa_group_segment_fixed_size 4096
		.amdhsa_private_segment_fixed_size 0
		.amdhsa_kernarg_size 100
		.amdhsa_user_sgpr_count 13
		.amdhsa_user_sgpr_dispatch_ptr 0
		.amdhsa_user_sgpr_queue_ptr 0
		.amdhsa_user_sgpr_kernarg_segment_ptr 1
		.amdhsa_user_sgpr_dispatch_id 0
		.amdhsa_user_sgpr_private_segment_size 0
		.amdhsa_wavefront_size32 1
		.amdhsa_uses_dynamic_stack 0
		.amdhsa_enable_private_segment 0
		.amdhsa_system_sgpr_workgroup_id_x 1
		.amdhsa_system_sgpr_workgroup_id_y 1
		.amdhsa_system_sgpr_workgroup_id_z 1
		.amdhsa_system_sgpr_workgroup_info 0
		.amdhsa_system_vgpr_workitem_id 1
		.amdhsa_next_free_vgpr 42
		.amdhsa_next_free_sgpr 21
		.amdhsa_reserve_vcc 1
		.amdhsa_float_round_mode_32 0
		.amdhsa_float_round_mode_16_64 0
		.amdhsa_float_denorm_mode_32 3
		.amdhsa_float_denorm_mode_16_64 3
		.amdhsa_dx10_clamp 1
		.amdhsa_ieee_mode 1
		.amdhsa_fp16_overflow 0
		.amdhsa_workgroup_processor_mode 1
		.amdhsa_memory_ordered 1
		.amdhsa_forward_progress 0
		.amdhsa_shared_vgpr_count 0
		.amdhsa_exception_fp_ieee_invalid_op 0
		.amdhsa_exception_fp_denorm_src 0
		.amdhsa_exception_fp_ieee_div_zero 0
		.amdhsa_exception_fp_ieee_overflow 0
		.amdhsa_exception_fp_ieee_underflow 0
		.amdhsa_exception_fp_ieee_inexact 0
		.amdhsa_exception_int_div_zero 0
	.end_amdhsa_kernel
	.section	.text._ZL34rocblas_syrkx_herkx_general_kernelIidLi16ELi32ELi8ELb1ELb0ELc67ELc85EKddEviT_T0_PT8_S1_lS4_S1_lS2_PT9_S1_li,"axG",@progbits,_ZL34rocblas_syrkx_herkx_general_kernelIidLi16ELi32ELi8ELb1ELb0ELc67ELc85EKddEviT_T0_PT8_S1_lS4_S1_lS2_PT9_S1_li,comdat
.Lfunc_end143:
	.size	_ZL34rocblas_syrkx_herkx_general_kernelIidLi16ELi32ELi8ELb1ELb0ELc67ELc85EKddEviT_T0_PT8_S1_lS4_S1_lS2_PT9_S1_li, .Lfunc_end143-_ZL34rocblas_syrkx_herkx_general_kernelIidLi16ELi32ELi8ELb1ELb0ELc67ELc85EKddEviT_T0_PT8_S1_lS4_S1_lS2_PT9_S1_li
                                        ; -- End function
	.section	.AMDGPU.csdata,"",@progbits
; Kernel info:
; codeLenInByte = 1604
; NumSgprs: 23
; NumVgprs: 42
; ScratchSize: 0
; MemoryBound: 0
; FloatMode: 240
; IeeeMode: 1
; LDSByteSize: 4096 bytes/workgroup (compile time only)
; SGPRBlocks: 2
; VGPRBlocks: 5
; NumSGPRsForWavesPerEU: 23
; NumVGPRsForWavesPerEU: 42
; Occupancy: 16
; WaveLimiterHint : 0
; COMPUTE_PGM_RSRC2:SCRATCH_EN: 0
; COMPUTE_PGM_RSRC2:USER_SGPR: 13
; COMPUTE_PGM_RSRC2:TRAP_HANDLER: 0
; COMPUTE_PGM_RSRC2:TGID_X_EN: 1
; COMPUTE_PGM_RSRC2:TGID_Y_EN: 1
; COMPUTE_PGM_RSRC2:TGID_Z_EN: 1
; COMPUTE_PGM_RSRC2:TIDIG_COMP_CNT: 1
	.section	.text._ZL34rocblas_syrkx_herkx_general_kernelIidLi16ELi32ELi8ELb1ELb0ELc78ELc85EKddEviT_T0_PT8_S1_lS4_S1_lS2_PT9_S1_li,"axG",@progbits,_ZL34rocblas_syrkx_herkx_general_kernelIidLi16ELi32ELi8ELb1ELb0ELc78ELc85EKddEviT_T0_PT8_S1_lS4_S1_lS2_PT9_S1_li,comdat
	.globl	_ZL34rocblas_syrkx_herkx_general_kernelIidLi16ELi32ELi8ELb1ELb0ELc78ELc85EKddEviT_T0_PT8_S1_lS4_S1_lS2_PT9_S1_li ; -- Begin function _ZL34rocblas_syrkx_herkx_general_kernelIidLi16ELi32ELi8ELb1ELb0ELc78ELc85EKddEviT_T0_PT8_S1_lS4_S1_lS2_PT9_S1_li
	.p2align	8
	.type	_ZL34rocblas_syrkx_herkx_general_kernelIidLi16ELi32ELi8ELb1ELb0ELc78ELc85EKddEviT_T0_PT8_S1_lS4_S1_lS2_PT9_S1_li,@function
_ZL34rocblas_syrkx_herkx_general_kernelIidLi16ELi32ELi8ELb1ELb0ELc78ELc85EKddEviT_T0_PT8_S1_lS4_S1_lS2_PT9_S1_li: ; @_ZL34rocblas_syrkx_herkx_general_kernelIidLi16ELi32ELi8ELb1ELb0ELc78ELc85EKddEviT_T0_PT8_S1_lS4_S1_lS2_PT9_S1_li
; %bb.0:
	s_clause 0x1
	s_load_b64 s[16:17], s[0:1], 0x0
	s_load_b128 s[4:7], s[0:1], 0x8
	v_mov_b32_e32 v12, 0
	v_dual_mov_b32 v13, 0 :: v_dual_and_b32 v18, 0x3ff, v0
	v_bfe_u32 v19, v0, 10, 10
	s_delay_alu instid0(VALU_DEP_3) | instskip(NEXT) | instid1(VALU_DEP_3)
	v_mov_b32_e32 v10, v12
	v_dual_mov_b32 v2, v12 :: v_dual_mov_b32 v3, v13
	v_dual_mov_b32 v11, v13 :: v_dual_mov_b32 v0, v12
	v_mov_b32_e32 v1, v13
	s_lshl_b32 s20, s13, 5
	s_lshl_b32 s14, s14, 5
	s_mov_b32 s21, 0
	s_waitcnt lgkmcnt(0)
	s_cmp_lt_i32 s17, 1
	s_cbranch_scc1 .LBB144_7
; %bb.1:
	s_load_b32 s12, s[0:1], 0x18
	v_lshl_add_u32 v0, v19, 4, v18
	s_clause 0x2
	s_load_b128 s[8:11], s[0:1], 0x20
	s_load_b32 s18, s[0:1], 0x30
	s_load_b64 s[22:23], s[0:1], 0x38
	v_and_b32_e32 v20, 7, v18
	v_lshlrev_b32_e32 v21, 3, v18
	v_lshl_add_u32 v22, v19, 6, 0x800
	v_and_b32_e32 v1, 31, v0
	v_lshrrev_b32_e32 v2, 3, v0
	v_lshlrev_b32_e32 v3, 3, v20
	v_lshrrev_b32_e32 v23, 5, v0
	s_delay_alu instid0(VALU_DEP_4) | instskip(SKIP_1) | instid1(VALU_DEP_4)
	v_or_b32_e32 v4, s20, v1
	v_lshlrev_b32_e32 v5, 3, v1
	v_lshl_or_b32 v6, v2, 6, v3
	v_add_nc_u32_e32 v0, s14, v2
	v_add_nc_u32_e32 v2, s20, v1
	v_cmp_gt_i32_e32 vcc_lo, s16, v4
	v_lshl_or_b32 v24, v23, 8, v5
	v_add_nc_u32_e32 v25, 0x800, v6
	v_ashrrev_i32_e32 v1, 31, v0
	s_waitcnt lgkmcnt(0)
	v_mad_i64_i32 v[3:4], null, v23, s12, 0
	s_mul_i32 s3, s9, s15
	s_mul_hi_u32 s9, s8, s15
	v_mad_i64_i32 v[5:6], null, s18, v20, 0
	s_mul_i32 s8, s8, s15
	s_add_i32 s9, s9, s3
	s_delay_alu instid0(VALU_DEP_2)
	v_lshlrev_b64 v[3:4], 3, v[3:4]
	s_lshl_b64 s[8:9], s[8:9], 3
	v_cmp_gt_i32_e64 s2, s16, v0
	v_lshlrev_b64 v[0:1], 3, v[0:1]
	s_ashr_i32 s13, s12, 31
	s_ashr_i32 s19, s18, 31
	v_add_co_u32 v7, s3, v3, s8
	v_ashrrev_i32_e32 v3, 31, v2
	v_add_co_ci_u32_e64 v8, s3, s9, v4, s3
	s_mul_i32 s3, s23, s15
	s_mul_hi_u32 s8, s22, s15
	v_lshlrev_b64 v[4:5], 3, v[5:6]
	s_add_i32 s9, s8, s3
	s_mul_i32 s8, s22, s15
	v_lshlrev_b64 v[2:3], 3, v[2:3]
	s_lshl_b64 s[8:9], s[8:9], 3
	s_delay_alu instid0(VALU_DEP_2) | instid1(SALU_CYCLE_1)
	v_add_co_u32 v4, s3, s8, v4
	s_delay_alu instid0(VALU_DEP_1) | instskip(NEXT) | instid1(VALU_DEP_3)
	v_add_co_ci_u32_e64 v5, s3, s9, v5, s3
	v_add_co_u32 v2, s3, v7, v2
	s_delay_alu instid0(VALU_DEP_1) | instskip(NEXT) | instid1(VALU_DEP_4)
	v_add_co_ci_u32_e64 v3, s3, v8, v3, s3
	v_add_co_u32 v0, s3, v4, v0
	s_delay_alu instid0(VALU_DEP_1) | instskip(SKIP_3) | instid1(VALU_DEP_1)
	v_add_co_ci_u32_e64 v1, s3, v5, v1, s3
	v_mov_b32_e32 v4, 0
	v_mov_b32_e32 v5, 0
	v_add_co_u32 v6, s3, s6, v2
	v_add_co_ci_u32_e64 v7, s3, s7, v3, s3
	v_add_co_u32 v8, s3, s10, v0
	s_delay_alu instid0(VALU_DEP_1)
	v_add_co_ci_u32_e64 v9, s3, s11, v1, s3
	v_mov_b32_e32 v0, v4
	v_dual_mov_b32 v2, v4 :: v_dual_mov_b32 v11, v5
	v_dual_mov_b32 v13, v5 :: v_dual_mov_b32 v12, v4
	v_mov_b32_e32 v1, v5
	v_dual_mov_b32 v3, v5 :: v_dual_mov_b32 v10, v4
	s_lshl_b64 s[6:7], s[12:13], 6
	s_lshl_b64 s[8:9], s[18:19], 6
	s_branch .LBB144_3
.LBB144_2:                              ;   in Loop: Header=BB144_3 Depth=1
	s_or_b32 exec_lo, exec_lo, s3
	s_waitcnt vmcnt(0)
	ds_store_b64 v25, v[16:17]
	s_waitcnt lgkmcnt(0)
	s_barrier
	buffer_gl0_inv
	ds_load_2addr_b64 v[14:17], v21 offset1:16
	ds_load_b128 v[26:29], v22
	ds_load_b128 v[30:33], v22 offset:1024
	ds_load_b128 v[34:37], v22 offset:16
	;; [unrolled: 1-line block ×3, first 2 shown]
	v_add_co_u32 v6, s3, v6, s6
	s_delay_alu instid0(VALU_DEP_1) | instskip(SKIP_1) | instid1(VALU_DEP_1)
	v_add_co_ci_u32_e64 v7, s3, s7, v7, s3
	v_add_co_u32 v8, s3, v8, s8
	v_add_co_ci_u32_e64 v9, s3, s9, v9, s3
	s_add_i32 s21, s21, 8
	s_delay_alu instid0(SALU_CYCLE_1)
	s_cmp_ge_i32 s21, s17
	s_waitcnt lgkmcnt(3)
	v_fma_f64 v[12:13], v[14:15], v[26:27], v[12:13]
	v_fma_f64 v[10:11], v[16:17], v[26:27], v[10:11]
	s_waitcnt lgkmcnt(2)
	v_fma_f64 v[14:15], v[14:15], v[30:31], v[2:3]
	v_fma_f64 v[16:17], v[16:17], v[30:31], v[0:1]
	ds_load_2addr_b64 v[0:3], v21 offset0:32 offset1:48
	s_waitcnt lgkmcnt(0)
	v_fma_f64 v[12:13], v[0:1], v[28:29], v[12:13]
	v_fma_f64 v[10:11], v[2:3], v[28:29], v[10:11]
	v_fma_f64 v[14:15], v[0:1], v[32:33], v[14:15]
	v_fma_f64 v[16:17], v[2:3], v[32:33], v[16:17]
	ds_load_2addr_b64 v[0:3], v21 offset0:64 offset1:80
	s_waitcnt lgkmcnt(0)
	v_fma_f64 v[12:13], v[0:1], v[34:35], v[12:13]
	v_fma_f64 v[10:11], v[2:3], v[34:35], v[10:11]
	;; [unrolled: 6-line block ×3, first 2 shown]
	v_fma_f64 v[38:39], v[0:1], v[40:41], v[14:15]
	v_fma_f64 v[40:41], v[2:3], v[40:41], v[16:17]
	ds_load_2addr_b64 v[0:3], v21 offset0:128 offset1:144
	ds_load_b128 v[10:13], v22 offset:32
	ds_load_b128 v[14:17], v22 offset:1056
	;; [unrolled: 1-line block ×4, first 2 shown]
	s_waitcnt lgkmcnt(3)
	v_fma_f64 v[34:35], v[0:1], v[10:11], v[34:35]
	v_fma_f64 v[10:11], v[2:3], v[10:11], v[36:37]
	s_waitcnt lgkmcnt(2)
	v_fma_f64 v[36:37], v[0:1], v[14:15], v[38:39]
	v_fma_f64 v[14:15], v[2:3], v[14:15], v[40:41]
	ds_load_2addr_b64 v[0:3], v21 offset0:160 offset1:176
	s_waitcnt lgkmcnt(0)
	v_fma_f64 v[34:35], v[0:1], v[12:13], v[34:35]
	v_fma_f64 v[10:11], v[2:3], v[12:13], v[10:11]
	;; [unrolled: 1-line block ×4, first 2 shown]
	ds_load_2addr_b64 v[0:3], v21 offset0:192 offset1:208
	s_waitcnt lgkmcnt(0)
	v_fma_f64 v[34:35], v[0:1], v[26:27], v[34:35]
	v_fma_f64 v[10:11], v[2:3], v[26:27], v[10:11]
	;; [unrolled: 1-line block ×4, first 2 shown]
	ds_load_2addr_b64 v[14:17], v21 offset0:224 offset1:240
	s_waitcnt lgkmcnt(0)
	s_barrier
	buffer_gl0_inv
	v_fma_f64 v[12:13], v[14:15], v[28:29], v[34:35]
	v_fma_f64 v[10:11], v[16:17], v[28:29], v[10:11]
	;; [unrolled: 1-line block ×4, first 2 shown]
	s_cbranch_scc1 .LBB144_7
.LBB144_3:                              ; =>This Inner Loop Header: Depth=1
	v_add_nc_u32_e32 v14, s21, v23
	s_delay_alu instid0(VALU_DEP_1) | instskip(SKIP_1) | instid1(VALU_DEP_2)
	v_cmp_gt_i32_e64 s3, s17, v14
	v_dual_mov_b32 v15, v5 :: v_dual_mov_b32 v14, v4
	s_and_b32 s10, vcc_lo, s3
	s_delay_alu instid0(SALU_CYCLE_1)
	s_and_saveexec_b32 s3, s10
	s_cbranch_execz .LBB144_5
; %bb.4:                                ;   in Loop: Header=BB144_3 Depth=1
	global_load_b64 v[14:15], v[6:7], off
.LBB144_5:                              ;   in Loop: Header=BB144_3 Depth=1
	s_or_b32 exec_lo, exec_lo, s3
	v_add_nc_u32_e32 v16, s21, v20
	s_waitcnt vmcnt(0)
	ds_store_b64 v24, v[14:15]
	v_cmp_gt_i32_e64 s3, s17, v16
	v_dual_mov_b32 v17, v5 :: v_dual_mov_b32 v16, v4
	s_delay_alu instid0(VALU_DEP_2) | instskip(NEXT) | instid1(SALU_CYCLE_1)
	s_and_b32 s10, s3, s2
	s_and_saveexec_b32 s3, s10
	s_cbranch_execz .LBB144_2
; %bb.6:                                ;   in Loop: Header=BB144_3 Depth=1
	global_load_b64 v[16:17], v[8:9], off
	s_branch .LBB144_2
.LBB144_7:
	s_clause 0x2
	s_load_b32 s2, s[0:1], 0x50
	s_load_b64 s[6:7], s[0:1], 0x58
	s_load_b64 s[8:9], s[0:1], 0x48
	v_add_nc_u32_e32 v8, s14, v19
	v_add_nc_u32_e32 v4, s20, v18
	s_delay_alu instid0(VALU_DEP_2)
	v_cmp_gt_i32_e32 vcc_lo, s16, v8
	s_waitcnt lgkmcnt(0)
	v_mad_i64_i32 v[5:6], null, v8, s2, 0
	s_mul_i32 s1, s15, s7
	s_mul_hi_u32 s3, s15, s6
	s_mul_i32 s0, s15, s6
	s_add_i32 s1, s3, s1
	s_delay_alu instid0(SALU_CYCLE_1) | instskip(NEXT) | instid1(VALU_DEP_1)
	s_lshl_b64 s[6:7], s[0:1], 3
	v_lshlrev_b64 v[5:6], 3, v[5:6]
	s_add_u32 s3, s8, s6
	v_cmp_le_i32_e64 s0, v4, v8
	s_addc_u32 s6, s9, s7
	s_delay_alu instid0(VALU_DEP_2) | instskip(NEXT) | instid1(VALU_DEP_1)
	v_add_co_u32 v9, s1, s3, v5
	v_add_co_ci_u32_e64 v14, s1, s6, v6, s1
	s_delay_alu instid0(VALU_DEP_3) | instskip(NEXT) | instid1(SALU_CYCLE_1)
	s_and_b32 s0, vcc_lo, s0
	s_and_saveexec_b32 s1, s0
	s_cbranch_execz .LBB144_9
; %bb.8:
	v_mul_f64 v[6:7], v[12:13], s[4:5]
	v_ashrrev_i32_e32 v5, 31, v4
	s_delay_alu instid0(VALU_DEP_1) | instskip(NEXT) | instid1(VALU_DEP_1)
	v_lshlrev_b64 v[12:13], 3, v[4:5]
	v_add_co_u32 v12, s0, v9, v12
	s_delay_alu instid0(VALU_DEP_1)
	v_add_co_ci_u32_e64 v13, s0, v14, v13, s0
	global_store_b64 v[12:13], v[6:7], off
.LBB144_9:
	s_or_b32 exec_lo, exec_lo, s1
	v_add_nc_u32_e32 v6, 16, v4
	s_delay_alu instid0(VALU_DEP_1) | instskip(NEXT) | instid1(VALU_DEP_1)
	v_cmp_le_i32_e64 s0, v6, v8
	s_and_b32 s1, vcc_lo, s0
	s_delay_alu instid0(SALU_CYCLE_1)
	s_and_saveexec_b32 s0, s1
	s_cbranch_execz .LBB144_11
; %bb.10:
	v_mul_f64 v[10:11], v[10:11], s[4:5]
	v_ashrrev_i32_e32 v7, 31, v6
	s_delay_alu instid0(VALU_DEP_1) | instskip(NEXT) | instid1(VALU_DEP_1)
	v_lshlrev_b64 v[12:13], 3, v[6:7]
	v_add_co_u32 v12, vcc_lo, v9, v12
	s_delay_alu instid0(VALU_DEP_2)
	v_add_co_ci_u32_e32 v13, vcc_lo, v14, v13, vcc_lo
	global_store_b64 v[12:13], v[10:11], off
.LBB144_11:
	s_or_b32 exec_lo, exec_lo, s0
	v_add_nc_u32_e32 v7, 16, v8
	s_delay_alu instid0(VALU_DEP_1) | instskip(SKIP_2) | instid1(VALU_DEP_1)
	v_mad_i64_i32 v[8:9], null, v7, s2, 0
	v_cmp_gt_i32_e32 vcc_lo, s16, v7
	v_cmp_le_i32_e64 s0, v4, v7
	s_and_b32 s0, vcc_lo, s0
	s_delay_alu instid0(VALU_DEP_3) | instskip(NEXT) | instid1(VALU_DEP_1)
	v_lshlrev_b64 v[8:9], 3, v[8:9]
	v_add_co_u32 v8, s1, s3, v8
	s_delay_alu instid0(VALU_DEP_1)
	v_add_co_ci_u32_e64 v9, s1, s6, v9, s1
	s_and_saveexec_b32 s1, s0
	s_cbranch_execz .LBB144_13
; %bb.12:
	v_mul_f64 v[2:3], v[2:3], s[4:5]
	v_ashrrev_i32_e32 v5, 31, v4
	s_delay_alu instid0(VALU_DEP_1) | instskip(NEXT) | instid1(VALU_DEP_1)
	v_lshlrev_b64 v[4:5], 3, v[4:5]
	v_add_co_u32 v4, s0, v8, v4
	s_delay_alu instid0(VALU_DEP_1)
	v_add_co_ci_u32_e64 v5, s0, v9, v5, s0
	global_store_b64 v[4:5], v[2:3], off
.LBB144_13:
	s_or_b32 exec_lo, exec_lo, s1
	v_cmp_le_i32_e64 s0, v6, v7
	s_delay_alu instid0(VALU_DEP_1) | instskip(NEXT) | instid1(SALU_CYCLE_1)
	s_and_b32 s0, vcc_lo, s0
	s_and_saveexec_b32 s1, s0
	s_cbranch_execz .LBB144_15
; %bb.14:
	v_mul_f64 v[0:1], v[0:1], s[4:5]
	v_ashrrev_i32_e32 v7, 31, v6
	s_delay_alu instid0(VALU_DEP_1) | instskip(NEXT) | instid1(VALU_DEP_1)
	v_lshlrev_b64 v[2:3], 3, v[6:7]
	v_add_co_u32 v2, vcc_lo, v8, v2
	s_delay_alu instid0(VALU_DEP_2)
	v_add_co_ci_u32_e32 v3, vcc_lo, v9, v3, vcc_lo
	global_store_b64 v[2:3], v[0:1], off
.LBB144_15:
	s_nop 0
	s_sendmsg sendmsg(MSG_DEALLOC_VGPRS)
	s_endpgm
	.section	.rodata,"a",@progbits
	.p2align	6, 0x0
	.amdhsa_kernel _ZL34rocblas_syrkx_herkx_general_kernelIidLi16ELi32ELi8ELb1ELb0ELc78ELc85EKddEviT_T0_PT8_S1_lS4_S1_lS2_PT9_S1_li
		.amdhsa_group_segment_fixed_size 4096
		.amdhsa_private_segment_fixed_size 0
		.amdhsa_kernarg_size 100
		.amdhsa_user_sgpr_count 13
		.amdhsa_user_sgpr_dispatch_ptr 0
		.amdhsa_user_sgpr_queue_ptr 0
		.amdhsa_user_sgpr_kernarg_segment_ptr 1
		.amdhsa_user_sgpr_dispatch_id 0
		.amdhsa_user_sgpr_private_segment_size 0
		.amdhsa_wavefront_size32 1
		.amdhsa_uses_dynamic_stack 0
		.amdhsa_enable_private_segment 0
		.amdhsa_system_sgpr_workgroup_id_x 1
		.amdhsa_system_sgpr_workgroup_id_y 1
		.amdhsa_system_sgpr_workgroup_id_z 1
		.amdhsa_system_sgpr_workgroup_info 0
		.amdhsa_system_vgpr_workitem_id 1
		.amdhsa_next_free_vgpr 42
		.amdhsa_next_free_sgpr 24
		.amdhsa_reserve_vcc 1
		.amdhsa_float_round_mode_32 0
		.amdhsa_float_round_mode_16_64 0
		.amdhsa_float_denorm_mode_32 3
		.amdhsa_float_denorm_mode_16_64 3
		.amdhsa_dx10_clamp 1
		.amdhsa_ieee_mode 1
		.amdhsa_fp16_overflow 0
		.amdhsa_workgroup_processor_mode 1
		.amdhsa_memory_ordered 1
		.amdhsa_forward_progress 0
		.amdhsa_shared_vgpr_count 0
		.amdhsa_exception_fp_ieee_invalid_op 0
		.amdhsa_exception_fp_denorm_src 0
		.amdhsa_exception_fp_ieee_div_zero 0
		.amdhsa_exception_fp_ieee_overflow 0
		.amdhsa_exception_fp_ieee_underflow 0
		.amdhsa_exception_fp_ieee_inexact 0
		.amdhsa_exception_int_div_zero 0
	.end_amdhsa_kernel
	.section	.text._ZL34rocblas_syrkx_herkx_general_kernelIidLi16ELi32ELi8ELb1ELb0ELc78ELc85EKddEviT_T0_PT8_S1_lS4_S1_lS2_PT9_S1_li,"axG",@progbits,_ZL34rocblas_syrkx_herkx_general_kernelIidLi16ELi32ELi8ELb1ELb0ELc78ELc85EKddEviT_T0_PT8_S1_lS4_S1_lS2_PT9_S1_li,comdat
.Lfunc_end144:
	.size	_ZL34rocblas_syrkx_herkx_general_kernelIidLi16ELi32ELi8ELb1ELb0ELc78ELc85EKddEviT_T0_PT8_S1_lS4_S1_lS2_PT9_S1_li, .Lfunc_end144-_ZL34rocblas_syrkx_herkx_general_kernelIidLi16ELi32ELi8ELb1ELb0ELc78ELc85EKddEviT_T0_PT8_S1_lS4_S1_lS2_PT9_S1_li
                                        ; -- End function
	.section	.AMDGPU.csdata,"",@progbits
; Kernel info:
; codeLenInByte = 1636
; NumSgprs: 26
; NumVgprs: 42
; ScratchSize: 0
; MemoryBound: 0
; FloatMode: 240
; IeeeMode: 1
; LDSByteSize: 4096 bytes/workgroup (compile time only)
; SGPRBlocks: 3
; VGPRBlocks: 5
; NumSGPRsForWavesPerEU: 26
; NumVGPRsForWavesPerEU: 42
; Occupancy: 16
; WaveLimiterHint : 0
; COMPUTE_PGM_RSRC2:SCRATCH_EN: 0
; COMPUTE_PGM_RSRC2:USER_SGPR: 13
; COMPUTE_PGM_RSRC2:TRAP_HANDLER: 0
; COMPUTE_PGM_RSRC2:TGID_X_EN: 1
; COMPUTE_PGM_RSRC2:TGID_Y_EN: 1
; COMPUTE_PGM_RSRC2:TGID_Z_EN: 1
; COMPUTE_PGM_RSRC2:TIDIG_COMP_CNT: 1
	.section	.text._ZL34rocblas_syrkx_herkx_general_kernelIidLi16ELi32ELi8ELb0ELb0ELc84ELc76EKddEviT_T0_PT8_S1_lS4_S1_lS2_PT9_S1_li,"axG",@progbits,_ZL34rocblas_syrkx_herkx_general_kernelIidLi16ELi32ELi8ELb0ELb0ELc84ELc76EKddEviT_T0_PT8_S1_lS4_S1_lS2_PT9_S1_li,comdat
	.globl	_ZL34rocblas_syrkx_herkx_general_kernelIidLi16ELi32ELi8ELb0ELb0ELc84ELc76EKddEviT_T0_PT8_S1_lS4_S1_lS2_PT9_S1_li ; -- Begin function _ZL34rocblas_syrkx_herkx_general_kernelIidLi16ELi32ELi8ELb0ELb0ELc84ELc76EKddEviT_T0_PT8_S1_lS4_S1_lS2_PT9_S1_li
	.p2align	8
	.type	_ZL34rocblas_syrkx_herkx_general_kernelIidLi16ELi32ELi8ELb0ELb0ELc84ELc76EKddEviT_T0_PT8_S1_lS4_S1_lS2_PT9_S1_li,@function
_ZL34rocblas_syrkx_herkx_general_kernelIidLi16ELi32ELi8ELb0ELb0ELc84ELc76EKddEviT_T0_PT8_S1_lS4_S1_lS2_PT9_S1_li: ; @_ZL34rocblas_syrkx_herkx_general_kernelIidLi16ELi32ELi8ELb0ELb0ELc84ELc76EKddEviT_T0_PT8_S1_lS4_S1_lS2_PT9_S1_li
; %bb.0:
	s_clause 0x3
	s_load_b64 s[20:21], s[0:1], 0x0
	s_load_b128 s[4:7], s[0:1], 0x8
	s_load_b128 s[8:11], s[0:1], 0x38
	s_load_b64 s[22:23], s[0:1], 0x48
	v_mov_b32_e32 v12, 0
	v_dual_mov_b32 v13, 0 :: v_dual_and_b32 v18, 0x3ff, v0
	v_bfe_u32 v19, v0, 10, 10
	s_delay_alu instid0(VALU_DEP_3) | instskip(NEXT) | instid1(VALU_DEP_3)
	v_mov_b32_e32 v4, v12
	v_dual_mov_b32 v2, v12 :: v_dual_mov_b32 v3, v13
	v_dual_mov_b32 v5, v13 :: v_dual_mov_b32 v0, v12
	v_mov_b32_e32 v1, v13
	s_lshl_b32 s12, s13, 5
	s_lshl_b32 s13, s14, 5
	s_mov_b32 s14, 0
	s_waitcnt lgkmcnt(0)
	s_cmp_lt_i32 s21, 1
	s_cbranch_scc1 .LBB145_7
; %bb.1:
	s_load_b32 s2, s[0:1], 0x18
	v_lshl_add_u32 v0, v19, 4, v18
	s_clause 0x1
	s_load_b128 s[16:19], s[0:1], 0x20
	s_load_b32 s3, s[0:1], 0x30
	v_and_b32_e32 v20, 7, v18
	s_mul_i32 s9, s9, s15
	v_lshlrev_b32_e32 v21, 3, v18
	v_and_b32_e32 v1, 31, v0
	v_lshrrev_b32_e32 v2, 3, v0
	v_lshrrev_b32_e32 v23, 5, v0
	v_lshlrev_b32_e32 v4, 3, v20
	v_lshl_add_u32 v22, v19, 6, 0x800
	v_add_nc_u32_e32 v3, s12, v1
	v_or_b32_e32 v6, s12, v1
	v_lshlrev_b32_e32 v7, 3, v1
	v_add_nc_u32_e32 v5, s13, v2
	v_lshl_or_b32 v8, v2, 6, v4
	s_delay_alu instid0(VALU_DEP_4) | instskip(NEXT) | instid1(VALU_DEP_4)
	v_cmp_gt_i32_e32 vcc_lo, s20, v6
	v_lshl_or_b32 v24, v23, 8, v7
	s_waitcnt lgkmcnt(0)
	v_mad_i64_i32 v[0:1], null, s2, v3, 0
	s_mul_i32 s17, s17, s15
	s_mul_hi_u32 s24, s16, s15
	v_mad_i64_i32 v[2:3], null, s3, v5, 0
	s_mul_i32 s16, s16, s15
	s_add_i32 s17, s24, s17
	s_delay_alu instid0(VALU_DEP_2) | instskip(SKIP_2) | instid1(VALU_DEP_2)
	v_lshlrev_b64 v[0:1], 3, v[0:1]
	s_lshl_b64 s[16:17], s[16:17], 3
	v_cmp_gt_i32_e64 s2, s20, v5
	v_add_co_u32 v5, s3, v0, s16
	s_delay_alu instid0(VALU_DEP_1)
	v_add_co_ci_u32_e64 v6, s3, s17, v1, s3
	s_mul_hi_u32 s3, s8, s15
	v_lshlrev_b64 v[0:1], 3, v[2:3]
	s_add_i32 s9, s3, s9
	s_mul_i32 s8, s8, s15
	v_lshlrev_b32_e32 v2, 3, v23
	s_lshl_b64 s[8:9], s[8:9], 3
	s_delay_alu instid0(VALU_DEP_2) | instid1(SALU_CYCLE_1)
	v_add_co_u32 v0, s3, v0, s8
	s_delay_alu instid0(VALU_DEP_1) | instskip(NEXT) | instid1(VALU_DEP_3)
	v_add_co_ci_u32_e64 v1, s3, s9, v1, s3
	v_add_co_u32 v2, s3, v5, v2
	s_delay_alu instid0(VALU_DEP_1) | instskip(NEXT) | instid1(VALU_DEP_4)
	v_add_co_ci_u32_e64 v3, s3, 0, v6, s3
	v_add_co_u32 v0, s3, v0, v4
	s_delay_alu instid0(VALU_DEP_1) | instskip(SKIP_2) | instid1(VALU_DEP_2)
	v_add_co_ci_u32_e64 v1, s3, 0, v1, s3
	v_mov_b32_e32 v6, 0
	v_mov_b32_e32 v7, 0
	v_dual_mov_b32 v4, v6 :: v_dual_add_nc_u32 v25, 0x800, v8
	v_add_co_u32 v8, s3, s6, v2
	s_delay_alu instid0(VALU_DEP_1) | instskip(SKIP_1) | instid1(VALU_DEP_1)
	v_add_co_ci_u32_e64 v9, s3, s7, v3, s3
	v_add_co_u32 v10, s3, s18, v0
	v_add_co_ci_u32_e64 v11, s3, s19, v1, s3
	v_mov_b32_e32 v0, v6
	v_dual_mov_b32 v2, v6 :: v_dual_mov_b32 v13, v7
	v_mov_b32_e32 v1, v7
	v_mov_b32_e32 v3, v7
	v_dual_mov_b32 v5, v7 :: v_dual_mov_b32 v12, v6
	s_branch .LBB145_3
.LBB145_2:                              ;   in Loop: Header=BB145_3 Depth=1
	s_or_b32 exec_lo, exec_lo, s3
	s_waitcnt vmcnt(0)
	ds_store_b64 v25, v[16:17]
	s_waitcnt lgkmcnt(0)
	s_barrier
	buffer_gl0_inv
	ds_load_2addr_b64 v[14:17], v21 offset1:16
	ds_load_b128 v[26:29], v22
	ds_load_b128 v[30:33], v22 offset:1024
	ds_load_b128 v[34:37], v22 offset:16
	;; [unrolled: 1-line block ×3, first 2 shown]
	v_add_co_u32 v8, s3, v8, 64
	s_delay_alu instid0(VALU_DEP_1) | instskip(SKIP_1) | instid1(VALU_DEP_1)
	v_add_co_ci_u32_e64 v9, s3, 0, v9, s3
	v_add_co_u32 v10, s3, v10, 64
	v_add_co_ci_u32_e64 v11, s3, 0, v11, s3
	s_add_i32 s14, s14, 8
	s_delay_alu instid0(SALU_CYCLE_1)
	s_cmp_ge_i32 s14, s21
	s_waitcnt lgkmcnt(3)
	v_fma_f64 v[12:13], v[14:15], v[26:27], v[12:13]
	v_fma_f64 v[4:5], v[16:17], v[26:27], v[4:5]
	s_waitcnt lgkmcnt(2)
	v_fma_f64 v[14:15], v[14:15], v[30:31], v[2:3]
	v_fma_f64 v[16:17], v[16:17], v[30:31], v[0:1]
	ds_load_2addr_b64 v[0:3], v21 offset0:32 offset1:48
	s_waitcnt lgkmcnt(0)
	v_fma_f64 v[12:13], v[0:1], v[28:29], v[12:13]
	v_fma_f64 v[4:5], v[2:3], v[28:29], v[4:5]
	v_fma_f64 v[14:15], v[0:1], v[32:33], v[14:15]
	v_fma_f64 v[16:17], v[2:3], v[32:33], v[16:17]
	ds_load_2addr_b64 v[0:3], v21 offset0:64 offset1:80
	s_waitcnt lgkmcnt(0)
	v_fma_f64 v[12:13], v[0:1], v[34:35], v[12:13]
	v_fma_f64 v[4:5], v[2:3], v[34:35], v[4:5]
	v_fma_f64 v[14:15], v[0:1], v[38:39], v[14:15]
	v_fma_f64 v[16:17], v[2:3], v[38:39], v[16:17]
	ds_load_2addr_b64 v[0:3], v21 offset0:96 offset1:112
	s_waitcnt lgkmcnt(0)
	v_fma_f64 v[38:39], v[0:1], v[36:37], v[12:13]
	v_fma_f64 v[4:5], v[2:3], v[36:37], v[4:5]
	v_fma_f64 v[42:43], v[0:1], v[40:41], v[14:15]
	v_fma_f64 v[16:17], v[2:3], v[40:41], v[16:17]
	ds_load_2addr_b64 v[0:3], v21 offset0:128 offset1:144
	ds_load_b128 v[12:15], v22 offset:32
	ds_load_b128 v[26:29], v22 offset:1056
	;; [unrolled: 1-line block ×4, first 2 shown]
	s_waitcnt lgkmcnt(3)
	v_fma_f64 v[38:39], v[0:1], v[12:13], v[38:39]
	v_fma_f64 v[4:5], v[2:3], v[12:13], v[4:5]
	s_waitcnt lgkmcnt(2)
	v_fma_f64 v[12:13], v[0:1], v[26:27], v[42:43]
	v_fma_f64 v[16:17], v[2:3], v[26:27], v[16:17]
	ds_load_2addr_b64 v[0:3], v21 offset0:160 offset1:176
	s_waitcnt lgkmcnt(0)
	v_fma_f64 v[26:27], v[0:1], v[14:15], v[38:39]
	v_fma_f64 v[4:5], v[2:3], v[14:15], v[4:5]
	;; [unrolled: 1-line block ×4, first 2 shown]
	ds_load_2addr_b64 v[0:3], v21 offset0:192 offset1:208
	s_waitcnt lgkmcnt(0)
	v_fma_f64 v[26:27], v[0:1], v[30:31], v[26:27]
	v_fma_f64 v[4:5], v[2:3], v[30:31], v[4:5]
	;; [unrolled: 1-line block ×4, first 2 shown]
	ds_load_2addr_b64 v[14:17], v21 offset0:224 offset1:240
	s_waitcnt lgkmcnt(0)
	s_barrier
	buffer_gl0_inv
	v_fma_f64 v[12:13], v[14:15], v[32:33], v[26:27]
	v_fma_f64 v[4:5], v[16:17], v[32:33], v[4:5]
	;; [unrolled: 1-line block ×4, first 2 shown]
	s_cbranch_scc1 .LBB145_7
.LBB145_3:                              ; =>This Inner Loop Header: Depth=1
	v_add_nc_u32_e32 v14, s14, v23
	s_delay_alu instid0(VALU_DEP_1) | instskip(SKIP_1) | instid1(VALU_DEP_2)
	v_cmp_gt_i32_e64 s3, s21, v14
	v_dual_mov_b32 v15, v7 :: v_dual_mov_b32 v14, v6
	s_and_b32 s6, vcc_lo, s3
	s_delay_alu instid0(SALU_CYCLE_1)
	s_and_saveexec_b32 s3, s6
	s_cbranch_execz .LBB145_5
; %bb.4:                                ;   in Loop: Header=BB145_3 Depth=1
	global_load_b64 v[14:15], v[8:9], off
.LBB145_5:                              ;   in Loop: Header=BB145_3 Depth=1
	s_or_b32 exec_lo, exec_lo, s3
	v_add_nc_u32_e32 v16, s14, v20
	s_waitcnt vmcnt(0)
	ds_store_b64 v24, v[14:15]
	v_cmp_gt_i32_e64 s3, s21, v16
	v_dual_mov_b32 v17, v7 :: v_dual_mov_b32 v16, v6
	s_delay_alu instid0(VALU_DEP_2) | instskip(NEXT) | instid1(SALU_CYCLE_1)
	s_and_b32 s6, s3, s2
	s_and_saveexec_b32 s3, s6
	s_cbranch_execz .LBB145_2
; %bb.6:                                ;   in Loop: Header=BB145_3 Depth=1
	global_load_b64 v[16:17], v[10:11], off
	s_branch .LBB145_2
.LBB145_7:
	s_clause 0x1
	s_load_b32 s2, s[0:1], 0x50
	s_load_b64 s[6:7], s[0:1], 0x58
	v_add_nc_u32_e32 v10, s13, v19
	v_add_nc_u32_e32 v6, s12, v18
	s_delay_alu instid0(VALU_DEP_1)
	v_cmp_le_i32_e64 s0, v10, v6
	v_cmp_gt_i32_e32 vcc_lo, s20, v6
	s_waitcnt lgkmcnt(0)
	v_mad_i64_i32 v[7:8], null, v10, s2, 0
	s_mul_i32 s1, s15, s7
	s_mul_hi_u32 s3, s15, s6
	s_mul_i32 s6, s15, s6
	s_add_i32 s7, s3, s1
	s_delay_alu instid0(SALU_CYCLE_1) | instskip(NEXT) | instid1(VALU_DEP_1)
	s_lshl_b64 s[6:7], s[6:7], 3
	v_lshlrev_b64 v[7:8], 3, v[7:8]
	s_add_u32 s3, s22, s6
	s_addc_u32 s6, s23, s7
	s_and_b32 s0, s0, vcc_lo
	s_delay_alu instid0(VALU_DEP_1) | instskip(NEXT) | instid1(VALU_DEP_1)
	v_add_co_u32 v11, s1, s3, v7
	v_add_co_ci_u32_e64 v14, s1, s6, v8, s1
	s_and_saveexec_b32 s1, s0
	s_cbranch_execz .LBB145_9
; %bb.8:
	v_ashrrev_i32_e32 v7, 31, v6
	s_delay_alu instid0(VALU_DEP_1) | instskip(NEXT) | instid1(VALU_DEP_1)
	v_lshlrev_b64 v[7:8], 3, v[6:7]
	v_add_co_u32 v7, s0, v11, v7
	s_delay_alu instid0(VALU_DEP_1) | instskip(SKIP_3) | instid1(VALU_DEP_1)
	v_add_co_ci_u32_e64 v8, s0, v14, v8, s0
	global_load_b64 v[15:16], v[7:8], off
	s_waitcnt vmcnt(0)
	v_mul_f64 v[15:16], v[15:16], s[10:11]
	v_fma_f64 v[12:13], v[12:13], s[4:5], v[15:16]
	global_store_b64 v[7:8], v[12:13], off
.LBB145_9:
	s_or_b32 exec_lo, exec_lo, s1
	v_add_nc_u32_e32 v8, 16, v6
	s_delay_alu instid0(VALU_DEP_1) | instskip(SKIP_1) | instid1(VALU_DEP_1)
	v_cmp_le_i32_e64 s1, v10, v8
	v_cmp_gt_i32_e64 s0, s20, v8
	s_and_b32 s1, s1, s0
	s_delay_alu instid0(SALU_CYCLE_1)
	s_and_saveexec_b32 s7, s1
	s_cbranch_execz .LBB145_11
; %bb.10:
	v_ashrrev_i32_e32 v9, 31, v8
	s_delay_alu instid0(VALU_DEP_1) | instskip(NEXT) | instid1(VALU_DEP_1)
	v_lshlrev_b64 v[12:13], 3, v[8:9]
	v_add_co_u32 v11, s1, v11, v12
	s_delay_alu instid0(VALU_DEP_1) | instskip(SKIP_3) | instid1(VALU_DEP_1)
	v_add_co_ci_u32_e64 v12, s1, v14, v13, s1
	global_load_b64 v[13:14], v[11:12], off
	s_waitcnt vmcnt(0)
	v_mul_f64 v[13:14], v[13:14], s[10:11]
	v_fma_f64 v[4:5], v[4:5], s[4:5], v[13:14]
	global_store_b64 v[11:12], v[4:5], off
.LBB145_11:
	s_or_b32 exec_lo, exec_lo, s7
	v_add_nc_u32_e32 v9, 16, v10
	s_delay_alu instid0(VALU_DEP_1) | instskip(SKIP_1) | instid1(VALU_DEP_2)
	v_mad_i64_i32 v[4:5], null, v9, s2, 0
	v_cmp_le_i32_e64 s1, v9, v6
	v_lshlrev_b64 v[4:5], 3, v[4:5]
	s_delay_alu instid0(VALU_DEP_1) | instskip(NEXT) | instid1(VALU_DEP_1)
	v_add_co_u32 v4, s2, s3, v4
	v_add_co_ci_u32_e64 v5, s2, s6, v5, s2
	s_delay_alu instid0(VALU_DEP_4) | instskip(NEXT) | instid1(SALU_CYCLE_1)
	s_and_b32 s2, s1, vcc_lo
	s_and_saveexec_b32 s1, s2
	s_cbranch_execz .LBB145_13
; %bb.12:
	v_ashrrev_i32_e32 v7, 31, v6
	s_delay_alu instid0(VALU_DEP_1) | instskip(NEXT) | instid1(VALU_DEP_1)
	v_lshlrev_b64 v[6:7], 3, v[6:7]
	v_add_co_u32 v6, vcc_lo, v4, v6
	s_delay_alu instid0(VALU_DEP_2) | instskip(SKIP_3) | instid1(VALU_DEP_1)
	v_add_co_ci_u32_e32 v7, vcc_lo, v5, v7, vcc_lo
	global_load_b64 v[10:11], v[6:7], off
	s_waitcnt vmcnt(0)
	v_mul_f64 v[10:11], v[10:11], s[10:11]
	v_fma_f64 v[2:3], v[2:3], s[4:5], v[10:11]
	global_store_b64 v[6:7], v[2:3], off
.LBB145_13:
	s_or_b32 exec_lo, exec_lo, s1
	v_cmp_le_i32_e32 vcc_lo, v9, v8
	s_and_b32 s0, vcc_lo, s0
	s_delay_alu instid0(SALU_CYCLE_1)
	s_and_saveexec_b32 s1, s0
	s_cbranch_execz .LBB145_15
; %bb.14:
	v_ashrrev_i32_e32 v9, 31, v8
	s_delay_alu instid0(VALU_DEP_1) | instskip(NEXT) | instid1(VALU_DEP_1)
	v_lshlrev_b64 v[2:3], 3, v[8:9]
	v_add_co_u32 v2, vcc_lo, v4, v2
	s_delay_alu instid0(VALU_DEP_2) | instskip(SKIP_3) | instid1(VALU_DEP_1)
	v_add_co_ci_u32_e32 v3, vcc_lo, v5, v3, vcc_lo
	global_load_b64 v[4:5], v[2:3], off
	s_waitcnt vmcnt(0)
	v_mul_f64 v[4:5], v[4:5], s[10:11]
	v_fma_f64 v[0:1], v[0:1], s[4:5], v[4:5]
	global_store_b64 v[2:3], v[0:1], off
.LBB145_15:
	s_nop 0
	s_sendmsg sendmsg(MSG_DEALLOC_VGPRS)
	s_endpgm
	.section	.rodata,"a",@progbits
	.p2align	6, 0x0
	.amdhsa_kernel _ZL34rocblas_syrkx_herkx_general_kernelIidLi16ELi32ELi8ELb0ELb0ELc84ELc76EKddEviT_T0_PT8_S1_lS4_S1_lS2_PT9_S1_li
		.amdhsa_group_segment_fixed_size 4096
		.amdhsa_private_segment_fixed_size 0
		.amdhsa_kernarg_size 100
		.amdhsa_user_sgpr_count 13
		.amdhsa_user_sgpr_dispatch_ptr 0
		.amdhsa_user_sgpr_queue_ptr 0
		.amdhsa_user_sgpr_kernarg_segment_ptr 1
		.amdhsa_user_sgpr_dispatch_id 0
		.amdhsa_user_sgpr_private_segment_size 0
		.amdhsa_wavefront_size32 1
		.amdhsa_uses_dynamic_stack 0
		.amdhsa_enable_private_segment 0
		.amdhsa_system_sgpr_workgroup_id_x 1
		.amdhsa_system_sgpr_workgroup_id_y 1
		.amdhsa_system_sgpr_workgroup_id_z 1
		.amdhsa_system_sgpr_workgroup_info 0
		.amdhsa_system_vgpr_workitem_id 1
		.amdhsa_next_free_vgpr 44
		.amdhsa_next_free_sgpr 25
		.amdhsa_reserve_vcc 1
		.amdhsa_float_round_mode_32 0
		.amdhsa_float_round_mode_16_64 0
		.amdhsa_float_denorm_mode_32 3
		.amdhsa_float_denorm_mode_16_64 3
		.amdhsa_dx10_clamp 1
		.amdhsa_ieee_mode 1
		.amdhsa_fp16_overflow 0
		.amdhsa_workgroup_processor_mode 1
		.amdhsa_memory_ordered 1
		.amdhsa_forward_progress 0
		.amdhsa_shared_vgpr_count 0
		.amdhsa_exception_fp_ieee_invalid_op 0
		.amdhsa_exception_fp_denorm_src 0
		.amdhsa_exception_fp_ieee_div_zero 0
		.amdhsa_exception_fp_ieee_overflow 0
		.amdhsa_exception_fp_ieee_underflow 0
		.amdhsa_exception_fp_ieee_inexact 0
		.amdhsa_exception_int_div_zero 0
	.end_amdhsa_kernel
	.section	.text._ZL34rocblas_syrkx_herkx_general_kernelIidLi16ELi32ELi8ELb0ELb0ELc84ELc76EKddEviT_T0_PT8_S1_lS4_S1_lS2_PT9_S1_li,"axG",@progbits,_ZL34rocblas_syrkx_herkx_general_kernelIidLi16ELi32ELi8ELb0ELb0ELc84ELc76EKddEviT_T0_PT8_S1_lS4_S1_lS2_PT9_S1_li,comdat
.Lfunc_end145:
	.size	_ZL34rocblas_syrkx_herkx_general_kernelIidLi16ELi32ELi8ELb0ELb0ELc84ELc76EKddEviT_T0_PT8_S1_lS4_S1_lS2_PT9_S1_li, .Lfunc_end145-_ZL34rocblas_syrkx_herkx_general_kernelIidLi16ELi32ELi8ELb0ELb0ELc84ELc76EKddEviT_T0_PT8_S1_lS4_S1_lS2_PT9_S1_li
                                        ; -- End function
	.section	.AMDGPU.csdata,"",@progbits
; Kernel info:
; codeLenInByte = 1680
; NumSgprs: 27
; NumVgprs: 44
; ScratchSize: 0
; MemoryBound: 0
; FloatMode: 240
; IeeeMode: 1
; LDSByteSize: 4096 bytes/workgroup (compile time only)
; SGPRBlocks: 3
; VGPRBlocks: 5
; NumSGPRsForWavesPerEU: 27
; NumVGPRsForWavesPerEU: 44
; Occupancy: 16
; WaveLimiterHint : 0
; COMPUTE_PGM_RSRC2:SCRATCH_EN: 0
; COMPUTE_PGM_RSRC2:USER_SGPR: 13
; COMPUTE_PGM_RSRC2:TRAP_HANDLER: 0
; COMPUTE_PGM_RSRC2:TGID_X_EN: 1
; COMPUTE_PGM_RSRC2:TGID_Y_EN: 1
; COMPUTE_PGM_RSRC2:TGID_Z_EN: 1
; COMPUTE_PGM_RSRC2:TIDIG_COMP_CNT: 1
	.section	.text._ZL34rocblas_syrkx_herkx_general_kernelIidLi16ELi32ELi8ELb0ELb0ELc67ELc76EKddEviT_T0_PT8_S1_lS4_S1_lS2_PT9_S1_li,"axG",@progbits,_ZL34rocblas_syrkx_herkx_general_kernelIidLi16ELi32ELi8ELb0ELb0ELc67ELc76EKddEviT_T0_PT8_S1_lS4_S1_lS2_PT9_S1_li,comdat
	.globl	_ZL34rocblas_syrkx_herkx_general_kernelIidLi16ELi32ELi8ELb0ELb0ELc67ELc76EKddEviT_T0_PT8_S1_lS4_S1_lS2_PT9_S1_li ; -- Begin function _ZL34rocblas_syrkx_herkx_general_kernelIidLi16ELi32ELi8ELb0ELb0ELc67ELc76EKddEviT_T0_PT8_S1_lS4_S1_lS2_PT9_S1_li
	.p2align	8
	.type	_ZL34rocblas_syrkx_herkx_general_kernelIidLi16ELi32ELi8ELb0ELb0ELc67ELc76EKddEviT_T0_PT8_S1_lS4_S1_lS2_PT9_S1_li,@function
_ZL34rocblas_syrkx_herkx_general_kernelIidLi16ELi32ELi8ELb0ELb0ELc67ELc76EKddEviT_T0_PT8_S1_lS4_S1_lS2_PT9_S1_li: ; @_ZL34rocblas_syrkx_herkx_general_kernelIidLi16ELi32ELi8ELb0ELb0ELc67ELc76EKddEviT_T0_PT8_S1_lS4_S1_lS2_PT9_S1_li
; %bb.0:
	s_clause 0x3
	s_load_b64 s[20:21], s[0:1], 0x0
	s_load_b128 s[4:7], s[0:1], 0x8
	s_load_b128 s[8:11], s[0:1], 0x38
	s_load_b64 s[22:23], s[0:1], 0x48
	v_mov_b32_e32 v12, 0
	v_dual_mov_b32 v13, 0 :: v_dual_and_b32 v18, 0x3ff, v0
	v_bfe_u32 v19, v0, 10, 10
	s_delay_alu instid0(VALU_DEP_3) | instskip(NEXT) | instid1(VALU_DEP_3)
	v_mov_b32_e32 v4, v12
	v_dual_mov_b32 v2, v12 :: v_dual_mov_b32 v3, v13
	v_dual_mov_b32 v5, v13 :: v_dual_mov_b32 v0, v12
	v_mov_b32_e32 v1, v13
	s_lshl_b32 s12, s13, 5
	s_lshl_b32 s13, s14, 5
	s_mov_b32 s14, 0
	s_waitcnt lgkmcnt(0)
	s_cmp_lt_i32 s21, 1
	s_cbranch_scc1 .LBB146_7
; %bb.1:
	s_load_b32 s2, s[0:1], 0x18
	v_lshl_add_u32 v0, v19, 4, v18
	s_clause 0x1
	s_load_b128 s[16:19], s[0:1], 0x20
	s_load_b32 s3, s[0:1], 0x30
	v_and_b32_e32 v20, 7, v18
	s_mul_i32 s9, s9, s15
	v_lshlrev_b32_e32 v21, 3, v18
	v_and_b32_e32 v1, 31, v0
	v_lshrrev_b32_e32 v2, 3, v0
	v_lshrrev_b32_e32 v23, 5, v0
	v_lshlrev_b32_e32 v4, 3, v20
	v_lshl_add_u32 v22, v19, 6, 0x800
	v_add_nc_u32_e32 v3, s12, v1
	v_or_b32_e32 v6, s12, v1
	v_lshlrev_b32_e32 v7, 3, v1
	v_add_nc_u32_e32 v5, s13, v2
	v_lshl_or_b32 v8, v2, 6, v4
	s_delay_alu instid0(VALU_DEP_4) | instskip(NEXT) | instid1(VALU_DEP_4)
	v_cmp_gt_i32_e32 vcc_lo, s20, v6
	v_lshl_or_b32 v24, v23, 8, v7
	s_waitcnt lgkmcnt(0)
	v_mad_i64_i32 v[0:1], null, s2, v3, 0
	s_mul_i32 s17, s17, s15
	s_mul_hi_u32 s24, s16, s15
	v_mad_i64_i32 v[2:3], null, s3, v5, 0
	s_mul_i32 s16, s16, s15
	s_add_i32 s17, s24, s17
	s_delay_alu instid0(VALU_DEP_2) | instskip(SKIP_2) | instid1(VALU_DEP_2)
	v_lshlrev_b64 v[0:1], 3, v[0:1]
	s_lshl_b64 s[16:17], s[16:17], 3
	v_cmp_gt_i32_e64 s2, s20, v5
	v_add_co_u32 v5, s3, v0, s16
	s_delay_alu instid0(VALU_DEP_1)
	v_add_co_ci_u32_e64 v6, s3, s17, v1, s3
	s_mul_hi_u32 s3, s8, s15
	v_lshlrev_b64 v[0:1], 3, v[2:3]
	s_add_i32 s9, s3, s9
	s_mul_i32 s8, s8, s15
	v_lshlrev_b32_e32 v2, 3, v23
	s_lshl_b64 s[8:9], s[8:9], 3
	s_delay_alu instid0(VALU_DEP_2) | instid1(SALU_CYCLE_1)
	v_add_co_u32 v0, s3, v0, s8
	s_delay_alu instid0(VALU_DEP_1) | instskip(NEXT) | instid1(VALU_DEP_3)
	v_add_co_ci_u32_e64 v1, s3, s9, v1, s3
	v_add_co_u32 v2, s3, v5, v2
	s_delay_alu instid0(VALU_DEP_1) | instskip(NEXT) | instid1(VALU_DEP_4)
	v_add_co_ci_u32_e64 v3, s3, 0, v6, s3
	v_add_co_u32 v0, s3, v0, v4
	s_delay_alu instid0(VALU_DEP_1) | instskip(SKIP_2) | instid1(VALU_DEP_2)
	v_add_co_ci_u32_e64 v1, s3, 0, v1, s3
	v_mov_b32_e32 v6, 0
	v_mov_b32_e32 v7, 0
	v_dual_mov_b32 v4, v6 :: v_dual_add_nc_u32 v25, 0x800, v8
	v_add_co_u32 v8, s3, s6, v2
	s_delay_alu instid0(VALU_DEP_1) | instskip(SKIP_1) | instid1(VALU_DEP_1)
	v_add_co_ci_u32_e64 v9, s3, s7, v3, s3
	v_add_co_u32 v10, s3, s18, v0
	v_add_co_ci_u32_e64 v11, s3, s19, v1, s3
	v_mov_b32_e32 v0, v6
	v_dual_mov_b32 v2, v6 :: v_dual_mov_b32 v13, v7
	v_mov_b32_e32 v1, v7
	v_mov_b32_e32 v3, v7
	v_dual_mov_b32 v5, v7 :: v_dual_mov_b32 v12, v6
	s_branch .LBB146_3
.LBB146_2:                              ;   in Loop: Header=BB146_3 Depth=1
	s_or_b32 exec_lo, exec_lo, s3
	s_waitcnt vmcnt(0)
	ds_store_b64 v25, v[16:17]
	s_waitcnt lgkmcnt(0)
	s_barrier
	buffer_gl0_inv
	ds_load_2addr_b64 v[14:17], v21 offset1:16
	ds_load_b128 v[26:29], v22
	ds_load_b128 v[30:33], v22 offset:1024
	ds_load_b128 v[34:37], v22 offset:16
	;; [unrolled: 1-line block ×3, first 2 shown]
	v_add_co_u32 v8, s3, v8, 64
	s_delay_alu instid0(VALU_DEP_1) | instskip(SKIP_1) | instid1(VALU_DEP_1)
	v_add_co_ci_u32_e64 v9, s3, 0, v9, s3
	v_add_co_u32 v10, s3, v10, 64
	v_add_co_ci_u32_e64 v11, s3, 0, v11, s3
	s_add_i32 s14, s14, 8
	s_delay_alu instid0(SALU_CYCLE_1)
	s_cmp_ge_i32 s14, s21
	s_waitcnt lgkmcnt(3)
	v_fma_f64 v[12:13], v[14:15], v[26:27], v[12:13]
	v_fma_f64 v[4:5], v[16:17], v[26:27], v[4:5]
	s_waitcnt lgkmcnt(2)
	v_fma_f64 v[14:15], v[14:15], v[30:31], v[2:3]
	v_fma_f64 v[16:17], v[16:17], v[30:31], v[0:1]
	ds_load_2addr_b64 v[0:3], v21 offset0:32 offset1:48
	s_waitcnt lgkmcnt(0)
	v_fma_f64 v[12:13], v[0:1], v[28:29], v[12:13]
	v_fma_f64 v[4:5], v[2:3], v[28:29], v[4:5]
	v_fma_f64 v[14:15], v[0:1], v[32:33], v[14:15]
	v_fma_f64 v[16:17], v[2:3], v[32:33], v[16:17]
	ds_load_2addr_b64 v[0:3], v21 offset0:64 offset1:80
	s_waitcnt lgkmcnt(0)
	v_fma_f64 v[12:13], v[0:1], v[34:35], v[12:13]
	v_fma_f64 v[4:5], v[2:3], v[34:35], v[4:5]
	;; [unrolled: 6-line block ×3, first 2 shown]
	v_fma_f64 v[42:43], v[0:1], v[40:41], v[14:15]
	v_fma_f64 v[16:17], v[2:3], v[40:41], v[16:17]
	ds_load_2addr_b64 v[0:3], v21 offset0:128 offset1:144
	ds_load_b128 v[12:15], v22 offset:32
	ds_load_b128 v[26:29], v22 offset:1056
	;; [unrolled: 1-line block ×4, first 2 shown]
	s_waitcnt lgkmcnt(3)
	v_fma_f64 v[38:39], v[0:1], v[12:13], v[38:39]
	v_fma_f64 v[4:5], v[2:3], v[12:13], v[4:5]
	s_waitcnt lgkmcnt(2)
	v_fma_f64 v[12:13], v[0:1], v[26:27], v[42:43]
	v_fma_f64 v[16:17], v[2:3], v[26:27], v[16:17]
	ds_load_2addr_b64 v[0:3], v21 offset0:160 offset1:176
	s_waitcnt lgkmcnt(0)
	v_fma_f64 v[26:27], v[0:1], v[14:15], v[38:39]
	v_fma_f64 v[4:5], v[2:3], v[14:15], v[4:5]
	;; [unrolled: 1-line block ×4, first 2 shown]
	ds_load_2addr_b64 v[0:3], v21 offset0:192 offset1:208
	s_waitcnt lgkmcnt(0)
	v_fma_f64 v[26:27], v[0:1], v[30:31], v[26:27]
	v_fma_f64 v[4:5], v[2:3], v[30:31], v[4:5]
	;; [unrolled: 1-line block ×4, first 2 shown]
	ds_load_2addr_b64 v[14:17], v21 offset0:224 offset1:240
	s_waitcnt lgkmcnt(0)
	s_barrier
	buffer_gl0_inv
	v_fma_f64 v[12:13], v[14:15], v[32:33], v[26:27]
	v_fma_f64 v[4:5], v[16:17], v[32:33], v[4:5]
	v_fma_f64 v[2:3], v[14:15], v[36:37], v[0:1]
	v_fma_f64 v[0:1], v[16:17], v[36:37], v[28:29]
	s_cbranch_scc1 .LBB146_7
.LBB146_3:                              ; =>This Inner Loop Header: Depth=1
	v_add_nc_u32_e32 v14, s14, v23
	s_delay_alu instid0(VALU_DEP_1) | instskip(SKIP_1) | instid1(VALU_DEP_2)
	v_cmp_gt_i32_e64 s3, s21, v14
	v_dual_mov_b32 v15, v7 :: v_dual_mov_b32 v14, v6
	s_and_b32 s6, vcc_lo, s3
	s_delay_alu instid0(SALU_CYCLE_1)
	s_and_saveexec_b32 s3, s6
	s_cbranch_execz .LBB146_5
; %bb.4:                                ;   in Loop: Header=BB146_3 Depth=1
	global_load_b64 v[14:15], v[8:9], off
.LBB146_5:                              ;   in Loop: Header=BB146_3 Depth=1
	s_or_b32 exec_lo, exec_lo, s3
	v_add_nc_u32_e32 v16, s14, v20
	s_waitcnt vmcnt(0)
	ds_store_b64 v24, v[14:15]
	v_cmp_gt_i32_e64 s3, s21, v16
	v_dual_mov_b32 v17, v7 :: v_dual_mov_b32 v16, v6
	s_delay_alu instid0(VALU_DEP_2) | instskip(NEXT) | instid1(SALU_CYCLE_1)
	s_and_b32 s6, s3, s2
	s_and_saveexec_b32 s3, s6
	s_cbranch_execz .LBB146_2
; %bb.6:                                ;   in Loop: Header=BB146_3 Depth=1
	global_load_b64 v[16:17], v[10:11], off
	s_branch .LBB146_2
.LBB146_7:
	s_clause 0x1
	s_load_b32 s2, s[0:1], 0x50
	s_load_b64 s[6:7], s[0:1], 0x58
	v_add_nc_u32_e32 v10, s13, v19
	v_add_nc_u32_e32 v6, s12, v18
	s_delay_alu instid0(VALU_DEP_1)
	v_cmp_le_i32_e64 s0, v10, v6
	v_cmp_gt_i32_e32 vcc_lo, s20, v6
	s_waitcnt lgkmcnt(0)
	v_mad_i64_i32 v[7:8], null, v10, s2, 0
	s_mul_i32 s1, s15, s7
	s_mul_hi_u32 s3, s15, s6
	s_mul_i32 s6, s15, s6
	s_add_i32 s7, s3, s1
	s_delay_alu instid0(SALU_CYCLE_1) | instskip(NEXT) | instid1(VALU_DEP_1)
	s_lshl_b64 s[6:7], s[6:7], 3
	v_lshlrev_b64 v[7:8], 3, v[7:8]
	s_add_u32 s3, s22, s6
	s_addc_u32 s6, s23, s7
	s_and_b32 s0, s0, vcc_lo
	s_delay_alu instid0(VALU_DEP_1) | instskip(NEXT) | instid1(VALU_DEP_1)
	v_add_co_u32 v11, s1, s3, v7
	v_add_co_ci_u32_e64 v14, s1, s6, v8, s1
	s_and_saveexec_b32 s1, s0
	s_cbranch_execz .LBB146_9
; %bb.8:
	v_ashrrev_i32_e32 v7, 31, v6
	s_delay_alu instid0(VALU_DEP_1) | instskip(NEXT) | instid1(VALU_DEP_1)
	v_lshlrev_b64 v[7:8], 3, v[6:7]
	v_add_co_u32 v7, s0, v11, v7
	s_delay_alu instid0(VALU_DEP_1) | instskip(SKIP_3) | instid1(VALU_DEP_1)
	v_add_co_ci_u32_e64 v8, s0, v14, v8, s0
	global_load_b64 v[15:16], v[7:8], off
	s_waitcnt vmcnt(0)
	v_mul_f64 v[15:16], v[15:16], s[10:11]
	v_fma_f64 v[12:13], v[12:13], s[4:5], v[15:16]
	global_store_b64 v[7:8], v[12:13], off
.LBB146_9:
	s_or_b32 exec_lo, exec_lo, s1
	v_add_nc_u32_e32 v8, 16, v6
	s_delay_alu instid0(VALU_DEP_1) | instskip(SKIP_1) | instid1(VALU_DEP_1)
	v_cmp_le_i32_e64 s1, v10, v8
	v_cmp_gt_i32_e64 s0, s20, v8
	s_and_b32 s1, s1, s0
	s_delay_alu instid0(SALU_CYCLE_1)
	s_and_saveexec_b32 s7, s1
	s_cbranch_execz .LBB146_11
; %bb.10:
	v_ashrrev_i32_e32 v9, 31, v8
	s_delay_alu instid0(VALU_DEP_1) | instskip(NEXT) | instid1(VALU_DEP_1)
	v_lshlrev_b64 v[12:13], 3, v[8:9]
	v_add_co_u32 v11, s1, v11, v12
	s_delay_alu instid0(VALU_DEP_1) | instskip(SKIP_3) | instid1(VALU_DEP_1)
	v_add_co_ci_u32_e64 v12, s1, v14, v13, s1
	global_load_b64 v[13:14], v[11:12], off
	s_waitcnt vmcnt(0)
	v_mul_f64 v[13:14], v[13:14], s[10:11]
	v_fma_f64 v[4:5], v[4:5], s[4:5], v[13:14]
	global_store_b64 v[11:12], v[4:5], off
.LBB146_11:
	s_or_b32 exec_lo, exec_lo, s7
	v_add_nc_u32_e32 v9, 16, v10
	s_delay_alu instid0(VALU_DEP_1) | instskip(SKIP_1) | instid1(VALU_DEP_2)
	v_mad_i64_i32 v[4:5], null, v9, s2, 0
	v_cmp_le_i32_e64 s1, v9, v6
	v_lshlrev_b64 v[4:5], 3, v[4:5]
	s_delay_alu instid0(VALU_DEP_1) | instskip(NEXT) | instid1(VALU_DEP_1)
	v_add_co_u32 v4, s2, s3, v4
	v_add_co_ci_u32_e64 v5, s2, s6, v5, s2
	s_delay_alu instid0(VALU_DEP_4) | instskip(NEXT) | instid1(SALU_CYCLE_1)
	s_and_b32 s2, s1, vcc_lo
	s_and_saveexec_b32 s1, s2
	s_cbranch_execz .LBB146_13
; %bb.12:
	v_ashrrev_i32_e32 v7, 31, v6
	s_delay_alu instid0(VALU_DEP_1) | instskip(NEXT) | instid1(VALU_DEP_1)
	v_lshlrev_b64 v[6:7], 3, v[6:7]
	v_add_co_u32 v6, vcc_lo, v4, v6
	s_delay_alu instid0(VALU_DEP_2) | instskip(SKIP_3) | instid1(VALU_DEP_1)
	v_add_co_ci_u32_e32 v7, vcc_lo, v5, v7, vcc_lo
	global_load_b64 v[10:11], v[6:7], off
	s_waitcnt vmcnt(0)
	v_mul_f64 v[10:11], v[10:11], s[10:11]
	v_fma_f64 v[2:3], v[2:3], s[4:5], v[10:11]
	global_store_b64 v[6:7], v[2:3], off
.LBB146_13:
	s_or_b32 exec_lo, exec_lo, s1
	v_cmp_le_i32_e32 vcc_lo, v9, v8
	s_and_b32 s0, vcc_lo, s0
	s_delay_alu instid0(SALU_CYCLE_1)
	s_and_saveexec_b32 s1, s0
	s_cbranch_execz .LBB146_15
; %bb.14:
	v_ashrrev_i32_e32 v9, 31, v8
	s_delay_alu instid0(VALU_DEP_1) | instskip(NEXT) | instid1(VALU_DEP_1)
	v_lshlrev_b64 v[2:3], 3, v[8:9]
	v_add_co_u32 v2, vcc_lo, v4, v2
	s_delay_alu instid0(VALU_DEP_2) | instskip(SKIP_3) | instid1(VALU_DEP_1)
	v_add_co_ci_u32_e32 v3, vcc_lo, v5, v3, vcc_lo
	global_load_b64 v[4:5], v[2:3], off
	s_waitcnt vmcnt(0)
	v_mul_f64 v[4:5], v[4:5], s[10:11]
	v_fma_f64 v[0:1], v[0:1], s[4:5], v[4:5]
	global_store_b64 v[2:3], v[0:1], off
.LBB146_15:
	s_nop 0
	s_sendmsg sendmsg(MSG_DEALLOC_VGPRS)
	s_endpgm
	.section	.rodata,"a",@progbits
	.p2align	6, 0x0
	.amdhsa_kernel _ZL34rocblas_syrkx_herkx_general_kernelIidLi16ELi32ELi8ELb0ELb0ELc67ELc76EKddEviT_T0_PT8_S1_lS4_S1_lS2_PT9_S1_li
		.amdhsa_group_segment_fixed_size 4096
		.amdhsa_private_segment_fixed_size 0
		.amdhsa_kernarg_size 100
		.amdhsa_user_sgpr_count 13
		.amdhsa_user_sgpr_dispatch_ptr 0
		.amdhsa_user_sgpr_queue_ptr 0
		.amdhsa_user_sgpr_kernarg_segment_ptr 1
		.amdhsa_user_sgpr_dispatch_id 0
		.amdhsa_user_sgpr_private_segment_size 0
		.amdhsa_wavefront_size32 1
		.amdhsa_uses_dynamic_stack 0
		.amdhsa_enable_private_segment 0
		.amdhsa_system_sgpr_workgroup_id_x 1
		.amdhsa_system_sgpr_workgroup_id_y 1
		.amdhsa_system_sgpr_workgroup_id_z 1
		.amdhsa_system_sgpr_workgroup_info 0
		.amdhsa_system_vgpr_workitem_id 1
		.amdhsa_next_free_vgpr 44
		.amdhsa_next_free_sgpr 25
		.amdhsa_reserve_vcc 1
		.amdhsa_float_round_mode_32 0
		.amdhsa_float_round_mode_16_64 0
		.amdhsa_float_denorm_mode_32 3
		.amdhsa_float_denorm_mode_16_64 3
		.amdhsa_dx10_clamp 1
		.amdhsa_ieee_mode 1
		.amdhsa_fp16_overflow 0
		.amdhsa_workgroup_processor_mode 1
		.amdhsa_memory_ordered 1
		.amdhsa_forward_progress 0
		.amdhsa_shared_vgpr_count 0
		.amdhsa_exception_fp_ieee_invalid_op 0
		.amdhsa_exception_fp_denorm_src 0
		.amdhsa_exception_fp_ieee_div_zero 0
		.amdhsa_exception_fp_ieee_overflow 0
		.amdhsa_exception_fp_ieee_underflow 0
		.amdhsa_exception_fp_ieee_inexact 0
		.amdhsa_exception_int_div_zero 0
	.end_amdhsa_kernel
	.section	.text._ZL34rocblas_syrkx_herkx_general_kernelIidLi16ELi32ELi8ELb0ELb0ELc67ELc76EKddEviT_T0_PT8_S1_lS4_S1_lS2_PT9_S1_li,"axG",@progbits,_ZL34rocblas_syrkx_herkx_general_kernelIidLi16ELi32ELi8ELb0ELb0ELc67ELc76EKddEviT_T0_PT8_S1_lS4_S1_lS2_PT9_S1_li,comdat
.Lfunc_end146:
	.size	_ZL34rocblas_syrkx_herkx_general_kernelIidLi16ELi32ELi8ELb0ELb0ELc67ELc76EKddEviT_T0_PT8_S1_lS4_S1_lS2_PT9_S1_li, .Lfunc_end146-_ZL34rocblas_syrkx_herkx_general_kernelIidLi16ELi32ELi8ELb0ELb0ELc67ELc76EKddEviT_T0_PT8_S1_lS4_S1_lS2_PT9_S1_li
                                        ; -- End function
	.section	.AMDGPU.csdata,"",@progbits
; Kernel info:
; codeLenInByte = 1680
; NumSgprs: 27
; NumVgprs: 44
; ScratchSize: 0
; MemoryBound: 0
; FloatMode: 240
; IeeeMode: 1
; LDSByteSize: 4096 bytes/workgroup (compile time only)
; SGPRBlocks: 3
; VGPRBlocks: 5
; NumSGPRsForWavesPerEU: 27
; NumVGPRsForWavesPerEU: 44
; Occupancy: 16
; WaveLimiterHint : 0
; COMPUTE_PGM_RSRC2:SCRATCH_EN: 0
; COMPUTE_PGM_RSRC2:USER_SGPR: 13
; COMPUTE_PGM_RSRC2:TRAP_HANDLER: 0
; COMPUTE_PGM_RSRC2:TGID_X_EN: 1
; COMPUTE_PGM_RSRC2:TGID_Y_EN: 1
; COMPUTE_PGM_RSRC2:TGID_Z_EN: 1
; COMPUTE_PGM_RSRC2:TIDIG_COMP_CNT: 1
	.section	.text._ZL34rocblas_syrkx_herkx_general_kernelIidLi16ELi32ELi8ELb0ELb0ELc78ELc76EKddEviT_T0_PT8_S1_lS4_S1_lS2_PT9_S1_li,"axG",@progbits,_ZL34rocblas_syrkx_herkx_general_kernelIidLi16ELi32ELi8ELb0ELb0ELc78ELc76EKddEviT_T0_PT8_S1_lS4_S1_lS2_PT9_S1_li,comdat
	.globl	_ZL34rocblas_syrkx_herkx_general_kernelIidLi16ELi32ELi8ELb0ELb0ELc78ELc76EKddEviT_T0_PT8_S1_lS4_S1_lS2_PT9_S1_li ; -- Begin function _ZL34rocblas_syrkx_herkx_general_kernelIidLi16ELi32ELi8ELb0ELb0ELc78ELc76EKddEviT_T0_PT8_S1_lS4_S1_lS2_PT9_S1_li
	.p2align	8
	.type	_ZL34rocblas_syrkx_herkx_general_kernelIidLi16ELi32ELi8ELb0ELb0ELc78ELc76EKddEviT_T0_PT8_S1_lS4_S1_lS2_PT9_S1_li,@function
_ZL34rocblas_syrkx_herkx_general_kernelIidLi16ELi32ELi8ELb0ELb0ELc78ELc76EKddEviT_T0_PT8_S1_lS4_S1_lS2_PT9_S1_li: ; @_ZL34rocblas_syrkx_herkx_general_kernelIidLi16ELi32ELi8ELb0ELb0ELc78ELc76EKddEviT_T0_PT8_S1_lS4_S1_lS2_PT9_S1_li
; %bb.0:
	s_clause 0x3
	s_load_b64 s[20:21], s[0:1], 0x0
	s_load_b128 s[4:7], s[0:1], 0x8
	s_load_b128 s[8:11], s[0:1], 0x38
	s_load_b64 s[22:23], s[0:1], 0x48
	v_mov_b32_e32 v12, 0
	v_dual_mov_b32 v13, 0 :: v_dual_and_b32 v18, 0x3ff, v0
	v_bfe_u32 v19, v0, 10, 10
	s_delay_alu instid0(VALU_DEP_3) | instskip(NEXT) | instid1(VALU_DEP_3)
	v_mov_b32_e32 v4, v12
	v_dual_mov_b32 v2, v12 :: v_dual_mov_b32 v3, v13
	v_dual_mov_b32 v5, v13 :: v_dual_mov_b32 v0, v12
	v_mov_b32_e32 v1, v13
	s_lshl_b32 s26, s13, 5
	s_lshl_b32 s14, s14, 5
	s_mov_b32 s27, 0
	s_waitcnt lgkmcnt(0)
	s_cmp_lt_i32 s21, 1
	s_cbranch_scc1 .LBB147_7
; %bb.1:
	s_load_b32 s12, s[0:1], 0x18
	v_lshl_add_u32 v0, v19, 4, v18
	s_clause 0x1
	s_load_b128 s[16:19], s[0:1], 0x20
	s_load_b32 s24, s[0:1], 0x30
	v_and_b32_e32 v20, 7, v18
	v_lshlrev_b32_e32 v21, 3, v18
	v_lshl_add_u32 v22, v19, 6, 0x800
	v_and_b32_e32 v1, 31, v0
	v_lshrrev_b32_e32 v2, 3, v0
	v_lshlrev_b32_e32 v3, 3, v20
	v_lshrrev_b32_e32 v23, 5, v0
	s_delay_alu instid0(VALU_DEP_4) | instskip(SKIP_1) | instid1(VALU_DEP_4)
	v_or_b32_e32 v4, s26, v1
	v_lshlrev_b32_e32 v5, 3, v1
	v_lshl_or_b32 v6, v2, 6, v3
	v_add_nc_u32_e32 v0, s14, v2
	v_add_nc_u32_e32 v2, s26, v1
	v_cmp_gt_i32_e32 vcc_lo, s20, v4
	v_lshl_or_b32 v24, v23, 8, v5
	v_add_nc_u32_e32 v25, 0x800, v6
	v_ashrrev_i32_e32 v1, 31, v0
	s_waitcnt lgkmcnt(0)
	v_mad_i64_i32 v[3:4], null, v23, s12, 0
	s_mul_i32 s3, s17, s15
	s_mul_hi_u32 s17, s16, s15
	v_mad_i64_i32 v[5:6], null, s24, v20, 0
	s_mul_i32 s16, s16, s15
	s_add_i32 s17, s17, s3
	s_delay_alu instid0(VALU_DEP_2)
	v_lshlrev_b64 v[3:4], 3, v[3:4]
	s_lshl_b64 s[16:17], s[16:17], 3
	v_cmp_gt_i32_e64 s2, s20, v0
	v_lshlrev_b64 v[0:1], 3, v[0:1]
	s_ashr_i32 s13, s12, 31
	s_ashr_i32 s25, s24, 31
	v_add_co_u32 v7, s3, v3, s16
	v_ashrrev_i32_e32 v3, 31, v2
	v_add_co_ci_u32_e64 v8, s3, s17, v4, s3
	s_mul_i32 s3, s9, s15
	s_mul_hi_u32 s9, s8, s15
	v_lshlrev_b64 v[4:5], 3, v[5:6]
	s_add_i32 s9, s9, s3
	s_mul_i32 s8, s8, s15
	v_lshlrev_b64 v[2:3], 3, v[2:3]
	s_lshl_b64 s[8:9], s[8:9], 3
	s_delay_alu instid0(VALU_DEP_2) | instid1(SALU_CYCLE_1)
	v_add_co_u32 v4, s3, s8, v4
	s_delay_alu instid0(VALU_DEP_1) | instskip(NEXT) | instid1(VALU_DEP_3)
	v_add_co_ci_u32_e64 v5, s3, s9, v5, s3
	v_add_co_u32 v2, s3, v7, v2
	s_delay_alu instid0(VALU_DEP_1) | instskip(NEXT) | instid1(VALU_DEP_4)
	v_add_co_ci_u32_e64 v3, s3, v8, v3, s3
	v_add_co_u32 v0, s3, v4, v0
	s_delay_alu instid0(VALU_DEP_1) | instskip(SKIP_2) | instid1(VALU_DEP_2)
	v_add_co_ci_u32_e64 v1, s3, v5, v1, s3
	v_mov_b32_e32 v6, 0
	v_mov_b32_e32 v7, 0
	;; [unrolled: 1-line block ×3, first 2 shown]
	v_add_co_u32 v8, s3, s6, v2
	s_delay_alu instid0(VALU_DEP_1) | instskip(SKIP_1) | instid1(VALU_DEP_1)
	v_add_co_ci_u32_e64 v9, s3, s7, v3, s3
	v_add_co_u32 v10, s3, s18, v0
	v_add_co_ci_u32_e64 v11, s3, s19, v1, s3
	v_mov_b32_e32 v0, v6
	v_dual_mov_b32 v2, v6 :: v_dual_mov_b32 v13, v7
	v_mov_b32_e32 v1, v7
	v_mov_b32_e32 v3, v7
	v_dual_mov_b32 v5, v7 :: v_dual_mov_b32 v12, v6
	s_lshl_b64 s[6:7], s[12:13], 6
	s_lshl_b64 s[8:9], s[24:25], 6
	s_branch .LBB147_3
.LBB147_2:                              ;   in Loop: Header=BB147_3 Depth=1
	s_or_b32 exec_lo, exec_lo, s3
	s_waitcnt vmcnt(0)
	ds_store_b64 v25, v[16:17]
	s_waitcnt lgkmcnt(0)
	s_barrier
	buffer_gl0_inv
	ds_load_2addr_b64 v[14:17], v21 offset1:16
	ds_load_b128 v[26:29], v22
	ds_load_b128 v[30:33], v22 offset:1024
	ds_load_b128 v[34:37], v22 offset:16
	;; [unrolled: 1-line block ×3, first 2 shown]
	v_add_co_u32 v8, s3, v8, s6
	s_delay_alu instid0(VALU_DEP_1) | instskip(SKIP_1) | instid1(VALU_DEP_1)
	v_add_co_ci_u32_e64 v9, s3, s7, v9, s3
	v_add_co_u32 v10, s3, v10, s8
	v_add_co_ci_u32_e64 v11, s3, s9, v11, s3
	s_add_i32 s27, s27, 8
	s_delay_alu instid0(SALU_CYCLE_1)
	s_cmp_ge_i32 s27, s21
	s_waitcnt lgkmcnt(3)
	v_fma_f64 v[12:13], v[14:15], v[26:27], v[12:13]
	v_fma_f64 v[4:5], v[16:17], v[26:27], v[4:5]
	s_waitcnt lgkmcnt(2)
	v_fma_f64 v[14:15], v[14:15], v[30:31], v[2:3]
	v_fma_f64 v[16:17], v[16:17], v[30:31], v[0:1]
	ds_load_2addr_b64 v[0:3], v21 offset0:32 offset1:48
	s_waitcnt lgkmcnt(0)
	v_fma_f64 v[12:13], v[0:1], v[28:29], v[12:13]
	v_fma_f64 v[4:5], v[2:3], v[28:29], v[4:5]
	v_fma_f64 v[14:15], v[0:1], v[32:33], v[14:15]
	v_fma_f64 v[16:17], v[2:3], v[32:33], v[16:17]
	ds_load_2addr_b64 v[0:3], v21 offset0:64 offset1:80
	s_waitcnt lgkmcnt(0)
	v_fma_f64 v[12:13], v[0:1], v[34:35], v[12:13]
	v_fma_f64 v[4:5], v[2:3], v[34:35], v[4:5]
	v_fma_f64 v[14:15], v[0:1], v[38:39], v[14:15]
	v_fma_f64 v[16:17], v[2:3], v[38:39], v[16:17]
	ds_load_2addr_b64 v[0:3], v21 offset0:96 offset1:112
	s_waitcnt lgkmcnt(0)
	v_fma_f64 v[38:39], v[0:1], v[36:37], v[12:13]
	v_fma_f64 v[4:5], v[2:3], v[36:37], v[4:5]
	v_fma_f64 v[42:43], v[0:1], v[40:41], v[14:15]
	v_fma_f64 v[16:17], v[2:3], v[40:41], v[16:17]
	ds_load_2addr_b64 v[0:3], v21 offset0:128 offset1:144
	ds_load_b128 v[12:15], v22 offset:32
	ds_load_b128 v[26:29], v22 offset:1056
	;; [unrolled: 1-line block ×4, first 2 shown]
	s_waitcnt lgkmcnt(3)
	v_fma_f64 v[38:39], v[0:1], v[12:13], v[38:39]
	v_fma_f64 v[4:5], v[2:3], v[12:13], v[4:5]
	s_waitcnt lgkmcnt(2)
	v_fma_f64 v[12:13], v[0:1], v[26:27], v[42:43]
	v_fma_f64 v[16:17], v[2:3], v[26:27], v[16:17]
	ds_load_2addr_b64 v[0:3], v21 offset0:160 offset1:176
	s_waitcnt lgkmcnt(0)
	v_fma_f64 v[26:27], v[0:1], v[14:15], v[38:39]
	v_fma_f64 v[4:5], v[2:3], v[14:15], v[4:5]
	;; [unrolled: 1-line block ×4, first 2 shown]
	ds_load_2addr_b64 v[0:3], v21 offset0:192 offset1:208
	s_waitcnt lgkmcnt(0)
	v_fma_f64 v[26:27], v[0:1], v[30:31], v[26:27]
	v_fma_f64 v[4:5], v[2:3], v[30:31], v[4:5]
	;; [unrolled: 1-line block ×4, first 2 shown]
	ds_load_2addr_b64 v[14:17], v21 offset0:224 offset1:240
	s_waitcnt lgkmcnt(0)
	s_barrier
	buffer_gl0_inv
	v_fma_f64 v[12:13], v[14:15], v[32:33], v[26:27]
	v_fma_f64 v[4:5], v[16:17], v[32:33], v[4:5]
	;; [unrolled: 1-line block ×4, first 2 shown]
	s_cbranch_scc1 .LBB147_7
.LBB147_3:                              ; =>This Inner Loop Header: Depth=1
	v_add_nc_u32_e32 v14, s27, v23
	s_delay_alu instid0(VALU_DEP_1) | instskip(SKIP_1) | instid1(VALU_DEP_2)
	v_cmp_gt_i32_e64 s3, s21, v14
	v_dual_mov_b32 v15, v7 :: v_dual_mov_b32 v14, v6
	s_and_b32 s12, vcc_lo, s3
	s_delay_alu instid0(SALU_CYCLE_1)
	s_and_saveexec_b32 s3, s12
	s_cbranch_execz .LBB147_5
; %bb.4:                                ;   in Loop: Header=BB147_3 Depth=1
	global_load_b64 v[14:15], v[8:9], off
.LBB147_5:                              ;   in Loop: Header=BB147_3 Depth=1
	s_or_b32 exec_lo, exec_lo, s3
	v_add_nc_u32_e32 v16, s27, v20
	s_waitcnt vmcnt(0)
	ds_store_b64 v24, v[14:15]
	v_cmp_gt_i32_e64 s3, s21, v16
	v_dual_mov_b32 v17, v7 :: v_dual_mov_b32 v16, v6
	s_delay_alu instid0(VALU_DEP_2) | instskip(NEXT) | instid1(SALU_CYCLE_1)
	s_and_b32 s12, s3, s2
	s_and_saveexec_b32 s3, s12
	s_cbranch_execz .LBB147_2
; %bb.6:                                ;   in Loop: Header=BB147_3 Depth=1
	global_load_b64 v[16:17], v[10:11], off
	s_branch .LBB147_2
.LBB147_7:
	s_clause 0x1
	s_load_b32 s2, s[0:1], 0x50
	s_load_b64 s[6:7], s[0:1], 0x58
	v_add_nc_u32_e32 v10, s14, v19
	v_add_nc_u32_e32 v6, s26, v18
	s_delay_alu instid0(VALU_DEP_1)
	v_cmp_le_i32_e64 s0, v10, v6
	v_cmp_gt_i32_e32 vcc_lo, s20, v6
	s_waitcnt lgkmcnt(0)
	v_mad_i64_i32 v[7:8], null, v10, s2, 0
	s_mul_i32 s1, s15, s7
	s_mul_hi_u32 s3, s15, s6
	s_mul_i32 s6, s15, s6
	s_add_i32 s7, s3, s1
	s_delay_alu instid0(SALU_CYCLE_1) | instskip(NEXT) | instid1(VALU_DEP_1)
	s_lshl_b64 s[6:7], s[6:7], 3
	v_lshlrev_b64 v[7:8], 3, v[7:8]
	s_add_u32 s3, s22, s6
	s_addc_u32 s6, s23, s7
	s_and_b32 s0, s0, vcc_lo
	s_delay_alu instid0(VALU_DEP_1) | instskip(NEXT) | instid1(VALU_DEP_1)
	v_add_co_u32 v11, s1, s3, v7
	v_add_co_ci_u32_e64 v14, s1, s6, v8, s1
	s_and_saveexec_b32 s1, s0
	s_cbranch_execz .LBB147_9
; %bb.8:
	v_ashrrev_i32_e32 v7, 31, v6
	s_delay_alu instid0(VALU_DEP_1) | instskip(NEXT) | instid1(VALU_DEP_1)
	v_lshlrev_b64 v[7:8], 3, v[6:7]
	v_add_co_u32 v7, s0, v11, v7
	s_delay_alu instid0(VALU_DEP_1) | instskip(SKIP_3) | instid1(VALU_DEP_1)
	v_add_co_ci_u32_e64 v8, s0, v14, v8, s0
	global_load_b64 v[15:16], v[7:8], off
	s_waitcnt vmcnt(0)
	v_mul_f64 v[15:16], v[15:16], s[10:11]
	v_fma_f64 v[12:13], v[12:13], s[4:5], v[15:16]
	global_store_b64 v[7:8], v[12:13], off
.LBB147_9:
	s_or_b32 exec_lo, exec_lo, s1
	v_add_nc_u32_e32 v8, 16, v6
	s_delay_alu instid0(VALU_DEP_1) | instskip(SKIP_1) | instid1(VALU_DEP_1)
	v_cmp_le_i32_e64 s1, v10, v8
	v_cmp_gt_i32_e64 s0, s20, v8
	s_and_b32 s1, s1, s0
	s_delay_alu instid0(SALU_CYCLE_1)
	s_and_saveexec_b32 s7, s1
	s_cbranch_execz .LBB147_11
; %bb.10:
	v_ashrrev_i32_e32 v9, 31, v8
	s_delay_alu instid0(VALU_DEP_1) | instskip(NEXT) | instid1(VALU_DEP_1)
	v_lshlrev_b64 v[12:13], 3, v[8:9]
	v_add_co_u32 v11, s1, v11, v12
	s_delay_alu instid0(VALU_DEP_1) | instskip(SKIP_3) | instid1(VALU_DEP_1)
	v_add_co_ci_u32_e64 v12, s1, v14, v13, s1
	global_load_b64 v[13:14], v[11:12], off
	s_waitcnt vmcnt(0)
	v_mul_f64 v[13:14], v[13:14], s[10:11]
	v_fma_f64 v[4:5], v[4:5], s[4:5], v[13:14]
	global_store_b64 v[11:12], v[4:5], off
.LBB147_11:
	s_or_b32 exec_lo, exec_lo, s7
	v_add_nc_u32_e32 v9, 16, v10
	s_delay_alu instid0(VALU_DEP_1) | instskip(SKIP_1) | instid1(VALU_DEP_2)
	v_mad_i64_i32 v[4:5], null, v9, s2, 0
	v_cmp_le_i32_e64 s1, v9, v6
	v_lshlrev_b64 v[4:5], 3, v[4:5]
	s_delay_alu instid0(VALU_DEP_1) | instskip(NEXT) | instid1(VALU_DEP_1)
	v_add_co_u32 v4, s2, s3, v4
	v_add_co_ci_u32_e64 v5, s2, s6, v5, s2
	s_delay_alu instid0(VALU_DEP_4) | instskip(NEXT) | instid1(SALU_CYCLE_1)
	s_and_b32 s2, s1, vcc_lo
	s_and_saveexec_b32 s1, s2
	s_cbranch_execz .LBB147_13
; %bb.12:
	v_ashrrev_i32_e32 v7, 31, v6
	s_delay_alu instid0(VALU_DEP_1) | instskip(NEXT) | instid1(VALU_DEP_1)
	v_lshlrev_b64 v[6:7], 3, v[6:7]
	v_add_co_u32 v6, vcc_lo, v4, v6
	s_delay_alu instid0(VALU_DEP_2) | instskip(SKIP_3) | instid1(VALU_DEP_1)
	v_add_co_ci_u32_e32 v7, vcc_lo, v5, v7, vcc_lo
	global_load_b64 v[10:11], v[6:7], off
	s_waitcnt vmcnt(0)
	v_mul_f64 v[10:11], v[10:11], s[10:11]
	v_fma_f64 v[2:3], v[2:3], s[4:5], v[10:11]
	global_store_b64 v[6:7], v[2:3], off
.LBB147_13:
	s_or_b32 exec_lo, exec_lo, s1
	v_cmp_le_i32_e32 vcc_lo, v9, v8
	s_and_b32 s0, vcc_lo, s0
	s_delay_alu instid0(SALU_CYCLE_1)
	s_and_saveexec_b32 s1, s0
	s_cbranch_execz .LBB147_15
; %bb.14:
	v_ashrrev_i32_e32 v9, 31, v8
	s_delay_alu instid0(VALU_DEP_1) | instskip(NEXT) | instid1(VALU_DEP_1)
	v_lshlrev_b64 v[2:3], 3, v[8:9]
	v_add_co_u32 v2, vcc_lo, v4, v2
	s_delay_alu instid0(VALU_DEP_2) | instskip(SKIP_3) | instid1(VALU_DEP_1)
	v_add_co_ci_u32_e32 v3, vcc_lo, v5, v3, vcc_lo
	global_load_b64 v[4:5], v[2:3], off
	s_waitcnt vmcnt(0)
	v_mul_f64 v[4:5], v[4:5], s[10:11]
	v_fma_f64 v[0:1], v[0:1], s[4:5], v[4:5]
	global_store_b64 v[2:3], v[0:1], off
.LBB147_15:
	s_nop 0
	s_sendmsg sendmsg(MSG_DEALLOC_VGPRS)
	s_endpgm
	.section	.rodata,"a",@progbits
	.p2align	6, 0x0
	.amdhsa_kernel _ZL34rocblas_syrkx_herkx_general_kernelIidLi16ELi32ELi8ELb0ELb0ELc78ELc76EKddEviT_T0_PT8_S1_lS4_S1_lS2_PT9_S1_li
		.amdhsa_group_segment_fixed_size 4096
		.amdhsa_private_segment_fixed_size 0
		.amdhsa_kernarg_size 100
		.amdhsa_user_sgpr_count 13
		.amdhsa_user_sgpr_dispatch_ptr 0
		.amdhsa_user_sgpr_queue_ptr 0
		.amdhsa_user_sgpr_kernarg_segment_ptr 1
		.amdhsa_user_sgpr_dispatch_id 0
		.amdhsa_user_sgpr_private_segment_size 0
		.amdhsa_wavefront_size32 1
		.amdhsa_uses_dynamic_stack 0
		.amdhsa_enable_private_segment 0
		.amdhsa_system_sgpr_workgroup_id_x 1
		.amdhsa_system_sgpr_workgroup_id_y 1
		.amdhsa_system_sgpr_workgroup_id_z 1
		.amdhsa_system_sgpr_workgroup_info 0
		.amdhsa_system_vgpr_workitem_id 1
		.amdhsa_next_free_vgpr 44
		.amdhsa_next_free_sgpr 28
		.amdhsa_reserve_vcc 1
		.amdhsa_float_round_mode_32 0
		.amdhsa_float_round_mode_16_64 0
		.amdhsa_float_denorm_mode_32 3
		.amdhsa_float_denorm_mode_16_64 3
		.amdhsa_dx10_clamp 1
		.amdhsa_ieee_mode 1
		.amdhsa_fp16_overflow 0
		.amdhsa_workgroup_processor_mode 1
		.amdhsa_memory_ordered 1
		.amdhsa_forward_progress 0
		.amdhsa_shared_vgpr_count 0
		.amdhsa_exception_fp_ieee_invalid_op 0
		.amdhsa_exception_fp_denorm_src 0
		.amdhsa_exception_fp_ieee_div_zero 0
		.amdhsa_exception_fp_ieee_overflow 0
		.amdhsa_exception_fp_ieee_underflow 0
		.amdhsa_exception_fp_ieee_inexact 0
		.amdhsa_exception_int_div_zero 0
	.end_amdhsa_kernel
	.section	.text._ZL34rocblas_syrkx_herkx_general_kernelIidLi16ELi32ELi8ELb0ELb0ELc78ELc76EKddEviT_T0_PT8_S1_lS4_S1_lS2_PT9_S1_li,"axG",@progbits,_ZL34rocblas_syrkx_herkx_general_kernelIidLi16ELi32ELi8ELb0ELb0ELc78ELc76EKddEviT_T0_PT8_S1_lS4_S1_lS2_PT9_S1_li,comdat
.Lfunc_end147:
	.size	_ZL34rocblas_syrkx_herkx_general_kernelIidLi16ELi32ELi8ELb0ELb0ELc78ELc76EKddEviT_T0_PT8_S1_lS4_S1_lS2_PT9_S1_li, .Lfunc_end147-_ZL34rocblas_syrkx_herkx_general_kernelIidLi16ELi32ELi8ELb0ELb0ELc78ELc76EKddEviT_T0_PT8_S1_lS4_S1_lS2_PT9_S1_li
                                        ; -- End function
	.section	.AMDGPU.csdata,"",@progbits
; Kernel info:
; codeLenInByte = 1712
; NumSgprs: 30
; NumVgprs: 44
; ScratchSize: 0
; MemoryBound: 0
; FloatMode: 240
; IeeeMode: 1
; LDSByteSize: 4096 bytes/workgroup (compile time only)
; SGPRBlocks: 3
; VGPRBlocks: 5
; NumSGPRsForWavesPerEU: 30
; NumVGPRsForWavesPerEU: 44
; Occupancy: 16
; WaveLimiterHint : 0
; COMPUTE_PGM_RSRC2:SCRATCH_EN: 0
; COMPUTE_PGM_RSRC2:USER_SGPR: 13
; COMPUTE_PGM_RSRC2:TRAP_HANDLER: 0
; COMPUTE_PGM_RSRC2:TGID_X_EN: 1
; COMPUTE_PGM_RSRC2:TGID_Y_EN: 1
; COMPUTE_PGM_RSRC2:TGID_Z_EN: 1
; COMPUTE_PGM_RSRC2:TIDIG_COMP_CNT: 1
	.section	.text._ZL34rocblas_syrkx_herkx_general_kernelIidLi16ELi32ELi8ELb0ELb0ELc84ELc85EKddEviT_T0_PT8_S1_lS4_S1_lS2_PT9_S1_li,"axG",@progbits,_ZL34rocblas_syrkx_herkx_general_kernelIidLi16ELi32ELi8ELb0ELb0ELc84ELc85EKddEviT_T0_PT8_S1_lS4_S1_lS2_PT9_S1_li,comdat
	.globl	_ZL34rocblas_syrkx_herkx_general_kernelIidLi16ELi32ELi8ELb0ELb0ELc84ELc85EKddEviT_T0_PT8_S1_lS4_S1_lS2_PT9_S1_li ; -- Begin function _ZL34rocblas_syrkx_herkx_general_kernelIidLi16ELi32ELi8ELb0ELb0ELc84ELc85EKddEviT_T0_PT8_S1_lS4_S1_lS2_PT9_S1_li
	.p2align	8
	.type	_ZL34rocblas_syrkx_herkx_general_kernelIidLi16ELi32ELi8ELb0ELb0ELc84ELc85EKddEviT_T0_PT8_S1_lS4_S1_lS2_PT9_S1_li,@function
_ZL34rocblas_syrkx_herkx_general_kernelIidLi16ELi32ELi8ELb0ELb0ELc84ELc85EKddEviT_T0_PT8_S1_lS4_S1_lS2_PT9_S1_li: ; @_ZL34rocblas_syrkx_herkx_general_kernelIidLi16ELi32ELi8ELb0ELb0ELc84ELc85EKddEviT_T0_PT8_S1_lS4_S1_lS2_PT9_S1_li
; %bb.0:
	s_clause 0x3
	s_load_b64 s[20:21], s[0:1], 0x0
	s_load_b128 s[4:7], s[0:1], 0x8
	s_load_b128 s[8:11], s[0:1], 0x38
	s_load_b64 s[22:23], s[0:1], 0x48
	v_mov_b32_e32 v12, 0
	v_dual_mov_b32 v13, 0 :: v_dual_and_b32 v18, 0x3ff, v0
	v_bfe_u32 v19, v0, 10, 10
	s_delay_alu instid0(VALU_DEP_3) | instskip(NEXT) | instid1(VALU_DEP_3)
	v_mov_b32_e32 v4, v12
	v_dual_mov_b32 v2, v12 :: v_dual_mov_b32 v3, v13
	v_dual_mov_b32 v5, v13 :: v_dual_mov_b32 v0, v12
	v_mov_b32_e32 v1, v13
	s_lshl_b32 s12, s13, 5
	s_lshl_b32 s13, s14, 5
	s_mov_b32 s14, 0
	s_waitcnt lgkmcnt(0)
	s_cmp_lt_i32 s21, 1
	s_cbranch_scc1 .LBB148_7
; %bb.1:
	s_load_b32 s2, s[0:1], 0x18
	v_lshl_add_u32 v0, v19, 4, v18
	s_clause 0x1
	s_load_b128 s[16:19], s[0:1], 0x20
	s_load_b32 s3, s[0:1], 0x30
	v_and_b32_e32 v20, 7, v18
	s_mul_i32 s9, s9, s15
	v_lshlrev_b32_e32 v21, 3, v18
	v_and_b32_e32 v1, 31, v0
	v_lshrrev_b32_e32 v2, 3, v0
	v_lshrrev_b32_e32 v23, 5, v0
	v_lshlrev_b32_e32 v4, 3, v20
	v_lshl_add_u32 v22, v19, 6, 0x800
	v_add_nc_u32_e32 v3, s12, v1
	v_or_b32_e32 v6, s12, v1
	v_lshlrev_b32_e32 v7, 3, v1
	v_add_nc_u32_e32 v5, s13, v2
	v_lshl_or_b32 v8, v2, 6, v4
	s_delay_alu instid0(VALU_DEP_4) | instskip(NEXT) | instid1(VALU_DEP_4)
	v_cmp_gt_i32_e32 vcc_lo, s20, v6
	v_lshl_or_b32 v24, v23, 8, v7
	s_waitcnt lgkmcnt(0)
	v_mad_i64_i32 v[0:1], null, s2, v3, 0
	s_mul_i32 s17, s17, s15
	s_mul_hi_u32 s24, s16, s15
	v_mad_i64_i32 v[2:3], null, s3, v5, 0
	s_mul_i32 s16, s16, s15
	s_add_i32 s17, s24, s17
	s_delay_alu instid0(VALU_DEP_2) | instskip(SKIP_2) | instid1(VALU_DEP_2)
	v_lshlrev_b64 v[0:1], 3, v[0:1]
	s_lshl_b64 s[16:17], s[16:17], 3
	v_cmp_gt_i32_e64 s2, s20, v5
	v_add_co_u32 v5, s3, v0, s16
	s_delay_alu instid0(VALU_DEP_1)
	v_add_co_ci_u32_e64 v6, s3, s17, v1, s3
	s_mul_hi_u32 s3, s8, s15
	v_lshlrev_b64 v[0:1], 3, v[2:3]
	s_add_i32 s9, s3, s9
	s_mul_i32 s8, s8, s15
	v_lshlrev_b32_e32 v2, 3, v23
	s_lshl_b64 s[8:9], s[8:9], 3
	s_delay_alu instid0(VALU_DEP_2) | instid1(SALU_CYCLE_1)
	v_add_co_u32 v0, s3, v0, s8
	s_delay_alu instid0(VALU_DEP_1) | instskip(NEXT) | instid1(VALU_DEP_3)
	v_add_co_ci_u32_e64 v1, s3, s9, v1, s3
	v_add_co_u32 v2, s3, v5, v2
	s_delay_alu instid0(VALU_DEP_1) | instskip(NEXT) | instid1(VALU_DEP_4)
	v_add_co_ci_u32_e64 v3, s3, 0, v6, s3
	v_add_co_u32 v0, s3, v0, v4
	s_delay_alu instid0(VALU_DEP_1) | instskip(SKIP_2) | instid1(VALU_DEP_2)
	v_add_co_ci_u32_e64 v1, s3, 0, v1, s3
	v_mov_b32_e32 v6, 0
	v_mov_b32_e32 v7, 0
	v_dual_mov_b32 v4, v6 :: v_dual_add_nc_u32 v25, 0x800, v8
	v_add_co_u32 v8, s3, s6, v2
	s_delay_alu instid0(VALU_DEP_1) | instskip(SKIP_1) | instid1(VALU_DEP_1)
	v_add_co_ci_u32_e64 v9, s3, s7, v3, s3
	v_add_co_u32 v10, s3, s18, v0
	v_add_co_ci_u32_e64 v11, s3, s19, v1, s3
	v_mov_b32_e32 v0, v6
	v_dual_mov_b32 v2, v6 :: v_dual_mov_b32 v13, v7
	v_mov_b32_e32 v1, v7
	v_mov_b32_e32 v3, v7
	v_dual_mov_b32 v5, v7 :: v_dual_mov_b32 v12, v6
	s_branch .LBB148_3
.LBB148_2:                              ;   in Loop: Header=BB148_3 Depth=1
	s_or_b32 exec_lo, exec_lo, s3
	s_waitcnt vmcnt(0)
	ds_store_b64 v25, v[16:17]
	s_waitcnt lgkmcnt(0)
	s_barrier
	buffer_gl0_inv
	ds_load_2addr_b64 v[14:17], v21 offset1:16
	ds_load_b128 v[26:29], v22
	ds_load_b128 v[30:33], v22 offset:1024
	ds_load_b128 v[34:37], v22 offset:16
	;; [unrolled: 1-line block ×3, first 2 shown]
	v_add_co_u32 v8, s3, v8, 64
	s_delay_alu instid0(VALU_DEP_1) | instskip(SKIP_1) | instid1(VALU_DEP_1)
	v_add_co_ci_u32_e64 v9, s3, 0, v9, s3
	v_add_co_u32 v10, s3, v10, 64
	v_add_co_ci_u32_e64 v11, s3, 0, v11, s3
	s_add_i32 s14, s14, 8
	s_delay_alu instid0(SALU_CYCLE_1)
	s_cmp_ge_i32 s14, s21
	s_waitcnt lgkmcnt(3)
	v_fma_f64 v[12:13], v[14:15], v[26:27], v[12:13]
	v_fma_f64 v[4:5], v[16:17], v[26:27], v[4:5]
	s_waitcnt lgkmcnt(2)
	v_fma_f64 v[14:15], v[14:15], v[30:31], v[2:3]
	v_fma_f64 v[16:17], v[16:17], v[30:31], v[0:1]
	ds_load_2addr_b64 v[0:3], v21 offset0:32 offset1:48
	s_waitcnt lgkmcnt(0)
	v_fma_f64 v[12:13], v[0:1], v[28:29], v[12:13]
	v_fma_f64 v[4:5], v[2:3], v[28:29], v[4:5]
	v_fma_f64 v[14:15], v[0:1], v[32:33], v[14:15]
	v_fma_f64 v[16:17], v[2:3], v[32:33], v[16:17]
	ds_load_2addr_b64 v[0:3], v21 offset0:64 offset1:80
	s_waitcnt lgkmcnt(0)
	v_fma_f64 v[12:13], v[0:1], v[34:35], v[12:13]
	v_fma_f64 v[4:5], v[2:3], v[34:35], v[4:5]
	;; [unrolled: 6-line block ×3, first 2 shown]
	v_fma_f64 v[42:43], v[0:1], v[40:41], v[14:15]
	v_fma_f64 v[16:17], v[2:3], v[40:41], v[16:17]
	ds_load_2addr_b64 v[0:3], v21 offset0:128 offset1:144
	ds_load_b128 v[12:15], v22 offset:32
	ds_load_b128 v[26:29], v22 offset:1056
	;; [unrolled: 1-line block ×4, first 2 shown]
	s_waitcnt lgkmcnt(3)
	v_fma_f64 v[38:39], v[0:1], v[12:13], v[38:39]
	v_fma_f64 v[4:5], v[2:3], v[12:13], v[4:5]
	s_waitcnt lgkmcnt(2)
	v_fma_f64 v[12:13], v[0:1], v[26:27], v[42:43]
	v_fma_f64 v[16:17], v[2:3], v[26:27], v[16:17]
	ds_load_2addr_b64 v[0:3], v21 offset0:160 offset1:176
	s_waitcnt lgkmcnt(0)
	v_fma_f64 v[26:27], v[0:1], v[14:15], v[38:39]
	v_fma_f64 v[4:5], v[2:3], v[14:15], v[4:5]
	;; [unrolled: 1-line block ×4, first 2 shown]
	ds_load_2addr_b64 v[0:3], v21 offset0:192 offset1:208
	s_waitcnt lgkmcnt(0)
	v_fma_f64 v[26:27], v[0:1], v[30:31], v[26:27]
	v_fma_f64 v[4:5], v[2:3], v[30:31], v[4:5]
	;; [unrolled: 1-line block ×4, first 2 shown]
	ds_load_2addr_b64 v[14:17], v21 offset0:224 offset1:240
	s_waitcnt lgkmcnt(0)
	s_barrier
	buffer_gl0_inv
	v_fma_f64 v[12:13], v[14:15], v[32:33], v[26:27]
	v_fma_f64 v[4:5], v[16:17], v[32:33], v[4:5]
	;; [unrolled: 1-line block ×4, first 2 shown]
	s_cbranch_scc1 .LBB148_7
.LBB148_3:                              ; =>This Inner Loop Header: Depth=1
	v_add_nc_u32_e32 v14, s14, v23
	s_delay_alu instid0(VALU_DEP_1) | instskip(SKIP_1) | instid1(VALU_DEP_2)
	v_cmp_gt_i32_e64 s3, s21, v14
	v_dual_mov_b32 v15, v7 :: v_dual_mov_b32 v14, v6
	s_and_b32 s6, vcc_lo, s3
	s_delay_alu instid0(SALU_CYCLE_1)
	s_and_saveexec_b32 s3, s6
	s_cbranch_execz .LBB148_5
; %bb.4:                                ;   in Loop: Header=BB148_3 Depth=1
	global_load_b64 v[14:15], v[8:9], off
.LBB148_5:                              ;   in Loop: Header=BB148_3 Depth=1
	s_or_b32 exec_lo, exec_lo, s3
	v_add_nc_u32_e32 v16, s14, v20
	s_waitcnt vmcnt(0)
	ds_store_b64 v24, v[14:15]
	v_cmp_gt_i32_e64 s3, s21, v16
	v_dual_mov_b32 v17, v7 :: v_dual_mov_b32 v16, v6
	s_delay_alu instid0(VALU_DEP_2) | instskip(NEXT) | instid1(SALU_CYCLE_1)
	s_and_b32 s6, s3, s2
	s_and_saveexec_b32 s3, s6
	s_cbranch_execz .LBB148_2
; %bb.6:                                ;   in Loop: Header=BB148_3 Depth=1
	global_load_b64 v[16:17], v[10:11], off
	s_branch .LBB148_2
.LBB148_7:
	s_clause 0x1
	s_load_b32 s2, s[0:1], 0x50
	s_load_b64 s[0:1], s[0:1], 0x58
	v_add_nc_u32_e32 v10, s13, v19
	v_add_nc_u32_e32 v6, s12, v18
	s_delay_alu instid0(VALU_DEP_2)
	v_cmp_gt_i32_e32 vcc_lo, s20, v10
	s_waitcnt lgkmcnt(0)
	v_mad_i64_i32 v[7:8], null, v10, s2, 0
	s_mul_i32 s1, s15, s1
	s_mul_hi_u32 s3, s15, s0
	s_mul_i32 s0, s15, s0
	s_add_i32 s1, s3, s1
	s_delay_alu instid0(SALU_CYCLE_1) | instskip(NEXT) | instid1(VALU_DEP_1)
	s_lshl_b64 s[6:7], s[0:1], 3
	v_lshlrev_b64 v[7:8], 3, v[7:8]
	s_add_u32 s3, s22, s6
	v_cmp_le_i32_e64 s0, v6, v10
	s_addc_u32 s6, s23, s7
	s_delay_alu instid0(VALU_DEP_2) | instskip(NEXT) | instid1(VALU_DEP_1)
	v_add_co_u32 v11, s1, s3, v7
	v_add_co_ci_u32_e64 v14, s1, s6, v8, s1
	s_delay_alu instid0(VALU_DEP_3) | instskip(NEXT) | instid1(SALU_CYCLE_1)
	s_and_b32 s0, vcc_lo, s0
	s_and_saveexec_b32 s1, s0
	s_cbranch_execz .LBB148_9
; %bb.8:
	v_ashrrev_i32_e32 v7, 31, v6
	s_delay_alu instid0(VALU_DEP_1) | instskip(NEXT) | instid1(VALU_DEP_1)
	v_lshlrev_b64 v[7:8], 3, v[6:7]
	v_add_co_u32 v7, s0, v11, v7
	s_delay_alu instid0(VALU_DEP_1) | instskip(SKIP_3) | instid1(VALU_DEP_1)
	v_add_co_ci_u32_e64 v8, s0, v14, v8, s0
	global_load_b64 v[15:16], v[7:8], off
	s_waitcnt vmcnt(0)
	v_mul_f64 v[15:16], v[15:16], s[10:11]
	v_fma_f64 v[12:13], v[12:13], s[4:5], v[15:16]
	global_store_b64 v[7:8], v[12:13], off
.LBB148_9:
	s_or_b32 exec_lo, exec_lo, s1
	v_add_nc_u32_e32 v8, 16, v6
	s_delay_alu instid0(VALU_DEP_1) | instskip(NEXT) | instid1(VALU_DEP_1)
	v_cmp_le_i32_e64 s0, v8, v10
	s_and_b32 s1, vcc_lo, s0
	s_delay_alu instid0(SALU_CYCLE_1)
	s_and_saveexec_b32 s0, s1
	s_cbranch_execz .LBB148_11
; %bb.10:
	v_ashrrev_i32_e32 v9, 31, v8
	s_delay_alu instid0(VALU_DEP_1) | instskip(NEXT) | instid1(VALU_DEP_1)
	v_lshlrev_b64 v[12:13], 3, v[8:9]
	v_add_co_u32 v11, vcc_lo, v11, v12
	s_delay_alu instid0(VALU_DEP_2) | instskip(SKIP_3) | instid1(VALU_DEP_1)
	v_add_co_ci_u32_e32 v12, vcc_lo, v14, v13, vcc_lo
	global_load_b64 v[13:14], v[11:12], off
	s_waitcnt vmcnt(0)
	v_mul_f64 v[13:14], v[13:14], s[10:11]
	v_fma_f64 v[4:5], v[4:5], s[4:5], v[13:14]
	global_store_b64 v[11:12], v[4:5], off
.LBB148_11:
	s_or_b32 exec_lo, exec_lo, s0
	v_add_nc_u32_e32 v9, 16, v10
	s_delay_alu instid0(VALU_DEP_1) | instskip(SKIP_2) | instid1(VALU_DEP_1)
	v_mad_i64_i32 v[4:5], null, v9, s2, 0
	v_cmp_gt_i32_e32 vcc_lo, s20, v9
	v_cmp_le_i32_e64 s0, v6, v9
	s_and_b32 s0, vcc_lo, s0
	s_delay_alu instid0(VALU_DEP_3) | instskip(NEXT) | instid1(VALU_DEP_1)
	v_lshlrev_b64 v[4:5], 3, v[4:5]
	v_add_co_u32 v4, s1, s3, v4
	s_delay_alu instid0(VALU_DEP_1)
	v_add_co_ci_u32_e64 v5, s1, s6, v5, s1
	s_and_saveexec_b32 s1, s0
	s_cbranch_execz .LBB148_13
; %bb.12:
	v_ashrrev_i32_e32 v7, 31, v6
	s_delay_alu instid0(VALU_DEP_1) | instskip(NEXT) | instid1(VALU_DEP_1)
	v_lshlrev_b64 v[6:7], 3, v[6:7]
	v_add_co_u32 v6, s0, v4, v6
	s_delay_alu instid0(VALU_DEP_1) | instskip(SKIP_3) | instid1(VALU_DEP_1)
	v_add_co_ci_u32_e64 v7, s0, v5, v7, s0
	global_load_b64 v[10:11], v[6:7], off
	s_waitcnt vmcnt(0)
	v_mul_f64 v[10:11], v[10:11], s[10:11]
	v_fma_f64 v[2:3], v[2:3], s[4:5], v[10:11]
	global_store_b64 v[6:7], v[2:3], off
.LBB148_13:
	s_or_b32 exec_lo, exec_lo, s1
	v_cmp_le_i32_e64 s0, v8, v9
	s_delay_alu instid0(VALU_DEP_1) | instskip(NEXT) | instid1(SALU_CYCLE_1)
	s_and_b32 s0, vcc_lo, s0
	s_and_saveexec_b32 s1, s0
	s_cbranch_execz .LBB148_15
; %bb.14:
	v_ashrrev_i32_e32 v9, 31, v8
	s_delay_alu instid0(VALU_DEP_1) | instskip(NEXT) | instid1(VALU_DEP_1)
	v_lshlrev_b64 v[2:3], 3, v[8:9]
	v_add_co_u32 v2, vcc_lo, v4, v2
	s_delay_alu instid0(VALU_DEP_2) | instskip(SKIP_3) | instid1(VALU_DEP_1)
	v_add_co_ci_u32_e32 v3, vcc_lo, v5, v3, vcc_lo
	global_load_b64 v[4:5], v[2:3], off
	s_waitcnt vmcnt(0)
	v_mul_f64 v[4:5], v[4:5], s[10:11]
	v_fma_f64 v[0:1], v[0:1], s[4:5], v[4:5]
	global_store_b64 v[2:3], v[0:1], off
.LBB148_15:
	s_nop 0
	s_sendmsg sendmsg(MSG_DEALLOC_VGPRS)
	s_endpgm
	.section	.rodata,"a",@progbits
	.p2align	6, 0x0
	.amdhsa_kernel _ZL34rocblas_syrkx_herkx_general_kernelIidLi16ELi32ELi8ELb0ELb0ELc84ELc85EKddEviT_T0_PT8_S1_lS4_S1_lS2_PT9_S1_li
		.amdhsa_group_segment_fixed_size 4096
		.amdhsa_private_segment_fixed_size 0
		.amdhsa_kernarg_size 100
		.amdhsa_user_sgpr_count 13
		.amdhsa_user_sgpr_dispatch_ptr 0
		.amdhsa_user_sgpr_queue_ptr 0
		.amdhsa_user_sgpr_kernarg_segment_ptr 1
		.amdhsa_user_sgpr_dispatch_id 0
		.amdhsa_user_sgpr_private_segment_size 0
		.amdhsa_wavefront_size32 1
		.amdhsa_uses_dynamic_stack 0
		.amdhsa_enable_private_segment 0
		.amdhsa_system_sgpr_workgroup_id_x 1
		.amdhsa_system_sgpr_workgroup_id_y 1
		.amdhsa_system_sgpr_workgroup_id_z 1
		.amdhsa_system_sgpr_workgroup_info 0
		.amdhsa_system_vgpr_workitem_id 1
		.amdhsa_next_free_vgpr 44
		.amdhsa_next_free_sgpr 25
		.amdhsa_reserve_vcc 1
		.amdhsa_float_round_mode_32 0
		.amdhsa_float_round_mode_16_64 0
		.amdhsa_float_denorm_mode_32 3
		.amdhsa_float_denorm_mode_16_64 3
		.amdhsa_dx10_clamp 1
		.amdhsa_ieee_mode 1
		.amdhsa_fp16_overflow 0
		.amdhsa_workgroup_processor_mode 1
		.amdhsa_memory_ordered 1
		.amdhsa_forward_progress 0
		.amdhsa_shared_vgpr_count 0
		.amdhsa_exception_fp_ieee_invalid_op 0
		.amdhsa_exception_fp_denorm_src 0
		.amdhsa_exception_fp_ieee_div_zero 0
		.amdhsa_exception_fp_ieee_overflow 0
		.amdhsa_exception_fp_ieee_underflow 0
		.amdhsa_exception_fp_ieee_inexact 0
		.amdhsa_exception_int_div_zero 0
	.end_amdhsa_kernel
	.section	.text._ZL34rocblas_syrkx_herkx_general_kernelIidLi16ELi32ELi8ELb0ELb0ELc84ELc85EKddEviT_T0_PT8_S1_lS4_S1_lS2_PT9_S1_li,"axG",@progbits,_ZL34rocblas_syrkx_herkx_general_kernelIidLi16ELi32ELi8ELb0ELb0ELc84ELc85EKddEviT_T0_PT8_S1_lS4_S1_lS2_PT9_S1_li,comdat
.Lfunc_end148:
	.size	_ZL34rocblas_syrkx_herkx_general_kernelIidLi16ELi32ELi8ELb0ELb0ELc84ELc85EKddEviT_T0_PT8_S1_lS4_S1_lS2_PT9_S1_li, .Lfunc_end148-_ZL34rocblas_syrkx_herkx_general_kernelIidLi16ELi32ELi8ELb0ELb0ELc84ELc85EKddEviT_T0_PT8_S1_lS4_S1_lS2_PT9_S1_li
                                        ; -- End function
	.section	.AMDGPU.csdata,"",@progbits
; Kernel info:
; codeLenInByte = 1684
; NumSgprs: 27
; NumVgprs: 44
; ScratchSize: 0
; MemoryBound: 0
; FloatMode: 240
; IeeeMode: 1
; LDSByteSize: 4096 bytes/workgroup (compile time only)
; SGPRBlocks: 3
; VGPRBlocks: 5
; NumSGPRsForWavesPerEU: 27
; NumVGPRsForWavesPerEU: 44
; Occupancy: 16
; WaveLimiterHint : 0
; COMPUTE_PGM_RSRC2:SCRATCH_EN: 0
; COMPUTE_PGM_RSRC2:USER_SGPR: 13
; COMPUTE_PGM_RSRC2:TRAP_HANDLER: 0
; COMPUTE_PGM_RSRC2:TGID_X_EN: 1
; COMPUTE_PGM_RSRC2:TGID_Y_EN: 1
; COMPUTE_PGM_RSRC2:TGID_Z_EN: 1
; COMPUTE_PGM_RSRC2:TIDIG_COMP_CNT: 1
	.section	.text._ZL34rocblas_syrkx_herkx_general_kernelIidLi16ELi32ELi8ELb0ELb0ELc67ELc85EKddEviT_T0_PT8_S1_lS4_S1_lS2_PT9_S1_li,"axG",@progbits,_ZL34rocblas_syrkx_herkx_general_kernelIidLi16ELi32ELi8ELb0ELb0ELc67ELc85EKddEviT_T0_PT8_S1_lS4_S1_lS2_PT9_S1_li,comdat
	.globl	_ZL34rocblas_syrkx_herkx_general_kernelIidLi16ELi32ELi8ELb0ELb0ELc67ELc85EKddEviT_T0_PT8_S1_lS4_S1_lS2_PT9_S1_li ; -- Begin function _ZL34rocblas_syrkx_herkx_general_kernelIidLi16ELi32ELi8ELb0ELb0ELc67ELc85EKddEviT_T0_PT8_S1_lS4_S1_lS2_PT9_S1_li
	.p2align	8
	.type	_ZL34rocblas_syrkx_herkx_general_kernelIidLi16ELi32ELi8ELb0ELb0ELc67ELc85EKddEviT_T0_PT8_S1_lS4_S1_lS2_PT9_S1_li,@function
_ZL34rocblas_syrkx_herkx_general_kernelIidLi16ELi32ELi8ELb0ELb0ELc67ELc85EKddEviT_T0_PT8_S1_lS4_S1_lS2_PT9_S1_li: ; @_ZL34rocblas_syrkx_herkx_general_kernelIidLi16ELi32ELi8ELb0ELb0ELc67ELc85EKddEviT_T0_PT8_S1_lS4_S1_lS2_PT9_S1_li
; %bb.0:
	s_clause 0x3
	s_load_b64 s[20:21], s[0:1], 0x0
	s_load_b128 s[4:7], s[0:1], 0x8
	s_load_b128 s[8:11], s[0:1], 0x38
	s_load_b64 s[22:23], s[0:1], 0x48
	v_mov_b32_e32 v12, 0
	v_dual_mov_b32 v13, 0 :: v_dual_and_b32 v18, 0x3ff, v0
	v_bfe_u32 v19, v0, 10, 10
	s_delay_alu instid0(VALU_DEP_3) | instskip(NEXT) | instid1(VALU_DEP_3)
	v_mov_b32_e32 v4, v12
	v_dual_mov_b32 v2, v12 :: v_dual_mov_b32 v3, v13
	v_dual_mov_b32 v5, v13 :: v_dual_mov_b32 v0, v12
	v_mov_b32_e32 v1, v13
	s_lshl_b32 s12, s13, 5
	s_lshl_b32 s13, s14, 5
	s_mov_b32 s14, 0
	s_waitcnt lgkmcnt(0)
	s_cmp_lt_i32 s21, 1
	s_cbranch_scc1 .LBB149_7
; %bb.1:
	s_load_b32 s2, s[0:1], 0x18
	v_lshl_add_u32 v0, v19, 4, v18
	s_clause 0x1
	s_load_b128 s[16:19], s[0:1], 0x20
	s_load_b32 s3, s[0:1], 0x30
	v_and_b32_e32 v20, 7, v18
	s_mul_i32 s9, s9, s15
	v_lshlrev_b32_e32 v21, 3, v18
	v_and_b32_e32 v1, 31, v0
	v_lshrrev_b32_e32 v2, 3, v0
	v_lshrrev_b32_e32 v23, 5, v0
	v_lshlrev_b32_e32 v4, 3, v20
	v_lshl_add_u32 v22, v19, 6, 0x800
	v_add_nc_u32_e32 v3, s12, v1
	v_or_b32_e32 v6, s12, v1
	v_lshlrev_b32_e32 v7, 3, v1
	v_add_nc_u32_e32 v5, s13, v2
	v_lshl_or_b32 v8, v2, 6, v4
	s_delay_alu instid0(VALU_DEP_4) | instskip(NEXT) | instid1(VALU_DEP_4)
	v_cmp_gt_i32_e32 vcc_lo, s20, v6
	v_lshl_or_b32 v24, v23, 8, v7
	s_waitcnt lgkmcnt(0)
	v_mad_i64_i32 v[0:1], null, s2, v3, 0
	s_mul_i32 s17, s17, s15
	s_mul_hi_u32 s24, s16, s15
	v_mad_i64_i32 v[2:3], null, s3, v5, 0
	s_mul_i32 s16, s16, s15
	s_add_i32 s17, s24, s17
	s_delay_alu instid0(VALU_DEP_2) | instskip(SKIP_2) | instid1(VALU_DEP_2)
	v_lshlrev_b64 v[0:1], 3, v[0:1]
	s_lshl_b64 s[16:17], s[16:17], 3
	v_cmp_gt_i32_e64 s2, s20, v5
	v_add_co_u32 v5, s3, v0, s16
	s_delay_alu instid0(VALU_DEP_1)
	v_add_co_ci_u32_e64 v6, s3, s17, v1, s3
	s_mul_hi_u32 s3, s8, s15
	v_lshlrev_b64 v[0:1], 3, v[2:3]
	s_add_i32 s9, s3, s9
	s_mul_i32 s8, s8, s15
	v_lshlrev_b32_e32 v2, 3, v23
	s_lshl_b64 s[8:9], s[8:9], 3
	s_delay_alu instid0(VALU_DEP_2) | instid1(SALU_CYCLE_1)
	v_add_co_u32 v0, s3, v0, s8
	s_delay_alu instid0(VALU_DEP_1) | instskip(NEXT) | instid1(VALU_DEP_3)
	v_add_co_ci_u32_e64 v1, s3, s9, v1, s3
	v_add_co_u32 v2, s3, v5, v2
	s_delay_alu instid0(VALU_DEP_1) | instskip(NEXT) | instid1(VALU_DEP_4)
	v_add_co_ci_u32_e64 v3, s3, 0, v6, s3
	v_add_co_u32 v0, s3, v0, v4
	s_delay_alu instid0(VALU_DEP_1) | instskip(SKIP_2) | instid1(VALU_DEP_2)
	v_add_co_ci_u32_e64 v1, s3, 0, v1, s3
	v_mov_b32_e32 v6, 0
	v_mov_b32_e32 v7, 0
	v_dual_mov_b32 v4, v6 :: v_dual_add_nc_u32 v25, 0x800, v8
	v_add_co_u32 v8, s3, s6, v2
	s_delay_alu instid0(VALU_DEP_1) | instskip(SKIP_1) | instid1(VALU_DEP_1)
	v_add_co_ci_u32_e64 v9, s3, s7, v3, s3
	v_add_co_u32 v10, s3, s18, v0
	v_add_co_ci_u32_e64 v11, s3, s19, v1, s3
	v_mov_b32_e32 v0, v6
	v_dual_mov_b32 v2, v6 :: v_dual_mov_b32 v13, v7
	v_mov_b32_e32 v1, v7
	v_mov_b32_e32 v3, v7
	v_dual_mov_b32 v5, v7 :: v_dual_mov_b32 v12, v6
	s_branch .LBB149_3
.LBB149_2:                              ;   in Loop: Header=BB149_3 Depth=1
	s_or_b32 exec_lo, exec_lo, s3
	s_waitcnt vmcnt(0)
	ds_store_b64 v25, v[16:17]
	s_waitcnt lgkmcnt(0)
	s_barrier
	buffer_gl0_inv
	ds_load_2addr_b64 v[14:17], v21 offset1:16
	ds_load_b128 v[26:29], v22
	ds_load_b128 v[30:33], v22 offset:1024
	ds_load_b128 v[34:37], v22 offset:16
	;; [unrolled: 1-line block ×3, first 2 shown]
	v_add_co_u32 v8, s3, v8, 64
	s_delay_alu instid0(VALU_DEP_1) | instskip(SKIP_1) | instid1(VALU_DEP_1)
	v_add_co_ci_u32_e64 v9, s3, 0, v9, s3
	v_add_co_u32 v10, s3, v10, 64
	v_add_co_ci_u32_e64 v11, s3, 0, v11, s3
	s_add_i32 s14, s14, 8
	s_delay_alu instid0(SALU_CYCLE_1)
	s_cmp_ge_i32 s14, s21
	s_waitcnt lgkmcnt(3)
	v_fma_f64 v[12:13], v[14:15], v[26:27], v[12:13]
	v_fma_f64 v[4:5], v[16:17], v[26:27], v[4:5]
	s_waitcnt lgkmcnt(2)
	v_fma_f64 v[14:15], v[14:15], v[30:31], v[2:3]
	v_fma_f64 v[16:17], v[16:17], v[30:31], v[0:1]
	ds_load_2addr_b64 v[0:3], v21 offset0:32 offset1:48
	s_waitcnt lgkmcnt(0)
	v_fma_f64 v[12:13], v[0:1], v[28:29], v[12:13]
	v_fma_f64 v[4:5], v[2:3], v[28:29], v[4:5]
	v_fma_f64 v[14:15], v[0:1], v[32:33], v[14:15]
	v_fma_f64 v[16:17], v[2:3], v[32:33], v[16:17]
	ds_load_2addr_b64 v[0:3], v21 offset0:64 offset1:80
	s_waitcnt lgkmcnt(0)
	v_fma_f64 v[12:13], v[0:1], v[34:35], v[12:13]
	v_fma_f64 v[4:5], v[2:3], v[34:35], v[4:5]
	;; [unrolled: 6-line block ×3, first 2 shown]
	v_fma_f64 v[42:43], v[0:1], v[40:41], v[14:15]
	v_fma_f64 v[16:17], v[2:3], v[40:41], v[16:17]
	ds_load_2addr_b64 v[0:3], v21 offset0:128 offset1:144
	ds_load_b128 v[12:15], v22 offset:32
	ds_load_b128 v[26:29], v22 offset:1056
	;; [unrolled: 1-line block ×4, first 2 shown]
	s_waitcnt lgkmcnt(3)
	v_fma_f64 v[38:39], v[0:1], v[12:13], v[38:39]
	v_fma_f64 v[4:5], v[2:3], v[12:13], v[4:5]
	s_waitcnt lgkmcnt(2)
	v_fma_f64 v[12:13], v[0:1], v[26:27], v[42:43]
	v_fma_f64 v[16:17], v[2:3], v[26:27], v[16:17]
	ds_load_2addr_b64 v[0:3], v21 offset0:160 offset1:176
	s_waitcnt lgkmcnt(0)
	v_fma_f64 v[26:27], v[0:1], v[14:15], v[38:39]
	v_fma_f64 v[4:5], v[2:3], v[14:15], v[4:5]
	;; [unrolled: 1-line block ×4, first 2 shown]
	ds_load_2addr_b64 v[0:3], v21 offset0:192 offset1:208
	s_waitcnt lgkmcnt(0)
	v_fma_f64 v[26:27], v[0:1], v[30:31], v[26:27]
	v_fma_f64 v[4:5], v[2:3], v[30:31], v[4:5]
	v_fma_f64 v[0:1], v[0:1], v[34:35], v[12:13]
	v_fma_f64 v[28:29], v[2:3], v[34:35], v[14:15]
	ds_load_2addr_b64 v[14:17], v21 offset0:224 offset1:240
	s_waitcnt lgkmcnt(0)
	s_barrier
	buffer_gl0_inv
	v_fma_f64 v[12:13], v[14:15], v[32:33], v[26:27]
	v_fma_f64 v[4:5], v[16:17], v[32:33], v[4:5]
	;; [unrolled: 1-line block ×4, first 2 shown]
	s_cbranch_scc1 .LBB149_7
.LBB149_3:                              ; =>This Inner Loop Header: Depth=1
	v_add_nc_u32_e32 v14, s14, v23
	s_delay_alu instid0(VALU_DEP_1) | instskip(SKIP_1) | instid1(VALU_DEP_2)
	v_cmp_gt_i32_e64 s3, s21, v14
	v_dual_mov_b32 v15, v7 :: v_dual_mov_b32 v14, v6
	s_and_b32 s6, vcc_lo, s3
	s_delay_alu instid0(SALU_CYCLE_1)
	s_and_saveexec_b32 s3, s6
	s_cbranch_execz .LBB149_5
; %bb.4:                                ;   in Loop: Header=BB149_3 Depth=1
	global_load_b64 v[14:15], v[8:9], off
.LBB149_5:                              ;   in Loop: Header=BB149_3 Depth=1
	s_or_b32 exec_lo, exec_lo, s3
	v_add_nc_u32_e32 v16, s14, v20
	s_waitcnt vmcnt(0)
	ds_store_b64 v24, v[14:15]
	v_cmp_gt_i32_e64 s3, s21, v16
	v_dual_mov_b32 v17, v7 :: v_dual_mov_b32 v16, v6
	s_delay_alu instid0(VALU_DEP_2) | instskip(NEXT) | instid1(SALU_CYCLE_1)
	s_and_b32 s6, s3, s2
	s_and_saveexec_b32 s3, s6
	s_cbranch_execz .LBB149_2
; %bb.6:                                ;   in Loop: Header=BB149_3 Depth=1
	global_load_b64 v[16:17], v[10:11], off
	s_branch .LBB149_2
.LBB149_7:
	s_clause 0x1
	s_load_b32 s2, s[0:1], 0x50
	s_load_b64 s[0:1], s[0:1], 0x58
	v_add_nc_u32_e32 v10, s13, v19
	v_add_nc_u32_e32 v6, s12, v18
	s_delay_alu instid0(VALU_DEP_2)
	v_cmp_gt_i32_e32 vcc_lo, s20, v10
	s_waitcnt lgkmcnt(0)
	v_mad_i64_i32 v[7:8], null, v10, s2, 0
	s_mul_i32 s1, s15, s1
	s_mul_hi_u32 s3, s15, s0
	s_mul_i32 s0, s15, s0
	s_add_i32 s1, s3, s1
	s_delay_alu instid0(SALU_CYCLE_1) | instskip(NEXT) | instid1(VALU_DEP_1)
	s_lshl_b64 s[6:7], s[0:1], 3
	v_lshlrev_b64 v[7:8], 3, v[7:8]
	s_add_u32 s3, s22, s6
	v_cmp_le_i32_e64 s0, v6, v10
	s_addc_u32 s6, s23, s7
	s_delay_alu instid0(VALU_DEP_2) | instskip(NEXT) | instid1(VALU_DEP_1)
	v_add_co_u32 v11, s1, s3, v7
	v_add_co_ci_u32_e64 v14, s1, s6, v8, s1
	s_delay_alu instid0(VALU_DEP_3) | instskip(NEXT) | instid1(SALU_CYCLE_1)
	s_and_b32 s0, vcc_lo, s0
	s_and_saveexec_b32 s1, s0
	s_cbranch_execz .LBB149_9
; %bb.8:
	v_ashrrev_i32_e32 v7, 31, v6
	s_delay_alu instid0(VALU_DEP_1) | instskip(NEXT) | instid1(VALU_DEP_1)
	v_lshlrev_b64 v[7:8], 3, v[6:7]
	v_add_co_u32 v7, s0, v11, v7
	s_delay_alu instid0(VALU_DEP_1) | instskip(SKIP_3) | instid1(VALU_DEP_1)
	v_add_co_ci_u32_e64 v8, s0, v14, v8, s0
	global_load_b64 v[15:16], v[7:8], off
	s_waitcnt vmcnt(0)
	v_mul_f64 v[15:16], v[15:16], s[10:11]
	v_fma_f64 v[12:13], v[12:13], s[4:5], v[15:16]
	global_store_b64 v[7:8], v[12:13], off
.LBB149_9:
	s_or_b32 exec_lo, exec_lo, s1
	v_add_nc_u32_e32 v8, 16, v6
	s_delay_alu instid0(VALU_DEP_1) | instskip(NEXT) | instid1(VALU_DEP_1)
	v_cmp_le_i32_e64 s0, v8, v10
	s_and_b32 s1, vcc_lo, s0
	s_delay_alu instid0(SALU_CYCLE_1)
	s_and_saveexec_b32 s0, s1
	s_cbranch_execz .LBB149_11
; %bb.10:
	v_ashrrev_i32_e32 v9, 31, v8
	s_delay_alu instid0(VALU_DEP_1) | instskip(NEXT) | instid1(VALU_DEP_1)
	v_lshlrev_b64 v[12:13], 3, v[8:9]
	v_add_co_u32 v11, vcc_lo, v11, v12
	s_delay_alu instid0(VALU_DEP_2) | instskip(SKIP_3) | instid1(VALU_DEP_1)
	v_add_co_ci_u32_e32 v12, vcc_lo, v14, v13, vcc_lo
	global_load_b64 v[13:14], v[11:12], off
	s_waitcnt vmcnt(0)
	v_mul_f64 v[13:14], v[13:14], s[10:11]
	v_fma_f64 v[4:5], v[4:5], s[4:5], v[13:14]
	global_store_b64 v[11:12], v[4:5], off
.LBB149_11:
	s_or_b32 exec_lo, exec_lo, s0
	v_add_nc_u32_e32 v9, 16, v10
	s_delay_alu instid0(VALU_DEP_1) | instskip(SKIP_2) | instid1(VALU_DEP_1)
	v_mad_i64_i32 v[4:5], null, v9, s2, 0
	v_cmp_gt_i32_e32 vcc_lo, s20, v9
	v_cmp_le_i32_e64 s0, v6, v9
	s_and_b32 s0, vcc_lo, s0
	s_delay_alu instid0(VALU_DEP_3) | instskip(NEXT) | instid1(VALU_DEP_1)
	v_lshlrev_b64 v[4:5], 3, v[4:5]
	v_add_co_u32 v4, s1, s3, v4
	s_delay_alu instid0(VALU_DEP_1)
	v_add_co_ci_u32_e64 v5, s1, s6, v5, s1
	s_and_saveexec_b32 s1, s0
	s_cbranch_execz .LBB149_13
; %bb.12:
	v_ashrrev_i32_e32 v7, 31, v6
	s_delay_alu instid0(VALU_DEP_1) | instskip(NEXT) | instid1(VALU_DEP_1)
	v_lshlrev_b64 v[6:7], 3, v[6:7]
	v_add_co_u32 v6, s0, v4, v6
	s_delay_alu instid0(VALU_DEP_1) | instskip(SKIP_3) | instid1(VALU_DEP_1)
	v_add_co_ci_u32_e64 v7, s0, v5, v7, s0
	global_load_b64 v[10:11], v[6:7], off
	s_waitcnt vmcnt(0)
	v_mul_f64 v[10:11], v[10:11], s[10:11]
	v_fma_f64 v[2:3], v[2:3], s[4:5], v[10:11]
	global_store_b64 v[6:7], v[2:3], off
.LBB149_13:
	s_or_b32 exec_lo, exec_lo, s1
	v_cmp_le_i32_e64 s0, v8, v9
	s_delay_alu instid0(VALU_DEP_1) | instskip(NEXT) | instid1(SALU_CYCLE_1)
	s_and_b32 s0, vcc_lo, s0
	s_and_saveexec_b32 s1, s0
	s_cbranch_execz .LBB149_15
; %bb.14:
	v_ashrrev_i32_e32 v9, 31, v8
	s_delay_alu instid0(VALU_DEP_1) | instskip(NEXT) | instid1(VALU_DEP_1)
	v_lshlrev_b64 v[2:3], 3, v[8:9]
	v_add_co_u32 v2, vcc_lo, v4, v2
	s_delay_alu instid0(VALU_DEP_2) | instskip(SKIP_3) | instid1(VALU_DEP_1)
	v_add_co_ci_u32_e32 v3, vcc_lo, v5, v3, vcc_lo
	global_load_b64 v[4:5], v[2:3], off
	s_waitcnt vmcnt(0)
	v_mul_f64 v[4:5], v[4:5], s[10:11]
	v_fma_f64 v[0:1], v[0:1], s[4:5], v[4:5]
	global_store_b64 v[2:3], v[0:1], off
.LBB149_15:
	s_nop 0
	s_sendmsg sendmsg(MSG_DEALLOC_VGPRS)
	s_endpgm
	.section	.rodata,"a",@progbits
	.p2align	6, 0x0
	.amdhsa_kernel _ZL34rocblas_syrkx_herkx_general_kernelIidLi16ELi32ELi8ELb0ELb0ELc67ELc85EKddEviT_T0_PT8_S1_lS4_S1_lS2_PT9_S1_li
		.amdhsa_group_segment_fixed_size 4096
		.amdhsa_private_segment_fixed_size 0
		.amdhsa_kernarg_size 100
		.amdhsa_user_sgpr_count 13
		.amdhsa_user_sgpr_dispatch_ptr 0
		.amdhsa_user_sgpr_queue_ptr 0
		.amdhsa_user_sgpr_kernarg_segment_ptr 1
		.amdhsa_user_sgpr_dispatch_id 0
		.amdhsa_user_sgpr_private_segment_size 0
		.amdhsa_wavefront_size32 1
		.amdhsa_uses_dynamic_stack 0
		.amdhsa_enable_private_segment 0
		.amdhsa_system_sgpr_workgroup_id_x 1
		.amdhsa_system_sgpr_workgroup_id_y 1
		.amdhsa_system_sgpr_workgroup_id_z 1
		.amdhsa_system_sgpr_workgroup_info 0
		.amdhsa_system_vgpr_workitem_id 1
		.amdhsa_next_free_vgpr 44
		.amdhsa_next_free_sgpr 25
		.amdhsa_reserve_vcc 1
		.amdhsa_float_round_mode_32 0
		.amdhsa_float_round_mode_16_64 0
		.amdhsa_float_denorm_mode_32 3
		.amdhsa_float_denorm_mode_16_64 3
		.amdhsa_dx10_clamp 1
		.amdhsa_ieee_mode 1
		.amdhsa_fp16_overflow 0
		.amdhsa_workgroup_processor_mode 1
		.amdhsa_memory_ordered 1
		.amdhsa_forward_progress 0
		.amdhsa_shared_vgpr_count 0
		.amdhsa_exception_fp_ieee_invalid_op 0
		.amdhsa_exception_fp_denorm_src 0
		.amdhsa_exception_fp_ieee_div_zero 0
		.amdhsa_exception_fp_ieee_overflow 0
		.amdhsa_exception_fp_ieee_underflow 0
		.amdhsa_exception_fp_ieee_inexact 0
		.amdhsa_exception_int_div_zero 0
	.end_amdhsa_kernel
	.section	.text._ZL34rocblas_syrkx_herkx_general_kernelIidLi16ELi32ELi8ELb0ELb0ELc67ELc85EKddEviT_T0_PT8_S1_lS4_S1_lS2_PT9_S1_li,"axG",@progbits,_ZL34rocblas_syrkx_herkx_general_kernelIidLi16ELi32ELi8ELb0ELb0ELc67ELc85EKddEviT_T0_PT8_S1_lS4_S1_lS2_PT9_S1_li,comdat
.Lfunc_end149:
	.size	_ZL34rocblas_syrkx_herkx_general_kernelIidLi16ELi32ELi8ELb0ELb0ELc67ELc85EKddEviT_T0_PT8_S1_lS4_S1_lS2_PT9_S1_li, .Lfunc_end149-_ZL34rocblas_syrkx_herkx_general_kernelIidLi16ELi32ELi8ELb0ELb0ELc67ELc85EKddEviT_T0_PT8_S1_lS4_S1_lS2_PT9_S1_li
                                        ; -- End function
	.section	.AMDGPU.csdata,"",@progbits
; Kernel info:
; codeLenInByte = 1684
; NumSgprs: 27
; NumVgprs: 44
; ScratchSize: 0
; MemoryBound: 0
; FloatMode: 240
; IeeeMode: 1
; LDSByteSize: 4096 bytes/workgroup (compile time only)
; SGPRBlocks: 3
; VGPRBlocks: 5
; NumSGPRsForWavesPerEU: 27
; NumVGPRsForWavesPerEU: 44
; Occupancy: 16
; WaveLimiterHint : 0
; COMPUTE_PGM_RSRC2:SCRATCH_EN: 0
; COMPUTE_PGM_RSRC2:USER_SGPR: 13
; COMPUTE_PGM_RSRC2:TRAP_HANDLER: 0
; COMPUTE_PGM_RSRC2:TGID_X_EN: 1
; COMPUTE_PGM_RSRC2:TGID_Y_EN: 1
; COMPUTE_PGM_RSRC2:TGID_Z_EN: 1
; COMPUTE_PGM_RSRC2:TIDIG_COMP_CNT: 1
	.section	.text._ZL34rocblas_syrkx_herkx_general_kernelIidLi16ELi32ELi8ELb0ELb0ELc78ELc85EKddEviT_T0_PT8_S1_lS4_S1_lS2_PT9_S1_li,"axG",@progbits,_ZL34rocblas_syrkx_herkx_general_kernelIidLi16ELi32ELi8ELb0ELb0ELc78ELc85EKddEviT_T0_PT8_S1_lS4_S1_lS2_PT9_S1_li,comdat
	.globl	_ZL34rocblas_syrkx_herkx_general_kernelIidLi16ELi32ELi8ELb0ELb0ELc78ELc85EKddEviT_T0_PT8_S1_lS4_S1_lS2_PT9_S1_li ; -- Begin function _ZL34rocblas_syrkx_herkx_general_kernelIidLi16ELi32ELi8ELb0ELb0ELc78ELc85EKddEviT_T0_PT8_S1_lS4_S1_lS2_PT9_S1_li
	.p2align	8
	.type	_ZL34rocblas_syrkx_herkx_general_kernelIidLi16ELi32ELi8ELb0ELb0ELc78ELc85EKddEviT_T0_PT8_S1_lS4_S1_lS2_PT9_S1_li,@function
_ZL34rocblas_syrkx_herkx_general_kernelIidLi16ELi32ELi8ELb0ELb0ELc78ELc85EKddEviT_T0_PT8_S1_lS4_S1_lS2_PT9_S1_li: ; @_ZL34rocblas_syrkx_herkx_general_kernelIidLi16ELi32ELi8ELb0ELb0ELc78ELc85EKddEviT_T0_PT8_S1_lS4_S1_lS2_PT9_S1_li
; %bb.0:
	s_clause 0x3
	s_load_b64 s[20:21], s[0:1], 0x0
	s_load_b128 s[4:7], s[0:1], 0x8
	s_load_b128 s[8:11], s[0:1], 0x38
	s_load_b64 s[22:23], s[0:1], 0x48
	v_mov_b32_e32 v12, 0
	v_dual_mov_b32 v13, 0 :: v_dual_and_b32 v18, 0x3ff, v0
	v_bfe_u32 v19, v0, 10, 10
	s_delay_alu instid0(VALU_DEP_3) | instskip(NEXT) | instid1(VALU_DEP_3)
	v_mov_b32_e32 v4, v12
	v_dual_mov_b32 v2, v12 :: v_dual_mov_b32 v3, v13
	v_dual_mov_b32 v5, v13 :: v_dual_mov_b32 v0, v12
	v_mov_b32_e32 v1, v13
	s_lshl_b32 s26, s13, 5
	s_lshl_b32 s14, s14, 5
	s_mov_b32 s27, 0
	s_waitcnt lgkmcnt(0)
	s_cmp_lt_i32 s21, 1
	s_cbranch_scc1 .LBB150_7
; %bb.1:
	s_load_b32 s12, s[0:1], 0x18
	v_lshl_add_u32 v0, v19, 4, v18
	s_clause 0x1
	s_load_b128 s[16:19], s[0:1], 0x20
	s_load_b32 s24, s[0:1], 0x30
	v_and_b32_e32 v20, 7, v18
	v_lshlrev_b32_e32 v21, 3, v18
	v_lshl_add_u32 v22, v19, 6, 0x800
	v_and_b32_e32 v1, 31, v0
	v_lshrrev_b32_e32 v2, 3, v0
	v_lshlrev_b32_e32 v3, 3, v20
	v_lshrrev_b32_e32 v23, 5, v0
	s_delay_alu instid0(VALU_DEP_4) | instskip(SKIP_1) | instid1(VALU_DEP_4)
	v_or_b32_e32 v4, s26, v1
	v_lshlrev_b32_e32 v5, 3, v1
	v_lshl_or_b32 v6, v2, 6, v3
	v_add_nc_u32_e32 v0, s14, v2
	v_add_nc_u32_e32 v2, s26, v1
	v_cmp_gt_i32_e32 vcc_lo, s20, v4
	v_lshl_or_b32 v24, v23, 8, v5
	v_add_nc_u32_e32 v25, 0x800, v6
	v_ashrrev_i32_e32 v1, 31, v0
	s_waitcnt lgkmcnt(0)
	v_mad_i64_i32 v[3:4], null, v23, s12, 0
	s_mul_i32 s3, s17, s15
	s_mul_hi_u32 s17, s16, s15
	v_mad_i64_i32 v[5:6], null, s24, v20, 0
	s_mul_i32 s16, s16, s15
	s_add_i32 s17, s17, s3
	s_delay_alu instid0(VALU_DEP_2)
	v_lshlrev_b64 v[3:4], 3, v[3:4]
	s_lshl_b64 s[16:17], s[16:17], 3
	v_cmp_gt_i32_e64 s2, s20, v0
	v_lshlrev_b64 v[0:1], 3, v[0:1]
	s_ashr_i32 s13, s12, 31
	s_ashr_i32 s25, s24, 31
	v_add_co_u32 v7, s3, v3, s16
	v_ashrrev_i32_e32 v3, 31, v2
	v_add_co_ci_u32_e64 v8, s3, s17, v4, s3
	s_mul_i32 s3, s9, s15
	s_mul_hi_u32 s9, s8, s15
	v_lshlrev_b64 v[4:5], 3, v[5:6]
	s_add_i32 s9, s9, s3
	s_mul_i32 s8, s8, s15
	v_lshlrev_b64 v[2:3], 3, v[2:3]
	s_lshl_b64 s[8:9], s[8:9], 3
	s_delay_alu instid0(VALU_DEP_2) | instid1(SALU_CYCLE_1)
	v_add_co_u32 v4, s3, s8, v4
	s_delay_alu instid0(VALU_DEP_1) | instskip(NEXT) | instid1(VALU_DEP_3)
	v_add_co_ci_u32_e64 v5, s3, s9, v5, s3
	v_add_co_u32 v2, s3, v7, v2
	s_delay_alu instid0(VALU_DEP_1) | instskip(NEXT) | instid1(VALU_DEP_4)
	v_add_co_ci_u32_e64 v3, s3, v8, v3, s3
	v_add_co_u32 v0, s3, v4, v0
	s_delay_alu instid0(VALU_DEP_1) | instskip(SKIP_2) | instid1(VALU_DEP_2)
	v_add_co_ci_u32_e64 v1, s3, v5, v1, s3
	v_mov_b32_e32 v6, 0
	v_mov_b32_e32 v7, 0
	;; [unrolled: 1-line block ×3, first 2 shown]
	v_add_co_u32 v8, s3, s6, v2
	s_delay_alu instid0(VALU_DEP_1) | instskip(SKIP_1) | instid1(VALU_DEP_1)
	v_add_co_ci_u32_e64 v9, s3, s7, v3, s3
	v_add_co_u32 v10, s3, s18, v0
	v_add_co_ci_u32_e64 v11, s3, s19, v1, s3
	v_mov_b32_e32 v0, v6
	v_dual_mov_b32 v2, v6 :: v_dual_mov_b32 v13, v7
	v_mov_b32_e32 v1, v7
	v_mov_b32_e32 v3, v7
	v_dual_mov_b32 v5, v7 :: v_dual_mov_b32 v12, v6
	s_lshl_b64 s[6:7], s[12:13], 6
	s_lshl_b64 s[8:9], s[24:25], 6
	s_branch .LBB150_3
.LBB150_2:                              ;   in Loop: Header=BB150_3 Depth=1
	s_or_b32 exec_lo, exec_lo, s3
	s_waitcnt vmcnt(0)
	ds_store_b64 v25, v[16:17]
	s_waitcnt lgkmcnt(0)
	s_barrier
	buffer_gl0_inv
	ds_load_2addr_b64 v[14:17], v21 offset1:16
	ds_load_b128 v[26:29], v22
	ds_load_b128 v[30:33], v22 offset:1024
	ds_load_b128 v[34:37], v22 offset:16
	;; [unrolled: 1-line block ×3, first 2 shown]
	v_add_co_u32 v8, s3, v8, s6
	s_delay_alu instid0(VALU_DEP_1) | instskip(SKIP_1) | instid1(VALU_DEP_1)
	v_add_co_ci_u32_e64 v9, s3, s7, v9, s3
	v_add_co_u32 v10, s3, v10, s8
	v_add_co_ci_u32_e64 v11, s3, s9, v11, s3
	s_add_i32 s27, s27, 8
	s_delay_alu instid0(SALU_CYCLE_1)
	s_cmp_ge_i32 s27, s21
	s_waitcnt lgkmcnt(3)
	v_fma_f64 v[12:13], v[14:15], v[26:27], v[12:13]
	v_fma_f64 v[4:5], v[16:17], v[26:27], v[4:5]
	s_waitcnt lgkmcnt(2)
	v_fma_f64 v[14:15], v[14:15], v[30:31], v[2:3]
	v_fma_f64 v[16:17], v[16:17], v[30:31], v[0:1]
	ds_load_2addr_b64 v[0:3], v21 offset0:32 offset1:48
	s_waitcnt lgkmcnt(0)
	v_fma_f64 v[12:13], v[0:1], v[28:29], v[12:13]
	v_fma_f64 v[4:5], v[2:3], v[28:29], v[4:5]
	v_fma_f64 v[14:15], v[0:1], v[32:33], v[14:15]
	v_fma_f64 v[16:17], v[2:3], v[32:33], v[16:17]
	ds_load_2addr_b64 v[0:3], v21 offset0:64 offset1:80
	s_waitcnt lgkmcnt(0)
	v_fma_f64 v[12:13], v[0:1], v[34:35], v[12:13]
	v_fma_f64 v[4:5], v[2:3], v[34:35], v[4:5]
	;; [unrolled: 6-line block ×3, first 2 shown]
	v_fma_f64 v[42:43], v[0:1], v[40:41], v[14:15]
	v_fma_f64 v[16:17], v[2:3], v[40:41], v[16:17]
	ds_load_2addr_b64 v[0:3], v21 offset0:128 offset1:144
	ds_load_b128 v[12:15], v22 offset:32
	ds_load_b128 v[26:29], v22 offset:1056
	;; [unrolled: 1-line block ×4, first 2 shown]
	s_waitcnt lgkmcnt(3)
	v_fma_f64 v[38:39], v[0:1], v[12:13], v[38:39]
	v_fma_f64 v[4:5], v[2:3], v[12:13], v[4:5]
	s_waitcnt lgkmcnt(2)
	v_fma_f64 v[12:13], v[0:1], v[26:27], v[42:43]
	v_fma_f64 v[16:17], v[2:3], v[26:27], v[16:17]
	ds_load_2addr_b64 v[0:3], v21 offset0:160 offset1:176
	s_waitcnt lgkmcnt(0)
	v_fma_f64 v[26:27], v[0:1], v[14:15], v[38:39]
	v_fma_f64 v[4:5], v[2:3], v[14:15], v[4:5]
	;; [unrolled: 1-line block ×4, first 2 shown]
	ds_load_2addr_b64 v[0:3], v21 offset0:192 offset1:208
	s_waitcnt lgkmcnt(0)
	v_fma_f64 v[26:27], v[0:1], v[30:31], v[26:27]
	v_fma_f64 v[4:5], v[2:3], v[30:31], v[4:5]
	;; [unrolled: 1-line block ×4, first 2 shown]
	ds_load_2addr_b64 v[14:17], v21 offset0:224 offset1:240
	s_waitcnt lgkmcnt(0)
	s_barrier
	buffer_gl0_inv
	v_fma_f64 v[12:13], v[14:15], v[32:33], v[26:27]
	v_fma_f64 v[4:5], v[16:17], v[32:33], v[4:5]
	;; [unrolled: 1-line block ×4, first 2 shown]
	s_cbranch_scc1 .LBB150_7
.LBB150_3:                              ; =>This Inner Loop Header: Depth=1
	v_add_nc_u32_e32 v14, s27, v23
	s_delay_alu instid0(VALU_DEP_1) | instskip(SKIP_1) | instid1(VALU_DEP_2)
	v_cmp_gt_i32_e64 s3, s21, v14
	v_dual_mov_b32 v15, v7 :: v_dual_mov_b32 v14, v6
	s_and_b32 s12, vcc_lo, s3
	s_delay_alu instid0(SALU_CYCLE_1)
	s_and_saveexec_b32 s3, s12
	s_cbranch_execz .LBB150_5
; %bb.4:                                ;   in Loop: Header=BB150_3 Depth=1
	global_load_b64 v[14:15], v[8:9], off
.LBB150_5:                              ;   in Loop: Header=BB150_3 Depth=1
	s_or_b32 exec_lo, exec_lo, s3
	v_add_nc_u32_e32 v16, s27, v20
	s_waitcnt vmcnt(0)
	ds_store_b64 v24, v[14:15]
	v_cmp_gt_i32_e64 s3, s21, v16
	v_dual_mov_b32 v17, v7 :: v_dual_mov_b32 v16, v6
	s_delay_alu instid0(VALU_DEP_2) | instskip(NEXT) | instid1(SALU_CYCLE_1)
	s_and_b32 s12, s3, s2
	s_and_saveexec_b32 s3, s12
	s_cbranch_execz .LBB150_2
; %bb.6:                                ;   in Loop: Header=BB150_3 Depth=1
	global_load_b64 v[16:17], v[10:11], off
	s_branch .LBB150_2
.LBB150_7:
	s_clause 0x1
	s_load_b32 s2, s[0:1], 0x50
	s_load_b64 s[0:1], s[0:1], 0x58
	v_add_nc_u32_e32 v10, s14, v19
	v_add_nc_u32_e32 v6, s26, v18
	s_delay_alu instid0(VALU_DEP_2)
	v_cmp_gt_i32_e32 vcc_lo, s20, v10
	s_waitcnt lgkmcnt(0)
	v_mad_i64_i32 v[7:8], null, v10, s2, 0
	s_mul_i32 s1, s15, s1
	s_mul_hi_u32 s3, s15, s0
	s_mul_i32 s0, s15, s0
	s_add_i32 s1, s3, s1
	s_delay_alu instid0(SALU_CYCLE_1) | instskip(NEXT) | instid1(VALU_DEP_1)
	s_lshl_b64 s[6:7], s[0:1], 3
	v_lshlrev_b64 v[7:8], 3, v[7:8]
	s_add_u32 s3, s22, s6
	v_cmp_le_i32_e64 s0, v6, v10
	s_addc_u32 s6, s23, s7
	s_delay_alu instid0(VALU_DEP_2) | instskip(NEXT) | instid1(VALU_DEP_1)
	v_add_co_u32 v11, s1, s3, v7
	v_add_co_ci_u32_e64 v14, s1, s6, v8, s1
	s_delay_alu instid0(VALU_DEP_3) | instskip(NEXT) | instid1(SALU_CYCLE_1)
	s_and_b32 s0, vcc_lo, s0
	s_and_saveexec_b32 s1, s0
	s_cbranch_execz .LBB150_9
; %bb.8:
	v_ashrrev_i32_e32 v7, 31, v6
	s_delay_alu instid0(VALU_DEP_1) | instskip(NEXT) | instid1(VALU_DEP_1)
	v_lshlrev_b64 v[7:8], 3, v[6:7]
	v_add_co_u32 v7, s0, v11, v7
	s_delay_alu instid0(VALU_DEP_1) | instskip(SKIP_3) | instid1(VALU_DEP_1)
	v_add_co_ci_u32_e64 v8, s0, v14, v8, s0
	global_load_b64 v[15:16], v[7:8], off
	s_waitcnt vmcnt(0)
	v_mul_f64 v[15:16], v[15:16], s[10:11]
	v_fma_f64 v[12:13], v[12:13], s[4:5], v[15:16]
	global_store_b64 v[7:8], v[12:13], off
.LBB150_9:
	s_or_b32 exec_lo, exec_lo, s1
	v_add_nc_u32_e32 v8, 16, v6
	s_delay_alu instid0(VALU_DEP_1) | instskip(NEXT) | instid1(VALU_DEP_1)
	v_cmp_le_i32_e64 s0, v8, v10
	s_and_b32 s1, vcc_lo, s0
	s_delay_alu instid0(SALU_CYCLE_1)
	s_and_saveexec_b32 s0, s1
	s_cbranch_execz .LBB150_11
; %bb.10:
	v_ashrrev_i32_e32 v9, 31, v8
	s_delay_alu instid0(VALU_DEP_1) | instskip(NEXT) | instid1(VALU_DEP_1)
	v_lshlrev_b64 v[12:13], 3, v[8:9]
	v_add_co_u32 v11, vcc_lo, v11, v12
	s_delay_alu instid0(VALU_DEP_2) | instskip(SKIP_3) | instid1(VALU_DEP_1)
	v_add_co_ci_u32_e32 v12, vcc_lo, v14, v13, vcc_lo
	global_load_b64 v[13:14], v[11:12], off
	s_waitcnt vmcnt(0)
	v_mul_f64 v[13:14], v[13:14], s[10:11]
	v_fma_f64 v[4:5], v[4:5], s[4:5], v[13:14]
	global_store_b64 v[11:12], v[4:5], off
.LBB150_11:
	s_or_b32 exec_lo, exec_lo, s0
	v_add_nc_u32_e32 v9, 16, v10
	s_delay_alu instid0(VALU_DEP_1) | instskip(SKIP_2) | instid1(VALU_DEP_1)
	v_mad_i64_i32 v[4:5], null, v9, s2, 0
	v_cmp_gt_i32_e32 vcc_lo, s20, v9
	v_cmp_le_i32_e64 s0, v6, v9
	s_and_b32 s0, vcc_lo, s0
	s_delay_alu instid0(VALU_DEP_3) | instskip(NEXT) | instid1(VALU_DEP_1)
	v_lshlrev_b64 v[4:5], 3, v[4:5]
	v_add_co_u32 v4, s1, s3, v4
	s_delay_alu instid0(VALU_DEP_1)
	v_add_co_ci_u32_e64 v5, s1, s6, v5, s1
	s_and_saveexec_b32 s1, s0
	s_cbranch_execz .LBB150_13
; %bb.12:
	v_ashrrev_i32_e32 v7, 31, v6
	s_delay_alu instid0(VALU_DEP_1) | instskip(NEXT) | instid1(VALU_DEP_1)
	v_lshlrev_b64 v[6:7], 3, v[6:7]
	v_add_co_u32 v6, s0, v4, v6
	s_delay_alu instid0(VALU_DEP_1) | instskip(SKIP_3) | instid1(VALU_DEP_1)
	v_add_co_ci_u32_e64 v7, s0, v5, v7, s0
	global_load_b64 v[10:11], v[6:7], off
	s_waitcnt vmcnt(0)
	v_mul_f64 v[10:11], v[10:11], s[10:11]
	v_fma_f64 v[2:3], v[2:3], s[4:5], v[10:11]
	global_store_b64 v[6:7], v[2:3], off
.LBB150_13:
	s_or_b32 exec_lo, exec_lo, s1
	v_cmp_le_i32_e64 s0, v8, v9
	s_delay_alu instid0(VALU_DEP_1) | instskip(NEXT) | instid1(SALU_CYCLE_1)
	s_and_b32 s0, vcc_lo, s0
	s_and_saveexec_b32 s1, s0
	s_cbranch_execz .LBB150_15
; %bb.14:
	v_ashrrev_i32_e32 v9, 31, v8
	s_delay_alu instid0(VALU_DEP_1) | instskip(NEXT) | instid1(VALU_DEP_1)
	v_lshlrev_b64 v[2:3], 3, v[8:9]
	v_add_co_u32 v2, vcc_lo, v4, v2
	s_delay_alu instid0(VALU_DEP_2) | instskip(SKIP_3) | instid1(VALU_DEP_1)
	v_add_co_ci_u32_e32 v3, vcc_lo, v5, v3, vcc_lo
	global_load_b64 v[4:5], v[2:3], off
	s_waitcnt vmcnt(0)
	v_mul_f64 v[4:5], v[4:5], s[10:11]
	v_fma_f64 v[0:1], v[0:1], s[4:5], v[4:5]
	global_store_b64 v[2:3], v[0:1], off
.LBB150_15:
	s_nop 0
	s_sendmsg sendmsg(MSG_DEALLOC_VGPRS)
	s_endpgm
	.section	.rodata,"a",@progbits
	.p2align	6, 0x0
	.amdhsa_kernel _ZL34rocblas_syrkx_herkx_general_kernelIidLi16ELi32ELi8ELb0ELb0ELc78ELc85EKddEviT_T0_PT8_S1_lS4_S1_lS2_PT9_S1_li
		.amdhsa_group_segment_fixed_size 4096
		.amdhsa_private_segment_fixed_size 0
		.amdhsa_kernarg_size 100
		.amdhsa_user_sgpr_count 13
		.amdhsa_user_sgpr_dispatch_ptr 0
		.amdhsa_user_sgpr_queue_ptr 0
		.amdhsa_user_sgpr_kernarg_segment_ptr 1
		.amdhsa_user_sgpr_dispatch_id 0
		.amdhsa_user_sgpr_private_segment_size 0
		.amdhsa_wavefront_size32 1
		.amdhsa_uses_dynamic_stack 0
		.amdhsa_enable_private_segment 0
		.amdhsa_system_sgpr_workgroup_id_x 1
		.amdhsa_system_sgpr_workgroup_id_y 1
		.amdhsa_system_sgpr_workgroup_id_z 1
		.amdhsa_system_sgpr_workgroup_info 0
		.amdhsa_system_vgpr_workitem_id 1
		.amdhsa_next_free_vgpr 44
		.amdhsa_next_free_sgpr 28
		.amdhsa_reserve_vcc 1
		.amdhsa_float_round_mode_32 0
		.amdhsa_float_round_mode_16_64 0
		.amdhsa_float_denorm_mode_32 3
		.amdhsa_float_denorm_mode_16_64 3
		.amdhsa_dx10_clamp 1
		.amdhsa_ieee_mode 1
		.amdhsa_fp16_overflow 0
		.amdhsa_workgroup_processor_mode 1
		.amdhsa_memory_ordered 1
		.amdhsa_forward_progress 0
		.amdhsa_shared_vgpr_count 0
		.amdhsa_exception_fp_ieee_invalid_op 0
		.amdhsa_exception_fp_denorm_src 0
		.amdhsa_exception_fp_ieee_div_zero 0
		.amdhsa_exception_fp_ieee_overflow 0
		.amdhsa_exception_fp_ieee_underflow 0
		.amdhsa_exception_fp_ieee_inexact 0
		.amdhsa_exception_int_div_zero 0
	.end_amdhsa_kernel
	.section	.text._ZL34rocblas_syrkx_herkx_general_kernelIidLi16ELi32ELi8ELb0ELb0ELc78ELc85EKddEviT_T0_PT8_S1_lS4_S1_lS2_PT9_S1_li,"axG",@progbits,_ZL34rocblas_syrkx_herkx_general_kernelIidLi16ELi32ELi8ELb0ELb0ELc78ELc85EKddEviT_T0_PT8_S1_lS4_S1_lS2_PT9_S1_li,comdat
.Lfunc_end150:
	.size	_ZL34rocblas_syrkx_herkx_general_kernelIidLi16ELi32ELi8ELb0ELb0ELc78ELc85EKddEviT_T0_PT8_S1_lS4_S1_lS2_PT9_S1_li, .Lfunc_end150-_ZL34rocblas_syrkx_herkx_general_kernelIidLi16ELi32ELi8ELb0ELb0ELc78ELc85EKddEviT_T0_PT8_S1_lS4_S1_lS2_PT9_S1_li
                                        ; -- End function
	.section	.AMDGPU.csdata,"",@progbits
; Kernel info:
; codeLenInByte = 1716
; NumSgprs: 30
; NumVgprs: 44
; ScratchSize: 0
; MemoryBound: 0
; FloatMode: 240
; IeeeMode: 1
; LDSByteSize: 4096 bytes/workgroup (compile time only)
; SGPRBlocks: 3
; VGPRBlocks: 5
; NumSGPRsForWavesPerEU: 30
; NumVGPRsForWavesPerEU: 44
; Occupancy: 16
; WaveLimiterHint : 0
; COMPUTE_PGM_RSRC2:SCRATCH_EN: 0
; COMPUTE_PGM_RSRC2:USER_SGPR: 13
; COMPUTE_PGM_RSRC2:TRAP_HANDLER: 0
; COMPUTE_PGM_RSRC2:TGID_X_EN: 1
; COMPUTE_PGM_RSRC2:TGID_Y_EN: 1
; COMPUTE_PGM_RSRC2:TGID_Z_EN: 1
; COMPUTE_PGM_RSRC2:TIDIG_COMP_CNT: 1
	.section	.text._ZL26rocblas_syr2k_scale_kernelIiLi128ELi8ELb0EddPdEvbiT_T3_T4_T5_S1_li,"axG",@progbits,_ZL26rocblas_syr2k_scale_kernelIiLi128ELi8ELb0EddPdEvbiT_T3_T4_T5_S1_li,comdat
	.globl	_ZL26rocblas_syr2k_scale_kernelIiLi128ELi8ELb0EddPdEvbiT_T3_T4_T5_S1_li ; -- Begin function _ZL26rocblas_syr2k_scale_kernelIiLi128ELi8ELb0EddPdEvbiT_T3_T4_T5_S1_li
	.p2align	8
	.type	_ZL26rocblas_syr2k_scale_kernelIiLi128ELi8ELb0EddPdEvbiT_T3_T4_T5_S1_li,@function
_ZL26rocblas_syr2k_scale_kernelIiLi128ELi8ELb0EddPdEvbiT_T3_T4_T5_S1_li: ; @_ZL26rocblas_syr2k_scale_kernelIiLi128ELi8ELb0EddPdEvbiT_T3_T4_T5_S1_li
; %bb.0:
	s_load_b128 s[4:7], s[0:1], 0x18
	s_waitcnt lgkmcnt(0)
	v_cmp_eq_f64_e64 s2, s[4:5], 1.0
	s_delay_alu instid0(VALU_DEP_1)
	s_and_b32 vcc_lo, exec_lo, s2
	s_cbranch_vccnz .LBB151_5
; %bb.1:
	s_clause 0x1
	s_load_b64 s[2:3], s[0:1], 0x0
	s_load_b32 s8, s[0:1], 0x4c
	v_and_b32_e32 v2, 0x3ff, v0
	v_bfe_u32 v3, v0, 10, 10
	s_waitcnt lgkmcnt(0)
	s_bitcmp1_b32 s2, 0
	s_cselect_b32 vcc_lo, -1, 0
	s_lshr_b32 s2, s8, 16
	s_and_b32 s8, s8, 0xffff
	s_delay_alu instid0(SALU_CYCLE_1) | instskip(SKIP_1) | instid1(VALU_DEP_1)
	v_mad_u64_u32 v[0:1], null, s13, s8, v[2:3]
	v_mad_u64_u32 v[1:2], null, s14, s2, v[3:4]
	v_cndmask_b32_e32 v2, v1, v0, vcc_lo
	v_max_u32_e32 v3, v0, v1
	v_cndmask_b32_e32 v4, v0, v1, vcc_lo
	s_delay_alu instid0(VALU_DEP_2) | instskip(NEXT) | instid1(VALU_DEP_2)
	v_cmp_gt_u32_e32 vcc_lo, s3, v3
	v_cmp_le_i32_e64 s2, v2, v4
	s_delay_alu instid0(VALU_DEP_1) | instskip(NEXT) | instid1(SALU_CYCLE_1)
	s_and_b32 s2, vcc_lo, s2
	s_and_saveexec_b32 s3, s2
	s_cbranch_execz .LBB151_5
; %bb.2:
	s_clause 0x1
	s_load_b32 s2, s[0:1], 0x28
	s_load_b64 s[0:1], s[0:1], 0x30
	v_cmp_eq_f64_e64 s3, s[4:5], 0
	s_waitcnt lgkmcnt(0)
	v_mad_u64_u32 v[2:3], null, v1, s2, 0
	s_ashr_i32 s2, s2, 31
	s_mul_i32 s1, s15, s1
	s_delay_alu instid0(VALU_DEP_1)
	v_mad_u64_u32 v[4:5], null, v1, s2, v[3:4]
	s_mul_hi_u32 s2, s15, s0
	s_mul_i32 s0, s15, s0
	s_add_i32 s1, s2, s1
	v_mov_b32_e32 v1, 0
	s_lshl_b64 s[0:1], s[0:1], 3
	s_delay_alu instid0(SALU_CYCLE_1) | instskip(NEXT) | instid1(VALU_DEP_2)
	s_add_u32 s0, s6, s0
	v_mov_b32_e32 v3, v4
	s_addc_u32 s1, s7, s1
	s_delay_alu instid0(VALU_DEP_1) | instskip(NEXT) | instid1(VALU_DEP_1)
	v_lshlrev_b64 v[2:3], 3, v[2:3]
	v_add_co_u32 v4, vcc_lo, s0, v2
	s_delay_alu instid0(VALU_DEP_2) | instskip(SKIP_3) | instid1(VALU_DEP_2)
	v_add_co_ci_u32_e32 v5, vcc_lo, s1, v3, vcc_lo
	v_mov_b32_e32 v2, 0
	v_lshlrev_b64 v[0:1], 3, v[0:1]
	v_mov_b32_e32 v3, 0
	v_add_co_u32 v0, vcc_lo, v4, v0
	s_delay_alu instid0(VALU_DEP_3)
	v_add_co_ci_u32_e32 v1, vcc_lo, v5, v1, vcc_lo
	s_and_b32 vcc_lo, exec_lo, s3
	s_cbranch_vccnz .LBB151_4
; %bb.3:
	global_load_b64 v[2:3], v[0:1], off
	s_waitcnt vmcnt(0)
	v_mul_f64 v[2:3], v[2:3], s[4:5]
.LBB151_4:
	global_store_b64 v[0:1], v[2:3], off
.LBB151_5:
	s_nop 0
	s_sendmsg sendmsg(MSG_DEALLOC_VGPRS)
	s_endpgm
	.section	.rodata,"a",@progbits
	.p2align	6, 0x0
	.amdhsa_kernel _ZL26rocblas_syr2k_scale_kernelIiLi128ELi8ELb0EddPdEvbiT_T3_T4_T5_S1_li
		.amdhsa_group_segment_fixed_size 0
		.amdhsa_private_segment_fixed_size 0
		.amdhsa_kernarg_size 320
		.amdhsa_user_sgpr_count 13
		.amdhsa_user_sgpr_dispatch_ptr 0
		.amdhsa_user_sgpr_queue_ptr 0
		.amdhsa_user_sgpr_kernarg_segment_ptr 1
		.amdhsa_user_sgpr_dispatch_id 0
		.amdhsa_user_sgpr_private_segment_size 0
		.amdhsa_wavefront_size32 1
		.amdhsa_uses_dynamic_stack 0
		.amdhsa_enable_private_segment 0
		.amdhsa_system_sgpr_workgroup_id_x 1
		.amdhsa_system_sgpr_workgroup_id_y 1
		.amdhsa_system_sgpr_workgroup_id_z 1
		.amdhsa_system_sgpr_workgroup_info 0
		.amdhsa_system_vgpr_workitem_id 1
		.amdhsa_next_free_vgpr 6
		.amdhsa_next_free_sgpr 16
		.amdhsa_reserve_vcc 1
		.amdhsa_float_round_mode_32 0
		.amdhsa_float_round_mode_16_64 0
		.amdhsa_float_denorm_mode_32 3
		.amdhsa_float_denorm_mode_16_64 3
		.amdhsa_dx10_clamp 1
		.amdhsa_ieee_mode 1
		.amdhsa_fp16_overflow 0
		.amdhsa_workgroup_processor_mode 1
		.amdhsa_memory_ordered 1
		.amdhsa_forward_progress 0
		.amdhsa_shared_vgpr_count 0
		.amdhsa_exception_fp_ieee_invalid_op 0
		.amdhsa_exception_fp_denorm_src 0
		.amdhsa_exception_fp_ieee_div_zero 0
		.amdhsa_exception_fp_ieee_overflow 0
		.amdhsa_exception_fp_ieee_underflow 0
		.amdhsa_exception_fp_ieee_inexact 0
		.amdhsa_exception_int_div_zero 0
	.end_amdhsa_kernel
	.section	.text._ZL26rocblas_syr2k_scale_kernelIiLi128ELi8ELb0EddPdEvbiT_T3_T4_T5_S1_li,"axG",@progbits,_ZL26rocblas_syr2k_scale_kernelIiLi128ELi8ELb0EddPdEvbiT_T3_T4_T5_S1_li,comdat
.Lfunc_end151:
	.size	_ZL26rocblas_syr2k_scale_kernelIiLi128ELi8ELb0EddPdEvbiT_T3_T4_T5_S1_li, .Lfunc_end151-_ZL26rocblas_syr2k_scale_kernelIiLi128ELi8ELb0EddPdEvbiT_T3_T4_T5_S1_li
                                        ; -- End function
	.section	.AMDGPU.csdata,"",@progbits
; Kernel info:
; codeLenInByte = 360
; NumSgprs: 18
; NumVgprs: 6
; ScratchSize: 0
; MemoryBound: 1
; FloatMode: 240
; IeeeMode: 1
; LDSByteSize: 0 bytes/workgroup (compile time only)
; SGPRBlocks: 2
; VGPRBlocks: 0
; NumSGPRsForWavesPerEU: 18
; NumVGPRsForWavesPerEU: 6
; Occupancy: 16
; WaveLimiterHint : 0
; COMPUTE_PGM_RSRC2:SCRATCH_EN: 0
; COMPUTE_PGM_RSRC2:USER_SGPR: 13
; COMPUTE_PGM_RSRC2:TRAP_HANDLER: 0
; COMPUTE_PGM_RSRC2:TGID_X_EN: 1
; COMPUTE_PGM_RSRC2:TGID_Y_EN: 1
; COMPUTE_PGM_RSRC2:TGID_Z_EN: 1
; COMPUTE_PGM_RSRC2:TIDIG_COMP_CNT: 1
	.section	.text._ZL26rocblas_syr2k_her2k_kernelIiLb0ELb0ELb0ELi32EPKdS1_PdEvbiT_T4_T5_S3_lS5_S3_lT6_S3_li,"axG",@progbits,_ZL26rocblas_syr2k_her2k_kernelIiLb0ELb0ELb0ELi32EPKdS1_PdEvbiT_T4_T5_S3_lS5_S3_lT6_S3_li,comdat
	.globl	_ZL26rocblas_syr2k_her2k_kernelIiLb0ELb0ELb0ELi32EPKdS1_PdEvbiT_T4_T5_S3_lS5_S3_lT6_S3_li ; -- Begin function _ZL26rocblas_syr2k_her2k_kernelIiLb0ELb0ELb0ELi32EPKdS1_PdEvbiT_T4_T5_S3_lS5_S3_lT6_S3_li
	.p2align	8
	.type	_ZL26rocblas_syr2k_her2k_kernelIiLb0ELb0ELb0ELi32EPKdS1_PdEvbiT_T4_T5_S3_lS5_S3_lT6_S3_li,@function
_ZL26rocblas_syr2k_her2k_kernelIiLb0ELb0ELb0ELi32EPKdS1_PdEvbiT_T4_T5_S3_lS5_S3_lT6_S3_li: ; @_ZL26rocblas_syr2k_her2k_kernelIiLb0ELb0ELb0ELi32EPKdS1_PdEvbiT_T4_T5_S3_lS5_S3_lT6_S3_li
; %bb.0:
	s_load_b128 s[8:11], s[0:1], 0x10
	s_waitcnt lgkmcnt(0)
	s_load_b64 s[8:9], s[8:9], 0x0
	s_waitcnt lgkmcnt(0)
	v_cmp_eq_f64_e64 s2, s[8:9], 0
	s_delay_alu instid0(VALU_DEP_1)
	s_and_b32 vcc_lo, exec_lo, s2
	s_cbranch_vccnz .LBB152_11
; %bb.1:
	s_load_b128 s[4:7], s[0:1], 0x0
	s_lshl_b32 s2, s14, 5
	s_waitcnt lgkmcnt(0)
	s_and_b32 s3, 1, s4
	s_lshl_b32 s4, s13, 5
	s_cmp_eq_u32 s3, 1
	s_cselect_b32 vcc_lo, -1, 0
	s_delay_alu instid0(SALU_CYCLE_1) | instskip(SKIP_2) | instid1(SALU_CYCLE_1)
	s_and_b32 s3, vcc_lo, exec_lo
	s_cselect_b32 s3, s4, s2
	s_cselect_b32 s7, s2, s4
	s_cmp_gt_i32 s3, s7
	s_cbranch_scc1 .LBB152_11
; %bb.2:
	s_cmp_lt_i32 s6, 1
	s_cbranch_scc1 .LBB152_11
; %bb.3:
	s_clause 0x1
	s_load_b128 s[20:23], s[0:1], 0x28
	s_load_b128 s[16:19], s[0:1], 0x40
	v_bfe_u32 v6, v0, 10, 10
	v_and_b32_e32 v7, 0x3ff, v0
	s_clause 0x1
	s_load_b64 s[12:13], s[0:1], 0x58
	s_load_b32 s3, s[0:1], 0x20
	v_add_nc_u32_e32 v0, s2, v6
	v_add_nc_u32_e32 v1, s4, v7
	s_clause 0x1
	s_load_b32 s4, s[0:1], 0x38
	s_load_b32 s2, s[0:1], 0x50
	v_lshlrev_b32_e32 v12, 3, v6
	v_dual_cndmask_b32 v17, v0, v1 :: v_dual_lshlrev_b32 v8, 8, v7
	v_ashrrev_i32_e32 v2, 31, v1
	v_cndmask_b32_e32 v16, v1, v0, vcc_lo
	v_cmp_gt_i32_e32 vcc_lo, s5, v1
	s_delay_alu instid0(VALU_DEP_4)
	v_add_nc_u32_e32 v11, v8, v12
	v_or_b32_e32 v12, 0x2000, v12
	v_lshlrev_b64 v[2:3], 3, v[1:2]
	s_waitcnt lgkmcnt(0)
	s_mul_i32 s1, s15, s21
	s_mul_hi_u32 s7, s15, s20
	s_mul_i32 s0, s15, s20
	s_add_i32 s1, s7, s1
	s_mul_i32 s14, s15, s17
	s_lshl_b64 s[0:1], s[0:1], 3
	s_mul_hi_u32 s17, s15, s16
	s_mul_i32 s7, s15, s13
	s_add_u32 s13, s10, s0
	s_mul_i32 s16, s15, s16
	s_addc_u32 s20, s11, s1
	s_add_i32 s17, s17, s14
	s_mul_hi_u32 s11, s15, s12
	s_lshl_b64 s[0:1], s[16:17], 3
	s_mul_i32 s10, s15, s12
	s_add_u32 s12, s22, s0
	v_mad_i64_i32 v[4:5], null, s2, v0, 0
	s_addc_u32 s14, s23, s1
	s_add_i32 s11, s11, s7
	v_ashrrev_i32_e32 v1, 31, v0
	s_lshl_b64 s[0:1], s[10:11], 3
	v_add_nc_u32_e32 v15, v12, v8
	s_add_u32 s7, s18, s0
	v_add_co_u32 v9, s0, s13, v2
	s_delay_alu instid0(VALU_DEP_1)
	v_add_co_ci_u32_e64 v10, s0, s20, v3, s0
	v_lshlrev_b64 v[13:14], 3, v[0:1]
	v_cmp_gt_i32_e64 s0, s5, v0
	v_lshlrev_b64 v[0:1], 3, v[4:5]
	s_addc_u32 s10, s19, s1
	v_add_nc_u32_e32 v18, 0x1800, v12
	s_delay_alu instid0(VALU_DEP_4) | instskip(NEXT) | instid1(VALU_DEP_3)
	v_add_co_u32 v13, s1, s12, v13
	v_add_co_u32 v0, s2, s7, v0
	s_delay_alu instid0(VALU_DEP_1) | instskip(SKIP_2) | instid1(VALU_DEP_4)
	v_add_co_ci_u32_e64 v1, s2, s10, v1, s2
	v_add_co_ci_u32_e64 v14, s1, s14, v14, s1
	v_cmp_le_i32_e64 s1, v17, v16
	v_add_co_u32 v0, s2, v0, v2
	s_delay_alu instid0(VALU_DEP_1) | instskip(SKIP_3) | instid1(SALU_CYCLE_1)
	v_add_co_ci_u32_e64 v1, s2, v1, v3, s2
	v_add_nc_u32_e32 v16, 0x800, v12
	v_add_nc_u32_e32 v17, 0x1000, v12
	s_and_b32 s5, s0, vcc_lo
	s_and_b32 s2, s5, s1
	s_mov_b32 s5, 0
	s_branch .LBB152_5
.LBB152_4:                              ;   in Loop: Header=BB152_5 Depth=1
	s_or_b32 exec_lo, exec_lo, s1
	s_add_i32 s5, s5, 32
	s_waitcnt_vscnt null, 0x0
	s_cmp_lt_i32 s5, s6
	s_barrier
	buffer_gl0_inv
	s_cbranch_scc0 .LBB152_11
.LBB152_5:                              ; =>This Inner Loop Header: Depth=1
	v_dual_mov_b32 v2, 0 :: v_dual_add_nc_u32 v19, s5, v6
	v_mov_b32_e32 v3, 0
	s_delay_alu instid0(VALU_DEP_2) | instskip(NEXT) | instid1(VALU_DEP_2)
	v_cmp_gt_i32_e64 s1, s6, v19
	v_dual_mov_b32 v5, v3 :: v_dual_mov_b32 v4, v2
	s_delay_alu instid0(VALU_DEP_2) | instskip(NEXT) | instid1(SALU_CYCLE_1)
	s_and_b32 s1, vcc_lo, s1
	s_and_saveexec_b32 s7, s1
	s_cbranch_execz .LBB152_7
; %bb.6:                                ;   in Loop: Header=BB152_5 Depth=1
	v_mad_i64_i32 v[4:5], null, v19, s3, 0
	s_delay_alu instid0(VALU_DEP_1) | instskip(NEXT) | instid1(VALU_DEP_1)
	v_lshlrev_b64 v[4:5], 3, v[4:5]
	v_add_co_u32 v4, s1, v9, v4
	s_delay_alu instid0(VALU_DEP_1)
	v_add_co_ci_u32_e64 v5, s1, v10, v5, s1
	global_load_b64 v[4:5], v[4:5], off
.LBB152_7:                              ;   in Loop: Header=BB152_5 Depth=1
	s_or_b32 exec_lo, exec_lo, s7
	v_add_nc_u32_e32 v19, s5, v7
	s_waitcnt vmcnt(0)
	ds_store_b64 v11, v[4:5]
	v_cmp_gt_i32_e64 s1, s6, v19
	s_delay_alu instid0(VALU_DEP_1) | instskip(NEXT) | instid1(SALU_CYCLE_1)
	s_and_b32 s1, s0, s1
	s_and_saveexec_b32 s7, s1
	s_cbranch_execz .LBB152_9
; %bb.8:                                ;   in Loop: Header=BB152_5 Depth=1
	v_mad_i64_i32 v[2:3], null, v19, s4, 0
	s_delay_alu instid0(VALU_DEP_1) | instskip(NEXT) | instid1(VALU_DEP_1)
	v_lshlrev_b64 v[2:3], 3, v[2:3]
	v_add_co_u32 v2, s1, v13, v2
	s_delay_alu instid0(VALU_DEP_1)
	v_add_co_ci_u32_e64 v3, s1, v14, v3, s1
	global_load_b64 v[2:3], v[2:3], off
.LBB152_9:                              ;   in Loop: Header=BB152_5 Depth=1
	s_or_b32 exec_lo, exec_lo, s7
	s_waitcnt vmcnt(0)
	ds_store_b64 v15, v[2:3]
	s_waitcnt lgkmcnt(0)
	s_barrier
	buffer_gl0_inv
	s_and_saveexec_b32 s1, s2
	s_cbranch_execz .LBB152_4
; %bb.10:                               ;   in Loop: Header=BB152_5 Depth=1
	ds_load_2addr_b64 v[2:5], v12 offset1:32
	ds_load_b128 v[19:22], v8
	ds_load_b128 v[23:26], v8 offset:16
	s_waitcnt lgkmcnt(1)
	v_fma_f64 v[2:3], v[19:20], v[2:3], 0
	s_delay_alu instid0(VALU_DEP_1) | instskip(SKIP_3) | instid1(VALU_DEP_1)
	v_fma_f64 v[19:20], v[21:22], v[4:5], v[2:3]
	ds_load_2addr_b64 v[2:5], v12 offset0:64 offset1:96
	s_waitcnt lgkmcnt(0)
	v_fma_f64 v[2:3], v[23:24], v[2:3], v[19:20]
	v_fma_f64 v[27:28], v[25:26], v[4:5], v[2:3]
	ds_load_2addr_b64 v[2:5], v12 offset0:128 offset1:160
	ds_load_b128 v[19:22], v8 offset:32
	ds_load_b128 v[23:26], v8 offset:48
	s_waitcnt lgkmcnt(1)
	v_fma_f64 v[2:3], v[19:20], v[2:3], v[27:28]
	s_delay_alu instid0(VALU_DEP_1) | instskip(SKIP_3) | instid1(VALU_DEP_1)
	v_fma_f64 v[19:20], v[21:22], v[4:5], v[2:3]
	ds_load_2addr_b64 v[2:5], v12 offset0:192 offset1:224
	s_waitcnt lgkmcnt(0)
	v_fma_f64 v[2:3], v[23:24], v[2:3], v[19:20]
	v_fma_f64 v[27:28], v[25:26], v[4:5], v[2:3]
	ds_load_2addr_b64 v[2:5], v16 offset1:32
	ds_load_b128 v[19:22], v8 offset:64
	ds_load_b128 v[23:26], v8 offset:80
	s_waitcnt lgkmcnt(1)
	v_fma_f64 v[2:3], v[19:20], v[2:3], v[27:28]
	s_delay_alu instid0(VALU_DEP_1) | instskip(SKIP_3) | instid1(VALU_DEP_1)
	v_fma_f64 v[19:20], v[21:22], v[4:5], v[2:3]
	ds_load_2addr_b64 v[2:5], v16 offset0:64 offset1:96
	s_waitcnt lgkmcnt(0)
	v_fma_f64 v[2:3], v[23:24], v[2:3], v[19:20]
	v_fma_f64 v[27:28], v[25:26], v[4:5], v[2:3]
	ds_load_2addr_b64 v[2:5], v16 offset0:128 offset1:160
	ds_load_b128 v[19:22], v8 offset:96
	ds_load_b128 v[23:26], v8 offset:112
	s_waitcnt lgkmcnt(1)
	v_fma_f64 v[2:3], v[19:20], v[2:3], v[27:28]
	s_delay_alu instid0(VALU_DEP_1) | instskip(SKIP_3) | instid1(VALU_DEP_1)
	v_fma_f64 v[19:20], v[21:22], v[4:5], v[2:3]
	ds_load_2addr_b64 v[2:5], v16 offset0:192 offset1:224
	s_waitcnt lgkmcnt(0)
	v_fma_f64 v[2:3], v[23:24], v[2:3], v[19:20]
	v_fma_f64 v[27:28], v[25:26], v[4:5], v[2:3]
	ds_load_2addr_b64 v[2:5], v17 offset1:32
	ds_load_b128 v[19:22], v8 offset:128
	;; [unrolled: 22-line block ×3, first 2 shown]
	global_load_b64 v[29:30], v[0:1], off
	ds_load_b128 v[23:26], v8 offset:208
	s_waitcnt lgkmcnt(1)
	v_fma_f64 v[2:3], v[19:20], v[2:3], v[27:28]
	s_delay_alu instid0(VALU_DEP_1) | instskip(SKIP_3) | instid1(VALU_DEP_1)
	v_fma_f64 v[19:20], v[21:22], v[4:5], v[2:3]
	ds_load_2addr_b64 v[2:5], v18 offset0:64 offset1:96
	s_waitcnt lgkmcnt(0)
	v_fma_f64 v[2:3], v[23:24], v[2:3], v[19:20]
	v_fma_f64 v[27:28], v[25:26], v[4:5], v[2:3]
	ds_load_2addr_b64 v[2:5], v18 offset0:128 offset1:160
	ds_load_b128 v[19:22], v8 offset:224
	ds_load_b128 v[23:26], v8 offset:240
	s_waitcnt lgkmcnt(1)
	v_fma_f64 v[2:3], v[19:20], v[2:3], v[27:28]
	s_delay_alu instid0(VALU_DEP_1) | instskip(SKIP_3) | instid1(VALU_DEP_1)
	v_fma_f64 v[19:20], v[21:22], v[4:5], v[2:3]
	ds_load_2addr_b64 v[2:5], v18 offset0:192 offset1:224
	s_waitcnt lgkmcnt(0)
	v_fma_f64 v[2:3], v[23:24], v[2:3], v[19:20]
	v_fma_f64 v[2:3], v[25:26], v[4:5], v[2:3]
	s_waitcnt vmcnt(0)
	s_delay_alu instid0(VALU_DEP_1)
	v_fma_f64 v[2:3], s[8:9], v[2:3], v[29:30]
	global_store_b64 v[0:1], v[2:3], off
	s_branch .LBB152_4
.LBB152_11:
	s_endpgm
	.section	.rodata,"a",@progbits
	.p2align	6, 0x0
	.amdhsa_kernel _ZL26rocblas_syr2k_her2k_kernelIiLb0ELb0ELb0ELi32EPKdS1_PdEvbiT_T4_T5_S3_lS5_S3_lT6_S3_li
		.amdhsa_group_segment_fixed_size 16384
		.amdhsa_private_segment_fixed_size 0
		.amdhsa_kernarg_size 100
		.amdhsa_user_sgpr_count 13
		.amdhsa_user_sgpr_dispatch_ptr 0
		.amdhsa_user_sgpr_queue_ptr 0
		.amdhsa_user_sgpr_kernarg_segment_ptr 1
		.amdhsa_user_sgpr_dispatch_id 0
		.amdhsa_user_sgpr_private_segment_size 0
		.amdhsa_wavefront_size32 1
		.amdhsa_uses_dynamic_stack 0
		.amdhsa_enable_private_segment 0
		.amdhsa_system_sgpr_workgroup_id_x 1
		.amdhsa_system_sgpr_workgroup_id_y 1
		.amdhsa_system_sgpr_workgroup_id_z 1
		.amdhsa_system_sgpr_workgroup_info 0
		.amdhsa_system_vgpr_workitem_id 1
		.amdhsa_next_free_vgpr 31
		.amdhsa_next_free_sgpr 24
		.amdhsa_reserve_vcc 1
		.amdhsa_float_round_mode_32 0
		.amdhsa_float_round_mode_16_64 0
		.amdhsa_float_denorm_mode_32 3
		.amdhsa_float_denorm_mode_16_64 3
		.amdhsa_dx10_clamp 1
		.amdhsa_ieee_mode 1
		.amdhsa_fp16_overflow 0
		.amdhsa_workgroup_processor_mode 1
		.amdhsa_memory_ordered 1
		.amdhsa_forward_progress 0
		.amdhsa_shared_vgpr_count 0
		.amdhsa_exception_fp_ieee_invalid_op 0
		.amdhsa_exception_fp_denorm_src 0
		.amdhsa_exception_fp_ieee_div_zero 0
		.amdhsa_exception_fp_ieee_overflow 0
		.amdhsa_exception_fp_ieee_underflow 0
		.amdhsa_exception_fp_ieee_inexact 0
		.amdhsa_exception_int_div_zero 0
	.end_amdhsa_kernel
	.section	.text._ZL26rocblas_syr2k_her2k_kernelIiLb0ELb0ELb0ELi32EPKdS1_PdEvbiT_T4_T5_S3_lS5_S3_lT6_S3_li,"axG",@progbits,_ZL26rocblas_syr2k_her2k_kernelIiLb0ELb0ELb0ELi32EPKdS1_PdEvbiT_T4_T5_S3_lS5_S3_lT6_S3_li,comdat
.Lfunc_end152:
	.size	_ZL26rocblas_syr2k_her2k_kernelIiLb0ELb0ELb0ELi32EPKdS1_PdEvbiT_T4_T5_S3_lS5_S3_lT6_S3_li, .Lfunc_end152-_ZL26rocblas_syr2k_her2k_kernelIiLb0ELb0ELb0ELi32EPKdS1_PdEvbiT_T4_T5_S3_lS5_S3_lT6_S3_li
                                        ; -- End function
	.section	.AMDGPU.csdata,"",@progbits
; Kernel info:
; codeLenInByte = 1404
; NumSgprs: 26
; NumVgprs: 31
; ScratchSize: 0
; MemoryBound: 0
; FloatMode: 240
; IeeeMode: 1
; LDSByteSize: 16384 bytes/workgroup (compile time only)
; SGPRBlocks: 3
; VGPRBlocks: 3
; NumSGPRsForWavesPerEU: 26
; NumVGPRsForWavesPerEU: 31
; Occupancy: 16
; WaveLimiterHint : 0
; COMPUTE_PGM_RSRC2:SCRATCH_EN: 0
; COMPUTE_PGM_RSRC2:USER_SGPR: 13
; COMPUTE_PGM_RSRC2:TRAP_HANDLER: 0
; COMPUTE_PGM_RSRC2:TGID_X_EN: 1
; COMPUTE_PGM_RSRC2:TGID_Y_EN: 1
; COMPUTE_PGM_RSRC2:TGID_Z_EN: 1
; COMPUTE_PGM_RSRC2:TIDIG_COMP_CNT: 1
	.section	.text._ZL26rocblas_syr2k_her2k_kernelIiLb0ELb0ELb1ELi32EPKdS1_PdEvbiT_T4_T5_S3_lS5_S3_lT6_S3_li,"axG",@progbits,_ZL26rocblas_syr2k_her2k_kernelIiLb0ELb0ELb1ELi32EPKdS1_PdEvbiT_T4_T5_S3_lS5_S3_lT6_S3_li,comdat
	.globl	_ZL26rocblas_syr2k_her2k_kernelIiLb0ELb0ELb1ELi32EPKdS1_PdEvbiT_T4_T5_S3_lS5_S3_lT6_S3_li ; -- Begin function _ZL26rocblas_syr2k_her2k_kernelIiLb0ELb0ELb1ELi32EPKdS1_PdEvbiT_T4_T5_S3_lS5_S3_lT6_S3_li
	.p2align	8
	.type	_ZL26rocblas_syr2k_her2k_kernelIiLb0ELb0ELb1ELi32EPKdS1_PdEvbiT_T4_T5_S3_lS5_S3_lT6_S3_li,@function
_ZL26rocblas_syr2k_her2k_kernelIiLb0ELb0ELb1ELi32EPKdS1_PdEvbiT_T4_T5_S3_lS5_S3_lT6_S3_li: ; @_ZL26rocblas_syr2k_her2k_kernelIiLb0ELb0ELb1ELi32EPKdS1_PdEvbiT_T4_T5_S3_lS5_S3_lT6_S3_li
; %bb.0:
	s_load_b128 s[8:11], s[0:1], 0x10
	s_waitcnt lgkmcnt(0)
	s_load_b64 s[8:9], s[8:9], 0x0
	s_waitcnt lgkmcnt(0)
	v_cmp_eq_f64_e64 s2, s[8:9], 0
	s_delay_alu instid0(VALU_DEP_1)
	s_and_b32 vcc_lo, exec_lo, s2
	s_cbranch_vccnz .LBB153_11
; %bb.1:
	s_load_b128 s[4:7], s[0:1], 0x0
	s_lshl_b32 s2, s14, 5
	s_lshl_b32 s3, s13, 5
	s_waitcnt lgkmcnt(0)
	s_and_b32 s4, 1, s4
	s_delay_alu instid0(SALU_CYCLE_1) | instskip(SKIP_1) | instid1(SALU_CYCLE_1)
	s_cmp_eq_u32 s4, 1
	s_cselect_b32 vcc_lo, -1, 0
	s_and_b32 s4, vcc_lo, exec_lo
	s_cselect_b32 s4, s3, s2
	s_cselect_b32 s7, s2, s3
	s_delay_alu instid0(SALU_CYCLE_1)
	s_cmp_gt_i32 s4, s7
	s_cbranch_scc1 .LBB153_11
; %bb.2:
	s_cmp_lt_i32 s6, 1
	s_cbranch_scc1 .LBB153_11
; %bb.3:
	s_clause 0x5
	s_load_b128 s[20:23], s[0:1], 0x28
	s_load_b128 s[16:19], s[0:1], 0x40
	s_load_b32 s4, s[0:1], 0x20
	s_load_b32 s7, s[0:1], 0x38
	s_load_b32 s14, s[0:1], 0x50
	s_load_b64 s[12:13], s[0:1], 0x58
	v_and_b32_e32 v7, 0x3ff, v0
	v_bfe_u32 v8, v0, 10, 10
	s_delay_alu instid0(VALU_DEP_2) | instskip(NEXT) | instid1(VALU_DEP_2)
	v_add_nc_u32_e32 v0, s3, v7
	v_add_nc_u32_e32 v6, s2, v8
	v_lshlrev_b32_e32 v13, 3, v8
	v_lshlrev_b32_e32 v9, 8, v7
	s_delay_alu instid0(VALU_DEP_4) | instskip(NEXT) | instid1(VALU_DEP_4)
	v_ashrrev_i32_e32 v1, 31, v0
	v_dual_cndmask_b32 v17, v0, v6 :: v_dual_cndmask_b32 v18, v6, v0
	v_cmp_gt_i32_e32 vcc_lo, s5, v0
	s_delay_alu instid0(VALU_DEP_4)
	v_add_nc_u32_e32 v12, v9, v13
	v_or_b32_e32 v13, 0x2000, v13
	s_waitcnt lgkmcnt(0)
	s_mul_i32 s1, s15, s21
	s_mul_hi_u32 s3, s15, s20
	s_mul_i32 s0, s15, s20
	s_add_i32 s1, s3, s1
	v_mad_i64_i32 v[2:3], null, s4, v0, 0
	s_lshl_b64 s[0:1], s[0:1], 3
	s_mul_i32 s17, s15, s17
	s_mul_hi_u32 s20, s15, s16
	s_add_u32 s10, s10, s0
	s_mul_i32 s2, s15, s16
	s_addc_u32 s11, s11, s1
	s_add_i32 s3, s20, s17
	s_mul_i32 s13, s15, s13
	s_lshl_b64 s[0:1], s[2:3], 3
	s_mul_hi_u32 s16, s15, s12
	v_lshlrev_b64 v[2:3], 3, v[2:3]
	v_mad_i64_i32 v[4:5], null, s7, v6, 0
	v_mad_i64_i32 v[14:15], null, s14, v6, 0
	s_add_u32 s4, s22, s0
	s_mul_i32 s2, s15, s12
	s_addc_u32 s12, s23, s1
	s_add_i32 s3, s16, s13
	v_lshlrev_b64 v[0:1], 3, v[0:1]
	s_lshl_b64 s[0:1], s[2:3], 3
	v_add_nc_u32_e32 v16, v13, v9
	s_add_u32 s2, s18, s0
	v_add_co_u32 v10, s0, s10, v2
	s_delay_alu instid0(VALU_DEP_1)
	v_add_co_ci_u32_e64 v11, s0, s11, v3, s0
	v_lshlrev_b64 v[2:3], 3, v[4:5]
	v_lshlrev_b64 v[4:5], 3, v[14:15]
	s_addc_u32 s3, s19, s1
	v_cmp_gt_i32_e64 s0, s5, v6
	v_add_nc_u32_e32 v19, 0x1800, v13
	s_delay_alu instid0(VALU_DEP_4) | instskip(NEXT) | instid1(VALU_DEP_4)
	v_add_co_u32 v14, s1, s4, v2
	v_add_co_u32 v2, s2, s2, v4
	v_add_co_ci_u32_e64 v15, s1, s12, v3, s1
	v_add_co_ci_u32_e64 v3, s2, s3, v5, s2
	v_cmp_le_i32_e64 s1, v18, v17
	s_delay_alu instid0(VALU_DEP_4) | instskip(NEXT) | instid1(VALU_DEP_1)
	v_add_co_u32 v0, s2, v2, v0
	v_add_co_ci_u32_e64 v1, s2, v3, v1, s2
	v_add_nc_u32_e32 v17, 0x800, v13
	v_add_nc_u32_e32 v18, 0x1000, v13
	s_and_b32 s3, s0, vcc_lo
	s_delay_alu instid0(SALU_CYCLE_1)
	s_and_b32 s2, s3, s1
	s_mov_b32 s3, 0
	s_branch .LBB153_5
.LBB153_4:                              ;   in Loop: Header=BB153_5 Depth=1
	s_or_b32 exec_lo, exec_lo, s1
	s_add_i32 s3, s3, 32
	s_waitcnt_vscnt null, 0x0
	s_cmp_lt_i32 s3, s6
	s_barrier
	buffer_gl0_inv
	s_cbranch_scc0 .LBB153_11
.LBB153_5:                              ; =>This Inner Loop Header: Depth=1
	v_add_nc_u32_e32 v4, s3, v8
	v_mov_b32_e32 v2, 0
	v_mov_b32_e32 v3, 0
	s_delay_alu instid0(VALU_DEP_3) | instskip(NEXT) | instid1(VALU_DEP_2)
	v_cmp_gt_i32_e64 s1, s6, v4
	v_dual_mov_b32 v6, v3 :: v_dual_mov_b32 v5, v2
	s_delay_alu instid0(VALU_DEP_2) | instskip(NEXT) | instid1(SALU_CYCLE_1)
	s_and_b32 s1, vcc_lo, s1
	s_and_saveexec_b32 s4, s1
	s_cbranch_execz .LBB153_7
; %bb.6:                                ;   in Loop: Header=BB153_5 Depth=1
	v_ashrrev_i32_e32 v5, 31, v4
	s_delay_alu instid0(VALU_DEP_1) | instskip(NEXT) | instid1(VALU_DEP_1)
	v_lshlrev_b64 v[4:5], 3, v[4:5]
	v_add_co_u32 v4, s1, v10, v4
	s_delay_alu instid0(VALU_DEP_1)
	v_add_co_ci_u32_e64 v5, s1, v11, v5, s1
	global_load_b64 v[5:6], v[4:5], off
.LBB153_7:                              ;   in Loop: Header=BB153_5 Depth=1
	s_or_b32 exec_lo, exec_lo, s4
	v_add_nc_u32_e32 v4, s3, v7
	s_waitcnt vmcnt(0)
	ds_store_b64 v12, v[5:6]
	v_cmp_gt_i32_e64 s1, s6, v4
	s_delay_alu instid0(VALU_DEP_1) | instskip(NEXT) | instid1(SALU_CYCLE_1)
	s_and_b32 s1, s0, s1
	s_and_saveexec_b32 s4, s1
	s_cbranch_execz .LBB153_9
; %bb.8:                                ;   in Loop: Header=BB153_5 Depth=1
	v_ashrrev_i32_e32 v5, 31, v4
	s_delay_alu instid0(VALU_DEP_1) | instskip(NEXT) | instid1(VALU_DEP_1)
	v_lshlrev_b64 v[2:3], 3, v[4:5]
	v_add_co_u32 v2, s1, v14, v2
	s_delay_alu instid0(VALU_DEP_1)
	v_add_co_ci_u32_e64 v3, s1, v15, v3, s1
	global_load_b64 v[2:3], v[2:3], off
.LBB153_9:                              ;   in Loop: Header=BB153_5 Depth=1
	s_or_b32 exec_lo, exec_lo, s4
	s_waitcnt vmcnt(0)
	ds_store_b64 v16, v[2:3]
	s_waitcnt lgkmcnt(0)
	s_barrier
	buffer_gl0_inv
	s_and_saveexec_b32 s1, s2
	s_cbranch_execz .LBB153_4
; %bb.10:                               ;   in Loop: Header=BB153_5 Depth=1
	ds_load_2addr_b64 v[2:5], v13 offset1:32
	ds_load_b128 v[20:23], v9
	ds_load_b128 v[24:27], v9 offset:16
	s_waitcnt lgkmcnt(1)
	v_fma_f64 v[2:3], v[20:21], v[2:3], 0
	s_delay_alu instid0(VALU_DEP_1) | instskip(SKIP_3) | instid1(VALU_DEP_1)
	v_fma_f64 v[20:21], v[22:23], v[4:5], v[2:3]
	ds_load_2addr_b64 v[2:5], v13 offset0:64 offset1:96
	s_waitcnt lgkmcnt(0)
	v_fma_f64 v[2:3], v[24:25], v[2:3], v[20:21]
	v_fma_f64 v[28:29], v[26:27], v[4:5], v[2:3]
	ds_load_2addr_b64 v[2:5], v13 offset0:128 offset1:160
	ds_load_b128 v[20:23], v9 offset:32
	ds_load_b128 v[24:27], v9 offset:48
	s_waitcnt lgkmcnt(1)
	v_fma_f64 v[2:3], v[20:21], v[2:3], v[28:29]
	s_delay_alu instid0(VALU_DEP_1) | instskip(SKIP_3) | instid1(VALU_DEP_1)
	v_fma_f64 v[20:21], v[22:23], v[4:5], v[2:3]
	ds_load_2addr_b64 v[2:5], v13 offset0:192 offset1:224
	s_waitcnt lgkmcnt(0)
	v_fma_f64 v[2:3], v[24:25], v[2:3], v[20:21]
	v_fma_f64 v[28:29], v[26:27], v[4:5], v[2:3]
	ds_load_2addr_b64 v[2:5], v17 offset1:32
	ds_load_b128 v[20:23], v9 offset:64
	ds_load_b128 v[24:27], v9 offset:80
	s_waitcnt lgkmcnt(1)
	v_fma_f64 v[2:3], v[20:21], v[2:3], v[28:29]
	s_delay_alu instid0(VALU_DEP_1) | instskip(SKIP_3) | instid1(VALU_DEP_1)
	v_fma_f64 v[20:21], v[22:23], v[4:5], v[2:3]
	ds_load_2addr_b64 v[2:5], v17 offset0:64 offset1:96
	s_waitcnt lgkmcnt(0)
	v_fma_f64 v[2:3], v[24:25], v[2:3], v[20:21]
	v_fma_f64 v[28:29], v[26:27], v[4:5], v[2:3]
	ds_load_2addr_b64 v[2:5], v17 offset0:128 offset1:160
	ds_load_b128 v[20:23], v9 offset:96
	ds_load_b128 v[24:27], v9 offset:112
	s_waitcnt lgkmcnt(1)
	v_fma_f64 v[2:3], v[20:21], v[2:3], v[28:29]
	s_delay_alu instid0(VALU_DEP_1) | instskip(SKIP_3) | instid1(VALU_DEP_1)
	v_fma_f64 v[20:21], v[22:23], v[4:5], v[2:3]
	ds_load_2addr_b64 v[2:5], v17 offset0:192 offset1:224
	s_waitcnt lgkmcnt(0)
	v_fma_f64 v[2:3], v[24:25], v[2:3], v[20:21]
	v_fma_f64 v[28:29], v[26:27], v[4:5], v[2:3]
	ds_load_2addr_b64 v[2:5], v18 offset1:32
	ds_load_b128 v[20:23], v9 offset:128
	;; [unrolled: 22-line block ×3, first 2 shown]
	global_load_b64 v[30:31], v[0:1], off
	ds_load_b128 v[24:27], v9 offset:208
	s_waitcnt lgkmcnt(1)
	v_fma_f64 v[2:3], v[20:21], v[2:3], v[28:29]
	s_delay_alu instid0(VALU_DEP_1) | instskip(SKIP_3) | instid1(VALU_DEP_1)
	v_fma_f64 v[20:21], v[22:23], v[4:5], v[2:3]
	ds_load_2addr_b64 v[2:5], v19 offset0:64 offset1:96
	s_waitcnt lgkmcnt(0)
	v_fma_f64 v[2:3], v[24:25], v[2:3], v[20:21]
	v_fma_f64 v[28:29], v[26:27], v[4:5], v[2:3]
	ds_load_2addr_b64 v[2:5], v19 offset0:128 offset1:160
	ds_load_b128 v[20:23], v9 offset:224
	ds_load_b128 v[24:27], v9 offset:240
	s_waitcnt lgkmcnt(1)
	v_fma_f64 v[2:3], v[20:21], v[2:3], v[28:29]
	s_delay_alu instid0(VALU_DEP_1) | instskip(SKIP_3) | instid1(VALU_DEP_1)
	v_fma_f64 v[20:21], v[22:23], v[4:5], v[2:3]
	ds_load_2addr_b64 v[2:5], v19 offset0:192 offset1:224
	s_waitcnt lgkmcnt(0)
	v_fma_f64 v[2:3], v[24:25], v[2:3], v[20:21]
	v_fma_f64 v[2:3], v[26:27], v[4:5], v[2:3]
	s_waitcnt vmcnt(0)
	s_delay_alu instid0(VALU_DEP_1)
	v_fma_f64 v[2:3], s[8:9], v[2:3], v[30:31]
	global_store_b64 v[0:1], v[2:3], off
	s_branch .LBB153_4
.LBB153_11:
	s_endpgm
	.section	.rodata,"a",@progbits
	.p2align	6, 0x0
	.amdhsa_kernel _ZL26rocblas_syr2k_her2k_kernelIiLb0ELb0ELb1ELi32EPKdS1_PdEvbiT_T4_T5_S3_lS5_S3_lT6_S3_li
		.amdhsa_group_segment_fixed_size 16384
		.amdhsa_private_segment_fixed_size 0
		.amdhsa_kernarg_size 100
		.amdhsa_user_sgpr_count 13
		.amdhsa_user_sgpr_dispatch_ptr 0
		.amdhsa_user_sgpr_queue_ptr 0
		.amdhsa_user_sgpr_kernarg_segment_ptr 1
		.amdhsa_user_sgpr_dispatch_id 0
		.amdhsa_user_sgpr_private_segment_size 0
		.amdhsa_wavefront_size32 1
		.amdhsa_uses_dynamic_stack 0
		.amdhsa_enable_private_segment 0
		.amdhsa_system_sgpr_workgroup_id_x 1
		.amdhsa_system_sgpr_workgroup_id_y 1
		.amdhsa_system_sgpr_workgroup_id_z 1
		.amdhsa_system_sgpr_workgroup_info 0
		.amdhsa_system_vgpr_workitem_id 1
		.amdhsa_next_free_vgpr 32
		.amdhsa_next_free_sgpr 24
		.amdhsa_reserve_vcc 1
		.amdhsa_float_round_mode_32 0
		.amdhsa_float_round_mode_16_64 0
		.amdhsa_float_denorm_mode_32 3
		.amdhsa_float_denorm_mode_16_64 3
		.amdhsa_dx10_clamp 1
		.amdhsa_ieee_mode 1
		.amdhsa_fp16_overflow 0
		.amdhsa_workgroup_processor_mode 1
		.amdhsa_memory_ordered 1
		.amdhsa_forward_progress 0
		.amdhsa_shared_vgpr_count 0
		.amdhsa_exception_fp_ieee_invalid_op 0
		.amdhsa_exception_fp_denorm_src 0
		.amdhsa_exception_fp_ieee_div_zero 0
		.amdhsa_exception_fp_ieee_overflow 0
		.amdhsa_exception_fp_ieee_underflow 0
		.amdhsa_exception_fp_ieee_inexact 0
		.amdhsa_exception_int_div_zero 0
	.end_amdhsa_kernel
	.section	.text._ZL26rocblas_syr2k_her2k_kernelIiLb0ELb0ELb1ELi32EPKdS1_PdEvbiT_T4_T5_S3_lS5_S3_lT6_S3_li,"axG",@progbits,_ZL26rocblas_syr2k_her2k_kernelIiLb0ELb0ELb1ELi32EPKdS1_PdEvbiT_T4_T5_S3_lS5_S3_lT6_S3_li,comdat
.Lfunc_end153:
	.size	_ZL26rocblas_syr2k_her2k_kernelIiLb0ELb0ELb1ELi32EPKdS1_PdEvbiT_T4_T5_S3_lS5_S3_lT6_S3_li, .Lfunc_end153-_ZL26rocblas_syr2k_her2k_kernelIiLb0ELb0ELb1ELi32EPKdS1_PdEvbiT_T4_T5_S3_lS5_S3_lT6_S3_li
                                        ; -- End function
	.section	.AMDGPU.csdata,"",@progbits
; Kernel info:
; codeLenInByte = 1420
; NumSgprs: 26
; NumVgprs: 32
; ScratchSize: 0
; MemoryBound: 0
; FloatMode: 240
; IeeeMode: 1
; LDSByteSize: 16384 bytes/workgroup (compile time only)
; SGPRBlocks: 3
; VGPRBlocks: 3
; NumSGPRsForWavesPerEU: 26
; NumVGPRsForWavesPerEU: 32
; Occupancy: 16
; WaveLimiterHint : 0
; COMPUTE_PGM_RSRC2:SCRATCH_EN: 0
; COMPUTE_PGM_RSRC2:USER_SGPR: 13
; COMPUTE_PGM_RSRC2:TRAP_HANDLER: 0
; COMPUTE_PGM_RSRC2:TGID_X_EN: 1
; COMPUTE_PGM_RSRC2:TGID_Y_EN: 1
; COMPUTE_PGM_RSRC2:TGID_Z_EN: 1
; COMPUTE_PGM_RSRC2:TIDIG_COMP_CNT: 1
	.section	.text._ZL26rocblas_syr2k_her2k_kernelIiLb0ELb0ELb0ELi32E19rocblas_complex_numIfEPKS1_PS1_EvbiT_T4_T5_S5_lS7_S5_lT6_S5_li,"axG",@progbits,_ZL26rocblas_syr2k_her2k_kernelIiLb0ELb0ELb0ELi32E19rocblas_complex_numIfEPKS1_PS1_EvbiT_T4_T5_S5_lS7_S5_lT6_S5_li,comdat
	.globl	_ZL26rocblas_syr2k_her2k_kernelIiLb0ELb0ELb0ELi32E19rocblas_complex_numIfEPKS1_PS1_EvbiT_T4_T5_S5_lS7_S5_lT6_S5_li ; -- Begin function _ZL26rocblas_syr2k_her2k_kernelIiLb0ELb0ELb0ELi32E19rocblas_complex_numIfEPKS1_PS1_EvbiT_T4_T5_S5_lS7_S5_lT6_S5_li
	.p2align	8
	.type	_ZL26rocblas_syr2k_her2k_kernelIiLb0ELb0ELb0ELi32E19rocblas_complex_numIfEPKS1_PS1_EvbiT_T4_T5_S5_lS7_S5_lT6_S5_li,@function
_ZL26rocblas_syr2k_her2k_kernelIiLb0ELb0ELb0ELi32E19rocblas_complex_numIfEPKS1_PS1_EvbiT_T4_T5_S5_lS7_S5_lT6_S5_li: ; @_ZL26rocblas_syr2k_her2k_kernelIiLb0ELb0ELb0ELi32E19rocblas_complex_numIfEPKS1_PS1_EvbiT_T4_T5_S5_lS7_S5_lT6_S5_li
; %bb.0:
	s_clause 0x1
	s_load_b128 s[4:7], s[0:1], 0x0
	s_load_b32 s3, s[0:1], 0x10
	s_waitcnt lgkmcnt(0)
	v_cmp_eq_f32_e64 s2, s7, 0
	v_cmp_eq_f32_e64 s8, s3, 0
	s_delay_alu instid0(VALU_DEP_1) | instskip(NEXT) | instid1(SALU_CYCLE_1)
	s_and_b32 s2, s2, s8
	s_and_b32 vcc_lo, exec_lo, s2
	s_cbranch_vccnz .LBB154_11
; %bb.1:
	s_and_b32 s8, 1, s4
	s_lshl_b32 s2, s14, 5
	s_lshl_b32 s4, s13, 5
	s_cmp_eq_u32 s8, 1
	s_cselect_b32 vcc_lo, -1, 0
	s_delay_alu instid0(SALU_CYCLE_1) | instskip(SKIP_2) | instid1(SALU_CYCLE_1)
	s_and_b32 s8, vcc_lo, exec_lo
	s_cselect_b32 s8, s4, s2
	s_cselect_b32 s9, s2, s4
	s_cmp_gt_i32 s8, s9
	s_cbranch_scc1 .LBB154_11
; %bb.2:
	s_cmp_lt_i32 s6, 1
	s_cbranch_scc1 .LBB154_11
; %bb.3:
	s_clause 0x1
	s_load_b128 s[16:19], s[0:1], 0x28
	s_load_b128 s[8:11], s[0:1], 0x40
	v_bfe_u32 v6, v0, 10, 10
	v_and_b32_e32 v7, 0x3ff, v0
	s_clause 0x1
	s_load_b64 s[20:21], s[0:1], 0x58
	s_load_b64 s[22:23], s[0:1], 0x18
	v_add_nc_u32_e32 v0, s2, v6
	v_add_nc_u32_e32 v1, s4, v7
	s_clause 0x2
	s_load_b32 s4, s[0:1], 0x20
	s_load_b32 s12, s[0:1], 0x38
	;; [unrolled: 1-line block ×3, first 2 shown]
	v_lshlrev_b32_e32 v12, 3, v6
	v_dual_cndmask_b32 v17, v0, v1 :: v_dual_lshlrev_b32 v8, 8, v7
	v_ashrrev_i32_e32 v2, 31, v1
	v_cndmask_b32_e32 v16, v1, v0, vcc_lo
	v_cmp_gt_i32_e32 vcc_lo, s5, v1
	s_delay_alu instid0(VALU_DEP_4)
	v_add_nc_u32_e32 v11, v8, v12
	v_or_b32_e32 v12, 0x2000, v12
	v_lshlrev_b64 v[2:3], 3, v[1:2]
	s_waitcnt lgkmcnt(0)
	s_mul_i32 s1, s15, s17
	s_mul_hi_u32 s13, s15, s16
	s_mul_i32 s0, s15, s16
	s_add_i32 s1, s13, s1
	s_mul_i32 s9, s15, s9
	s_lshl_b64 s[0:1], s[0:1], 3
	s_mul_hi_u32 s14, s15, s8
	s_add_u32 s16, s22, s0
	s_mul_i32 s8, s15, s8
	s_addc_u32 s17, s23, s1
	s_add_i32 s9, s14, s9
	s_mul_i32 s13, s15, s21
	s_lshl_b64 s[0:1], s[8:9], 3
	s_mul_hi_u32 s14, s15, s20
	s_mul_i32 s8, s15, s20
	s_add_u32 s15, s18, s0
	v_mad_i64_i32 v[4:5], null, s2, v0, 0
	s_addc_u32 s18, s19, s1
	s_add_i32 s9, s14, s13
	v_ashrrev_i32_e32 v1, 31, v0
	s_lshl_b64 s[0:1], s[8:9], 3
	v_add_nc_u32_e32 v15, v12, v8
	s_add_u32 s8, s10, s0
	v_add_co_u32 v9, s0, s16, v2
	s_delay_alu instid0(VALU_DEP_1)
	v_add_co_ci_u32_e64 v10, s0, s17, v3, s0
	v_lshlrev_b64 v[13:14], 3, v[0:1]
	v_cmp_gt_i32_e64 s0, s5, v0
	v_lshlrev_b64 v[0:1], 3, v[4:5]
	s_addc_u32 s9, s11, s1
	v_add_nc_u32_e32 v18, 0x1800, v12
	s_delay_alu instid0(VALU_DEP_4) | instskip(NEXT) | instid1(VALU_DEP_3)
	v_add_co_u32 v13, s1, s15, v13
	v_add_co_u32 v0, s2, s8, v0
	s_delay_alu instid0(VALU_DEP_1) | instskip(SKIP_2) | instid1(VALU_DEP_4)
	v_add_co_ci_u32_e64 v1, s2, s9, v1, s2
	v_add_co_ci_u32_e64 v14, s1, s18, v14, s1
	v_cmp_le_i32_e64 s1, v17, v16
	v_add_co_u32 v0, s2, v0, v2
	s_delay_alu instid0(VALU_DEP_1) | instskip(SKIP_3) | instid1(SALU_CYCLE_1)
	v_add_co_ci_u32_e64 v1, s2, v1, v3, s2
	v_add_nc_u32_e32 v16, 0x800, v12
	v_add_nc_u32_e32 v17, 0x1000, v12
	s_and_b32 s5, s0, vcc_lo
	s_and_b32 s2, s5, s1
	s_mov_b32 s5, 0
	s_branch .LBB154_5
.LBB154_4:                              ;   in Loop: Header=BB154_5 Depth=1
	s_or_b32 exec_lo, exec_lo, s1
	s_add_i32 s5, s5, 32
	s_waitcnt_vscnt null, 0x0
	s_cmp_lt_i32 s5, s6
	s_barrier
	buffer_gl0_inv
	s_cbranch_scc0 .LBB154_11
.LBB154_5:                              ; =>This Inner Loop Header: Depth=1
	v_dual_mov_b32 v2, 0 :: v_dual_add_nc_u32 v3, s5, v6
	v_dual_mov_b32 v4, 0 :: v_dual_mov_b32 v5, 0
	s_delay_alu instid0(VALU_DEP_2) | instskip(NEXT) | instid1(VALU_DEP_1)
	v_cmp_gt_i32_e64 s1, s6, v3
	s_and_b32 s1, vcc_lo, s1
	s_delay_alu instid0(SALU_CYCLE_1)
	s_and_saveexec_b32 s8, s1
	s_cbranch_execz .LBB154_7
; %bb.6:                                ;   in Loop: Header=BB154_5 Depth=1
	v_mad_i64_i32 v[4:5], null, v3, s4, 0
	s_delay_alu instid0(VALU_DEP_1) | instskip(NEXT) | instid1(VALU_DEP_1)
	v_lshlrev_b64 v[3:4], 3, v[4:5]
	v_add_co_u32 v3, s1, v9, v3
	s_delay_alu instid0(VALU_DEP_1)
	v_add_co_ci_u32_e64 v4, s1, v10, v4, s1
	global_load_b64 v[4:5], v[3:4], off
.LBB154_7:                              ;   in Loop: Header=BB154_5 Depth=1
	s_or_b32 exec_lo, exec_lo, s8
	v_add_nc_u32_e32 v19, s5, v7
	v_mov_b32_e32 v3, 0
	s_waitcnt vmcnt(0)
	ds_store_b64 v11, v[4:5]
	v_cmp_gt_i32_e64 s1, s6, v19
	s_delay_alu instid0(VALU_DEP_1) | instskip(NEXT) | instid1(SALU_CYCLE_1)
	s_and_b32 s1, s0, s1
	s_and_saveexec_b32 s8, s1
	s_cbranch_execz .LBB154_9
; %bb.8:                                ;   in Loop: Header=BB154_5 Depth=1
	v_mad_i64_i32 v[2:3], null, v19, s12, 0
	s_delay_alu instid0(VALU_DEP_1) | instskip(NEXT) | instid1(VALU_DEP_1)
	v_lshlrev_b64 v[2:3], 3, v[2:3]
	v_add_co_u32 v2, s1, v13, v2
	s_delay_alu instid0(VALU_DEP_1)
	v_add_co_ci_u32_e64 v3, s1, v14, v3, s1
	global_load_b64 v[2:3], v[2:3], off
.LBB154_9:                              ;   in Loop: Header=BB154_5 Depth=1
	s_or_b32 exec_lo, exec_lo, s8
	s_waitcnt vmcnt(0)
	ds_store_b64 v15, v[2:3]
	s_waitcnt lgkmcnt(0)
	s_barrier
	buffer_gl0_inv
	s_and_saveexec_b32 s1, s2
	s_cbranch_execz .LBB154_4
; %bb.10:                               ;   in Loop: Header=BB154_5 Depth=1
	ds_load_b128 v[2:5], v8
	ds_load_b128 v[19:22], v8 offset:16
	ds_load_b128 v[23:26], v8 offset:32
	;; [unrolled: 1-line block ×3, first 2 shown]
	ds_load_2addr_b64 v[31:34], v12 offset1:32
	s_waitcnt lgkmcnt(0)
	v_mul_f32_e32 v35, v32, v3
	v_mul_f32_e32 v3, v31, v3
	s_delay_alu instid0(VALU_DEP_2) | instskip(NEXT) | instid1(VALU_DEP_2)
	v_fma_f32 v35, v31, v2, -v35
	v_fmac_f32_e32 v3, v32, v2
	v_mul_f32_e32 v31, v34, v5
	s_delay_alu instid0(VALU_DEP_3) | instskip(NEXT) | instid1(VALU_DEP_3)
	v_dual_mul_f32 v5, v33, v5 :: v_dual_add_f32 v2, 0, v35
	v_add_f32_e32 v3, 0, v3
	s_delay_alu instid0(VALU_DEP_3) | instskip(NEXT) | instid1(VALU_DEP_3)
	v_fma_f32 v31, v33, v4, -v31
	v_fmac_f32_e32 v5, v34, v4
	s_delay_alu instid0(VALU_DEP_1) | instskip(SKIP_3) | instid1(VALU_DEP_1)
	v_dual_add_f32 v31, v2, v31 :: v_dual_add_f32 v32, v3, v5
	ds_load_2addr_b64 v[2:5], v12 offset0:64 offset1:96
	s_waitcnt lgkmcnt(0)
	v_mul_f32_e32 v33, v3, v20
	v_fma_f32 v33, v2, v19, -v33
	v_mul_f32_e32 v2, v2, v20
	s_delay_alu instid0(VALU_DEP_1) | instskip(NEXT) | instid1(VALU_DEP_1)
	v_dual_fmac_f32 v2, v3, v19 :: v_dual_mul_f32 v19, v5, v22
	v_add_f32_e32 v2, v32, v2
	s_delay_alu instid0(VALU_DEP_2) | instskip(SKIP_1) | instid1(VALU_DEP_1)
	v_fma_f32 v19, v4, v21, -v19
	v_mul_f32_e32 v4, v4, v22
	v_fmac_f32_e32 v4, v5, v21
	s_delay_alu instid0(VALU_DEP_1) | instskip(NEXT) | instid1(VALU_DEP_1)
	v_dual_add_f32 v3, v31, v33 :: v_dual_add_f32 v20, v2, v4
	v_add_f32_e32 v19, v3, v19
	ds_load_2addr_b64 v[2:5], v12 offset0:128 offset1:160
	s_waitcnt lgkmcnt(0)
	v_mul_f32_e32 v21, v3, v24
	s_delay_alu instid0(VALU_DEP_1) | instskip(SKIP_1) | instid1(VALU_DEP_1)
	v_fma_f32 v21, v2, v23, -v21
	v_mul_f32_e32 v2, v2, v24
	v_fmac_f32_e32 v2, v3, v23
	s_delay_alu instid0(VALU_DEP_1) | instskip(SKIP_1) | instid1(VALU_DEP_1)
	v_dual_add_f32 v2, v20, v2 :: v_dual_add_f32 v3, v19, v21
	v_mul_f32_e32 v19, v5, v26
	v_fma_f32 v19, v4, v25, -v19
	v_mul_f32_e32 v4, v4, v26
	s_delay_alu instid0(VALU_DEP_1) | instskip(NEXT) | instid1(VALU_DEP_1)
	v_fmac_f32_e32 v4, v5, v25
	v_dual_add_f32 v20, v2, v4 :: v_dual_add_f32 v19, v3, v19
	ds_load_2addr_b64 v[2:5], v12 offset0:192 offset1:224
	s_waitcnt lgkmcnt(0)
	v_mul_f32_e32 v21, v3, v28
	s_delay_alu instid0(VALU_DEP_1) | instskip(SKIP_1) | instid1(VALU_DEP_1)
	v_fma_f32 v21, v2, v27, -v21
	v_mul_f32_e32 v2, v2, v28
	v_fmac_f32_e32 v2, v3, v27
	s_delay_alu instid0(VALU_DEP_1) | instskip(SKIP_1) | instid1(VALU_DEP_1)
	v_dual_add_f32 v2, v20, v2 :: v_dual_add_f32 v3, v19, v21
	v_mul_f32_e32 v19, v5, v30
	v_fma_f32 v19, v4, v29, -v19
	v_mul_f32_e32 v4, v4, v30
	s_delay_alu instid0(VALU_DEP_1) | instskip(NEXT) | instid1(VALU_DEP_1)
	v_fmac_f32_e32 v4, v5, v29
	v_dual_add_f32 v24, v2, v4 :: v_dual_add_f32 v23, v3, v19
	ds_load_b128 v[2:5], v8 offset:64
	ds_load_2addr_b64 v[19:22], v16 offset1:32
	s_waitcnt lgkmcnt(0)
	v_mul_f32_e32 v25, v20, v3
	v_mul_f32_e32 v3, v19, v3
	s_delay_alu instid0(VALU_DEP_2) | instskip(SKIP_1) | instid1(VALU_DEP_3)
	v_fma_f32 v25, v19, v2, -v25
	v_mul_f32_e32 v19, v22, v5
	v_fmac_f32_e32 v3, v20, v2
	v_mul_f32_e32 v5, v21, v5
	s_delay_alu instid0(VALU_DEP_4) | instskip(NEXT) | instid1(VALU_DEP_4)
	v_add_f32_e32 v2, v23, v25
	v_fma_f32 v19, v21, v4, -v19
	s_delay_alu instid0(VALU_DEP_3) | instskip(NEXT) | instid1(VALU_DEP_2)
	v_fmac_f32_e32 v5, v22, v4
	v_add_f32_e32 v23, v2, v19
	v_add_f32_e32 v3, v24, v3
	s_delay_alu instid0(VALU_DEP_1)
	v_add_f32_e32 v24, v3, v5
	ds_load_b128 v[2:5], v8 offset:80
	ds_load_2addr_b64 v[19:22], v16 offset0:64 offset1:96
	s_waitcnt lgkmcnt(0)
	v_mul_f32_e32 v25, v20, v3
	v_mul_f32_e32 v3, v19, v3
	s_delay_alu instid0(VALU_DEP_2) | instskip(NEXT) | instid1(VALU_DEP_2)
	v_fma_f32 v25, v19, v2, -v25
	v_fmac_f32_e32 v3, v20, v2
	v_mul_f32_e32 v19, v22, v5
	v_mul_f32_e32 v5, v21, v5
	s_delay_alu instid0(VALU_DEP_3) | instskip(NEXT) | instid1(VALU_DEP_3)
	v_add_f32_e32 v3, v24, v3
	v_fma_f32 v19, v21, v4, -v19
	s_delay_alu instid0(VALU_DEP_3) | instskip(NEXT) | instid1(VALU_DEP_1)
	v_fmac_f32_e32 v5, v22, v4
	v_add_f32_e32 v24, v3, v5
	v_add_f32_e32 v2, v23, v25
	s_delay_alu instid0(VALU_DEP_1)
	v_add_f32_e32 v23, v2, v19
	ds_load_b128 v[2:5], v8 offset:96
	ds_load_2addr_b64 v[19:22], v16 offset0:128 offset1:160
	s_waitcnt lgkmcnt(0)
	v_mul_f32_e32 v25, v20, v3
	v_mul_f32_e32 v3, v19, v3
	s_delay_alu instid0(VALU_DEP_2) | instskip(NEXT) | instid1(VALU_DEP_2)
	v_fma_f32 v25, v19, v2, -v25
	v_fmac_f32_e32 v3, v20, v2
	v_mul_f32_e32 v19, v22, v5
	v_mul_f32_e32 v5, v21, v5
	s_delay_alu instid0(VALU_DEP_3) | instskip(NEXT) | instid1(VALU_DEP_3)
	v_dual_add_f32 v2, v23, v25 :: v_dual_add_f32 v3, v24, v3
	v_fma_f32 v19, v21, v4, -v19
	s_delay_alu instid0(VALU_DEP_3) | instskip(NEXT) | instid1(VALU_DEP_1)
	v_fmac_f32_e32 v5, v22, v4
	v_dual_add_f32 v23, v2, v19 :: v_dual_add_f32 v24, v3, v5
	ds_load_b128 v[2:5], v8 offset:112
	ds_load_2addr_b64 v[19:22], v16 offset0:192 offset1:224
	s_waitcnt lgkmcnt(0)
	v_mul_f32_e32 v25, v20, v3
	v_mul_f32_e32 v3, v19, v3
	s_delay_alu instid0(VALU_DEP_2) | instskip(NEXT) | instid1(VALU_DEP_2)
	v_fma_f32 v25, v19, v2, -v25
	v_fmac_f32_e32 v3, v20, v2
	v_mul_f32_e32 v19, v22, v5
	v_mul_f32_e32 v5, v21, v5
	s_delay_alu instid0(VALU_DEP_3) | instskip(NEXT) | instid1(VALU_DEP_3)
	v_dual_add_f32 v2, v23, v25 :: v_dual_add_f32 v3, v24, v3
	v_fma_f32 v19, v21, v4, -v19
	s_delay_alu instid0(VALU_DEP_3) | instskip(NEXT) | instid1(VALU_DEP_1)
	v_fmac_f32_e32 v5, v22, v4
	v_dual_add_f32 v23, v2, v19 :: v_dual_add_f32 v24, v3, v5
	ds_load_b128 v[2:5], v8 offset:128
	ds_load_2addr_b64 v[19:22], v17 offset1:32
	s_waitcnt lgkmcnt(0)
	v_mul_f32_e32 v25, v20, v3
	v_mul_f32_e32 v3, v19, v3
	s_delay_alu instid0(VALU_DEP_2) | instskip(NEXT) | instid1(VALU_DEP_2)
	v_fma_f32 v25, v19, v2, -v25
	v_fmac_f32_e32 v3, v20, v2
	v_mul_f32_e32 v19, v22, v5
	v_mul_f32_e32 v5, v21, v5
	s_delay_alu instid0(VALU_DEP_3) | instskip(NEXT) | instid1(VALU_DEP_3)
	v_dual_add_f32 v2, v23, v25 :: v_dual_add_f32 v3, v24, v3
	v_fma_f32 v19, v21, v4, -v19
	s_delay_alu instid0(VALU_DEP_3) | instskip(NEXT) | instid1(VALU_DEP_1)
	v_fmac_f32_e32 v5, v22, v4
	v_dual_add_f32 v23, v2, v19 :: v_dual_add_f32 v24, v3, v5
	ds_load_b128 v[2:5], v8 offset:144
	ds_load_2addr_b64 v[19:22], v17 offset0:64 offset1:96
	s_waitcnt lgkmcnt(0)
	v_mul_f32_e32 v25, v20, v3
	v_mul_f32_e32 v3, v19, v3
	s_delay_alu instid0(VALU_DEP_2) | instskip(NEXT) | instid1(VALU_DEP_2)
	v_fma_f32 v25, v19, v2, -v25
	v_fmac_f32_e32 v3, v20, v2
	v_mul_f32_e32 v19, v22, v5
	v_mul_f32_e32 v5, v21, v5
	s_delay_alu instid0(VALU_DEP_3) | instskip(NEXT) | instid1(VALU_DEP_3)
	v_dual_add_f32 v2, v23, v25 :: v_dual_add_f32 v3, v24, v3
	v_fma_f32 v19, v21, v4, -v19
	s_delay_alu instid0(VALU_DEP_3) | instskip(NEXT) | instid1(VALU_DEP_1)
	v_fmac_f32_e32 v5, v22, v4
	v_dual_add_f32 v23, v2, v19 :: v_dual_add_f32 v24, v3, v5
	ds_load_b128 v[2:5], v8 offset:160
	ds_load_2addr_b64 v[19:22], v17 offset0:128 offset1:160
	;; [unrolled: 16-line block ×3, first 2 shown]
	s_waitcnt lgkmcnt(0)
	v_mul_f32_e32 v25, v20, v3
	v_mul_f32_e32 v3, v19, v3
	s_delay_alu instid0(VALU_DEP_2) | instskip(NEXT) | instid1(VALU_DEP_2)
	v_fma_f32 v25, v19, v2, -v25
	v_fmac_f32_e32 v3, v20, v2
	v_mul_f32_e32 v19, v22, v5
	v_mul_f32_e32 v5, v21, v5
	s_delay_alu instid0(VALU_DEP_3) | instskip(NEXT) | instid1(VALU_DEP_3)
	v_dual_add_f32 v2, v23, v25 :: v_dual_add_f32 v3, v24, v3
	v_fma_f32 v19, v21, v4, -v19
	s_delay_alu instid0(VALU_DEP_3) | instskip(NEXT) | instid1(VALU_DEP_1)
	v_fmac_f32_e32 v5, v22, v4
	v_dual_add_f32 v23, v2, v19 :: v_dual_add_f32 v24, v3, v5
	ds_load_b128 v[2:5], v8 offset:192
	ds_load_2addr_b64 v[19:22], v18 offset1:32
	s_waitcnt lgkmcnt(0)
	v_mul_f32_e32 v25, v20, v3
	v_mul_f32_e32 v3, v19, v3
	s_delay_alu instid0(VALU_DEP_2) | instskip(NEXT) | instid1(VALU_DEP_2)
	v_fma_f32 v25, v19, v2, -v25
	v_fmac_f32_e32 v3, v20, v2
	v_mul_f32_e32 v19, v22, v5
	v_mul_f32_e32 v5, v21, v5
	s_delay_alu instid0(VALU_DEP_3) | instskip(NEXT) | instid1(VALU_DEP_3)
	v_dual_add_f32 v2, v23, v25 :: v_dual_add_f32 v3, v24, v3
	v_fma_f32 v19, v21, v4, -v19
	s_delay_alu instid0(VALU_DEP_3) | instskip(NEXT) | instid1(VALU_DEP_1)
	v_fmac_f32_e32 v5, v22, v4
	v_dual_add_f32 v23, v2, v19 :: v_dual_add_f32 v24, v3, v5
	ds_load_b128 v[2:5], v8 offset:208
	ds_load_2addr_b64 v[19:22], v18 offset0:64 offset1:96
	s_waitcnt lgkmcnt(0)
	v_mul_f32_e32 v25, v20, v3
	v_mul_f32_e32 v3, v19, v3
	s_delay_alu instid0(VALU_DEP_2) | instskip(NEXT) | instid1(VALU_DEP_2)
	v_fma_f32 v25, v19, v2, -v25
	v_fmac_f32_e32 v3, v20, v2
	v_mul_f32_e32 v19, v22, v5
	v_mul_f32_e32 v5, v21, v5
	s_delay_alu instid0(VALU_DEP_3) | instskip(NEXT) | instid1(VALU_DEP_3)
	v_dual_add_f32 v2, v23, v25 :: v_dual_add_f32 v3, v24, v3
	v_fma_f32 v19, v21, v4, -v19
	s_delay_alu instid0(VALU_DEP_3) | instskip(NEXT) | instid1(VALU_DEP_1)
	v_fmac_f32_e32 v5, v22, v4
	v_dual_add_f32 v23, v2, v19 :: v_dual_add_f32 v24, v3, v5
	ds_load_b128 v[2:5], v8 offset:224
	ds_load_2addr_b64 v[19:22], v18 offset0:128 offset1:160
	s_waitcnt lgkmcnt(0)
	v_mul_f32_e32 v25, v20, v3
	v_mul_f32_e32 v3, v19, v3
	s_delay_alu instid0(VALU_DEP_2) | instskip(NEXT) | instid1(VALU_DEP_2)
	v_fma_f32 v25, v19, v2, -v25
	v_fmac_f32_e32 v3, v20, v2
	v_mul_f32_e32 v19, v22, v5
	v_mul_f32_e32 v5, v21, v5
	s_delay_alu instid0(VALU_DEP_3) | instskip(NEXT) | instid1(VALU_DEP_3)
	v_dual_add_f32 v2, v23, v25 :: v_dual_add_f32 v3, v24, v3
	v_fma_f32 v19, v21, v4, -v19
	s_delay_alu instid0(VALU_DEP_3) | instskip(NEXT) | instid1(VALU_DEP_1)
	v_fmac_f32_e32 v5, v22, v4
	v_dual_add_f32 v23, v2, v19 :: v_dual_add_f32 v24, v3, v5
	ds_load_b128 v[2:5], v8 offset:240
	ds_load_2addr_b64 v[19:22], v18 offset0:192 offset1:224
	s_waitcnt lgkmcnt(0)
	v_mul_f32_e32 v25, v20, v3
	v_mul_f32_e32 v3, v19, v3
	s_delay_alu instid0(VALU_DEP_2) | instskip(NEXT) | instid1(VALU_DEP_2)
	v_fma_f32 v25, v19, v2, -v25
	v_fmac_f32_e32 v3, v20, v2
	v_mul_f32_e32 v19, v22, v5
	v_mul_f32_e32 v5, v21, v5
	s_delay_alu instid0(VALU_DEP_3) | instskip(NEXT) | instid1(VALU_DEP_3)
	v_dual_add_f32 v2, v23, v25 :: v_dual_add_f32 v3, v24, v3
	v_fma_f32 v19, v21, v4, -v19
	s_delay_alu instid0(VALU_DEP_3) | instskip(NEXT) | instid1(VALU_DEP_1)
	v_fmac_f32_e32 v5, v22, v4
	v_dual_add_f32 v4, v2, v19 :: v_dual_add_f32 v5, v3, v5
	s_delay_alu instid0(VALU_DEP_1) | instskip(NEXT) | instid1(VALU_DEP_1)
	v_dual_mul_f32 v3, s3, v4 :: v_dual_mul_f32 v2, s3, v5
	v_fmac_f32_e32 v3, s7, v5
	s_delay_alu instid0(VALU_DEP_2)
	v_fma_f32 v2, s7, v4, -v2
	global_load_b64 v[4:5], v[0:1], off
	s_waitcnt vmcnt(0)
	v_dual_add_f32 v2, v4, v2 :: v_dual_add_f32 v3, v5, v3
	global_store_b64 v[0:1], v[2:3], off
	s_branch .LBB154_4
.LBB154_11:
	s_endpgm
	.section	.rodata,"a",@progbits
	.p2align	6, 0x0
	.amdhsa_kernel _ZL26rocblas_syr2k_her2k_kernelIiLb0ELb0ELb0ELi32E19rocblas_complex_numIfEPKS1_PS1_EvbiT_T4_T5_S5_lS7_S5_lT6_S5_li
		.amdhsa_group_segment_fixed_size 16384
		.amdhsa_private_segment_fixed_size 0
		.amdhsa_kernarg_size 100
		.amdhsa_user_sgpr_count 13
		.amdhsa_user_sgpr_dispatch_ptr 0
		.amdhsa_user_sgpr_queue_ptr 0
		.amdhsa_user_sgpr_kernarg_segment_ptr 1
		.amdhsa_user_sgpr_dispatch_id 0
		.amdhsa_user_sgpr_private_segment_size 0
		.amdhsa_wavefront_size32 1
		.amdhsa_uses_dynamic_stack 0
		.amdhsa_enable_private_segment 0
		.amdhsa_system_sgpr_workgroup_id_x 1
		.amdhsa_system_sgpr_workgroup_id_y 1
		.amdhsa_system_sgpr_workgroup_id_z 1
		.amdhsa_system_sgpr_workgroup_info 0
		.amdhsa_system_vgpr_workitem_id 1
		.amdhsa_next_free_vgpr 36
		.amdhsa_next_free_sgpr 24
		.amdhsa_reserve_vcc 1
		.amdhsa_float_round_mode_32 0
		.amdhsa_float_round_mode_16_64 0
		.amdhsa_float_denorm_mode_32 3
		.amdhsa_float_denorm_mode_16_64 3
		.amdhsa_dx10_clamp 1
		.amdhsa_ieee_mode 1
		.amdhsa_fp16_overflow 0
		.amdhsa_workgroup_processor_mode 1
		.amdhsa_memory_ordered 1
		.amdhsa_forward_progress 0
		.amdhsa_shared_vgpr_count 0
		.amdhsa_exception_fp_ieee_invalid_op 0
		.amdhsa_exception_fp_denorm_src 0
		.amdhsa_exception_fp_ieee_div_zero 0
		.amdhsa_exception_fp_ieee_overflow 0
		.amdhsa_exception_fp_ieee_underflow 0
		.amdhsa_exception_fp_ieee_inexact 0
		.amdhsa_exception_int_div_zero 0
	.end_amdhsa_kernel
	.section	.text._ZL26rocblas_syr2k_her2k_kernelIiLb0ELb0ELb0ELi32E19rocblas_complex_numIfEPKS1_PS1_EvbiT_T4_T5_S5_lS7_S5_lT6_S5_li,"axG",@progbits,_ZL26rocblas_syr2k_her2k_kernelIiLb0ELb0ELb0ELi32E19rocblas_complex_numIfEPKS1_PS1_EvbiT_T4_T5_S5_lS7_S5_lT6_S5_li,comdat
.Lfunc_end154:
	.size	_ZL26rocblas_syr2k_her2k_kernelIiLb0ELb0ELb0ELi32E19rocblas_complex_numIfEPKS1_PS1_EvbiT_T4_T5_S5_lS7_S5_lT6_S5_li, .Lfunc_end154-_ZL26rocblas_syr2k_her2k_kernelIiLb0ELb0ELb0ELi32E19rocblas_complex_numIfEPKS1_PS1_EvbiT_T4_T5_S5_lS7_S5_lT6_S5_li
                                        ; -- End function
	.section	.AMDGPU.csdata,"",@progbits
; Kernel info:
; codeLenInByte = 2248
; NumSgprs: 26
; NumVgprs: 36
; ScratchSize: 0
; MemoryBound: 0
; FloatMode: 240
; IeeeMode: 1
; LDSByteSize: 16384 bytes/workgroup (compile time only)
; SGPRBlocks: 3
; VGPRBlocks: 4
; NumSGPRsForWavesPerEU: 26
; NumVGPRsForWavesPerEU: 36
; Occupancy: 16
; WaveLimiterHint : 0
; COMPUTE_PGM_RSRC2:SCRATCH_EN: 0
; COMPUTE_PGM_RSRC2:USER_SGPR: 13
; COMPUTE_PGM_RSRC2:TRAP_HANDLER: 0
; COMPUTE_PGM_RSRC2:TGID_X_EN: 1
; COMPUTE_PGM_RSRC2:TGID_Y_EN: 1
; COMPUTE_PGM_RSRC2:TGID_Z_EN: 1
; COMPUTE_PGM_RSRC2:TIDIG_COMP_CNT: 1
	.section	.text._ZL26rocblas_syr2k_her2k_kernelIiLb0ELb0ELb1ELi32E19rocblas_complex_numIfEPKS1_PS1_EvbiT_T4_T5_S5_lS7_S5_lT6_S5_li,"axG",@progbits,_ZL26rocblas_syr2k_her2k_kernelIiLb0ELb0ELb1ELi32E19rocblas_complex_numIfEPKS1_PS1_EvbiT_T4_T5_S5_lS7_S5_lT6_S5_li,comdat
	.globl	_ZL26rocblas_syr2k_her2k_kernelIiLb0ELb0ELb1ELi32E19rocblas_complex_numIfEPKS1_PS1_EvbiT_T4_T5_S5_lS7_S5_lT6_S5_li ; -- Begin function _ZL26rocblas_syr2k_her2k_kernelIiLb0ELb0ELb1ELi32E19rocblas_complex_numIfEPKS1_PS1_EvbiT_T4_T5_S5_lS7_S5_lT6_S5_li
	.p2align	8
	.type	_ZL26rocblas_syr2k_her2k_kernelIiLb0ELb0ELb1ELi32E19rocblas_complex_numIfEPKS1_PS1_EvbiT_T4_T5_S5_lS7_S5_lT6_S5_li,@function
_ZL26rocblas_syr2k_her2k_kernelIiLb0ELb0ELb1ELi32E19rocblas_complex_numIfEPKS1_PS1_EvbiT_T4_T5_S5_lS7_S5_lT6_S5_li: ; @_ZL26rocblas_syr2k_her2k_kernelIiLb0ELb0ELb1ELi32E19rocblas_complex_numIfEPKS1_PS1_EvbiT_T4_T5_S5_lS7_S5_lT6_S5_li
; %bb.0:
	s_clause 0x1
	s_load_b128 s[4:7], s[0:1], 0x0
	s_load_b32 s3, s[0:1], 0x10
	s_waitcnt lgkmcnt(0)
	v_cmp_eq_f32_e64 s2, s7, 0
	v_cmp_eq_f32_e64 s8, s3, 0
	s_delay_alu instid0(VALU_DEP_1) | instskip(NEXT) | instid1(SALU_CYCLE_1)
	s_and_b32 s2, s2, s8
	s_and_b32 vcc_lo, exec_lo, s2
	s_cbranch_vccnz .LBB155_11
; %bb.1:
	s_and_b32 s8, 1, s4
	s_lshl_b32 s2, s14, 5
	s_lshl_b32 s4, s13, 5
	s_cmp_eq_u32 s8, 1
	s_cselect_b32 vcc_lo, -1, 0
	s_delay_alu instid0(SALU_CYCLE_1) | instskip(SKIP_2) | instid1(SALU_CYCLE_1)
	s_and_b32 s8, vcc_lo, exec_lo
	s_cselect_b32 s8, s4, s2
	s_cselect_b32 s9, s2, s4
	s_cmp_gt_i32 s8, s9
	s_cbranch_scc1 .LBB155_11
; %bb.2:
	s_cmp_lt_i32 s6, 1
	s_cbranch_scc1 .LBB155_11
; %bb.3:
	v_bfe_u32 v8, v0, 10, 10
	s_clause 0x3
	s_load_b128 s[16:19], s[0:1], 0x28
	s_load_b128 s[8:11], s[0:1], 0x40
	s_load_b64 s[12:13], s[0:1], 0x58
	s_load_b64 s[20:21], s[0:1], 0x18
	v_add_nc_u32_e32 v14, s2, v8
	v_and_b32_e32 v9, 0x3ff, v0
	v_lshlrev_b32_e32 v15, 3, v8
	s_delay_alu instid0(VALU_DEP_2)
	v_add_nc_u32_e32 v0, s4, v9
	s_clause 0x2
	s_load_b32 s2, s[0:1], 0x20
	s_load_b32 s4, s[0:1], 0x38
	s_load_b32 s14, s[0:1], 0x50
	v_cndmask_b32_e32 v18, v0, v14, vcc_lo
	v_ashrrev_i32_e32 v1, 31, v0
	v_dual_cndmask_b32 v19, v14, v0 :: v_dual_lshlrev_b32 v10, 8, v9
	s_waitcnt lgkmcnt(0)
	s_mul_i32 s1, s15, s17
	s_mul_hi_u32 s17, s15, s16
	s_mul_i32 s0, s15, s16
	s_add_i32 s1, s17, s1
	s_mul_i32 s9, s15, s9
	s_lshl_b64 s[0:1], s[0:1], 3
	s_mul_hi_u32 s16, s15, s8
	s_add_u32 s20, s20, s0
	s_mul_i32 s8, s15, s8
	s_addc_u32 s21, s21, s1
	v_mad_i64_i32 v[2:3], null, s2, v0, 0
	s_add_i32 s9, s16, s9
	s_mul_i32 s13, s15, s13
	s_lshl_b64 s[8:9], s[8:9], 3
	s_mul_hi_u32 s17, s15, s12
	v_mad_i64_i32 v[4:5], null, s4, v14, 0
	s_delay_alu instid0(VALU_DEP_2)
	v_lshlrev_b64 v[2:3], 3, v[2:3]
	v_mad_i64_i32 v[6:7], null, s14, v14, 0
	s_add_u32 s2, s18, s8
	s_mul_i32 s0, s15, s12
	s_addc_u32 s8, s19, s9
	s_add_i32 s1, s17, s13
	v_cmp_gt_i32_e32 vcc_lo, s5, v0
	s_lshl_b64 s[0:1], s[0:1], 3
	v_lshlrev_b64 v[0:1], 3, v[0:1]
	s_add_u32 s9, s10, s0
	v_add_co_u32 v11, s0, s20, v2
	s_delay_alu instid0(VALU_DEP_1)
	v_add_co_ci_u32_e64 v12, s0, s21, v3, s0
	v_lshlrev_b64 v[2:3], 3, v[4:5]
	v_lshlrev_b64 v[4:5], 3, v[6:7]
	s_addc_u32 s10, s11, s1
	v_add_nc_u32_e32 v13, v10, v15
	v_cmp_gt_i32_e64 s0, s5, v14
	v_or_b32_e32 v14, 0x2000, v15
	v_add_co_u32 v15, s1, s2, v2
	v_add_co_u32 v2, s2, s9, v4
	v_add_co_ci_u32_e64 v16, s1, s8, v3, s1
	v_add_co_ci_u32_e64 v3, s2, s10, v5, s2
	v_cmp_le_i32_e64 s1, v19, v18
	s_delay_alu instid0(VALU_DEP_4) | instskip(SKIP_1) | instid1(VALU_DEP_4)
	v_add_co_u32 v0, s2, v2, v0
	v_add_nc_u32_e32 v17, v14, v10
	v_add_co_ci_u32_e64 v1, s2, v3, v1, s2
	v_add_nc_u32_e32 v18, 0x800, v14
	v_add_nc_u32_e32 v19, 0x1000, v14
	;; [unrolled: 1-line block ×3, first 2 shown]
	s_and_b32 s4, s0, vcc_lo
	s_delay_alu instid0(SALU_CYCLE_1)
	s_and_b32 s2, s4, s1
	s_mov_b32 s4, 0
	s_branch .LBB155_5
.LBB155_4:                              ;   in Loop: Header=BB155_5 Depth=1
	s_or_b32 exec_lo, exec_lo, s1
	s_add_i32 s4, s4, 32
	s_waitcnt_vscnt null, 0x0
	s_cmp_lt_i32 s4, s6
	s_barrier
	buffer_gl0_inv
	s_cbranch_scc0 .LBB155_11
.LBB155_5:                              ; =>This Inner Loop Header: Depth=1
	v_dual_mov_b32 v2, 0 :: v_dual_add_nc_u32 v3, s4, v8
	v_dual_mov_b32 v4, 0 :: v_dual_mov_b32 v5, 0
	s_delay_alu instid0(VALU_DEP_2) | instskip(NEXT) | instid1(VALU_DEP_1)
	v_cmp_gt_i32_e64 s1, s6, v3
	s_and_b32 s1, vcc_lo, s1
	s_delay_alu instid0(SALU_CYCLE_1)
	s_and_saveexec_b32 s5, s1
	s_cbranch_execz .LBB155_7
; %bb.6:                                ;   in Loop: Header=BB155_5 Depth=1
	v_ashrrev_i32_e32 v4, 31, v3
	s_delay_alu instid0(VALU_DEP_1) | instskip(NEXT) | instid1(VALU_DEP_1)
	v_lshlrev_b64 v[3:4], 3, v[3:4]
	v_add_co_u32 v3, s1, v11, v3
	s_delay_alu instid0(VALU_DEP_1)
	v_add_co_ci_u32_e64 v4, s1, v12, v4, s1
	global_load_b64 v[4:5], v[3:4], off
.LBB155_7:                              ;   in Loop: Header=BB155_5 Depth=1
	s_or_b32 exec_lo, exec_lo, s5
	v_dual_mov_b32 v3, 0 :: v_dual_add_nc_u32 v6, s4, v9
	s_waitcnt vmcnt(0)
	ds_store_b64 v13, v[4:5]
	v_cmp_gt_i32_e64 s1, s6, v6
	s_delay_alu instid0(VALU_DEP_1) | instskip(NEXT) | instid1(SALU_CYCLE_1)
	s_and_b32 s1, s0, s1
	s_and_saveexec_b32 s5, s1
	s_cbranch_execz .LBB155_9
; %bb.8:                                ;   in Loop: Header=BB155_5 Depth=1
	v_ashrrev_i32_e32 v7, 31, v6
	s_delay_alu instid0(VALU_DEP_1) | instskip(NEXT) | instid1(VALU_DEP_1)
	v_lshlrev_b64 v[2:3], 3, v[6:7]
	v_add_co_u32 v2, s1, v15, v2
	s_delay_alu instid0(VALU_DEP_1)
	v_add_co_ci_u32_e64 v3, s1, v16, v3, s1
	global_load_b64 v[2:3], v[2:3], off
.LBB155_9:                              ;   in Loop: Header=BB155_5 Depth=1
	s_or_b32 exec_lo, exec_lo, s5
	s_waitcnt vmcnt(0)
	ds_store_b64 v17, v[2:3]
	s_waitcnt lgkmcnt(0)
	s_barrier
	buffer_gl0_inv
	s_and_saveexec_b32 s1, s2
	s_cbranch_execz .LBB155_4
; %bb.10:                               ;   in Loop: Header=BB155_5 Depth=1
	ds_load_b128 v[2:5], v10
	ds_load_b128 v[21:24], v10 offset:16
	ds_load_b128 v[25:28], v10 offset:32
	;; [unrolled: 1-line block ×3, first 2 shown]
	ds_load_2addr_b64 v[33:36], v14 offset1:32
	s_waitcnt lgkmcnt(0)
	v_mul_f32_e32 v6, v34, v3
	s_delay_alu instid0(VALU_DEP_1) | instskip(SKIP_1) | instid1(VALU_DEP_1)
	v_fma_f32 v6, v33, v2, -v6
	v_mul_f32_e32 v3, v33, v3
	v_fmac_f32_e32 v3, v34, v2
	s_delay_alu instid0(VALU_DEP_3) | instskip(SKIP_2) | instid1(VALU_DEP_2)
	v_add_f32_e32 v2, 0, v6
	v_mul_f32_e32 v6, v36, v5
	v_mul_f32_e32 v5, v35, v5
	v_fma_f32 v6, v35, v4, -v6
	v_add_f32_e32 v3, 0, v3
	s_delay_alu instid0(VALU_DEP_2) | instskip(NEXT) | instid1(VALU_DEP_1)
	v_dual_fmac_f32 v5, v36, v4 :: v_dual_add_f32 v6, v2, v6
	v_add_f32_e32 v7, v3, v5
	ds_load_2addr_b64 v[2:5], v14 offset0:64 offset1:96
	s_waitcnt lgkmcnt(0)
	v_mul_f32_e32 v33, v3, v22
	s_delay_alu instid0(VALU_DEP_1) | instskip(SKIP_1) | instid1(VALU_DEP_1)
	v_fma_f32 v33, v2, v21, -v33
	v_mul_f32_e32 v2, v2, v22
	v_fmac_f32_e32 v2, v3, v21
	s_delay_alu instid0(VALU_DEP_3) | instskip(NEXT) | instid1(VALU_DEP_2)
	v_dual_add_f32 v3, v6, v33 :: v_dual_mul_f32 v6, v5, v24
	v_add_f32_e32 v2, v7, v2
	s_delay_alu instid0(VALU_DEP_2) | instskip(SKIP_1) | instid1(VALU_DEP_1)
	v_fma_f32 v6, v4, v23, -v6
	v_mul_f32_e32 v4, v4, v24
	v_fmac_f32_e32 v4, v5, v23
	s_delay_alu instid0(VALU_DEP_1) | instskip(SKIP_3) | instid1(VALU_DEP_1)
	v_dual_add_f32 v6, v3, v6 :: v_dual_add_f32 v7, v2, v4
	ds_load_2addr_b64 v[2:5], v14 offset0:128 offset1:160
	s_waitcnt lgkmcnt(0)
	v_mul_f32_e32 v21, v3, v26
	v_fma_f32 v21, v2, v25, -v21
	v_mul_f32_e32 v2, v2, v26
	s_delay_alu instid0(VALU_DEP_1) | instskip(NEXT) | instid1(VALU_DEP_3)
	v_fmac_f32_e32 v2, v3, v25
	v_dual_add_f32 v3, v6, v21 :: v_dual_mul_f32 v6, v5, v28
	s_delay_alu instid0(VALU_DEP_2) | instskip(NEXT) | instid1(VALU_DEP_2)
	v_add_f32_e32 v2, v7, v2
	v_fma_f32 v6, v4, v27, -v6
	s_delay_alu instid0(VALU_DEP_1) | instskip(SKIP_1) | instid1(VALU_DEP_1)
	v_add_f32_e32 v6, v3, v6
	v_mul_f32_e32 v4, v4, v28
	v_fmac_f32_e32 v4, v5, v27
	s_delay_alu instid0(VALU_DEP_1) | instskip(SKIP_3) | instid1(VALU_DEP_1)
	v_add_f32_e32 v7, v2, v4
	ds_load_2addr_b64 v[2:5], v14 offset0:192 offset1:224
	s_waitcnt lgkmcnt(0)
	v_mul_f32_e32 v21, v3, v30
	v_fma_f32 v21, v2, v29, -v21
	v_mul_f32_e32 v2, v2, v30
	s_delay_alu instid0(VALU_DEP_1) | instskip(NEXT) | instid1(VALU_DEP_3)
	v_fmac_f32_e32 v2, v3, v29
	v_dual_add_f32 v3, v6, v21 :: v_dual_mul_f32 v6, v5, v32
	s_delay_alu instid0(VALU_DEP_2) | instskip(NEXT) | instid1(VALU_DEP_2)
	v_add_f32_e32 v2, v7, v2
	v_fma_f32 v6, v4, v31, -v6
	v_mul_f32_e32 v4, v4, v32
	s_delay_alu instid0(VALU_DEP_1) | instskip(NEXT) | instid1(VALU_DEP_1)
	v_fmac_f32_e32 v4, v5, v31
	v_dual_add_f32 v6, v3, v6 :: v_dual_add_f32 v7, v2, v4
	ds_load_b128 v[2:5], v10 offset:64
	ds_load_2addr_b64 v[21:24], v18 offset1:32
	s_waitcnt lgkmcnt(0)
	v_mul_f32_e32 v25, v22, v3
	v_mul_f32_e32 v3, v21, v3
	s_delay_alu instid0(VALU_DEP_2) | instskip(NEXT) | instid1(VALU_DEP_2)
	v_fma_f32 v25, v21, v2, -v25
	v_fmac_f32_e32 v3, v22, v2
	s_delay_alu instid0(VALU_DEP_2) | instskip(SKIP_2) | instid1(VALU_DEP_4)
	v_add_f32_e32 v2, v6, v25
	v_mul_f32_e32 v6, v24, v5
	v_mul_f32_e32 v5, v23, v5
	v_add_f32_e32 v3, v7, v3
	s_delay_alu instid0(VALU_DEP_3) | instskip(NEXT) | instid1(VALU_DEP_1)
	v_fma_f32 v6, v23, v4, -v6
	v_dual_fmac_f32 v5, v24, v4 :: v_dual_add_f32 v6, v2, v6
	s_delay_alu instid0(VALU_DEP_1)
	v_add_f32_e32 v7, v3, v5
	ds_load_b128 v[2:5], v10 offset:80
	ds_load_2addr_b64 v[21:24], v18 offset0:64 offset1:96
	s_waitcnt lgkmcnt(0)
	v_mul_f32_e32 v25, v22, v3
	v_mul_f32_e32 v3, v21, v3
	s_delay_alu instid0(VALU_DEP_2) | instskip(NEXT) | instid1(VALU_DEP_2)
	v_fma_f32 v25, v21, v2, -v25
	v_fmac_f32_e32 v3, v22, v2
	s_delay_alu instid0(VALU_DEP_2) | instskip(SKIP_2) | instid1(VALU_DEP_4)
	v_add_f32_e32 v2, v6, v25
	v_mul_f32_e32 v6, v24, v5
	v_mul_f32_e32 v5, v23, v5
	v_add_f32_e32 v3, v7, v3
	s_delay_alu instid0(VALU_DEP_3) | instskip(NEXT) | instid1(VALU_DEP_1)
	v_fma_f32 v6, v23, v4, -v6
	v_dual_fmac_f32 v5, v24, v4 :: v_dual_add_f32 v6, v2, v6
	s_delay_alu instid0(VALU_DEP_1)
	v_add_f32_e32 v7, v3, v5
	ds_load_b128 v[2:5], v10 offset:96
	ds_load_2addr_b64 v[21:24], v18 offset0:128 offset1:160
	s_waitcnt lgkmcnt(0)
	v_mul_f32_e32 v25, v22, v3
	v_mul_f32_e32 v3, v21, v3
	s_delay_alu instid0(VALU_DEP_2) | instskip(NEXT) | instid1(VALU_DEP_2)
	v_fma_f32 v25, v21, v2, -v25
	v_fmac_f32_e32 v3, v22, v2
	s_delay_alu instid0(VALU_DEP_2) | instskip(NEXT) | instid1(VALU_DEP_2)
	v_add_f32_e32 v2, v6, v25
	v_dual_mul_f32 v6, v24, v5 :: v_dual_add_f32 v3, v7, v3
	s_delay_alu instid0(VALU_DEP_1) | instskip(NEXT) | instid1(VALU_DEP_1)
	v_fma_f32 v6, v23, v4, -v6
	v_dual_mul_f32 v5, v23, v5 :: v_dual_add_f32 v6, v2, v6
	s_delay_alu instid0(VALU_DEP_1) | instskip(NEXT) | instid1(VALU_DEP_1)
	v_fmac_f32_e32 v5, v24, v4
	v_add_f32_e32 v7, v3, v5
	ds_load_b128 v[2:5], v10 offset:112
	ds_load_2addr_b64 v[21:24], v18 offset0:192 offset1:224
	s_waitcnt lgkmcnt(0)
	v_mul_f32_e32 v25, v22, v3
	v_mul_f32_e32 v3, v21, v3
	s_delay_alu instid0(VALU_DEP_2) | instskip(NEXT) | instid1(VALU_DEP_2)
	v_fma_f32 v25, v21, v2, -v25
	v_fmac_f32_e32 v3, v22, v2
	s_delay_alu instid0(VALU_DEP_2) | instskip(SKIP_2) | instid1(VALU_DEP_2)
	v_add_f32_e32 v2, v6, v25
	v_mul_f32_e32 v6, v24, v5
	v_mul_f32_e32 v5, v23, v5
	v_fma_f32 v6, v23, v4, -v6
	s_delay_alu instid0(VALU_DEP_1) | instskip(SKIP_1) | instid1(VALU_DEP_1)
	v_dual_fmac_f32 v5, v24, v4 :: v_dual_add_f32 v6, v2, v6
	v_add_f32_e32 v3, v7, v3
	v_add_f32_e32 v7, v3, v5
	ds_load_b128 v[2:5], v10 offset:128
	ds_load_2addr_b64 v[21:24], v19 offset1:32
	s_waitcnt lgkmcnt(0)
	v_mul_f32_e32 v25, v22, v3
	v_mul_f32_e32 v3, v21, v3
	s_delay_alu instid0(VALU_DEP_2) | instskip(NEXT) | instid1(VALU_DEP_2)
	v_fma_f32 v25, v21, v2, -v25
	v_fmac_f32_e32 v3, v22, v2
	s_delay_alu instid0(VALU_DEP_2) | instskip(SKIP_2) | instid1(VALU_DEP_4)
	v_add_f32_e32 v2, v6, v25
	v_mul_f32_e32 v6, v24, v5
	v_mul_f32_e32 v5, v23, v5
	v_add_f32_e32 v3, v7, v3
	s_delay_alu instid0(VALU_DEP_3) | instskip(NEXT) | instid1(VALU_DEP_1)
	v_fma_f32 v6, v23, v4, -v6
	v_dual_fmac_f32 v5, v24, v4 :: v_dual_add_f32 v6, v2, v6
	s_delay_alu instid0(VALU_DEP_1)
	v_add_f32_e32 v7, v3, v5
	ds_load_b128 v[2:5], v10 offset:144
	ds_load_2addr_b64 v[21:24], v19 offset0:64 offset1:96
	s_waitcnt lgkmcnt(0)
	v_mul_f32_e32 v25, v22, v3
	v_mul_f32_e32 v3, v21, v3
	s_delay_alu instid0(VALU_DEP_2) | instskip(NEXT) | instid1(VALU_DEP_2)
	v_fma_f32 v25, v21, v2, -v25
	v_fmac_f32_e32 v3, v22, v2
	s_delay_alu instid0(VALU_DEP_2) | instskip(SKIP_2) | instid1(VALU_DEP_4)
	v_add_f32_e32 v2, v6, v25
	v_mul_f32_e32 v6, v24, v5
	v_mul_f32_e32 v5, v23, v5
	v_add_f32_e32 v3, v7, v3
	s_delay_alu instid0(VALU_DEP_3) | instskip(NEXT) | instid1(VALU_DEP_1)
	v_fma_f32 v6, v23, v4, -v6
	v_dual_fmac_f32 v5, v24, v4 :: v_dual_add_f32 v6, v2, v6
	s_delay_alu instid0(VALU_DEP_1)
	v_add_f32_e32 v7, v3, v5
	ds_load_b128 v[2:5], v10 offset:160
	ds_load_2addr_b64 v[21:24], v19 offset0:128 offset1:160
	;; [unrolled: 18-line block ×3, first 2 shown]
	s_waitcnt lgkmcnt(0)
	v_mul_f32_e32 v25, v22, v3
	v_mul_f32_e32 v3, v21, v3
	s_delay_alu instid0(VALU_DEP_2) | instskip(NEXT) | instid1(VALU_DEP_2)
	v_fma_f32 v25, v21, v2, -v25
	v_fmac_f32_e32 v3, v22, v2
	s_delay_alu instid0(VALU_DEP_2) | instskip(SKIP_2) | instid1(VALU_DEP_4)
	v_add_f32_e32 v2, v6, v25
	v_mul_f32_e32 v6, v24, v5
	v_mul_f32_e32 v5, v23, v5
	v_add_f32_e32 v3, v7, v3
	s_delay_alu instid0(VALU_DEP_3) | instskip(NEXT) | instid1(VALU_DEP_1)
	v_fma_f32 v6, v23, v4, -v6
	v_dual_fmac_f32 v5, v24, v4 :: v_dual_add_f32 v6, v2, v6
	s_delay_alu instid0(VALU_DEP_1)
	v_add_f32_e32 v7, v3, v5
	ds_load_b128 v[2:5], v10 offset:192
	ds_load_2addr_b64 v[21:24], v20 offset1:32
	s_waitcnt lgkmcnt(0)
	v_mul_f32_e32 v25, v22, v3
	v_mul_f32_e32 v3, v21, v3
	s_delay_alu instid0(VALU_DEP_2) | instskip(NEXT) | instid1(VALU_DEP_2)
	v_fma_f32 v25, v21, v2, -v25
	v_fmac_f32_e32 v3, v22, v2
	s_delay_alu instid0(VALU_DEP_2) | instskip(SKIP_2) | instid1(VALU_DEP_4)
	v_add_f32_e32 v2, v6, v25
	v_mul_f32_e32 v6, v24, v5
	v_mul_f32_e32 v5, v23, v5
	v_add_f32_e32 v3, v7, v3
	s_delay_alu instid0(VALU_DEP_3) | instskip(NEXT) | instid1(VALU_DEP_1)
	v_fma_f32 v6, v23, v4, -v6
	v_dual_fmac_f32 v5, v24, v4 :: v_dual_add_f32 v6, v2, v6
	s_delay_alu instid0(VALU_DEP_1)
	v_add_f32_e32 v7, v3, v5
	ds_load_b128 v[2:5], v10 offset:208
	ds_load_2addr_b64 v[21:24], v20 offset0:64 offset1:96
	s_waitcnt lgkmcnt(0)
	v_mul_f32_e32 v25, v22, v3
	v_mul_f32_e32 v3, v21, v3
	s_delay_alu instid0(VALU_DEP_2) | instskip(NEXT) | instid1(VALU_DEP_2)
	v_fma_f32 v25, v21, v2, -v25
	v_fmac_f32_e32 v3, v22, v2
	s_delay_alu instid0(VALU_DEP_2) | instskip(SKIP_2) | instid1(VALU_DEP_4)
	v_add_f32_e32 v2, v6, v25
	v_mul_f32_e32 v6, v24, v5
	v_mul_f32_e32 v5, v23, v5
	v_add_f32_e32 v3, v7, v3
	s_delay_alu instid0(VALU_DEP_3) | instskip(NEXT) | instid1(VALU_DEP_1)
	v_fma_f32 v6, v23, v4, -v6
	v_dual_fmac_f32 v5, v24, v4 :: v_dual_add_f32 v6, v2, v6
	s_delay_alu instid0(VALU_DEP_1)
	v_add_f32_e32 v7, v3, v5
	ds_load_b128 v[2:5], v10 offset:224
	ds_load_2addr_b64 v[21:24], v20 offset0:128 offset1:160
	;; [unrolled: 18-line block ×3, first 2 shown]
	s_waitcnt lgkmcnt(0)
	v_mul_f32_e32 v25, v22, v3
	v_mul_f32_e32 v3, v21, v3
	s_delay_alu instid0(VALU_DEP_2) | instskip(NEXT) | instid1(VALU_DEP_2)
	v_fma_f32 v25, v21, v2, -v25
	v_fmac_f32_e32 v3, v22, v2
	s_delay_alu instid0(VALU_DEP_2) | instskip(SKIP_2) | instid1(VALU_DEP_4)
	v_add_f32_e32 v2, v6, v25
	v_mul_f32_e32 v6, v24, v5
	v_mul_f32_e32 v5, v23, v5
	v_add_f32_e32 v3, v7, v3
	s_delay_alu instid0(VALU_DEP_3) | instskip(NEXT) | instid1(VALU_DEP_1)
	v_fma_f32 v6, v23, v4, -v6
	v_dual_fmac_f32 v5, v24, v4 :: v_dual_add_f32 v4, v2, v6
	s_delay_alu instid0(VALU_DEP_1) | instskip(NEXT) | instid1(VALU_DEP_1)
	v_add_f32_e32 v5, v3, v5
	v_dual_mul_f32 v3, s3, v4 :: v_dual_mul_f32 v2, s3, v5
	s_delay_alu instid0(VALU_DEP_1) | instskip(NEXT) | instid1(VALU_DEP_2)
	v_fmac_f32_e32 v3, s7, v5
	v_fma_f32 v2, s7, v4, -v2
	global_load_b64 v[4:5], v[0:1], off
	s_waitcnt vmcnt(0)
	v_dual_add_f32 v2, v4, v2 :: v_dual_add_f32 v3, v5, v3
	global_store_b64 v[0:1], v[2:3], off
	s_branch .LBB155_4
.LBB155_11:
	s_endpgm
	.section	.rodata,"a",@progbits
	.p2align	6, 0x0
	.amdhsa_kernel _ZL26rocblas_syr2k_her2k_kernelIiLb0ELb0ELb1ELi32E19rocblas_complex_numIfEPKS1_PS1_EvbiT_T4_T5_S5_lS7_S5_lT6_S5_li
		.amdhsa_group_segment_fixed_size 16384
		.amdhsa_private_segment_fixed_size 0
		.amdhsa_kernarg_size 100
		.amdhsa_user_sgpr_count 13
		.amdhsa_user_sgpr_dispatch_ptr 0
		.amdhsa_user_sgpr_queue_ptr 0
		.amdhsa_user_sgpr_kernarg_segment_ptr 1
		.amdhsa_user_sgpr_dispatch_id 0
		.amdhsa_user_sgpr_private_segment_size 0
		.amdhsa_wavefront_size32 1
		.amdhsa_uses_dynamic_stack 0
		.amdhsa_enable_private_segment 0
		.amdhsa_system_sgpr_workgroup_id_x 1
		.amdhsa_system_sgpr_workgroup_id_y 1
		.amdhsa_system_sgpr_workgroup_id_z 1
		.amdhsa_system_sgpr_workgroup_info 0
		.amdhsa_system_vgpr_workitem_id 1
		.amdhsa_next_free_vgpr 37
		.amdhsa_next_free_sgpr 22
		.amdhsa_reserve_vcc 1
		.amdhsa_float_round_mode_32 0
		.amdhsa_float_round_mode_16_64 0
		.amdhsa_float_denorm_mode_32 3
		.amdhsa_float_denorm_mode_16_64 3
		.amdhsa_dx10_clamp 1
		.amdhsa_ieee_mode 1
		.amdhsa_fp16_overflow 0
		.amdhsa_workgroup_processor_mode 1
		.amdhsa_memory_ordered 1
		.amdhsa_forward_progress 0
		.amdhsa_shared_vgpr_count 0
		.amdhsa_exception_fp_ieee_invalid_op 0
		.amdhsa_exception_fp_denorm_src 0
		.amdhsa_exception_fp_ieee_div_zero 0
		.amdhsa_exception_fp_ieee_overflow 0
		.amdhsa_exception_fp_ieee_underflow 0
		.amdhsa_exception_fp_ieee_inexact 0
		.amdhsa_exception_int_div_zero 0
	.end_amdhsa_kernel
	.section	.text._ZL26rocblas_syr2k_her2k_kernelIiLb0ELb0ELb1ELi32E19rocblas_complex_numIfEPKS1_PS1_EvbiT_T4_T5_S5_lS7_S5_lT6_S5_li,"axG",@progbits,_ZL26rocblas_syr2k_her2k_kernelIiLb0ELb0ELb1ELi32E19rocblas_complex_numIfEPKS1_PS1_EvbiT_T4_T5_S5_lS7_S5_lT6_S5_li,comdat
.Lfunc_end155:
	.size	_ZL26rocblas_syr2k_her2k_kernelIiLb0ELb0ELb1ELi32E19rocblas_complex_numIfEPKS1_PS1_EvbiT_T4_T5_S5_lS7_S5_lT6_S5_li, .Lfunc_end155-_ZL26rocblas_syr2k_her2k_kernelIiLb0ELb0ELb1ELi32E19rocblas_complex_numIfEPKS1_PS1_EvbiT_T4_T5_S5_lS7_S5_lT6_S5_li
                                        ; -- End function
	.section	.AMDGPU.csdata,"",@progbits
; Kernel info:
; codeLenInByte = 2292
; NumSgprs: 24
; NumVgprs: 37
; ScratchSize: 0
; MemoryBound: 0
; FloatMode: 240
; IeeeMode: 1
; LDSByteSize: 16384 bytes/workgroup (compile time only)
; SGPRBlocks: 2
; VGPRBlocks: 4
; NumSGPRsForWavesPerEU: 24
; NumVGPRsForWavesPerEU: 37
; Occupancy: 16
; WaveLimiterHint : 0
; COMPUTE_PGM_RSRC2:SCRATCH_EN: 0
; COMPUTE_PGM_RSRC2:USER_SGPR: 13
; COMPUTE_PGM_RSRC2:TRAP_HANDLER: 0
; COMPUTE_PGM_RSRC2:TGID_X_EN: 1
; COMPUTE_PGM_RSRC2:TGID_Y_EN: 1
; COMPUTE_PGM_RSRC2:TGID_Z_EN: 1
; COMPUTE_PGM_RSRC2:TIDIG_COMP_CNT: 1
	.section	.text._ZL37rocblas_syrkx_herkx_restricted_kernelIi19rocblas_complex_numIfELi16ELi32ELi8ELi1ELi1ELb0ELc84ELc76EKS1_S1_EviT_PT9_S3_lS5_S3_lPT10_S3_li,"axG",@progbits,_ZL37rocblas_syrkx_herkx_restricted_kernelIi19rocblas_complex_numIfELi16ELi32ELi8ELi1ELi1ELb0ELc84ELc76EKS1_S1_EviT_PT9_S3_lS5_S3_lPT10_S3_li,comdat
	.globl	_ZL37rocblas_syrkx_herkx_restricted_kernelIi19rocblas_complex_numIfELi16ELi32ELi8ELi1ELi1ELb0ELc84ELc76EKS1_S1_EviT_PT9_S3_lS5_S3_lPT10_S3_li ; -- Begin function _ZL37rocblas_syrkx_herkx_restricted_kernelIi19rocblas_complex_numIfELi16ELi32ELi8ELi1ELi1ELb0ELc84ELc76EKS1_S1_EviT_PT9_S3_lS5_S3_lPT10_S3_li
	.p2align	8
	.type	_ZL37rocblas_syrkx_herkx_restricted_kernelIi19rocblas_complex_numIfELi16ELi32ELi8ELi1ELi1ELb0ELc84ELc76EKS1_S1_EviT_PT9_S3_lS5_S3_lPT10_S3_li,@function
_ZL37rocblas_syrkx_herkx_restricted_kernelIi19rocblas_complex_numIfELi16ELi32ELi8ELi1ELi1ELb0ELc84ELc76EKS1_S1_EviT_PT9_S3_lS5_S3_lPT10_S3_li: ; @_ZL37rocblas_syrkx_herkx_restricted_kernelIi19rocblas_complex_numIfELi16ELi32ELi8ELi1ELi1ELb0ELc84ELc76EKS1_S1_EviT_PT9_S3_lS5_S3_lPT10_S3_li
; %bb.0:
	s_clause 0x1
	s_load_b64 s[2:3], s[0:1], 0x0
	s_load_b128 s[4:7], s[0:1], 0x30
	v_dual_mov_b32 v15, 0 :: v_dual_and_b32 v6, 0x3ff, v0
	v_bfe_u32 v7, v0, 10, 10
	v_dual_mov_b32 v16, 0 :: v_dual_mov_b32 v11, 0
	v_dual_mov_b32 v12, 0 :: v_dual_mov_b32 v9, 0
	;; [unrolled: 1-line block ×3, first 2 shown]
	v_mov_b32_e32 v0, 0
	s_lshl_b32 s12, s13, 5
	s_lshl_b32 s13, s14, 5
	s_mov_b32 s14, 0
	s_waitcnt lgkmcnt(0)
	s_cmp_lt_i32 s3, 1
	s_cbranch_scc1 .LBB156_3
; %bb.1:
	s_clause 0x3
	s_load_b32 s18, s[0:1], 0x10
	s_load_b128 s[8:11], s[0:1], 0x18
	s_load_b64 s[16:17], s[0:1], 0x8
	s_load_b32 s19, s[0:1], 0x28
	v_lshl_add_u32 v2, v7, 4, v6
	v_dual_mov_b32 v1, 0 :: v_dual_and_b32 v0, 7, v6
	v_lshlrev_b32_e32 v10, 3, v6
	s_mul_i32 s5, s5, s15
	s_delay_alu instid0(VALU_DEP_3)
	v_lshrrev_b32_e32 v4, 3, v2
	v_and_b32_e32 v5, 31, v2
	v_lshlrev_b32_e32 v3, 3, v0
	v_lshrrev_b32_e32 v2, 5, v2
	v_lshl_add_u32 v17, v7, 6, 0x800
	v_add_nc_u32_e32 v12, s13, v4
	v_add_nc_u32_e32 v11, s12, v5
	v_lshl_or_b32 v9, v4, 6, v3
	v_dual_mov_b32 v3, v1 :: v_dual_lshlrev_b32 v8, 3, v5
	v_mov_b32_e32 v16, v1
	s_delay_alu instid0(VALU_DEP_3) | instskip(SKIP_1) | instid1(VALU_DEP_3)
	v_dual_mov_b32 v15, v1 :: v_dual_add_nc_u32 v14, 0x800, v9
	s_waitcnt lgkmcnt(0)
	v_mad_i64_i32 v[4:5], null, s18, v11, v[2:3]
	s_mul_i32 s9, s9, s15
	s_mul_hi_u32 s18, s8, s15
	v_mov_b32_e32 v9, v1
	v_lshl_or_b32 v13, v2, 8, v8
	v_mov_b32_e32 v11, v1
	v_mad_i64_i32 v[2:3], null, s19, v12, v[0:1]
	s_mul_i32 s8, s8, s15
	s_add_i32 s9, s18, s9
	v_lshlrev_b64 v[4:5], 3, v[4:5]
	s_lshl_b64 s[8:9], s[8:9], 3
	v_mov_b32_e32 v12, v1
	s_add_u32 s8, s16, s8
	s_mul_hi_u32 s16, s4, s15
	s_addc_u32 s9, s17, s9
	s_add_i32 s5, s16, s5
	s_mul_i32 s4, s4, s15
	v_lshlrev_b64 v[2:3], 3, v[2:3]
	s_lshl_b64 s[4:5], s[4:5], 3
	v_add_co_u32 v0, vcc_lo, s8, v4
	s_add_u32 s4, s10, s4
	v_add_co_ci_u32_e32 v4, vcc_lo, s9, v5, vcc_lo
	s_addc_u32 s5, s11, s5
	v_add_co_u32 v5, vcc_lo, s4, v2
	v_add_co_ci_u32_e32 v8, vcc_lo, s5, v3, vcc_lo
	v_add_co_u32 v2, vcc_lo, v0, 4
	v_add_co_ci_u32_e32 v3, vcc_lo, 0, v4, vcc_lo
	s_delay_alu instid0(VALU_DEP_4) | instskip(NEXT) | instid1(VALU_DEP_4)
	v_add_co_u32 v4, vcc_lo, v5, 4
	v_add_co_ci_u32_e32 v5, vcc_lo, 0, v8, vcc_lo
	v_mov_b32_e32 v0, v1
	v_mov_b32_e32 v8, v1
.LBB156_2:                              ; =>This Inner Loop Header: Depth=1
	global_load_b64 v[18:19], v[2:3], off offset:-4
	global_load_b64 v[20:21], v[4:5], off offset:-4
	v_add_co_u32 v2, vcc_lo, v2, 64
	v_add_co_ci_u32_e32 v3, vcc_lo, 0, v3, vcc_lo
	v_add_co_u32 v4, vcc_lo, v4, 64
	v_add_co_ci_u32_e32 v5, vcc_lo, 0, v5, vcc_lo
	s_add_i32 s14, s14, 8
	s_waitcnt vmcnt(1)
	ds_store_b64 v13, v[18:19]
	s_waitcnt vmcnt(0)
	ds_store_b64 v14, v[20:21]
	s_waitcnt lgkmcnt(0)
	s_barrier
	buffer_gl0_inv
	ds_load_2addr_b64 v[18:21], v10 offset1:16
	ds_load_b128 v[22:25], v17
	ds_load_b128 v[26:29], v17 offset:1024
	ds_load_b128 v[30:33], v17 offset:16
	ds_load_2addr_b64 v[34:37], v10 offset0:32 offset1:48
	ds_load_b128 v[38:41], v17 offset:32
	ds_load_b128 v[42:45], v17 offset:48
	ds_load_2addr_b64 v[46:49], v10 offset0:64 offset1:80
	ds_load_b128 v[50:53], v17 offset:1040
	ds_load_2addr_b64 v[54:57], v10 offset0:96 offset1:112
	ds_load_2addr_b64 v[58:61], v10 offset0:128 offset1:144
	;; [unrolled: 1-line block ×4, first 2 shown]
	ds_load_b128 v[70:73], v17 offset:1056
	ds_load_b128 v[74:77], v17 offset:1072
	ds_load_2addr_b64 v[78:81], v10 offset0:224 offset1:240
	s_cmp_ge_i32 s14, s3
	s_waitcnt lgkmcnt(0)
	s_barrier
	buffer_gl0_inv
	v_dual_mul_f32 v82, v23, v19 :: v_dual_mul_f32 v85, v22, v21
	v_dual_mul_f32 v83, v22, v19 :: v_dual_mul_f32 v84, v23, v21
	v_mul_f32_e32 v86, v27, v19
	v_dual_mul_f32 v19, v26, v19 :: v_dual_mul_f32 v90, v25, v37
	v_dual_mul_f32 v87, v27, v21 :: v_dual_mul_f32 v88, v25, v35
	v_mul_f32_e32 v21, v26, v21
	v_fma_f32 v82, v22, v18, -v82
	v_fmac_f32_e32 v83, v23, v18
	v_fma_f32 v22, v22, v20, -v84
	v_fmac_f32_e32 v85, v23, v20
	v_fma_f32 v23, v26, v18, -v86
	v_dual_fmac_f32 v19, v27, v18 :: v_dual_mul_f32 v86, v30, v47
	v_fma_f32 v18, v26, v20, -v87
	v_dual_fmac_f32 v21, v27, v20 :: v_dual_mul_f32 v20, v24, v37
	v_mul_f32_e32 v89, v24, v35
	v_mul_f32_e32 v26, v29, v35
	;; [unrolled: 1-line block ×4, first 2 shown]
	v_fmac_f32_e32 v20, v25, v36
	v_fmac_f32_e32 v89, v25, v34
	v_dual_mul_f32 v25, v28, v37 :: v_dual_fmac_f32 v86, v31, v46
	v_fma_f32 v84, v24, v34, -v88
	v_fma_f32 v24, v24, v36, -v90
	v_dual_mul_f32 v37, v31, v47 :: v_dual_mul_f32 v90, v33, v57
	v_fma_f32 v26, v28, v34, -v26
	v_fma_f32 v28, v28, v36, -v35
	v_fmac_f32_e32 v25, v29, v36
	v_dual_mul_f32 v35, v50, v47 :: v_dual_mul_f32 v36, v51, v49
	v_dual_fmac_f32 v27, v29, v34 :: v_dual_mul_f32 v34, v51, v47
	v_dual_mul_f32 v88, v32, v55 :: v_dual_mul_f32 v29, v30, v49
	v_mul_f32_e32 v87, v31, v49
	v_fma_f32 v37, v30, v46, -v37
	v_add_f32_e32 v16, v16, v83
	s_delay_alu instid0(VALU_DEP_4)
	v_dual_fmac_f32 v88, v33, v54 :: v_dual_fmac_f32 v29, v31, v48
	v_fma_f32 v31, v50, v46, -v34
	v_fma_f32 v34, v50, v48, -v36
	v_mul_f32_e32 v36, v32, v57
	v_mul_f32_e32 v47, v50, v49
	v_dual_mul_f32 v50, v53, v57 :: v_dual_fmac_f32 v35, v51, v46
	v_mul_f32_e32 v46, v53, v55
	v_mul_f32_e32 v49, v33, v55
	v_fma_f32 v30, v30, v48, -v87
	v_fmac_f32_e32 v36, v33, v56
	v_dual_fmac_f32 v47, v51, v48 :: v_dual_mul_f32 v48, v52, v55
	v_mul_f32_e32 v33, v52, v57
	v_fma_f32 v46, v52, v54, -v46
	v_fma_f32 v50, v52, v56, -v50
	v_mul_f32_e32 v52, v38, v61
	v_fma_f32 v49, v32, v54, -v49
	v_fma_f32 v32, v32, v56, -v90
	v_dual_mul_f32 v51, v39, v59 :: v_dual_fmac_f32 v48, v53, v54
	v_mul_f32_e32 v54, v70, v59
	v_dual_mul_f32 v55, v38, v59 :: v_dual_fmac_f32 v52, v39, v60
	v_fmac_f32_e32 v33, v53, v56
	v_mul_f32_e32 v53, v71, v59
	v_mul_f32_e32 v56, v71, v61
	;; [unrolled: 1-line block ×3, first 2 shown]
	v_fmac_f32_e32 v54, v71, v58
	v_fmac_f32_e32 v55, v39, v58
	v_fma_f32 v39, v70, v58, -v53
	v_fma_f32 v53, v70, v60, -v56
	v_mul_f32_e32 v56, v40, v65
	v_mul_f32_e32 v59, v70, v61
	v_fma_f32 v51, v38, v58, -v51
	v_mul_f32_e32 v58, v72, v63
	v_mul_f32_e32 v87, v40, v63
	;; [unrolled: 1-line block ×4, first 2 shown]
	v_fma_f32 v38, v38, v60, -v57
	v_mul_f32_e32 v57, v73, v63
	v_fmac_f32_e32 v56, v41, v64
	v_dual_fmac_f32 v59, v71, v60 :: v_dual_mul_f32 v60, v73, v65
	v_mul_f32_e32 v63, v43, v67
	v_mul_f32_e32 v70, v43, v69
	v_fmac_f32_e32 v58, v73, v62
	v_fmac_f32_e32 v87, v41, v62
	v_mul_f32_e32 v41, v72, v65
	v_fma_f32 v61, v40, v62, -v61
	v_fma_f32 v40, v40, v64, -v90
	v_mul_f32_e32 v65, v42, v67
	v_fma_f32 v57, v72, v62, -v57
	v_fma_f32 v60, v72, v64, -v60
	v_dual_fmac_f32 v41, v73, v64 :: v_dual_mul_f32 v62, v42, v69
	v_mul_f32_e32 v64, v75, v67
	v_fma_f32 v63, v42, v66, -v63
	v_fma_f32 v42, v42, v68, -v70
	v_mul_f32_e32 v70, v76, v79
	v_mul_f32_e32 v67, v74, v67
	;; [unrolled: 1-line block ×3, first 2 shown]
	v_dual_mul_f32 v69, v74, v69 :: v_dual_add_f32 v12, v12, v22
	v_mul_f32_e32 v73, v44, v79
	v_dual_fmac_f32 v65, v43, v66 :: v_dual_add_f32 v8, v8, v19
	v_fmac_f32_e32 v62, v43, v68
	v_fma_f32 v43, v74, v66, -v64
	v_fmac_f32_e32 v70, v77, v78
	v_dual_fmac_f32 v67, v75, v66 :: v_dual_add_f32 v16, v16, v89
	v_mul_f32_e32 v66, v44, v81
	v_mul_f32_e32 v72, v45, v79
	v_dual_mul_f32 v90, v45, v81 :: v_dual_fmac_f32 v69, v75, v68
	v_add_f32_e32 v0, v0, v18
	v_dual_fmac_f32 v73, v45, v78 :: v_dual_add_f32 v8, v8, v27
	v_dual_fmac_f32 v66, v45, v80 :: v_dual_mul_f32 v45, v76, v81
	v_fma_f32 v64, v74, v68, -v71
	v_dual_mul_f32 v71, v77, v81 :: v_dual_add_f32 v12, v12, v24
	v_dual_add_f32 v15, v15, v82 :: v_dual_add_f32 v0, v0, v28
	s_delay_alu instid0(VALU_DEP_4) | instskip(NEXT) | instid1(VALU_DEP_3)
	v_dual_fmac_f32 v45, v77, v80 :: v_dual_add_f32 v16, v16, v86
	v_dual_add_f32 v11, v11, v85 :: v_dual_add_f32 v12, v12, v30
	s_delay_alu instid0(VALU_DEP_3) | instskip(SKIP_2) | instid1(VALU_DEP_3)
	v_dual_add_f32 v9, v9, v23 :: v_dual_add_f32 v0, v0, v34
	v_dual_add_f32 v1, v1, v21 :: v_dual_add_f32 v8, v8, v35
	v_add_f32_e32 v15, v15, v84
	v_dual_add_f32 v9, v9, v26 :: v_dual_add_f32 v16, v16, v88
	v_add_f32_e32 v11, v11, v20
	s_delay_alu instid0(VALU_DEP_4) | instskip(NEXT) | instid1(VALU_DEP_3)
	v_dual_add_f32 v1, v1, v25 :: v_dual_add_f32 v12, v12, v32
	v_dual_add_f32 v8, v8, v48 :: v_dual_add_f32 v9, v9, v31
	;; [unrolled: 1-line block ×3, first 2 shown]
	s_delay_alu instid0(VALU_DEP_3) | instskip(SKIP_1) | instid1(VALU_DEP_3)
	v_add_f32_e32 v1, v1, v47
	v_dual_add_f32 v16, v16, v55 :: v_dual_add_f32 v11, v11, v29
	v_dual_add_f32 v12, v12, v38 :: v_dual_add_f32 v15, v15, v49
	v_add_f32_e32 v8, v8, v54
	s_delay_alu instid0(VALU_DEP_3) | instskip(NEXT) | instid1(VALU_DEP_3)
	v_dual_add_f32 v16, v16, v87 :: v_dual_add_f32 v11, v11, v36
	v_dual_add_f32 v9, v9, v46 :: v_dual_add_f32 v12, v12, v40
	v_add_f32_e32 v0, v0, v53
	v_add_f32_e32 v1, v1, v33
	s_delay_alu instid0(VALU_DEP_4) | instskip(SKIP_3) | instid1(VALU_DEP_4)
	v_dual_add_f32 v15, v15, v51 :: v_dual_add_f32 v16, v16, v65
	v_dual_add_f32 v8, v8, v58 :: v_dual_add_f32 v11, v11, v52
	v_add_f32_e32 v12, v12, v42
	v_dual_add_f32 v0, v0, v60 :: v_dual_add_f32 v9, v9, v39
	v_dual_add_f32 v1, v1, v59 :: v_dual_add_f32 v16, v16, v73
	v_mul_f32_e32 v68, v77, v79
	v_fma_f32 v72, v44, v78, -v72
	v_fma_f32 v44, v44, v80, -v90
	;; [unrolled: 1-line block ×3, first 2 shown]
	v_dual_add_f32 v15, v15, v61 :: v_dual_add_f32 v8, v8, v67
	v_add_f32_e32 v11, v11, v56
	v_dual_add_f32 v0, v0, v64 :: v_dual_add_f32 v9, v9, v57
	v_dual_add_f32 v12, v12, v44 :: v_dual_add_f32 v1, v1, v41
	v_fma_f32 v68, v76, v78, -v68
	s_delay_alu instid0(VALU_DEP_3) | instskip(SKIP_4) | instid1(VALU_DEP_4)
	v_add_f32_e32 v0, v0, v71
	v_add_f32_e32 v15, v15, v63
	v_add_f32_e32 v9, v9, v43
	v_dual_add_f32 v1, v1, v69 :: v_dual_add_f32 v8, v8, v70
	v_add_f32_e32 v11, v11, v62
	v_add_f32_e32 v15, v15, v72
	s_delay_alu instid0(VALU_DEP_4) | instskip(NEXT) | instid1(VALU_DEP_4)
	v_add_f32_e32 v9, v9, v68
	v_add_f32_e32 v1, v1, v45
	s_delay_alu instid0(VALU_DEP_4)
	v_add_f32_e32 v11, v11, v66
	s_cbranch_scc0 .LBB156_2
.LBB156_3:
	s_clause 0x1
	s_load_b32 s3, s[0:1], 0x40
	s_load_b64 s[4:5], s[0:1], 0x48
	v_add_nc_u32_e32 v7, s13, v7
	v_add_nc_u32_e32 v2, s12, v6
	s_delay_alu instid0(VALU_DEP_1)
	v_cmp_le_i32_e64 s0, v7, v2
	v_cmp_gt_i32_e32 vcc_lo, s2, v2
	s_waitcnt lgkmcnt(0)
	v_mad_i64_i32 v[3:4], null, v7, s3, 0
	s_mul_i32 s1, s15, s5
	s_mul_hi_u32 s5, s15, s4
	s_mul_i32 s4, s15, s4
	s_add_i32 s5, s5, s1
	s_delay_alu instid0(SALU_CYCLE_1) | instskip(NEXT) | instid1(VALU_DEP_1)
	s_lshl_b64 s[4:5], s[4:5], 3
	v_lshlrev_b64 v[3:4], 3, v[3:4]
	s_add_u32 s4, s6, s4
	s_addc_u32 s5, s7, s5
	s_and_b32 s0, s0, vcc_lo
	s_delay_alu instid0(VALU_DEP_1) | instskip(NEXT) | instid1(VALU_DEP_1)
	v_add_co_u32 v6, s1, s4, v3
	v_add_co_ci_u32_e64 v10, s1, s5, v4, s1
	s_and_saveexec_b32 s1, s0
	s_cbranch_execz .LBB156_5
; %bb.4:
	v_ashrrev_i32_e32 v3, 31, v2
	s_delay_alu instid0(VALU_DEP_1) | instskip(NEXT) | instid1(VALU_DEP_1)
	v_lshlrev_b64 v[3:4], 3, v[2:3]
	v_add_co_u32 v3, s0, v6, v3
	s_delay_alu instid0(VALU_DEP_1)
	v_add_co_ci_u32_e64 v4, s0, v10, v4, s0
	global_load_b64 v[13:14], v[3:4], off
	s_waitcnt vmcnt(0)
	v_dual_add_f32 v13, v15, v13 :: v_dual_add_f32 v14, v16, v14
	global_store_b64 v[3:4], v[13:14], off
.LBB156_5:
	s_or_b32 exec_lo, exec_lo, s1
	v_add_nc_u32_e32 v4, 16, v2
	s_delay_alu instid0(VALU_DEP_1) | instskip(SKIP_1) | instid1(VALU_DEP_1)
	v_cmp_le_i32_e64 s1, v7, v4
	v_cmp_gt_i32_e64 s0, s2, v4
	s_and_b32 s1, s1, s0
	s_delay_alu instid0(SALU_CYCLE_1)
	s_and_saveexec_b32 s2, s1
	s_cbranch_execz .LBB156_7
; %bb.6:
	v_ashrrev_i32_e32 v5, 31, v4
	s_delay_alu instid0(VALU_DEP_1) | instskip(NEXT) | instid1(VALU_DEP_1)
	v_lshlrev_b64 v[13:14], 3, v[4:5]
	v_add_co_u32 v5, s1, v6, v13
	s_delay_alu instid0(VALU_DEP_1)
	v_add_co_ci_u32_e64 v6, s1, v10, v14, s1
	global_load_b64 v[13:14], v[5:6], off
	s_waitcnt vmcnt(0)
	v_dual_add_f32 v10, v12, v13 :: v_dual_add_f32 v11, v11, v14
	global_store_b64 v[5:6], v[10:11], off
.LBB156_7:
	s_or_b32 exec_lo, exec_lo, s2
	v_add_nc_u32_e32 v5, 16, v7
	s_delay_alu instid0(VALU_DEP_1) | instskip(SKIP_1) | instid1(VALU_DEP_2)
	v_mad_i64_i32 v[6:7], null, v5, s3, 0
	v_cmp_le_i32_e64 s1, v5, v2
	v_lshlrev_b64 v[6:7], 3, v[6:7]
	s_delay_alu instid0(VALU_DEP_1) | instskip(NEXT) | instid1(VALU_DEP_1)
	v_add_co_u32 v6, s2, s4, v6
	v_add_co_ci_u32_e64 v7, s2, s5, v7, s2
	s_delay_alu instid0(VALU_DEP_4) | instskip(NEXT) | instid1(SALU_CYCLE_1)
	s_and_b32 s2, s1, vcc_lo
	s_and_saveexec_b32 s1, s2
	s_cbranch_execz .LBB156_9
; %bb.8:
	v_ashrrev_i32_e32 v3, 31, v2
	s_delay_alu instid0(VALU_DEP_1) | instskip(NEXT) | instid1(VALU_DEP_1)
	v_lshlrev_b64 v[2:3], 3, v[2:3]
	v_add_co_u32 v2, vcc_lo, v6, v2
	s_delay_alu instid0(VALU_DEP_2)
	v_add_co_ci_u32_e32 v3, vcc_lo, v7, v3, vcc_lo
	global_load_b64 v[10:11], v[2:3], off
	s_waitcnt vmcnt(0)
	v_dual_add_f32 v9, v9, v10 :: v_dual_add_f32 v10, v8, v11
	global_store_b64 v[2:3], v[9:10], off
.LBB156_9:
	s_or_b32 exec_lo, exec_lo, s1
	v_cmp_le_i32_e32 vcc_lo, v5, v4
	s_and_b32 s0, vcc_lo, s0
	s_delay_alu instid0(SALU_CYCLE_1)
	s_and_saveexec_b32 s1, s0
	s_cbranch_execz .LBB156_11
; %bb.10:
	v_ashrrev_i32_e32 v5, 31, v4
	s_delay_alu instid0(VALU_DEP_1) | instskip(NEXT) | instid1(VALU_DEP_1)
	v_lshlrev_b64 v[2:3], 3, v[4:5]
	v_add_co_u32 v2, vcc_lo, v6, v2
	s_delay_alu instid0(VALU_DEP_2)
	v_add_co_ci_u32_e32 v3, vcc_lo, v7, v3, vcc_lo
	global_load_b64 v[4:5], v[2:3], off
	s_waitcnt vmcnt(0)
	v_dual_add_f32 v0, v0, v4 :: v_dual_add_f32 v1, v1, v5
	global_store_b64 v[2:3], v[0:1], off
.LBB156_11:
	s_nop 0
	s_sendmsg sendmsg(MSG_DEALLOC_VGPRS)
	s_endpgm
	.section	.rodata,"a",@progbits
	.p2align	6, 0x0
	.amdhsa_kernel _ZL37rocblas_syrkx_herkx_restricted_kernelIi19rocblas_complex_numIfELi16ELi32ELi8ELi1ELi1ELb0ELc84ELc76EKS1_S1_EviT_PT9_S3_lS5_S3_lPT10_S3_li
		.amdhsa_group_segment_fixed_size 4096
		.amdhsa_private_segment_fixed_size 0
		.amdhsa_kernarg_size 84
		.amdhsa_user_sgpr_count 13
		.amdhsa_user_sgpr_dispatch_ptr 0
		.amdhsa_user_sgpr_queue_ptr 0
		.amdhsa_user_sgpr_kernarg_segment_ptr 1
		.amdhsa_user_sgpr_dispatch_id 0
		.amdhsa_user_sgpr_private_segment_size 0
		.amdhsa_wavefront_size32 1
		.amdhsa_uses_dynamic_stack 0
		.amdhsa_enable_private_segment 0
		.amdhsa_system_sgpr_workgroup_id_x 1
		.amdhsa_system_sgpr_workgroup_id_y 1
		.amdhsa_system_sgpr_workgroup_id_z 1
		.amdhsa_system_sgpr_workgroup_info 0
		.amdhsa_system_vgpr_workitem_id 1
		.amdhsa_next_free_vgpr 91
		.amdhsa_next_free_sgpr 20
		.amdhsa_reserve_vcc 1
		.amdhsa_float_round_mode_32 0
		.amdhsa_float_round_mode_16_64 0
		.amdhsa_float_denorm_mode_32 3
		.amdhsa_float_denorm_mode_16_64 3
		.amdhsa_dx10_clamp 1
		.amdhsa_ieee_mode 1
		.amdhsa_fp16_overflow 0
		.amdhsa_workgroup_processor_mode 1
		.amdhsa_memory_ordered 1
		.amdhsa_forward_progress 0
		.amdhsa_shared_vgpr_count 0
		.amdhsa_exception_fp_ieee_invalid_op 0
		.amdhsa_exception_fp_denorm_src 0
		.amdhsa_exception_fp_ieee_div_zero 0
		.amdhsa_exception_fp_ieee_overflow 0
		.amdhsa_exception_fp_ieee_underflow 0
		.amdhsa_exception_fp_ieee_inexact 0
		.amdhsa_exception_int_div_zero 0
	.end_amdhsa_kernel
	.section	.text._ZL37rocblas_syrkx_herkx_restricted_kernelIi19rocblas_complex_numIfELi16ELi32ELi8ELi1ELi1ELb0ELc84ELc76EKS1_S1_EviT_PT9_S3_lS5_S3_lPT10_S3_li,"axG",@progbits,_ZL37rocblas_syrkx_herkx_restricted_kernelIi19rocblas_complex_numIfELi16ELi32ELi8ELi1ELi1ELb0ELc84ELc76EKS1_S1_EviT_PT9_S3_lS5_S3_lPT10_S3_li,comdat
.Lfunc_end156:
	.size	_ZL37rocblas_syrkx_herkx_restricted_kernelIi19rocblas_complex_numIfELi16ELi32ELi8ELi1ELi1ELb0ELc84ELc76EKS1_S1_EviT_PT9_S3_lS5_S3_lPT10_S3_li, .Lfunc_end156-_ZL37rocblas_syrkx_herkx_restricted_kernelIi19rocblas_complex_numIfELi16ELi32ELi8ELi1ELi1ELb0ELc84ELc76EKS1_S1_EviT_PT9_S3_lS5_S3_lPT10_S3_li
                                        ; -- End function
	.section	.AMDGPU.csdata,"",@progbits
; Kernel info:
; codeLenInByte = 2096
; NumSgprs: 22
; NumVgprs: 91
; ScratchSize: 0
; MemoryBound: 0
; FloatMode: 240
; IeeeMode: 1
; LDSByteSize: 4096 bytes/workgroup (compile time only)
; SGPRBlocks: 2
; VGPRBlocks: 11
; NumSGPRsForWavesPerEU: 22
; NumVGPRsForWavesPerEU: 91
; Occupancy: 16
; WaveLimiterHint : 0
; COMPUTE_PGM_RSRC2:SCRATCH_EN: 0
; COMPUTE_PGM_RSRC2:USER_SGPR: 13
; COMPUTE_PGM_RSRC2:TRAP_HANDLER: 0
; COMPUTE_PGM_RSRC2:TGID_X_EN: 1
; COMPUTE_PGM_RSRC2:TGID_Y_EN: 1
; COMPUTE_PGM_RSRC2:TGID_Z_EN: 1
; COMPUTE_PGM_RSRC2:TIDIG_COMP_CNT: 1
	.section	.text._ZL37rocblas_syrkx_herkx_restricted_kernelIi19rocblas_complex_numIfELi16ELi32ELi8ELi1ELi1ELb0ELc67ELc76EKS1_S1_EviT_PT9_S3_lS5_S3_lPT10_S3_li,"axG",@progbits,_ZL37rocblas_syrkx_herkx_restricted_kernelIi19rocblas_complex_numIfELi16ELi32ELi8ELi1ELi1ELb0ELc67ELc76EKS1_S1_EviT_PT9_S3_lS5_S3_lPT10_S3_li,comdat
	.globl	_ZL37rocblas_syrkx_herkx_restricted_kernelIi19rocblas_complex_numIfELi16ELi32ELi8ELi1ELi1ELb0ELc67ELc76EKS1_S1_EviT_PT9_S3_lS5_S3_lPT10_S3_li ; -- Begin function _ZL37rocblas_syrkx_herkx_restricted_kernelIi19rocblas_complex_numIfELi16ELi32ELi8ELi1ELi1ELb0ELc67ELc76EKS1_S1_EviT_PT9_S3_lS5_S3_lPT10_S3_li
	.p2align	8
	.type	_ZL37rocblas_syrkx_herkx_restricted_kernelIi19rocblas_complex_numIfELi16ELi32ELi8ELi1ELi1ELb0ELc67ELc76EKS1_S1_EviT_PT9_S3_lS5_S3_lPT10_S3_li,@function
_ZL37rocblas_syrkx_herkx_restricted_kernelIi19rocblas_complex_numIfELi16ELi32ELi8ELi1ELi1ELb0ELc67ELc76EKS1_S1_EviT_PT9_S3_lS5_S3_lPT10_S3_li: ; @_ZL37rocblas_syrkx_herkx_restricted_kernelIi19rocblas_complex_numIfELi16ELi32ELi8ELi1ELi1ELb0ELc67ELc76EKS1_S1_EviT_PT9_S3_lS5_S3_lPT10_S3_li
; %bb.0:
	s_clause 0x1
	s_load_b64 s[2:3], s[0:1], 0x0
	s_load_b128 s[4:7], s[0:1], 0x30
	v_dual_mov_b32 v15, 0 :: v_dual_and_b32 v6, 0x3ff, v0
	v_bfe_u32 v7, v0, 10, 10
	v_dual_mov_b32 v16, 0 :: v_dual_mov_b32 v11, 0
	v_dual_mov_b32 v12, 0 :: v_dual_mov_b32 v9, 0
	;; [unrolled: 1-line block ×3, first 2 shown]
	v_mov_b32_e32 v0, 0
	s_lshl_b32 s12, s13, 5
	s_lshl_b32 s13, s14, 5
	s_mov_b32 s14, 0
	s_waitcnt lgkmcnt(0)
	s_cmp_lt_i32 s3, 1
	s_cbranch_scc1 .LBB157_3
; %bb.1:
	s_clause 0x3
	s_load_b32 s18, s[0:1], 0x10
	s_load_b128 s[8:11], s[0:1], 0x18
	s_load_b64 s[16:17], s[0:1], 0x8
	s_load_b32 s19, s[0:1], 0x28
	v_lshl_add_u32 v2, v7, 4, v6
	v_dual_mov_b32 v1, 0 :: v_dual_and_b32 v0, 7, v6
	v_lshlrev_b32_e32 v10, 3, v6
	s_mul_i32 s5, s5, s15
	s_delay_alu instid0(VALU_DEP_3)
	v_lshrrev_b32_e32 v4, 3, v2
	v_and_b32_e32 v5, 31, v2
	v_lshlrev_b32_e32 v3, 3, v0
	v_lshrrev_b32_e32 v2, 5, v2
	v_lshl_add_u32 v17, v7, 6, 0x800
	v_add_nc_u32_e32 v12, s13, v4
	v_add_nc_u32_e32 v11, s12, v5
	v_lshl_or_b32 v9, v4, 6, v3
	v_dual_mov_b32 v3, v1 :: v_dual_lshlrev_b32 v8, 3, v5
	v_mov_b32_e32 v16, v1
	s_delay_alu instid0(VALU_DEP_3) | instskip(SKIP_1) | instid1(VALU_DEP_3)
	v_dual_mov_b32 v15, v1 :: v_dual_add_nc_u32 v14, 0x800, v9
	s_waitcnt lgkmcnt(0)
	v_mad_i64_i32 v[4:5], null, s18, v11, v[2:3]
	s_mul_i32 s9, s9, s15
	s_mul_hi_u32 s18, s8, s15
	v_mov_b32_e32 v9, v1
	v_lshl_or_b32 v13, v2, 8, v8
	v_mov_b32_e32 v11, v1
	v_mad_i64_i32 v[2:3], null, s19, v12, v[0:1]
	s_mul_i32 s8, s8, s15
	s_add_i32 s9, s18, s9
	v_lshlrev_b64 v[4:5], 3, v[4:5]
	s_lshl_b64 s[8:9], s[8:9], 3
	v_mov_b32_e32 v12, v1
	s_add_u32 s8, s16, s8
	s_mul_hi_u32 s16, s4, s15
	s_addc_u32 s9, s17, s9
	s_add_i32 s5, s16, s5
	s_mul_i32 s4, s4, s15
	v_lshlrev_b64 v[2:3], 3, v[2:3]
	s_lshl_b64 s[4:5], s[4:5], 3
	v_add_co_u32 v0, vcc_lo, s8, v4
	s_add_u32 s4, s10, s4
	v_add_co_ci_u32_e32 v4, vcc_lo, s9, v5, vcc_lo
	s_addc_u32 s5, s11, s5
	v_add_co_u32 v5, vcc_lo, s4, v2
	v_add_co_ci_u32_e32 v8, vcc_lo, s5, v3, vcc_lo
	v_add_co_u32 v2, vcc_lo, v0, 4
	v_add_co_ci_u32_e32 v3, vcc_lo, 0, v4, vcc_lo
	s_delay_alu instid0(VALU_DEP_4) | instskip(NEXT) | instid1(VALU_DEP_4)
	v_add_co_u32 v4, vcc_lo, v5, 4
	v_add_co_ci_u32_e32 v5, vcc_lo, 0, v8, vcc_lo
	v_mov_b32_e32 v0, v1
	v_mov_b32_e32 v8, v1
.LBB157_2:                              ; =>This Inner Loop Header: Depth=1
	global_load_b64 v[18:19], v[2:3], off offset:-4
	global_load_b64 v[20:21], v[4:5], off offset:-4
	v_add_co_u32 v2, vcc_lo, v2, 64
	v_add_co_ci_u32_e32 v3, vcc_lo, 0, v3, vcc_lo
	v_add_co_u32 v4, vcc_lo, v4, 64
	v_add_co_ci_u32_e32 v5, vcc_lo, 0, v5, vcc_lo
	s_add_i32 s14, s14, 8
	s_waitcnt vmcnt(1)
	ds_store_b64 v13, v[18:19]
	s_waitcnt vmcnt(0)
	ds_store_b64 v14, v[20:21]
	s_waitcnt lgkmcnt(0)
	s_barrier
	buffer_gl0_inv
	ds_load_2addr_b64 v[18:21], v10 offset1:16
	ds_load_b128 v[22:25], v17
	ds_load_b128 v[26:29], v17 offset:1024
	ds_load_b128 v[30:33], v17 offset:16
	ds_load_2addr_b64 v[34:37], v10 offset0:32 offset1:48
	ds_load_b128 v[38:41], v17 offset:32
	ds_load_b128 v[42:45], v17 offset:48
	ds_load_2addr_b64 v[46:49], v10 offset0:64 offset1:80
	ds_load_b128 v[50:53], v17 offset:1040
	ds_load_2addr_b64 v[54:57], v10 offset0:96 offset1:112
	ds_load_2addr_b64 v[58:61], v10 offset0:128 offset1:144
	ds_load_2addr_b64 v[62:65], v10 offset0:160 offset1:176
	ds_load_2addr_b64 v[66:69], v10 offset0:192 offset1:208
	ds_load_b128 v[70:73], v17 offset:1056
	ds_load_b128 v[74:77], v17 offset:1072
	ds_load_2addr_b64 v[78:81], v10 offset0:224 offset1:240
	s_cmp_ge_i32 s14, s3
	s_waitcnt lgkmcnt(0)
	s_barrier
	buffer_gl0_inv
	v_dual_mul_f32 v82, v23, v19 :: v_dual_mul_f32 v85, v22, v21
	v_dual_mul_f32 v83, v22, v19 :: v_dual_mul_f32 v84, v23, v21
	v_mul_f32_e32 v86, v27, v19
	v_dual_mul_f32 v19, v26, v19 :: v_dual_mul_f32 v90, v25, v37
	v_dual_mul_f32 v87, v27, v21 :: v_dual_mul_f32 v88, v25, v35
	v_mul_f32_e32 v21, v26, v21
	v_fma_f32 v82, v22, v18, -v82
	v_fmac_f32_e32 v83, v23, v18
	v_fma_f32 v22, v22, v20, -v84
	v_fmac_f32_e32 v85, v23, v20
	v_fma_f32 v23, v26, v18, -v86
	v_dual_fmac_f32 v19, v27, v18 :: v_dual_mul_f32 v86, v30, v47
	v_fma_f32 v18, v26, v20, -v87
	v_dual_fmac_f32 v21, v27, v20 :: v_dual_mul_f32 v20, v24, v37
	v_mul_f32_e32 v89, v24, v35
	v_mul_f32_e32 v26, v29, v35
	;; [unrolled: 1-line block ×4, first 2 shown]
	v_fmac_f32_e32 v20, v25, v36
	v_fmac_f32_e32 v89, v25, v34
	v_dual_mul_f32 v25, v28, v37 :: v_dual_fmac_f32 v86, v31, v46
	v_fma_f32 v84, v24, v34, -v88
	v_fma_f32 v24, v24, v36, -v90
	v_dual_mul_f32 v37, v31, v47 :: v_dual_mul_f32 v90, v33, v57
	v_fma_f32 v26, v28, v34, -v26
	v_fma_f32 v28, v28, v36, -v35
	v_fmac_f32_e32 v25, v29, v36
	v_dual_mul_f32 v35, v50, v47 :: v_dual_mul_f32 v36, v51, v49
	v_dual_fmac_f32 v27, v29, v34 :: v_dual_mul_f32 v34, v51, v47
	v_dual_mul_f32 v88, v32, v55 :: v_dual_mul_f32 v29, v30, v49
	v_mul_f32_e32 v87, v31, v49
	v_fma_f32 v37, v30, v46, -v37
	v_add_f32_e32 v16, v16, v83
	s_delay_alu instid0(VALU_DEP_4)
	v_dual_fmac_f32 v88, v33, v54 :: v_dual_fmac_f32 v29, v31, v48
	v_fma_f32 v31, v50, v46, -v34
	v_fma_f32 v34, v50, v48, -v36
	v_mul_f32_e32 v36, v32, v57
	v_mul_f32_e32 v47, v50, v49
	v_dual_mul_f32 v50, v53, v57 :: v_dual_fmac_f32 v35, v51, v46
	v_mul_f32_e32 v46, v53, v55
	v_mul_f32_e32 v49, v33, v55
	v_fma_f32 v30, v30, v48, -v87
	v_fmac_f32_e32 v36, v33, v56
	v_dual_fmac_f32 v47, v51, v48 :: v_dual_mul_f32 v48, v52, v55
	v_mul_f32_e32 v33, v52, v57
	v_fma_f32 v46, v52, v54, -v46
	v_fma_f32 v50, v52, v56, -v50
	v_mul_f32_e32 v52, v38, v61
	v_fma_f32 v49, v32, v54, -v49
	v_fma_f32 v32, v32, v56, -v90
	v_dual_mul_f32 v51, v39, v59 :: v_dual_fmac_f32 v48, v53, v54
	v_mul_f32_e32 v54, v70, v59
	v_dual_mul_f32 v55, v38, v59 :: v_dual_fmac_f32 v52, v39, v60
	v_fmac_f32_e32 v33, v53, v56
	v_mul_f32_e32 v53, v71, v59
	v_mul_f32_e32 v56, v71, v61
	;; [unrolled: 1-line block ×3, first 2 shown]
	v_fmac_f32_e32 v54, v71, v58
	v_fmac_f32_e32 v55, v39, v58
	v_fma_f32 v39, v70, v58, -v53
	v_fma_f32 v53, v70, v60, -v56
	v_mul_f32_e32 v56, v40, v65
	v_mul_f32_e32 v59, v70, v61
	v_fma_f32 v51, v38, v58, -v51
	v_mul_f32_e32 v58, v72, v63
	v_mul_f32_e32 v87, v40, v63
	;; [unrolled: 1-line block ×4, first 2 shown]
	v_fma_f32 v38, v38, v60, -v57
	v_mul_f32_e32 v57, v73, v63
	v_fmac_f32_e32 v56, v41, v64
	v_dual_fmac_f32 v59, v71, v60 :: v_dual_mul_f32 v60, v73, v65
	v_mul_f32_e32 v63, v43, v67
	v_mul_f32_e32 v70, v43, v69
	v_fmac_f32_e32 v58, v73, v62
	v_fmac_f32_e32 v87, v41, v62
	v_mul_f32_e32 v41, v72, v65
	v_fma_f32 v61, v40, v62, -v61
	v_fma_f32 v40, v40, v64, -v90
	v_mul_f32_e32 v65, v42, v67
	v_fma_f32 v57, v72, v62, -v57
	v_fma_f32 v60, v72, v64, -v60
	v_dual_fmac_f32 v41, v73, v64 :: v_dual_mul_f32 v62, v42, v69
	v_mul_f32_e32 v64, v75, v67
	v_fma_f32 v63, v42, v66, -v63
	v_fma_f32 v42, v42, v68, -v70
	v_mul_f32_e32 v70, v76, v79
	v_mul_f32_e32 v67, v74, v67
	;; [unrolled: 1-line block ×3, first 2 shown]
	v_dual_mul_f32 v69, v74, v69 :: v_dual_add_f32 v12, v12, v22
	v_mul_f32_e32 v73, v44, v79
	v_dual_fmac_f32 v65, v43, v66 :: v_dual_add_f32 v8, v8, v19
	v_fmac_f32_e32 v62, v43, v68
	v_fma_f32 v43, v74, v66, -v64
	v_fmac_f32_e32 v70, v77, v78
	v_dual_fmac_f32 v67, v75, v66 :: v_dual_add_f32 v16, v16, v89
	v_mul_f32_e32 v66, v44, v81
	v_mul_f32_e32 v72, v45, v79
	v_dual_mul_f32 v90, v45, v81 :: v_dual_fmac_f32 v69, v75, v68
	v_add_f32_e32 v0, v0, v18
	v_dual_fmac_f32 v73, v45, v78 :: v_dual_add_f32 v8, v8, v27
	v_dual_fmac_f32 v66, v45, v80 :: v_dual_mul_f32 v45, v76, v81
	v_fma_f32 v64, v74, v68, -v71
	v_dual_mul_f32 v71, v77, v81 :: v_dual_add_f32 v12, v12, v24
	v_dual_add_f32 v15, v15, v82 :: v_dual_add_f32 v0, v0, v28
	s_delay_alu instid0(VALU_DEP_4) | instskip(NEXT) | instid1(VALU_DEP_3)
	v_dual_fmac_f32 v45, v77, v80 :: v_dual_add_f32 v16, v16, v86
	v_dual_add_f32 v11, v11, v85 :: v_dual_add_f32 v12, v12, v30
	s_delay_alu instid0(VALU_DEP_3) | instskip(SKIP_2) | instid1(VALU_DEP_3)
	v_dual_add_f32 v9, v9, v23 :: v_dual_add_f32 v0, v0, v34
	v_dual_add_f32 v1, v1, v21 :: v_dual_add_f32 v8, v8, v35
	v_add_f32_e32 v15, v15, v84
	v_dual_add_f32 v9, v9, v26 :: v_dual_add_f32 v16, v16, v88
	v_add_f32_e32 v11, v11, v20
	s_delay_alu instid0(VALU_DEP_4) | instskip(NEXT) | instid1(VALU_DEP_3)
	v_dual_add_f32 v1, v1, v25 :: v_dual_add_f32 v12, v12, v32
	v_dual_add_f32 v8, v8, v48 :: v_dual_add_f32 v9, v9, v31
	;; [unrolled: 1-line block ×3, first 2 shown]
	s_delay_alu instid0(VALU_DEP_3) | instskip(SKIP_1) | instid1(VALU_DEP_3)
	v_add_f32_e32 v1, v1, v47
	v_dual_add_f32 v16, v16, v55 :: v_dual_add_f32 v11, v11, v29
	v_dual_add_f32 v12, v12, v38 :: v_dual_add_f32 v15, v15, v49
	v_add_f32_e32 v8, v8, v54
	s_delay_alu instid0(VALU_DEP_3) | instskip(NEXT) | instid1(VALU_DEP_3)
	v_dual_add_f32 v16, v16, v87 :: v_dual_add_f32 v11, v11, v36
	v_dual_add_f32 v9, v9, v46 :: v_dual_add_f32 v12, v12, v40
	v_add_f32_e32 v0, v0, v53
	v_add_f32_e32 v1, v1, v33
	s_delay_alu instid0(VALU_DEP_4) | instskip(SKIP_3) | instid1(VALU_DEP_4)
	v_dual_add_f32 v15, v15, v51 :: v_dual_add_f32 v16, v16, v65
	v_dual_add_f32 v8, v8, v58 :: v_dual_add_f32 v11, v11, v52
	v_add_f32_e32 v12, v12, v42
	v_dual_add_f32 v0, v0, v60 :: v_dual_add_f32 v9, v9, v39
	v_dual_add_f32 v1, v1, v59 :: v_dual_add_f32 v16, v16, v73
	v_mul_f32_e32 v68, v77, v79
	v_fma_f32 v72, v44, v78, -v72
	v_fma_f32 v44, v44, v80, -v90
	;; [unrolled: 1-line block ×3, first 2 shown]
	v_dual_add_f32 v15, v15, v61 :: v_dual_add_f32 v8, v8, v67
	v_add_f32_e32 v11, v11, v56
	v_dual_add_f32 v0, v0, v64 :: v_dual_add_f32 v9, v9, v57
	v_dual_add_f32 v12, v12, v44 :: v_dual_add_f32 v1, v1, v41
	v_fma_f32 v68, v76, v78, -v68
	s_delay_alu instid0(VALU_DEP_3) | instskip(SKIP_4) | instid1(VALU_DEP_4)
	v_add_f32_e32 v0, v0, v71
	v_add_f32_e32 v15, v15, v63
	;; [unrolled: 1-line block ×3, first 2 shown]
	v_dual_add_f32 v1, v1, v69 :: v_dual_add_f32 v8, v8, v70
	v_add_f32_e32 v11, v11, v62
	v_add_f32_e32 v15, v15, v72
	s_delay_alu instid0(VALU_DEP_4) | instskip(NEXT) | instid1(VALU_DEP_4)
	v_add_f32_e32 v9, v9, v68
	v_add_f32_e32 v1, v1, v45
	s_delay_alu instid0(VALU_DEP_4)
	v_add_f32_e32 v11, v11, v66
	s_cbranch_scc0 .LBB157_2
.LBB157_3:
	s_clause 0x1
	s_load_b32 s3, s[0:1], 0x40
	s_load_b64 s[4:5], s[0:1], 0x48
	v_add_nc_u32_e32 v7, s13, v7
	v_add_nc_u32_e32 v2, s12, v6
	s_delay_alu instid0(VALU_DEP_1)
	v_cmp_le_i32_e64 s0, v7, v2
	v_cmp_gt_i32_e32 vcc_lo, s2, v2
	s_waitcnt lgkmcnt(0)
	v_mad_i64_i32 v[3:4], null, v7, s3, 0
	s_mul_i32 s1, s15, s5
	s_mul_hi_u32 s5, s15, s4
	s_mul_i32 s4, s15, s4
	s_add_i32 s5, s5, s1
	s_delay_alu instid0(SALU_CYCLE_1) | instskip(NEXT) | instid1(VALU_DEP_1)
	s_lshl_b64 s[4:5], s[4:5], 3
	v_lshlrev_b64 v[3:4], 3, v[3:4]
	s_add_u32 s4, s6, s4
	s_addc_u32 s5, s7, s5
	s_and_b32 s0, s0, vcc_lo
	s_delay_alu instid0(VALU_DEP_1) | instskip(NEXT) | instid1(VALU_DEP_1)
	v_add_co_u32 v6, s1, s4, v3
	v_add_co_ci_u32_e64 v10, s1, s5, v4, s1
	s_and_saveexec_b32 s1, s0
	s_cbranch_execz .LBB157_5
; %bb.4:
	v_ashrrev_i32_e32 v3, 31, v2
	s_delay_alu instid0(VALU_DEP_1) | instskip(NEXT) | instid1(VALU_DEP_1)
	v_lshlrev_b64 v[3:4], 3, v[2:3]
	v_add_co_u32 v3, s0, v6, v3
	s_delay_alu instid0(VALU_DEP_1)
	v_add_co_ci_u32_e64 v4, s0, v10, v4, s0
	global_load_b64 v[13:14], v[3:4], off
	s_waitcnt vmcnt(0)
	v_dual_add_f32 v13, v15, v13 :: v_dual_add_f32 v14, v16, v14
	global_store_b64 v[3:4], v[13:14], off
.LBB157_5:
	s_or_b32 exec_lo, exec_lo, s1
	v_add_nc_u32_e32 v4, 16, v2
	s_delay_alu instid0(VALU_DEP_1) | instskip(SKIP_1) | instid1(VALU_DEP_1)
	v_cmp_le_i32_e64 s1, v7, v4
	v_cmp_gt_i32_e64 s0, s2, v4
	s_and_b32 s1, s1, s0
	s_delay_alu instid0(SALU_CYCLE_1)
	s_and_saveexec_b32 s2, s1
	s_cbranch_execz .LBB157_7
; %bb.6:
	v_ashrrev_i32_e32 v5, 31, v4
	s_delay_alu instid0(VALU_DEP_1) | instskip(NEXT) | instid1(VALU_DEP_1)
	v_lshlrev_b64 v[13:14], 3, v[4:5]
	v_add_co_u32 v5, s1, v6, v13
	s_delay_alu instid0(VALU_DEP_1)
	v_add_co_ci_u32_e64 v6, s1, v10, v14, s1
	global_load_b64 v[13:14], v[5:6], off
	s_waitcnt vmcnt(0)
	v_dual_add_f32 v10, v12, v13 :: v_dual_add_f32 v11, v11, v14
	global_store_b64 v[5:6], v[10:11], off
.LBB157_7:
	s_or_b32 exec_lo, exec_lo, s2
	v_add_nc_u32_e32 v5, 16, v7
	s_delay_alu instid0(VALU_DEP_1) | instskip(SKIP_1) | instid1(VALU_DEP_2)
	v_mad_i64_i32 v[6:7], null, v5, s3, 0
	v_cmp_le_i32_e64 s1, v5, v2
	v_lshlrev_b64 v[6:7], 3, v[6:7]
	s_delay_alu instid0(VALU_DEP_1) | instskip(NEXT) | instid1(VALU_DEP_1)
	v_add_co_u32 v6, s2, s4, v6
	v_add_co_ci_u32_e64 v7, s2, s5, v7, s2
	s_delay_alu instid0(VALU_DEP_4) | instskip(NEXT) | instid1(SALU_CYCLE_1)
	s_and_b32 s2, s1, vcc_lo
	s_and_saveexec_b32 s1, s2
	s_cbranch_execz .LBB157_9
; %bb.8:
	v_ashrrev_i32_e32 v3, 31, v2
	s_delay_alu instid0(VALU_DEP_1) | instskip(NEXT) | instid1(VALU_DEP_1)
	v_lshlrev_b64 v[2:3], 3, v[2:3]
	v_add_co_u32 v2, vcc_lo, v6, v2
	s_delay_alu instid0(VALU_DEP_2)
	v_add_co_ci_u32_e32 v3, vcc_lo, v7, v3, vcc_lo
	global_load_b64 v[10:11], v[2:3], off
	s_waitcnt vmcnt(0)
	v_dual_add_f32 v9, v9, v10 :: v_dual_add_f32 v10, v8, v11
	global_store_b64 v[2:3], v[9:10], off
.LBB157_9:
	s_or_b32 exec_lo, exec_lo, s1
	v_cmp_le_i32_e32 vcc_lo, v5, v4
	s_and_b32 s0, vcc_lo, s0
	s_delay_alu instid0(SALU_CYCLE_1)
	s_and_saveexec_b32 s1, s0
	s_cbranch_execz .LBB157_11
; %bb.10:
	v_ashrrev_i32_e32 v5, 31, v4
	s_delay_alu instid0(VALU_DEP_1) | instskip(NEXT) | instid1(VALU_DEP_1)
	v_lshlrev_b64 v[2:3], 3, v[4:5]
	v_add_co_u32 v2, vcc_lo, v6, v2
	s_delay_alu instid0(VALU_DEP_2)
	v_add_co_ci_u32_e32 v3, vcc_lo, v7, v3, vcc_lo
	global_load_b64 v[4:5], v[2:3], off
	s_waitcnt vmcnt(0)
	v_dual_add_f32 v0, v0, v4 :: v_dual_add_f32 v1, v1, v5
	global_store_b64 v[2:3], v[0:1], off
.LBB157_11:
	s_nop 0
	s_sendmsg sendmsg(MSG_DEALLOC_VGPRS)
	s_endpgm
	.section	.rodata,"a",@progbits
	.p2align	6, 0x0
	.amdhsa_kernel _ZL37rocblas_syrkx_herkx_restricted_kernelIi19rocblas_complex_numIfELi16ELi32ELi8ELi1ELi1ELb0ELc67ELc76EKS1_S1_EviT_PT9_S3_lS5_S3_lPT10_S3_li
		.amdhsa_group_segment_fixed_size 4096
		.amdhsa_private_segment_fixed_size 0
		.amdhsa_kernarg_size 84
		.amdhsa_user_sgpr_count 13
		.amdhsa_user_sgpr_dispatch_ptr 0
		.amdhsa_user_sgpr_queue_ptr 0
		.amdhsa_user_sgpr_kernarg_segment_ptr 1
		.amdhsa_user_sgpr_dispatch_id 0
		.amdhsa_user_sgpr_private_segment_size 0
		.amdhsa_wavefront_size32 1
		.amdhsa_uses_dynamic_stack 0
		.amdhsa_enable_private_segment 0
		.amdhsa_system_sgpr_workgroup_id_x 1
		.amdhsa_system_sgpr_workgroup_id_y 1
		.amdhsa_system_sgpr_workgroup_id_z 1
		.amdhsa_system_sgpr_workgroup_info 0
		.amdhsa_system_vgpr_workitem_id 1
		.amdhsa_next_free_vgpr 91
		.amdhsa_next_free_sgpr 20
		.amdhsa_reserve_vcc 1
		.amdhsa_float_round_mode_32 0
		.amdhsa_float_round_mode_16_64 0
		.amdhsa_float_denorm_mode_32 3
		.amdhsa_float_denorm_mode_16_64 3
		.amdhsa_dx10_clamp 1
		.amdhsa_ieee_mode 1
		.amdhsa_fp16_overflow 0
		.amdhsa_workgroup_processor_mode 1
		.amdhsa_memory_ordered 1
		.amdhsa_forward_progress 0
		.amdhsa_shared_vgpr_count 0
		.amdhsa_exception_fp_ieee_invalid_op 0
		.amdhsa_exception_fp_denorm_src 0
		.amdhsa_exception_fp_ieee_div_zero 0
		.amdhsa_exception_fp_ieee_overflow 0
		.amdhsa_exception_fp_ieee_underflow 0
		.amdhsa_exception_fp_ieee_inexact 0
		.amdhsa_exception_int_div_zero 0
	.end_amdhsa_kernel
	.section	.text._ZL37rocblas_syrkx_herkx_restricted_kernelIi19rocblas_complex_numIfELi16ELi32ELi8ELi1ELi1ELb0ELc67ELc76EKS1_S1_EviT_PT9_S3_lS5_S3_lPT10_S3_li,"axG",@progbits,_ZL37rocblas_syrkx_herkx_restricted_kernelIi19rocblas_complex_numIfELi16ELi32ELi8ELi1ELi1ELb0ELc67ELc76EKS1_S1_EviT_PT9_S3_lS5_S3_lPT10_S3_li,comdat
.Lfunc_end157:
	.size	_ZL37rocblas_syrkx_herkx_restricted_kernelIi19rocblas_complex_numIfELi16ELi32ELi8ELi1ELi1ELb0ELc67ELc76EKS1_S1_EviT_PT9_S3_lS5_S3_lPT10_S3_li, .Lfunc_end157-_ZL37rocblas_syrkx_herkx_restricted_kernelIi19rocblas_complex_numIfELi16ELi32ELi8ELi1ELi1ELb0ELc67ELc76EKS1_S1_EviT_PT9_S3_lS5_S3_lPT10_S3_li
                                        ; -- End function
	.section	.AMDGPU.csdata,"",@progbits
; Kernel info:
; codeLenInByte = 2096
; NumSgprs: 22
; NumVgprs: 91
; ScratchSize: 0
; MemoryBound: 0
; FloatMode: 240
; IeeeMode: 1
; LDSByteSize: 4096 bytes/workgroup (compile time only)
; SGPRBlocks: 2
; VGPRBlocks: 11
; NumSGPRsForWavesPerEU: 22
; NumVGPRsForWavesPerEU: 91
; Occupancy: 16
; WaveLimiterHint : 0
; COMPUTE_PGM_RSRC2:SCRATCH_EN: 0
; COMPUTE_PGM_RSRC2:USER_SGPR: 13
; COMPUTE_PGM_RSRC2:TRAP_HANDLER: 0
; COMPUTE_PGM_RSRC2:TGID_X_EN: 1
; COMPUTE_PGM_RSRC2:TGID_Y_EN: 1
; COMPUTE_PGM_RSRC2:TGID_Z_EN: 1
; COMPUTE_PGM_RSRC2:TIDIG_COMP_CNT: 1
	.section	.text._ZL37rocblas_syrkx_herkx_restricted_kernelIi19rocblas_complex_numIfELi16ELi32ELi8ELi1ELi1ELb0ELc78ELc76EKS1_S1_EviT_PT9_S3_lS5_S3_lPT10_S3_li,"axG",@progbits,_ZL37rocblas_syrkx_herkx_restricted_kernelIi19rocblas_complex_numIfELi16ELi32ELi8ELi1ELi1ELb0ELc78ELc76EKS1_S1_EviT_PT9_S3_lS5_S3_lPT10_S3_li,comdat
	.globl	_ZL37rocblas_syrkx_herkx_restricted_kernelIi19rocblas_complex_numIfELi16ELi32ELi8ELi1ELi1ELb0ELc78ELc76EKS1_S1_EviT_PT9_S3_lS5_S3_lPT10_S3_li ; -- Begin function _ZL37rocblas_syrkx_herkx_restricted_kernelIi19rocblas_complex_numIfELi16ELi32ELi8ELi1ELi1ELb0ELc78ELc76EKS1_S1_EviT_PT9_S3_lS5_S3_lPT10_S3_li
	.p2align	8
	.type	_ZL37rocblas_syrkx_herkx_restricted_kernelIi19rocblas_complex_numIfELi16ELi32ELi8ELi1ELi1ELb0ELc78ELc76EKS1_S1_EviT_PT9_S3_lS5_S3_lPT10_S3_li,@function
_ZL37rocblas_syrkx_herkx_restricted_kernelIi19rocblas_complex_numIfELi16ELi32ELi8ELi1ELi1ELb0ELc78ELc76EKS1_S1_EviT_PT9_S3_lS5_S3_lPT10_S3_li: ; @_ZL37rocblas_syrkx_herkx_restricted_kernelIi19rocblas_complex_numIfELi16ELi32ELi8ELi1ELi1ELb0ELc78ELc76EKS1_S1_EviT_PT9_S3_lS5_S3_lPT10_S3_li
; %bb.0:
	s_clause 0x1
	s_load_b64 s[2:3], s[0:1], 0x0
	s_load_b128 s[4:7], s[0:1], 0x30
	v_dual_mov_b32 v17, 0 :: v_dual_and_b32 v4, 0x3ff, v0
	v_bfe_u32 v5, v0, 10, 10
	v_dual_mov_b32 v16, 0 :: v_dual_mov_b32 v13, 0
	v_dual_mov_b32 v12, 0 :: v_dual_mov_b32 v9, 0
	;; [unrolled: 1-line block ×3, first 2 shown]
	v_mov_b32_e32 v6, 0
	s_lshl_b32 s12, s13, 5
	s_lshl_b32 s13, s14, 5
	s_mov_b32 s14, 0
	s_waitcnt lgkmcnt(0)
	s_cmp_lt_i32 s3, 1
	s_cbranch_scc1 .LBB158_3
; %bb.1:
	s_clause 0x1
	s_load_b32 s16, s[0:1], 0x10
	s_load_b32 s18, s[0:1], 0x28
	v_lshl_add_u32 v0, v5, 4, v4
	v_and_b32_e32 v8, 7, v4
	s_clause 0x1
	s_load_b128 s[8:11], s[0:1], 0x18
	s_load_b64 s[20:21], s[0:1], 0x8
	s_mul_i32 s5, s5, s15
	v_lshrrev_b32_e32 v1, 3, v0
	v_and_b32_e32 v2, 31, v0
	v_lshrrev_b32_e32 v9, 5, v0
	v_lshlrev_b32_e32 v3, 3, v8
	s_delay_alu instid0(VALU_DEP_4) | instskip(NEXT) | instid1(VALU_DEP_4)
	v_dual_mov_b32 v13, 0 :: v_dual_add_nc_u32 v0, s13, v1
	v_dual_mov_b32 v17, 0 :: v_dual_lshlrev_b32 v6, 3, v2
	v_add_nc_u32_e32 v2, s12, v2
	s_delay_alu instid0(VALU_DEP_4) | instskip(NEXT) | instid1(VALU_DEP_4)
	v_lshl_or_b32 v11, v1, 6, v3
	v_ashrrev_i32_e32 v1, 31, v0
	s_delay_alu instid0(VALU_DEP_4)
	v_lshl_or_b32 v10, v9, 8, v6
	v_lshlrev_b32_e32 v14, 3, v4
	v_ashrrev_i32_e32 v3, 31, v2
	s_waitcnt lgkmcnt(0)
	s_ashr_i32 s17, s16, 31
	v_mad_i64_i32 v[6:7], null, s18, v8, v[0:1]
	s_mul_i32 s9, s9, s15
	v_mad_i64_i32 v[0:1], null, s16, v9, v[2:3]
	s_mul_hi_u32 s22, s8, s15
	s_mul_i32 s8, s8, s15
	s_add_i32 s9, s22, s9
	s_ashr_i32 s19, s18, 31
	s_lshl_b64 s[8:9], s[8:9], 3
	v_dual_mov_b32 v8, 0 :: v_dual_add_nc_u32 v11, 0x800, v11
	s_delay_alu instid0(VALU_DEP_2)
	v_lshlrev_b64 v[0:1], 3, v[0:1]
	s_add_u32 s8, s20, s8
	s_addc_u32 s9, s21, s9
	s_mul_hi_u32 s20, s4, s15
	s_mul_i32 s4, s4, s15
	s_add_i32 s5, s20, s5
	v_add_co_u32 v2, vcc_lo, s8, v0
	v_add_co_ci_u32_e32 v3, vcc_lo, s9, v1, vcc_lo
	v_lshlrev_b64 v[0:1], 3, v[6:7]
	s_lshl_b64 s[8:9], s[4:5], 3
	s_lshl_b64 s[4:5], s[16:17], 6
	s_add_u32 s8, s10, s8
	s_addc_u32 s9, s11, s9
	v_lshl_add_u32 v15, v5, 6, 0x800
	v_add_co_u32 v6, vcc_lo, s8, v0
	v_add_co_ci_u32_e32 v7, vcc_lo, s9, v1, vcc_lo
	v_add_co_u32 v0, vcc_lo, v2, 4
	v_add_co_ci_u32_e32 v1, vcc_lo, 0, v3, vcc_lo
	s_delay_alu instid0(VALU_DEP_4) | instskip(NEXT) | instid1(VALU_DEP_4)
	v_add_co_u32 v2, vcc_lo, v6, 4
	v_add_co_ci_u32_e32 v3, vcc_lo, 0, v7, vcc_lo
	v_dual_mov_b32 v6, 0 :: v_dual_mov_b32 v7, 0
	v_dual_mov_b32 v9, 0 :: v_dual_mov_b32 v12, 0
	v_mov_b32_e32 v16, 0
	s_lshl_b64 s[8:9], s[18:19], 6
.LBB158_2:                              ; =>This Inner Loop Header: Depth=1
	global_load_b64 v[18:19], v[0:1], off offset:-4
	global_load_b64 v[20:21], v[2:3], off offset:-4
	v_add_co_u32 v0, vcc_lo, v0, s4
	v_add_co_ci_u32_e32 v1, vcc_lo, s5, v1, vcc_lo
	v_add_co_u32 v2, vcc_lo, v2, s8
	v_add_co_ci_u32_e32 v3, vcc_lo, s9, v3, vcc_lo
	s_add_i32 s14, s14, 8
	s_waitcnt vmcnt(1)
	ds_store_b64 v10, v[18:19]
	s_waitcnt vmcnt(0)
	ds_store_b64 v11, v[20:21]
	s_waitcnt lgkmcnt(0)
	s_barrier
	buffer_gl0_inv
	ds_load_2addr_b64 v[18:21], v14 offset1:16
	ds_load_b128 v[22:25], v15
	ds_load_b128 v[26:29], v15 offset:1024
	ds_load_b128 v[30:33], v15 offset:16
	ds_load_2addr_b64 v[34:37], v14 offset0:32 offset1:48
	ds_load_b128 v[38:41], v15 offset:32
	ds_load_b128 v[42:45], v15 offset:48
	ds_load_2addr_b64 v[46:49], v14 offset0:64 offset1:80
	ds_load_b128 v[50:53], v15 offset:1040
	ds_load_2addr_b64 v[54:57], v14 offset0:96 offset1:112
	ds_load_2addr_b64 v[58:61], v14 offset0:128 offset1:144
	;; [unrolled: 1-line block ×4, first 2 shown]
	ds_load_b128 v[70:73], v15 offset:1056
	ds_load_b128 v[74:77], v15 offset:1072
	ds_load_2addr_b64 v[78:81], v14 offset0:224 offset1:240
	s_cmp_ge_i32 s14, s3
	s_waitcnt lgkmcnt(0)
	s_barrier
	buffer_gl0_inv
	v_dual_mul_f32 v82, v23, v19 :: v_dual_mul_f32 v85, v22, v21
	v_dual_mul_f32 v83, v22, v19 :: v_dual_mul_f32 v84, v23, v21
	v_mul_f32_e32 v86, v27, v19
	v_dual_mul_f32 v19, v26, v19 :: v_dual_mul_f32 v90, v25, v37
	v_dual_mul_f32 v87, v27, v21 :: v_dual_mul_f32 v88, v25, v35
	v_mul_f32_e32 v21, v26, v21
	v_mul_f32_e32 v89, v24, v35
	;; [unrolled: 1-line block ×3, first 2 shown]
	v_fma_f32 v82, v22, v18, -v82
	v_fmac_f32_e32 v83, v23, v18
	v_fma_f32 v22, v22, v20, -v84
	v_dual_fmac_f32 v85, v23, v20 :: v_dual_mul_f32 v84, v30, v47
	v_fma_f32 v23, v26, v18, -v86
	v_fmac_f32_e32 v19, v27, v18
	v_fma_f32 v18, v26, v20, -v87
	v_dual_mul_f32 v26, v28, v35 :: v_dual_fmac_f32 v21, v27, v20
	v_mul_f32_e32 v20, v29, v35
	v_mul_f32_e32 v27, v29, v37
	v_dual_mul_f32 v35, v28, v37 :: v_dual_fmac_f32 v84, v31, v46
	v_fma_f32 v37, v24, v34, -v88
	v_fma_f32 v24, v24, v36, -v90
	v_dual_fmac_f32 v91, v25, v36 :: v_dual_mul_f32 v90, v32, v57
	v_dual_mul_f32 v86, v31, v49 :: v_dual_fmac_f32 v89, v25, v34
	v_dual_mul_f32 v25, v31, v47 :: v_dual_mul_f32 v88, v33, v57
	v_fma_f32 v20, v28, v34, -v20
	v_fmac_f32_e32 v26, v29, v34
	v_fma_f32 v27, v28, v36, -v27
	v_dual_fmac_f32 v35, v29, v36 :: v_dual_mul_f32 v28, v51, v47
	v_dual_mul_f32 v29, v50, v47 :: v_dual_mul_f32 v34, v51, v49
	v_mul_f32_e32 v36, v50, v49
	v_mul_f32_e32 v87, v30, v49
	;; [unrolled: 1-line block ×3, first 2 shown]
	v_dual_mul_f32 v49, v32, v55 :: v_dual_fmac_f32 v90, v33, v56
	v_fma_f32 v25, v30, v46, -v25
	v_fma_f32 v30, v30, v48, -v86
	;; [unrolled: 1-line block ×3, first 2 shown]
	v_fmac_f32_e32 v36, v51, v48
	v_fmac_f32_e32 v87, v31, v48
	v_fma_f32 v31, v50, v48, -v34
	v_mul_f32_e32 v34, v53, v55
	v_mul_f32_e32 v48, v53, v57
	v_dual_mul_f32 v50, v52, v57 :: v_dual_fmac_f32 v29, v51, v46
	v_mul_f32_e32 v46, v52, v55
	v_fma_f32 v47, v32, v54, -v47
	v_fmac_f32_e32 v49, v33, v54
	v_fma_f32 v32, v32, v56, -v88
	s_delay_alu instid0(VALU_DEP_4)
	v_dual_mul_f32 v33, v39, v59 :: v_dual_fmac_f32 v46, v53, v54
	v_mul_f32_e32 v51, v38, v59
	v_mul_f32_e32 v55, v39, v61
	v_fma_f32 v34, v52, v54, -v34
	v_fma_f32 v48, v52, v56, -v48
	v_fmac_f32_e32 v50, v53, v56
	v_mul_f32_e32 v52, v71, v59
	v_dual_mul_f32 v53, v70, v59 :: v_dual_mul_f32 v86, v41, v65
	v_mul_f32_e32 v54, v71, v61
	v_dual_mul_f32 v56, v70, v61 :: v_dual_mul_f32 v59, v41, v63
	v_mul_f32_e32 v57, v38, v61
	v_mul_f32_e32 v61, v40, v63
	v_dual_mul_f32 v88, v40, v65 :: v_dual_fmac_f32 v51, v39, v58
	v_fma_f32 v33, v38, v58, -v33
	v_fmac_f32_e32 v53, v71, v58
	v_fmac_f32_e32 v56, v71, v60
	s_delay_alu instid0(VALU_DEP_4)
	v_fmac_f32_e32 v88, v41, v64
	v_fmac_f32_e32 v57, v39, v60
	v_fma_f32 v39, v70, v58, -v52
	v_fma_f32 v52, v70, v60, -v54
	v_mul_f32_e32 v54, v73, v63
	v_fma_f32 v38, v38, v60, -v55
	v_mul_f32_e32 v60, v72, v65
	v_dual_mul_f32 v55, v72, v63 :: v_dual_mul_f32 v70, v42, v69
	v_mul_f32_e32 v58, v73, v65
	v_fma_f32 v59, v40, v62, -v59
	v_fmac_f32_e32 v61, v41, v62
	v_fma_f32 v40, v40, v64, -v86
	v_dual_mul_f32 v41, v43, v67 :: v_dual_fmac_f32 v60, v73, v64
	v_dual_mul_f32 v63, v42, v67 :: v_dual_mul_f32 v86, v44, v81
	v_mul_f32_e32 v65, v43, v69
	v_fma_f32 v54, v72, v62, -v54
	v_fmac_f32_e32 v55, v73, v62
	v_fma_f32 v58, v72, v64, -v58
	v_mul_f32_e32 v72, v44, v79
	v_mul_f32_e32 v62, v75, v67
	v_dual_mul_f32 v64, v74, v67 :: v_dual_mul_f32 v67, v75, v69
	v_dual_mul_f32 v69, v74, v69 :: v_dual_fmac_f32 v70, v43, v68
	s_delay_alu instid0(VALU_DEP_2)
	v_dual_mul_f32 v71, v45, v79 :: v_dual_fmac_f32 v64, v75, v66
	v_dual_mul_f32 v73, v45, v81 :: v_dual_add_f32 v16, v16, v82
	v_fma_f32 v41, v42, v66, -v41
	v_fmac_f32_e32 v63, v43, v66
	v_fma_f32 v42, v42, v68, -v65
	v_fma_f32 v43, v74, v66, -v62
	v_dual_mul_f32 v65, v77, v79 :: v_dual_add_f32 v12, v12, v85
	v_mul_f32_e32 v66, v76, v79
	v_fma_f32 v62, v74, v68, -v67
	v_dual_mul_f32 v67, v77, v81 :: v_dual_add_f32 v8, v8, v19
	v_dual_fmac_f32 v86, v45, v80 :: v_dual_add_f32 v7, v7, v18
	v_dual_add_f32 v17, v17, v83 :: v_dual_add_f32 v6, v6, v21
	v_dual_add_f32 v13, v13, v22 :: v_dual_add_f32 v16, v16, v37
	s_delay_alu instid0(VALU_DEP_4)
	v_dual_add_f32 v9, v9, v23 :: v_dual_add_f32 v8, v8, v26
	v_dual_fmac_f32 v69, v75, v68 :: v_dual_fmac_f32 v72, v45, v78
	v_mul_f32_e32 v68, v76, v81
	v_dual_fmac_f32 v66, v77, v78 :: v_dual_add_f32 v7, v7, v27
	v_dual_add_f32 v17, v17, v89 :: v_dual_add_f32 v12, v12, v91
	v_dual_add_f32 v13, v13, v24 :: v_dual_add_f32 v6, v6, v35
	;; [unrolled: 1-line block ×3, first 2 shown]
	s_delay_alu instid0(VALU_DEP_4) | instskip(NEXT) | instid1(VALU_DEP_4)
	v_dual_fmac_f32 v68, v77, v80 :: v_dual_add_f32 v7, v7, v31
	v_dual_add_f32 v17, v17, v84 :: v_dual_add_f32 v12, v12, v87
	s_delay_alu instid0(VALU_DEP_4) | instskip(NEXT) | instid1(VALU_DEP_4)
	v_dual_add_f32 v13, v13, v30 :: v_dual_add_f32 v8, v8, v29
	v_dual_add_f32 v9, v9, v28 :: v_dual_add_f32 v16, v16, v47
	s_delay_alu instid0(VALU_DEP_3) | instskip(NEXT) | instid1(VALU_DEP_3)
	v_dual_add_f32 v6, v6, v36 :: v_dual_add_f32 v17, v17, v49
	v_dual_add_f32 v13, v13, v32 :: v_dual_add_f32 v12, v12, v90
	s_delay_alu instid0(VALU_DEP_3) | instskip(SKIP_1) | instid1(VALU_DEP_4)
	v_dual_add_f32 v9, v9, v34 :: v_dual_add_f32 v16, v16, v33
	v_dual_add_f32 v8, v8, v46 :: v_dual_add_f32 v7, v7, v48
	;; [unrolled: 1-line block ×3, first 2 shown]
	s_delay_alu instid0(VALU_DEP_4) | instskip(NEXT) | instid1(VALU_DEP_3)
	v_dual_add_f32 v13, v13, v38 :: v_dual_add_f32 v12, v12, v57
	v_dual_add_f32 v9, v9, v39 :: v_dual_add_f32 v8, v8, v53
	s_delay_alu instid0(VALU_DEP_4) | instskip(NEXT) | instid1(VALU_DEP_4)
	v_dual_add_f32 v7, v7, v52 :: v_dual_add_f32 v16, v16, v59
	v_dual_add_f32 v6, v6, v56 :: v_dual_add_f32 v17, v17, v61
	s_delay_alu instid0(VALU_DEP_3) | instskip(NEXT) | instid1(VALU_DEP_4)
	v_dual_add_f32 v13, v13, v40 :: v_dual_add_f32 v8, v8, v55
	v_dual_add_f32 v12, v12, v88 :: v_dual_add_f32 v9, v9, v54
	s_delay_alu instid0(VALU_DEP_3)
	v_dual_add_f32 v7, v7, v58 :: v_dual_add_f32 v6, v6, v60
	v_fma_f32 v71, v44, v78, -v71
	v_fma_f32 v44, v44, v80, -v73
	;; [unrolled: 1-line block ×4, first 2 shown]
	v_dual_add_f32 v16, v16, v41 :: v_dual_add_f32 v17, v17, v63
	v_dual_add_f32 v13, v13, v42 :: v_dual_add_f32 v8, v8, v64
	v_dual_add_f32 v12, v12, v70 :: v_dual_add_f32 v9, v9, v43
	v_dual_add_f32 v7, v7, v62 :: v_dual_add_f32 v6, v6, v69
	s_delay_alu instid0(VALU_DEP_4) | instskip(NEXT) | instid1(VALU_DEP_3)
	v_dual_add_f32 v16, v16, v71 :: v_dual_add_f32 v17, v17, v72
	v_dual_add_f32 v13, v13, v44 :: v_dual_add_f32 v12, v12, v86
	s_delay_alu instid0(VALU_DEP_4) | instskip(NEXT) | instid1(VALU_DEP_4)
	v_dual_add_f32 v9, v9, v45 :: v_dual_add_f32 v8, v8, v66
	v_dual_add_f32 v7, v7, v65 :: v_dual_add_f32 v6, v6, v68
	s_cbranch_scc0 .LBB158_2
.LBB158_3:
	s_clause 0x1
	s_load_b32 s3, s[0:1], 0x40
	s_load_b64 s[4:5], s[0:1], 0x48
	v_add_nc_u32_e32 v5, s13, v5
	v_add_nc_u32_e32 v0, s12, v4
	s_delay_alu instid0(VALU_DEP_1)
	v_cmp_le_i32_e64 s0, v5, v0
	v_cmp_gt_i32_e32 vcc_lo, s2, v0
	s_waitcnt lgkmcnt(0)
	v_mad_i64_i32 v[1:2], null, v5, s3, 0
	s_mul_i32 s1, s15, s5
	s_mul_hi_u32 s5, s15, s4
	s_mul_i32 s4, s15, s4
	s_add_i32 s5, s5, s1
	s_delay_alu instid0(SALU_CYCLE_1) | instskip(NEXT) | instid1(VALU_DEP_1)
	s_lshl_b64 s[4:5], s[4:5], 3
	v_lshlrev_b64 v[1:2], 3, v[1:2]
	s_add_u32 s4, s6, s4
	s_addc_u32 s5, s7, s5
	s_and_b32 s0, s0, vcc_lo
	s_delay_alu instid0(VALU_DEP_1) | instskip(NEXT) | instid1(VALU_DEP_1)
	v_add_co_u32 v4, s1, s4, v1
	v_add_co_ci_u32_e64 v10, s1, s5, v2, s1
	s_and_saveexec_b32 s1, s0
	s_cbranch_execz .LBB158_5
; %bb.4:
	v_ashrrev_i32_e32 v1, 31, v0
	s_delay_alu instid0(VALU_DEP_1) | instskip(NEXT) | instid1(VALU_DEP_1)
	v_lshlrev_b64 v[1:2], 3, v[0:1]
	v_add_co_u32 v1, s0, v4, v1
	s_delay_alu instid0(VALU_DEP_1)
	v_add_co_ci_u32_e64 v2, s0, v10, v2, s0
	global_load_b64 v[14:15], v[1:2], off
	s_waitcnt vmcnt(0)
	v_dual_add_f32 v14, v16, v14 :: v_dual_add_f32 v15, v17, v15
	global_store_b64 v[1:2], v[14:15], off
.LBB158_5:
	s_or_b32 exec_lo, exec_lo, s1
	v_add_nc_u32_e32 v2, 16, v0
	s_delay_alu instid0(VALU_DEP_1) | instskip(SKIP_1) | instid1(VALU_DEP_1)
	v_cmp_le_i32_e64 s1, v5, v2
	v_cmp_gt_i32_e64 s0, s2, v2
	s_and_b32 s1, s1, s0
	s_delay_alu instid0(SALU_CYCLE_1)
	s_and_saveexec_b32 s2, s1
	s_cbranch_execz .LBB158_7
; %bb.6:
	v_ashrrev_i32_e32 v3, 31, v2
	s_delay_alu instid0(VALU_DEP_1) | instskip(NEXT) | instid1(VALU_DEP_1)
	v_lshlrev_b64 v[14:15], 3, v[2:3]
	v_add_co_u32 v3, s1, v4, v14
	s_delay_alu instid0(VALU_DEP_1)
	v_add_co_ci_u32_e64 v4, s1, v10, v15, s1
	global_load_b64 v[10:11], v[3:4], off
	s_waitcnt vmcnt(0)
	v_dual_add_f32 v10, v13, v10 :: v_dual_add_f32 v11, v12, v11
	global_store_b64 v[3:4], v[10:11], off
.LBB158_7:
	s_or_b32 exec_lo, exec_lo, s2
	v_add_nc_u32_e32 v3, 16, v5
	s_delay_alu instid0(VALU_DEP_1) | instskip(SKIP_1) | instid1(VALU_DEP_2)
	v_mad_i64_i32 v[4:5], null, v3, s3, 0
	v_cmp_le_i32_e64 s1, v3, v0
	v_lshlrev_b64 v[4:5], 3, v[4:5]
	s_delay_alu instid0(VALU_DEP_1) | instskip(NEXT) | instid1(VALU_DEP_1)
	v_add_co_u32 v4, s2, s4, v4
	v_add_co_ci_u32_e64 v5, s2, s5, v5, s2
	s_delay_alu instid0(VALU_DEP_4) | instskip(NEXT) | instid1(SALU_CYCLE_1)
	s_and_b32 s2, s1, vcc_lo
	s_and_saveexec_b32 s1, s2
	s_cbranch_execz .LBB158_9
; %bb.8:
	v_ashrrev_i32_e32 v1, 31, v0
	s_delay_alu instid0(VALU_DEP_1) | instskip(NEXT) | instid1(VALU_DEP_1)
	v_lshlrev_b64 v[0:1], 3, v[0:1]
	v_add_co_u32 v0, vcc_lo, v4, v0
	s_delay_alu instid0(VALU_DEP_2)
	v_add_co_ci_u32_e32 v1, vcc_lo, v5, v1, vcc_lo
	global_load_b64 v[10:11], v[0:1], off
	s_waitcnt vmcnt(0)
	v_dual_add_f32 v9, v9, v10 :: v_dual_add_f32 v10, v8, v11
	global_store_b64 v[0:1], v[9:10], off
.LBB158_9:
	s_or_b32 exec_lo, exec_lo, s1
	v_cmp_le_i32_e32 vcc_lo, v3, v2
	s_and_b32 s0, vcc_lo, s0
	s_delay_alu instid0(SALU_CYCLE_1)
	s_and_saveexec_b32 s1, s0
	s_cbranch_execz .LBB158_11
; %bb.10:
	v_ashrrev_i32_e32 v3, 31, v2
	s_delay_alu instid0(VALU_DEP_1) | instskip(NEXT) | instid1(VALU_DEP_1)
	v_lshlrev_b64 v[0:1], 3, v[2:3]
	v_add_co_u32 v0, vcc_lo, v4, v0
	s_delay_alu instid0(VALU_DEP_2)
	v_add_co_ci_u32_e32 v1, vcc_lo, v5, v1, vcc_lo
	global_load_b64 v[2:3], v[0:1], off
	s_waitcnt vmcnt(0)
	v_dual_add_f32 v2, v7, v2 :: v_dual_add_f32 v3, v6, v3
	global_store_b64 v[0:1], v[2:3], off
.LBB158_11:
	s_nop 0
	s_sendmsg sendmsg(MSG_DEALLOC_VGPRS)
	s_endpgm
	.section	.rodata,"a",@progbits
	.p2align	6, 0x0
	.amdhsa_kernel _ZL37rocblas_syrkx_herkx_restricted_kernelIi19rocblas_complex_numIfELi16ELi32ELi8ELi1ELi1ELb0ELc78ELc76EKS1_S1_EviT_PT9_S3_lS5_S3_lPT10_S3_li
		.amdhsa_group_segment_fixed_size 4096
		.amdhsa_private_segment_fixed_size 0
		.amdhsa_kernarg_size 84
		.amdhsa_user_sgpr_count 13
		.amdhsa_user_sgpr_dispatch_ptr 0
		.amdhsa_user_sgpr_queue_ptr 0
		.amdhsa_user_sgpr_kernarg_segment_ptr 1
		.amdhsa_user_sgpr_dispatch_id 0
		.amdhsa_user_sgpr_private_segment_size 0
		.amdhsa_wavefront_size32 1
		.amdhsa_uses_dynamic_stack 0
		.amdhsa_enable_private_segment 0
		.amdhsa_system_sgpr_workgroup_id_x 1
		.amdhsa_system_sgpr_workgroup_id_y 1
		.amdhsa_system_sgpr_workgroup_id_z 1
		.amdhsa_system_sgpr_workgroup_info 0
		.amdhsa_system_vgpr_workitem_id 1
		.amdhsa_next_free_vgpr 92
		.amdhsa_next_free_sgpr 23
		.amdhsa_reserve_vcc 1
		.amdhsa_float_round_mode_32 0
		.amdhsa_float_round_mode_16_64 0
		.amdhsa_float_denorm_mode_32 3
		.amdhsa_float_denorm_mode_16_64 3
		.amdhsa_dx10_clamp 1
		.amdhsa_ieee_mode 1
		.amdhsa_fp16_overflow 0
		.amdhsa_workgroup_processor_mode 1
		.amdhsa_memory_ordered 1
		.amdhsa_forward_progress 0
		.amdhsa_shared_vgpr_count 0
		.amdhsa_exception_fp_ieee_invalid_op 0
		.amdhsa_exception_fp_denorm_src 0
		.amdhsa_exception_fp_ieee_div_zero 0
		.amdhsa_exception_fp_ieee_overflow 0
		.amdhsa_exception_fp_ieee_underflow 0
		.amdhsa_exception_fp_ieee_inexact 0
		.amdhsa_exception_int_div_zero 0
	.end_amdhsa_kernel
	.section	.text._ZL37rocblas_syrkx_herkx_restricted_kernelIi19rocblas_complex_numIfELi16ELi32ELi8ELi1ELi1ELb0ELc78ELc76EKS1_S1_EviT_PT9_S3_lS5_S3_lPT10_S3_li,"axG",@progbits,_ZL37rocblas_syrkx_herkx_restricted_kernelIi19rocblas_complex_numIfELi16ELi32ELi8ELi1ELi1ELb0ELc78ELc76EKS1_S1_EviT_PT9_S3_lS5_S3_lPT10_S3_li,comdat
.Lfunc_end158:
	.size	_ZL37rocblas_syrkx_herkx_restricted_kernelIi19rocblas_complex_numIfELi16ELi32ELi8ELi1ELi1ELb0ELc78ELc76EKS1_S1_EviT_PT9_S3_lS5_S3_lPT10_S3_li, .Lfunc_end158-_ZL37rocblas_syrkx_herkx_restricted_kernelIi19rocblas_complex_numIfELi16ELi32ELi8ELi1ELi1ELb0ELc78ELc76EKS1_S1_EviT_PT9_S3_lS5_S3_lPT10_S3_li
                                        ; -- End function
	.section	.AMDGPU.csdata,"",@progbits
; Kernel info:
; codeLenInByte = 2144
; NumSgprs: 25
; NumVgprs: 92
; ScratchSize: 0
; MemoryBound: 0
; FloatMode: 240
; IeeeMode: 1
; LDSByteSize: 4096 bytes/workgroup (compile time only)
; SGPRBlocks: 3
; VGPRBlocks: 11
; NumSGPRsForWavesPerEU: 25
; NumVGPRsForWavesPerEU: 92
; Occupancy: 16
; WaveLimiterHint : 0
; COMPUTE_PGM_RSRC2:SCRATCH_EN: 0
; COMPUTE_PGM_RSRC2:USER_SGPR: 13
; COMPUTE_PGM_RSRC2:TRAP_HANDLER: 0
; COMPUTE_PGM_RSRC2:TGID_X_EN: 1
; COMPUTE_PGM_RSRC2:TGID_Y_EN: 1
; COMPUTE_PGM_RSRC2:TGID_Z_EN: 1
; COMPUTE_PGM_RSRC2:TIDIG_COMP_CNT: 1
	.section	.text._ZL37rocblas_syrkx_herkx_restricted_kernelIi19rocblas_complex_numIfELi16ELi32ELi8ELi1ELi1ELb0ELc84ELc85EKS1_S1_EviT_PT9_S3_lS5_S3_lPT10_S3_li,"axG",@progbits,_ZL37rocblas_syrkx_herkx_restricted_kernelIi19rocblas_complex_numIfELi16ELi32ELi8ELi1ELi1ELb0ELc84ELc85EKS1_S1_EviT_PT9_S3_lS5_S3_lPT10_S3_li,comdat
	.globl	_ZL37rocblas_syrkx_herkx_restricted_kernelIi19rocblas_complex_numIfELi16ELi32ELi8ELi1ELi1ELb0ELc84ELc85EKS1_S1_EviT_PT9_S3_lS5_S3_lPT10_S3_li ; -- Begin function _ZL37rocblas_syrkx_herkx_restricted_kernelIi19rocblas_complex_numIfELi16ELi32ELi8ELi1ELi1ELb0ELc84ELc85EKS1_S1_EviT_PT9_S3_lS5_S3_lPT10_S3_li
	.p2align	8
	.type	_ZL37rocblas_syrkx_herkx_restricted_kernelIi19rocblas_complex_numIfELi16ELi32ELi8ELi1ELi1ELb0ELc84ELc85EKS1_S1_EviT_PT9_S3_lS5_S3_lPT10_S3_li,@function
_ZL37rocblas_syrkx_herkx_restricted_kernelIi19rocblas_complex_numIfELi16ELi32ELi8ELi1ELi1ELb0ELc84ELc85EKS1_S1_EviT_PT9_S3_lS5_S3_lPT10_S3_li: ; @_ZL37rocblas_syrkx_herkx_restricted_kernelIi19rocblas_complex_numIfELi16ELi32ELi8ELi1ELi1ELb0ELc84ELc85EKS1_S1_EviT_PT9_S3_lS5_S3_lPT10_S3_li
; %bb.0:
	s_clause 0x1
	s_load_b64 s[2:3], s[0:1], 0x0
	s_load_b128 s[4:7], s[0:1], 0x30
	v_dual_mov_b32 v15, 0 :: v_dual_and_b32 v6, 0x3ff, v0
	v_bfe_u32 v7, v0, 10, 10
	v_dual_mov_b32 v16, 0 :: v_dual_mov_b32 v11, 0
	v_dual_mov_b32 v12, 0 :: v_dual_mov_b32 v9, 0
	v_dual_mov_b32 v8, 0 :: v_dual_mov_b32 v1, 0
	v_mov_b32_e32 v0, 0
	s_lshl_b32 s12, s13, 5
	s_lshl_b32 s13, s14, 5
	s_mov_b32 s14, 0
	s_waitcnt lgkmcnt(0)
	s_cmp_lt_i32 s3, 1
	s_cbranch_scc1 .LBB159_3
; %bb.1:
	s_clause 0x3
	s_load_b32 s18, s[0:1], 0x10
	s_load_b128 s[8:11], s[0:1], 0x18
	s_load_b64 s[16:17], s[0:1], 0x8
	s_load_b32 s19, s[0:1], 0x28
	v_lshl_add_u32 v2, v7, 4, v6
	v_dual_mov_b32 v1, 0 :: v_dual_and_b32 v0, 7, v6
	v_lshlrev_b32_e32 v10, 3, v6
	s_mul_i32 s5, s5, s15
	s_delay_alu instid0(VALU_DEP_3)
	v_lshrrev_b32_e32 v4, 3, v2
	v_and_b32_e32 v5, 31, v2
	v_lshlrev_b32_e32 v3, 3, v0
	v_lshrrev_b32_e32 v2, 5, v2
	v_lshl_add_u32 v17, v7, 6, 0x800
	v_add_nc_u32_e32 v12, s13, v4
	v_add_nc_u32_e32 v11, s12, v5
	v_lshl_or_b32 v9, v4, 6, v3
	v_dual_mov_b32 v3, v1 :: v_dual_lshlrev_b32 v8, 3, v5
	v_mov_b32_e32 v16, v1
	s_delay_alu instid0(VALU_DEP_3) | instskip(SKIP_1) | instid1(VALU_DEP_3)
	v_dual_mov_b32 v15, v1 :: v_dual_add_nc_u32 v14, 0x800, v9
	s_waitcnt lgkmcnt(0)
	v_mad_i64_i32 v[4:5], null, s18, v11, v[2:3]
	s_mul_i32 s9, s9, s15
	s_mul_hi_u32 s18, s8, s15
	v_mov_b32_e32 v9, v1
	v_lshl_or_b32 v13, v2, 8, v8
	v_mov_b32_e32 v11, v1
	v_mad_i64_i32 v[2:3], null, s19, v12, v[0:1]
	s_mul_i32 s8, s8, s15
	s_add_i32 s9, s18, s9
	v_lshlrev_b64 v[4:5], 3, v[4:5]
	s_lshl_b64 s[8:9], s[8:9], 3
	v_mov_b32_e32 v12, v1
	s_add_u32 s8, s16, s8
	s_mul_hi_u32 s16, s4, s15
	s_addc_u32 s9, s17, s9
	s_add_i32 s5, s16, s5
	s_mul_i32 s4, s4, s15
	v_lshlrev_b64 v[2:3], 3, v[2:3]
	s_lshl_b64 s[4:5], s[4:5], 3
	v_add_co_u32 v0, vcc_lo, s8, v4
	s_add_u32 s4, s10, s4
	v_add_co_ci_u32_e32 v4, vcc_lo, s9, v5, vcc_lo
	s_addc_u32 s5, s11, s5
	v_add_co_u32 v5, vcc_lo, s4, v2
	v_add_co_ci_u32_e32 v8, vcc_lo, s5, v3, vcc_lo
	v_add_co_u32 v2, vcc_lo, v0, 4
	v_add_co_ci_u32_e32 v3, vcc_lo, 0, v4, vcc_lo
	s_delay_alu instid0(VALU_DEP_4) | instskip(NEXT) | instid1(VALU_DEP_4)
	v_add_co_u32 v4, vcc_lo, v5, 4
	v_add_co_ci_u32_e32 v5, vcc_lo, 0, v8, vcc_lo
	v_mov_b32_e32 v0, v1
	v_mov_b32_e32 v8, v1
.LBB159_2:                              ; =>This Inner Loop Header: Depth=1
	global_load_b64 v[18:19], v[2:3], off offset:-4
	global_load_b64 v[20:21], v[4:5], off offset:-4
	v_add_co_u32 v2, vcc_lo, v2, 64
	v_add_co_ci_u32_e32 v3, vcc_lo, 0, v3, vcc_lo
	v_add_co_u32 v4, vcc_lo, v4, 64
	v_add_co_ci_u32_e32 v5, vcc_lo, 0, v5, vcc_lo
	s_add_i32 s14, s14, 8
	s_waitcnt vmcnt(1)
	ds_store_b64 v13, v[18:19]
	s_waitcnt vmcnt(0)
	ds_store_b64 v14, v[20:21]
	s_waitcnt lgkmcnt(0)
	s_barrier
	buffer_gl0_inv
	ds_load_2addr_b64 v[18:21], v10 offset1:16
	ds_load_b128 v[22:25], v17
	ds_load_b128 v[26:29], v17 offset:1024
	ds_load_b128 v[30:33], v17 offset:16
	ds_load_2addr_b64 v[34:37], v10 offset0:32 offset1:48
	ds_load_b128 v[38:41], v17 offset:32
	ds_load_b128 v[42:45], v17 offset:48
	ds_load_2addr_b64 v[46:49], v10 offset0:64 offset1:80
	ds_load_b128 v[50:53], v17 offset:1040
	ds_load_2addr_b64 v[54:57], v10 offset0:96 offset1:112
	ds_load_2addr_b64 v[58:61], v10 offset0:128 offset1:144
	;; [unrolled: 1-line block ×4, first 2 shown]
	ds_load_b128 v[70:73], v17 offset:1056
	ds_load_b128 v[74:77], v17 offset:1072
	ds_load_2addr_b64 v[78:81], v10 offset0:224 offset1:240
	s_cmp_ge_i32 s14, s3
	s_waitcnt lgkmcnt(0)
	s_barrier
	buffer_gl0_inv
	v_dual_mul_f32 v82, v23, v19 :: v_dual_mul_f32 v85, v22, v21
	v_dual_mul_f32 v83, v22, v19 :: v_dual_mul_f32 v84, v23, v21
	v_mul_f32_e32 v86, v27, v19
	v_dual_mul_f32 v19, v26, v19 :: v_dual_mul_f32 v90, v25, v37
	v_dual_mul_f32 v87, v27, v21 :: v_dual_mul_f32 v88, v25, v35
	v_mul_f32_e32 v21, v26, v21
	v_fma_f32 v82, v22, v18, -v82
	v_fmac_f32_e32 v83, v23, v18
	v_fma_f32 v22, v22, v20, -v84
	v_fmac_f32_e32 v85, v23, v20
	v_fma_f32 v23, v26, v18, -v86
	v_dual_fmac_f32 v19, v27, v18 :: v_dual_mul_f32 v86, v30, v47
	v_fma_f32 v18, v26, v20, -v87
	v_dual_fmac_f32 v21, v27, v20 :: v_dual_mul_f32 v20, v24, v37
	v_mul_f32_e32 v89, v24, v35
	v_mul_f32_e32 v26, v29, v35
	;; [unrolled: 1-line block ×4, first 2 shown]
	v_fmac_f32_e32 v20, v25, v36
	v_fmac_f32_e32 v89, v25, v34
	v_dual_mul_f32 v25, v28, v37 :: v_dual_fmac_f32 v86, v31, v46
	v_fma_f32 v84, v24, v34, -v88
	v_fma_f32 v24, v24, v36, -v90
	v_dual_mul_f32 v37, v31, v47 :: v_dual_mul_f32 v90, v33, v57
	v_fma_f32 v26, v28, v34, -v26
	v_fma_f32 v28, v28, v36, -v35
	v_fmac_f32_e32 v25, v29, v36
	v_dual_mul_f32 v35, v50, v47 :: v_dual_mul_f32 v36, v51, v49
	v_dual_fmac_f32 v27, v29, v34 :: v_dual_mul_f32 v34, v51, v47
	v_dual_mul_f32 v88, v32, v55 :: v_dual_mul_f32 v29, v30, v49
	v_mul_f32_e32 v87, v31, v49
	v_fma_f32 v37, v30, v46, -v37
	v_add_f32_e32 v16, v16, v83
	s_delay_alu instid0(VALU_DEP_4)
	v_dual_fmac_f32 v88, v33, v54 :: v_dual_fmac_f32 v29, v31, v48
	v_fma_f32 v31, v50, v46, -v34
	v_fma_f32 v34, v50, v48, -v36
	v_mul_f32_e32 v36, v32, v57
	v_mul_f32_e32 v47, v50, v49
	v_dual_mul_f32 v50, v53, v57 :: v_dual_fmac_f32 v35, v51, v46
	v_mul_f32_e32 v46, v53, v55
	v_mul_f32_e32 v49, v33, v55
	v_fma_f32 v30, v30, v48, -v87
	v_fmac_f32_e32 v36, v33, v56
	v_dual_fmac_f32 v47, v51, v48 :: v_dual_mul_f32 v48, v52, v55
	v_mul_f32_e32 v33, v52, v57
	v_fma_f32 v46, v52, v54, -v46
	v_fma_f32 v50, v52, v56, -v50
	v_mul_f32_e32 v52, v38, v61
	v_fma_f32 v49, v32, v54, -v49
	v_fma_f32 v32, v32, v56, -v90
	v_dual_mul_f32 v51, v39, v59 :: v_dual_fmac_f32 v48, v53, v54
	v_mul_f32_e32 v54, v70, v59
	v_dual_mul_f32 v55, v38, v59 :: v_dual_fmac_f32 v52, v39, v60
	v_fmac_f32_e32 v33, v53, v56
	v_mul_f32_e32 v53, v71, v59
	v_mul_f32_e32 v56, v71, v61
	;; [unrolled: 1-line block ×3, first 2 shown]
	v_fmac_f32_e32 v54, v71, v58
	v_fmac_f32_e32 v55, v39, v58
	v_fma_f32 v39, v70, v58, -v53
	v_fma_f32 v53, v70, v60, -v56
	v_mul_f32_e32 v56, v40, v65
	v_mul_f32_e32 v59, v70, v61
	v_fma_f32 v51, v38, v58, -v51
	v_mul_f32_e32 v58, v72, v63
	v_mul_f32_e32 v87, v40, v63
	;; [unrolled: 1-line block ×4, first 2 shown]
	v_fma_f32 v38, v38, v60, -v57
	v_mul_f32_e32 v57, v73, v63
	v_fmac_f32_e32 v56, v41, v64
	v_dual_fmac_f32 v59, v71, v60 :: v_dual_mul_f32 v60, v73, v65
	v_mul_f32_e32 v63, v43, v67
	v_mul_f32_e32 v70, v43, v69
	v_fmac_f32_e32 v58, v73, v62
	v_fmac_f32_e32 v87, v41, v62
	v_mul_f32_e32 v41, v72, v65
	v_fma_f32 v61, v40, v62, -v61
	v_fma_f32 v40, v40, v64, -v90
	v_mul_f32_e32 v65, v42, v67
	v_fma_f32 v57, v72, v62, -v57
	v_fma_f32 v60, v72, v64, -v60
	v_dual_fmac_f32 v41, v73, v64 :: v_dual_mul_f32 v62, v42, v69
	v_mul_f32_e32 v64, v75, v67
	v_fma_f32 v63, v42, v66, -v63
	v_fma_f32 v42, v42, v68, -v70
	v_mul_f32_e32 v70, v76, v79
	v_mul_f32_e32 v67, v74, v67
	;; [unrolled: 1-line block ×3, first 2 shown]
	v_dual_mul_f32 v69, v74, v69 :: v_dual_add_f32 v12, v12, v22
	v_mul_f32_e32 v73, v44, v79
	v_dual_fmac_f32 v65, v43, v66 :: v_dual_add_f32 v8, v8, v19
	v_fmac_f32_e32 v62, v43, v68
	v_fma_f32 v43, v74, v66, -v64
	v_fmac_f32_e32 v70, v77, v78
	v_dual_fmac_f32 v67, v75, v66 :: v_dual_add_f32 v16, v16, v89
	v_mul_f32_e32 v66, v44, v81
	v_mul_f32_e32 v72, v45, v79
	v_dual_mul_f32 v90, v45, v81 :: v_dual_fmac_f32 v69, v75, v68
	v_add_f32_e32 v0, v0, v18
	v_dual_fmac_f32 v73, v45, v78 :: v_dual_add_f32 v8, v8, v27
	v_dual_fmac_f32 v66, v45, v80 :: v_dual_mul_f32 v45, v76, v81
	v_fma_f32 v64, v74, v68, -v71
	v_dual_mul_f32 v71, v77, v81 :: v_dual_add_f32 v12, v12, v24
	v_dual_add_f32 v15, v15, v82 :: v_dual_add_f32 v0, v0, v28
	s_delay_alu instid0(VALU_DEP_4) | instskip(NEXT) | instid1(VALU_DEP_3)
	v_dual_fmac_f32 v45, v77, v80 :: v_dual_add_f32 v16, v16, v86
	v_dual_add_f32 v11, v11, v85 :: v_dual_add_f32 v12, v12, v30
	s_delay_alu instid0(VALU_DEP_3) | instskip(SKIP_2) | instid1(VALU_DEP_3)
	v_dual_add_f32 v9, v9, v23 :: v_dual_add_f32 v0, v0, v34
	v_dual_add_f32 v1, v1, v21 :: v_dual_add_f32 v8, v8, v35
	v_add_f32_e32 v15, v15, v84
	v_dual_add_f32 v9, v9, v26 :: v_dual_add_f32 v16, v16, v88
	v_add_f32_e32 v11, v11, v20
	s_delay_alu instid0(VALU_DEP_4) | instskip(NEXT) | instid1(VALU_DEP_3)
	v_dual_add_f32 v1, v1, v25 :: v_dual_add_f32 v12, v12, v32
	v_dual_add_f32 v8, v8, v48 :: v_dual_add_f32 v9, v9, v31
	;; [unrolled: 1-line block ×3, first 2 shown]
	s_delay_alu instid0(VALU_DEP_3) | instskip(SKIP_1) | instid1(VALU_DEP_3)
	v_add_f32_e32 v1, v1, v47
	v_dual_add_f32 v16, v16, v55 :: v_dual_add_f32 v11, v11, v29
	v_dual_add_f32 v12, v12, v38 :: v_dual_add_f32 v15, v15, v49
	v_add_f32_e32 v8, v8, v54
	s_delay_alu instid0(VALU_DEP_3) | instskip(NEXT) | instid1(VALU_DEP_3)
	v_dual_add_f32 v16, v16, v87 :: v_dual_add_f32 v11, v11, v36
	v_dual_add_f32 v9, v9, v46 :: v_dual_add_f32 v12, v12, v40
	v_add_f32_e32 v0, v0, v53
	v_add_f32_e32 v1, v1, v33
	s_delay_alu instid0(VALU_DEP_4) | instskip(SKIP_3) | instid1(VALU_DEP_4)
	v_dual_add_f32 v15, v15, v51 :: v_dual_add_f32 v16, v16, v65
	v_dual_add_f32 v8, v8, v58 :: v_dual_add_f32 v11, v11, v52
	v_add_f32_e32 v12, v12, v42
	v_dual_add_f32 v0, v0, v60 :: v_dual_add_f32 v9, v9, v39
	v_dual_add_f32 v1, v1, v59 :: v_dual_add_f32 v16, v16, v73
	v_mul_f32_e32 v68, v77, v79
	v_fma_f32 v72, v44, v78, -v72
	v_fma_f32 v44, v44, v80, -v90
	;; [unrolled: 1-line block ×3, first 2 shown]
	v_dual_add_f32 v15, v15, v61 :: v_dual_add_f32 v8, v8, v67
	v_add_f32_e32 v11, v11, v56
	v_dual_add_f32 v0, v0, v64 :: v_dual_add_f32 v9, v9, v57
	v_dual_add_f32 v12, v12, v44 :: v_dual_add_f32 v1, v1, v41
	v_fma_f32 v68, v76, v78, -v68
	s_delay_alu instid0(VALU_DEP_3) | instskip(SKIP_4) | instid1(VALU_DEP_4)
	v_add_f32_e32 v0, v0, v71
	v_add_f32_e32 v15, v15, v63
	;; [unrolled: 1-line block ×3, first 2 shown]
	v_dual_add_f32 v1, v1, v69 :: v_dual_add_f32 v8, v8, v70
	v_add_f32_e32 v11, v11, v62
	v_add_f32_e32 v15, v15, v72
	s_delay_alu instid0(VALU_DEP_4) | instskip(NEXT) | instid1(VALU_DEP_4)
	v_add_f32_e32 v9, v9, v68
	v_add_f32_e32 v1, v1, v45
	s_delay_alu instid0(VALU_DEP_4)
	v_add_f32_e32 v11, v11, v66
	s_cbranch_scc0 .LBB159_2
.LBB159_3:
	s_clause 0x1
	s_load_b32 s3, s[0:1], 0x40
	s_load_b64 s[0:1], s[0:1], 0x48
	v_add_nc_u32_e32 v7, s13, v7
	v_add_nc_u32_e32 v2, s12, v6
	s_delay_alu instid0(VALU_DEP_2)
	v_cmp_gt_i32_e32 vcc_lo, s2, v7
	s_waitcnt lgkmcnt(0)
	v_mad_i64_i32 v[3:4], null, v7, s3, 0
	s_mul_i32 s1, s15, s1
	s_mul_hi_u32 s4, s15, s0
	s_mul_i32 s0, s15, s0
	s_add_i32 s1, s4, s1
	s_delay_alu instid0(SALU_CYCLE_1) | instskip(NEXT) | instid1(VALU_DEP_1)
	s_lshl_b64 s[4:5], s[0:1], 3
	v_lshlrev_b64 v[3:4], 3, v[3:4]
	s_add_u32 s4, s6, s4
	v_cmp_le_i32_e64 s0, v2, v7
	s_addc_u32 s5, s7, s5
	s_delay_alu instid0(VALU_DEP_2) | instskip(NEXT) | instid1(VALU_DEP_1)
	v_add_co_u32 v6, s1, s4, v3
	v_add_co_ci_u32_e64 v10, s1, s5, v4, s1
	s_delay_alu instid0(VALU_DEP_3) | instskip(NEXT) | instid1(SALU_CYCLE_1)
	s_and_b32 s0, vcc_lo, s0
	s_and_saveexec_b32 s1, s0
	s_cbranch_execz .LBB159_5
; %bb.4:
	v_ashrrev_i32_e32 v3, 31, v2
	s_delay_alu instid0(VALU_DEP_1) | instskip(NEXT) | instid1(VALU_DEP_1)
	v_lshlrev_b64 v[3:4], 3, v[2:3]
	v_add_co_u32 v3, s0, v6, v3
	s_delay_alu instid0(VALU_DEP_1)
	v_add_co_ci_u32_e64 v4, s0, v10, v4, s0
	global_load_b64 v[13:14], v[3:4], off
	s_waitcnt vmcnt(0)
	v_dual_add_f32 v13, v15, v13 :: v_dual_add_f32 v14, v16, v14
	global_store_b64 v[3:4], v[13:14], off
.LBB159_5:
	s_or_b32 exec_lo, exec_lo, s1
	v_add_nc_u32_e32 v4, 16, v2
	s_delay_alu instid0(VALU_DEP_1) | instskip(NEXT) | instid1(VALU_DEP_1)
	v_cmp_le_i32_e64 s0, v4, v7
	s_and_b32 s1, vcc_lo, s0
	s_delay_alu instid0(SALU_CYCLE_1)
	s_and_saveexec_b32 s0, s1
	s_cbranch_execz .LBB159_7
; %bb.6:
	v_ashrrev_i32_e32 v5, 31, v4
	s_delay_alu instid0(VALU_DEP_1) | instskip(NEXT) | instid1(VALU_DEP_1)
	v_lshlrev_b64 v[13:14], 3, v[4:5]
	v_add_co_u32 v5, vcc_lo, v6, v13
	s_delay_alu instid0(VALU_DEP_2)
	v_add_co_ci_u32_e32 v6, vcc_lo, v10, v14, vcc_lo
	global_load_b64 v[13:14], v[5:6], off
	s_waitcnt vmcnt(0)
	v_dual_add_f32 v10, v12, v13 :: v_dual_add_f32 v11, v11, v14
	global_store_b64 v[5:6], v[10:11], off
.LBB159_7:
	s_or_b32 exec_lo, exec_lo, s0
	v_add_nc_u32_e32 v5, 16, v7
	s_delay_alu instid0(VALU_DEP_1) | instskip(SKIP_2) | instid1(VALU_DEP_1)
	v_mad_i64_i32 v[6:7], null, v5, s3, 0
	v_cmp_gt_i32_e32 vcc_lo, s2, v5
	v_cmp_le_i32_e64 s0, v2, v5
	s_and_b32 s0, vcc_lo, s0
	s_delay_alu instid0(VALU_DEP_3) | instskip(NEXT) | instid1(VALU_DEP_1)
	v_lshlrev_b64 v[6:7], 3, v[6:7]
	v_add_co_u32 v6, s1, s4, v6
	s_delay_alu instid0(VALU_DEP_1)
	v_add_co_ci_u32_e64 v7, s1, s5, v7, s1
	s_and_saveexec_b32 s1, s0
	s_cbranch_execz .LBB159_9
; %bb.8:
	v_ashrrev_i32_e32 v3, 31, v2
	s_delay_alu instid0(VALU_DEP_1) | instskip(NEXT) | instid1(VALU_DEP_1)
	v_lshlrev_b64 v[2:3], 3, v[2:3]
	v_add_co_u32 v2, s0, v6, v2
	s_delay_alu instid0(VALU_DEP_1)
	v_add_co_ci_u32_e64 v3, s0, v7, v3, s0
	global_load_b64 v[10:11], v[2:3], off
	s_waitcnt vmcnt(0)
	v_dual_add_f32 v9, v9, v10 :: v_dual_add_f32 v10, v8, v11
	global_store_b64 v[2:3], v[9:10], off
.LBB159_9:
	s_or_b32 exec_lo, exec_lo, s1
	v_cmp_le_i32_e64 s0, v4, v5
	s_delay_alu instid0(VALU_DEP_1) | instskip(NEXT) | instid1(SALU_CYCLE_1)
	s_and_b32 s0, vcc_lo, s0
	s_and_saveexec_b32 s1, s0
	s_cbranch_execz .LBB159_11
; %bb.10:
	v_ashrrev_i32_e32 v5, 31, v4
	s_delay_alu instid0(VALU_DEP_1) | instskip(NEXT) | instid1(VALU_DEP_1)
	v_lshlrev_b64 v[2:3], 3, v[4:5]
	v_add_co_u32 v2, vcc_lo, v6, v2
	s_delay_alu instid0(VALU_DEP_2)
	v_add_co_ci_u32_e32 v3, vcc_lo, v7, v3, vcc_lo
	global_load_b64 v[4:5], v[2:3], off
	s_waitcnt vmcnt(0)
	v_dual_add_f32 v0, v0, v4 :: v_dual_add_f32 v1, v1, v5
	global_store_b64 v[2:3], v[0:1], off
.LBB159_11:
	s_nop 0
	s_sendmsg sendmsg(MSG_DEALLOC_VGPRS)
	s_endpgm
	.section	.rodata,"a",@progbits
	.p2align	6, 0x0
	.amdhsa_kernel _ZL37rocblas_syrkx_herkx_restricted_kernelIi19rocblas_complex_numIfELi16ELi32ELi8ELi1ELi1ELb0ELc84ELc85EKS1_S1_EviT_PT9_S3_lS5_S3_lPT10_S3_li
		.amdhsa_group_segment_fixed_size 4096
		.amdhsa_private_segment_fixed_size 0
		.amdhsa_kernarg_size 84
		.amdhsa_user_sgpr_count 13
		.amdhsa_user_sgpr_dispatch_ptr 0
		.amdhsa_user_sgpr_queue_ptr 0
		.amdhsa_user_sgpr_kernarg_segment_ptr 1
		.amdhsa_user_sgpr_dispatch_id 0
		.amdhsa_user_sgpr_private_segment_size 0
		.amdhsa_wavefront_size32 1
		.amdhsa_uses_dynamic_stack 0
		.amdhsa_enable_private_segment 0
		.amdhsa_system_sgpr_workgroup_id_x 1
		.amdhsa_system_sgpr_workgroup_id_y 1
		.amdhsa_system_sgpr_workgroup_id_z 1
		.amdhsa_system_sgpr_workgroup_info 0
		.amdhsa_system_vgpr_workitem_id 1
		.amdhsa_next_free_vgpr 91
		.amdhsa_next_free_sgpr 20
		.amdhsa_reserve_vcc 1
		.amdhsa_float_round_mode_32 0
		.amdhsa_float_round_mode_16_64 0
		.amdhsa_float_denorm_mode_32 3
		.amdhsa_float_denorm_mode_16_64 3
		.amdhsa_dx10_clamp 1
		.amdhsa_ieee_mode 1
		.amdhsa_fp16_overflow 0
		.amdhsa_workgroup_processor_mode 1
		.amdhsa_memory_ordered 1
		.amdhsa_forward_progress 0
		.amdhsa_shared_vgpr_count 0
		.amdhsa_exception_fp_ieee_invalid_op 0
		.amdhsa_exception_fp_denorm_src 0
		.amdhsa_exception_fp_ieee_div_zero 0
		.amdhsa_exception_fp_ieee_overflow 0
		.amdhsa_exception_fp_ieee_underflow 0
		.amdhsa_exception_fp_ieee_inexact 0
		.amdhsa_exception_int_div_zero 0
	.end_amdhsa_kernel
	.section	.text._ZL37rocblas_syrkx_herkx_restricted_kernelIi19rocblas_complex_numIfELi16ELi32ELi8ELi1ELi1ELb0ELc84ELc85EKS1_S1_EviT_PT9_S3_lS5_S3_lPT10_S3_li,"axG",@progbits,_ZL37rocblas_syrkx_herkx_restricted_kernelIi19rocblas_complex_numIfELi16ELi32ELi8ELi1ELi1ELb0ELc84ELc85EKS1_S1_EviT_PT9_S3_lS5_S3_lPT10_S3_li,comdat
.Lfunc_end159:
	.size	_ZL37rocblas_syrkx_herkx_restricted_kernelIi19rocblas_complex_numIfELi16ELi32ELi8ELi1ELi1ELb0ELc84ELc85EKS1_S1_EviT_PT9_S3_lS5_S3_lPT10_S3_li, .Lfunc_end159-_ZL37rocblas_syrkx_herkx_restricted_kernelIi19rocblas_complex_numIfELi16ELi32ELi8ELi1ELi1ELb0ELc84ELc85EKS1_S1_EviT_PT9_S3_lS5_S3_lPT10_S3_li
                                        ; -- End function
	.section	.AMDGPU.csdata,"",@progbits
; Kernel info:
; codeLenInByte = 2100
; NumSgprs: 22
; NumVgprs: 91
; ScratchSize: 0
; MemoryBound: 0
; FloatMode: 240
; IeeeMode: 1
; LDSByteSize: 4096 bytes/workgroup (compile time only)
; SGPRBlocks: 2
; VGPRBlocks: 11
; NumSGPRsForWavesPerEU: 22
; NumVGPRsForWavesPerEU: 91
; Occupancy: 16
; WaveLimiterHint : 0
; COMPUTE_PGM_RSRC2:SCRATCH_EN: 0
; COMPUTE_PGM_RSRC2:USER_SGPR: 13
; COMPUTE_PGM_RSRC2:TRAP_HANDLER: 0
; COMPUTE_PGM_RSRC2:TGID_X_EN: 1
; COMPUTE_PGM_RSRC2:TGID_Y_EN: 1
; COMPUTE_PGM_RSRC2:TGID_Z_EN: 1
; COMPUTE_PGM_RSRC2:TIDIG_COMP_CNT: 1
	.section	.text._ZL37rocblas_syrkx_herkx_restricted_kernelIi19rocblas_complex_numIfELi16ELi32ELi8ELi1ELi1ELb0ELc67ELc85EKS1_S1_EviT_PT9_S3_lS5_S3_lPT10_S3_li,"axG",@progbits,_ZL37rocblas_syrkx_herkx_restricted_kernelIi19rocblas_complex_numIfELi16ELi32ELi8ELi1ELi1ELb0ELc67ELc85EKS1_S1_EviT_PT9_S3_lS5_S3_lPT10_S3_li,comdat
	.globl	_ZL37rocblas_syrkx_herkx_restricted_kernelIi19rocblas_complex_numIfELi16ELi32ELi8ELi1ELi1ELb0ELc67ELc85EKS1_S1_EviT_PT9_S3_lS5_S3_lPT10_S3_li ; -- Begin function _ZL37rocblas_syrkx_herkx_restricted_kernelIi19rocblas_complex_numIfELi16ELi32ELi8ELi1ELi1ELb0ELc67ELc85EKS1_S1_EviT_PT9_S3_lS5_S3_lPT10_S3_li
	.p2align	8
	.type	_ZL37rocblas_syrkx_herkx_restricted_kernelIi19rocblas_complex_numIfELi16ELi32ELi8ELi1ELi1ELb0ELc67ELc85EKS1_S1_EviT_PT9_S3_lS5_S3_lPT10_S3_li,@function
_ZL37rocblas_syrkx_herkx_restricted_kernelIi19rocblas_complex_numIfELi16ELi32ELi8ELi1ELi1ELb0ELc67ELc85EKS1_S1_EviT_PT9_S3_lS5_S3_lPT10_S3_li: ; @_ZL37rocblas_syrkx_herkx_restricted_kernelIi19rocblas_complex_numIfELi16ELi32ELi8ELi1ELi1ELb0ELc67ELc85EKS1_S1_EviT_PT9_S3_lS5_S3_lPT10_S3_li
; %bb.0:
	s_clause 0x1
	s_load_b64 s[2:3], s[0:1], 0x0
	s_load_b128 s[4:7], s[0:1], 0x30
	v_dual_mov_b32 v15, 0 :: v_dual_and_b32 v6, 0x3ff, v0
	v_bfe_u32 v7, v0, 10, 10
	v_dual_mov_b32 v16, 0 :: v_dual_mov_b32 v11, 0
	v_dual_mov_b32 v12, 0 :: v_dual_mov_b32 v9, 0
	;; [unrolled: 1-line block ×3, first 2 shown]
	v_mov_b32_e32 v0, 0
	s_lshl_b32 s12, s13, 5
	s_lshl_b32 s13, s14, 5
	s_mov_b32 s14, 0
	s_waitcnt lgkmcnt(0)
	s_cmp_lt_i32 s3, 1
	s_cbranch_scc1 .LBB160_3
; %bb.1:
	s_clause 0x3
	s_load_b32 s18, s[0:1], 0x10
	s_load_b128 s[8:11], s[0:1], 0x18
	s_load_b64 s[16:17], s[0:1], 0x8
	s_load_b32 s19, s[0:1], 0x28
	v_lshl_add_u32 v2, v7, 4, v6
	v_dual_mov_b32 v1, 0 :: v_dual_and_b32 v0, 7, v6
	v_lshlrev_b32_e32 v10, 3, v6
	s_mul_i32 s5, s5, s15
	s_delay_alu instid0(VALU_DEP_3)
	v_lshrrev_b32_e32 v4, 3, v2
	v_and_b32_e32 v5, 31, v2
	v_lshlrev_b32_e32 v3, 3, v0
	v_lshrrev_b32_e32 v2, 5, v2
	v_lshl_add_u32 v17, v7, 6, 0x800
	v_add_nc_u32_e32 v12, s13, v4
	v_add_nc_u32_e32 v11, s12, v5
	v_lshl_or_b32 v9, v4, 6, v3
	v_dual_mov_b32 v3, v1 :: v_dual_lshlrev_b32 v8, 3, v5
	v_mov_b32_e32 v16, v1
	s_delay_alu instid0(VALU_DEP_3) | instskip(SKIP_1) | instid1(VALU_DEP_3)
	v_dual_mov_b32 v15, v1 :: v_dual_add_nc_u32 v14, 0x800, v9
	s_waitcnt lgkmcnt(0)
	v_mad_i64_i32 v[4:5], null, s18, v11, v[2:3]
	s_mul_i32 s9, s9, s15
	s_mul_hi_u32 s18, s8, s15
	v_mov_b32_e32 v9, v1
	v_lshl_or_b32 v13, v2, 8, v8
	v_mov_b32_e32 v11, v1
	v_mad_i64_i32 v[2:3], null, s19, v12, v[0:1]
	s_mul_i32 s8, s8, s15
	s_add_i32 s9, s18, s9
	v_lshlrev_b64 v[4:5], 3, v[4:5]
	s_lshl_b64 s[8:9], s[8:9], 3
	v_mov_b32_e32 v12, v1
	s_add_u32 s8, s16, s8
	s_mul_hi_u32 s16, s4, s15
	s_addc_u32 s9, s17, s9
	s_add_i32 s5, s16, s5
	s_mul_i32 s4, s4, s15
	v_lshlrev_b64 v[2:3], 3, v[2:3]
	s_lshl_b64 s[4:5], s[4:5], 3
	v_add_co_u32 v0, vcc_lo, s8, v4
	s_add_u32 s4, s10, s4
	v_add_co_ci_u32_e32 v4, vcc_lo, s9, v5, vcc_lo
	s_addc_u32 s5, s11, s5
	v_add_co_u32 v5, vcc_lo, s4, v2
	v_add_co_ci_u32_e32 v8, vcc_lo, s5, v3, vcc_lo
	v_add_co_u32 v2, vcc_lo, v0, 4
	v_add_co_ci_u32_e32 v3, vcc_lo, 0, v4, vcc_lo
	s_delay_alu instid0(VALU_DEP_4) | instskip(NEXT) | instid1(VALU_DEP_4)
	v_add_co_u32 v4, vcc_lo, v5, 4
	v_add_co_ci_u32_e32 v5, vcc_lo, 0, v8, vcc_lo
	v_mov_b32_e32 v0, v1
	v_mov_b32_e32 v8, v1
.LBB160_2:                              ; =>This Inner Loop Header: Depth=1
	global_load_b64 v[18:19], v[2:3], off offset:-4
	global_load_b64 v[20:21], v[4:5], off offset:-4
	v_add_co_u32 v2, vcc_lo, v2, 64
	v_add_co_ci_u32_e32 v3, vcc_lo, 0, v3, vcc_lo
	v_add_co_u32 v4, vcc_lo, v4, 64
	v_add_co_ci_u32_e32 v5, vcc_lo, 0, v5, vcc_lo
	s_add_i32 s14, s14, 8
	s_waitcnt vmcnt(1)
	ds_store_b64 v13, v[18:19]
	s_waitcnt vmcnt(0)
	ds_store_b64 v14, v[20:21]
	s_waitcnt lgkmcnt(0)
	s_barrier
	buffer_gl0_inv
	ds_load_2addr_b64 v[18:21], v10 offset1:16
	ds_load_b128 v[22:25], v17
	ds_load_b128 v[26:29], v17 offset:1024
	ds_load_b128 v[30:33], v17 offset:16
	ds_load_2addr_b64 v[34:37], v10 offset0:32 offset1:48
	ds_load_b128 v[38:41], v17 offset:32
	ds_load_b128 v[42:45], v17 offset:48
	ds_load_2addr_b64 v[46:49], v10 offset0:64 offset1:80
	ds_load_b128 v[50:53], v17 offset:1040
	ds_load_2addr_b64 v[54:57], v10 offset0:96 offset1:112
	ds_load_2addr_b64 v[58:61], v10 offset0:128 offset1:144
	;; [unrolled: 1-line block ×4, first 2 shown]
	ds_load_b128 v[70:73], v17 offset:1056
	ds_load_b128 v[74:77], v17 offset:1072
	ds_load_2addr_b64 v[78:81], v10 offset0:224 offset1:240
	s_cmp_ge_i32 s14, s3
	s_waitcnt lgkmcnt(0)
	s_barrier
	buffer_gl0_inv
	v_dual_mul_f32 v82, v23, v19 :: v_dual_mul_f32 v85, v22, v21
	v_dual_mul_f32 v83, v22, v19 :: v_dual_mul_f32 v84, v23, v21
	v_mul_f32_e32 v86, v27, v19
	v_dual_mul_f32 v19, v26, v19 :: v_dual_mul_f32 v90, v25, v37
	v_dual_mul_f32 v87, v27, v21 :: v_dual_mul_f32 v88, v25, v35
	v_mul_f32_e32 v21, v26, v21
	v_fma_f32 v82, v22, v18, -v82
	v_fmac_f32_e32 v83, v23, v18
	v_fma_f32 v22, v22, v20, -v84
	v_fmac_f32_e32 v85, v23, v20
	v_fma_f32 v23, v26, v18, -v86
	v_dual_fmac_f32 v19, v27, v18 :: v_dual_mul_f32 v86, v30, v47
	v_fma_f32 v18, v26, v20, -v87
	v_dual_fmac_f32 v21, v27, v20 :: v_dual_mul_f32 v20, v24, v37
	v_mul_f32_e32 v89, v24, v35
	v_mul_f32_e32 v26, v29, v35
	;; [unrolled: 1-line block ×4, first 2 shown]
	v_fmac_f32_e32 v20, v25, v36
	v_fmac_f32_e32 v89, v25, v34
	v_dual_mul_f32 v25, v28, v37 :: v_dual_fmac_f32 v86, v31, v46
	v_fma_f32 v84, v24, v34, -v88
	v_fma_f32 v24, v24, v36, -v90
	v_dual_mul_f32 v37, v31, v47 :: v_dual_mul_f32 v90, v33, v57
	v_fma_f32 v26, v28, v34, -v26
	v_fma_f32 v28, v28, v36, -v35
	v_fmac_f32_e32 v25, v29, v36
	v_dual_mul_f32 v35, v50, v47 :: v_dual_mul_f32 v36, v51, v49
	v_dual_fmac_f32 v27, v29, v34 :: v_dual_mul_f32 v34, v51, v47
	v_dual_mul_f32 v88, v32, v55 :: v_dual_mul_f32 v29, v30, v49
	v_mul_f32_e32 v87, v31, v49
	v_fma_f32 v37, v30, v46, -v37
	v_add_f32_e32 v16, v16, v83
	s_delay_alu instid0(VALU_DEP_4)
	v_dual_fmac_f32 v88, v33, v54 :: v_dual_fmac_f32 v29, v31, v48
	v_fma_f32 v31, v50, v46, -v34
	v_fma_f32 v34, v50, v48, -v36
	v_mul_f32_e32 v36, v32, v57
	v_mul_f32_e32 v47, v50, v49
	v_dual_mul_f32 v50, v53, v57 :: v_dual_fmac_f32 v35, v51, v46
	v_mul_f32_e32 v46, v53, v55
	v_mul_f32_e32 v49, v33, v55
	v_fma_f32 v30, v30, v48, -v87
	v_fmac_f32_e32 v36, v33, v56
	v_dual_fmac_f32 v47, v51, v48 :: v_dual_mul_f32 v48, v52, v55
	v_mul_f32_e32 v33, v52, v57
	v_fma_f32 v46, v52, v54, -v46
	v_fma_f32 v50, v52, v56, -v50
	v_mul_f32_e32 v52, v38, v61
	v_fma_f32 v49, v32, v54, -v49
	v_fma_f32 v32, v32, v56, -v90
	v_dual_mul_f32 v51, v39, v59 :: v_dual_fmac_f32 v48, v53, v54
	v_mul_f32_e32 v54, v70, v59
	v_dual_mul_f32 v55, v38, v59 :: v_dual_fmac_f32 v52, v39, v60
	v_fmac_f32_e32 v33, v53, v56
	v_mul_f32_e32 v53, v71, v59
	v_mul_f32_e32 v56, v71, v61
	;; [unrolled: 1-line block ×3, first 2 shown]
	v_fmac_f32_e32 v54, v71, v58
	v_fmac_f32_e32 v55, v39, v58
	v_fma_f32 v39, v70, v58, -v53
	v_fma_f32 v53, v70, v60, -v56
	v_mul_f32_e32 v56, v40, v65
	v_mul_f32_e32 v59, v70, v61
	v_fma_f32 v51, v38, v58, -v51
	v_mul_f32_e32 v58, v72, v63
	v_mul_f32_e32 v87, v40, v63
	;; [unrolled: 1-line block ×4, first 2 shown]
	v_fma_f32 v38, v38, v60, -v57
	v_mul_f32_e32 v57, v73, v63
	v_fmac_f32_e32 v56, v41, v64
	v_dual_fmac_f32 v59, v71, v60 :: v_dual_mul_f32 v60, v73, v65
	v_mul_f32_e32 v63, v43, v67
	v_mul_f32_e32 v70, v43, v69
	v_fmac_f32_e32 v58, v73, v62
	v_fmac_f32_e32 v87, v41, v62
	v_mul_f32_e32 v41, v72, v65
	v_fma_f32 v61, v40, v62, -v61
	v_fma_f32 v40, v40, v64, -v90
	v_mul_f32_e32 v65, v42, v67
	v_fma_f32 v57, v72, v62, -v57
	v_fma_f32 v60, v72, v64, -v60
	v_dual_fmac_f32 v41, v73, v64 :: v_dual_mul_f32 v62, v42, v69
	v_mul_f32_e32 v64, v75, v67
	v_fma_f32 v63, v42, v66, -v63
	v_fma_f32 v42, v42, v68, -v70
	v_mul_f32_e32 v70, v76, v79
	v_mul_f32_e32 v67, v74, v67
	v_mul_f32_e32 v71, v75, v69
	v_dual_mul_f32 v69, v74, v69 :: v_dual_add_f32 v12, v12, v22
	v_mul_f32_e32 v73, v44, v79
	v_dual_fmac_f32 v65, v43, v66 :: v_dual_add_f32 v8, v8, v19
	v_fmac_f32_e32 v62, v43, v68
	v_fma_f32 v43, v74, v66, -v64
	v_fmac_f32_e32 v70, v77, v78
	v_dual_fmac_f32 v67, v75, v66 :: v_dual_add_f32 v16, v16, v89
	v_mul_f32_e32 v66, v44, v81
	v_mul_f32_e32 v72, v45, v79
	v_dual_mul_f32 v90, v45, v81 :: v_dual_fmac_f32 v69, v75, v68
	v_add_f32_e32 v0, v0, v18
	v_dual_fmac_f32 v73, v45, v78 :: v_dual_add_f32 v8, v8, v27
	v_dual_fmac_f32 v66, v45, v80 :: v_dual_mul_f32 v45, v76, v81
	v_fma_f32 v64, v74, v68, -v71
	v_dual_mul_f32 v71, v77, v81 :: v_dual_add_f32 v12, v12, v24
	v_dual_add_f32 v15, v15, v82 :: v_dual_add_f32 v0, v0, v28
	s_delay_alu instid0(VALU_DEP_4) | instskip(NEXT) | instid1(VALU_DEP_3)
	v_dual_fmac_f32 v45, v77, v80 :: v_dual_add_f32 v16, v16, v86
	v_dual_add_f32 v11, v11, v85 :: v_dual_add_f32 v12, v12, v30
	s_delay_alu instid0(VALU_DEP_3) | instskip(SKIP_2) | instid1(VALU_DEP_3)
	v_dual_add_f32 v9, v9, v23 :: v_dual_add_f32 v0, v0, v34
	v_dual_add_f32 v1, v1, v21 :: v_dual_add_f32 v8, v8, v35
	v_add_f32_e32 v15, v15, v84
	v_dual_add_f32 v9, v9, v26 :: v_dual_add_f32 v16, v16, v88
	v_add_f32_e32 v11, v11, v20
	s_delay_alu instid0(VALU_DEP_4) | instskip(NEXT) | instid1(VALU_DEP_3)
	v_dual_add_f32 v1, v1, v25 :: v_dual_add_f32 v12, v12, v32
	v_dual_add_f32 v8, v8, v48 :: v_dual_add_f32 v9, v9, v31
	;; [unrolled: 1-line block ×3, first 2 shown]
	s_delay_alu instid0(VALU_DEP_3) | instskip(SKIP_1) | instid1(VALU_DEP_3)
	v_add_f32_e32 v1, v1, v47
	v_dual_add_f32 v16, v16, v55 :: v_dual_add_f32 v11, v11, v29
	v_dual_add_f32 v12, v12, v38 :: v_dual_add_f32 v15, v15, v49
	v_add_f32_e32 v8, v8, v54
	s_delay_alu instid0(VALU_DEP_3) | instskip(NEXT) | instid1(VALU_DEP_3)
	v_dual_add_f32 v16, v16, v87 :: v_dual_add_f32 v11, v11, v36
	v_dual_add_f32 v9, v9, v46 :: v_dual_add_f32 v12, v12, v40
	v_add_f32_e32 v0, v0, v53
	v_add_f32_e32 v1, v1, v33
	s_delay_alu instid0(VALU_DEP_4) | instskip(SKIP_3) | instid1(VALU_DEP_4)
	v_dual_add_f32 v15, v15, v51 :: v_dual_add_f32 v16, v16, v65
	v_dual_add_f32 v8, v8, v58 :: v_dual_add_f32 v11, v11, v52
	v_add_f32_e32 v12, v12, v42
	v_dual_add_f32 v0, v0, v60 :: v_dual_add_f32 v9, v9, v39
	v_dual_add_f32 v1, v1, v59 :: v_dual_add_f32 v16, v16, v73
	v_mul_f32_e32 v68, v77, v79
	v_fma_f32 v72, v44, v78, -v72
	v_fma_f32 v44, v44, v80, -v90
	;; [unrolled: 1-line block ×3, first 2 shown]
	v_dual_add_f32 v15, v15, v61 :: v_dual_add_f32 v8, v8, v67
	v_add_f32_e32 v11, v11, v56
	v_dual_add_f32 v0, v0, v64 :: v_dual_add_f32 v9, v9, v57
	v_dual_add_f32 v12, v12, v44 :: v_dual_add_f32 v1, v1, v41
	v_fma_f32 v68, v76, v78, -v68
	s_delay_alu instid0(VALU_DEP_3) | instskip(SKIP_4) | instid1(VALU_DEP_4)
	v_add_f32_e32 v0, v0, v71
	v_add_f32_e32 v15, v15, v63
	v_add_f32_e32 v9, v9, v43
	v_dual_add_f32 v1, v1, v69 :: v_dual_add_f32 v8, v8, v70
	v_add_f32_e32 v11, v11, v62
	v_add_f32_e32 v15, v15, v72
	s_delay_alu instid0(VALU_DEP_4) | instskip(NEXT) | instid1(VALU_DEP_4)
	v_add_f32_e32 v9, v9, v68
	v_add_f32_e32 v1, v1, v45
	s_delay_alu instid0(VALU_DEP_4)
	v_add_f32_e32 v11, v11, v66
	s_cbranch_scc0 .LBB160_2
.LBB160_3:
	s_clause 0x1
	s_load_b32 s3, s[0:1], 0x40
	s_load_b64 s[0:1], s[0:1], 0x48
	v_add_nc_u32_e32 v7, s13, v7
	v_add_nc_u32_e32 v2, s12, v6
	s_delay_alu instid0(VALU_DEP_2)
	v_cmp_gt_i32_e32 vcc_lo, s2, v7
	s_waitcnt lgkmcnt(0)
	v_mad_i64_i32 v[3:4], null, v7, s3, 0
	s_mul_i32 s1, s15, s1
	s_mul_hi_u32 s4, s15, s0
	s_mul_i32 s0, s15, s0
	s_add_i32 s1, s4, s1
	s_delay_alu instid0(SALU_CYCLE_1) | instskip(NEXT) | instid1(VALU_DEP_1)
	s_lshl_b64 s[4:5], s[0:1], 3
	v_lshlrev_b64 v[3:4], 3, v[3:4]
	s_add_u32 s4, s6, s4
	v_cmp_le_i32_e64 s0, v2, v7
	s_addc_u32 s5, s7, s5
	s_delay_alu instid0(VALU_DEP_2) | instskip(NEXT) | instid1(VALU_DEP_1)
	v_add_co_u32 v6, s1, s4, v3
	v_add_co_ci_u32_e64 v10, s1, s5, v4, s1
	s_delay_alu instid0(VALU_DEP_3) | instskip(NEXT) | instid1(SALU_CYCLE_1)
	s_and_b32 s0, vcc_lo, s0
	s_and_saveexec_b32 s1, s0
	s_cbranch_execz .LBB160_5
; %bb.4:
	v_ashrrev_i32_e32 v3, 31, v2
	s_delay_alu instid0(VALU_DEP_1) | instskip(NEXT) | instid1(VALU_DEP_1)
	v_lshlrev_b64 v[3:4], 3, v[2:3]
	v_add_co_u32 v3, s0, v6, v3
	s_delay_alu instid0(VALU_DEP_1)
	v_add_co_ci_u32_e64 v4, s0, v10, v4, s0
	global_load_b64 v[13:14], v[3:4], off
	s_waitcnt vmcnt(0)
	v_dual_add_f32 v13, v15, v13 :: v_dual_add_f32 v14, v16, v14
	global_store_b64 v[3:4], v[13:14], off
.LBB160_5:
	s_or_b32 exec_lo, exec_lo, s1
	v_add_nc_u32_e32 v4, 16, v2
	s_delay_alu instid0(VALU_DEP_1) | instskip(NEXT) | instid1(VALU_DEP_1)
	v_cmp_le_i32_e64 s0, v4, v7
	s_and_b32 s1, vcc_lo, s0
	s_delay_alu instid0(SALU_CYCLE_1)
	s_and_saveexec_b32 s0, s1
	s_cbranch_execz .LBB160_7
; %bb.6:
	v_ashrrev_i32_e32 v5, 31, v4
	s_delay_alu instid0(VALU_DEP_1) | instskip(NEXT) | instid1(VALU_DEP_1)
	v_lshlrev_b64 v[13:14], 3, v[4:5]
	v_add_co_u32 v5, vcc_lo, v6, v13
	s_delay_alu instid0(VALU_DEP_2)
	v_add_co_ci_u32_e32 v6, vcc_lo, v10, v14, vcc_lo
	global_load_b64 v[13:14], v[5:6], off
	s_waitcnt vmcnt(0)
	v_dual_add_f32 v10, v12, v13 :: v_dual_add_f32 v11, v11, v14
	global_store_b64 v[5:6], v[10:11], off
.LBB160_7:
	s_or_b32 exec_lo, exec_lo, s0
	v_add_nc_u32_e32 v5, 16, v7
	s_delay_alu instid0(VALU_DEP_1) | instskip(SKIP_2) | instid1(VALU_DEP_1)
	v_mad_i64_i32 v[6:7], null, v5, s3, 0
	v_cmp_gt_i32_e32 vcc_lo, s2, v5
	v_cmp_le_i32_e64 s0, v2, v5
	s_and_b32 s0, vcc_lo, s0
	s_delay_alu instid0(VALU_DEP_3) | instskip(NEXT) | instid1(VALU_DEP_1)
	v_lshlrev_b64 v[6:7], 3, v[6:7]
	v_add_co_u32 v6, s1, s4, v6
	s_delay_alu instid0(VALU_DEP_1)
	v_add_co_ci_u32_e64 v7, s1, s5, v7, s1
	s_and_saveexec_b32 s1, s0
	s_cbranch_execz .LBB160_9
; %bb.8:
	v_ashrrev_i32_e32 v3, 31, v2
	s_delay_alu instid0(VALU_DEP_1) | instskip(NEXT) | instid1(VALU_DEP_1)
	v_lshlrev_b64 v[2:3], 3, v[2:3]
	v_add_co_u32 v2, s0, v6, v2
	s_delay_alu instid0(VALU_DEP_1)
	v_add_co_ci_u32_e64 v3, s0, v7, v3, s0
	global_load_b64 v[10:11], v[2:3], off
	s_waitcnt vmcnt(0)
	v_dual_add_f32 v9, v9, v10 :: v_dual_add_f32 v10, v8, v11
	global_store_b64 v[2:3], v[9:10], off
.LBB160_9:
	s_or_b32 exec_lo, exec_lo, s1
	v_cmp_le_i32_e64 s0, v4, v5
	s_delay_alu instid0(VALU_DEP_1) | instskip(NEXT) | instid1(SALU_CYCLE_1)
	s_and_b32 s0, vcc_lo, s0
	s_and_saveexec_b32 s1, s0
	s_cbranch_execz .LBB160_11
; %bb.10:
	v_ashrrev_i32_e32 v5, 31, v4
	s_delay_alu instid0(VALU_DEP_1) | instskip(NEXT) | instid1(VALU_DEP_1)
	v_lshlrev_b64 v[2:3], 3, v[4:5]
	v_add_co_u32 v2, vcc_lo, v6, v2
	s_delay_alu instid0(VALU_DEP_2)
	v_add_co_ci_u32_e32 v3, vcc_lo, v7, v3, vcc_lo
	global_load_b64 v[4:5], v[2:3], off
	s_waitcnt vmcnt(0)
	v_dual_add_f32 v0, v0, v4 :: v_dual_add_f32 v1, v1, v5
	global_store_b64 v[2:3], v[0:1], off
.LBB160_11:
	s_nop 0
	s_sendmsg sendmsg(MSG_DEALLOC_VGPRS)
	s_endpgm
	.section	.rodata,"a",@progbits
	.p2align	6, 0x0
	.amdhsa_kernel _ZL37rocblas_syrkx_herkx_restricted_kernelIi19rocblas_complex_numIfELi16ELi32ELi8ELi1ELi1ELb0ELc67ELc85EKS1_S1_EviT_PT9_S3_lS5_S3_lPT10_S3_li
		.amdhsa_group_segment_fixed_size 4096
		.amdhsa_private_segment_fixed_size 0
		.amdhsa_kernarg_size 84
		.amdhsa_user_sgpr_count 13
		.amdhsa_user_sgpr_dispatch_ptr 0
		.amdhsa_user_sgpr_queue_ptr 0
		.amdhsa_user_sgpr_kernarg_segment_ptr 1
		.amdhsa_user_sgpr_dispatch_id 0
		.amdhsa_user_sgpr_private_segment_size 0
		.amdhsa_wavefront_size32 1
		.amdhsa_uses_dynamic_stack 0
		.amdhsa_enable_private_segment 0
		.amdhsa_system_sgpr_workgroup_id_x 1
		.amdhsa_system_sgpr_workgroup_id_y 1
		.amdhsa_system_sgpr_workgroup_id_z 1
		.amdhsa_system_sgpr_workgroup_info 0
		.amdhsa_system_vgpr_workitem_id 1
		.amdhsa_next_free_vgpr 91
		.amdhsa_next_free_sgpr 20
		.amdhsa_reserve_vcc 1
		.amdhsa_float_round_mode_32 0
		.amdhsa_float_round_mode_16_64 0
		.amdhsa_float_denorm_mode_32 3
		.amdhsa_float_denorm_mode_16_64 3
		.amdhsa_dx10_clamp 1
		.amdhsa_ieee_mode 1
		.amdhsa_fp16_overflow 0
		.amdhsa_workgroup_processor_mode 1
		.amdhsa_memory_ordered 1
		.amdhsa_forward_progress 0
		.amdhsa_shared_vgpr_count 0
		.amdhsa_exception_fp_ieee_invalid_op 0
		.amdhsa_exception_fp_denorm_src 0
		.amdhsa_exception_fp_ieee_div_zero 0
		.amdhsa_exception_fp_ieee_overflow 0
		.amdhsa_exception_fp_ieee_underflow 0
		.amdhsa_exception_fp_ieee_inexact 0
		.amdhsa_exception_int_div_zero 0
	.end_amdhsa_kernel
	.section	.text._ZL37rocblas_syrkx_herkx_restricted_kernelIi19rocblas_complex_numIfELi16ELi32ELi8ELi1ELi1ELb0ELc67ELc85EKS1_S1_EviT_PT9_S3_lS5_S3_lPT10_S3_li,"axG",@progbits,_ZL37rocblas_syrkx_herkx_restricted_kernelIi19rocblas_complex_numIfELi16ELi32ELi8ELi1ELi1ELb0ELc67ELc85EKS1_S1_EviT_PT9_S3_lS5_S3_lPT10_S3_li,comdat
.Lfunc_end160:
	.size	_ZL37rocblas_syrkx_herkx_restricted_kernelIi19rocblas_complex_numIfELi16ELi32ELi8ELi1ELi1ELb0ELc67ELc85EKS1_S1_EviT_PT9_S3_lS5_S3_lPT10_S3_li, .Lfunc_end160-_ZL37rocblas_syrkx_herkx_restricted_kernelIi19rocblas_complex_numIfELi16ELi32ELi8ELi1ELi1ELb0ELc67ELc85EKS1_S1_EviT_PT9_S3_lS5_S3_lPT10_S3_li
                                        ; -- End function
	.section	.AMDGPU.csdata,"",@progbits
; Kernel info:
; codeLenInByte = 2100
; NumSgprs: 22
; NumVgprs: 91
; ScratchSize: 0
; MemoryBound: 0
; FloatMode: 240
; IeeeMode: 1
; LDSByteSize: 4096 bytes/workgroup (compile time only)
; SGPRBlocks: 2
; VGPRBlocks: 11
; NumSGPRsForWavesPerEU: 22
; NumVGPRsForWavesPerEU: 91
; Occupancy: 16
; WaveLimiterHint : 0
; COMPUTE_PGM_RSRC2:SCRATCH_EN: 0
; COMPUTE_PGM_RSRC2:USER_SGPR: 13
; COMPUTE_PGM_RSRC2:TRAP_HANDLER: 0
; COMPUTE_PGM_RSRC2:TGID_X_EN: 1
; COMPUTE_PGM_RSRC2:TGID_Y_EN: 1
; COMPUTE_PGM_RSRC2:TGID_Z_EN: 1
; COMPUTE_PGM_RSRC2:TIDIG_COMP_CNT: 1
	.section	.text._ZL37rocblas_syrkx_herkx_restricted_kernelIi19rocblas_complex_numIfELi16ELi32ELi8ELi1ELi1ELb0ELc78ELc85EKS1_S1_EviT_PT9_S3_lS5_S3_lPT10_S3_li,"axG",@progbits,_ZL37rocblas_syrkx_herkx_restricted_kernelIi19rocblas_complex_numIfELi16ELi32ELi8ELi1ELi1ELb0ELc78ELc85EKS1_S1_EviT_PT9_S3_lS5_S3_lPT10_S3_li,comdat
	.globl	_ZL37rocblas_syrkx_herkx_restricted_kernelIi19rocblas_complex_numIfELi16ELi32ELi8ELi1ELi1ELb0ELc78ELc85EKS1_S1_EviT_PT9_S3_lS5_S3_lPT10_S3_li ; -- Begin function _ZL37rocblas_syrkx_herkx_restricted_kernelIi19rocblas_complex_numIfELi16ELi32ELi8ELi1ELi1ELb0ELc78ELc85EKS1_S1_EviT_PT9_S3_lS5_S3_lPT10_S3_li
	.p2align	8
	.type	_ZL37rocblas_syrkx_herkx_restricted_kernelIi19rocblas_complex_numIfELi16ELi32ELi8ELi1ELi1ELb0ELc78ELc85EKS1_S1_EviT_PT9_S3_lS5_S3_lPT10_S3_li,@function
_ZL37rocblas_syrkx_herkx_restricted_kernelIi19rocblas_complex_numIfELi16ELi32ELi8ELi1ELi1ELb0ELc78ELc85EKS1_S1_EviT_PT9_S3_lS5_S3_lPT10_S3_li: ; @_ZL37rocblas_syrkx_herkx_restricted_kernelIi19rocblas_complex_numIfELi16ELi32ELi8ELi1ELi1ELb0ELc78ELc85EKS1_S1_EviT_PT9_S3_lS5_S3_lPT10_S3_li
; %bb.0:
	s_clause 0x1
	s_load_b64 s[2:3], s[0:1], 0x0
	s_load_b128 s[4:7], s[0:1], 0x30
	v_dual_mov_b32 v17, 0 :: v_dual_and_b32 v4, 0x3ff, v0
	v_bfe_u32 v5, v0, 10, 10
	v_dual_mov_b32 v16, 0 :: v_dual_mov_b32 v13, 0
	v_dual_mov_b32 v12, 0 :: v_dual_mov_b32 v9, 0
	;; [unrolled: 1-line block ×3, first 2 shown]
	v_mov_b32_e32 v6, 0
	s_lshl_b32 s12, s13, 5
	s_lshl_b32 s13, s14, 5
	s_mov_b32 s14, 0
	s_waitcnt lgkmcnt(0)
	s_cmp_lt_i32 s3, 1
	s_cbranch_scc1 .LBB161_3
; %bb.1:
	s_clause 0x1
	s_load_b32 s16, s[0:1], 0x10
	s_load_b32 s18, s[0:1], 0x28
	v_lshl_add_u32 v0, v5, 4, v4
	v_and_b32_e32 v8, 7, v4
	s_clause 0x1
	s_load_b128 s[8:11], s[0:1], 0x18
	s_load_b64 s[20:21], s[0:1], 0x8
	s_mul_i32 s5, s5, s15
	v_lshrrev_b32_e32 v1, 3, v0
	v_and_b32_e32 v2, 31, v0
	v_lshrrev_b32_e32 v9, 5, v0
	v_lshlrev_b32_e32 v3, 3, v8
	s_delay_alu instid0(VALU_DEP_4) | instskip(NEXT) | instid1(VALU_DEP_4)
	v_dual_mov_b32 v13, 0 :: v_dual_add_nc_u32 v0, s13, v1
	v_dual_mov_b32 v17, 0 :: v_dual_lshlrev_b32 v6, 3, v2
	v_add_nc_u32_e32 v2, s12, v2
	s_delay_alu instid0(VALU_DEP_4) | instskip(NEXT) | instid1(VALU_DEP_4)
	v_lshl_or_b32 v11, v1, 6, v3
	v_ashrrev_i32_e32 v1, 31, v0
	s_delay_alu instid0(VALU_DEP_4)
	v_lshl_or_b32 v10, v9, 8, v6
	v_lshlrev_b32_e32 v14, 3, v4
	v_ashrrev_i32_e32 v3, 31, v2
	s_waitcnt lgkmcnt(0)
	s_ashr_i32 s17, s16, 31
	v_mad_i64_i32 v[6:7], null, s18, v8, v[0:1]
	s_mul_i32 s9, s9, s15
	v_mad_i64_i32 v[0:1], null, s16, v9, v[2:3]
	s_mul_hi_u32 s22, s8, s15
	s_mul_i32 s8, s8, s15
	s_add_i32 s9, s22, s9
	s_ashr_i32 s19, s18, 31
	s_lshl_b64 s[8:9], s[8:9], 3
	v_dual_mov_b32 v8, 0 :: v_dual_add_nc_u32 v11, 0x800, v11
	s_delay_alu instid0(VALU_DEP_2)
	v_lshlrev_b64 v[0:1], 3, v[0:1]
	s_add_u32 s8, s20, s8
	s_addc_u32 s9, s21, s9
	s_mul_hi_u32 s20, s4, s15
	s_mul_i32 s4, s4, s15
	s_add_i32 s5, s20, s5
	v_add_co_u32 v2, vcc_lo, s8, v0
	v_add_co_ci_u32_e32 v3, vcc_lo, s9, v1, vcc_lo
	v_lshlrev_b64 v[0:1], 3, v[6:7]
	s_lshl_b64 s[8:9], s[4:5], 3
	s_lshl_b64 s[4:5], s[16:17], 6
	s_add_u32 s8, s10, s8
	s_addc_u32 s9, s11, s9
	v_lshl_add_u32 v15, v5, 6, 0x800
	v_add_co_u32 v6, vcc_lo, s8, v0
	v_add_co_ci_u32_e32 v7, vcc_lo, s9, v1, vcc_lo
	v_add_co_u32 v0, vcc_lo, v2, 4
	v_add_co_ci_u32_e32 v1, vcc_lo, 0, v3, vcc_lo
	s_delay_alu instid0(VALU_DEP_4) | instskip(NEXT) | instid1(VALU_DEP_4)
	v_add_co_u32 v2, vcc_lo, v6, 4
	v_add_co_ci_u32_e32 v3, vcc_lo, 0, v7, vcc_lo
	v_dual_mov_b32 v6, 0 :: v_dual_mov_b32 v7, 0
	v_dual_mov_b32 v9, 0 :: v_dual_mov_b32 v12, 0
	v_mov_b32_e32 v16, 0
	s_lshl_b64 s[8:9], s[18:19], 6
.LBB161_2:                              ; =>This Inner Loop Header: Depth=1
	global_load_b64 v[18:19], v[0:1], off offset:-4
	global_load_b64 v[20:21], v[2:3], off offset:-4
	v_add_co_u32 v0, vcc_lo, v0, s4
	v_add_co_ci_u32_e32 v1, vcc_lo, s5, v1, vcc_lo
	v_add_co_u32 v2, vcc_lo, v2, s8
	v_add_co_ci_u32_e32 v3, vcc_lo, s9, v3, vcc_lo
	s_add_i32 s14, s14, 8
	s_waitcnt vmcnt(1)
	ds_store_b64 v10, v[18:19]
	s_waitcnt vmcnt(0)
	ds_store_b64 v11, v[20:21]
	s_waitcnt lgkmcnt(0)
	s_barrier
	buffer_gl0_inv
	ds_load_2addr_b64 v[18:21], v14 offset1:16
	ds_load_b128 v[22:25], v15
	ds_load_b128 v[26:29], v15 offset:1024
	ds_load_b128 v[30:33], v15 offset:16
	ds_load_2addr_b64 v[34:37], v14 offset0:32 offset1:48
	ds_load_b128 v[38:41], v15 offset:32
	ds_load_b128 v[42:45], v15 offset:48
	ds_load_2addr_b64 v[46:49], v14 offset0:64 offset1:80
	ds_load_b128 v[50:53], v15 offset:1040
	ds_load_2addr_b64 v[54:57], v14 offset0:96 offset1:112
	ds_load_2addr_b64 v[58:61], v14 offset0:128 offset1:144
	;; [unrolled: 1-line block ×4, first 2 shown]
	ds_load_b128 v[70:73], v15 offset:1056
	ds_load_b128 v[74:77], v15 offset:1072
	ds_load_2addr_b64 v[78:81], v14 offset0:224 offset1:240
	s_cmp_ge_i32 s14, s3
	s_waitcnt lgkmcnt(0)
	s_barrier
	buffer_gl0_inv
	v_dual_mul_f32 v82, v23, v19 :: v_dual_mul_f32 v85, v22, v21
	v_dual_mul_f32 v83, v22, v19 :: v_dual_mul_f32 v84, v23, v21
	v_mul_f32_e32 v86, v27, v19
	v_dual_mul_f32 v19, v26, v19 :: v_dual_mul_f32 v90, v25, v37
	v_dual_mul_f32 v87, v27, v21 :: v_dual_mul_f32 v88, v25, v35
	v_mul_f32_e32 v21, v26, v21
	v_mul_f32_e32 v89, v24, v35
	;; [unrolled: 1-line block ×3, first 2 shown]
	v_fma_f32 v82, v22, v18, -v82
	v_fmac_f32_e32 v83, v23, v18
	v_fma_f32 v22, v22, v20, -v84
	v_dual_fmac_f32 v85, v23, v20 :: v_dual_mul_f32 v84, v30, v47
	v_fma_f32 v23, v26, v18, -v86
	v_fmac_f32_e32 v19, v27, v18
	v_fma_f32 v18, v26, v20, -v87
	v_dual_mul_f32 v26, v28, v35 :: v_dual_fmac_f32 v21, v27, v20
	v_mul_f32_e32 v20, v29, v35
	v_mul_f32_e32 v27, v29, v37
	v_dual_mul_f32 v35, v28, v37 :: v_dual_fmac_f32 v84, v31, v46
	v_fma_f32 v37, v24, v34, -v88
	v_fma_f32 v24, v24, v36, -v90
	v_dual_fmac_f32 v91, v25, v36 :: v_dual_mul_f32 v90, v32, v57
	v_dual_mul_f32 v86, v31, v49 :: v_dual_fmac_f32 v89, v25, v34
	v_dual_mul_f32 v25, v31, v47 :: v_dual_mul_f32 v88, v33, v57
	v_fma_f32 v20, v28, v34, -v20
	v_fmac_f32_e32 v26, v29, v34
	v_fma_f32 v27, v28, v36, -v27
	v_dual_fmac_f32 v35, v29, v36 :: v_dual_mul_f32 v28, v51, v47
	v_dual_mul_f32 v29, v50, v47 :: v_dual_mul_f32 v34, v51, v49
	v_mul_f32_e32 v36, v50, v49
	v_mul_f32_e32 v87, v30, v49
	;; [unrolled: 1-line block ×3, first 2 shown]
	v_dual_mul_f32 v49, v32, v55 :: v_dual_fmac_f32 v90, v33, v56
	v_fma_f32 v25, v30, v46, -v25
	v_fma_f32 v30, v30, v48, -v86
	;; [unrolled: 1-line block ×3, first 2 shown]
	v_fmac_f32_e32 v36, v51, v48
	v_fmac_f32_e32 v87, v31, v48
	v_fma_f32 v31, v50, v48, -v34
	v_mul_f32_e32 v34, v53, v55
	v_mul_f32_e32 v48, v53, v57
	v_dual_mul_f32 v50, v52, v57 :: v_dual_fmac_f32 v29, v51, v46
	v_mul_f32_e32 v46, v52, v55
	v_fma_f32 v47, v32, v54, -v47
	v_fmac_f32_e32 v49, v33, v54
	v_fma_f32 v32, v32, v56, -v88
	s_delay_alu instid0(VALU_DEP_4)
	v_dual_mul_f32 v33, v39, v59 :: v_dual_fmac_f32 v46, v53, v54
	v_mul_f32_e32 v51, v38, v59
	v_mul_f32_e32 v55, v39, v61
	v_fma_f32 v34, v52, v54, -v34
	v_fma_f32 v48, v52, v56, -v48
	v_fmac_f32_e32 v50, v53, v56
	v_mul_f32_e32 v52, v71, v59
	v_dual_mul_f32 v53, v70, v59 :: v_dual_mul_f32 v86, v41, v65
	v_mul_f32_e32 v54, v71, v61
	v_dual_mul_f32 v56, v70, v61 :: v_dual_mul_f32 v59, v41, v63
	v_mul_f32_e32 v57, v38, v61
	v_mul_f32_e32 v61, v40, v63
	v_dual_mul_f32 v88, v40, v65 :: v_dual_fmac_f32 v51, v39, v58
	v_fma_f32 v33, v38, v58, -v33
	v_fmac_f32_e32 v53, v71, v58
	v_fmac_f32_e32 v56, v71, v60
	s_delay_alu instid0(VALU_DEP_4)
	v_fmac_f32_e32 v88, v41, v64
	v_fmac_f32_e32 v57, v39, v60
	v_fma_f32 v39, v70, v58, -v52
	v_fma_f32 v52, v70, v60, -v54
	v_mul_f32_e32 v54, v73, v63
	v_fma_f32 v38, v38, v60, -v55
	v_mul_f32_e32 v60, v72, v65
	v_dual_mul_f32 v55, v72, v63 :: v_dual_mul_f32 v70, v42, v69
	v_mul_f32_e32 v58, v73, v65
	v_fma_f32 v59, v40, v62, -v59
	v_fmac_f32_e32 v61, v41, v62
	v_fma_f32 v40, v40, v64, -v86
	v_dual_mul_f32 v41, v43, v67 :: v_dual_fmac_f32 v60, v73, v64
	v_dual_mul_f32 v63, v42, v67 :: v_dual_mul_f32 v86, v44, v81
	v_mul_f32_e32 v65, v43, v69
	v_fma_f32 v54, v72, v62, -v54
	v_fmac_f32_e32 v55, v73, v62
	v_fma_f32 v58, v72, v64, -v58
	v_mul_f32_e32 v72, v44, v79
	v_mul_f32_e32 v62, v75, v67
	v_dual_mul_f32 v64, v74, v67 :: v_dual_mul_f32 v67, v75, v69
	v_dual_mul_f32 v69, v74, v69 :: v_dual_fmac_f32 v70, v43, v68
	s_delay_alu instid0(VALU_DEP_2)
	v_dual_mul_f32 v71, v45, v79 :: v_dual_fmac_f32 v64, v75, v66
	v_dual_mul_f32 v73, v45, v81 :: v_dual_add_f32 v16, v16, v82
	v_fma_f32 v41, v42, v66, -v41
	v_fmac_f32_e32 v63, v43, v66
	v_fma_f32 v42, v42, v68, -v65
	v_fma_f32 v43, v74, v66, -v62
	v_dual_mul_f32 v65, v77, v79 :: v_dual_add_f32 v12, v12, v85
	v_mul_f32_e32 v66, v76, v79
	v_fma_f32 v62, v74, v68, -v67
	v_dual_mul_f32 v67, v77, v81 :: v_dual_add_f32 v8, v8, v19
	v_dual_fmac_f32 v86, v45, v80 :: v_dual_add_f32 v7, v7, v18
	v_dual_add_f32 v17, v17, v83 :: v_dual_add_f32 v6, v6, v21
	v_dual_add_f32 v13, v13, v22 :: v_dual_add_f32 v16, v16, v37
	s_delay_alu instid0(VALU_DEP_4)
	v_dual_add_f32 v9, v9, v23 :: v_dual_add_f32 v8, v8, v26
	v_dual_fmac_f32 v69, v75, v68 :: v_dual_fmac_f32 v72, v45, v78
	v_mul_f32_e32 v68, v76, v81
	v_dual_fmac_f32 v66, v77, v78 :: v_dual_add_f32 v7, v7, v27
	v_dual_add_f32 v17, v17, v89 :: v_dual_add_f32 v12, v12, v91
	v_dual_add_f32 v13, v13, v24 :: v_dual_add_f32 v6, v6, v35
	;; [unrolled: 1-line block ×3, first 2 shown]
	s_delay_alu instid0(VALU_DEP_4) | instskip(NEXT) | instid1(VALU_DEP_4)
	v_dual_fmac_f32 v68, v77, v80 :: v_dual_add_f32 v7, v7, v31
	v_dual_add_f32 v17, v17, v84 :: v_dual_add_f32 v12, v12, v87
	s_delay_alu instid0(VALU_DEP_4) | instskip(NEXT) | instid1(VALU_DEP_4)
	v_dual_add_f32 v13, v13, v30 :: v_dual_add_f32 v8, v8, v29
	v_dual_add_f32 v9, v9, v28 :: v_dual_add_f32 v16, v16, v47
	s_delay_alu instid0(VALU_DEP_3) | instskip(NEXT) | instid1(VALU_DEP_3)
	v_dual_add_f32 v6, v6, v36 :: v_dual_add_f32 v17, v17, v49
	v_dual_add_f32 v13, v13, v32 :: v_dual_add_f32 v12, v12, v90
	s_delay_alu instid0(VALU_DEP_3) | instskip(SKIP_1) | instid1(VALU_DEP_4)
	v_dual_add_f32 v9, v9, v34 :: v_dual_add_f32 v16, v16, v33
	v_dual_add_f32 v8, v8, v46 :: v_dual_add_f32 v7, v7, v48
	;; [unrolled: 1-line block ×3, first 2 shown]
	s_delay_alu instid0(VALU_DEP_4) | instskip(NEXT) | instid1(VALU_DEP_3)
	v_dual_add_f32 v13, v13, v38 :: v_dual_add_f32 v12, v12, v57
	v_dual_add_f32 v9, v9, v39 :: v_dual_add_f32 v8, v8, v53
	s_delay_alu instid0(VALU_DEP_4) | instskip(NEXT) | instid1(VALU_DEP_4)
	v_dual_add_f32 v7, v7, v52 :: v_dual_add_f32 v16, v16, v59
	v_dual_add_f32 v6, v6, v56 :: v_dual_add_f32 v17, v17, v61
	s_delay_alu instid0(VALU_DEP_3) | instskip(NEXT) | instid1(VALU_DEP_4)
	v_dual_add_f32 v13, v13, v40 :: v_dual_add_f32 v8, v8, v55
	v_dual_add_f32 v12, v12, v88 :: v_dual_add_f32 v9, v9, v54
	s_delay_alu instid0(VALU_DEP_3)
	v_dual_add_f32 v7, v7, v58 :: v_dual_add_f32 v6, v6, v60
	v_fma_f32 v71, v44, v78, -v71
	v_fma_f32 v44, v44, v80, -v73
	;; [unrolled: 1-line block ×4, first 2 shown]
	v_dual_add_f32 v16, v16, v41 :: v_dual_add_f32 v17, v17, v63
	v_dual_add_f32 v13, v13, v42 :: v_dual_add_f32 v8, v8, v64
	;; [unrolled: 1-line block ×4, first 2 shown]
	s_delay_alu instid0(VALU_DEP_4) | instskip(NEXT) | instid1(VALU_DEP_3)
	v_dual_add_f32 v16, v16, v71 :: v_dual_add_f32 v17, v17, v72
	v_dual_add_f32 v13, v13, v44 :: v_dual_add_f32 v12, v12, v86
	s_delay_alu instid0(VALU_DEP_4) | instskip(NEXT) | instid1(VALU_DEP_4)
	v_dual_add_f32 v9, v9, v45 :: v_dual_add_f32 v8, v8, v66
	v_dual_add_f32 v7, v7, v65 :: v_dual_add_f32 v6, v6, v68
	s_cbranch_scc0 .LBB161_2
.LBB161_3:
	s_clause 0x1
	s_load_b32 s3, s[0:1], 0x40
	s_load_b64 s[0:1], s[0:1], 0x48
	v_add_nc_u32_e32 v5, s13, v5
	v_add_nc_u32_e32 v0, s12, v4
	s_delay_alu instid0(VALU_DEP_2)
	v_cmp_gt_i32_e32 vcc_lo, s2, v5
	s_waitcnt lgkmcnt(0)
	v_mad_i64_i32 v[1:2], null, v5, s3, 0
	s_mul_i32 s1, s15, s1
	s_mul_hi_u32 s4, s15, s0
	s_mul_i32 s0, s15, s0
	s_add_i32 s1, s4, s1
	s_delay_alu instid0(SALU_CYCLE_1) | instskip(NEXT) | instid1(VALU_DEP_1)
	s_lshl_b64 s[4:5], s[0:1], 3
	v_lshlrev_b64 v[1:2], 3, v[1:2]
	s_add_u32 s4, s6, s4
	v_cmp_le_i32_e64 s0, v0, v5
	s_addc_u32 s5, s7, s5
	s_delay_alu instid0(VALU_DEP_2) | instskip(NEXT) | instid1(VALU_DEP_1)
	v_add_co_u32 v4, s1, s4, v1
	v_add_co_ci_u32_e64 v10, s1, s5, v2, s1
	s_delay_alu instid0(VALU_DEP_3) | instskip(NEXT) | instid1(SALU_CYCLE_1)
	s_and_b32 s0, vcc_lo, s0
	s_and_saveexec_b32 s1, s0
	s_cbranch_execz .LBB161_5
; %bb.4:
	v_ashrrev_i32_e32 v1, 31, v0
	s_delay_alu instid0(VALU_DEP_1) | instskip(NEXT) | instid1(VALU_DEP_1)
	v_lshlrev_b64 v[1:2], 3, v[0:1]
	v_add_co_u32 v1, s0, v4, v1
	s_delay_alu instid0(VALU_DEP_1)
	v_add_co_ci_u32_e64 v2, s0, v10, v2, s0
	global_load_b64 v[14:15], v[1:2], off
	s_waitcnt vmcnt(0)
	v_dual_add_f32 v14, v16, v14 :: v_dual_add_f32 v15, v17, v15
	global_store_b64 v[1:2], v[14:15], off
.LBB161_5:
	s_or_b32 exec_lo, exec_lo, s1
	v_add_nc_u32_e32 v2, 16, v0
	s_delay_alu instid0(VALU_DEP_1) | instskip(NEXT) | instid1(VALU_DEP_1)
	v_cmp_le_i32_e64 s0, v2, v5
	s_and_b32 s1, vcc_lo, s0
	s_delay_alu instid0(SALU_CYCLE_1)
	s_and_saveexec_b32 s0, s1
	s_cbranch_execz .LBB161_7
; %bb.6:
	v_ashrrev_i32_e32 v3, 31, v2
	s_delay_alu instid0(VALU_DEP_1) | instskip(NEXT) | instid1(VALU_DEP_1)
	v_lshlrev_b64 v[14:15], 3, v[2:3]
	v_add_co_u32 v3, vcc_lo, v4, v14
	s_delay_alu instid0(VALU_DEP_2)
	v_add_co_ci_u32_e32 v4, vcc_lo, v10, v15, vcc_lo
	global_load_b64 v[10:11], v[3:4], off
	s_waitcnt vmcnt(0)
	v_dual_add_f32 v10, v13, v10 :: v_dual_add_f32 v11, v12, v11
	global_store_b64 v[3:4], v[10:11], off
.LBB161_7:
	s_or_b32 exec_lo, exec_lo, s0
	v_add_nc_u32_e32 v3, 16, v5
	s_delay_alu instid0(VALU_DEP_1) | instskip(SKIP_2) | instid1(VALU_DEP_1)
	v_mad_i64_i32 v[4:5], null, v3, s3, 0
	v_cmp_gt_i32_e32 vcc_lo, s2, v3
	v_cmp_le_i32_e64 s0, v0, v3
	s_and_b32 s0, vcc_lo, s0
	s_delay_alu instid0(VALU_DEP_3) | instskip(NEXT) | instid1(VALU_DEP_1)
	v_lshlrev_b64 v[4:5], 3, v[4:5]
	v_add_co_u32 v4, s1, s4, v4
	s_delay_alu instid0(VALU_DEP_1)
	v_add_co_ci_u32_e64 v5, s1, s5, v5, s1
	s_and_saveexec_b32 s1, s0
	s_cbranch_execz .LBB161_9
; %bb.8:
	v_ashrrev_i32_e32 v1, 31, v0
	s_delay_alu instid0(VALU_DEP_1) | instskip(NEXT) | instid1(VALU_DEP_1)
	v_lshlrev_b64 v[0:1], 3, v[0:1]
	v_add_co_u32 v0, s0, v4, v0
	s_delay_alu instid0(VALU_DEP_1)
	v_add_co_ci_u32_e64 v1, s0, v5, v1, s0
	global_load_b64 v[10:11], v[0:1], off
	s_waitcnt vmcnt(0)
	v_dual_add_f32 v9, v9, v10 :: v_dual_add_f32 v10, v8, v11
	global_store_b64 v[0:1], v[9:10], off
.LBB161_9:
	s_or_b32 exec_lo, exec_lo, s1
	v_cmp_le_i32_e64 s0, v2, v3
	s_delay_alu instid0(VALU_DEP_1) | instskip(NEXT) | instid1(SALU_CYCLE_1)
	s_and_b32 s0, vcc_lo, s0
	s_and_saveexec_b32 s1, s0
	s_cbranch_execz .LBB161_11
; %bb.10:
	v_ashrrev_i32_e32 v3, 31, v2
	s_delay_alu instid0(VALU_DEP_1) | instskip(NEXT) | instid1(VALU_DEP_1)
	v_lshlrev_b64 v[0:1], 3, v[2:3]
	v_add_co_u32 v0, vcc_lo, v4, v0
	s_delay_alu instid0(VALU_DEP_2)
	v_add_co_ci_u32_e32 v1, vcc_lo, v5, v1, vcc_lo
	global_load_b64 v[2:3], v[0:1], off
	s_waitcnt vmcnt(0)
	v_dual_add_f32 v2, v7, v2 :: v_dual_add_f32 v3, v6, v3
	global_store_b64 v[0:1], v[2:3], off
.LBB161_11:
	s_nop 0
	s_sendmsg sendmsg(MSG_DEALLOC_VGPRS)
	s_endpgm
	.section	.rodata,"a",@progbits
	.p2align	6, 0x0
	.amdhsa_kernel _ZL37rocblas_syrkx_herkx_restricted_kernelIi19rocblas_complex_numIfELi16ELi32ELi8ELi1ELi1ELb0ELc78ELc85EKS1_S1_EviT_PT9_S3_lS5_S3_lPT10_S3_li
		.amdhsa_group_segment_fixed_size 4096
		.amdhsa_private_segment_fixed_size 0
		.amdhsa_kernarg_size 84
		.amdhsa_user_sgpr_count 13
		.amdhsa_user_sgpr_dispatch_ptr 0
		.amdhsa_user_sgpr_queue_ptr 0
		.amdhsa_user_sgpr_kernarg_segment_ptr 1
		.amdhsa_user_sgpr_dispatch_id 0
		.amdhsa_user_sgpr_private_segment_size 0
		.amdhsa_wavefront_size32 1
		.amdhsa_uses_dynamic_stack 0
		.amdhsa_enable_private_segment 0
		.amdhsa_system_sgpr_workgroup_id_x 1
		.amdhsa_system_sgpr_workgroup_id_y 1
		.amdhsa_system_sgpr_workgroup_id_z 1
		.amdhsa_system_sgpr_workgroup_info 0
		.amdhsa_system_vgpr_workitem_id 1
		.amdhsa_next_free_vgpr 92
		.amdhsa_next_free_sgpr 23
		.amdhsa_reserve_vcc 1
		.amdhsa_float_round_mode_32 0
		.amdhsa_float_round_mode_16_64 0
		.amdhsa_float_denorm_mode_32 3
		.amdhsa_float_denorm_mode_16_64 3
		.amdhsa_dx10_clamp 1
		.amdhsa_ieee_mode 1
		.amdhsa_fp16_overflow 0
		.amdhsa_workgroup_processor_mode 1
		.amdhsa_memory_ordered 1
		.amdhsa_forward_progress 0
		.amdhsa_shared_vgpr_count 0
		.amdhsa_exception_fp_ieee_invalid_op 0
		.amdhsa_exception_fp_denorm_src 0
		.amdhsa_exception_fp_ieee_div_zero 0
		.amdhsa_exception_fp_ieee_overflow 0
		.amdhsa_exception_fp_ieee_underflow 0
		.amdhsa_exception_fp_ieee_inexact 0
		.amdhsa_exception_int_div_zero 0
	.end_amdhsa_kernel
	.section	.text._ZL37rocblas_syrkx_herkx_restricted_kernelIi19rocblas_complex_numIfELi16ELi32ELi8ELi1ELi1ELb0ELc78ELc85EKS1_S1_EviT_PT9_S3_lS5_S3_lPT10_S3_li,"axG",@progbits,_ZL37rocblas_syrkx_herkx_restricted_kernelIi19rocblas_complex_numIfELi16ELi32ELi8ELi1ELi1ELb0ELc78ELc85EKS1_S1_EviT_PT9_S3_lS5_S3_lPT10_S3_li,comdat
.Lfunc_end161:
	.size	_ZL37rocblas_syrkx_herkx_restricted_kernelIi19rocblas_complex_numIfELi16ELi32ELi8ELi1ELi1ELb0ELc78ELc85EKS1_S1_EviT_PT9_S3_lS5_S3_lPT10_S3_li, .Lfunc_end161-_ZL37rocblas_syrkx_herkx_restricted_kernelIi19rocblas_complex_numIfELi16ELi32ELi8ELi1ELi1ELb0ELc78ELc85EKS1_S1_EviT_PT9_S3_lS5_S3_lPT10_S3_li
                                        ; -- End function
	.section	.AMDGPU.csdata,"",@progbits
; Kernel info:
; codeLenInByte = 2148
; NumSgprs: 25
; NumVgprs: 92
; ScratchSize: 0
; MemoryBound: 0
; FloatMode: 240
; IeeeMode: 1
; LDSByteSize: 4096 bytes/workgroup (compile time only)
; SGPRBlocks: 3
; VGPRBlocks: 11
; NumSGPRsForWavesPerEU: 25
; NumVGPRsForWavesPerEU: 92
; Occupancy: 16
; WaveLimiterHint : 0
; COMPUTE_PGM_RSRC2:SCRATCH_EN: 0
; COMPUTE_PGM_RSRC2:USER_SGPR: 13
; COMPUTE_PGM_RSRC2:TRAP_HANDLER: 0
; COMPUTE_PGM_RSRC2:TGID_X_EN: 1
; COMPUTE_PGM_RSRC2:TGID_Y_EN: 1
; COMPUTE_PGM_RSRC2:TGID_Z_EN: 1
; COMPUTE_PGM_RSRC2:TIDIG_COMP_CNT: 1
	.section	.text._ZL37rocblas_syrkx_herkx_restricted_kernelIi19rocblas_complex_numIfELi16ELi32ELi8ELi1ELin1ELb0ELc84ELc76EKS1_S1_EviT_PT9_S3_lS5_S3_lPT10_S3_li,"axG",@progbits,_ZL37rocblas_syrkx_herkx_restricted_kernelIi19rocblas_complex_numIfELi16ELi32ELi8ELi1ELin1ELb0ELc84ELc76EKS1_S1_EviT_PT9_S3_lS5_S3_lPT10_S3_li,comdat
	.globl	_ZL37rocblas_syrkx_herkx_restricted_kernelIi19rocblas_complex_numIfELi16ELi32ELi8ELi1ELin1ELb0ELc84ELc76EKS1_S1_EviT_PT9_S3_lS5_S3_lPT10_S3_li ; -- Begin function _ZL37rocblas_syrkx_herkx_restricted_kernelIi19rocblas_complex_numIfELi16ELi32ELi8ELi1ELin1ELb0ELc84ELc76EKS1_S1_EviT_PT9_S3_lS5_S3_lPT10_S3_li
	.p2align	8
	.type	_ZL37rocblas_syrkx_herkx_restricted_kernelIi19rocblas_complex_numIfELi16ELi32ELi8ELi1ELin1ELb0ELc84ELc76EKS1_S1_EviT_PT9_S3_lS5_S3_lPT10_S3_li,@function
_ZL37rocblas_syrkx_herkx_restricted_kernelIi19rocblas_complex_numIfELi16ELi32ELi8ELi1ELin1ELb0ELc84ELc76EKS1_S1_EviT_PT9_S3_lS5_S3_lPT10_S3_li: ; @_ZL37rocblas_syrkx_herkx_restricted_kernelIi19rocblas_complex_numIfELi16ELi32ELi8ELi1ELin1ELb0ELc84ELc76EKS1_S1_EviT_PT9_S3_lS5_S3_lPT10_S3_li
; %bb.0:
	s_clause 0x1
	s_load_b64 s[2:3], s[0:1], 0x0
	s_load_b128 s[4:7], s[0:1], 0x30
	v_dual_mov_b32 v15, 0 :: v_dual_and_b32 v6, 0x3ff, v0
	v_bfe_u32 v7, v0, 10, 10
	v_dual_mov_b32 v16, 0 :: v_dual_mov_b32 v11, 0
	v_dual_mov_b32 v12, 0 :: v_dual_mov_b32 v9, 0
	;; [unrolled: 1-line block ×3, first 2 shown]
	v_mov_b32_e32 v0, 0
	s_lshl_b32 s12, s13, 5
	s_lshl_b32 s13, s14, 5
	s_mov_b32 s14, 0
	s_waitcnt lgkmcnt(0)
	s_cmp_lt_i32 s3, 1
	s_cbranch_scc1 .LBB162_3
; %bb.1:
	s_clause 0x3
	s_load_b32 s18, s[0:1], 0x10
	s_load_b128 s[8:11], s[0:1], 0x18
	s_load_b64 s[16:17], s[0:1], 0x8
	s_load_b32 s19, s[0:1], 0x28
	v_lshl_add_u32 v2, v7, 4, v6
	v_dual_mov_b32 v1, 0 :: v_dual_and_b32 v0, 7, v6
	v_lshlrev_b32_e32 v10, 3, v6
	s_mul_i32 s5, s5, s15
	s_delay_alu instid0(VALU_DEP_3)
	v_lshrrev_b32_e32 v4, 3, v2
	v_and_b32_e32 v5, 31, v2
	v_lshlrev_b32_e32 v3, 3, v0
	v_lshrrev_b32_e32 v2, 5, v2
	v_lshl_add_u32 v17, v7, 6, 0x800
	v_add_nc_u32_e32 v12, s13, v4
	v_add_nc_u32_e32 v11, s12, v5
	v_lshl_or_b32 v9, v4, 6, v3
	v_dual_mov_b32 v3, v1 :: v_dual_lshlrev_b32 v8, 3, v5
	v_mov_b32_e32 v16, v1
	s_delay_alu instid0(VALU_DEP_3) | instskip(SKIP_1) | instid1(VALU_DEP_3)
	v_dual_mov_b32 v15, v1 :: v_dual_add_nc_u32 v14, 0x800, v9
	s_waitcnt lgkmcnt(0)
	v_mad_i64_i32 v[4:5], null, s18, v11, v[2:3]
	s_mul_i32 s9, s9, s15
	s_mul_hi_u32 s18, s8, s15
	v_mov_b32_e32 v9, v1
	v_lshl_or_b32 v13, v2, 8, v8
	v_mov_b32_e32 v11, v1
	v_mad_i64_i32 v[2:3], null, s19, v12, v[0:1]
	s_mul_i32 s8, s8, s15
	s_add_i32 s9, s18, s9
	v_lshlrev_b64 v[4:5], 3, v[4:5]
	s_lshl_b64 s[8:9], s[8:9], 3
	v_mov_b32_e32 v12, v1
	s_add_u32 s8, s16, s8
	s_mul_hi_u32 s16, s4, s15
	s_addc_u32 s9, s17, s9
	s_add_i32 s5, s16, s5
	s_mul_i32 s4, s4, s15
	v_lshlrev_b64 v[2:3], 3, v[2:3]
	s_lshl_b64 s[4:5], s[4:5], 3
	v_add_co_u32 v0, vcc_lo, s8, v4
	s_add_u32 s4, s10, s4
	v_add_co_ci_u32_e32 v4, vcc_lo, s9, v5, vcc_lo
	s_addc_u32 s5, s11, s5
	v_add_co_u32 v5, vcc_lo, s4, v2
	v_add_co_ci_u32_e32 v8, vcc_lo, s5, v3, vcc_lo
	v_add_co_u32 v2, vcc_lo, v0, 4
	v_add_co_ci_u32_e32 v3, vcc_lo, 0, v4, vcc_lo
	s_delay_alu instid0(VALU_DEP_4) | instskip(NEXT) | instid1(VALU_DEP_4)
	v_add_co_u32 v4, vcc_lo, v5, 4
	v_add_co_ci_u32_e32 v5, vcc_lo, 0, v8, vcc_lo
	v_mov_b32_e32 v0, v1
	v_mov_b32_e32 v8, v1
.LBB162_2:                              ; =>This Inner Loop Header: Depth=1
	global_load_b64 v[18:19], v[2:3], off offset:-4
	global_load_b64 v[20:21], v[4:5], off offset:-4
	v_add_co_u32 v2, vcc_lo, v2, 64
	v_add_co_ci_u32_e32 v3, vcc_lo, 0, v3, vcc_lo
	v_add_co_u32 v4, vcc_lo, v4, 64
	v_add_co_ci_u32_e32 v5, vcc_lo, 0, v5, vcc_lo
	s_add_i32 s14, s14, 8
	s_waitcnt vmcnt(1)
	ds_store_b64 v13, v[18:19]
	s_waitcnt vmcnt(0)
	ds_store_b64 v14, v[20:21]
	s_waitcnt lgkmcnt(0)
	s_barrier
	buffer_gl0_inv
	ds_load_2addr_b64 v[18:21], v10 offset1:16
	ds_load_b128 v[22:25], v17
	ds_load_b128 v[26:29], v17 offset:1024
	ds_load_b128 v[30:33], v17 offset:16
	ds_load_2addr_b64 v[34:37], v10 offset0:32 offset1:48
	ds_load_b128 v[38:41], v17 offset:32
	ds_load_b128 v[42:45], v17 offset:48
	ds_load_2addr_b64 v[46:49], v10 offset0:64 offset1:80
	ds_load_b128 v[50:53], v17 offset:1040
	ds_load_2addr_b64 v[54:57], v10 offset0:96 offset1:112
	ds_load_2addr_b64 v[58:61], v10 offset0:128 offset1:144
	;; [unrolled: 1-line block ×4, first 2 shown]
	ds_load_b128 v[70:73], v17 offset:1056
	ds_load_b128 v[74:77], v17 offset:1072
	ds_load_2addr_b64 v[78:81], v10 offset0:224 offset1:240
	s_cmp_ge_i32 s14, s3
	s_waitcnt lgkmcnt(0)
	s_barrier
	buffer_gl0_inv
	v_dual_mul_f32 v82, v23, v19 :: v_dual_mul_f32 v85, v22, v21
	v_dual_mul_f32 v83, v22, v19 :: v_dual_mul_f32 v84, v23, v21
	v_mul_f32_e32 v86, v27, v19
	v_dual_mul_f32 v19, v26, v19 :: v_dual_mul_f32 v90, v25, v37
	v_dual_mul_f32 v87, v27, v21 :: v_dual_mul_f32 v88, v25, v35
	v_mul_f32_e32 v21, v26, v21
	v_fma_f32 v82, v22, v18, -v82
	v_fmac_f32_e32 v83, v23, v18
	v_fma_f32 v22, v22, v20, -v84
	v_fmac_f32_e32 v85, v23, v20
	v_fma_f32 v23, v26, v18, -v86
	v_dual_fmac_f32 v19, v27, v18 :: v_dual_mul_f32 v86, v30, v47
	v_fma_f32 v18, v26, v20, -v87
	v_dual_fmac_f32 v21, v27, v20 :: v_dual_mul_f32 v20, v24, v37
	v_mul_f32_e32 v89, v24, v35
	v_mul_f32_e32 v26, v29, v35
	;; [unrolled: 1-line block ×4, first 2 shown]
	v_fmac_f32_e32 v20, v25, v36
	v_fmac_f32_e32 v89, v25, v34
	v_dual_mul_f32 v25, v28, v37 :: v_dual_fmac_f32 v86, v31, v46
	v_fma_f32 v84, v24, v34, -v88
	v_fma_f32 v24, v24, v36, -v90
	v_dual_mul_f32 v37, v31, v47 :: v_dual_mul_f32 v90, v33, v57
	v_fma_f32 v26, v28, v34, -v26
	v_fma_f32 v28, v28, v36, -v35
	v_fmac_f32_e32 v25, v29, v36
	v_dual_mul_f32 v35, v50, v47 :: v_dual_mul_f32 v36, v51, v49
	v_dual_fmac_f32 v27, v29, v34 :: v_dual_mul_f32 v34, v51, v47
	v_dual_mul_f32 v88, v32, v55 :: v_dual_mul_f32 v29, v30, v49
	v_mul_f32_e32 v87, v31, v49
	v_fma_f32 v37, v30, v46, -v37
	v_add_f32_e32 v16, v16, v83
	s_delay_alu instid0(VALU_DEP_4)
	v_dual_fmac_f32 v88, v33, v54 :: v_dual_fmac_f32 v29, v31, v48
	v_fma_f32 v31, v50, v46, -v34
	v_fma_f32 v34, v50, v48, -v36
	v_mul_f32_e32 v36, v32, v57
	v_mul_f32_e32 v47, v50, v49
	v_dual_mul_f32 v50, v53, v57 :: v_dual_fmac_f32 v35, v51, v46
	v_mul_f32_e32 v46, v53, v55
	v_mul_f32_e32 v49, v33, v55
	v_fma_f32 v30, v30, v48, -v87
	v_fmac_f32_e32 v36, v33, v56
	v_dual_fmac_f32 v47, v51, v48 :: v_dual_mul_f32 v48, v52, v55
	v_mul_f32_e32 v33, v52, v57
	v_fma_f32 v46, v52, v54, -v46
	v_fma_f32 v50, v52, v56, -v50
	v_mul_f32_e32 v52, v38, v61
	v_fma_f32 v49, v32, v54, -v49
	v_fma_f32 v32, v32, v56, -v90
	v_dual_mul_f32 v51, v39, v59 :: v_dual_fmac_f32 v48, v53, v54
	v_mul_f32_e32 v54, v70, v59
	v_dual_mul_f32 v55, v38, v59 :: v_dual_fmac_f32 v52, v39, v60
	v_fmac_f32_e32 v33, v53, v56
	v_mul_f32_e32 v53, v71, v59
	v_mul_f32_e32 v56, v71, v61
	;; [unrolled: 1-line block ×3, first 2 shown]
	v_fmac_f32_e32 v54, v71, v58
	v_fmac_f32_e32 v55, v39, v58
	v_fma_f32 v39, v70, v58, -v53
	v_fma_f32 v53, v70, v60, -v56
	v_mul_f32_e32 v56, v40, v65
	v_mul_f32_e32 v59, v70, v61
	v_fma_f32 v51, v38, v58, -v51
	v_mul_f32_e32 v58, v72, v63
	v_mul_f32_e32 v87, v40, v63
	v_mul_f32_e32 v61, v41, v63
	v_mul_f32_e32 v90, v41, v65
	v_fma_f32 v38, v38, v60, -v57
	v_mul_f32_e32 v57, v73, v63
	v_fmac_f32_e32 v56, v41, v64
	v_dual_fmac_f32 v59, v71, v60 :: v_dual_mul_f32 v60, v73, v65
	v_mul_f32_e32 v63, v43, v67
	v_mul_f32_e32 v70, v43, v69
	v_fmac_f32_e32 v58, v73, v62
	v_fmac_f32_e32 v87, v41, v62
	v_mul_f32_e32 v41, v72, v65
	v_fma_f32 v61, v40, v62, -v61
	v_fma_f32 v40, v40, v64, -v90
	v_mul_f32_e32 v65, v42, v67
	v_fma_f32 v57, v72, v62, -v57
	v_fma_f32 v60, v72, v64, -v60
	v_dual_fmac_f32 v41, v73, v64 :: v_dual_mul_f32 v62, v42, v69
	v_mul_f32_e32 v64, v75, v67
	v_fma_f32 v63, v42, v66, -v63
	v_fma_f32 v42, v42, v68, -v70
	v_mul_f32_e32 v70, v76, v79
	v_mul_f32_e32 v67, v74, v67
	v_mul_f32_e32 v71, v75, v69
	v_dual_mul_f32 v69, v74, v69 :: v_dual_add_f32 v12, v12, v22
	v_mul_f32_e32 v73, v44, v79
	v_dual_fmac_f32 v65, v43, v66 :: v_dual_add_f32 v8, v8, v19
	v_fmac_f32_e32 v62, v43, v68
	v_fma_f32 v43, v74, v66, -v64
	v_fmac_f32_e32 v70, v77, v78
	v_dual_fmac_f32 v67, v75, v66 :: v_dual_add_f32 v16, v16, v89
	v_mul_f32_e32 v66, v44, v81
	v_mul_f32_e32 v72, v45, v79
	v_dual_mul_f32 v90, v45, v81 :: v_dual_fmac_f32 v69, v75, v68
	v_add_f32_e32 v0, v0, v18
	v_dual_fmac_f32 v73, v45, v78 :: v_dual_add_f32 v8, v8, v27
	v_dual_fmac_f32 v66, v45, v80 :: v_dual_mul_f32 v45, v76, v81
	v_fma_f32 v64, v74, v68, -v71
	v_dual_mul_f32 v71, v77, v81 :: v_dual_add_f32 v12, v12, v24
	v_dual_add_f32 v15, v15, v82 :: v_dual_add_f32 v0, v0, v28
	s_delay_alu instid0(VALU_DEP_4) | instskip(NEXT) | instid1(VALU_DEP_3)
	v_dual_fmac_f32 v45, v77, v80 :: v_dual_add_f32 v16, v16, v86
	v_dual_add_f32 v11, v11, v85 :: v_dual_add_f32 v12, v12, v30
	s_delay_alu instid0(VALU_DEP_3) | instskip(SKIP_2) | instid1(VALU_DEP_3)
	v_dual_add_f32 v9, v9, v23 :: v_dual_add_f32 v0, v0, v34
	v_dual_add_f32 v1, v1, v21 :: v_dual_add_f32 v8, v8, v35
	v_add_f32_e32 v15, v15, v84
	v_dual_add_f32 v9, v9, v26 :: v_dual_add_f32 v16, v16, v88
	v_add_f32_e32 v11, v11, v20
	s_delay_alu instid0(VALU_DEP_4) | instskip(NEXT) | instid1(VALU_DEP_3)
	v_dual_add_f32 v1, v1, v25 :: v_dual_add_f32 v12, v12, v32
	v_dual_add_f32 v8, v8, v48 :: v_dual_add_f32 v9, v9, v31
	;; [unrolled: 1-line block ×3, first 2 shown]
	s_delay_alu instid0(VALU_DEP_3) | instskip(SKIP_1) | instid1(VALU_DEP_3)
	v_add_f32_e32 v1, v1, v47
	v_dual_add_f32 v16, v16, v55 :: v_dual_add_f32 v11, v11, v29
	v_dual_add_f32 v12, v12, v38 :: v_dual_add_f32 v15, v15, v49
	v_add_f32_e32 v8, v8, v54
	s_delay_alu instid0(VALU_DEP_3) | instskip(NEXT) | instid1(VALU_DEP_3)
	v_dual_add_f32 v16, v16, v87 :: v_dual_add_f32 v11, v11, v36
	v_dual_add_f32 v9, v9, v46 :: v_dual_add_f32 v12, v12, v40
	v_add_f32_e32 v0, v0, v53
	v_add_f32_e32 v1, v1, v33
	s_delay_alu instid0(VALU_DEP_4) | instskip(SKIP_3) | instid1(VALU_DEP_4)
	v_dual_add_f32 v15, v15, v51 :: v_dual_add_f32 v16, v16, v65
	v_dual_add_f32 v8, v8, v58 :: v_dual_add_f32 v11, v11, v52
	v_add_f32_e32 v12, v12, v42
	v_dual_add_f32 v0, v0, v60 :: v_dual_add_f32 v9, v9, v39
	v_dual_add_f32 v1, v1, v59 :: v_dual_add_f32 v16, v16, v73
	v_mul_f32_e32 v68, v77, v79
	v_fma_f32 v72, v44, v78, -v72
	v_fma_f32 v44, v44, v80, -v90
	;; [unrolled: 1-line block ×3, first 2 shown]
	v_dual_add_f32 v15, v15, v61 :: v_dual_add_f32 v8, v8, v67
	v_add_f32_e32 v11, v11, v56
	v_dual_add_f32 v0, v0, v64 :: v_dual_add_f32 v9, v9, v57
	v_dual_add_f32 v12, v12, v44 :: v_dual_add_f32 v1, v1, v41
	v_fma_f32 v68, v76, v78, -v68
	s_delay_alu instid0(VALU_DEP_3) | instskip(SKIP_4) | instid1(VALU_DEP_4)
	v_add_f32_e32 v0, v0, v71
	v_add_f32_e32 v15, v15, v63
	;; [unrolled: 1-line block ×3, first 2 shown]
	v_dual_add_f32 v1, v1, v69 :: v_dual_add_f32 v8, v8, v70
	v_add_f32_e32 v11, v11, v62
	v_add_f32_e32 v15, v15, v72
	s_delay_alu instid0(VALU_DEP_4) | instskip(NEXT) | instid1(VALU_DEP_4)
	v_add_f32_e32 v9, v9, v68
	v_add_f32_e32 v1, v1, v45
	s_delay_alu instid0(VALU_DEP_4)
	v_add_f32_e32 v11, v11, v66
	s_cbranch_scc0 .LBB162_2
.LBB162_3:
	s_clause 0x1
	s_load_b32 s3, s[0:1], 0x40
	s_load_b64 s[4:5], s[0:1], 0x48
	v_add_nc_u32_e32 v7, s13, v7
	v_add_nc_u32_e32 v2, s12, v6
	s_delay_alu instid0(VALU_DEP_1)
	v_cmp_le_i32_e64 s0, v7, v2
	v_cmp_gt_i32_e32 vcc_lo, s2, v2
	s_waitcnt lgkmcnt(0)
	v_mad_i64_i32 v[3:4], null, v7, s3, 0
	s_mul_i32 s1, s15, s5
	s_mul_hi_u32 s5, s15, s4
	s_mul_i32 s4, s15, s4
	s_add_i32 s5, s5, s1
	s_delay_alu instid0(SALU_CYCLE_1) | instskip(NEXT) | instid1(VALU_DEP_1)
	s_lshl_b64 s[4:5], s[4:5], 3
	v_lshlrev_b64 v[3:4], 3, v[3:4]
	s_add_u32 s4, s6, s4
	s_addc_u32 s5, s7, s5
	s_and_b32 s0, s0, vcc_lo
	s_delay_alu instid0(VALU_DEP_1) | instskip(NEXT) | instid1(VALU_DEP_1)
	v_add_co_u32 v6, s1, s4, v3
	v_add_co_ci_u32_e64 v10, s1, s5, v4, s1
	s_and_saveexec_b32 s1, s0
	s_cbranch_execz .LBB162_5
; %bb.4:
	v_ashrrev_i32_e32 v3, 31, v2
	s_delay_alu instid0(VALU_DEP_1) | instskip(NEXT) | instid1(VALU_DEP_1)
	v_lshlrev_b64 v[3:4], 3, v[2:3]
	v_add_co_u32 v3, s0, v6, v3
	s_delay_alu instid0(VALU_DEP_1)
	v_add_co_ci_u32_e64 v4, s0, v10, v4, s0
	global_load_b64 v[13:14], v[3:4], off
	s_waitcnt vmcnt(0)
	v_dual_sub_f32 v13, v15, v13 :: v_dual_sub_f32 v14, v16, v14
	global_store_b64 v[3:4], v[13:14], off
.LBB162_5:
	s_or_b32 exec_lo, exec_lo, s1
	v_add_nc_u32_e32 v4, 16, v2
	s_delay_alu instid0(VALU_DEP_1) | instskip(SKIP_1) | instid1(VALU_DEP_1)
	v_cmp_le_i32_e64 s1, v7, v4
	v_cmp_gt_i32_e64 s0, s2, v4
	s_and_b32 s1, s1, s0
	s_delay_alu instid0(SALU_CYCLE_1)
	s_and_saveexec_b32 s2, s1
	s_cbranch_execz .LBB162_7
; %bb.6:
	v_ashrrev_i32_e32 v5, 31, v4
	s_delay_alu instid0(VALU_DEP_1) | instskip(NEXT) | instid1(VALU_DEP_1)
	v_lshlrev_b64 v[13:14], 3, v[4:5]
	v_add_co_u32 v5, s1, v6, v13
	s_delay_alu instid0(VALU_DEP_1)
	v_add_co_ci_u32_e64 v6, s1, v10, v14, s1
	global_load_b64 v[13:14], v[5:6], off
	s_waitcnt vmcnt(0)
	v_dual_sub_f32 v10, v12, v13 :: v_dual_sub_f32 v11, v11, v14
	global_store_b64 v[5:6], v[10:11], off
.LBB162_7:
	s_or_b32 exec_lo, exec_lo, s2
	v_add_nc_u32_e32 v5, 16, v7
	s_delay_alu instid0(VALU_DEP_1) | instskip(SKIP_1) | instid1(VALU_DEP_2)
	v_mad_i64_i32 v[6:7], null, v5, s3, 0
	v_cmp_le_i32_e64 s1, v5, v2
	v_lshlrev_b64 v[6:7], 3, v[6:7]
	s_delay_alu instid0(VALU_DEP_1) | instskip(NEXT) | instid1(VALU_DEP_1)
	v_add_co_u32 v6, s2, s4, v6
	v_add_co_ci_u32_e64 v7, s2, s5, v7, s2
	s_delay_alu instid0(VALU_DEP_4) | instskip(NEXT) | instid1(SALU_CYCLE_1)
	s_and_b32 s2, s1, vcc_lo
	s_and_saveexec_b32 s1, s2
	s_cbranch_execz .LBB162_9
; %bb.8:
	v_ashrrev_i32_e32 v3, 31, v2
	s_delay_alu instid0(VALU_DEP_1) | instskip(NEXT) | instid1(VALU_DEP_1)
	v_lshlrev_b64 v[2:3], 3, v[2:3]
	v_add_co_u32 v2, vcc_lo, v6, v2
	s_delay_alu instid0(VALU_DEP_2)
	v_add_co_ci_u32_e32 v3, vcc_lo, v7, v3, vcc_lo
	global_load_b64 v[10:11], v[2:3], off
	s_waitcnt vmcnt(0)
	v_dual_sub_f32 v9, v9, v10 :: v_dual_sub_f32 v10, v8, v11
	global_store_b64 v[2:3], v[9:10], off
.LBB162_9:
	s_or_b32 exec_lo, exec_lo, s1
	v_cmp_le_i32_e32 vcc_lo, v5, v4
	s_and_b32 s0, vcc_lo, s0
	s_delay_alu instid0(SALU_CYCLE_1)
	s_and_saveexec_b32 s1, s0
	s_cbranch_execz .LBB162_11
; %bb.10:
	v_ashrrev_i32_e32 v5, 31, v4
	s_delay_alu instid0(VALU_DEP_1) | instskip(NEXT) | instid1(VALU_DEP_1)
	v_lshlrev_b64 v[2:3], 3, v[4:5]
	v_add_co_u32 v2, vcc_lo, v6, v2
	s_delay_alu instid0(VALU_DEP_2)
	v_add_co_ci_u32_e32 v3, vcc_lo, v7, v3, vcc_lo
	global_load_b64 v[4:5], v[2:3], off
	s_waitcnt vmcnt(0)
	v_dual_sub_f32 v0, v0, v4 :: v_dual_sub_f32 v1, v1, v5
	global_store_b64 v[2:3], v[0:1], off
.LBB162_11:
	s_nop 0
	s_sendmsg sendmsg(MSG_DEALLOC_VGPRS)
	s_endpgm
	.section	.rodata,"a",@progbits
	.p2align	6, 0x0
	.amdhsa_kernel _ZL37rocblas_syrkx_herkx_restricted_kernelIi19rocblas_complex_numIfELi16ELi32ELi8ELi1ELin1ELb0ELc84ELc76EKS1_S1_EviT_PT9_S3_lS5_S3_lPT10_S3_li
		.amdhsa_group_segment_fixed_size 4096
		.amdhsa_private_segment_fixed_size 0
		.amdhsa_kernarg_size 84
		.amdhsa_user_sgpr_count 13
		.amdhsa_user_sgpr_dispatch_ptr 0
		.amdhsa_user_sgpr_queue_ptr 0
		.amdhsa_user_sgpr_kernarg_segment_ptr 1
		.amdhsa_user_sgpr_dispatch_id 0
		.amdhsa_user_sgpr_private_segment_size 0
		.amdhsa_wavefront_size32 1
		.amdhsa_uses_dynamic_stack 0
		.amdhsa_enable_private_segment 0
		.amdhsa_system_sgpr_workgroup_id_x 1
		.amdhsa_system_sgpr_workgroup_id_y 1
		.amdhsa_system_sgpr_workgroup_id_z 1
		.amdhsa_system_sgpr_workgroup_info 0
		.amdhsa_system_vgpr_workitem_id 1
		.amdhsa_next_free_vgpr 91
		.amdhsa_next_free_sgpr 20
		.amdhsa_reserve_vcc 1
		.amdhsa_float_round_mode_32 0
		.amdhsa_float_round_mode_16_64 0
		.amdhsa_float_denorm_mode_32 3
		.amdhsa_float_denorm_mode_16_64 3
		.amdhsa_dx10_clamp 1
		.amdhsa_ieee_mode 1
		.amdhsa_fp16_overflow 0
		.amdhsa_workgroup_processor_mode 1
		.amdhsa_memory_ordered 1
		.amdhsa_forward_progress 0
		.amdhsa_shared_vgpr_count 0
		.amdhsa_exception_fp_ieee_invalid_op 0
		.amdhsa_exception_fp_denorm_src 0
		.amdhsa_exception_fp_ieee_div_zero 0
		.amdhsa_exception_fp_ieee_overflow 0
		.amdhsa_exception_fp_ieee_underflow 0
		.amdhsa_exception_fp_ieee_inexact 0
		.amdhsa_exception_int_div_zero 0
	.end_amdhsa_kernel
	.section	.text._ZL37rocblas_syrkx_herkx_restricted_kernelIi19rocblas_complex_numIfELi16ELi32ELi8ELi1ELin1ELb0ELc84ELc76EKS1_S1_EviT_PT9_S3_lS5_S3_lPT10_S3_li,"axG",@progbits,_ZL37rocblas_syrkx_herkx_restricted_kernelIi19rocblas_complex_numIfELi16ELi32ELi8ELi1ELin1ELb0ELc84ELc76EKS1_S1_EviT_PT9_S3_lS5_S3_lPT10_S3_li,comdat
.Lfunc_end162:
	.size	_ZL37rocblas_syrkx_herkx_restricted_kernelIi19rocblas_complex_numIfELi16ELi32ELi8ELi1ELin1ELb0ELc84ELc76EKS1_S1_EviT_PT9_S3_lS5_S3_lPT10_S3_li, .Lfunc_end162-_ZL37rocblas_syrkx_herkx_restricted_kernelIi19rocblas_complex_numIfELi16ELi32ELi8ELi1ELin1ELb0ELc84ELc76EKS1_S1_EviT_PT9_S3_lS5_S3_lPT10_S3_li
                                        ; -- End function
	.section	.AMDGPU.csdata,"",@progbits
; Kernel info:
; codeLenInByte = 2096
; NumSgprs: 22
; NumVgprs: 91
; ScratchSize: 0
; MemoryBound: 0
; FloatMode: 240
; IeeeMode: 1
; LDSByteSize: 4096 bytes/workgroup (compile time only)
; SGPRBlocks: 2
; VGPRBlocks: 11
; NumSGPRsForWavesPerEU: 22
; NumVGPRsForWavesPerEU: 91
; Occupancy: 16
; WaveLimiterHint : 0
; COMPUTE_PGM_RSRC2:SCRATCH_EN: 0
; COMPUTE_PGM_RSRC2:USER_SGPR: 13
; COMPUTE_PGM_RSRC2:TRAP_HANDLER: 0
; COMPUTE_PGM_RSRC2:TGID_X_EN: 1
; COMPUTE_PGM_RSRC2:TGID_Y_EN: 1
; COMPUTE_PGM_RSRC2:TGID_Z_EN: 1
; COMPUTE_PGM_RSRC2:TIDIG_COMP_CNT: 1
	.section	.text._ZL37rocblas_syrkx_herkx_restricted_kernelIi19rocblas_complex_numIfELi16ELi32ELi8ELi1ELin1ELb0ELc67ELc76EKS1_S1_EviT_PT9_S3_lS5_S3_lPT10_S3_li,"axG",@progbits,_ZL37rocblas_syrkx_herkx_restricted_kernelIi19rocblas_complex_numIfELi16ELi32ELi8ELi1ELin1ELb0ELc67ELc76EKS1_S1_EviT_PT9_S3_lS5_S3_lPT10_S3_li,comdat
	.globl	_ZL37rocblas_syrkx_herkx_restricted_kernelIi19rocblas_complex_numIfELi16ELi32ELi8ELi1ELin1ELb0ELc67ELc76EKS1_S1_EviT_PT9_S3_lS5_S3_lPT10_S3_li ; -- Begin function _ZL37rocblas_syrkx_herkx_restricted_kernelIi19rocblas_complex_numIfELi16ELi32ELi8ELi1ELin1ELb0ELc67ELc76EKS1_S1_EviT_PT9_S3_lS5_S3_lPT10_S3_li
	.p2align	8
	.type	_ZL37rocblas_syrkx_herkx_restricted_kernelIi19rocblas_complex_numIfELi16ELi32ELi8ELi1ELin1ELb0ELc67ELc76EKS1_S1_EviT_PT9_S3_lS5_S3_lPT10_S3_li,@function
_ZL37rocblas_syrkx_herkx_restricted_kernelIi19rocblas_complex_numIfELi16ELi32ELi8ELi1ELin1ELb0ELc67ELc76EKS1_S1_EviT_PT9_S3_lS5_S3_lPT10_S3_li: ; @_ZL37rocblas_syrkx_herkx_restricted_kernelIi19rocblas_complex_numIfELi16ELi32ELi8ELi1ELin1ELb0ELc67ELc76EKS1_S1_EviT_PT9_S3_lS5_S3_lPT10_S3_li
; %bb.0:
	s_clause 0x1
	s_load_b64 s[2:3], s[0:1], 0x0
	s_load_b128 s[4:7], s[0:1], 0x30
	v_dual_mov_b32 v15, 0 :: v_dual_and_b32 v6, 0x3ff, v0
	v_bfe_u32 v7, v0, 10, 10
	v_dual_mov_b32 v16, 0 :: v_dual_mov_b32 v11, 0
	v_dual_mov_b32 v12, 0 :: v_dual_mov_b32 v9, 0
	;; [unrolled: 1-line block ×3, first 2 shown]
	v_mov_b32_e32 v0, 0
	s_lshl_b32 s12, s13, 5
	s_lshl_b32 s13, s14, 5
	s_mov_b32 s14, 0
	s_waitcnt lgkmcnt(0)
	s_cmp_lt_i32 s3, 1
	s_cbranch_scc1 .LBB163_3
; %bb.1:
	s_clause 0x3
	s_load_b32 s18, s[0:1], 0x10
	s_load_b128 s[8:11], s[0:1], 0x18
	s_load_b64 s[16:17], s[0:1], 0x8
	s_load_b32 s19, s[0:1], 0x28
	v_lshl_add_u32 v2, v7, 4, v6
	v_dual_mov_b32 v1, 0 :: v_dual_and_b32 v0, 7, v6
	v_lshlrev_b32_e32 v10, 3, v6
	s_mul_i32 s5, s5, s15
	s_delay_alu instid0(VALU_DEP_3)
	v_lshrrev_b32_e32 v4, 3, v2
	v_and_b32_e32 v5, 31, v2
	v_lshlrev_b32_e32 v3, 3, v0
	v_lshrrev_b32_e32 v2, 5, v2
	v_lshl_add_u32 v17, v7, 6, 0x800
	v_add_nc_u32_e32 v12, s13, v4
	v_add_nc_u32_e32 v11, s12, v5
	v_lshl_or_b32 v9, v4, 6, v3
	v_dual_mov_b32 v3, v1 :: v_dual_lshlrev_b32 v8, 3, v5
	v_mov_b32_e32 v16, v1
	s_delay_alu instid0(VALU_DEP_3) | instskip(SKIP_1) | instid1(VALU_DEP_3)
	v_dual_mov_b32 v15, v1 :: v_dual_add_nc_u32 v14, 0x800, v9
	s_waitcnt lgkmcnt(0)
	v_mad_i64_i32 v[4:5], null, s18, v11, v[2:3]
	s_mul_i32 s9, s9, s15
	s_mul_hi_u32 s18, s8, s15
	v_mov_b32_e32 v9, v1
	v_lshl_or_b32 v13, v2, 8, v8
	v_mov_b32_e32 v11, v1
	v_mad_i64_i32 v[2:3], null, s19, v12, v[0:1]
	s_mul_i32 s8, s8, s15
	s_add_i32 s9, s18, s9
	v_lshlrev_b64 v[4:5], 3, v[4:5]
	s_lshl_b64 s[8:9], s[8:9], 3
	v_mov_b32_e32 v12, v1
	s_add_u32 s8, s16, s8
	s_mul_hi_u32 s16, s4, s15
	s_addc_u32 s9, s17, s9
	s_add_i32 s5, s16, s5
	s_mul_i32 s4, s4, s15
	v_lshlrev_b64 v[2:3], 3, v[2:3]
	s_lshl_b64 s[4:5], s[4:5], 3
	v_add_co_u32 v0, vcc_lo, s8, v4
	s_add_u32 s4, s10, s4
	v_add_co_ci_u32_e32 v4, vcc_lo, s9, v5, vcc_lo
	s_addc_u32 s5, s11, s5
	v_add_co_u32 v5, vcc_lo, s4, v2
	v_add_co_ci_u32_e32 v8, vcc_lo, s5, v3, vcc_lo
	v_add_co_u32 v2, vcc_lo, v0, 4
	v_add_co_ci_u32_e32 v3, vcc_lo, 0, v4, vcc_lo
	s_delay_alu instid0(VALU_DEP_4) | instskip(NEXT) | instid1(VALU_DEP_4)
	v_add_co_u32 v4, vcc_lo, v5, 4
	v_add_co_ci_u32_e32 v5, vcc_lo, 0, v8, vcc_lo
	v_mov_b32_e32 v0, v1
	v_mov_b32_e32 v8, v1
.LBB163_2:                              ; =>This Inner Loop Header: Depth=1
	global_load_b64 v[18:19], v[2:3], off offset:-4
	global_load_b64 v[20:21], v[4:5], off offset:-4
	v_add_co_u32 v2, vcc_lo, v2, 64
	v_add_co_ci_u32_e32 v3, vcc_lo, 0, v3, vcc_lo
	v_add_co_u32 v4, vcc_lo, v4, 64
	v_add_co_ci_u32_e32 v5, vcc_lo, 0, v5, vcc_lo
	s_add_i32 s14, s14, 8
	s_waitcnt vmcnt(1)
	ds_store_b64 v13, v[18:19]
	s_waitcnt vmcnt(0)
	ds_store_b64 v14, v[20:21]
	s_waitcnt lgkmcnt(0)
	s_barrier
	buffer_gl0_inv
	ds_load_2addr_b64 v[18:21], v10 offset1:16
	ds_load_b128 v[22:25], v17
	ds_load_b128 v[26:29], v17 offset:1024
	ds_load_b128 v[30:33], v17 offset:16
	ds_load_2addr_b64 v[34:37], v10 offset0:32 offset1:48
	ds_load_b128 v[38:41], v17 offset:32
	ds_load_b128 v[42:45], v17 offset:48
	ds_load_2addr_b64 v[46:49], v10 offset0:64 offset1:80
	ds_load_b128 v[50:53], v17 offset:1040
	ds_load_2addr_b64 v[54:57], v10 offset0:96 offset1:112
	ds_load_2addr_b64 v[58:61], v10 offset0:128 offset1:144
	;; [unrolled: 1-line block ×4, first 2 shown]
	ds_load_b128 v[70:73], v17 offset:1056
	ds_load_b128 v[74:77], v17 offset:1072
	ds_load_2addr_b64 v[78:81], v10 offset0:224 offset1:240
	s_cmp_ge_i32 s14, s3
	s_waitcnt lgkmcnt(0)
	s_barrier
	buffer_gl0_inv
	v_dual_mul_f32 v82, v23, v19 :: v_dual_mul_f32 v85, v22, v21
	v_dual_mul_f32 v83, v22, v19 :: v_dual_mul_f32 v84, v23, v21
	v_mul_f32_e32 v86, v27, v19
	v_dual_mul_f32 v19, v26, v19 :: v_dual_mul_f32 v90, v25, v37
	v_dual_mul_f32 v87, v27, v21 :: v_dual_mul_f32 v88, v25, v35
	v_mul_f32_e32 v21, v26, v21
	v_fma_f32 v82, v22, v18, -v82
	v_fmac_f32_e32 v83, v23, v18
	v_fma_f32 v22, v22, v20, -v84
	v_fmac_f32_e32 v85, v23, v20
	v_fma_f32 v23, v26, v18, -v86
	v_dual_fmac_f32 v19, v27, v18 :: v_dual_mul_f32 v86, v30, v47
	v_fma_f32 v18, v26, v20, -v87
	v_dual_fmac_f32 v21, v27, v20 :: v_dual_mul_f32 v20, v24, v37
	v_mul_f32_e32 v89, v24, v35
	v_mul_f32_e32 v26, v29, v35
	;; [unrolled: 1-line block ×4, first 2 shown]
	v_fmac_f32_e32 v20, v25, v36
	v_fmac_f32_e32 v89, v25, v34
	v_dual_mul_f32 v25, v28, v37 :: v_dual_fmac_f32 v86, v31, v46
	v_fma_f32 v84, v24, v34, -v88
	v_fma_f32 v24, v24, v36, -v90
	v_dual_mul_f32 v37, v31, v47 :: v_dual_mul_f32 v90, v33, v57
	v_fma_f32 v26, v28, v34, -v26
	v_fma_f32 v28, v28, v36, -v35
	v_fmac_f32_e32 v25, v29, v36
	v_dual_mul_f32 v35, v50, v47 :: v_dual_mul_f32 v36, v51, v49
	v_dual_fmac_f32 v27, v29, v34 :: v_dual_mul_f32 v34, v51, v47
	v_dual_mul_f32 v88, v32, v55 :: v_dual_mul_f32 v29, v30, v49
	v_mul_f32_e32 v87, v31, v49
	v_fma_f32 v37, v30, v46, -v37
	v_add_f32_e32 v16, v16, v83
	s_delay_alu instid0(VALU_DEP_4)
	v_dual_fmac_f32 v88, v33, v54 :: v_dual_fmac_f32 v29, v31, v48
	v_fma_f32 v31, v50, v46, -v34
	v_fma_f32 v34, v50, v48, -v36
	v_mul_f32_e32 v36, v32, v57
	v_mul_f32_e32 v47, v50, v49
	v_dual_mul_f32 v50, v53, v57 :: v_dual_fmac_f32 v35, v51, v46
	v_mul_f32_e32 v46, v53, v55
	v_mul_f32_e32 v49, v33, v55
	v_fma_f32 v30, v30, v48, -v87
	v_fmac_f32_e32 v36, v33, v56
	v_dual_fmac_f32 v47, v51, v48 :: v_dual_mul_f32 v48, v52, v55
	v_mul_f32_e32 v33, v52, v57
	v_fma_f32 v46, v52, v54, -v46
	v_fma_f32 v50, v52, v56, -v50
	v_mul_f32_e32 v52, v38, v61
	v_fma_f32 v49, v32, v54, -v49
	v_fma_f32 v32, v32, v56, -v90
	v_dual_mul_f32 v51, v39, v59 :: v_dual_fmac_f32 v48, v53, v54
	v_mul_f32_e32 v54, v70, v59
	v_dual_mul_f32 v55, v38, v59 :: v_dual_fmac_f32 v52, v39, v60
	v_fmac_f32_e32 v33, v53, v56
	v_mul_f32_e32 v53, v71, v59
	v_mul_f32_e32 v56, v71, v61
	;; [unrolled: 1-line block ×3, first 2 shown]
	v_fmac_f32_e32 v54, v71, v58
	v_fmac_f32_e32 v55, v39, v58
	v_fma_f32 v39, v70, v58, -v53
	v_fma_f32 v53, v70, v60, -v56
	v_mul_f32_e32 v56, v40, v65
	v_mul_f32_e32 v59, v70, v61
	v_fma_f32 v51, v38, v58, -v51
	v_mul_f32_e32 v58, v72, v63
	v_mul_f32_e32 v87, v40, v63
	;; [unrolled: 1-line block ×4, first 2 shown]
	v_fma_f32 v38, v38, v60, -v57
	v_mul_f32_e32 v57, v73, v63
	v_fmac_f32_e32 v56, v41, v64
	v_dual_fmac_f32 v59, v71, v60 :: v_dual_mul_f32 v60, v73, v65
	v_mul_f32_e32 v63, v43, v67
	v_mul_f32_e32 v70, v43, v69
	v_fmac_f32_e32 v58, v73, v62
	v_fmac_f32_e32 v87, v41, v62
	v_mul_f32_e32 v41, v72, v65
	v_fma_f32 v61, v40, v62, -v61
	v_fma_f32 v40, v40, v64, -v90
	v_mul_f32_e32 v65, v42, v67
	v_fma_f32 v57, v72, v62, -v57
	v_fma_f32 v60, v72, v64, -v60
	v_dual_fmac_f32 v41, v73, v64 :: v_dual_mul_f32 v62, v42, v69
	v_mul_f32_e32 v64, v75, v67
	v_fma_f32 v63, v42, v66, -v63
	v_fma_f32 v42, v42, v68, -v70
	v_mul_f32_e32 v70, v76, v79
	v_mul_f32_e32 v67, v74, v67
	;; [unrolled: 1-line block ×3, first 2 shown]
	v_dual_mul_f32 v69, v74, v69 :: v_dual_add_f32 v12, v12, v22
	v_mul_f32_e32 v73, v44, v79
	v_dual_fmac_f32 v65, v43, v66 :: v_dual_add_f32 v8, v8, v19
	v_fmac_f32_e32 v62, v43, v68
	v_fma_f32 v43, v74, v66, -v64
	v_fmac_f32_e32 v70, v77, v78
	v_dual_fmac_f32 v67, v75, v66 :: v_dual_add_f32 v16, v16, v89
	v_mul_f32_e32 v66, v44, v81
	v_mul_f32_e32 v72, v45, v79
	v_dual_mul_f32 v90, v45, v81 :: v_dual_fmac_f32 v69, v75, v68
	v_add_f32_e32 v0, v0, v18
	v_dual_fmac_f32 v73, v45, v78 :: v_dual_add_f32 v8, v8, v27
	v_dual_fmac_f32 v66, v45, v80 :: v_dual_mul_f32 v45, v76, v81
	v_fma_f32 v64, v74, v68, -v71
	v_dual_mul_f32 v71, v77, v81 :: v_dual_add_f32 v12, v12, v24
	v_dual_add_f32 v15, v15, v82 :: v_dual_add_f32 v0, v0, v28
	s_delay_alu instid0(VALU_DEP_4) | instskip(NEXT) | instid1(VALU_DEP_3)
	v_dual_fmac_f32 v45, v77, v80 :: v_dual_add_f32 v16, v16, v86
	v_dual_add_f32 v11, v11, v85 :: v_dual_add_f32 v12, v12, v30
	s_delay_alu instid0(VALU_DEP_3) | instskip(SKIP_2) | instid1(VALU_DEP_3)
	v_dual_add_f32 v9, v9, v23 :: v_dual_add_f32 v0, v0, v34
	v_dual_add_f32 v1, v1, v21 :: v_dual_add_f32 v8, v8, v35
	v_add_f32_e32 v15, v15, v84
	v_dual_add_f32 v9, v9, v26 :: v_dual_add_f32 v16, v16, v88
	v_add_f32_e32 v11, v11, v20
	s_delay_alu instid0(VALU_DEP_4) | instskip(NEXT) | instid1(VALU_DEP_3)
	v_dual_add_f32 v1, v1, v25 :: v_dual_add_f32 v12, v12, v32
	v_dual_add_f32 v8, v8, v48 :: v_dual_add_f32 v9, v9, v31
	v_dual_add_f32 v0, v0, v50 :: v_dual_add_f32 v15, v15, v37
	s_delay_alu instid0(VALU_DEP_3) | instskip(SKIP_1) | instid1(VALU_DEP_3)
	v_add_f32_e32 v1, v1, v47
	v_dual_add_f32 v16, v16, v55 :: v_dual_add_f32 v11, v11, v29
	v_dual_add_f32 v12, v12, v38 :: v_dual_add_f32 v15, v15, v49
	v_add_f32_e32 v8, v8, v54
	s_delay_alu instid0(VALU_DEP_3) | instskip(NEXT) | instid1(VALU_DEP_3)
	v_dual_add_f32 v16, v16, v87 :: v_dual_add_f32 v11, v11, v36
	v_dual_add_f32 v9, v9, v46 :: v_dual_add_f32 v12, v12, v40
	v_add_f32_e32 v0, v0, v53
	v_add_f32_e32 v1, v1, v33
	s_delay_alu instid0(VALU_DEP_4) | instskip(SKIP_3) | instid1(VALU_DEP_4)
	v_dual_add_f32 v15, v15, v51 :: v_dual_add_f32 v16, v16, v65
	v_dual_add_f32 v8, v8, v58 :: v_dual_add_f32 v11, v11, v52
	v_add_f32_e32 v12, v12, v42
	v_dual_add_f32 v0, v0, v60 :: v_dual_add_f32 v9, v9, v39
	v_dual_add_f32 v1, v1, v59 :: v_dual_add_f32 v16, v16, v73
	v_mul_f32_e32 v68, v77, v79
	v_fma_f32 v72, v44, v78, -v72
	v_fma_f32 v44, v44, v80, -v90
	;; [unrolled: 1-line block ×3, first 2 shown]
	v_dual_add_f32 v15, v15, v61 :: v_dual_add_f32 v8, v8, v67
	v_add_f32_e32 v11, v11, v56
	v_dual_add_f32 v0, v0, v64 :: v_dual_add_f32 v9, v9, v57
	v_dual_add_f32 v12, v12, v44 :: v_dual_add_f32 v1, v1, v41
	v_fma_f32 v68, v76, v78, -v68
	s_delay_alu instid0(VALU_DEP_3) | instskip(SKIP_4) | instid1(VALU_DEP_4)
	v_add_f32_e32 v0, v0, v71
	v_add_f32_e32 v15, v15, v63
	;; [unrolled: 1-line block ×3, first 2 shown]
	v_dual_add_f32 v1, v1, v69 :: v_dual_add_f32 v8, v8, v70
	v_add_f32_e32 v11, v11, v62
	v_add_f32_e32 v15, v15, v72
	s_delay_alu instid0(VALU_DEP_4) | instskip(NEXT) | instid1(VALU_DEP_4)
	v_add_f32_e32 v9, v9, v68
	v_add_f32_e32 v1, v1, v45
	s_delay_alu instid0(VALU_DEP_4)
	v_add_f32_e32 v11, v11, v66
	s_cbranch_scc0 .LBB163_2
.LBB163_3:
	s_clause 0x1
	s_load_b32 s3, s[0:1], 0x40
	s_load_b64 s[4:5], s[0:1], 0x48
	v_add_nc_u32_e32 v7, s13, v7
	v_add_nc_u32_e32 v2, s12, v6
	s_delay_alu instid0(VALU_DEP_1)
	v_cmp_le_i32_e64 s0, v7, v2
	v_cmp_gt_i32_e32 vcc_lo, s2, v2
	s_waitcnt lgkmcnt(0)
	v_mad_i64_i32 v[3:4], null, v7, s3, 0
	s_mul_i32 s1, s15, s5
	s_mul_hi_u32 s5, s15, s4
	s_mul_i32 s4, s15, s4
	s_add_i32 s5, s5, s1
	s_delay_alu instid0(SALU_CYCLE_1) | instskip(NEXT) | instid1(VALU_DEP_1)
	s_lshl_b64 s[4:5], s[4:5], 3
	v_lshlrev_b64 v[3:4], 3, v[3:4]
	s_add_u32 s4, s6, s4
	s_addc_u32 s5, s7, s5
	s_and_b32 s0, s0, vcc_lo
	s_delay_alu instid0(VALU_DEP_1) | instskip(NEXT) | instid1(VALU_DEP_1)
	v_add_co_u32 v6, s1, s4, v3
	v_add_co_ci_u32_e64 v10, s1, s5, v4, s1
	s_and_saveexec_b32 s1, s0
	s_cbranch_execz .LBB163_5
; %bb.4:
	v_ashrrev_i32_e32 v3, 31, v2
	s_delay_alu instid0(VALU_DEP_1) | instskip(NEXT) | instid1(VALU_DEP_1)
	v_lshlrev_b64 v[3:4], 3, v[2:3]
	v_add_co_u32 v3, s0, v6, v3
	s_delay_alu instid0(VALU_DEP_1)
	v_add_co_ci_u32_e64 v4, s0, v10, v4, s0
	global_load_b64 v[13:14], v[3:4], off
	s_waitcnt vmcnt(0)
	v_dual_sub_f32 v13, v15, v13 :: v_dual_sub_f32 v14, v16, v14
	global_store_b64 v[3:4], v[13:14], off
.LBB163_5:
	s_or_b32 exec_lo, exec_lo, s1
	v_add_nc_u32_e32 v4, 16, v2
	s_delay_alu instid0(VALU_DEP_1) | instskip(SKIP_1) | instid1(VALU_DEP_1)
	v_cmp_le_i32_e64 s1, v7, v4
	v_cmp_gt_i32_e64 s0, s2, v4
	s_and_b32 s1, s1, s0
	s_delay_alu instid0(SALU_CYCLE_1)
	s_and_saveexec_b32 s2, s1
	s_cbranch_execz .LBB163_7
; %bb.6:
	v_ashrrev_i32_e32 v5, 31, v4
	s_delay_alu instid0(VALU_DEP_1) | instskip(NEXT) | instid1(VALU_DEP_1)
	v_lshlrev_b64 v[13:14], 3, v[4:5]
	v_add_co_u32 v5, s1, v6, v13
	s_delay_alu instid0(VALU_DEP_1)
	v_add_co_ci_u32_e64 v6, s1, v10, v14, s1
	global_load_b64 v[13:14], v[5:6], off
	s_waitcnt vmcnt(0)
	v_dual_sub_f32 v10, v12, v13 :: v_dual_sub_f32 v11, v11, v14
	global_store_b64 v[5:6], v[10:11], off
.LBB163_7:
	s_or_b32 exec_lo, exec_lo, s2
	v_add_nc_u32_e32 v5, 16, v7
	s_delay_alu instid0(VALU_DEP_1) | instskip(SKIP_1) | instid1(VALU_DEP_2)
	v_mad_i64_i32 v[6:7], null, v5, s3, 0
	v_cmp_le_i32_e64 s1, v5, v2
	v_lshlrev_b64 v[6:7], 3, v[6:7]
	s_delay_alu instid0(VALU_DEP_1) | instskip(NEXT) | instid1(VALU_DEP_1)
	v_add_co_u32 v6, s2, s4, v6
	v_add_co_ci_u32_e64 v7, s2, s5, v7, s2
	s_delay_alu instid0(VALU_DEP_4) | instskip(NEXT) | instid1(SALU_CYCLE_1)
	s_and_b32 s2, s1, vcc_lo
	s_and_saveexec_b32 s1, s2
	s_cbranch_execz .LBB163_9
; %bb.8:
	v_ashrrev_i32_e32 v3, 31, v2
	s_delay_alu instid0(VALU_DEP_1) | instskip(NEXT) | instid1(VALU_DEP_1)
	v_lshlrev_b64 v[2:3], 3, v[2:3]
	v_add_co_u32 v2, vcc_lo, v6, v2
	s_delay_alu instid0(VALU_DEP_2)
	v_add_co_ci_u32_e32 v3, vcc_lo, v7, v3, vcc_lo
	global_load_b64 v[10:11], v[2:3], off
	s_waitcnt vmcnt(0)
	v_dual_sub_f32 v9, v9, v10 :: v_dual_sub_f32 v10, v8, v11
	global_store_b64 v[2:3], v[9:10], off
.LBB163_9:
	s_or_b32 exec_lo, exec_lo, s1
	v_cmp_le_i32_e32 vcc_lo, v5, v4
	s_and_b32 s0, vcc_lo, s0
	s_delay_alu instid0(SALU_CYCLE_1)
	s_and_saveexec_b32 s1, s0
	s_cbranch_execz .LBB163_11
; %bb.10:
	v_ashrrev_i32_e32 v5, 31, v4
	s_delay_alu instid0(VALU_DEP_1) | instskip(NEXT) | instid1(VALU_DEP_1)
	v_lshlrev_b64 v[2:3], 3, v[4:5]
	v_add_co_u32 v2, vcc_lo, v6, v2
	s_delay_alu instid0(VALU_DEP_2)
	v_add_co_ci_u32_e32 v3, vcc_lo, v7, v3, vcc_lo
	global_load_b64 v[4:5], v[2:3], off
	s_waitcnt vmcnt(0)
	v_dual_sub_f32 v0, v0, v4 :: v_dual_sub_f32 v1, v1, v5
	global_store_b64 v[2:3], v[0:1], off
.LBB163_11:
	s_nop 0
	s_sendmsg sendmsg(MSG_DEALLOC_VGPRS)
	s_endpgm
	.section	.rodata,"a",@progbits
	.p2align	6, 0x0
	.amdhsa_kernel _ZL37rocblas_syrkx_herkx_restricted_kernelIi19rocblas_complex_numIfELi16ELi32ELi8ELi1ELin1ELb0ELc67ELc76EKS1_S1_EviT_PT9_S3_lS5_S3_lPT10_S3_li
		.amdhsa_group_segment_fixed_size 4096
		.amdhsa_private_segment_fixed_size 0
		.amdhsa_kernarg_size 84
		.amdhsa_user_sgpr_count 13
		.amdhsa_user_sgpr_dispatch_ptr 0
		.amdhsa_user_sgpr_queue_ptr 0
		.amdhsa_user_sgpr_kernarg_segment_ptr 1
		.amdhsa_user_sgpr_dispatch_id 0
		.amdhsa_user_sgpr_private_segment_size 0
		.amdhsa_wavefront_size32 1
		.amdhsa_uses_dynamic_stack 0
		.amdhsa_enable_private_segment 0
		.amdhsa_system_sgpr_workgroup_id_x 1
		.amdhsa_system_sgpr_workgroup_id_y 1
		.amdhsa_system_sgpr_workgroup_id_z 1
		.amdhsa_system_sgpr_workgroup_info 0
		.amdhsa_system_vgpr_workitem_id 1
		.amdhsa_next_free_vgpr 91
		.amdhsa_next_free_sgpr 20
		.amdhsa_reserve_vcc 1
		.amdhsa_float_round_mode_32 0
		.amdhsa_float_round_mode_16_64 0
		.amdhsa_float_denorm_mode_32 3
		.amdhsa_float_denorm_mode_16_64 3
		.amdhsa_dx10_clamp 1
		.amdhsa_ieee_mode 1
		.amdhsa_fp16_overflow 0
		.amdhsa_workgroup_processor_mode 1
		.amdhsa_memory_ordered 1
		.amdhsa_forward_progress 0
		.amdhsa_shared_vgpr_count 0
		.amdhsa_exception_fp_ieee_invalid_op 0
		.amdhsa_exception_fp_denorm_src 0
		.amdhsa_exception_fp_ieee_div_zero 0
		.amdhsa_exception_fp_ieee_overflow 0
		.amdhsa_exception_fp_ieee_underflow 0
		.amdhsa_exception_fp_ieee_inexact 0
		.amdhsa_exception_int_div_zero 0
	.end_amdhsa_kernel
	.section	.text._ZL37rocblas_syrkx_herkx_restricted_kernelIi19rocblas_complex_numIfELi16ELi32ELi8ELi1ELin1ELb0ELc67ELc76EKS1_S1_EviT_PT9_S3_lS5_S3_lPT10_S3_li,"axG",@progbits,_ZL37rocblas_syrkx_herkx_restricted_kernelIi19rocblas_complex_numIfELi16ELi32ELi8ELi1ELin1ELb0ELc67ELc76EKS1_S1_EviT_PT9_S3_lS5_S3_lPT10_S3_li,comdat
.Lfunc_end163:
	.size	_ZL37rocblas_syrkx_herkx_restricted_kernelIi19rocblas_complex_numIfELi16ELi32ELi8ELi1ELin1ELb0ELc67ELc76EKS1_S1_EviT_PT9_S3_lS5_S3_lPT10_S3_li, .Lfunc_end163-_ZL37rocblas_syrkx_herkx_restricted_kernelIi19rocblas_complex_numIfELi16ELi32ELi8ELi1ELin1ELb0ELc67ELc76EKS1_S1_EviT_PT9_S3_lS5_S3_lPT10_S3_li
                                        ; -- End function
	.section	.AMDGPU.csdata,"",@progbits
; Kernel info:
; codeLenInByte = 2096
; NumSgprs: 22
; NumVgprs: 91
; ScratchSize: 0
; MemoryBound: 0
; FloatMode: 240
; IeeeMode: 1
; LDSByteSize: 4096 bytes/workgroup (compile time only)
; SGPRBlocks: 2
; VGPRBlocks: 11
; NumSGPRsForWavesPerEU: 22
; NumVGPRsForWavesPerEU: 91
; Occupancy: 16
; WaveLimiterHint : 0
; COMPUTE_PGM_RSRC2:SCRATCH_EN: 0
; COMPUTE_PGM_RSRC2:USER_SGPR: 13
; COMPUTE_PGM_RSRC2:TRAP_HANDLER: 0
; COMPUTE_PGM_RSRC2:TGID_X_EN: 1
; COMPUTE_PGM_RSRC2:TGID_Y_EN: 1
; COMPUTE_PGM_RSRC2:TGID_Z_EN: 1
; COMPUTE_PGM_RSRC2:TIDIG_COMP_CNT: 1
	.section	.text._ZL37rocblas_syrkx_herkx_restricted_kernelIi19rocblas_complex_numIfELi16ELi32ELi8ELi1ELin1ELb0ELc78ELc76EKS1_S1_EviT_PT9_S3_lS5_S3_lPT10_S3_li,"axG",@progbits,_ZL37rocblas_syrkx_herkx_restricted_kernelIi19rocblas_complex_numIfELi16ELi32ELi8ELi1ELin1ELb0ELc78ELc76EKS1_S1_EviT_PT9_S3_lS5_S3_lPT10_S3_li,comdat
	.globl	_ZL37rocblas_syrkx_herkx_restricted_kernelIi19rocblas_complex_numIfELi16ELi32ELi8ELi1ELin1ELb0ELc78ELc76EKS1_S1_EviT_PT9_S3_lS5_S3_lPT10_S3_li ; -- Begin function _ZL37rocblas_syrkx_herkx_restricted_kernelIi19rocblas_complex_numIfELi16ELi32ELi8ELi1ELin1ELb0ELc78ELc76EKS1_S1_EviT_PT9_S3_lS5_S3_lPT10_S3_li
	.p2align	8
	.type	_ZL37rocblas_syrkx_herkx_restricted_kernelIi19rocblas_complex_numIfELi16ELi32ELi8ELi1ELin1ELb0ELc78ELc76EKS1_S1_EviT_PT9_S3_lS5_S3_lPT10_S3_li,@function
_ZL37rocblas_syrkx_herkx_restricted_kernelIi19rocblas_complex_numIfELi16ELi32ELi8ELi1ELin1ELb0ELc78ELc76EKS1_S1_EviT_PT9_S3_lS5_S3_lPT10_S3_li: ; @_ZL37rocblas_syrkx_herkx_restricted_kernelIi19rocblas_complex_numIfELi16ELi32ELi8ELi1ELin1ELb0ELc78ELc76EKS1_S1_EviT_PT9_S3_lS5_S3_lPT10_S3_li
; %bb.0:
	s_clause 0x1
	s_load_b64 s[2:3], s[0:1], 0x0
	s_load_b128 s[4:7], s[0:1], 0x30
	v_dual_mov_b32 v17, 0 :: v_dual_and_b32 v4, 0x3ff, v0
	v_bfe_u32 v5, v0, 10, 10
	v_dual_mov_b32 v16, 0 :: v_dual_mov_b32 v13, 0
	v_dual_mov_b32 v12, 0 :: v_dual_mov_b32 v9, 0
	;; [unrolled: 1-line block ×3, first 2 shown]
	v_mov_b32_e32 v6, 0
	s_lshl_b32 s12, s13, 5
	s_lshl_b32 s13, s14, 5
	s_mov_b32 s14, 0
	s_waitcnt lgkmcnt(0)
	s_cmp_lt_i32 s3, 1
	s_cbranch_scc1 .LBB164_3
; %bb.1:
	s_clause 0x1
	s_load_b32 s16, s[0:1], 0x10
	s_load_b32 s18, s[0:1], 0x28
	v_lshl_add_u32 v0, v5, 4, v4
	v_and_b32_e32 v8, 7, v4
	s_clause 0x1
	s_load_b128 s[8:11], s[0:1], 0x18
	s_load_b64 s[20:21], s[0:1], 0x8
	s_mul_i32 s5, s5, s15
	v_lshrrev_b32_e32 v1, 3, v0
	v_and_b32_e32 v2, 31, v0
	v_lshrrev_b32_e32 v9, 5, v0
	v_lshlrev_b32_e32 v3, 3, v8
	s_delay_alu instid0(VALU_DEP_4) | instskip(NEXT) | instid1(VALU_DEP_4)
	v_dual_mov_b32 v13, 0 :: v_dual_add_nc_u32 v0, s13, v1
	v_dual_mov_b32 v17, 0 :: v_dual_lshlrev_b32 v6, 3, v2
	v_add_nc_u32_e32 v2, s12, v2
	s_delay_alu instid0(VALU_DEP_4) | instskip(NEXT) | instid1(VALU_DEP_4)
	v_lshl_or_b32 v11, v1, 6, v3
	v_ashrrev_i32_e32 v1, 31, v0
	s_delay_alu instid0(VALU_DEP_4)
	v_lshl_or_b32 v10, v9, 8, v6
	v_lshlrev_b32_e32 v14, 3, v4
	v_ashrrev_i32_e32 v3, 31, v2
	s_waitcnt lgkmcnt(0)
	s_ashr_i32 s17, s16, 31
	v_mad_i64_i32 v[6:7], null, s18, v8, v[0:1]
	s_mul_i32 s9, s9, s15
	v_mad_i64_i32 v[0:1], null, s16, v9, v[2:3]
	s_mul_hi_u32 s22, s8, s15
	s_mul_i32 s8, s8, s15
	s_add_i32 s9, s22, s9
	s_ashr_i32 s19, s18, 31
	s_lshl_b64 s[8:9], s[8:9], 3
	v_dual_mov_b32 v8, 0 :: v_dual_add_nc_u32 v11, 0x800, v11
	s_delay_alu instid0(VALU_DEP_2)
	v_lshlrev_b64 v[0:1], 3, v[0:1]
	s_add_u32 s8, s20, s8
	s_addc_u32 s9, s21, s9
	s_mul_hi_u32 s20, s4, s15
	s_mul_i32 s4, s4, s15
	s_add_i32 s5, s20, s5
	v_add_co_u32 v2, vcc_lo, s8, v0
	v_add_co_ci_u32_e32 v3, vcc_lo, s9, v1, vcc_lo
	v_lshlrev_b64 v[0:1], 3, v[6:7]
	s_lshl_b64 s[8:9], s[4:5], 3
	s_lshl_b64 s[4:5], s[16:17], 6
	s_add_u32 s8, s10, s8
	s_addc_u32 s9, s11, s9
	v_lshl_add_u32 v15, v5, 6, 0x800
	v_add_co_u32 v6, vcc_lo, s8, v0
	v_add_co_ci_u32_e32 v7, vcc_lo, s9, v1, vcc_lo
	v_add_co_u32 v0, vcc_lo, v2, 4
	v_add_co_ci_u32_e32 v1, vcc_lo, 0, v3, vcc_lo
	s_delay_alu instid0(VALU_DEP_4) | instskip(NEXT) | instid1(VALU_DEP_4)
	v_add_co_u32 v2, vcc_lo, v6, 4
	v_add_co_ci_u32_e32 v3, vcc_lo, 0, v7, vcc_lo
	v_dual_mov_b32 v6, 0 :: v_dual_mov_b32 v7, 0
	v_dual_mov_b32 v9, 0 :: v_dual_mov_b32 v12, 0
	v_mov_b32_e32 v16, 0
	s_lshl_b64 s[8:9], s[18:19], 6
.LBB164_2:                              ; =>This Inner Loop Header: Depth=1
	global_load_b64 v[18:19], v[0:1], off offset:-4
	global_load_b64 v[20:21], v[2:3], off offset:-4
	v_add_co_u32 v0, vcc_lo, v0, s4
	v_add_co_ci_u32_e32 v1, vcc_lo, s5, v1, vcc_lo
	v_add_co_u32 v2, vcc_lo, v2, s8
	v_add_co_ci_u32_e32 v3, vcc_lo, s9, v3, vcc_lo
	s_add_i32 s14, s14, 8
	s_waitcnt vmcnt(1)
	ds_store_b64 v10, v[18:19]
	s_waitcnt vmcnt(0)
	ds_store_b64 v11, v[20:21]
	s_waitcnt lgkmcnt(0)
	s_barrier
	buffer_gl0_inv
	ds_load_2addr_b64 v[18:21], v14 offset1:16
	ds_load_b128 v[22:25], v15
	ds_load_b128 v[26:29], v15 offset:1024
	ds_load_b128 v[30:33], v15 offset:16
	ds_load_2addr_b64 v[34:37], v14 offset0:32 offset1:48
	ds_load_b128 v[38:41], v15 offset:32
	ds_load_b128 v[42:45], v15 offset:48
	ds_load_2addr_b64 v[46:49], v14 offset0:64 offset1:80
	ds_load_b128 v[50:53], v15 offset:1040
	ds_load_2addr_b64 v[54:57], v14 offset0:96 offset1:112
	ds_load_2addr_b64 v[58:61], v14 offset0:128 offset1:144
	;; [unrolled: 1-line block ×4, first 2 shown]
	ds_load_b128 v[70:73], v15 offset:1056
	ds_load_b128 v[74:77], v15 offset:1072
	ds_load_2addr_b64 v[78:81], v14 offset0:224 offset1:240
	s_cmp_ge_i32 s14, s3
	s_waitcnt lgkmcnt(0)
	s_barrier
	buffer_gl0_inv
	v_dual_mul_f32 v82, v23, v19 :: v_dual_mul_f32 v85, v22, v21
	v_dual_mul_f32 v83, v22, v19 :: v_dual_mul_f32 v84, v23, v21
	v_mul_f32_e32 v86, v27, v19
	v_dual_mul_f32 v19, v26, v19 :: v_dual_mul_f32 v90, v25, v37
	v_dual_mul_f32 v87, v27, v21 :: v_dual_mul_f32 v88, v25, v35
	v_mul_f32_e32 v21, v26, v21
	v_mul_f32_e32 v89, v24, v35
	;; [unrolled: 1-line block ×3, first 2 shown]
	v_fma_f32 v82, v22, v18, -v82
	v_fmac_f32_e32 v83, v23, v18
	v_fma_f32 v22, v22, v20, -v84
	v_dual_fmac_f32 v85, v23, v20 :: v_dual_mul_f32 v84, v30, v47
	v_fma_f32 v23, v26, v18, -v86
	v_fmac_f32_e32 v19, v27, v18
	v_fma_f32 v18, v26, v20, -v87
	v_dual_mul_f32 v26, v28, v35 :: v_dual_fmac_f32 v21, v27, v20
	v_mul_f32_e32 v20, v29, v35
	v_mul_f32_e32 v27, v29, v37
	v_dual_mul_f32 v35, v28, v37 :: v_dual_fmac_f32 v84, v31, v46
	v_fma_f32 v37, v24, v34, -v88
	v_fma_f32 v24, v24, v36, -v90
	v_dual_fmac_f32 v91, v25, v36 :: v_dual_mul_f32 v90, v32, v57
	v_dual_mul_f32 v86, v31, v49 :: v_dual_fmac_f32 v89, v25, v34
	v_dual_mul_f32 v25, v31, v47 :: v_dual_mul_f32 v88, v33, v57
	v_fma_f32 v20, v28, v34, -v20
	v_fmac_f32_e32 v26, v29, v34
	v_fma_f32 v27, v28, v36, -v27
	v_dual_fmac_f32 v35, v29, v36 :: v_dual_mul_f32 v28, v51, v47
	v_dual_mul_f32 v29, v50, v47 :: v_dual_mul_f32 v34, v51, v49
	v_mul_f32_e32 v36, v50, v49
	v_mul_f32_e32 v87, v30, v49
	;; [unrolled: 1-line block ×3, first 2 shown]
	v_dual_mul_f32 v49, v32, v55 :: v_dual_fmac_f32 v90, v33, v56
	v_fma_f32 v25, v30, v46, -v25
	v_fma_f32 v30, v30, v48, -v86
	;; [unrolled: 1-line block ×3, first 2 shown]
	v_fmac_f32_e32 v36, v51, v48
	v_fmac_f32_e32 v87, v31, v48
	v_fma_f32 v31, v50, v48, -v34
	v_mul_f32_e32 v34, v53, v55
	v_mul_f32_e32 v48, v53, v57
	v_dual_mul_f32 v50, v52, v57 :: v_dual_fmac_f32 v29, v51, v46
	v_mul_f32_e32 v46, v52, v55
	v_fma_f32 v47, v32, v54, -v47
	v_fmac_f32_e32 v49, v33, v54
	v_fma_f32 v32, v32, v56, -v88
	s_delay_alu instid0(VALU_DEP_4)
	v_dual_mul_f32 v33, v39, v59 :: v_dual_fmac_f32 v46, v53, v54
	v_mul_f32_e32 v51, v38, v59
	v_mul_f32_e32 v55, v39, v61
	v_fma_f32 v34, v52, v54, -v34
	v_fma_f32 v48, v52, v56, -v48
	v_fmac_f32_e32 v50, v53, v56
	v_mul_f32_e32 v52, v71, v59
	v_dual_mul_f32 v53, v70, v59 :: v_dual_mul_f32 v86, v41, v65
	v_mul_f32_e32 v54, v71, v61
	v_dual_mul_f32 v56, v70, v61 :: v_dual_mul_f32 v59, v41, v63
	v_mul_f32_e32 v57, v38, v61
	v_mul_f32_e32 v61, v40, v63
	v_dual_mul_f32 v88, v40, v65 :: v_dual_fmac_f32 v51, v39, v58
	v_fma_f32 v33, v38, v58, -v33
	v_fmac_f32_e32 v53, v71, v58
	v_fmac_f32_e32 v56, v71, v60
	s_delay_alu instid0(VALU_DEP_4)
	v_fmac_f32_e32 v88, v41, v64
	v_fmac_f32_e32 v57, v39, v60
	v_fma_f32 v39, v70, v58, -v52
	v_fma_f32 v52, v70, v60, -v54
	v_mul_f32_e32 v54, v73, v63
	v_fma_f32 v38, v38, v60, -v55
	v_mul_f32_e32 v60, v72, v65
	v_dual_mul_f32 v55, v72, v63 :: v_dual_mul_f32 v70, v42, v69
	v_mul_f32_e32 v58, v73, v65
	v_fma_f32 v59, v40, v62, -v59
	v_fmac_f32_e32 v61, v41, v62
	v_fma_f32 v40, v40, v64, -v86
	v_dual_mul_f32 v41, v43, v67 :: v_dual_fmac_f32 v60, v73, v64
	v_dual_mul_f32 v63, v42, v67 :: v_dual_mul_f32 v86, v44, v81
	v_mul_f32_e32 v65, v43, v69
	v_fma_f32 v54, v72, v62, -v54
	v_fmac_f32_e32 v55, v73, v62
	v_fma_f32 v58, v72, v64, -v58
	v_mul_f32_e32 v72, v44, v79
	v_mul_f32_e32 v62, v75, v67
	v_dual_mul_f32 v64, v74, v67 :: v_dual_mul_f32 v67, v75, v69
	v_dual_mul_f32 v69, v74, v69 :: v_dual_fmac_f32 v70, v43, v68
	s_delay_alu instid0(VALU_DEP_2)
	v_dual_mul_f32 v71, v45, v79 :: v_dual_fmac_f32 v64, v75, v66
	v_dual_mul_f32 v73, v45, v81 :: v_dual_add_f32 v16, v16, v82
	v_fma_f32 v41, v42, v66, -v41
	v_fmac_f32_e32 v63, v43, v66
	v_fma_f32 v42, v42, v68, -v65
	v_fma_f32 v43, v74, v66, -v62
	v_dual_mul_f32 v65, v77, v79 :: v_dual_add_f32 v12, v12, v85
	v_mul_f32_e32 v66, v76, v79
	v_fma_f32 v62, v74, v68, -v67
	v_dual_mul_f32 v67, v77, v81 :: v_dual_add_f32 v8, v8, v19
	v_dual_fmac_f32 v86, v45, v80 :: v_dual_add_f32 v7, v7, v18
	v_dual_add_f32 v17, v17, v83 :: v_dual_add_f32 v6, v6, v21
	v_dual_add_f32 v13, v13, v22 :: v_dual_add_f32 v16, v16, v37
	s_delay_alu instid0(VALU_DEP_4)
	v_dual_add_f32 v9, v9, v23 :: v_dual_add_f32 v8, v8, v26
	v_dual_fmac_f32 v69, v75, v68 :: v_dual_fmac_f32 v72, v45, v78
	v_mul_f32_e32 v68, v76, v81
	v_dual_fmac_f32 v66, v77, v78 :: v_dual_add_f32 v7, v7, v27
	v_dual_add_f32 v17, v17, v89 :: v_dual_add_f32 v12, v12, v91
	v_dual_add_f32 v13, v13, v24 :: v_dual_add_f32 v6, v6, v35
	;; [unrolled: 1-line block ×3, first 2 shown]
	s_delay_alu instid0(VALU_DEP_4) | instskip(NEXT) | instid1(VALU_DEP_4)
	v_dual_fmac_f32 v68, v77, v80 :: v_dual_add_f32 v7, v7, v31
	v_dual_add_f32 v17, v17, v84 :: v_dual_add_f32 v12, v12, v87
	s_delay_alu instid0(VALU_DEP_4) | instskip(NEXT) | instid1(VALU_DEP_4)
	v_dual_add_f32 v13, v13, v30 :: v_dual_add_f32 v8, v8, v29
	v_dual_add_f32 v9, v9, v28 :: v_dual_add_f32 v16, v16, v47
	s_delay_alu instid0(VALU_DEP_3) | instskip(NEXT) | instid1(VALU_DEP_3)
	v_dual_add_f32 v6, v6, v36 :: v_dual_add_f32 v17, v17, v49
	v_dual_add_f32 v13, v13, v32 :: v_dual_add_f32 v12, v12, v90
	s_delay_alu instid0(VALU_DEP_3) | instskip(SKIP_1) | instid1(VALU_DEP_4)
	v_dual_add_f32 v9, v9, v34 :: v_dual_add_f32 v16, v16, v33
	v_dual_add_f32 v8, v8, v46 :: v_dual_add_f32 v7, v7, v48
	;; [unrolled: 1-line block ×3, first 2 shown]
	s_delay_alu instid0(VALU_DEP_4) | instskip(NEXT) | instid1(VALU_DEP_3)
	v_dual_add_f32 v13, v13, v38 :: v_dual_add_f32 v12, v12, v57
	v_dual_add_f32 v9, v9, v39 :: v_dual_add_f32 v8, v8, v53
	s_delay_alu instid0(VALU_DEP_4) | instskip(NEXT) | instid1(VALU_DEP_4)
	v_dual_add_f32 v7, v7, v52 :: v_dual_add_f32 v16, v16, v59
	v_dual_add_f32 v6, v6, v56 :: v_dual_add_f32 v17, v17, v61
	s_delay_alu instid0(VALU_DEP_3) | instskip(NEXT) | instid1(VALU_DEP_4)
	v_dual_add_f32 v13, v13, v40 :: v_dual_add_f32 v8, v8, v55
	v_dual_add_f32 v12, v12, v88 :: v_dual_add_f32 v9, v9, v54
	s_delay_alu instid0(VALU_DEP_3)
	v_dual_add_f32 v7, v7, v58 :: v_dual_add_f32 v6, v6, v60
	v_fma_f32 v71, v44, v78, -v71
	v_fma_f32 v44, v44, v80, -v73
	;; [unrolled: 1-line block ×4, first 2 shown]
	v_dual_add_f32 v16, v16, v41 :: v_dual_add_f32 v17, v17, v63
	v_dual_add_f32 v13, v13, v42 :: v_dual_add_f32 v8, v8, v64
	;; [unrolled: 1-line block ×4, first 2 shown]
	s_delay_alu instid0(VALU_DEP_4) | instskip(NEXT) | instid1(VALU_DEP_3)
	v_dual_add_f32 v16, v16, v71 :: v_dual_add_f32 v17, v17, v72
	v_dual_add_f32 v13, v13, v44 :: v_dual_add_f32 v12, v12, v86
	s_delay_alu instid0(VALU_DEP_4) | instskip(NEXT) | instid1(VALU_DEP_4)
	v_dual_add_f32 v9, v9, v45 :: v_dual_add_f32 v8, v8, v66
	v_dual_add_f32 v7, v7, v65 :: v_dual_add_f32 v6, v6, v68
	s_cbranch_scc0 .LBB164_2
.LBB164_3:
	s_clause 0x1
	s_load_b32 s3, s[0:1], 0x40
	s_load_b64 s[4:5], s[0:1], 0x48
	v_add_nc_u32_e32 v5, s13, v5
	v_add_nc_u32_e32 v0, s12, v4
	s_delay_alu instid0(VALU_DEP_1)
	v_cmp_le_i32_e64 s0, v5, v0
	v_cmp_gt_i32_e32 vcc_lo, s2, v0
	s_waitcnt lgkmcnt(0)
	v_mad_i64_i32 v[1:2], null, v5, s3, 0
	s_mul_i32 s1, s15, s5
	s_mul_hi_u32 s5, s15, s4
	s_mul_i32 s4, s15, s4
	s_add_i32 s5, s5, s1
	s_delay_alu instid0(SALU_CYCLE_1) | instskip(NEXT) | instid1(VALU_DEP_1)
	s_lshl_b64 s[4:5], s[4:5], 3
	v_lshlrev_b64 v[1:2], 3, v[1:2]
	s_add_u32 s4, s6, s4
	s_addc_u32 s5, s7, s5
	s_and_b32 s0, s0, vcc_lo
	s_delay_alu instid0(VALU_DEP_1) | instskip(NEXT) | instid1(VALU_DEP_1)
	v_add_co_u32 v4, s1, s4, v1
	v_add_co_ci_u32_e64 v10, s1, s5, v2, s1
	s_and_saveexec_b32 s1, s0
	s_cbranch_execz .LBB164_5
; %bb.4:
	v_ashrrev_i32_e32 v1, 31, v0
	s_delay_alu instid0(VALU_DEP_1) | instskip(NEXT) | instid1(VALU_DEP_1)
	v_lshlrev_b64 v[1:2], 3, v[0:1]
	v_add_co_u32 v1, s0, v4, v1
	s_delay_alu instid0(VALU_DEP_1)
	v_add_co_ci_u32_e64 v2, s0, v10, v2, s0
	global_load_b64 v[14:15], v[1:2], off
	s_waitcnt vmcnt(0)
	v_dual_sub_f32 v14, v16, v14 :: v_dual_sub_f32 v15, v17, v15
	global_store_b64 v[1:2], v[14:15], off
.LBB164_5:
	s_or_b32 exec_lo, exec_lo, s1
	v_add_nc_u32_e32 v2, 16, v0
	s_delay_alu instid0(VALU_DEP_1) | instskip(SKIP_1) | instid1(VALU_DEP_1)
	v_cmp_le_i32_e64 s1, v5, v2
	v_cmp_gt_i32_e64 s0, s2, v2
	s_and_b32 s1, s1, s0
	s_delay_alu instid0(SALU_CYCLE_1)
	s_and_saveexec_b32 s2, s1
	s_cbranch_execz .LBB164_7
; %bb.6:
	v_ashrrev_i32_e32 v3, 31, v2
	s_delay_alu instid0(VALU_DEP_1) | instskip(NEXT) | instid1(VALU_DEP_1)
	v_lshlrev_b64 v[14:15], 3, v[2:3]
	v_add_co_u32 v3, s1, v4, v14
	s_delay_alu instid0(VALU_DEP_1)
	v_add_co_ci_u32_e64 v4, s1, v10, v15, s1
	global_load_b64 v[10:11], v[3:4], off
	s_waitcnt vmcnt(0)
	v_dual_sub_f32 v10, v13, v10 :: v_dual_sub_f32 v11, v12, v11
	global_store_b64 v[3:4], v[10:11], off
.LBB164_7:
	s_or_b32 exec_lo, exec_lo, s2
	v_add_nc_u32_e32 v3, 16, v5
	s_delay_alu instid0(VALU_DEP_1) | instskip(SKIP_1) | instid1(VALU_DEP_2)
	v_mad_i64_i32 v[4:5], null, v3, s3, 0
	v_cmp_le_i32_e64 s1, v3, v0
	v_lshlrev_b64 v[4:5], 3, v[4:5]
	s_delay_alu instid0(VALU_DEP_1) | instskip(NEXT) | instid1(VALU_DEP_1)
	v_add_co_u32 v4, s2, s4, v4
	v_add_co_ci_u32_e64 v5, s2, s5, v5, s2
	s_delay_alu instid0(VALU_DEP_4) | instskip(NEXT) | instid1(SALU_CYCLE_1)
	s_and_b32 s2, s1, vcc_lo
	s_and_saveexec_b32 s1, s2
	s_cbranch_execz .LBB164_9
; %bb.8:
	v_ashrrev_i32_e32 v1, 31, v0
	s_delay_alu instid0(VALU_DEP_1) | instskip(NEXT) | instid1(VALU_DEP_1)
	v_lshlrev_b64 v[0:1], 3, v[0:1]
	v_add_co_u32 v0, vcc_lo, v4, v0
	s_delay_alu instid0(VALU_DEP_2)
	v_add_co_ci_u32_e32 v1, vcc_lo, v5, v1, vcc_lo
	global_load_b64 v[10:11], v[0:1], off
	s_waitcnt vmcnt(0)
	v_dual_sub_f32 v9, v9, v10 :: v_dual_sub_f32 v10, v8, v11
	global_store_b64 v[0:1], v[9:10], off
.LBB164_9:
	s_or_b32 exec_lo, exec_lo, s1
	v_cmp_le_i32_e32 vcc_lo, v3, v2
	s_and_b32 s0, vcc_lo, s0
	s_delay_alu instid0(SALU_CYCLE_1)
	s_and_saveexec_b32 s1, s0
	s_cbranch_execz .LBB164_11
; %bb.10:
	v_ashrrev_i32_e32 v3, 31, v2
	s_delay_alu instid0(VALU_DEP_1) | instskip(NEXT) | instid1(VALU_DEP_1)
	v_lshlrev_b64 v[0:1], 3, v[2:3]
	v_add_co_u32 v0, vcc_lo, v4, v0
	s_delay_alu instid0(VALU_DEP_2)
	v_add_co_ci_u32_e32 v1, vcc_lo, v5, v1, vcc_lo
	global_load_b64 v[2:3], v[0:1], off
	s_waitcnt vmcnt(0)
	v_dual_sub_f32 v2, v7, v2 :: v_dual_sub_f32 v3, v6, v3
	global_store_b64 v[0:1], v[2:3], off
.LBB164_11:
	s_nop 0
	s_sendmsg sendmsg(MSG_DEALLOC_VGPRS)
	s_endpgm
	.section	.rodata,"a",@progbits
	.p2align	6, 0x0
	.amdhsa_kernel _ZL37rocblas_syrkx_herkx_restricted_kernelIi19rocblas_complex_numIfELi16ELi32ELi8ELi1ELin1ELb0ELc78ELc76EKS1_S1_EviT_PT9_S3_lS5_S3_lPT10_S3_li
		.amdhsa_group_segment_fixed_size 4096
		.amdhsa_private_segment_fixed_size 0
		.amdhsa_kernarg_size 84
		.amdhsa_user_sgpr_count 13
		.amdhsa_user_sgpr_dispatch_ptr 0
		.amdhsa_user_sgpr_queue_ptr 0
		.amdhsa_user_sgpr_kernarg_segment_ptr 1
		.amdhsa_user_sgpr_dispatch_id 0
		.amdhsa_user_sgpr_private_segment_size 0
		.amdhsa_wavefront_size32 1
		.amdhsa_uses_dynamic_stack 0
		.amdhsa_enable_private_segment 0
		.amdhsa_system_sgpr_workgroup_id_x 1
		.amdhsa_system_sgpr_workgroup_id_y 1
		.amdhsa_system_sgpr_workgroup_id_z 1
		.amdhsa_system_sgpr_workgroup_info 0
		.amdhsa_system_vgpr_workitem_id 1
		.amdhsa_next_free_vgpr 92
		.amdhsa_next_free_sgpr 23
		.amdhsa_reserve_vcc 1
		.amdhsa_float_round_mode_32 0
		.amdhsa_float_round_mode_16_64 0
		.amdhsa_float_denorm_mode_32 3
		.amdhsa_float_denorm_mode_16_64 3
		.amdhsa_dx10_clamp 1
		.amdhsa_ieee_mode 1
		.amdhsa_fp16_overflow 0
		.amdhsa_workgroup_processor_mode 1
		.amdhsa_memory_ordered 1
		.amdhsa_forward_progress 0
		.amdhsa_shared_vgpr_count 0
		.amdhsa_exception_fp_ieee_invalid_op 0
		.amdhsa_exception_fp_denorm_src 0
		.amdhsa_exception_fp_ieee_div_zero 0
		.amdhsa_exception_fp_ieee_overflow 0
		.amdhsa_exception_fp_ieee_underflow 0
		.amdhsa_exception_fp_ieee_inexact 0
		.amdhsa_exception_int_div_zero 0
	.end_amdhsa_kernel
	.section	.text._ZL37rocblas_syrkx_herkx_restricted_kernelIi19rocblas_complex_numIfELi16ELi32ELi8ELi1ELin1ELb0ELc78ELc76EKS1_S1_EviT_PT9_S3_lS5_S3_lPT10_S3_li,"axG",@progbits,_ZL37rocblas_syrkx_herkx_restricted_kernelIi19rocblas_complex_numIfELi16ELi32ELi8ELi1ELin1ELb0ELc78ELc76EKS1_S1_EviT_PT9_S3_lS5_S3_lPT10_S3_li,comdat
.Lfunc_end164:
	.size	_ZL37rocblas_syrkx_herkx_restricted_kernelIi19rocblas_complex_numIfELi16ELi32ELi8ELi1ELin1ELb0ELc78ELc76EKS1_S1_EviT_PT9_S3_lS5_S3_lPT10_S3_li, .Lfunc_end164-_ZL37rocblas_syrkx_herkx_restricted_kernelIi19rocblas_complex_numIfELi16ELi32ELi8ELi1ELin1ELb0ELc78ELc76EKS1_S1_EviT_PT9_S3_lS5_S3_lPT10_S3_li
                                        ; -- End function
	.section	.AMDGPU.csdata,"",@progbits
; Kernel info:
; codeLenInByte = 2144
; NumSgprs: 25
; NumVgprs: 92
; ScratchSize: 0
; MemoryBound: 0
; FloatMode: 240
; IeeeMode: 1
; LDSByteSize: 4096 bytes/workgroup (compile time only)
; SGPRBlocks: 3
; VGPRBlocks: 11
; NumSGPRsForWavesPerEU: 25
; NumVGPRsForWavesPerEU: 92
; Occupancy: 16
; WaveLimiterHint : 0
; COMPUTE_PGM_RSRC2:SCRATCH_EN: 0
; COMPUTE_PGM_RSRC2:USER_SGPR: 13
; COMPUTE_PGM_RSRC2:TRAP_HANDLER: 0
; COMPUTE_PGM_RSRC2:TGID_X_EN: 1
; COMPUTE_PGM_RSRC2:TGID_Y_EN: 1
; COMPUTE_PGM_RSRC2:TGID_Z_EN: 1
; COMPUTE_PGM_RSRC2:TIDIG_COMP_CNT: 1
	.section	.text._ZL37rocblas_syrkx_herkx_restricted_kernelIi19rocblas_complex_numIfELi16ELi32ELi8ELi1ELin1ELb0ELc84ELc85EKS1_S1_EviT_PT9_S3_lS5_S3_lPT10_S3_li,"axG",@progbits,_ZL37rocblas_syrkx_herkx_restricted_kernelIi19rocblas_complex_numIfELi16ELi32ELi8ELi1ELin1ELb0ELc84ELc85EKS1_S1_EviT_PT9_S3_lS5_S3_lPT10_S3_li,comdat
	.globl	_ZL37rocblas_syrkx_herkx_restricted_kernelIi19rocblas_complex_numIfELi16ELi32ELi8ELi1ELin1ELb0ELc84ELc85EKS1_S1_EviT_PT9_S3_lS5_S3_lPT10_S3_li ; -- Begin function _ZL37rocblas_syrkx_herkx_restricted_kernelIi19rocblas_complex_numIfELi16ELi32ELi8ELi1ELin1ELb0ELc84ELc85EKS1_S1_EviT_PT9_S3_lS5_S3_lPT10_S3_li
	.p2align	8
	.type	_ZL37rocblas_syrkx_herkx_restricted_kernelIi19rocblas_complex_numIfELi16ELi32ELi8ELi1ELin1ELb0ELc84ELc85EKS1_S1_EviT_PT9_S3_lS5_S3_lPT10_S3_li,@function
_ZL37rocblas_syrkx_herkx_restricted_kernelIi19rocblas_complex_numIfELi16ELi32ELi8ELi1ELin1ELb0ELc84ELc85EKS1_S1_EviT_PT9_S3_lS5_S3_lPT10_S3_li: ; @_ZL37rocblas_syrkx_herkx_restricted_kernelIi19rocblas_complex_numIfELi16ELi32ELi8ELi1ELin1ELb0ELc84ELc85EKS1_S1_EviT_PT9_S3_lS5_S3_lPT10_S3_li
; %bb.0:
	s_clause 0x1
	s_load_b64 s[2:3], s[0:1], 0x0
	s_load_b128 s[4:7], s[0:1], 0x30
	v_dual_mov_b32 v15, 0 :: v_dual_and_b32 v6, 0x3ff, v0
	v_bfe_u32 v7, v0, 10, 10
	v_dual_mov_b32 v16, 0 :: v_dual_mov_b32 v11, 0
	v_dual_mov_b32 v12, 0 :: v_dual_mov_b32 v9, 0
	;; [unrolled: 1-line block ×3, first 2 shown]
	v_mov_b32_e32 v0, 0
	s_lshl_b32 s12, s13, 5
	s_lshl_b32 s13, s14, 5
	s_mov_b32 s14, 0
	s_waitcnt lgkmcnt(0)
	s_cmp_lt_i32 s3, 1
	s_cbranch_scc1 .LBB165_3
; %bb.1:
	s_clause 0x3
	s_load_b32 s18, s[0:1], 0x10
	s_load_b128 s[8:11], s[0:1], 0x18
	s_load_b64 s[16:17], s[0:1], 0x8
	s_load_b32 s19, s[0:1], 0x28
	v_lshl_add_u32 v2, v7, 4, v6
	v_dual_mov_b32 v1, 0 :: v_dual_and_b32 v0, 7, v6
	v_lshlrev_b32_e32 v10, 3, v6
	s_mul_i32 s5, s5, s15
	s_delay_alu instid0(VALU_DEP_3)
	v_lshrrev_b32_e32 v4, 3, v2
	v_and_b32_e32 v5, 31, v2
	v_lshlrev_b32_e32 v3, 3, v0
	v_lshrrev_b32_e32 v2, 5, v2
	v_lshl_add_u32 v17, v7, 6, 0x800
	v_add_nc_u32_e32 v12, s13, v4
	v_add_nc_u32_e32 v11, s12, v5
	v_lshl_or_b32 v9, v4, 6, v3
	v_dual_mov_b32 v3, v1 :: v_dual_lshlrev_b32 v8, 3, v5
	v_mov_b32_e32 v16, v1
	s_delay_alu instid0(VALU_DEP_3) | instskip(SKIP_1) | instid1(VALU_DEP_3)
	v_dual_mov_b32 v15, v1 :: v_dual_add_nc_u32 v14, 0x800, v9
	s_waitcnt lgkmcnt(0)
	v_mad_i64_i32 v[4:5], null, s18, v11, v[2:3]
	s_mul_i32 s9, s9, s15
	s_mul_hi_u32 s18, s8, s15
	v_mov_b32_e32 v9, v1
	v_lshl_or_b32 v13, v2, 8, v8
	v_mov_b32_e32 v11, v1
	v_mad_i64_i32 v[2:3], null, s19, v12, v[0:1]
	s_mul_i32 s8, s8, s15
	s_add_i32 s9, s18, s9
	v_lshlrev_b64 v[4:5], 3, v[4:5]
	s_lshl_b64 s[8:9], s[8:9], 3
	v_mov_b32_e32 v12, v1
	s_add_u32 s8, s16, s8
	s_mul_hi_u32 s16, s4, s15
	s_addc_u32 s9, s17, s9
	s_add_i32 s5, s16, s5
	s_mul_i32 s4, s4, s15
	v_lshlrev_b64 v[2:3], 3, v[2:3]
	s_lshl_b64 s[4:5], s[4:5], 3
	v_add_co_u32 v0, vcc_lo, s8, v4
	s_add_u32 s4, s10, s4
	v_add_co_ci_u32_e32 v4, vcc_lo, s9, v5, vcc_lo
	s_addc_u32 s5, s11, s5
	v_add_co_u32 v5, vcc_lo, s4, v2
	v_add_co_ci_u32_e32 v8, vcc_lo, s5, v3, vcc_lo
	v_add_co_u32 v2, vcc_lo, v0, 4
	v_add_co_ci_u32_e32 v3, vcc_lo, 0, v4, vcc_lo
	s_delay_alu instid0(VALU_DEP_4) | instskip(NEXT) | instid1(VALU_DEP_4)
	v_add_co_u32 v4, vcc_lo, v5, 4
	v_add_co_ci_u32_e32 v5, vcc_lo, 0, v8, vcc_lo
	v_mov_b32_e32 v0, v1
	v_mov_b32_e32 v8, v1
.LBB165_2:                              ; =>This Inner Loop Header: Depth=1
	global_load_b64 v[18:19], v[2:3], off offset:-4
	global_load_b64 v[20:21], v[4:5], off offset:-4
	v_add_co_u32 v2, vcc_lo, v2, 64
	v_add_co_ci_u32_e32 v3, vcc_lo, 0, v3, vcc_lo
	v_add_co_u32 v4, vcc_lo, v4, 64
	v_add_co_ci_u32_e32 v5, vcc_lo, 0, v5, vcc_lo
	s_add_i32 s14, s14, 8
	s_waitcnt vmcnt(1)
	ds_store_b64 v13, v[18:19]
	s_waitcnt vmcnt(0)
	ds_store_b64 v14, v[20:21]
	s_waitcnt lgkmcnt(0)
	s_barrier
	buffer_gl0_inv
	ds_load_2addr_b64 v[18:21], v10 offset1:16
	ds_load_b128 v[22:25], v17
	ds_load_b128 v[26:29], v17 offset:1024
	ds_load_b128 v[30:33], v17 offset:16
	ds_load_2addr_b64 v[34:37], v10 offset0:32 offset1:48
	ds_load_b128 v[38:41], v17 offset:32
	ds_load_b128 v[42:45], v17 offset:48
	ds_load_2addr_b64 v[46:49], v10 offset0:64 offset1:80
	ds_load_b128 v[50:53], v17 offset:1040
	ds_load_2addr_b64 v[54:57], v10 offset0:96 offset1:112
	ds_load_2addr_b64 v[58:61], v10 offset0:128 offset1:144
	;; [unrolled: 1-line block ×4, first 2 shown]
	ds_load_b128 v[70:73], v17 offset:1056
	ds_load_b128 v[74:77], v17 offset:1072
	ds_load_2addr_b64 v[78:81], v10 offset0:224 offset1:240
	s_cmp_ge_i32 s14, s3
	s_waitcnt lgkmcnt(0)
	s_barrier
	buffer_gl0_inv
	v_dual_mul_f32 v82, v23, v19 :: v_dual_mul_f32 v85, v22, v21
	v_dual_mul_f32 v83, v22, v19 :: v_dual_mul_f32 v84, v23, v21
	v_mul_f32_e32 v86, v27, v19
	v_dual_mul_f32 v19, v26, v19 :: v_dual_mul_f32 v90, v25, v37
	v_dual_mul_f32 v87, v27, v21 :: v_dual_mul_f32 v88, v25, v35
	v_mul_f32_e32 v21, v26, v21
	v_fma_f32 v82, v22, v18, -v82
	v_fmac_f32_e32 v83, v23, v18
	v_fma_f32 v22, v22, v20, -v84
	v_fmac_f32_e32 v85, v23, v20
	v_fma_f32 v23, v26, v18, -v86
	v_dual_fmac_f32 v19, v27, v18 :: v_dual_mul_f32 v86, v30, v47
	v_fma_f32 v18, v26, v20, -v87
	v_dual_fmac_f32 v21, v27, v20 :: v_dual_mul_f32 v20, v24, v37
	v_mul_f32_e32 v89, v24, v35
	v_mul_f32_e32 v26, v29, v35
	;; [unrolled: 1-line block ×4, first 2 shown]
	v_fmac_f32_e32 v20, v25, v36
	v_fmac_f32_e32 v89, v25, v34
	v_dual_mul_f32 v25, v28, v37 :: v_dual_fmac_f32 v86, v31, v46
	v_fma_f32 v84, v24, v34, -v88
	v_fma_f32 v24, v24, v36, -v90
	v_dual_mul_f32 v37, v31, v47 :: v_dual_mul_f32 v90, v33, v57
	v_fma_f32 v26, v28, v34, -v26
	v_fma_f32 v28, v28, v36, -v35
	v_fmac_f32_e32 v25, v29, v36
	v_dual_mul_f32 v35, v50, v47 :: v_dual_mul_f32 v36, v51, v49
	v_dual_fmac_f32 v27, v29, v34 :: v_dual_mul_f32 v34, v51, v47
	v_dual_mul_f32 v88, v32, v55 :: v_dual_mul_f32 v29, v30, v49
	v_mul_f32_e32 v87, v31, v49
	v_fma_f32 v37, v30, v46, -v37
	v_add_f32_e32 v16, v16, v83
	s_delay_alu instid0(VALU_DEP_4)
	v_dual_fmac_f32 v88, v33, v54 :: v_dual_fmac_f32 v29, v31, v48
	v_fma_f32 v31, v50, v46, -v34
	v_fma_f32 v34, v50, v48, -v36
	v_mul_f32_e32 v36, v32, v57
	v_mul_f32_e32 v47, v50, v49
	v_dual_mul_f32 v50, v53, v57 :: v_dual_fmac_f32 v35, v51, v46
	v_mul_f32_e32 v46, v53, v55
	v_mul_f32_e32 v49, v33, v55
	v_fma_f32 v30, v30, v48, -v87
	v_fmac_f32_e32 v36, v33, v56
	v_dual_fmac_f32 v47, v51, v48 :: v_dual_mul_f32 v48, v52, v55
	v_mul_f32_e32 v33, v52, v57
	v_fma_f32 v46, v52, v54, -v46
	v_fma_f32 v50, v52, v56, -v50
	v_mul_f32_e32 v52, v38, v61
	v_fma_f32 v49, v32, v54, -v49
	v_fma_f32 v32, v32, v56, -v90
	v_dual_mul_f32 v51, v39, v59 :: v_dual_fmac_f32 v48, v53, v54
	v_mul_f32_e32 v54, v70, v59
	v_dual_mul_f32 v55, v38, v59 :: v_dual_fmac_f32 v52, v39, v60
	v_fmac_f32_e32 v33, v53, v56
	v_mul_f32_e32 v53, v71, v59
	v_mul_f32_e32 v56, v71, v61
	;; [unrolled: 1-line block ×3, first 2 shown]
	v_fmac_f32_e32 v54, v71, v58
	v_fmac_f32_e32 v55, v39, v58
	v_fma_f32 v39, v70, v58, -v53
	v_fma_f32 v53, v70, v60, -v56
	v_mul_f32_e32 v56, v40, v65
	v_mul_f32_e32 v59, v70, v61
	v_fma_f32 v51, v38, v58, -v51
	v_mul_f32_e32 v58, v72, v63
	v_mul_f32_e32 v87, v40, v63
	;; [unrolled: 1-line block ×4, first 2 shown]
	v_fma_f32 v38, v38, v60, -v57
	v_mul_f32_e32 v57, v73, v63
	v_fmac_f32_e32 v56, v41, v64
	v_dual_fmac_f32 v59, v71, v60 :: v_dual_mul_f32 v60, v73, v65
	v_mul_f32_e32 v63, v43, v67
	v_mul_f32_e32 v70, v43, v69
	v_fmac_f32_e32 v58, v73, v62
	v_fmac_f32_e32 v87, v41, v62
	v_mul_f32_e32 v41, v72, v65
	v_fma_f32 v61, v40, v62, -v61
	v_fma_f32 v40, v40, v64, -v90
	v_mul_f32_e32 v65, v42, v67
	v_fma_f32 v57, v72, v62, -v57
	v_fma_f32 v60, v72, v64, -v60
	v_dual_fmac_f32 v41, v73, v64 :: v_dual_mul_f32 v62, v42, v69
	v_mul_f32_e32 v64, v75, v67
	v_fma_f32 v63, v42, v66, -v63
	v_fma_f32 v42, v42, v68, -v70
	v_mul_f32_e32 v70, v76, v79
	v_mul_f32_e32 v67, v74, v67
	;; [unrolled: 1-line block ×3, first 2 shown]
	v_dual_mul_f32 v69, v74, v69 :: v_dual_add_f32 v12, v12, v22
	v_mul_f32_e32 v73, v44, v79
	v_dual_fmac_f32 v65, v43, v66 :: v_dual_add_f32 v8, v8, v19
	v_fmac_f32_e32 v62, v43, v68
	v_fma_f32 v43, v74, v66, -v64
	v_fmac_f32_e32 v70, v77, v78
	v_dual_fmac_f32 v67, v75, v66 :: v_dual_add_f32 v16, v16, v89
	v_mul_f32_e32 v66, v44, v81
	v_mul_f32_e32 v72, v45, v79
	v_dual_mul_f32 v90, v45, v81 :: v_dual_fmac_f32 v69, v75, v68
	v_add_f32_e32 v0, v0, v18
	v_dual_fmac_f32 v73, v45, v78 :: v_dual_add_f32 v8, v8, v27
	v_dual_fmac_f32 v66, v45, v80 :: v_dual_mul_f32 v45, v76, v81
	v_fma_f32 v64, v74, v68, -v71
	v_dual_mul_f32 v71, v77, v81 :: v_dual_add_f32 v12, v12, v24
	v_dual_add_f32 v15, v15, v82 :: v_dual_add_f32 v0, v0, v28
	s_delay_alu instid0(VALU_DEP_4) | instskip(NEXT) | instid1(VALU_DEP_3)
	v_dual_fmac_f32 v45, v77, v80 :: v_dual_add_f32 v16, v16, v86
	v_dual_add_f32 v11, v11, v85 :: v_dual_add_f32 v12, v12, v30
	s_delay_alu instid0(VALU_DEP_3) | instskip(SKIP_2) | instid1(VALU_DEP_3)
	v_dual_add_f32 v9, v9, v23 :: v_dual_add_f32 v0, v0, v34
	v_dual_add_f32 v1, v1, v21 :: v_dual_add_f32 v8, v8, v35
	v_add_f32_e32 v15, v15, v84
	v_dual_add_f32 v9, v9, v26 :: v_dual_add_f32 v16, v16, v88
	v_add_f32_e32 v11, v11, v20
	s_delay_alu instid0(VALU_DEP_4) | instskip(NEXT) | instid1(VALU_DEP_3)
	v_dual_add_f32 v1, v1, v25 :: v_dual_add_f32 v12, v12, v32
	v_dual_add_f32 v8, v8, v48 :: v_dual_add_f32 v9, v9, v31
	;; [unrolled: 1-line block ×3, first 2 shown]
	s_delay_alu instid0(VALU_DEP_3) | instskip(SKIP_1) | instid1(VALU_DEP_3)
	v_add_f32_e32 v1, v1, v47
	v_dual_add_f32 v16, v16, v55 :: v_dual_add_f32 v11, v11, v29
	v_dual_add_f32 v12, v12, v38 :: v_dual_add_f32 v15, v15, v49
	v_add_f32_e32 v8, v8, v54
	s_delay_alu instid0(VALU_DEP_3) | instskip(NEXT) | instid1(VALU_DEP_3)
	v_dual_add_f32 v16, v16, v87 :: v_dual_add_f32 v11, v11, v36
	v_dual_add_f32 v9, v9, v46 :: v_dual_add_f32 v12, v12, v40
	v_add_f32_e32 v0, v0, v53
	v_add_f32_e32 v1, v1, v33
	s_delay_alu instid0(VALU_DEP_4) | instskip(SKIP_3) | instid1(VALU_DEP_4)
	v_dual_add_f32 v15, v15, v51 :: v_dual_add_f32 v16, v16, v65
	v_dual_add_f32 v8, v8, v58 :: v_dual_add_f32 v11, v11, v52
	v_add_f32_e32 v12, v12, v42
	v_dual_add_f32 v0, v0, v60 :: v_dual_add_f32 v9, v9, v39
	v_dual_add_f32 v1, v1, v59 :: v_dual_add_f32 v16, v16, v73
	v_mul_f32_e32 v68, v77, v79
	v_fma_f32 v72, v44, v78, -v72
	v_fma_f32 v44, v44, v80, -v90
	;; [unrolled: 1-line block ×3, first 2 shown]
	v_dual_add_f32 v15, v15, v61 :: v_dual_add_f32 v8, v8, v67
	v_add_f32_e32 v11, v11, v56
	v_dual_add_f32 v0, v0, v64 :: v_dual_add_f32 v9, v9, v57
	v_dual_add_f32 v12, v12, v44 :: v_dual_add_f32 v1, v1, v41
	v_fma_f32 v68, v76, v78, -v68
	s_delay_alu instid0(VALU_DEP_3) | instskip(SKIP_4) | instid1(VALU_DEP_4)
	v_add_f32_e32 v0, v0, v71
	v_add_f32_e32 v15, v15, v63
	;; [unrolled: 1-line block ×3, first 2 shown]
	v_dual_add_f32 v1, v1, v69 :: v_dual_add_f32 v8, v8, v70
	v_add_f32_e32 v11, v11, v62
	v_add_f32_e32 v15, v15, v72
	s_delay_alu instid0(VALU_DEP_4) | instskip(NEXT) | instid1(VALU_DEP_4)
	v_add_f32_e32 v9, v9, v68
	v_add_f32_e32 v1, v1, v45
	s_delay_alu instid0(VALU_DEP_4)
	v_add_f32_e32 v11, v11, v66
	s_cbranch_scc0 .LBB165_2
.LBB165_3:
	s_clause 0x1
	s_load_b32 s3, s[0:1], 0x40
	s_load_b64 s[0:1], s[0:1], 0x48
	v_add_nc_u32_e32 v7, s13, v7
	v_add_nc_u32_e32 v2, s12, v6
	s_delay_alu instid0(VALU_DEP_2)
	v_cmp_gt_i32_e32 vcc_lo, s2, v7
	s_waitcnt lgkmcnt(0)
	v_mad_i64_i32 v[3:4], null, v7, s3, 0
	s_mul_i32 s1, s15, s1
	s_mul_hi_u32 s4, s15, s0
	s_mul_i32 s0, s15, s0
	s_add_i32 s1, s4, s1
	s_delay_alu instid0(SALU_CYCLE_1) | instskip(NEXT) | instid1(VALU_DEP_1)
	s_lshl_b64 s[4:5], s[0:1], 3
	v_lshlrev_b64 v[3:4], 3, v[3:4]
	s_add_u32 s4, s6, s4
	v_cmp_le_i32_e64 s0, v2, v7
	s_addc_u32 s5, s7, s5
	s_delay_alu instid0(VALU_DEP_2) | instskip(NEXT) | instid1(VALU_DEP_1)
	v_add_co_u32 v6, s1, s4, v3
	v_add_co_ci_u32_e64 v10, s1, s5, v4, s1
	s_delay_alu instid0(VALU_DEP_3) | instskip(NEXT) | instid1(SALU_CYCLE_1)
	s_and_b32 s0, vcc_lo, s0
	s_and_saveexec_b32 s1, s0
	s_cbranch_execz .LBB165_5
; %bb.4:
	v_ashrrev_i32_e32 v3, 31, v2
	s_delay_alu instid0(VALU_DEP_1) | instskip(NEXT) | instid1(VALU_DEP_1)
	v_lshlrev_b64 v[3:4], 3, v[2:3]
	v_add_co_u32 v3, s0, v6, v3
	s_delay_alu instid0(VALU_DEP_1)
	v_add_co_ci_u32_e64 v4, s0, v10, v4, s0
	global_load_b64 v[13:14], v[3:4], off
	s_waitcnt vmcnt(0)
	v_dual_sub_f32 v13, v15, v13 :: v_dual_sub_f32 v14, v16, v14
	global_store_b64 v[3:4], v[13:14], off
.LBB165_5:
	s_or_b32 exec_lo, exec_lo, s1
	v_add_nc_u32_e32 v4, 16, v2
	s_delay_alu instid0(VALU_DEP_1) | instskip(NEXT) | instid1(VALU_DEP_1)
	v_cmp_le_i32_e64 s0, v4, v7
	s_and_b32 s1, vcc_lo, s0
	s_delay_alu instid0(SALU_CYCLE_1)
	s_and_saveexec_b32 s0, s1
	s_cbranch_execz .LBB165_7
; %bb.6:
	v_ashrrev_i32_e32 v5, 31, v4
	s_delay_alu instid0(VALU_DEP_1) | instskip(NEXT) | instid1(VALU_DEP_1)
	v_lshlrev_b64 v[13:14], 3, v[4:5]
	v_add_co_u32 v5, vcc_lo, v6, v13
	s_delay_alu instid0(VALU_DEP_2)
	v_add_co_ci_u32_e32 v6, vcc_lo, v10, v14, vcc_lo
	global_load_b64 v[13:14], v[5:6], off
	s_waitcnt vmcnt(0)
	v_dual_sub_f32 v10, v12, v13 :: v_dual_sub_f32 v11, v11, v14
	global_store_b64 v[5:6], v[10:11], off
.LBB165_7:
	s_or_b32 exec_lo, exec_lo, s0
	v_add_nc_u32_e32 v5, 16, v7
	s_delay_alu instid0(VALU_DEP_1) | instskip(SKIP_2) | instid1(VALU_DEP_1)
	v_mad_i64_i32 v[6:7], null, v5, s3, 0
	v_cmp_gt_i32_e32 vcc_lo, s2, v5
	v_cmp_le_i32_e64 s0, v2, v5
	s_and_b32 s0, vcc_lo, s0
	s_delay_alu instid0(VALU_DEP_3) | instskip(NEXT) | instid1(VALU_DEP_1)
	v_lshlrev_b64 v[6:7], 3, v[6:7]
	v_add_co_u32 v6, s1, s4, v6
	s_delay_alu instid0(VALU_DEP_1)
	v_add_co_ci_u32_e64 v7, s1, s5, v7, s1
	s_and_saveexec_b32 s1, s0
	s_cbranch_execz .LBB165_9
; %bb.8:
	v_ashrrev_i32_e32 v3, 31, v2
	s_delay_alu instid0(VALU_DEP_1) | instskip(NEXT) | instid1(VALU_DEP_1)
	v_lshlrev_b64 v[2:3], 3, v[2:3]
	v_add_co_u32 v2, s0, v6, v2
	s_delay_alu instid0(VALU_DEP_1)
	v_add_co_ci_u32_e64 v3, s0, v7, v3, s0
	global_load_b64 v[10:11], v[2:3], off
	s_waitcnt vmcnt(0)
	v_dual_sub_f32 v9, v9, v10 :: v_dual_sub_f32 v10, v8, v11
	global_store_b64 v[2:3], v[9:10], off
.LBB165_9:
	s_or_b32 exec_lo, exec_lo, s1
	v_cmp_le_i32_e64 s0, v4, v5
	s_delay_alu instid0(VALU_DEP_1) | instskip(NEXT) | instid1(SALU_CYCLE_1)
	s_and_b32 s0, vcc_lo, s0
	s_and_saveexec_b32 s1, s0
	s_cbranch_execz .LBB165_11
; %bb.10:
	v_ashrrev_i32_e32 v5, 31, v4
	s_delay_alu instid0(VALU_DEP_1) | instskip(NEXT) | instid1(VALU_DEP_1)
	v_lshlrev_b64 v[2:3], 3, v[4:5]
	v_add_co_u32 v2, vcc_lo, v6, v2
	s_delay_alu instid0(VALU_DEP_2)
	v_add_co_ci_u32_e32 v3, vcc_lo, v7, v3, vcc_lo
	global_load_b64 v[4:5], v[2:3], off
	s_waitcnt vmcnt(0)
	v_dual_sub_f32 v0, v0, v4 :: v_dual_sub_f32 v1, v1, v5
	global_store_b64 v[2:3], v[0:1], off
.LBB165_11:
	s_nop 0
	s_sendmsg sendmsg(MSG_DEALLOC_VGPRS)
	s_endpgm
	.section	.rodata,"a",@progbits
	.p2align	6, 0x0
	.amdhsa_kernel _ZL37rocblas_syrkx_herkx_restricted_kernelIi19rocblas_complex_numIfELi16ELi32ELi8ELi1ELin1ELb0ELc84ELc85EKS1_S1_EviT_PT9_S3_lS5_S3_lPT10_S3_li
		.amdhsa_group_segment_fixed_size 4096
		.amdhsa_private_segment_fixed_size 0
		.amdhsa_kernarg_size 84
		.amdhsa_user_sgpr_count 13
		.amdhsa_user_sgpr_dispatch_ptr 0
		.amdhsa_user_sgpr_queue_ptr 0
		.amdhsa_user_sgpr_kernarg_segment_ptr 1
		.amdhsa_user_sgpr_dispatch_id 0
		.amdhsa_user_sgpr_private_segment_size 0
		.amdhsa_wavefront_size32 1
		.amdhsa_uses_dynamic_stack 0
		.amdhsa_enable_private_segment 0
		.amdhsa_system_sgpr_workgroup_id_x 1
		.amdhsa_system_sgpr_workgroup_id_y 1
		.amdhsa_system_sgpr_workgroup_id_z 1
		.amdhsa_system_sgpr_workgroup_info 0
		.amdhsa_system_vgpr_workitem_id 1
		.amdhsa_next_free_vgpr 91
		.amdhsa_next_free_sgpr 20
		.amdhsa_reserve_vcc 1
		.amdhsa_float_round_mode_32 0
		.amdhsa_float_round_mode_16_64 0
		.amdhsa_float_denorm_mode_32 3
		.amdhsa_float_denorm_mode_16_64 3
		.amdhsa_dx10_clamp 1
		.amdhsa_ieee_mode 1
		.amdhsa_fp16_overflow 0
		.amdhsa_workgroup_processor_mode 1
		.amdhsa_memory_ordered 1
		.amdhsa_forward_progress 0
		.amdhsa_shared_vgpr_count 0
		.amdhsa_exception_fp_ieee_invalid_op 0
		.amdhsa_exception_fp_denorm_src 0
		.amdhsa_exception_fp_ieee_div_zero 0
		.amdhsa_exception_fp_ieee_overflow 0
		.amdhsa_exception_fp_ieee_underflow 0
		.amdhsa_exception_fp_ieee_inexact 0
		.amdhsa_exception_int_div_zero 0
	.end_amdhsa_kernel
	.section	.text._ZL37rocblas_syrkx_herkx_restricted_kernelIi19rocblas_complex_numIfELi16ELi32ELi8ELi1ELin1ELb0ELc84ELc85EKS1_S1_EviT_PT9_S3_lS5_S3_lPT10_S3_li,"axG",@progbits,_ZL37rocblas_syrkx_herkx_restricted_kernelIi19rocblas_complex_numIfELi16ELi32ELi8ELi1ELin1ELb0ELc84ELc85EKS1_S1_EviT_PT9_S3_lS5_S3_lPT10_S3_li,comdat
.Lfunc_end165:
	.size	_ZL37rocblas_syrkx_herkx_restricted_kernelIi19rocblas_complex_numIfELi16ELi32ELi8ELi1ELin1ELb0ELc84ELc85EKS1_S1_EviT_PT9_S3_lS5_S3_lPT10_S3_li, .Lfunc_end165-_ZL37rocblas_syrkx_herkx_restricted_kernelIi19rocblas_complex_numIfELi16ELi32ELi8ELi1ELin1ELb0ELc84ELc85EKS1_S1_EviT_PT9_S3_lS5_S3_lPT10_S3_li
                                        ; -- End function
	.section	.AMDGPU.csdata,"",@progbits
; Kernel info:
; codeLenInByte = 2100
; NumSgprs: 22
; NumVgprs: 91
; ScratchSize: 0
; MemoryBound: 0
; FloatMode: 240
; IeeeMode: 1
; LDSByteSize: 4096 bytes/workgroup (compile time only)
; SGPRBlocks: 2
; VGPRBlocks: 11
; NumSGPRsForWavesPerEU: 22
; NumVGPRsForWavesPerEU: 91
; Occupancy: 16
; WaveLimiterHint : 0
; COMPUTE_PGM_RSRC2:SCRATCH_EN: 0
; COMPUTE_PGM_RSRC2:USER_SGPR: 13
; COMPUTE_PGM_RSRC2:TRAP_HANDLER: 0
; COMPUTE_PGM_RSRC2:TGID_X_EN: 1
; COMPUTE_PGM_RSRC2:TGID_Y_EN: 1
; COMPUTE_PGM_RSRC2:TGID_Z_EN: 1
; COMPUTE_PGM_RSRC2:TIDIG_COMP_CNT: 1
	.section	.text._ZL37rocblas_syrkx_herkx_restricted_kernelIi19rocblas_complex_numIfELi16ELi32ELi8ELi1ELin1ELb0ELc67ELc85EKS1_S1_EviT_PT9_S3_lS5_S3_lPT10_S3_li,"axG",@progbits,_ZL37rocblas_syrkx_herkx_restricted_kernelIi19rocblas_complex_numIfELi16ELi32ELi8ELi1ELin1ELb0ELc67ELc85EKS1_S1_EviT_PT9_S3_lS5_S3_lPT10_S3_li,comdat
	.globl	_ZL37rocblas_syrkx_herkx_restricted_kernelIi19rocblas_complex_numIfELi16ELi32ELi8ELi1ELin1ELb0ELc67ELc85EKS1_S1_EviT_PT9_S3_lS5_S3_lPT10_S3_li ; -- Begin function _ZL37rocblas_syrkx_herkx_restricted_kernelIi19rocblas_complex_numIfELi16ELi32ELi8ELi1ELin1ELb0ELc67ELc85EKS1_S1_EviT_PT9_S3_lS5_S3_lPT10_S3_li
	.p2align	8
	.type	_ZL37rocblas_syrkx_herkx_restricted_kernelIi19rocblas_complex_numIfELi16ELi32ELi8ELi1ELin1ELb0ELc67ELc85EKS1_S1_EviT_PT9_S3_lS5_S3_lPT10_S3_li,@function
_ZL37rocblas_syrkx_herkx_restricted_kernelIi19rocblas_complex_numIfELi16ELi32ELi8ELi1ELin1ELb0ELc67ELc85EKS1_S1_EviT_PT9_S3_lS5_S3_lPT10_S3_li: ; @_ZL37rocblas_syrkx_herkx_restricted_kernelIi19rocblas_complex_numIfELi16ELi32ELi8ELi1ELin1ELb0ELc67ELc85EKS1_S1_EviT_PT9_S3_lS5_S3_lPT10_S3_li
; %bb.0:
	s_clause 0x1
	s_load_b64 s[2:3], s[0:1], 0x0
	s_load_b128 s[4:7], s[0:1], 0x30
	v_dual_mov_b32 v15, 0 :: v_dual_and_b32 v6, 0x3ff, v0
	v_bfe_u32 v7, v0, 10, 10
	v_dual_mov_b32 v16, 0 :: v_dual_mov_b32 v11, 0
	v_dual_mov_b32 v12, 0 :: v_dual_mov_b32 v9, 0
	;; [unrolled: 1-line block ×3, first 2 shown]
	v_mov_b32_e32 v0, 0
	s_lshl_b32 s12, s13, 5
	s_lshl_b32 s13, s14, 5
	s_mov_b32 s14, 0
	s_waitcnt lgkmcnt(0)
	s_cmp_lt_i32 s3, 1
	s_cbranch_scc1 .LBB166_3
; %bb.1:
	s_clause 0x3
	s_load_b32 s18, s[0:1], 0x10
	s_load_b128 s[8:11], s[0:1], 0x18
	s_load_b64 s[16:17], s[0:1], 0x8
	s_load_b32 s19, s[0:1], 0x28
	v_lshl_add_u32 v2, v7, 4, v6
	v_dual_mov_b32 v1, 0 :: v_dual_and_b32 v0, 7, v6
	v_lshlrev_b32_e32 v10, 3, v6
	s_mul_i32 s5, s5, s15
	s_delay_alu instid0(VALU_DEP_3)
	v_lshrrev_b32_e32 v4, 3, v2
	v_and_b32_e32 v5, 31, v2
	v_lshlrev_b32_e32 v3, 3, v0
	v_lshrrev_b32_e32 v2, 5, v2
	v_lshl_add_u32 v17, v7, 6, 0x800
	v_add_nc_u32_e32 v12, s13, v4
	v_add_nc_u32_e32 v11, s12, v5
	v_lshl_or_b32 v9, v4, 6, v3
	v_dual_mov_b32 v3, v1 :: v_dual_lshlrev_b32 v8, 3, v5
	v_mov_b32_e32 v16, v1
	s_delay_alu instid0(VALU_DEP_3) | instskip(SKIP_1) | instid1(VALU_DEP_3)
	v_dual_mov_b32 v15, v1 :: v_dual_add_nc_u32 v14, 0x800, v9
	s_waitcnt lgkmcnt(0)
	v_mad_i64_i32 v[4:5], null, s18, v11, v[2:3]
	s_mul_i32 s9, s9, s15
	s_mul_hi_u32 s18, s8, s15
	v_mov_b32_e32 v9, v1
	v_lshl_or_b32 v13, v2, 8, v8
	v_mov_b32_e32 v11, v1
	v_mad_i64_i32 v[2:3], null, s19, v12, v[0:1]
	s_mul_i32 s8, s8, s15
	s_add_i32 s9, s18, s9
	v_lshlrev_b64 v[4:5], 3, v[4:5]
	s_lshl_b64 s[8:9], s[8:9], 3
	v_mov_b32_e32 v12, v1
	s_add_u32 s8, s16, s8
	s_mul_hi_u32 s16, s4, s15
	s_addc_u32 s9, s17, s9
	s_add_i32 s5, s16, s5
	s_mul_i32 s4, s4, s15
	v_lshlrev_b64 v[2:3], 3, v[2:3]
	s_lshl_b64 s[4:5], s[4:5], 3
	v_add_co_u32 v0, vcc_lo, s8, v4
	s_add_u32 s4, s10, s4
	v_add_co_ci_u32_e32 v4, vcc_lo, s9, v5, vcc_lo
	s_addc_u32 s5, s11, s5
	v_add_co_u32 v5, vcc_lo, s4, v2
	v_add_co_ci_u32_e32 v8, vcc_lo, s5, v3, vcc_lo
	v_add_co_u32 v2, vcc_lo, v0, 4
	v_add_co_ci_u32_e32 v3, vcc_lo, 0, v4, vcc_lo
	s_delay_alu instid0(VALU_DEP_4) | instskip(NEXT) | instid1(VALU_DEP_4)
	v_add_co_u32 v4, vcc_lo, v5, 4
	v_add_co_ci_u32_e32 v5, vcc_lo, 0, v8, vcc_lo
	v_mov_b32_e32 v0, v1
	v_mov_b32_e32 v8, v1
.LBB166_2:                              ; =>This Inner Loop Header: Depth=1
	global_load_b64 v[18:19], v[2:3], off offset:-4
	global_load_b64 v[20:21], v[4:5], off offset:-4
	v_add_co_u32 v2, vcc_lo, v2, 64
	v_add_co_ci_u32_e32 v3, vcc_lo, 0, v3, vcc_lo
	v_add_co_u32 v4, vcc_lo, v4, 64
	v_add_co_ci_u32_e32 v5, vcc_lo, 0, v5, vcc_lo
	s_add_i32 s14, s14, 8
	s_waitcnt vmcnt(1)
	ds_store_b64 v13, v[18:19]
	s_waitcnt vmcnt(0)
	ds_store_b64 v14, v[20:21]
	s_waitcnt lgkmcnt(0)
	s_barrier
	buffer_gl0_inv
	ds_load_2addr_b64 v[18:21], v10 offset1:16
	ds_load_b128 v[22:25], v17
	ds_load_b128 v[26:29], v17 offset:1024
	ds_load_b128 v[30:33], v17 offset:16
	ds_load_2addr_b64 v[34:37], v10 offset0:32 offset1:48
	ds_load_b128 v[38:41], v17 offset:32
	ds_load_b128 v[42:45], v17 offset:48
	ds_load_2addr_b64 v[46:49], v10 offset0:64 offset1:80
	ds_load_b128 v[50:53], v17 offset:1040
	ds_load_2addr_b64 v[54:57], v10 offset0:96 offset1:112
	ds_load_2addr_b64 v[58:61], v10 offset0:128 offset1:144
	;; [unrolled: 1-line block ×4, first 2 shown]
	ds_load_b128 v[70:73], v17 offset:1056
	ds_load_b128 v[74:77], v17 offset:1072
	ds_load_2addr_b64 v[78:81], v10 offset0:224 offset1:240
	s_cmp_ge_i32 s14, s3
	s_waitcnt lgkmcnt(0)
	s_barrier
	buffer_gl0_inv
	v_dual_mul_f32 v82, v23, v19 :: v_dual_mul_f32 v85, v22, v21
	v_dual_mul_f32 v83, v22, v19 :: v_dual_mul_f32 v84, v23, v21
	v_mul_f32_e32 v86, v27, v19
	v_dual_mul_f32 v19, v26, v19 :: v_dual_mul_f32 v90, v25, v37
	v_dual_mul_f32 v87, v27, v21 :: v_dual_mul_f32 v88, v25, v35
	v_mul_f32_e32 v21, v26, v21
	v_fma_f32 v82, v22, v18, -v82
	v_fmac_f32_e32 v83, v23, v18
	v_fma_f32 v22, v22, v20, -v84
	v_fmac_f32_e32 v85, v23, v20
	v_fma_f32 v23, v26, v18, -v86
	v_dual_fmac_f32 v19, v27, v18 :: v_dual_mul_f32 v86, v30, v47
	v_fma_f32 v18, v26, v20, -v87
	v_dual_fmac_f32 v21, v27, v20 :: v_dual_mul_f32 v20, v24, v37
	v_mul_f32_e32 v89, v24, v35
	v_mul_f32_e32 v26, v29, v35
	;; [unrolled: 1-line block ×4, first 2 shown]
	v_fmac_f32_e32 v20, v25, v36
	v_fmac_f32_e32 v89, v25, v34
	v_dual_mul_f32 v25, v28, v37 :: v_dual_fmac_f32 v86, v31, v46
	v_fma_f32 v84, v24, v34, -v88
	v_fma_f32 v24, v24, v36, -v90
	v_dual_mul_f32 v37, v31, v47 :: v_dual_mul_f32 v90, v33, v57
	v_fma_f32 v26, v28, v34, -v26
	v_fma_f32 v28, v28, v36, -v35
	v_fmac_f32_e32 v25, v29, v36
	v_dual_mul_f32 v35, v50, v47 :: v_dual_mul_f32 v36, v51, v49
	v_dual_fmac_f32 v27, v29, v34 :: v_dual_mul_f32 v34, v51, v47
	v_dual_mul_f32 v88, v32, v55 :: v_dual_mul_f32 v29, v30, v49
	v_mul_f32_e32 v87, v31, v49
	v_fma_f32 v37, v30, v46, -v37
	v_add_f32_e32 v16, v16, v83
	s_delay_alu instid0(VALU_DEP_4)
	v_dual_fmac_f32 v88, v33, v54 :: v_dual_fmac_f32 v29, v31, v48
	v_fma_f32 v31, v50, v46, -v34
	v_fma_f32 v34, v50, v48, -v36
	v_mul_f32_e32 v36, v32, v57
	v_mul_f32_e32 v47, v50, v49
	v_dual_mul_f32 v50, v53, v57 :: v_dual_fmac_f32 v35, v51, v46
	v_mul_f32_e32 v46, v53, v55
	v_mul_f32_e32 v49, v33, v55
	v_fma_f32 v30, v30, v48, -v87
	v_fmac_f32_e32 v36, v33, v56
	v_dual_fmac_f32 v47, v51, v48 :: v_dual_mul_f32 v48, v52, v55
	v_mul_f32_e32 v33, v52, v57
	v_fma_f32 v46, v52, v54, -v46
	v_fma_f32 v50, v52, v56, -v50
	v_mul_f32_e32 v52, v38, v61
	v_fma_f32 v49, v32, v54, -v49
	v_fma_f32 v32, v32, v56, -v90
	v_dual_mul_f32 v51, v39, v59 :: v_dual_fmac_f32 v48, v53, v54
	v_mul_f32_e32 v54, v70, v59
	v_dual_mul_f32 v55, v38, v59 :: v_dual_fmac_f32 v52, v39, v60
	v_fmac_f32_e32 v33, v53, v56
	v_mul_f32_e32 v53, v71, v59
	v_mul_f32_e32 v56, v71, v61
	;; [unrolled: 1-line block ×3, first 2 shown]
	v_fmac_f32_e32 v54, v71, v58
	v_fmac_f32_e32 v55, v39, v58
	v_fma_f32 v39, v70, v58, -v53
	v_fma_f32 v53, v70, v60, -v56
	v_mul_f32_e32 v56, v40, v65
	v_mul_f32_e32 v59, v70, v61
	v_fma_f32 v51, v38, v58, -v51
	v_mul_f32_e32 v58, v72, v63
	v_mul_f32_e32 v87, v40, v63
	;; [unrolled: 1-line block ×4, first 2 shown]
	v_fma_f32 v38, v38, v60, -v57
	v_mul_f32_e32 v57, v73, v63
	v_fmac_f32_e32 v56, v41, v64
	v_dual_fmac_f32 v59, v71, v60 :: v_dual_mul_f32 v60, v73, v65
	v_mul_f32_e32 v63, v43, v67
	v_mul_f32_e32 v70, v43, v69
	v_fmac_f32_e32 v58, v73, v62
	v_fmac_f32_e32 v87, v41, v62
	v_mul_f32_e32 v41, v72, v65
	v_fma_f32 v61, v40, v62, -v61
	v_fma_f32 v40, v40, v64, -v90
	v_mul_f32_e32 v65, v42, v67
	v_fma_f32 v57, v72, v62, -v57
	v_fma_f32 v60, v72, v64, -v60
	v_dual_fmac_f32 v41, v73, v64 :: v_dual_mul_f32 v62, v42, v69
	v_mul_f32_e32 v64, v75, v67
	v_fma_f32 v63, v42, v66, -v63
	v_fma_f32 v42, v42, v68, -v70
	v_mul_f32_e32 v70, v76, v79
	v_mul_f32_e32 v67, v74, v67
	;; [unrolled: 1-line block ×3, first 2 shown]
	v_dual_mul_f32 v69, v74, v69 :: v_dual_add_f32 v12, v12, v22
	v_mul_f32_e32 v73, v44, v79
	v_dual_fmac_f32 v65, v43, v66 :: v_dual_add_f32 v8, v8, v19
	v_fmac_f32_e32 v62, v43, v68
	v_fma_f32 v43, v74, v66, -v64
	v_fmac_f32_e32 v70, v77, v78
	v_dual_fmac_f32 v67, v75, v66 :: v_dual_add_f32 v16, v16, v89
	v_mul_f32_e32 v66, v44, v81
	v_mul_f32_e32 v72, v45, v79
	v_dual_mul_f32 v90, v45, v81 :: v_dual_fmac_f32 v69, v75, v68
	v_add_f32_e32 v0, v0, v18
	v_dual_fmac_f32 v73, v45, v78 :: v_dual_add_f32 v8, v8, v27
	v_dual_fmac_f32 v66, v45, v80 :: v_dual_mul_f32 v45, v76, v81
	v_fma_f32 v64, v74, v68, -v71
	v_dual_mul_f32 v71, v77, v81 :: v_dual_add_f32 v12, v12, v24
	v_dual_add_f32 v15, v15, v82 :: v_dual_add_f32 v0, v0, v28
	s_delay_alu instid0(VALU_DEP_4) | instskip(NEXT) | instid1(VALU_DEP_3)
	v_dual_fmac_f32 v45, v77, v80 :: v_dual_add_f32 v16, v16, v86
	v_dual_add_f32 v11, v11, v85 :: v_dual_add_f32 v12, v12, v30
	s_delay_alu instid0(VALU_DEP_3) | instskip(SKIP_2) | instid1(VALU_DEP_3)
	v_dual_add_f32 v9, v9, v23 :: v_dual_add_f32 v0, v0, v34
	v_dual_add_f32 v1, v1, v21 :: v_dual_add_f32 v8, v8, v35
	v_add_f32_e32 v15, v15, v84
	v_dual_add_f32 v9, v9, v26 :: v_dual_add_f32 v16, v16, v88
	v_add_f32_e32 v11, v11, v20
	s_delay_alu instid0(VALU_DEP_4) | instskip(NEXT) | instid1(VALU_DEP_3)
	v_dual_add_f32 v1, v1, v25 :: v_dual_add_f32 v12, v12, v32
	v_dual_add_f32 v8, v8, v48 :: v_dual_add_f32 v9, v9, v31
	;; [unrolled: 1-line block ×3, first 2 shown]
	s_delay_alu instid0(VALU_DEP_3) | instskip(SKIP_1) | instid1(VALU_DEP_3)
	v_add_f32_e32 v1, v1, v47
	v_dual_add_f32 v16, v16, v55 :: v_dual_add_f32 v11, v11, v29
	v_dual_add_f32 v12, v12, v38 :: v_dual_add_f32 v15, v15, v49
	v_add_f32_e32 v8, v8, v54
	s_delay_alu instid0(VALU_DEP_3) | instskip(NEXT) | instid1(VALU_DEP_3)
	v_dual_add_f32 v16, v16, v87 :: v_dual_add_f32 v11, v11, v36
	v_dual_add_f32 v9, v9, v46 :: v_dual_add_f32 v12, v12, v40
	v_add_f32_e32 v0, v0, v53
	v_add_f32_e32 v1, v1, v33
	s_delay_alu instid0(VALU_DEP_4) | instskip(SKIP_3) | instid1(VALU_DEP_4)
	v_dual_add_f32 v15, v15, v51 :: v_dual_add_f32 v16, v16, v65
	v_dual_add_f32 v8, v8, v58 :: v_dual_add_f32 v11, v11, v52
	v_add_f32_e32 v12, v12, v42
	v_dual_add_f32 v0, v0, v60 :: v_dual_add_f32 v9, v9, v39
	v_dual_add_f32 v1, v1, v59 :: v_dual_add_f32 v16, v16, v73
	v_mul_f32_e32 v68, v77, v79
	v_fma_f32 v72, v44, v78, -v72
	v_fma_f32 v44, v44, v80, -v90
	;; [unrolled: 1-line block ×3, first 2 shown]
	v_dual_add_f32 v15, v15, v61 :: v_dual_add_f32 v8, v8, v67
	v_add_f32_e32 v11, v11, v56
	v_dual_add_f32 v0, v0, v64 :: v_dual_add_f32 v9, v9, v57
	v_dual_add_f32 v12, v12, v44 :: v_dual_add_f32 v1, v1, v41
	v_fma_f32 v68, v76, v78, -v68
	s_delay_alu instid0(VALU_DEP_3) | instskip(SKIP_4) | instid1(VALU_DEP_4)
	v_add_f32_e32 v0, v0, v71
	v_add_f32_e32 v15, v15, v63
	;; [unrolled: 1-line block ×3, first 2 shown]
	v_dual_add_f32 v1, v1, v69 :: v_dual_add_f32 v8, v8, v70
	v_add_f32_e32 v11, v11, v62
	v_add_f32_e32 v15, v15, v72
	s_delay_alu instid0(VALU_DEP_4) | instskip(NEXT) | instid1(VALU_DEP_4)
	v_add_f32_e32 v9, v9, v68
	v_add_f32_e32 v1, v1, v45
	s_delay_alu instid0(VALU_DEP_4)
	v_add_f32_e32 v11, v11, v66
	s_cbranch_scc0 .LBB166_2
.LBB166_3:
	s_clause 0x1
	s_load_b32 s3, s[0:1], 0x40
	s_load_b64 s[0:1], s[0:1], 0x48
	v_add_nc_u32_e32 v7, s13, v7
	v_add_nc_u32_e32 v2, s12, v6
	s_delay_alu instid0(VALU_DEP_2)
	v_cmp_gt_i32_e32 vcc_lo, s2, v7
	s_waitcnt lgkmcnt(0)
	v_mad_i64_i32 v[3:4], null, v7, s3, 0
	s_mul_i32 s1, s15, s1
	s_mul_hi_u32 s4, s15, s0
	s_mul_i32 s0, s15, s0
	s_add_i32 s1, s4, s1
	s_delay_alu instid0(SALU_CYCLE_1) | instskip(NEXT) | instid1(VALU_DEP_1)
	s_lshl_b64 s[4:5], s[0:1], 3
	v_lshlrev_b64 v[3:4], 3, v[3:4]
	s_add_u32 s4, s6, s4
	v_cmp_le_i32_e64 s0, v2, v7
	s_addc_u32 s5, s7, s5
	s_delay_alu instid0(VALU_DEP_2) | instskip(NEXT) | instid1(VALU_DEP_1)
	v_add_co_u32 v6, s1, s4, v3
	v_add_co_ci_u32_e64 v10, s1, s5, v4, s1
	s_delay_alu instid0(VALU_DEP_3) | instskip(NEXT) | instid1(SALU_CYCLE_1)
	s_and_b32 s0, vcc_lo, s0
	s_and_saveexec_b32 s1, s0
	s_cbranch_execz .LBB166_5
; %bb.4:
	v_ashrrev_i32_e32 v3, 31, v2
	s_delay_alu instid0(VALU_DEP_1) | instskip(NEXT) | instid1(VALU_DEP_1)
	v_lshlrev_b64 v[3:4], 3, v[2:3]
	v_add_co_u32 v3, s0, v6, v3
	s_delay_alu instid0(VALU_DEP_1)
	v_add_co_ci_u32_e64 v4, s0, v10, v4, s0
	global_load_b64 v[13:14], v[3:4], off
	s_waitcnt vmcnt(0)
	v_dual_sub_f32 v13, v15, v13 :: v_dual_sub_f32 v14, v16, v14
	global_store_b64 v[3:4], v[13:14], off
.LBB166_5:
	s_or_b32 exec_lo, exec_lo, s1
	v_add_nc_u32_e32 v4, 16, v2
	s_delay_alu instid0(VALU_DEP_1) | instskip(NEXT) | instid1(VALU_DEP_1)
	v_cmp_le_i32_e64 s0, v4, v7
	s_and_b32 s1, vcc_lo, s0
	s_delay_alu instid0(SALU_CYCLE_1)
	s_and_saveexec_b32 s0, s1
	s_cbranch_execz .LBB166_7
; %bb.6:
	v_ashrrev_i32_e32 v5, 31, v4
	s_delay_alu instid0(VALU_DEP_1) | instskip(NEXT) | instid1(VALU_DEP_1)
	v_lshlrev_b64 v[13:14], 3, v[4:5]
	v_add_co_u32 v5, vcc_lo, v6, v13
	s_delay_alu instid0(VALU_DEP_2)
	v_add_co_ci_u32_e32 v6, vcc_lo, v10, v14, vcc_lo
	global_load_b64 v[13:14], v[5:6], off
	s_waitcnt vmcnt(0)
	v_dual_sub_f32 v10, v12, v13 :: v_dual_sub_f32 v11, v11, v14
	global_store_b64 v[5:6], v[10:11], off
.LBB166_7:
	s_or_b32 exec_lo, exec_lo, s0
	v_add_nc_u32_e32 v5, 16, v7
	s_delay_alu instid0(VALU_DEP_1) | instskip(SKIP_2) | instid1(VALU_DEP_1)
	v_mad_i64_i32 v[6:7], null, v5, s3, 0
	v_cmp_gt_i32_e32 vcc_lo, s2, v5
	v_cmp_le_i32_e64 s0, v2, v5
	s_and_b32 s0, vcc_lo, s0
	s_delay_alu instid0(VALU_DEP_3) | instskip(NEXT) | instid1(VALU_DEP_1)
	v_lshlrev_b64 v[6:7], 3, v[6:7]
	v_add_co_u32 v6, s1, s4, v6
	s_delay_alu instid0(VALU_DEP_1)
	v_add_co_ci_u32_e64 v7, s1, s5, v7, s1
	s_and_saveexec_b32 s1, s0
	s_cbranch_execz .LBB166_9
; %bb.8:
	v_ashrrev_i32_e32 v3, 31, v2
	s_delay_alu instid0(VALU_DEP_1) | instskip(NEXT) | instid1(VALU_DEP_1)
	v_lshlrev_b64 v[2:3], 3, v[2:3]
	v_add_co_u32 v2, s0, v6, v2
	s_delay_alu instid0(VALU_DEP_1)
	v_add_co_ci_u32_e64 v3, s0, v7, v3, s0
	global_load_b64 v[10:11], v[2:3], off
	s_waitcnt vmcnt(0)
	v_dual_sub_f32 v9, v9, v10 :: v_dual_sub_f32 v10, v8, v11
	global_store_b64 v[2:3], v[9:10], off
.LBB166_9:
	s_or_b32 exec_lo, exec_lo, s1
	v_cmp_le_i32_e64 s0, v4, v5
	s_delay_alu instid0(VALU_DEP_1) | instskip(NEXT) | instid1(SALU_CYCLE_1)
	s_and_b32 s0, vcc_lo, s0
	s_and_saveexec_b32 s1, s0
	s_cbranch_execz .LBB166_11
; %bb.10:
	v_ashrrev_i32_e32 v5, 31, v4
	s_delay_alu instid0(VALU_DEP_1) | instskip(NEXT) | instid1(VALU_DEP_1)
	v_lshlrev_b64 v[2:3], 3, v[4:5]
	v_add_co_u32 v2, vcc_lo, v6, v2
	s_delay_alu instid0(VALU_DEP_2)
	v_add_co_ci_u32_e32 v3, vcc_lo, v7, v3, vcc_lo
	global_load_b64 v[4:5], v[2:3], off
	s_waitcnt vmcnt(0)
	v_dual_sub_f32 v0, v0, v4 :: v_dual_sub_f32 v1, v1, v5
	global_store_b64 v[2:3], v[0:1], off
.LBB166_11:
	s_nop 0
	s_sendmsg sendmsg(MSG_DEALLOC_VGPRS)
	s_endpgm
	.section	.rodata,"a",@progbits
	.p2align	6, 0x0
	.amdhsa_kernel _ZL37rocblas_syrkx_herkx_restricted_kernelIi19rocblas_complex_numIfELi16ELi32ELi8ELi1ELin1ELb0ELc67ELc85EKS1_S1_EviT_PT9_S3_lS5_S3_lPT10_S3_li
		.amdhsa_group_segment_fixed_size 4096
		.amdhsa_private_segment_fixed_size 0
		.amdhsa_kernarg_size 84
		.amdhsa_user_sgpr_count 13
		.amdhsa_user_sgpr_dispatch_ptr 0
		.amdhsa_user_sgpr_queue_ptr 0
		.amdhsa_user_sgpr_kernarg_segment_ptr 1
		.amdhsa_user_sgpr_dispatch_id 0
		.amdhsa_user_sgpr_private_segment_size 0
		.amdhsa_wavefront_size32 1
		.amdhsa_uses_dynamic_stack 0
		.amdhsa_enable_private_segment 0
		.amdhsa_system_sgpr_workgroup_id_x 1
		.amdhsa_system_sgpr_workgroup_id_y 1
		.amdhsa_system_sgpr_workgroup_id_z 1
		.amdhsa_system_sgpr_workgroup_info 0
		.amdhsa_system_vgpr_workitem_id 1
		.amdhsa_next_free_vgpr 91
		.amdhsa_next_free_sgpr 20
		.amdhsa_reserve_vcc 1
		.amdhsa_float_round_mode_32 0
		.amdhsa_float_round_mode_16_64 0
		.amdhsa_float_denorm_mode_32 3
		.amdhsa_float_denorm_mode_16_64 3
		.amdhsa_dx10_clamp 1
		.amdhsa_ieee_mode 1
		.amdhsa_fp16_overflow 0
		.amdhsa_workgroup_processor_mode 1
		.amdhsa_memory_ordered 1
		.amdhsa_forward_progress 0
		.amdhsa_shared_vgpr_count 0
		.amdhsa_exception_fp_ieee_invalid_op 0
		.amdhsa_exception_fp_denorm_src 0
		.amdhsa_exception_fp_ieee_div_zero 0
		.amdhsa_exception_fp_ieee_overflow 0
		.amdhsa_exception_fp_ieee_underflow 0
		.amdhsa_exception_fp_ieee_inexact 0
		.amdhsa_exception_int_div_zero 0
	.end_amdhsa_kernel
	.section	.text._ZL37rocblas_syrkx_herkx_restricted_kernelIi19rocblas_complex_numIfELi16ELi32ELi8ELi1ELin1ELb0ELc67ELc85EKS1_S1_EviT_PT9_S3_lS5_S3_lPT10_S3_li,"axG",@progbits,_ZL37rocblas_syrkx_herkx_restricted_kernelIi19rocblas_complex_numIfELi16ELi32ELi8ELi1ELin1ELb0ELc67ELc85EKS1_S1_EviT_PT9_S3_lS5_S3_lPT10_S3_li,comdat
.Lfunc_end166:
	.size	_ZL37rocblas_syrkx_herkx_restricted_kernelIi19rocblas_complex_numIfELi16ELi32ELi8ELi1ELin1ELb0ELc67ELc85EKS1_S1_EviT_PT9_S3_lS5_S3_lPT10_S3_li, .Lfunc_end166-_ZL37rocblas_syrkx_herkx_restricted_kernelIi19rocblas_complex_numIfELi16ELi32ELi8ELi1ELin1ELb0ELc67ELc85EKS1_S1_EviT_PT9_S3_lS5_S3_lPT10_S3_li
                                        ; -- End function
	.section	.AMDGPU.csdata,"",@progbits
; Kernel info:
; codeLenInByte = 2100
; NumSgprs: 22
; NumVgprs: 91
; ScratchSize: 0
; MemoryBound: 0
; FloatMode: 240
; IeeeMode: 1
; LDSByteSize: 4096 bytes/workgroup (compile time only)
; SGPRBlocks: 2
; VGPRBlocks: 11
; NumSGPRsForWavesPerEU: 22
; NumVGPRsForWavesPerEU: 91
; Occupancy: 16
; WaveLimiterHint : 0
; COMPUTE_PGM_RSRC2:SCRATCH_EN: 0
; COMPUTE_PGM_RSRC2:USER_SGPR: 13
; COMPUTE_PGM_RSRC2:TRAP_HANDLER: 0
; COMPUTE_PGM_RSRC2:TGID_X_EN: 1
; COMPUTE_PGM_RSRC2:TGID_Y_EN: 1
; COMPUTE_PGM_RSRC2:TGID_Z_EN: 1
; COMPUTE_PGM_RSRC2:TIDIG_COMP_CNT: 1
	.section	.text._ZL37rocblas_syrkx_herkx_restricted_kernelIi19rocblas_complex_numIfELi16ELi32ELi8ELi1ELin1ELb0ELc78ELc85EKS1_S1_EviT_PT9_S3_lS5_S3_lPT10_S3_li,"axG",@progbits,_ZL37rocblas_syrkx_herkx_restricted_kernelIi19rocblas_complex_numIfELi16ELi32ELi8ELi1ELin1ELb0ELc78ELc85EKS1_S1_EviT_PT9_S3_lS5_S3_lPT10_S3_li,comdat
	.globl	_ZL37rocblas_syrkx_herkx_restricted_kernelIi19rocblas_complex_numIfELi16ELi32ELi8ELi1ELin1ELb0ELc78ELc85EKS1_S1_EviT_PT9_S3_lS5_S3_lPT10_S3_li ; -- Begin function _ZL37rocblas_syrkx_herkx_restricted_kernelIi19rocblas_complex_numIfELi16ELi32ELi8ELi1ELin1ELb0ELc78ELc85EKS1_S1_EviT_PT9_S3_lS5_S3_lPT10_S3_li
	.p2align	8
	.type	_ZL37rocblas_syrkx_herkx_restricted_kernelIi19rocblas_complex_numIfELi16ELi32ELi8ELi1ELin1ELb0ELc78ELc85EKS1_S1_EviT_PT9_S3_lS5_S3_lPT10_S3_li,@function
_ZL37rocblas_syrkx_herkx_restricted_kernelIi19rocblas_complex_numIfELi16ELi32ELi8ELi1ELin1ELb0ELc78ELc85EKS1_S1_EviT_PT9_S3_lS5_S3_lPT10_S3_li: ; @_ZL37rocblas_syrkx_herkx_restricted_kernelIi19rocblas_complex_numIfELi16ELi32ELi8ELi1ELin1ELb0ELc78ELc85EKS1_S1_EviT_PT9_S3_lS5_S3_lPT10_S3_li
; %bb.0:
	s_clause 0x1
	s_load_b64 s[2:3], s[0:1], 0x0
	s_load_b128 s[4:7], s[0:1], 0x30
	v_dual_mov_b32 v17, 0 :: v_dual_and_b32 v4, 0x3ff, v0
	v_bfe_u32 v5, v0, 10, 10
	v_dual_mov_b32 v16, 0 :: v_dual_mov_b32 v13, 0
	v_dual_mov_b32 v12, 0 :: v_dual_mov_b32 v9, 0
	;; [unrolled: 1-line block ×3, first 2 shown]
	v_mov_b32_e32 v6, 0
	s_lshl_b32 s12, s13, 5
	s_lshl_b32 s13, s14, 5
	s_mov_b32 s14, 0
	s_waitcnt lgkmcnt(0)
	s_cmp_lt_i32 s3, 1
	s_cbranch_scc1 .LBB167_3
; %bb.1:
	s_clause 0x1
	s_load_b32 s16, s[0:1], 0x10
	s_load_b32 s18, s[0:1], 0x28
	v_lshl_add_u32 v0, v5, 4, v4
	v_and_b32_e32 v8, 7, v4
	s_clause 0x1
	s_load_b128 s[8:11], s[0:1], 0x18
	s_load_b64 s[20:21], s[0:1], 0x8
	s_mul_i32 s5, s5, s15
	v_lshrrev_b32_e32 v1, 3, v0
	v_and_b32_e32 v2, 31, v0
	v_lshrrev_b32_e32 v9, 5, v0
	v_lshlrev_b32_e32 v3, 3, v8
	s_delay_alu instid0(VALU_DEP_4) | instskip(NEXT) | instid1(VALU_DEP_4)
	v_dual_mov_b32 v13, 0 :: v_dual_add_nc_u32 v0, s13, v1
	v_dual_mov_b32 v17, 0 :: v_dual_lshlrev_b32 v6, 3, v2
	v_add_nc_u32_e32 v2, s12, v2
	s_delay_alu instid0(VALU_DEP_4) | instskip(NEXT) | instid1(VALU_DEP_4)
	v_lshl_or_b32 v11, v1, 6, v3
	v_ashrrev_i32_e32 v1, 31, v0
	s_delay_alu instid0(VALU_DEP_4)
	v_lshl_or_b32 v10, v9, 8, v6
	v_lshlrev_b32_e32 v14, 3, v4
	v_ashrrev_i32_e32 v3, 31, v2
	s_waitcnt lgkmcnt(0)
	s_ashr_i32 s17, s16, 31
	v_mad_i64_i32 v[6:7], null, s18, v8, v[0:1]
	s_mul_i32 s9, s9, s15
	v_mad_i64_i32 v[0:1], null, s16, v9, v[2:3]
	s_mul_hi_u32 s22, s8, s15
	s_mul_i32 s8, s8, s15
	s_add_i32 s9, s22, s9
	s_ashr_i32 s19, s18, 31
	s_lshl_b64 s[8:9], s[8:9], 3
	v_dual_mov_b32 v8, 0 :: v_dual_add_nc_u32 v11, 0x800, v11
	s_delay_alu instid0(VALU_DEP_2)
	v_lshlrev_b64 v[0:1], 3, v[0:1]
	s_add_u32 s8, s20, s8
	s_addc_u32 s9, s21, s9
	s_mul_hi_u32 s20, s4, s15
	s_mul_i32 s4, s4, s15
	s_add_i32 s5, s20, s5
	v_add_co_u32 v2, vcc_lo, s8, v0
	v_add_co_ci_u32_e32 v3, vcc_lo, s9, v1, vcc_lo
	v_lshlrev_b64 v[0:1], 3, v[6:7]
	s_lshl_b64 s[8:9], s[4:5], 3
	s_lshl_b64 s[4:5], s[16:17], 6
	s_add_u32 s8, s10, s8
	s_addc_u32 s9, s11, s9
	v_lshl_add_u32 v15, v5, 6, 0x800
	v_add_co_u32 v6, vcc_lo, s8, v0
	v_add_co_ci_u32_e32 v7, vcc_lo, s9, v1, vcc_lo
	v_add_co_u32 v0, vcc_lo, v2, 4
	v_add_co_ci_u32_e32 v1, vcc_lo, 0, v3, vcc_lo
	s_delay_alu instid0(VALU_DEP_4) | instskip(NEXT) | instid1(VALU_DEP_4)
	v_add_co_u32 v2, vcc_lo, v6, 4
	v_add_co_ci_u32_e32 v3, vcc_lo, 0, v7, vcc_lo
	v_dual_mov_b32 v6, 0 :: v_dual_mov_b32 v7, 0
	v_dual_mov_b32 v9, 0 :: v_dual_mov_b32 v12, 0
	v_mov_b32_e32 v16, 0
	s_lshl_b64 s[8:9], s[18:19], 6
.LBB167_2:                              ; =>This Inner Loop Header: Depth=1
	global_load_b64 v[18:19], v[0:1], off offset:-4
	global_load_b64 v[20:21], v[2:3], off offset:-4
	v_add_co_u32 v0, vcc_lo, v0, s4
	v_add_co_ci_u32_e32 v1, vcc_lo, s5, v1, vcc_lo
	v_add_co_u32 v2, vcc_lo, v2, s8
	v_add_co_ci_u32_e32 v3, vcc_lo, s9, v3, vcc_lo
	s_add_i32 s14, s14, 8
	s_waitcnt vmcnt(1)
	ds_store_b64 v10, v[18:19]
	s_waitcnt vmcnt(0)
	ds_store_b64 v11, v[20:21]
	s_waitcnt lgkmcnt(0)
	s_barrier
	buffer_gl0_inv
	ds_load_2addr_b64 v[18:21], v14 offset1:16
	ds_load_b128 v[22:25], v15
	ds_load_b128 v[26:29], v15 offset:1024
	ds_load_b128 v[30:33], v15 offset:16
	ds_load_2addr_b64 v[34:37], v14 offset0:32 offset1:48
	ds_load_b128 v[38:41], v15 offset:32
	ds_load_b128 v[42:45], v15 offset:48
	ds_load_2addr_b64 v[46:49], v14 offset0:64 offset1:80
	ds_load_b128 v[50:53], v15 offset:1040
	ds_load_2addr_b64 v[54:57], v14 offset0:96 offset1:112
	ds_load_2addr_b64 v[58:61], v14 offset0:128 offset1:144
	;; [unrolled: 1-line block ×4, first 2 shown]
	ds_load_b128 v[70:73], v15 offset:1056
	ds_load_b128 v[74:77], v15 offset:1072
	ds_load_2addr_b64 v[78:81], v14 offset0:224 offset1:240
	s_cmp_ge_i32 s14, s3
	s_waitcnt lgkmcnt(0)
	s_barrier
	buffer_gl0_inv
	v_dual_mul_f32 v82, v23, v19 :: v_dual_mul_f32 v85, v22, v21
	v_dual_mul_f32 v83, v22, v19 :: v_dual_mul_f32 v84, v23, v21
	v_mul_f32_e32 v86, v27, v19
	v_dual_mul_f32 v19, v26, v19 :: v_dual_mul_f32 v90, v25, v37
	v_dual_mul_f32 v87, v27, v21 :: v_dual_mul_f32 v88, v25, v35
	v_mul_f32_e32 v21, v26, v21
	v_mul_f32_e32 v89, v24, v35
	;; [unrolled: 1-line block ×3, first 2 shown]
	v_fma_f32 v82, v22, v18, -v82
	v_fmac_f32_e32 v83, v23, v18
	v_fma_f32 v22, v22, v20, -v84
	v_dual_fmac_f32 v85, v23, v20 :: v_dual_mul_f32 v84, v30, v47
	v_fma_f32 v23, v26, v18, -v86
	v_fmac_f32_e32 v19, v27, v18
	v_fma_f32 v18, v26, v20, -v87
	v_dual_mul_f32 v26, v28, v35 :: v_dual_fmac_f32 v21, v27, v20
	v_mul_f32_e32 v20, v29, v35
	v_mul_f32_e32 v27, v29, v37
	v_dual_mul_f32 v35, v28, v37 :: v_dual_fmac_f32 v84, v31, v46
	v_fma_f32 v37, v24, v34, -v88
	v_fma_f32 v24, v24, v36, -v90
	v_dual_fmac_f32 v91, v25, v36 :: v_dual_mul_f32 v90, v32, v57
	v_dual_mul_f32 v86, v31, v49 :: v_dual_fmac_f32 v89, v25, v34
	v_dual_mul_f32 v25, v31, v47 :: v_dual_mul_f32 v88, v33, v57
	v_fma_f32 v20, v28, v34, -v20
	v_fmac_f32_e32 v26, v29, v34
	v_fma_f32 v27, v28, v36, -v27
	v_dual_fmac_f32 v35, v29, v36 :: v_dual_mul_f32 v28, v51, v47
	v_dual_mul_f32 v29, v50, v47 :: v_dual_mul_f32 v34, v51, v49
	v_mul_f32_e32 v36, v50, v49
	v_mul_f32_e32 v87, v30, v49
	;; [unrolled: 1-line block ×3, first 2 shown]
	v_dual_mul_f32 v49, v32, v55 :: v_dual_fmac_f32 v90, v33, v56
	v_fma_f32 v25, v30, v46, -v25
	v_fma_f32 v30, v30, v48, -v86
	;; [unrolled: 1-line block ×3, first 2 shown]
	v_fmac_f32_e32 v36, v51, v48
	v_fmac_f32_e32 v87, v31, v48
	v_fma_f32 v31, v50, v48, -v34
	v_mul_f32_e32 v34, v53, v55
	v_mul_f32_e32 v48, v53, v57
	v_dual_mul_f32 v50, v52, v57 :: v_dual_fmac_f32 v29, v51, v46
	v_mul_f32_e32 v46, v52, v55
	v_fma_f32 v47, v32, v54, -v47
	v_fmac_f32_e32 v49, v33, v54
	v_fma_f32 v32, v32, v56, -v88
	s_delay_alu instid0(VALU_DEP_4)
	v_dual_mul_f32 v33, v39, v59 :: v_dual_fmac_f32 v46, v53, v54
	v_mul_f32_e32 v51, v38, v59
	v_mul_f32_e32 v55, v39, v61
	v_fma_f32 v34, v52, v54, -v34
	v_fma_f32 v48, v52, v56, -v48
	v_fmac_f32_e32 v50, v53, v56
	v_mul_f32_e32 v52, v71, v59
	v_dual_mul_f32 v53, v70, v59 :: v_dual_mul_f32 v86, v41, v65
	v_mul_f32_e32 v54, v71, v61
	v_dual_mul_f32 v56, v70, v61 :: v_dual_mul_f32 v59, v41, v63
	v_mul_f32_e32 v57, v38, v61
	v_mul_f32_e32 v61, v40, v63
	v_dual_mul_f32 v88, v40, v65 :: v_dual_fmac_f32 v51, v39, v58
	v_fma_f32 v33, v38, v58, -v33
	v_fmac_f32_e32 v53, v71, v58
	v_fmac_f32_e32 v56, v71, v60
	s_delay_alu instid0(VALU_DEP_4)
	v_fmac_f32_e32 v88, v41, v64
	v_fmac_f32_e32 v57, v39, v60
	v_fma_f32 v39, v70, v58, -v52
	v_fma_f32 v52, v70, v60, -v54
	v_mul_f32_e32 v54, v73, v63
	v_fma_f32 v38, v38, v60, -v55
	v_mul_f32_e32 v60, v72, v65
	v_dual_mul_f32 v55, v72, v63 :: v_dual_mul_f32 v70, v42, v69
	v_mul_f32_e32 v58, v73, v65
	v_fma_f32 v59, v40, v62, -v59
	v_fmac_f32_e32 v61, v41, v62
	v_fma_f32 v40, v40, v64, -v86
	v_dual_mul_f32 v41, v43, v67 :: v_dual_fmac_f32 v60, v73, v64
	v_dual_mul_f32 v63, v42, v67 :: v_dual_mul_f32 v86, v44, v81
	v_mul_f32_e32 v65, v43, v69
	v_fma_f32 v54, v72, v62, -v54
	v_fmac_f32_e32 v55, v73, v62
	v_fma_f32 v58, v72, v64, -v58
	v_mul_f32_e32 v72, v44, v79
	v_mul_f32_e32 v62, v75, v67
	v_dual_mul_f32 v64, v74, v67 :: v_dual_mul_f32 v67, v75, v69
	v_dual_mul_f32 v69, v74, v69 :: v_dual_fmac_f32 v70, v43, v68
	s_delay_alu instid0(VALU_DEP_2)
	v_dual_mul_f32 v71, v45, v79 :: v_dual_fmac_f32 v64, v75, v66
	v_dual_mul_f32 v73, v45, v81 :: v_dual_add_f32 v16, v16, v82
	v_fma_f32 v41, v42, v66, -v41
	v_fmac_f32_e32 v63, v43, v66
	v_fma_f32 v42, v42, v68, -v65
	v_fma_f32 v43, v74, v66, -v62
	v_dual_mul_f32 v65, v77, v79 :: v_dual_add_f32 v12, v12, v85
	v_mul_f32_e32 v66, v76, v79
	v_fma_f32 v62, v74, v68, -v67
	v_dual_mul_f32 v67, v77, v81 :: v_dual_add_f32 v8, v8, v19
	v_dual_fmac_f32 v86, v45, v80 :: v_dual_add_f32 v7, v7, v18
	v_dual_add_f32 v17, v17, v83 :: v_dual_add_f32 v6, v6, v21
	v_dual_add_f32 v13, v13, v22 :: v_dual_add_f32 v16, v16, v37
	s_delay_alu instid0(VALU_DEP_4)
	v_dual_add_f32 v9, v9, v23 :: v_dual_add_f32 v8, v8, v26
	v_dual_fmac_f32 v69, v75, v68 :: v_dual_fmac_f32 v72, v45, v78
	v_mul_f32_e32 v68, v76, v81
	v_dual_fmac_f32 v66, v77, v78 :: v_dual_add_f32 v7, v7, v27
	v_dual_add_f32 v17, v17, v89 :: v_dual_add_f32 v12, v12, v91
	v_dual_add_f32 v13, v13, v24 :: v_dual_add_f32 v6, v6, v35
	;; [unrolled: 1-line block ×3, first 2 shown]
	s_delay_alu instid0(VALU_DEP_4) | instskip(NEXT) | instid1(VALU_DEP_4)
	v_dual_fmac_f32 v68, v77, v80 :: v_dual_add_f32 v7, v7, v31
	v_dual_add_f32 v17, v17, v84 :: v_dual_add_f32 v12, v12, v87
	s_delay_alu instid0(VALU_DEP_4) | instskip(NEXT) | instid1(VALU_DEP_4)
	v_dual_add_f32 v13, v13, v30 :: v_dual_add_f32 v8, v8, v29
	v_dual_add_f32 v9, v9, v28 :: v_dual_add_f32 v16, v16, v47
	s_delay_alu instid0(VALU_DEP_3) | instskip(NEXT) | instid1(VALU_DEP_3)
	v_dual_add_f32 v6, v6, v36 :: v_dual_add_f32 v17, v17, v49
	v_dual_add_f32 v13, v13, v32 :: v_dual_add_f32 v12, v12, v90
	s_delay_alu instid0(VALU_DEP_3) | instskip(SKIP_1) | instid1(VALU_DEP_4)
	v_dual_add_f32 v9, v9, v34 :: v_dual_add_f32 v16, v16, v33
	v_dual_add_f32 v8, v8, v46 :: v_dual_add_f32 v7, v7, v48
	;; [unrolled: 1-line block ×3, first 2 shown]
	s_delay_alu instid0(VALU_DEP_4) | instskip(NEXT) | instid1(VALU_DEP_3)
	v_dual_add_f32 v13, v13, v38 :: v_dual_add_f32 v12, v12, v57
	v_dual_add_f32 v9, v9, v39 :: v_dual_add_f32 v8, v8, v53
	s_delay_alu instid0(VALU_DEP_4) | instskip(NEXT) | instid1(VALU_DEP_4)
	v_dual_add_f32 v7, v7, v52 :: v_dual_add_f32 v16, v16, v59
	v_dual_add_f32 v6, v6, v56 :: v_dual_add_f32 v17, v17, v61
	s_delay_alu instid0(VALU_DEP_3) | instskip(NEXT) | instid1(VALU_DEP_4)
	v_dual_add_f32 v13, v13, v40 :: v_dual_add_f32 v8, v8, v55
	v_dual_add_f32 v12, v12, v88 :: v_dual_add_f32 v9, v9, v54
	s_delay_alu instid0(VALU_DEP_3)
	v_dual_add_f32 v7, v7, v58 :: v_dual_add_f32 v6, v6, v60
	v_fma_f32 v71, v44, v78, -v71
	v_fma_f32 v44, v44, v80, -v73
	;; [unrolled: 1-line block ×4, first 2 shown]
	v_dual_add_f32 v16, v16, v41 :: v_dual_add_f32 v17, v17, v63
	v_dual_add_f32 v13, v13, v42 :: v_dual_add_f32 v8, v8, v64
	;; [unrolled: 1-line block ×4, first 2 shown]
	s_delay_alu instid0(VALU_DEP_4) | instskip(NEXT) | instid1(VALU_DEP_3)
	v_dual_add_f32 v16, v16, v71 :: v_dual_add_f32 v17, v17, v72
	v_dual_add_f32 v13, v13, v44 :: v_dual_add_f32 v12, v12, v86
	s_delay_alu instid0(VALU_DEP_4) | instskip(NEXT) | instid1(VALU_DEP_4)
	v_dual_add_f32 v9, v9, v45 :: v_dual_add_f32 v8, v8, v66
	v_dual_add_f32 v7, v7, v65 :: v_dual_add_f32 v6, v6, v68
	s_cbranch_scc0 .LBB167_2
.LBB167_3:
	s_clause 0x1
	s_load_b32 s3, s[0:1], 0x40
	s_load_b64 s[0:1], s[0:1], 0x48
	v_add_nc_u32_e32 v5, s13, v5
	v_add_nc_u32_e32 v0, s12, v4
	s_delay_alu instid0(VALU_DEP_2)
	v_cmp_gt_i32_e32 vcc_lo, s2, v5
	s_waitcnt lgkmcnt(0)
	v_mad_i64_i32 v[1:2], null, v5, s3, 0
	s_mul_i32 s1, s15, s1
	s_mul_hi_u32 s4, s15, s0
	s_mul_i32 s0, s15, s0
	s_add_i32 s1, s4, s1
	s_delay_alu instid0(SALU_CYCLE_1) | instskip(NEXT) | instid1(VALU_DEP_1)
	s_lshl_b64 s[4:5], s[0:1], 3
	v_lshlrev_b64 v[1:2], 3, v[1:2]
	s_add_u32 s4, s6, s4
	v_cmp_le_i32_e64 s0, v0, v5
	s_addc_u32 s5, s7, s5
	s_delay_alu instid0(VALU_DEP_2) | instskip(NEXT) | instid1(VALU_DEP_1)
	v_add_co_u32 v4, s1, s4, v1
	v_add_co_ci_u32_e64 v10, s1, s5, v2, s1
	s_delay_alu instid0(VALU_DEP_3) | instskip(NEXT) | instid1(SALU_CYCLE_1)
	s_and_b32 s0, vcc_lo, s0
	s_and_saveexec_b32 s1, s0
	s_cbranch_execz .LBB167_5
; %bb.4:
	v_ashrrev_i32_e32 v1, 31, v0
	s_delay_alu instid0(VALU_DEP_1) | instskip(NEXT) | instid1(VALU_DEP_1)
	v_lshlrev_b64 v[1:2], 3, v[0:1]
	v_add_co_u32 v1, s0, v4, v1
	s_delay_alu instid0(VALU_DEP_1)
	v_add_co_ci_u32_e64 v2, s0, v10, v2, s0
	global_load_b64 v[14:15], v[1:2], off
	s_waitcnt vmcnt(0)
	v_dual_sub_f32 v14, v16, v14 :: v_dual_sub_f32 v15, v17, v15
	global_store_b64 v[1:2], v[14:15], off
.LBB167_5:
	s_or_b32 exec_lo, exec_lo, s1
	v_add_nc_u32_e32 v2, 16, v0
	s_delay_alu instid0(VALU_DEP_1) | instskip(NEXT) | instid1(VALU_DEP_1)
	v_cmp_le_i32_e64 s0, v2, v5
	s_and_b32 s1, vcc_lo, s0
	s_delay_alu instid0(SALU_CYCLE_1)
	s_and_saveexec_b32 s0, s1
	s_cbranch_execz .LBB167_7
; %bb.6:
	v_ashrrev_i32_e32 v3, 31, v2
	s_delay_alu instid0(VALU_DEP_1) | instskip(NEXT) | instid1(VALU_DEP_1)
	v_lshlrev_b64 v[14:15], 3, v[2:3]
	v_add_co_u32 v3, vcc_lo, v4, v14
	s_delay_alu instid0(VALU_DEP_2)
	v_add_co_ci_u32_e32 v4, vcc_lo, v10, v15, vcc_lo
	global_load_b64 v[10:11], v[3:4], off
	s_waitcnt vmcnt(0)
	v_dual_sub_f32 v10, v13, v10 :: v_dual_sub_f32 v11, v12, v11
	global_store_b64 v[3:4], v[10:11], off
.LBB167_7:
	s_or_b32 exec_lo, exec_lo, s0
	v_add_nc_u32_e32 v3, 16, v5
	s_delay_alu instid0(VALU_DEP_1) | instskip(SKIP_2) | instid1(VALU_DEP_1)
	v_mad_i64_i32 v[4:5], null, v3, s3, 0
	v_cmp_gt_i32_e32 vcc_lo, s2, v3
	v_cmp_le_i32_e64 s0, v0, v3
	s_and_b32 s0, vcc_lo, s0
	s_delay_alu instid0(VALU_DEP_3) | instskip(NEXT) | instid1(VALU_DEP_1)
	v_lshlrev_b64 v[4:5], 3, v[4:5]
	v_add_co_u32 v4, s1, s4, v4
	s_delay_alu instid0(VALU_DEP_1)
	v_add_co_ci_u32_e64 v5, s1, s5, v5, s1
	s_and_saveexec_b32 s1, s0
	s_cbranch_execz .LBB167_9
; %bb.8:
	v_ashrrev_i32_e32 v1, 31, v0
	s_delay_alu instid0(VALU_DEP_1) | instskip(NEXT) | instid1(VALU_DEP_1)
	v_lshlrev_b64 v[0:1], 3, v[0:1]
	v_add_co_u32 v0, s0, v4, v0
	s_delay_alu instid0(VALU_DEP_1)
	v_add_co_ci_u32_e64 v1, s0, v5, v1, s0
	global_load_b64 v[10:11], v[0:1], off
	s_waitcnt vmcnt(0)
	v_dual_sub_f32 v9, v9, v10 :: v_dual_sub_f32 v10, v8, v11
	global_store_b64 v[0:1], v[9:10], off
.LBB167_9:
	s_or_b32 exec_lo, exec_lo, s1
	v_cmp_le_i32_e64 s0, v2, v3
	s_delay_alu instid0(VALU_DEP_1) | instskip(NEXT) | instid1(SALU_CYCLE_1)
	s_and_b32 s0, vcc_lo, s0
	s_and_saveexec_b32 s1, s0
	s_cbranch_execz .LBB167_11
; %bb.10:
	v_ashrrev_i32_e32 v3, 31, v2
	s_delay_alu instid0(VALU_DEP_1) | instskip(NEXT) | instid1(VALU_DEP_1)
	v_lshlrev_b64 v[0:1], 3, v[2:3]
	v_add_co_u32 v0, vcc_lo, v4, v0
	s_delay_alu instid0(VALU_DEP_2)
	v_add_co_ci_u32_e32 v1, vcc_lo, v5, v1, vcc_lo
	global_load_b64 v[2:3], v[0:1], off
	s_waitcnt vmcnt(0)
	v_dual_sub_f32 v2, v7, v2 :: v_dual_sub_f32 v3, v6, v3
	global_store_b64 v[0:1], v[2:3], off
.LBB167_11:
	s_nop 0
	s_sendmsg sendmsg(MSG_DEALLOC_VGPRS)
	s_endpgm
	.section	.rodata,"a",@progbits
	.p2align	6, 0x0
	.amdhsa_kernel _ZL37rocblas_syrkx_herkx_restricted_kernelIi19rocblas_complex_numIfELi16ELi32ELi8ELi1ELin1ELb0ELc78ELc85EKS1_S1_EviT_PT9_S3_lS5_S3_lPT10_S3_li
		.amdhsa_group_segment_fixed_size 4096
		.amdhsa_private_segment_fixed_size 0
		.amdhsa_kernarg_size 84
		.amdhsa_user_sgpr_count 13
		.amdhsa_user_sgpr_dispatch_ptr 0
		.amdhsa_user_sgpr_queue_ptr 0
		.amdhsa_user_sgpr_kernarg_segment_ptr 1
		.amdhsa_user_sgpr_dispatch_id 0
		.amdhsa_user_sgpr_private_segment_size 0
		.amdhsa_wavefront_size32 1
		.amdhsa_uses_dynamic_stack 0
		.amdhsa_enable_private_segment 0
		.amdhsa_system_sgpr_workgroup_id_x 1
		.amdhsa_system_sgpr_workgroup_id_y 1
		.amdhsa_system_sgpr_workgroup_id_z 1
		.amdhsa_system_sgpr_workgroup_info 0
		.amdhsa_system_vgpr_workitem_id 1
		.amdhsa_next_free_vgpr 92
		.amdhsa_next_free_sgpr 23
		.amdhsa_reserve_vcc 1
		.amdhsa_float_round_mode_32 0
		.amdhsa_float_round_mode_16_64 0
		.amdhsa_float_denorm_mode_32 3
		.amdhsa_float_denorm_mode_16_64 3
		.amdhsa_dx10_clamp 1
		.amdhsa_ieee_mode 1
		.amdhsa_fp16_overflow 0
		.amdhsa_workgroup_processor_mode 1
		.amdhsa_memory_ordered 1
		.amdhsa_forward_progress 0
		.amdhsa_shared_vgpr_count 0
		.amdhsa_exception_fp_ieee_invalid_op 0
		.amdhsa_exception_fp_denorm_src 0
		.amdhsa_exception_fp_ieee_div_zero 0
		.amdhsa_exception_fp_ieee_overflow 0
		.amdhsa_exception_fp_ieee_underflow 0
		.amdhsa_exception_fp_ieee_inexact 0
		.amdhsa_exception_int_div_zero 0
	.end_amdhsa_kernel
	.section	.text._ZL37rocblas_syrkx_herkx_restricted_kernelIi19rocblas_complex_numIfELi16ELi32ELi8ELi1ELin1ELb0ELc78ELc85EKS1_S1_EviT_PT9_S3_lS5_S3_lPT10_S3_li,"axG",@progbits,_ZL37rocblas_syrkx_herkx_restricted_kernelIi19rocblas_complex_numIfELi16ELi32ELi8ELi1ELin1ELb0ELc78ELc85EKS1_S1_EviT_PT9_S3_lS5_S3_lPT10_S3_li,comdat
.Lfunc_end167:
	.size	_ZL37rocblas_syrkx_herkx_restricted_kernelIi19rocblas_complex_numIfELi16ELi32ELi8ELi1ELin1ELb0ELc78ELc85EKS1_S1_EviT_PT9_S3_lS5_S3_lPT10_S3_li, .Lfunc_end167-_ZL37rocblas_syrkx_herkx_restricted_kernelIi19rocblas_complex_numIfELi16ELi32ELi8ELi1ELin1ELb0ELc78ELc85EKS1_S1_EviT_PT9_S3_lS5_S3_lPT10_S3_li
                                        ; -- End function
	.section	.AMDGPU.csdata,"",@progbits
; Kernel info:
; codeLenInByte = 2148
; NumSgprs: 25
; NumVgprs: 92
; ScratchSize: 0
; MemoryBound: 0
; FloatMode: 240
; IeeeMode: 1
; LDSByteSize: 4096 bytes/workgroup (compile time only)
; SGPRBlocks: 3
; VGPRBlocks: 11
; NumSGPRsForWavesPerEU: 25
; NumVGPRsForWavesPerEU: 92
; Occupancy: 16
; WaveLimiterHint : 0
; COMPUTE_PGM_RSRC2:SCRATCH_EN: 0
; COMPUTE_PGM_RSRC2:USER_SGPR: 13
; COMPUTE_PGM_RSRC2:TRAP_HANDLER: 0
; COMPUTE_PGM_RSRC2:TGID_X_EN: 1
; COMPUTE_PGM_RSRC2:TGID_Y_EN: 1
; COMPUTE_PGM_RSRC2:TGID_Z_EN: 1
; COMPUTE_PGM_RSRC2:TIDIG_COMP_CNT: 1
	.section	.text._ZL37rocblas_syrkx_herkx_restricted_kernelIi19rocblas_complex_numIfELi16ELi32ELi8ELi1ELi0ELb0ELc84ELc76EKS1_S1_EviT_PT9_S3_lS5_S3_lPT10_S3_li,"axG",@progbits,_ZL37rocblas_syrkx_herkx_restricted_kernelIi19rocblas_complex_numIfELi16ELi32ELi8ELi1ELi0ELb0ELc84ELc76EKS1_S1_EviT_PT9_S3_lS5_S3_lPT10_S3_li,comdat
	.globl	_ZL37rocblas_syrkx_herkx_restricted_kernelIi19rocblas_complex_numIfELi16ELi32ELi8ELi1ELi0ELb0ELc84ELc76EKS1_S1_EviT_PT9_S3_lS5_S3_lPT10_S3_li ; -- Begin function _ZL37rocblas_syrkx_herkx_restricted_kernelIi19rocblas_complex_numIfELi16ELi32ELi8ELi1ELi0ELb0ELc84ELc76EKS1_S1_EviT_PT9_S3_lS5_S3_lPT10_S3_li
	.p2align	8
	.type	_ZL37rocblas_syrkx_herkx_restricted_kernelIi19rocblas_complex_numIfELi16ELi32ELi8ELi1ELi0ELb0ELc84ELc76EKS1_S1_EviT_PT9_S3_lS5_S3_lPT10_S3_li,@function
_ZL37rocblas_syrkx_herkx_restricted_kernelIi19rocblas_complex_numIfELi16ELi32ELi8ELi1ELi0ELb0ELc84ELc76EKS1_S1_EviT_PT9_S3_lS5_S3_lPT10_S3_li: ; @_ZL37rocblas_syrkx_herkx_restricted_kernelIi19rocblas_complex_numIfELi16ELi32ELi8ELi1ELi0ELb0ELc84ELc76EKS1_S1_EviT_PT9_S3_lS5_S3_lPT10_S3_li
; %bb.0:
	s_clause 0x1
	s_load_b64 s[2:3], s[0:1], 0x0
	s_load_b128 s[4:7], s[0:1], 0x30
	v_dual_mov_b32 v7, 0 :: v_dual_and_b32 v12, 0x3ff, v0
	v_bfe_u32 v13, v0, 10, 10
	v_dual_mov_b32 v6, 0 :: v_dual_mov_b32 v5, 0
	v_dual_mov_b32 v4, 0 :: v_dual_mov_b32 v3, 0
	;; [unrolled: 1-line block ×3, first 2 shown]
	v_mov_b32_e32 v0, 0
	s_lshl_b32 s12, s13, 5
	s_lshl_b32 s13, s14, 5
	s_mov_b32 s14, 0
	s_waitcnt lgkmcnt(0)
	s_cmp_lt_i32 s3, 1
	s_cbranch_scc1 .LBB168_3
; %bb.1:
	s_clause 0x3
	s_load_b32 s18, s[0:1], 0x10
	s_load_b128 s[8:11], s[0:1], 0x18
	s_load_b64 s[16:17], s[0:1], 0x8
	s_load_b32 s19, s[0:1], 0x28
	v_lshl_add_u32 v2, v13, 4, v12
	v_dual_mov_b32 v1, 0 :: v_dual_and_b32 v0, 7, v12
	v_lshlrev_b32_e32 v14, 3, v12
	s_mul_i32 s5, s5, s15
	s_delay_alu instid0(VALU_DEP_3)
	v_lshrrev_b32_e32 v4, 3, v2
	v_and_b32_e32 v5, 31, v2
	v_lshlrev_b32_e32 v3, 3, v0
	v_lshrrev_b32_e32 v2, 5, v2
	v_lshl_add_u32 v17, v13, 6, 0x800
	v_add_nc_u32_e32 v9, s13, v4
	v_add_nc_u32_e32 v8, s12, v5
	v_lshl_or_b32 v7, v4, 6, v3
	v_dual_mov_b32 v3, v1 :: v_dual_lshlrev_b32 v6, 3, v5
	s_delay_alu instid0(VALU_DEP_2) | instskip(SKIP_1) | instid1(VALU_DEP_2)
	v_dual_mov_b32 v7, v1 :: v_dual_add_nc_u32 v16, 0x800, v7
	s_waitcnt lgkmcnt(0)
	v_mad_i64_i32 v[4:5], null, s18, v8, v[2:3]
	s_delay_alu instid0(VALU_DEP_3)
	v_lshl_or_b32 v15, v2, 8, v6
	s_mul_i32 s9, s9, s15
	s_mul_hi_u32 s18, s8, s15
	v_mad_i64_i32 v[2:3], null, s19, v9, v[0:1]
	s_mul_i32 s8, s8, s15
	s_add_i32 s9, s18, s9
	s_delay_alu instid0(VALU_DEP_3)
	v_lshlrev_b64 v[4:5], 3, v[4:5]
	s_lshl_b64 s[8:9], s[8:9], 3
	v_mov_b32_e32 v6, v1
	s_add_u32 s8, s16, s8
	s_mul_hi_u32 s16, s4, s15
	s_addc_u32 s9, s17, s9
	s_add_i32 s5, s16, s5
	s_mul_i32 s4, s4, s15
	v_lshlrev_b64 v[2:3], 3, v[2:3]
	s_lshl_b64 s[4:5], s[4:5], 3
	v_add_co_u32 v0, vcc_lo, s8, v4
	s_add_u32 s4, s10, s4
	v_add_co_ci_u32_e32 v4, vcc_lo, s9, v5, vcc_lo
	s_addc_u32 s5, s11, s5
	v_add_co_u32 v2, vcc_lo, s4, v2
	v_add_co_ci_u32_e32 v3, vcc_lo, s5, v3, vcc_lo
	v_add_co_u32 v8, vcc_lo, v0, 4
	v_add_co_ci_u32_e32 v9, vcc_lo, 0, v4, vcc_lo
	s_delay_alu instid0(VALU_DEP_4) | instskip(NEXT) | instid1(VALU_DEP_4)
	v_add_co_u32 v10, vcc_lo, v2, 4
	v_add_co_ci_u32_e32 v11, vcc_lo, 0, v3, vcc_lo
	v_mov_b32_e32 v0, v1
	v_mov_b32_e32 v3, v1
	;; [unrolled: 1-line block ×5, first 2 shown]
.LBB168_2:                              ; =>This Inner Loop Header: Depth=1
	global_load_b64 v[18:19], v[8:9], off offset:-4
	global_load_b64 v[20:21], v[10:11], off offset:-4
	v_add_co_u32 v8, vcc_lo, v8, 64
	v_add_co_ci_u32_e32 v9, vcc_lo, 0, v9, vcc_lo
	v_add_co_u32 v10, vcc_lo, v10, 64
	v_add_co_ci_u32_e32 v11, vcc_lo, 0, v11, vcc_lo
	s_add_i32 s14, s14, 8
	s_waitcnt vmcnt(1)
	ds_store_b64 v15, v[18:19]
	s_waitcnt vmcnt(0)
	ds_store_b64 v16, v[20:21]
	s_waitcnt lgkmcnt(0)
	s_barrier
	buffer_gl0_inv
	ds_load_2addr_b64 v[18:21], v14 offset1:16
	ds_load_b128 v[22:25], v17
	ds_load_b128 v[26:29], v17 offset:1024
	ds_load_b128 v[30:33], v17 offset:16
	ds_load_2addr_b64 v[34:37], v14 offset0:32 offset1:48
	ds_load_b128 v[38:41], v17 offset:32
	ds_load_b128 v[42:45], v17 offset:48
	ds_load_2addr_b64 v[46:49], v14 offset0:64 offset1:80
	ds_load_b128 v[50:53], v17 offset:1040
	ds_load_2addr_b64 v[54:57], v14 offset0:96 offset1:112
	ds_load_2addr_b64 v[58:61], v14 offset0:128 offset1:144
	;; [unrolled: 1-line block ×4, first 2 shown]
	ds_load_b128 v[70:73], v17 offset:1056
	ds_load_b128 v[74:77], v17 offset:1072
	ds_load_2addr_b64 v[78:81], v14 offset0:224 offset1:240
	s_cmp_ge_i32 s14, s3
	s_waitcnt lgkmcnt(0)
	s_barrier
	buffer_gl0_inv
	v_dual_mul_f32 v82, v23, v19 :: v_dual_mul_f32 v85, v22, v21
	v_dual_mul_f32 v83, v22, v19 :: v_dual_mul_f32 v84, v23, v21
	v_mul_f32_e32 v86, v27, v19
	v_dual_mul_f32 v19, v26, v19 :: v_dual_mul_f32 v90, v25, v37
	v_dual_mul_f32 v87, v27, v21 :: v_dual_mul_f32 v88, v25, v35
	v_mul_f32_e32 v21, v26, v21
	v_mul_f32_e32 v89, v24, v35
	;; [unrolled: 1-line block ×3, first 2 shown]
	v_fma_f32 v82, v22, v18, -v82
	v_fmac_f32_e32 v83, v23, v18
	v_fma_f32 v22, v22, v20, -v84
	v_dual_fmac_f32 v85, v23, v20 :: v_dual_mul_f32 v84, v30, v47
	v_fma_f32 v23, v26, v18, -v86
	v_fmac_f32_e32 v19, v27, v18
	v_fma_f32 v18, v26, v20, -v87
	v_dual_mul_f32 v26, v28, v35 :: v_dual_fmac_f32 v21, v27, v20
	v_mul_f32_e32 v20, v29, v35
	v_mul_f32_e32 v27, v29, v37
	v_dual_mul_f32 v35, v28, v37 :: v_dual_fmac_f32 v84, v31, v46
	v_fma_f32 v37, v24, v34, -v88
	v_fma_f32 v24, v24, v36, -v90
	v_dual_fmac_f32 v91, v25, v36 :: v_dual_mul_f32 v90, v32, v57
	v_dual_mul_f32 v86, v31, v49 :: v_dual_fmac_f32 v89, v25, v34
	v_dual_mul_f32 v25, v31, v47 :: v_dual_mul_f32 v88, v33, v57
	v_fma_f32 v20, v28, v34, -v20
	v_fmac_f32_e32 v26, v29, v34
	v_fma_f32 v27, v28, v36, -v27
	v_dual_fmac_f32 v35, v29, v36 :: v_dual_mul_f32 v28, v51, v47
	v_dual_mul_f32 v29, v50, v47 :: v_dual_mul_f32 v34, v51, v49
	v_mul_f32_e32 v36, v50, v49
	v_mul_f32_e32 v87, v30, v49
	;; [unrolled: 1-line block ×3, first 2 shown]
	v_dual_mul_f32 v49, v32, v55 :: v_dual_fmac_f32 v90, v33, v56
	v_fma_f32 v25, v30, v46, -v25
	v_fma_f32 v30, v30, v48, -v86
	;; [unrolled: 1-line block ×3, first 2 shown]
	v_fmac_f32_e32 v36, v51, v48
	v_fmac_f32_e32 v87, v31, v48
	v_fma_f32 v31, v50, v48, -v34
	v_mul_f32_e32 v34, v53, v55
	v_mul_f32_e32 v48, v53, v57
	v_dual_mul_f32 v50, v52, v57 :: v_dual_fmac_f32 v29, v51, v46
	v_mul_f32_e32 v46, v52, v55
	v_fma_f32 v47, v32, v54, -v47
	v_fmac_f32_e32 v49, v33, v54
	v_fma_f32 v32, v32, v56, -v88
	s_delay_alu instid0(VALU_DEP_4)
	v_dual_mul_f32 v33, v39, v59 :: v_dual_fmac_f32 v46, v53, v54
	v_mul_f32_e32 v51, v38, v59
	v_mul_f32_e32 v55, v39, v61
	v_fma_f32 v34, v52, v54, -v34
	v_fma_f32 v48, v52, v56, -v48
	v_fmac_f32_e32 v50, v53, v56
	v_mul_f32_e32 v52, v71, v59
	v_dual_mul_f32 v53, v70, v59 :: v_dual_mul_f32 v86, v41, v65
	v_mul_f32_e32 v54, v71, v61
	v_dual_mul_f32 v56, v70, v61 :: v_dual_mul_f32 v59, v41, v63
	v_mul_f32_e32 v57, v38, v61
	v_mul_f32_e32 v61, v40, v63
	v_dual_mul_f32 v88, v40, v65 :: v_dual_fmac_f32 v51, v39, v58
	v_fma_f32 v33, v38, v58, -v33
	v_fmac_f32_e32 v53, v71, v58
	v_fmac_f32_e32 v56, v71, v60
	s_delay_alu instid0(VALU_DEP_4)
	v_fmac_f32_e32 v88, v41, v64
	v_fmac_f32_e32 v57, v39, v60
	v_fma_f32 v39, v70, v58, -v52
	v_fma_f32 v52, v70, v60, -v54
	v_mul_f32_e32 v54, v73, v63
	v_fma_f32 v38, v38, v60, -v55
	v_mul_f32_e32 v60, v72, v65
	v_dual_mul_f32 v55, v72, v63 :: v_dual_mul_f32 v70, v42, v69
	v_mul_f32_e32 v58, v73, v65
	v_fma_f32 v59, v40, v62, -v59
	v_fmac_f32_e32 v61, v41, v62
	v_fma_f32 v40, v40, v64, -v86
	v_dual_mul_f32 v41, v43, v67 :: v_dual_fmac_f32 v60, v73, v64
	v_dual_mul_f32 v63, v42, v67 :: v_dual_mul_f32 v86, v44, v81
	v_mul_f32_e32 v65, v43, v69
	v_fma_f32 v54, v72, v62, -v54
	v_fmac_f32_e32 v55, v73, v62
	v_fma_f32 v58, v72, v64, -v58
	v_mul_f32_e32 v72, v44, v79
	v_mul_f32_e32 v62, v75, v67
	v_dual_mul_f32 v64, v74, v67 :: v_dual_mul_f32 v67, v75, v69
	v_dual_mul_f32 v69, v74, v69 :: v_dual_fmac_f32 v70, v43, v68
	s_delay_alu instid0(VALU_DEP_2)
	v_dual_mul_f32 v71, v45, v79 :: v_dual_fmac_f32 v64, v75, v66
	v_fma_f32 v41, v42, v66, -v41
	v_fmac_f32_e32 v63, v43, v66
	v_fma_f32 v43, v74, v66, -v62
	v_dual_mul_f32 v66, v76, v79 :: v_dual_mul_f32 v73, v45, v81
	v_add_f32_e32 v6, v6, v82
	v_fma_f32 v42, v42, v68, -v65
	v_fma_f32 v62, v74, v68, -v67
	v_dual_fmac_f32 v69, v75, v68 :: v_dual_fmac_f32 v72, v45, v78
	v_dual_mul_f32 v65, v77, v79 :: v_dual_add_f32 v4, v4, v22
	v_dual_mul_f32 v67, v77, v81 :: v_dual_add_f32 v2, v2, v23
	v_mul_f32_e32 v68, v76, v81
	v_dual_fmac_f32 v86, v45, v80 :: v_dual_add_f32 v7, v7, v83
	v_dual_fmac_f32 v66, v77, v78 :: v_dual_add_f32 v3, v3, v19
	v_dual_add_f32 v5, v5, v85 :: v_dual_add_f32 v0, v0, v18
	v_dual_add_f32 v1, v1, v21 :: v_dual_add_f32 v4, v4, v24
	s_delay_alu instid0(VALU_DEP_4) | instskip(NEXT) | instid1(VALU_DEP_3)
	v_dual_fmac_f32 v68, v77, v80 :: v_dual_add_f32 v7, v7, v89
	v_dual_add_f32 v6, v6, v37 :: v_dual_add_f32 v5, v5, v91
	v_dual_add_f32 v2, v2, v20 :: v_dual_add_f32 v3, v3, v26
	s_delay_alu instid0(VALU_DEP_3) | instskip(NEXT) | instid1(VALU_DEP_3)
	v_dual_add_f32 v0, v0, v27 :: v_dual_add_f32 v7, v7, v84
	v_dual_add_f32 v1, v1, v35 :: v_dual_add_f32 v6, v6, v25
	s_delay_alu instid0(VALU_DEP_4) | instskip(NEXT) | instid1(VALU_DEP_4)
	v_dual_add_f32 v4, v4, v30 :: v_dual_add_f32 v5, v5, v87
	v_dual_add_f32 v2, v2, v28 :: v_dual_add_f32 v3, v3, v29
	s_delay_alu instid0(VALU_DEP_3) | instskip(NEXT) | instid1(VALU_DEP_4)
	v_dual_add_f32 v0, v0, v31 :: v_dual_add_f32 v1, v1, v36
	v_dual_add_f32 v6, v6, v47 :: v_dual_add_f32 v7, v7, v49
	s_delay_alu instid0(VALU_DEP_4) | instskip(NEXT) | instid1(VALU_DEP_4)
	v_dual_add_f32 v4, v4, v32 :: v_dual_add_f32 v5, v5, v90
	v_add_f32_e32 v2, v2, v34
	s_delay_alu instid0(VALU_DEP_4) | instskip(NEXT) | instid1(VALU_DEP_4)
	v_dual_add_f32 v3, v3, v46 :: v_dual_add_f32 v0, v0, v48
	v_dual_add_f32 v1, v1, v50 :: v_dual_add_f32 v6, v6, v33
	s_delay_alu instid0(VALU_DEP_4) | instskip(NEXT) | instid1(VALU_DEP_4)
	v_dual_add_f32 v7, v7, v51 :: v_dual_add_f32 v4, v4, v38
	v_dual_add_f32 v5, v5, v57 :: v_dual_add_f32 v2, v2, v39
	s_delay_alu instid0(VALU_DEP_4) | instskip(NEXT) | instid1(VALU_DEP_3)
	v_dual_add_f32 v3, v3, v53 :: v_dual_add_f32 v0, v0, v52
	v_add_f32_e32 v7, v7, v61
	v_dual_add_f32 v1, v1, v56 :: v_dual_add_f32 v6, v6, v59
	s_delay_alu instid0(VALU_DEP_3) | instskip(SKIP_1) | instid1(VALU_DEP_3)
	v_dual_add_f32 v4, v4, v40 :: v_dual_add_f32 v3, v3, v55
	v_dual_add_f32 v5, v5, v88 :: v_dual_add_f32 v2, v2, v54
	;; [unrolled: 1-line block ×3, first 2 shown]
	v_fma_f32 v71, v44, v78, -v71
	v_fma_f32 v44, v44, v80, -v73
	;; [unrolled: 1-line block ×4, first 2 shown]
	v_dual_add_f32 v6, v6, v41 :: v_dual_add_f32 v7, v7, v63
	v_dual_add_f32 v4, v4, v42 :: v_dual_add_f32 v3, v3, v64
	;; [unrolled: 1-line block ×4, first 2 shown]
	s_delay_alu instid0(VALU_DEP_4) | instskip(NEXT) | instid1(VALU_DEP_3)
	v_dual_add_f32 v6, v6, v71 :: v_dual_add_f32 v7, v7, v72
	v_dual_add_f32 v4, v4, v44 :: v_dual_add_f32 v5, v5, v86
	s_delay_alu instid0(VALU_DEP_4) | instskip(NEXT) | instid1(VALU_DEP_4)
	v_dual_add_f32 v2, v2, v45 :: v_dual_add_f32 v3, v3, v66
	v_dual_add_f32 v0, v0, v65 :: v_dual_add_f32 v1, v1, v68
	s_cbranch_scc0 .LBB168_2
.LBB168_3:
	s_clause 0x1
	s_load_b32 s3, s[0:1], 0x40
	s_load_b64 s[4:5], s[0:1], 0x48
	v_add_nc_u32_e32 v10, s13, v13
	v_add_nc_u32_e32 v8, s12, v12
	s_delay_alu instid0(VALU_DEP_1)
	v_cmp_le_i32_e64 s0, v10, v8
	v_cmp_gt_i32_e32 vcc_lo, s2, v8
	s_waitcnt lgkmcnt(0)
	v_mad_i64_i32 v[11:12], null, v10, s3, 0
	s_mul_i32 s1, s15, s5
	s_mul_hi_u32 s5, s15, s4
	s_mul_i32 s4, s15, s4
	s_add_i32 s5, s5, s1
	s_delay_alu instid0(SALU_CYCLE_1) | instskip(NEXT) | instid1(VALU_DEP_1)
	s_lshl_b64 s[4:5], s[4:5], 3
	v_lshlrev_b64 v[11:12], 3, v[11:12]
	s_add_u32 s4, s6, s4
	s_addc_u32 s5, s7, s5
	s_and_b32 s0, s0, vcc_lo
	s_delay_alu instid0(VALU_DEP_1) | instskip(NEXT) | instid1(VALU_DEP_1)
	v_add_co_u32 v11, s1, s4, v11
	v_add_co_ci_u32_e64 v12, s1, s5, v12, s1
	s_and_saveexec_b32 s1, s0
	s_cbranch_execz .LBB168_5
; %bb.4:
	v_ashrrev_i32_e32 v9, 31, v8
	s_delay_alu instid0(VALU_DEP_1) | instskip(NEXT) | instid1(VALU_DEP_1)
	v_lshlrev_b64 v[13:14], 3, v[8:9]
	v_add_co_u32 v13, s0, v11, v13
	s_delay_alu instid0(VALU_DEP_1)
	v_add_co_ci_u32_e64 v14, s0, v12, v14, s0
	global_store_b64 v[13:14], v[6:7], off
.LBB168_5:
	s_or_b32 exec_lo, exec_lo, s1
	v_add_nc_u32_e32 v6, 16, v8
	s_delay_alu instid0(VALU_DEP_1) | instskip(SKIP_1) | instid1(VALU_DEP_1)
	v_cmp_le_i32_e64 s1, v10, v6
	v_cmp_gt_i32_e64 s0, s2, v6
	s_and_b32 s1, s1, s0
	s_delay_alu instid0(SALU_CYCLE_1)
	s_and_saveexec_b32 s2, s1
	s_cbranch_execz .LBB168_7
; %bb.6:
	v_ashrrev_i32_e32 v7, 31, v6
	s_delay_alu instid0(VALU_DEP_1) | instskip(NEXT) | instid1(VALU_DEP_1)
	v_lshlrev_b64 v[13:14], 3, v[6:7]
	v_add_co_u32 v11, s1, v11, v13
	s_delay_alu instid0(VALU_DEP_1)
	v_add_co_ci_u32_e64 v12, s1, v12, v14, s1
	global_store_b64 v[11:12], v[4:5], off
.LBB168_7:
	s_or_b32 exec_lo, exec_lo, s2
	v_add_nc_u32_e32 v7, 16, v10
	s_delay_alu instid0(VALU_DEP_1) | instskip(SKIP_1) | instid1(VALU_DEP_2)
	v_mad_i64_i32 v[4:5], null, v7, s3, 0
	v_cmp_le_i32_e64 s1, v7, v8
	v_lshlrev_b64 v[4:5], 3, v[4:5]
	s_delay_alu instid0(VALU_DEP_1) | instskip(NEXT) | instid1(VALU_DEP_1)
	v_add_co_u32 v4, s2, s4, v4
	v_add_co_ci_u32_e64 v5, s2, s5, v5, s2
	s_delay_alu instid0(VALU_DEP_4) | instskip(NEXT) | instid1(SALU_CYCLE_1)
	s_and_b32 s2, s1, vcc_lo
	s_and_saveexec_b32 s1, s2
	s_cbranch_execz .LBB168_9
; %bb.8:
	v_ashrrev_i32_e32 v9, 31, v8
	s_delay_alu instid0(VALU_DEP_1) | instskip(NEXT) | instid1(VALU_DEP_1)
	v_lshlrev_b64 v[8:9], 3, v[8:9]
	v_add_co_u32 v8, vcc_lo, v4, v8
	s_delay_alu instid0(VALU_DEP_2)
	v_add_co_ci_u32_e32 v9, vcc_lo, v5, v9, vcc_lo
	global_store_b64 v[8:9], v[2:3], off
.LBB168_9:
	s_or_b32 exec_lo, exec_lo, s1
	v_cmp_le_i32_e32 vcc_lo, v7, v6
	s_and_b32 s0, vcc_lo, s0
	s_delay_alu instid0(SALU_CYCLE_1)
	s_and_saveexec_b32 s1, s0
	s_cbranch_execz .LBB168_11
; %bb.10:
	v_ashrrev_i32_e32 v7, 31, v6
	s_delay_alu instid0(VALU_DEP_1) | instskip(NEXT) | instid1(VALU_DEP_1)
	v_lshlrev_b64 v[2:3], 3, v[6:7]
	v_add_co_u32 v2, vcc_lo, v4, v2
	s_delay_alu instid0(VALU_DEP_2)
	v_add_co_ci_u32_e32 v3, vcc_lo, v5, v3, vcc_lo
	global_store_b64 v[2:3], v[0:1], off
.LBB168_11:
	s_nop 0
	s_sendmsg sendmsg(MSG_DEALLOC_VGPRS)
	s_endpgm
	.section	.rodata,"a",@progbits
	.p2align	6, 0x0
	.amdhsa_kernel _ZL37rocblas_syrkx_herkx_restricted_kernelIi19rocblas_complex_numIfELi16ELi32ELi8ELi1ELi0ELb0ELc84ELc76EKS1_S1_EviT_PT9_S3_lS5_S3_lPT10_S3_li
		.amdhsa_group_segment_fixed_size 4096
		.amdhsa_private_segment_fixed_size 0
		.amdhsa_kernarg_size 84
		.amdhsa_user_sgpr_count 13
		.amdhsa_user_sgpr_dispatch_ptr 0
		.amdhsa_user_sgpr_queue_ptr 0
		.amdhsa_user_sgpr_kernarg_segment_ptr 1
		.amdhsa_user_sgpr_dispatch_id 0
		.amdhsa_user_sgpr_private_segment_size 0
		.amdhsa_wavefront_size32 1
		.amdhsa_uses_dynamic_stack 0
		.amdhsa_enable_private_segment 0
		.amdhsa_system_sgpr_workgroup_id_x 1
		.amdhsa_system_sgpr_workgroup_id_y 1
		.amdhsa_system_sgpr_workgroup_id_z 1
		.amdhsa_system_sgpr_workgroup_info 0
		.amdhsa_system_vgpr_workitem_id 1
		.amdhsa_next_free_vgpr 92
		.amdhsa_next_free_sgpr 20
		.amdhsa_reserve_vcc 1
		.amdhsa_float_round_mode_32 0
		.amdhsa_float_round_mode_16_64 0
		.amdhsa_float_denorm_mode_32 3
		.amdhsa_float_denorm_mode_16_64 3
		.amdhsa_dx10_clamp 1
		.amdhsa_ieee_mode 1
		.amdhsa_fp16_overflow 0
		.amdhsa_workgroup_processor_mode 1
		.amdhsa_memory_ordered 1
		.amdhsa_forward_progress 0
		.amdhsa_shared_vgpr_count 0
		.amdhsa_exception_fp_ieee_invalid_op 0
		.amdhsa_exception_fp_denorm_src 0
		.amdhsa_exception_fp_ieee_div_zero 0
		.amdhsa_exception_fp_ieee_overflow 0
		.amdhsa_exception_fp_ieee_underflow 0
		.amdhsa_exception_fp_ieee_inexact 0
		.amdhsa_exception_int_div_zero 0
	.end_amdhsa_kernel
	.section	.text._ZL37rocblas_syrkx_herkx_restricted_kernelIi19rocblas_complex_numIfELi16ELi32ELi8ELi1ELi0ELb0ELc84ELc76EKS1_S1_EviT_PT9_S3_lS5_S3_lPT10_S3_li,"axG",@progbits,_ZL37rocblas_syrkx_herkx_restricted_kernelIi19rocblas_complex_numIfELi16ELi32ELi8ELi1ELi0ELb0ELc84ELc76EKS1_S1_EviT_PT9_S3_lS5_S3_lPT10_S3_li,comdat
.Lfunc_end168:
	.size	_ZL37rocblas_syrkx_herkx_restricted_kernelIi19rocblas_complex_numIfELi16ELi32ELi8ELi1ELi0ELb0ELc84ELc76EKS1_S1_EviT_PT9_S3_lS5_S3_lPT10_S3_li, .Lfunc_end168-_ZL37rocblas_syrkx_herkx_restricted_kernelIi19rocblas_complex_numIfELi16ELi32ELi8ELi1ELi0ELb0ELc84ELc76EKS1_S1_EviT_PT9_S3_lS5_S3_lPT10_S3_li
                                        ; -- End function
	.section	.AMDGPU.csdata,"",@progbits
; Kernel info:
; codeLenInByte = 2040
; NumSgprs: 22
; NumVgprs: 92
; ScratchSize: 0
; MemoryBound: 0
; FloatMode: 240
; IeeeMode: 1
; LDSByteSize: 4096 bytes/workgroup (compile time only)
; SGPRBlocks: 2
; VGPRBlocks: 11
; NumSGPRsForWavesPerEU: 22
; NumVGPRsForWavesPerEU: 92
; Occupancy: 16
; WaveLimiterHint : 0
; COMPUTE_PGM_RSRC2:SCRATCH_EN: 0
; COMPUTE_PGM_RSRC2:USER_SGPR: 13
; COMPUTE_PGM_RSRC2:TRAP_HANDLER: 0
; COMPUTE_PGM_RSRC2:TGID_X_EN: 1
; COMPUTE_PGM_RSRC2:TGID_Y_EN: 1
; COMPUTE_PGM_RSRC2:TGID_Z_EN: 1
; COMPUTE_PGM_RSRC2:TIDIG_COMP_CNT: 1
	.section	.text._ZL37rocblas_syrkx_herkx_restricted_kernelIi19rocblas_complex_numIfELi16ELi32ELi8ELi1ELi0ELb0ELc67ELc76EKS1_S1_EviT_PT9_S3_lS5_S3_lPT10_S3_li,"axG",@progbits,_ZL37rocblas_syrkx_herkx_restricted_kernelIi19rocblas_complex_numIfELi16ELi32ELi8ELi1ELi0ELb0ELc67ELc76EKS1_S1_EviT_PT9_S3_lS5_S3_lPT10_S3_li,comdat
	.globl	_ZL37rocblas_syrkx_herkx_restricted_kernelIi19rocblas_complex_numIfELi16ELi32ELi8ELi1ELi0ELb0ELc67ELc76EKS1_S1_EviT_PT9_S3_lS5_S3_lPT10_S3_li ; -- Begin function _ZL37rocblas_syrkx_herkx_restricted_kernelIi19rocblas_complex_numIfELi16ELi32ELi8ELi1ELi0ELb0ELc67ELc76EKS1_S1_EviT_PT9_S3_lS5_S3_lPT10_S3_li
	.p2align	8
	.type	_ZL37rocblas_syrkx_herkx_restricted_kernelIi19rocblas_complex_numIfELi16ELi32ELi8ELi1ELi0ELb0ELc67ELc76EKS1_S1_EviT_PT9_S3_lS5_S3_lPT10_S3_li,@function
_ZL37rocblas_syrkx_herkx_restricted_kernelIi19rocblas_complex_numIfELi16ELi32ELi8ELi1ELi0ELb0ELc67ELc76EKS1_S1_EviT_PT9_S3_lS5_S3_lPT10_S3_li: ; @_ZL37rocblas_syrkx_herkx_restricted_kernelIi19rocblas_complex_numIfELi16ELi32ELi8ELi1ELi0ELb0ELc67ELc76EKS1_S1_EviT_PT9_S3_lS5_S3_lPT10_S3_li
; %bb.0:
	s_clause 0x1
	s_load_b64 s[2:3], s[0:1], 0x0
	s_load_b128 s[4:7], s[0:1], 0x30
	v_dual_mov_b32 v7, 0 :: v_dual_and_b32 v12, 0x3ff, v0
	v_bfe_u32 v13, v0, 10, 10
	v_dual_mov_b32 v6, 0 :: v_dual_mov_b32 v5, 0
	v_dual_mov_b32 v4, 0 :: v_dual_mov_b32 v3, 0
	;; [unrolled: 1-line block ×3, first 2 shown]
	v_mov_b32_e32 v0, 0
	s_lshl_b32 s12, s13, 5
	s_lshl_b32 s13, s14, 5
	s_mov_b32 s14, 0
	s_waitcnt lgkmcnt(0)
	s_cmp_lt_i32 s3, 1
	s_cbranch_scc1 .LBB169_3
; %bb.1:
	s_clause 0x3
	s_load_b32 s18, s[0:1], 0x10
	s_load_b128 s[8:11], s[0:1], 0x18
	s_load_b64 s[16:17], s[0:1], 0x8
	s_load_b32 s19, s[0:1], 0x28
	v_lshl_add_u32 v2, v13, 4, v12
	v_dual_mov_b32 v1, 0 :: v_dual_and_b32 v0, 7, v12
	v_lshlrev_b32_e32 v14, 3, v12
	s_mul_i32 s5, s5, s15
	s_delay_alu instid0(VALU_DEP_3)
	v_lshrrev_b32_e32 v4, 3, v2
	v_and_b32_e32 v5, 31, v2
	v_lshlrev_b32_e32 v3, 3, v0
	v_lshrrev_b32_e32 v2, 5, v2
	v_lshl_add_u32 v17, v13, 6, 0x800
	v_add_nc_u32_e32 v9, s13, v4
	v_add_nc_u32_e32 v8, s12, v5
	v_lshl_or_b32 v7, v4, 6, v3
	v_dual_mov_b32 v3, v1 :: v_dual_lshlrev_b32 v6, 3, v5
	s_delay_alu instid0(VALU_DEP_2) | instskip(SKIP_1) | instid1(VALU_DEP_2)
	v_dual_mov_b32 v7, v1 :: v_dual_add_nc_u32 v16, 0x800, v7
	s_waitcnt lgkmcnt(0)
	v_mad_i64_i32 v[4:5], null, s18, v8, v[2:3]
	s_delay_alu instid0(VALU_DEP_3)
	v_lshl_or_b32 v15, v2, 8, v6
	s_mul_i32 s9, s9, s15
	s_mul_hi_u32 s18, s8, s15
	v_mad_i64_i32 v[2:3], null, s19, v9, v[0:1]
	s_mul_i32 s8, s8, s15
	s_add_i32 s9, s18, s9
	s_delay_alu instid0(VALU_DEP_3)
	v_lshlrev_b64 v[4:5], 3, v[4:5]
	s_lshl_b64 s[8:9], s[8:9], 3
	v_mov_b32_e32 v6, v1
	s_add_u32 s8, s16, s8
	s_mul_hi_u32 s16, s4, s15
	s_addc_u32 s9, s17, s9
	s_add_i32 s5, s16, s5
	s_mul_i32 s4, s4, s15
	v_lshlrev_b64 v[2:3], 3, v[2:3]
	s_lshl_b64 s[4:5], s[4:5], 3
	v_add_co_u32 v0, vcc_lo, s8, v4
	s_add_u32 s4, s10, s4
	v_add_co_ci_u32_e32 v4, vcc_lo, s9, v5, vcc_lo
	s_addc_u32 s5, s11, s5
	v_add_co_u32 v2, vcc_lo, s4, v2
	v_add_co_ci_u32_e32 v3, vcc_lo, s5, v3, vcc_lo
	v_add_co_u32 v8, vcc_lo, v0, 4
	v_add_co_ci_u32_e32 v9, vcc_lo, 0, v4, vcc_lo
	s_delay_alu instid0(VALU_DEP_4) | instskip(NEXT) | instid1(VALU_DEP_4)
	v_add_co_u32 v10, vcc_lo, v2, 4
	v_add_co_ci_u32_e32 v11, vcc_lo, 0, v3, vcc_lo
	v_mov_b32_e32 v0, v1
	v_mov_b32_e32 v3, v1
	;; [unrolled: 1-line block ×5, first 2 shown]
.LBB169_2:                              ; =>This Inner Loop Header: Depth=1
	global_load_b64 v[18:19], v[8:9], off offset:-4
	global_load_b64 v[20:21], v[10:11], off offset:-4
	v_add_co_u32 v8, vcc_lo, v8, 64
	v_add_co_ci_u32_e32 v9, vcc_lo, 0, v9, vcc_lo
	v_add_co_u32 v10, vcc_lo, v10, 64
	v_add_co_ci_u32_e32 v11, vcc_lo, 0, v11, vcc_lo
	s_add_i32 s14, s14, 8
	s_waitcnt vmcnt(1)
	ds_store_b64 v15, v[18:19]
	s_waitcnt vmcnt(0)
	ds_store_b64 v16, v[20:21]
	s_waitcnt lgkmcnt(0)
	s_barrier
	buffer_gl0_inv
	ds_load_2addr_b64 v[18:21], v14 offset1:16
	ds_load_b128 v[22:25], v17
	ds_load_b128 v[26:29], v17 offset:1024
	ds_load_b128 v[30:33], v17 offset:16
	ds_load_2addr_b64 v[34:37], v14 offset0:32 offset1:48
	ds_load_b128 v[38:41], v17 offset:32
	ds_load_b128 v[42:45], v17 offset:48
	ds_load_2addr_b64 v[46:49], v14 offset0:64 offset1:80
	ds_load_b128 v[50:53], v17 offset:1040
	ds_load_2addr_b64 v[54:57], v14 offset0:96 offset1:112
	ds_load_2addr_b64 v[58:61], v14 offset0:128 offset1:144
	;; [unrolled: 1-line block ×4, first 2 shown]
	ds_load_b128 v[70:73], v17 offset:1056
	ds_load_b128 v[74:77], v17 offset:1072
	ds_load_2addr_b64 v[78:81], v14 offset0:224 offset1:240
	s_cmp_ge_i32 s14, s3
	s_waitcnt lgkmcnt(0)
	s_barrier
	buffer_gl0_inv
	v_dual_mul_f32 v82, v23, v19 :: v_dual_mul_f32 v85, v22, v21
	v_dual_mul_f32 v83, v22, v19 :: v_dual_mul_f32 v84, v23, v21
	v_mul_f32_e32 v86, v27, v19
	v_dual_mul_f32 v19, v26, v19 :: v_dual_mul_f32 v90, v25, v37
	v_dual_mul_f32 v87, v27, v21 :: v_dual_mul_f32 v88, v25, v35
	v_mul_f32_e32 v21, v26, v21
	v_mul_f32_e32 v89, v24, v35
	;; [unrolled: 1-line block ×3, first 2 shown]
	v_fma_f32 v82, v22, v18, -v82
	v_fmac_f32_e32 v83, v23, v18
	v_fma_f32 v22, v22, v20, -v84
	v_dual_fmac_f32 v85, v23, v20 :: v_dual_mul_f32 v84, v30, v47
	v_fma_f32 v23, v26, v18, -v86
	v_fmac_f32_e32 v19, v27, v18
	v_fma_f32 v18, v26, v20, -v87
	v_dual_mul_f32 v26, v28, v35 :: v_dual_fmac_f32 v21, v27, v20
	v_mul_f32_e32 v20, v29, v35
	v_mul_f32_e32 v27, v29, v37
	v_dual_mul_f32 v35, v28, v37 :: v_dual_fmac_f32 v84, v31, v46
	v_fma_f32 v37, v24, v34, -v88
	v_fma_f32 v24, v24, v36, -v90
	v_dual_fmac_f32 v91, v25, v36 :: v_dual_mul_f32 v90, v32, v57
	v_dual_mul_f32 v86, v31, v49 :: v_dual_fmac_f32 v89, v25, v34
	v_dual_mul_f32 v25, v31, v47 :: v_dual_mul_f32 v88, v33, v57
	v_fma_f32 v20, v28, v34, -v20
	v_fmac_f32_e32 v26, v29, v34
	v_fma_f32 v27, v28, v36, -v27
	v_dual_fmac_f32 v35, v29, v36 :: v_dual_mul_f32 v28, v51, v47
	v_dual_mul_f32 v29, v50, v47 :: v_dual_mul_f32 v34, v51, v49
	v_mul_f32_e32 v36, v50, v49
	v_mul_f32_e32 v87, v30, v49
	;; [unrolled: 1-line block ×3, first 2 shown]
	v_dual_mul_f32 v49, v32, v55 :: v_dual_fmac_f32 v90, v33, v56
	v_fma_f32 v25, v30, v46, -v25
	v_fma_f32 v30, v30, v48, -v86
	;; [unrolled: 1-line block ×3, first 2 shown]
	v_fmac_f32_e32 v36, v51, v48
	v_fmac_f32_e32 v87, v31, v48
	v_fma_f32 v31, v50, v48, -v34
	v_mul_f32_e32 v34, v53, v55
	v_mul_f32_e32 v48, v53, v57
	v_dual_mul_f32 v50, v52, v57 :: v_dual_fmac_f32 v29, v51, v46
	v_mul_f32_e32 v46, v52, v55
	v_fma_f32 v47, v32, v54, -v47
	v_fmac_f32_e32 v49, v33, v54
	v_fma_f32 v32, v32, v56, -v88
	s_delay_alu instid0(VALU_DEP_4)
	v_dual_mul_f32 v33, v39, v59 :: v_dual_fmac_f32 v46, v53, v54
	v_mul_f32_e32 v51, v38, v59
	v_mul_f32_e32 v55, v39, v61
	v_fma_f32 v34, v52, v54, -v34
	v_fma_f32 v48, v52, v56, -v48
	v_fmac_f32_e32 v50, v53, v56
	v_mul_f32_e32 v52, v71, v59
	v_dual_mul_f32 v53, v70, v59 :: v_dual_mul_f32 v86, v41, v65
	v_mul_f32_e32 v54, v71, v61
	v_dual_mul_f32 v56, v70, v61 :: v_dual_mul_f32 v59, v41, v63
	v_mul_f32_e32 v57, v38, v61
	v_mul_f32_e32 v61, v40, v63
	v_dual_mul_f32 v88, v40, v65 :: v_dual_fmac_f32 v51, v39, v58
	v_fma_f32 v33, v38, v58, -v33
	v_fmac_f32_e32 v53, v71, v58
	v_fmac_f32_e32 v56, v71, v60
	s_delay_alu instid0(VALU_DEP_4)
	v_fmac_f32_e32 v88, v41, v64
	v_fmac_f32_e32 v57, v39, v60
	v_fma_f32 v39, v70, v58, -v52
	v_fma_f32 v52, v70, v60, -v54
	v_mul_f32_e32 v54, v73, v63
	v_fma_f32 v38, v38, v60, -v55
	v_mul_f32_e32 v60, v72, v65
	v_dual_mul_f32 v55, v72, v63 :: v_dual_mul_f32 v70, v42, v69
	v_mul_f32_e32 v58, v73, v65
	v_fma_f32 v59, v40, v62, -v59
	v_fmac_f32_e32 v61, v41, v62
	v_fma_f32 v40, v40, v64, -v86
	v_dual_mul_f32 v41, v43, v67 :: v_dual_fmac_f32 v60, v73, v64
	v_dual_mul_f32 v63, v42, v67 :: v_dual_mul_f32 v86, v44, v81
	v_mul_f32_e32 v65, v43, v69
	v_fma_f32 v54, v72, v62, -v54
	v_fmac_f32_e32 v55, v73, v62
	v_fma_f32 v58, v72, v64, -v58
	v_mul_f32_e32 v72, v44, v79
	v_mul_f32_e32 v62, v75, v67
	v_dual_mul_f32 v64, v74, v67 :: v_dual_mul_f32 v67, v75, v69
	v_dual_mul_f32 v69, v74, v69 :: v_dual_fmac_f32 v70, v43, v68
	s_delay_alu instid0(VALU_DEP_2)
	v_dual_mul_f32 v71, v45, v79 :: v_dual_fmac_f32 v64, v75, v66
	v_fma_f32 v41, v42, v66, -v41
	v_fmac_f32_e32 v63, v43, v66
	v_fma_f32 v43, v74, v66, -v62
	v_dual_mul_f32 v66, v76, v79 :: v_dual_mul_f32 v73, v45, v81
	v_add_f32_e32 v6, v6, v82
	v_fma_f32 v42, v42, v68, -v65
	v_fma_f32 v62, v74, v68, -v67
	v_dual_fmac_f32 v69, v75, v68 :: v_dual_fmac_f32 v72, v45, v78
	v_dual_mul_f32 v65, v77, v79 :: v_dual_add_f32 v4, v4, v22
	v_dual_mul_f32 v67, v77, v81 :: v_dual_add_f32 v2, v2, v23
	v_mul_f32_e32 v68, v76, v81
	v_dual_fmac_f32 v86, v45, v80 :: v_dual_add_f32 v7, v7, v83
	v_dual_fmac_f32 v66, v77, v78 :: v_dual_add_f32 v3, v3, v19
	v_dual_add_f32 v5, v5, v85 :: v_dual_add_f32 v0, v0, v18
	v_dual_add_f32 v1, v1, v21 :: v_dual_add_f32 v4, v4, v24
	s_delay_alu instid0(VALU_DEP_4) | instskip(NEXT) | instid1(VALU_DEP_3)
	v_dual_fmac_f32 v68, v77, v80 :: v_dual_add_f32 v7, v7, v89
	v_dual_add_f32 v6, v6, v37 :: v_dual_add_f32 v5, v5, v91
	v_dual_add_f32 v2, v2, v20 :: v_dual_add_f32 v3, v3, v26
	s_delay_alu instid0(VALU_DEP_3) | instskip(NEXT) | instid1(VALU_DEP_3)
	v_dual_add_f32 v0, v0, v27 :: v_dual_add_f32 v7, v7, v84
	v_dual_add_f32 v1, v1, v35 :: v_dual_add_f32 v6, v6, v25
	s_delay_alu instid0(VALU_DEP_4) | instskip(NEXT) | instid1(VALU_DEP_4)
	v_dual_add_f32 v4, v4, v30 :: v_dual_add_f32 v5, v5, v87
	v_dual_add_f32 v2, v2, v28 :: v_dual_add_f32 v3, v3, v29
	s_delay_alu instid0(VALU_DEP_3) | instskip(NEXT) | instid1(VALU_DEP_4)
	v_dual_add_f32 v0, v0, v31 :: v_dual_add_f32 v1, v1, v36
	v_dual_add_f32 v6, v6, v47 :: v_dual_add_f32 v7, v7, v49
	s_delay_alu instid0(VALU_DEP_4) | instskip(NEXT) | instid1(VALU_DEP_4)
	v_dual_add_f32 v4, v4, v32 :: v_dual_add_f32 v5, v5, v90
	v_add_f32_e32 v2, v2, v34
	s_delay_alu instid0(VALU_DEP_4) | instskip(NEXT) | instid1(VALU_DEP_4)
	v_dual_add_f32 v3, v3, v46 :: v_dual_add_f32 v0, v0, v48
	v_dual_add_f32 v1, v1, v50 :: v_dual_add_f32 v6, v6, v33
	s_delay_alu instid0(VALU_DEP_4) | instskip(NEXT) | instid1(VALU_DEP_4)
	v_dual_add_f32 v7, v7, v51 :: v_dual_add_f32 v4, v4, v38
	v_dual_add_f32 v5, v5, v57 :: v_dual_add_f32 v2, v2, v39
	s_delay_alu instid0(VALU_DEP_4) | instskip(NEXT) | instid1(VALU_DEP_3)
	v_dual_add_f32 v3, v3, v53 :: v_dual_add_f32 v0, v0, v52
	v_add_f32_e32 v7, v7, v61
	v_dual_add_f32 v1, v1, v56 :: v_dual_add_f32 v6, v6, v59
	s_delay_alu instid0(VALU_DEP_3) | instskip(SKIP_1) | instid1(VALU_DEP_3)
	v_dual_add_f32 v4, v4, v40 :: v_dual_add_f32 v3, v3, v55
	v_dual_add_f32 v5, v5, v88 :: v_dual_add_f32 v2, v2, v54
	;; [unrolled: 1-line block ×3, first 2 shown]
	v_fma_f32 v71, v44, v78, -v71
	v_fma_f32 v44, v44, v80, -v73
	;; [unrolled: 1-line block ×4, first 2 shown]
	v_dual_add_f32 v6, v6, v41 :: v_dual_add_f32 v7, v7, v63
	v_dual_add_f32 v4, v4, v42 :: v_dual_add_f32 v3, v3, v64
	;; [unrolled: 1-line block ×4, first 2 shown]
	s_delay_alu instid0(VALU_DEP_4) | instskip(NEXT) | instid1(VALU_DEP_3)
	v_dual_add_f32 v6, v6, v71 :: v_dual_add_f32 v7, v7, v72
	v_dual_add_f32 v4, v4, v44 :: v_dual_add_f32 v5, v5, v86
	s_delay_alu instid0(VALU_DEP_4) | instskip(NEXT) | instid1(VALU_DEP_4)
	v_dual_add_f32 v2, v2, v45 :: v_dual_add_f32 v3, v3, v66
	v_dual_add_f32 v0, v0, v65 :: v_dual_add_f32 v1, v1, v68
	s_cbranch_scc0 .LBB169_2
.LBB169_3:
	s_clause 0x1
	s_load_b32 s3, s[0:1], 0x40
	s_load_b64 s[4:5], s[0:1], 0x48
	v_add_nc_u32_e32 v10, s13, v13
	v_add_nc_u32_e32 v8, s12, v12
	s_delay_alu instid0(VALU_DEP_1)
	v_cmp_le_i32_e64 s0, v10, v8
	v_cmp_gt_i32_e32 vcc_lo, s2, v8
	s_waitcnt lgkmcnt(0)
	v_mad_i64_i32 v[11:12], null, v10, s3, 0
	s_mul_i32 s1, s15, s5
	s_mul_hi_u32 s5, s15, s4
	s_mul_i32 s4, s15, s4
	s_add_i32 s5, s5, s1
	s_delay_alu instid0(SALU_CYCLE_1) | instskip(NEXT) | instid1(VALU_DEP_1)
	s_lshl_b64 s[4:5], s[4:5], 3
	v_lshlrev_b64 v[11:12], 3, v[11:12]
	s_add_u32 s4, s6, s4
	s_addc_u32 s5, s7, s5
	s_and_b32 s0, s0, vcc_lo
	s_delay_alu instid0(VALU_DEP_1) | instskip(NEXT) | instid1(VALU_DEP_1)
	v_add_co_u32 v11, s1, s4, v11
	v_add_co_ci_u32_e64 v12, s1, s5, v12, s1
	s_and_saveexec_b32 s1, s0
	s_cbranch_execz .LBB169_5
; %bb.4:
	v_ashrrev_i32_e32 v9, 31, v8
	s_delay_alu instid0(VALU_DEP_1) | instskip(NEXT) | instid1(VALU_DEP_1)
	v_lshlrev_b64 v[13:14], 3, v[8:9]
	v_add_co_u32 v13, s0, v11, v13
	s_delay_alu instid0(VALU_DEP_1)
	v_add_co_ci_u32_e64 v14, s0, v12, v14, s0
	global_store_b64 v[13:14], v[6:7], off
.LBB169_5:
	s_or_b32 exec_lo, exec_lo, s1
	v_add_nc_u32_e32 v6, 16, v8
	s_delay_alu instid0(VALU_DEP_1) | instskip(SKIP_1) | instid1(VALU_DEP_1)
	v_cmp_le_i32_e64 s1, v10, v6
	v_cmp_gt_i32_e64 s0, s2, v6
	s_and_b32 s1, s1, s0
	s_delay_alu instid0(SALU_CYCLE_1)
	s_and_saveexec_b32 s2, s1
	s_cbranch_execz .LBB169_7
; %bb.6:
	v_ashrrev_i32_e32 v7, 31, v6
	s_delay_alu instid0(VALU_DEP_1) | instskip(NEXT) | instid1(VALU_DEP_1)
	v_lshlrev_b64 v[13:14], 3, v[6:7]
	v_add_co_u32 v11, s1, v11, v13
	s_delay_alu instid0(VALU_DEP_1)
	v_add_co_ci_u32_e64 v12, s1, v12, v14, s1
	global_store_b64 v[11:12], v[4:5], off
.LBB169_7:
	s_or_b32 exec_lo, exec_lo, s2
	v_add_nc_u32_e32 v7, 16, v10
	s_delay_alu instid0(VALU_DEP_1) | instskip(SKIP_1) | instid1(VALU_DEP_2)
	v_mad_i64_i32 v[4:5], null, v7, s3, 0
	v_cmp_le_i32_e64 s1, v7, v8
	v_lshlrev_b64 v[4:5], 3, v[4:5]
	s_delay_alu instid0(VALU_DEP_1) | instskip(NEXT) | instid1(VALU_DEP_1)
	v_add_co_u32 v4, s2, s4, v4
	v_add_co_ci_u32_e64 v5, s2, s5, v5, s2
	s_delay_alu instid0(VALU_DEP_4) | instskip(NEXT) | instid1(SALU_CYCLE_1)
	s_and_b32 s2, s1, vcc_lo
	s_and_saveexec_b32 s1, s2
	s_cbranch_execz .LBB169_9
; %bb.8:
	v_ashrrev_i32_e32 v9, 31, v8
	s_delay_alu instid0(VALU_DEP_1) | instskip(NEXT) | instid1(VALU_DEP_1)
	v_lshlrev_b64 v[8:9], 3, v[8:9]
	v_add_co_u32 v8, vcc_lo, v4, v8
	s_delay_alu instid0(VALU_DEP_2)
	v_add_co_ci_u32_e32 v9, vcc_lo, v5, v9, vcc_lo
	global_store_b64 v[8:9], v[2:3], off
.LBB169_9:
	s_or_b32 exec_lo, exec_lo, s1
	v_cmp_le_i32_e32 vcc_lo, v7, v6
	s_and_b32 s0, vcc_lo, s0
	s_delay_alu instid0(SALU_CYCLE_1)
	s_and_saveexec_b32 s1, s0
	s_cbranch_execz .LBB169_11
; %bb.10:
	v_ashrrev_i32_e32 v7, 31, v6
	s_delay_alu instid0(VALU_DEP_1) | instskip(NEXT) | instid1(VALU_DEP_1)
	v_lshlrev_b64 v[2:3], 3, v[6:7]
	v_add_co_u32 v2, vcc_lo, v4, v2
	s_delay_alu instid0(VALU_DEP_2)
	v_add_co_ci_u32_e32 v3, vcc_lo, v5, v3, vcc_lo
	global_store_b64 v[2:3], v[0:1], off
.LBB169_11:
	s_nop 0
	s_sendmsg sendmsg(MSG_DEALLOC_VGPRS)
	s_endpgm
	.section	.rodata,"a",@progbits
	.p2align	6, 0x0
	.amdhsa_kernel _ZL37rocblas_syrkx_herkx_restricted_kernelIi19rocblas_complex_numIfELi16ELi32ELi8ELi1ELi0ELb0ELc67ELc76EKS1_S1_EviT_PT9_S3_lS5_S3_lPT10_S3_li
		.amdhsa_group_segment_fixed_size 4096
		.amdhsa_private_segment_fixed_size 0
		.amdhsa_kernarg_size 84
		.amdhsa_user_sgpr_count 13
		.amdhsa_user_sgpr_dispatch_ptr 0
		.amdhsa_user_sgpr_queue_ptr 0
		.amdhsa_user_sgpr_kernarg_segment_ptr 1
		.amdhsa_user_sgpr_dispatch_id 0
		.amdhsa_user_sgpr_private_segment_size 0
		.amdhsa_wavefront_size32 1
		.amdhsa_uses_dynamic_stack 0
		.amdhsa_enable_private_segment 0
		.amdhsa_system_sgpr_workgroup_id_x 1
		.amdhsa_system_sgpr_workgroup_id_y 1
		.amdhsa_system_sgpr_workgroup_id_z 1
		.amdhsa_system_sgpr_workgroup_info 0
		.amdhsa_system_vgpr_workitem_id 1
		.amdhsa_next_free_vgpr 92
		.amdhsa_next_free_sgpr 20
		.amdhsa_reserve_vcc 1
		.amdhsa_float_round_mode_32 0
		.amdhsa_float_round_mode_16_64 0
		.amdhsa_float_denorm_mode_32 3
		.amdhsa_float_denorm_mode_16_64 3
		.amdhsa_dx10_clamp 1
		.amdhsa_ieee_mode 1
		.amdhsa_fp16_overflow 0
		.amdhsa_workgroup_processor_mode 1
		.amdhsa_memory_ordered 1
		.amdhsa_forward_progress 0
		.amdhsa_shared_vgpr_count 0
		.amdhsa_exception_fp_ieee_invalid_op 0
		.amdhsa_exception_fp_denorm_src 0
		.amdhsa_exception_fp_ieee_div_zero 0
		.amdhsa_exception_fp_ieee_overflow 0
		.amdhsa_exception_fp_ieee_underflow 0
		.amdhsa_exception_fp_ieee_inexact 0
		.amdhsa_exception_int_div_zero 0
	.end_amdhsa_kernel
	.section	.text._ZL37rocblas_syrkx_herkx_restricted_kernelIi19rocblas_complex_numIfELi16ELi32ELi8ELi1ELi0ELb0ELc67ELc76EKS1_S1_EviT_PT9_S3_lS5_S3_lPT10_S3_li,"axG",@progbits,_ZL37rocblas_syrkx_herkx_restricted_kernelIi19rocblas_complex_numIfELi16ELi32ELi8ELi1ELi0ELb0ELc67ELc76EKS1_S1_EviT_PT9_S3_lS5_S3_lPT10_S3_li,comdat
.Lfunc_end169:
	.size	_ZL37rocblas_syrkx_herkx_restricted_kernelIi19rocblas_complex_numIfELi16ELi32ELi8ELi1ELi0ELb0ELc67ELc76EKS1_S1_EviT_PT9_S3_lS5_S3_lPT10_S3_li, .Lfunc_end169-_ZL37rocblas_syrkx_herkx_restricted_kernelIi19rocblas_complex_numIfELi16ELi32ELi8ELi1ELi0ELb0ELc67ELc76EKS1_S1_EviT_PT9_S3_lS5_S3_lPT10_S3_li
                                        ; -- End function
	.section	.AMDGPU.csdata,"",@progbits
; Kernel info:
; codeLenInByte = 2040
; NumSgprs: 22
; NumVgprs: 92
; ScratchSize: 0
; MemoryBound: 0
; FloatMode: 240
; IeeeMode: 1
; LDSByteSize: 4096 bytes/workgroup (compile time only)
; SGPRBlocks: 2
; VGPRBlocks: 11
; NumSGPRsForWavesPerEU: 22
; NumVGPRsForWavesPerEU: 92
; Occupancy: 16
; WaveLimiterHint : 0
; COMPUTE_PGM_RSRC2:SCRATCH_EN: 0
; COMPUTE_PGM_RSRC2:USER_SGPR: 13
; COMPUTE_PGM_RSRC2:TRAP_HANDLER: 0
; COMPUTE_PGM_RSRC2:TGID_X_EN: 1
; COMPUTE_PGM_RSRC2:TGID_Y_EN: 1
; COMPUTE_PGM_RSRC2:TGID_Z_EN: 1
; COMPUTE_PGM_RSRC2:TIDIG_COMP_CNT: 1
	.section	.text._ZL37rocblas_syrkx_herkx_restricted_kernelIi19rocblas_complex_numIfELi16ELi32ELi8ELi1ELi0ELb0ELc78ELc76EKS1_S1_EviT_PT9_S3_lS5_S3_lPT10_S3_li,"axG",@progbits,_ZL37rocblas_syrkx_herkx_restricted_kernelIi19rocblas_complex_numIfELi16ELi32ELi8ELi1ELi0ELb0ELc78ELc76EKS1_S1_EviT_PT9_S3_lS5_S3_lPT10_S3_li,comdat
	.globl	_ZL37rocblas_syrkx_herkx_restricted_kernelIi19rocblas_complex_numIfELi16ELi32ELi8ELi1ELi0ELb0ELc78ELc76EKS1_S1_EviT_PT9_S3_lS5_S3_lPT10_S3_li ; -- Begin function _ZL37rocblas_syrkx_herkx_restricted_kernelIi19rocblas_complex_numIfELi16ELi32ELi8ELi1ELi0ELb0ELc78ELc76EKS1_S1_EviT_PT9_S3_lS5_S3_lPT10_S3_li
	.p2align	8
	.type	_ZL37rocblas_syrkx_herkx_restricted_kernelIi19rocblas_complex_numIfELi16ELi32ELi8ELi1ELi0ELb0ELc78ELc76EKS1_S1_EviT_PT9_S3_lS5_S3_lPT10_S3_li,@function
_ZL37rocblas_syrkx_herkx_restricted_kernelIi19rocblas_complex_numIfELi16ELi32ELi8ELi1ELi0ELb0ELc78ELc76EKS1_S1_EviT_PT9_S3_lS5_S3_lPT10_S3_li: ; @_ZL37rocblas_syrkx_herkx_restricted_kernelIi19rocblas_complex_numIfELi16ELi32ELi8ELi1ELi0ELb0ELc78ELc76EKS1_S1_EviT_PT9_S3_lS5_S3_lPT10_S3_li
; %bb.0:
	s_clause 0x1
	s_load_b64 s[2:3], s[0:1], 0x0
	s_load_b128 s[4:7], s[0:1], 0x30
	v_dual_mov_b32 v7, 0 :: v_dual_and_b32 v12, 0x3ff, v0
	v_bfe_u32 v13, v0, 10, 10
	v_dual_mov_b32 v6, 0 :: v_dual_mov_b32 v5, 0
	v_dual_mov_b32 v4, 0 :: v_dual_mov_b32 v3, 0
	;; [unrolled: 1-line block ×3, first 2 shown]
	v_mov_b32_e32 v0, 0
	s_lshl_b32 s12, s13, 5
	s_lshl_b32 s13, s14, 5
	s_mov_b32 s14, 0
	s_waitcnt lgkmcnt(0)
	s_cmp_lt_i32 s3, 1
	s_cbranch_scc1 .LBB170_3
; %bb.1:
	s_clause 0x1
	s_load_b32 s16, s[0:1], 0x10
	s_load_b32 s18, s[0:1], 0x28
	v_lshl_add_u32 v0, v13, 4, v12
	v_and_b32_e32 v6, 7, v12
	s_clause 0x1
	s_load_b128 s[8:11], s[0:1], 0x18
	s_load_b64 s[20:21], s[0:1], 0x8
	s_mul_i32 s5, s5, s15
	v_lshrrev_b32_e32 v1, 3, v0
	v_and_b32_e32 v2, 31, v0
	v_lshrrev_b32_e32 v7, 5, v0
	v_lshlrev_b32_e32 v3, 3, v6
	v_lshlrev_b32_e32 v16, 3, v12
	v_add_nc_u32_e32 v0, s13, v1
	v_lshlrev_b32_e32 v4, 3, v2
	v_add_nc_u32_e32 v2, s12, v2
	v_lshl_or_b32 v8, v1, 6, v3
	v_lshl_add_u32 v17, v13, 6, 0x800
	v_ashrrev_i32_e32 v1, 31, v0
	v_lshl_or_b32 v14, v7, 8, v4
	v_ashrrev_i32_e32 v3, 31, v2
	s_waitcnt lgkmcnt(0)
	s_ashr_i32 s17, s16, 31
	s_ashr_i32 s19, s18, 31
	v_mad_i64_i32 v[4:5], null, s18, v6, v[0:1]
	v_mad_i64_i32 v[0:1], null, s16, v7, v[2:3]
	v_mov_b32_e32 v7, 0
	s_mul_i32 s9, s9, s15
	s_mul_hi_u32 s22, s8, s15
	s_mul_i32 s8, s8, s15
	s_add_i32 s9, s22, s9
	v_add_nc_u32_e32 v15, 0x800, v8
	s_delay_alu instid0(VALU_DEP_3)
	v_lshlrev_b64 v[0:1], 3, v[0:1]
	s_lshl_b64 s[8:9], s[8:9], 3
	v_mov_b32_e32 v6, 0
	s_add_u32 s8, s20, s8
	s_addc_u32 s9, s21, s9
	s_mul_hi_u32 s20, s4, s15
	v_add_co_u32 v2, vcc_lo, s8, v0
	v_add_co_ci_u32_e32 v3, vcc_lo, s9, v1, vcc_lo
	s_add_i32 s5, s20, s5
	s_mul_i32 s4, s4, s15
	v_lshlrev_b64 v[0:1], 3, v[4:5]
	s_lshl_b64 s[8:9], s[4:5], 3
	s_lshl_b64 s[4:5], s[16:17], 6
	s_add_u32 s8, s10, s8
	s_addc_u32 s9, s11, s9
	v_mov_b32_e32 v5, 0
	v_add_co_u32 v0, vcc_lo, s8, v0
	v_add_co_ci_u32_e32 v1, vcc_lo, s9, v1, vcc_lo
	v_add_co_u32 v8, vcc_lo, v2, 4
	v_mov_b32_e32 v2, 0
	v_add_co_ci_u32_e32 v9, vcc_lo, 0, v3, vcc_lo
	v_add_co_u32 v10, vcc_lo, v0, 4
	v_add_co_ci_u32_e32 v11, vcc_lo, 0, v1, vcc_lo
	v_dual_mov_b32 v1, 0 :: v_dual_mov_b32 v0, 0
	v_dual_mov_b32 v3, 0 :: v_dual_mov_b32 v4, 0
	s_lshl_b64 s[8:9], s[18:19], 6
.LBB170_2:                              ; =>This Inner Loop Header: Depth=1
	global_load_b64 v[18:19], v[8:9], off offset:-4
	global_load_b64 v[20:21], v[10:11], off offset:-4
	v_add_co_u32 v8, vcc_lo, v8, s4
	v_add_co_ci_u32_e32 v9, vcc_lo, s5, v9, vcc_lo
	v_add_co_u32 v10, vcc_lo, v10, s8
	v_add_co_ci_u32_e32 v11, vcc_lo, s9, v11, vcc_lo
	s_add_i32 s14, s14, 8
	s_waitcnt vmcnt(1)
	ds_store_b64 v14, v[18:19]
	s_waitcnt vmcnt(0)
	ds_store_b64 v15, v[20:21]
	s_waitcnt lgkmcnt(0)
	s_barrier
	buffer_gl0_inv
	ds_load_2addr_b64 v[18:21], v16 offset1:16
	ds_load_b128 v[22:25], v17
	ds_load_b128 v[26:29], v17 offset:1024
	ds_load_b128 v[30:33], v17 offset:16
	ds_load_2addr_b64 v[34:37], v16 offset0:32 offset1:48
	ds_load_b128 v[38:41], v17 offset:32
	ds_load_b128 v[42:45], v17 offset:48
	ds_load_2addr_b64 v[46:49], v16 offset0:64 offset1:80
	ds_load_b128 v[50:53], v17 offset:1040
	ds_load_2addr_b64 v[54:57], v16 offset0:96 offset1:112
	ds_load_2addr_b64 v[58:61], v16 offset0:128 offset1:144
	;; [unrolled: 1-line block ×4, first 2 shown]
	ds_load_b128 v[70:73], v17 offset:1056
	ds_load_b128 v[74:77], v17 offset:1072
	ds_load_2addr_b64 v[78:81], v16 offset0:224 offset1:240
	s_cmp_ge_i32 s14, s3
	s_waitcnt lgkmcnt(0)
	s_barrier
	buffer_gl0_inv
	v_dual_mul_f32 v82, v23, v19 :: v_dual_mul_f32 v85, v22, v21
	v_dual_mul_f32 v83, v22, v19 :: v_dual_mul_f32 v84, v23, v21
	v_mul_f32_e32 v86, v27, v19
	v_dual_mul_f32 v19, v26, v19 :: v_dual_mul_f32 v90, v25, v37
	v_dual_mul_f32 v87, v27, v21 :: v_dual_mul_f32 v88, v25, v35
	v_mul_f32_e32 v21, v26, v21
	v_mul_f32_e32 v89, v24, v35
	;; [unrolled: 1-line block ×3, first 2 shown]
	v_fma_f32 v82, v22, v18, -v82
	v_fmac_f32_e32 v83, v23, v18
	v_fma_f32 v22, v22, v20, -v84
	v_dual_fmac_f32 v85, v23, v20 :: v_dual_mul_f32 v84, v30, v47
	v_fma_f32 v23, v26, v18, -v86
	v_fmac_f32_e32 v19, v27, v18
	v_fma_f32 v18, v26, v20, -v87
	v_dual_mul_f32 v26, v28, v35 :: v_dual_fmac_f32 v21, v27, v20
	v_mul_f32_e32 v20, v29, v35
	v_mul_f32_e32 v27, v29, v37
	v_dual_mul_f32 v35, v28, v37 :: v_dual_fmac_f32 v84, v31, v46
	v_fma_f32 v37, v24, v34, -v88
	v_fma_f32 v24, v24, v36, -v90
	v_dual_fmac_f32 v91, v25, v36 :: v_dual_mul_f32 v90, v32, v57
	v_dual_mul_f32 v86, v31, v49 :: v_dual_fmac_f32 v89, v25, v34
	v_dual_mul_f32 v25, v31, v47 :: v_dual_mul_f32 v88, v33, v57
	v_fma_f32 v20, v28, v34, -v20
	v_fmac_f32_e32 v26, v29, v34
	v_fma_f32 v27, v28, v36, -v27
	v_dual_fmac_f32 v35, v29, v36 :: v_dual_mul_f32 v28, v51, v47
	v_dual_mul_f32 v29, v50, v47 :: v_dual_mul_f32 v34, v51, v49
	v_mul_f32_e32 v36, v50, v49
	v_mul_f32_e32 v87, v30, v49
	;; [unrolled: 1-line block ×3, first 2 shown]
	v_dual_mul_f32 v49, v32, v55 :: v_dual_fmac_f32 v90, v33, v56
	v_fma_f32 v25, v30, v46, -v25
	v_fma_f32 v30, v30, v48, -v86
	;; [unrolled: 1-line block ×3, first 2 shown]
	v_fmac_f32_e32 v36, v51, v48
	v_fmac_f32_e32 v87, v31, v48
	v_fma_f32 v31, v50, v48, -v34
	v_mul_f32_e32 v34, v53, v55
	v_mul_f32_e32 v48, v53, v57
	v_dual_mul_f32 v50, v52, v57 :: v_dual_fmac_f32 v29, v51, v46
	v_mul_f32_e32 v46, v52, v55
	v_fma_f32 v47, v32, v54, -v47
	v_fmac_f32_e32 v49, v33, v54
	v_fma_f32 v32, v32, v56, -v88
	s_delay_alu instid0(VALU_DEP_4)
	v_dual_mul_f32 v33, v39, v59 :: v_dual_fmac_f32 v46, v53, v54
	v_mul_f32_e32 v51, v38, v59
	v_mul_f32_e32 v55, v39, v61
	v_fma_f32 v34, v52, v54, -v34
	v_fma_f32 v48, v52, v56, -v48
	v_fmac_f32_e32 v50, v53, v56
	v_mul_f32_e32 v52, v71, v59
	v_dual_mul_f32 v53, v70, v59 :: v_dual_mul_f32 v86, v41, v65
	v_mul_f32_e32 v54, v71, v61
	v_dual_mul_f32 v56, v70, v61 :: v_dual_mul_f32 v59, v41, v63
	v_mul_f32_e32 v57, v38, v61
	v_mul_f32_e32 v61, v40, v63
	v_dual_mul_f32 v88, v40, v65 :: v_dual_fmac_f32 v51, v39, v58
	v_fma_f32 v33, v38, v58, -v33
	v_fmac_f32_e32 v53, v71, v58
	v_fmac_f32_e32 v56, v71, v60
	s_delay_alu instid0(VALU_DEP_4)
	v_fmac_f32_e32 v88, v41, v64
	v_fmac_f32_e32 v57, v39, v60
	v_fma_f32 v39, v70, v58, -v52
	v_fma_f32 v52, v70, v60, -v54
	v_mul_f32_e32 v54, v73, v63
	v_fma_f32 v38, v38, v60, -v55
	v_mul_f32_e32 v60, v72, v65
	v_dual_mul_f32 v55, v72, v63 :: v_dual_mul_f32 v70, v42, v69
	v_mul_f32_e32 v58, v73, v65
	v_fma_f32 v59, v40, v62, -v59
	v_fmac_f32_e32 v61, v41, v62
	v_fma_f32 v40, v40, v64, -v86
	v_dual_mul_f32 v41, v43, v67 :: v_dual_fmac_f32 v60, v73, v64
	v_dual_mul_f32 v63, v42, v67 :: v_dual_mul_f32 v86, v44, v81
	v_mul_f32_e32 v65, v43, v69
	v_fma_f32 v54, v72, v62, -v54
	v_fmac_f32_e32 v55, v73, v62
	v_fma_f32 v58, v72, v64, -v58
	v_mul_f32_e32 v72, v44, v79
	v_mul_f32_e32 v62, v75, v67
	v_dual_mul_f32 v64, v74, v67 :: v_dual_mul_f32 v67, v75, v69
	v_dual_mul_f32 v69, v74, v69 :: v_dual_fmac_f32 v70, v43, v68
	s_delay_alu instid0(VALU_DEP_2)
	v_dual_mul_f32 v71, v45, v79 :: v_dual_fmac_f32 v64, v75, v66
	v_fma_f32 v41, v42, v66, -v41
	v_fmac_f32_e32 v63, v43, v66
	v_fma_f32 v43, v74, v66, -v62
	v_dual_mul_f32 v66, v76, v79 :: v_dual_mul_f32 v73, v45, v81
	v_add_f32_e32 v6, v6, v82
	v_fma_f32 v42, v42, v68, -v65
	v_fma_f32 v62, v74, v68, -v67
	v_dual_fmac_f32 v69, v75, v68 :: v_dual_fmac_f32 v72, v45, v78
	v_dual_mul_f32 v65, v77, v79 :: v_dual_add_f32 v4, v4, v22
	v_dual_mul_f32 v67, v77, v81 :: v_dual_add_f32 v2, v2, v23
	v_mul_f32_e32 v68, v76, v81
	v_dual_fmac_f32 v86, v45, v80 :: v_dual_add_f32 v7, v7, v83
	v_dual_fmac_f32 v66, v77, v78 :: v_dual_add_f32 v3, v3, v19
	v_dual_add_f32 v5, v5, v85 :: v_dual_add_f32 v0, v0, v18
	v_dual_add_f32 v1, v1, v21 :: v_dual_add_f32 v4, v4, v24
	s_delay_alu instid0(VALU_DEP_4) | instskip(NEXT) | instid1(VALU_DEP_3)
	v_dual_fmac_f32 v68, v77, v80 :: v_dual_add_f32 v7, v7, v89
	v_dual_add_f32 v6, v6, v37 :: v_dual_add_f32 v5, v5, v91
	v_dual_add_f32 v2, v2, v20 :: v_dual_add_f32 v3, v3, v26
	s_delay_alu instid0(VALU_DEP_3) | instskip(NEXT) | instid1(VALU_DEP_3)
	v_dual_add_f32 v0, v0, v27 :: v_dual_add_f32 v7, v7, v84
	v_dual_add_f32 v1, v1, v35 :: v_dual_add_f32 v6, v6, v25
	s_delay_alu instid0(VALU_DEP_4) | instskip(NEXT) | instid1(VALU_DEP_4)
	v_dual_add_f32 v4, v4, v30 :: v_dual_add_f32 v5, v5, v87
	v_dual_add_f32 v2, v2, v28 :: v_dual_add_f32 v3, v3, v29
	s_delay_alu instid0(VALU_DEP_3) | instskip(NEXT) | instid1(VALU_DEP_4)
	v_dual_add_f32 v0, v0, v31 :: v_dual_add_f32 v1, v1, v36
	v_dual_add_f32 v6, v6, v47 :: v_dual_add_f32 v7, v7, v49
	s_delay_alu instid0(VALU_DEP_4) | instskip(NEXT) | instid1(VALU_DEP_4)
	v_dual_add_f32 v4, v4, v32 :: v_dual_add_f32 v5, v5, v90
	v_add_f32_e32 v2, v2, v34
	s_delay_alu instid0(VALU_DEP_4) | instskip(NEXT) | instid1(VALU_DEP_4)
	v_dual_add_f32 v3, v3, v46 :: v_dual_add_f32 v0, v0, v48
	v_dual_add_f32 v1, v1, v50 :: v_dual_add_f32 v6, v6, v33
	s_delay_alu instid0(VALU_DEP_4) | instskip(NEXT) | instid1(VALU_DEP_4)
	v_dual_add_f32 v7, v7, v51 :: v_dual_add_f32 v4, v4, v38
	v_dual_add_f32 v5, v5, v57 :: v_dual_add_f32 v2, v2, v39
	s_delay_alu instid0(VALU_DEP_4) | instskip(NEXT) | instid1(VALU_DEP_3)
	v_dual_add_f32 v3, v3, v53 :: v_dual_add_f32 v0, v0, v52
	v_add_f32_e32 v7, v7, v61
	v_dual_add_f32 v1, v1, v56 :: v_dual_add_f32 v6, v6, v59
	s_delay_alu instid0(VALU_DEP_3) | instskip(SKIP_1) | instid1(VALU_DEP_3)
	v_dual_add_f32 v4, v4, v40 :: v_dual_add_f32 v3, v3, v55
	v_dual_add_f32 v5, v5, v88 :: v_dual_add_f32 v2, v2, v54
	;; [unrolled: 1-line block ×3, first 2 shown]
	v_fma_f32 v71, v44, v78, -v71
	v_fma_f32 v44, v44, v80, -v73
	;; [unrolled: 1-line block ×4, first 2 shown]
	v_dual_add_f32 v6, v6, v41 :: v_dual_add_f32 v7, v7, v63
	v_dual_add_f32 v4, v4, v42 :: v_dual_add_f32 v3, v3, v64
	v_dual_add_f32 v5, v5, v70 :: v_dual_add_f32 v2, v2, v43
	v_dual_add_f32 v0, v0, v62 :: v_dual_add_f32 v1, v1, v69
	s_delay_alu instid0(VALU_DEP_4) | instskip(NEXT) | instid1(VALU_DEP_3)
	v_dual_add_f32 v6, v6, v71 :: v_dual_add_f32 v7, v7, v72
	v_dual_add_f32 v4, v4, v44 :: v_dual_add_f32 v5, v5, v86
	s_delay_alu instid0(VALU_DEP_4) | instskip(NEXT) | instid1(VALU_DEP_4)
	v_dual_add_f32 v2, v2, v45 :: v_dual_add_f32 v3, v3, v66
	v_dual_add_f32 v0, v0, v65 :: v_dual_add_f32 v1, v1, v68
	s_cbranch_scc0 .LBB170_2
.LBB170_3:
	s_clause 0x1
	s_load_b32 s3, s[0:1], 0x40
	s_load_b64 s[4:5], s[0:1], 0x48
	v_add_nc_u32_e32 v10, s13, v13
	v_add_nc_u32_e32 v8, s12, v12
	s_delay_alu instid0(VALU_DEP_1)
	v_cmp_le_i32_e64 s0, v10, v8
	v_cmp_gt_i32_e32 vcc_lo, s2, v8
	s_waitcnt lgkmcnt(0)
	v_mad_i64_i32 v[11:12], null, v10, s3, 0
	s_mul_i32 s1, s15, s5
	s_mul_hi_u32 s5, s15, s4
	s_mul_i32 s4, s15, s4
	s_add_i32 s5, s5, s1
	s_delay_alu instid0(SALU_CYCLE_1) | instskip(NEXT) | instid1(VALU_DEP_1)
	s_lshl_b64 s[4:5], s[4:5], 3
	v_lshlrev_b64 v[11:12], 3, v[11:12]
	s_add_u32 s4, s6, s4
	s_addc_u32 s5, s7, s5
	s_and_b32 s0, s0, vcc_lo
	s_delay_alu instid0(VALU_DEP_1) | instskip(NEXT) | instid1(VALU_DEP_1)
	v_add_co_u32 v11, s1, s4, v11
	v_add_co_ci_u32_e64 v12, s1, s5, v12, s1
	s_and_saveexec_b32 s1, s0
	s_cbranch_execz .LBB170_5
; %bb.4:
	v_ashrrev_i32_e32 v9, 31, v8
	s_delay_alu instid0(VALU_DEP_1) | instskip(NEXT) | instid1(VALU_DEP_1)
	v_lshlrev_b64 v[13:14], 3, v[8:9]
	v_add_co_u32 v13, s0, v11, v13
	s_delay_alu instid0(VALU_DEP_1)
	v_add_co_ci_u32_e64 v14, s0, v12, v14, s0
	global_store_b64 v[13:14], v[6:7], off
.LBB170_5:
	s_or_b32 exec_lo, exec_lo, s1
	v_add_nc_u32_e32 v6, 16, v8
	s_delay_alu instid0(VALU_DEP_1) | instskip(SKIP_1) | instid1(VALU_DEP_1)
	v_cmp_le_i32_e64 s1, v10, v6
	v_cmp_gt_i32_e64 s0, s2, v6
	s_and_b32 s1, s1, s0
	s_delay_alu instid0(SALU_CYCLE_1)
	s_and_saveexec_b32 s2, s1
	s_cbranch_execz .LBB170_7
; %bb.6:
	v_ashrrev_i32_e32 v7, 31, v6
	s_delay_alu instid0(VALU_DEP_1) | instskip(NEXT) | instid1(VALU_DEP_1)
	v_lshlrev_b64 v[13:14], 3, v[6:7]
	v_add_co_u32 v11, s1, v11, v13
	s_delay_alu instid0(VALU_DEP_1)
	v_add_co_ci_u32_e64 v12, s1, v12, v14, s1
	global_store_b64 v[11:12], v[4:5], off
.LBB170_7:
	s_or_b32 exec_lo, exec_lo, s2
	v_add_nc_u32_e32 v7, 16, v10
	s_delay_alu instid0(VALU_DEP_1) | instskip(SKIP_1) | instid1(VALU_DEP_2)
	v_mad_i64_i32 v[4:5], null, v7, s3, 0
	v_cmp_le_i32_e64 s1, v7, v8
	v_lshlrev_b64 v[4:5], 3, v[4:5]
	s_delay_alu instid0(VALU_DEP_1) | instskip(NEXT) | instid1(VALU_DEP_1)
	v_add_co_u32 v4, s2, s4, v4
	v_add_co_ci_u32_e64 v5, s2, s5, v5, s2
	s_delay_alu instid0(VALU_DEP_4) | instskip(NEXT) | instid1(SALU_CYCLE_1)
	s_and_b32 s2, s1, vcc_lo
	s_and_saveexec_b32 s1, s2
	s_cbranch_execz .LBB170_9
; %bb.8:
	v_ashrrev_i32_e32 v9, 31, v8
	s_delay_alu instid0(VALU_DEP_1) | instskip(NEXT) | instid1(VALU_DEP_1)
	v_lshlrev_b64 v[8:9], 3, v[8:9]
	v_add_co_u32 v8, vcc_lo, v4, v8
	s_delay_alu instid0(VALU_DEP_2)
	v_add_co_ci_u32_e32 v9, vcc_lo, v5, v9, vcc_lo
	global_store_b64 v[8:9], v[2:3], off
.LBB170_9:
	s_or_b32 exec_lo, exec_lo, s1
	v_cmp_le_i32_e32 vcc_lo, v7, v6
	s_and_b32 s0, vcc_lo, s0
	s_delay_alu instid0(SALU_CYCLE_1)
	s_and_saveexec_b32 s1, s0
	s_cbranch_execz .LBB170_11
; %bb.10:
	v_ashrrev_i32_e32 v7, 31, v6
	s_delay_alu instid0(VALU_DEP_1) | instskip(NEXT) | instid1(VALU_DEP_1)
	v_lshlrev_b64 v[2:3], 3, v[6:7]
	v_add_co_u32 v2, vcc_lo, v4, v2
	s_delay_alu instid0(VALU_DEP_2)
	v_add_co_ci_u32_e32 v3, vcc_lo, v5, v3, vcc_lo
	global_store_b64 v[2:3], v[0:1], off
.LBB170_11:
	s_nop 0
	s_sendmsg sendmsg(MSG_DEALLOC_VGPRS)
	s_endpgm
	.section	.rodata,"a",@progbits
	.p2align	6, 0x0
	.amdhsa_kernel _ZL37rocblas_syrkx_herkx_restricted_kernelIi19rocblas_complex_numIfELi16ELi32ELi8ELi1ELi0ELb0ELc78ELc76EKS1_S1_EviT_PT9_S3_lS5_S3_lPT10_S3_li
		.amdhsa_group_segment_fixed_size 4096
		.amdhsa_private_segment_fixed_size 0
		.amdhsa_kernarg_size 84
		.amdhsa_user_sgpr_count 13
		.amdhsa_user_sgpr_dispatch_ptr 0
		.amdhsa_user_sgpr_queue_ptr 0
		.amdhsa_user_sgpr_kernarg_segment_ptr 1
		.amdhsa_user_sgpr_dispatch_id 0
		.amdhsa_user_sgpr_private_segment_size 0
		.amdhsa_wavefront_size32 1
		.amdhsa_uses_dynamic_stack 0
		.amdhsa_enable_private_segment 0
		.amdhsa_system_sgpr_workgroup_id_x 1
		.amdhsa_system_sgpr_workgroup_id_y 1
		.amdhsa_system_sgpr_workgroup_id_z 1
		.amdhsa_system_sgpr_workgroup_info 0
		.amdhsa_system_vgpr_workitem_id 1
		.amdhsa_next_free_vgpr 92
		.amdhsa_next_free_sgpr 23
		.amdhsa_reserve_vcc 1
		.amdhsa_float_round_mode_32 0
		.amdhsa_float_round_mode_16_64 0
		.amdhsa_float_denorm_mode_32 3
		.amdhsa_float_denorm_mode_16_64 3
		.amdhsa_dx10_clamp 1
		.amdhsa_ieee_mode 1
		.amdhsa_fp16_overflow 0
		.amdhsa_workgroup_processor_mode 1
		.amdhsa_memory_ordered 1
		.amdhsa_forward_progress 0
		.amdhsa_shared_vgpr_count 0
		.amdhsa_exception_fp_ieee_invalid_op 0
		.amdhsa_exception_fp_denorm_src 0
		.amdhsa_exception_fp_ieee_div_zero 0
		.amdhsa_exception_fp_ieee_overflow 0
		.amdhsa_exception_fp_ieee_underflow 0
		.amdhsa_exception_fp_ieee_inexact 0
		.amdhsa_exception_int_div_zero 0
	.end_amdhsa_kernel
	.section	.text._ZL37rocblas_syrkx_herkx_restricted_kernelIi19rocblas_complex_numIfELi16ELi32ELi8ELi1ELi0ELb0ELc78ELc76EKS1_S1_EviT_PT9_S3_lS5_S3_lPT10_S3_li,"axG",@progbits,_ZL37rocblas_syrkx_herkx_restricted_kernelIi19rocblas_complex_numIfELi16ELi32ELi8ELi1ELi0ELb0ELc78ELc76EKS1_S1_EviT_PT9_S3_lS5_S3_lPT10_S3_li,comdat
.Lfunc_end170:
	.size	_ZL37rocblas_syrkx_herkx_restricted_kernelIi19rocblas_complex_numIfELi16ELi32ELi8ELi1ELi0ELb0ELc78ELc76EKS1_S1_EviT_PT9_S3_lS5_S3_lPT10_S3_li, .Lfunc_end170-_ZL37rocblas_syrkx_herkx_restricted_kernelIi19rocblas_complex_numIfELi16ELi32ELi8ELi1ELi0ELb0ELc78ELc76EKS1_S1_EviT_PT9_S3_lS5_S3_lPT10_S3_li
                                        ; -- End function
	.section	.AMDGPU.csdata,"",@progbits
; Kernel info:
; codeLenInByte = 2048
; NumSgprs: 25
; NumVgprs: 92
; ScratchSize: 0
; MemoryBound: 0
; FloatMode: 240
; IeeeMode: 1
; LDSByteSize: 4096 bytes/workgroup (compile time only)
; SGPRBlocks: 3
; VGPRBlocks: 11
; NumSGPRsForWavesPerEU: 25
; NumVGPRsForWavesPerEU: 92
; Occupancy: 16
; WaveLimiterHint : 0
; COMPUTE_PGM_RSRC2:SCRATCH_EN: 0
; COMPUTE_PGM_RSRC2:USER_SGPR: 13
; COMPUTE_PGM_RSRC2:TRAP_HANDLER: 0
; COMPUTE_PGM_RSRC2:TGID_X_EN: 1
; COMPUTE_PGM_RSRC2:TGID_Y_EN: 1
; COMPUTE_PGM_RSRC2:TGID_Z_EN: 1
; COMPUTE_PGM_RSRC2:TIDIG_COMP_CNT: 1
	.section	.text._ZL37rocblas_syrkx_herkx_restricted_kernelIi19rocblas_complex_numIfELi16ELi32ELi8ELi1ELi0ELb0ELc84ELc85EKS1_S1_EviT_PT9_S3_lS5_S3_lPT10_S3_li,"axG",@progbits,_ZL37rocblas_syrkx_herkx_restricted_kernelIi19rocblas_complex_numIfELi16ELi32ELi8ELi1ELi0ELb0ELc84ELc85EKS1_S1_EviT_PT9_S3_lS5_S3_lPT10_S3_li,comdat
	.globl	_ZL37rocblas_syrkx_herkx_restricted_kernelIi19rocblas_complex_numIfELi16ELi32ELi8ELi1ELi0ELb0ELc84ELc85EKS1_S1_EviT_PT9_S3_lS5_S3_lPT10_S3_li ; -- Begin function _ZL37rocblas_syrkx_herkx_restricted_kernelIi19rocblas_complex_numIfELi16ELi32ELi8ELi1ELi0ELb0ELc84ELc85EKS1_S1_EviT_PT9_S3_lS5_S3_lPT10_S3_li
	.p2align	8
	.type	_ZL37rocblas_syrkx_herkx_restricted_kernelIi19rocblas_complex_numIfELi16ELi32ELi8ELi1ELi0ELb0ELc84ELc85EKS1_S1_EviT_PT9_S3_lS5_S3_lPT10_S3_li,@function
_ZL37rocblas_syrkx_herkx_restricted_kernelIi19rocblas_complex_numIfELi16ELi32ELi8ELi1ELi0ELb0ELc84ELc85EKS1_S1_EviT_PT9_S3_lS5_S3_lPT10_S3_li: ; @_ZL37rocblas_syrkx_herkx_restricted_kernelIi19rocblas_complex_numIfELi16ELi32ELi8ELi1ELi0ELb0ELc84ELc85EKS1_S1_EviT_PT9_S3_lS5_S3_lPT10_S3_li
; %bb.0:
	s_clause 0x1
	s_load_b64 s[2:3], s[0:1], 0x0
	s_load_b128 s[4:7], s[0:1], 0x30
	v_dual_mov_b32 v7, 0 :: v_dual_and_b32 v12, 0x3ff, v0
	v_bfe_u32 v13, v0, 10, 10
	v_dual_mov_b32 v6, 0 :: v_dual_mov_b32 v5, 0
	v_dual_mov_b32 v4, 0 :: v_dual_mov_b32 v3, 0
	;; [unrolled: 1-line block ×3, first 2 shown]
	v_mov_b32_e32 v0, 0
	s_lshl_b32 s12, s13, 5
	s_lshl_b32 s13, s14, 5
	s_mov_b32 s14, 0
	s_waitcnt lgkmcnt(0)
	s_cmp_lt_i32 s3, 1
	s_cbranch_scc1 .LBB171_3
; %bb.1:
	s_clause 0x3
	s_load_b32 s18, s[0:1], 0x10
	s_load_b128 s[8:11], s[0:1], 0x18
	s_load_b64 s[16:17], s[0:1], 0x8
	s_load_b32 s19, s[0:1], 0x28
	v_lshl_add_u32 v2, v13, 4, v12
	v_dual_mov_b32 v1, 0 :: v_dual_and_b32 v0, 7, v12
	v_lshlrev_b32_e32 v14, 3, v12
	s_mul_i32 s5, s5, s15
	s_delay_alu instid0(VALU_DEP_3)
	v_lshrrev_b32_e32 v4, 3, v2
	v_and_b32_e32 v5, 31, v2
	v_lshlrev_b32_e32 v3, 3, v0
	v_lshrrev_b32_e32 v2, 5, v2
	v_lshl_add_u32 v17, v13, 6, 0x800
	v_add_nc_u32_e32 v9, s13, v4
	v_add_nc_u32_e32 v8, s12, v5
	v_lshl_or_b32 v7, v4, 6, v3
	v_dual_mov_b32 v3, v1 :: v_dual_lshlrev_b32 v6, 3, v5
	s_delay_alu instid0(VALU_DEP_2) | instskip(SKIP_1) | instid1(VALU_DEP_2)
	v_dual_mov_b32 v7, v1 :: v_dual_add_nc_u32 v16, 0x800, v7
	s_waitcnt lgkmcnt(0)
	v_mad_i64_i32 v[4:5], null, s18, v8, v[2:3]
	s_delay_alu instid0(VALU_DEP_3)
	v_lshl_or_b32 v15, v2, 8, v6
	s_mul_i32 s9, s9, s15
	s_mul_hi_u32 s18, s8, s15
	v_mad_i64_i32 v[2:3], null, s19, v9, v[0:1]
	s_mul_i32 s8, s8, s15
	s_add_i32 s9, s18, s9
	s_delay_alu instid0(VALU_DEP_3)
	v_lshlrev_b64 v[4:5], 3, v[4:5]
	s_lshl_b64 s[8:9], s[8:9], 3
	v_mov_b32_e32 v6, v1
	s_add_u32 s8, s16, s8
	s_mul_hi_u32 s16, s4, s15
	s_addc_u32 s9, s17, s9
	s_add_i32 s5, s16, s5
	s_mul_i32 s4, s4, s15
	v_lshlrev_b64 v[2:3], 3, v[2:3]
	s_lshl_b64 s[4:5], s[4:5], 3
	v_add_co_u32 v0, vcc_lo, s8, v4
	s_add_u32 s4, s10, s4
	v_add_co_ci_u32_e32 v4, vcc_lo, s9, v5, vcc_lo
	s_addc_u32 s5, s11, s5
	v_add_co_u32 v2, vcc_lo, s4, v2
	v_add_co_ci_u32_e32 v3, vcc_lo, s5, v3, vcc_lo
	v_add_co_u32 v8, vcc_lo, v0, 4
	v_add_co_ci_u32_e32 v9, vcc_lo, 0, v4, vcc_lo
	s_delay_alu instid0(VALU_DEP_4) | instskip(NEXT) | instid1(VALU_DEP_4)
	v_add_co_u32 v10, vcc_lo, v2, 4
	v_add_co_ci_u32_e32 v11, vcc_lo, 0, v3, vcc_lo
	v_mov_b32_e32 v0, v1
	v_mov_b32_e32 v3, v1
	;; [unrolled: 1-line block ×5, first 2 shown]
.LBB171_2:                              ; =>This Inner Loop Header: Depth=1
	global_load_b64 v[18:19], v[8:9], off offset:-4
	global_load_b64 v[20:21], v[10:11], off offset:-4
	v_add_co_u32 v8, vcc_lo, v8, 64
	v_add_co_ci_u32_e32 v9, vcc_lo, 0, v9, vcc_lo
	v_add_co_u32 v10, vcc_lo, v10, 64
	v_add_co_ci_u32_e32 v11, vcc_lo, 0, v11, vcc_lo
	s_add_i32 s14, s14, 8
	s_waitcnt vmcnt(1)
	ds_store_b64 v15, v[18:19]
	s_waitcnt vmcnt(0)
	ds_store_b64 v16, v[20:21]
	s_waitcnt lgkmcnt(0)
	s_barrier
	buffer_gl0_inv
	ds_load_2addr_b64 v[18:21], v14 offset1:16
	ds_load_b128 v[22:25], v17
	ds_load_b128 v[26:29], v17 offset:1024
	ds_load_b128 v[30:33], v17 offset:16
	ds_load_2addr_b64 v[34:37], v14 offset0:32 offset1:48
	ds_load_b128 v[38:41], v17 offset:32
	ds_load_b128 v[42:45], v17 offset:48
	ds_load_2addr_b64 v[46:49], v14 offset0:64 offset1:80
	ds_load_b128 v[50:53], v17 offset:1040
	ds_load_2addr_b64 v[54:57], v14 offset0:96 offset1:112
	ds_load_2addr_b64 v[58:61], v14 offset0:128 offset1:144
	;; [unrolled: 1-line block ×4, first 2 shown]
	ds_load_b128 v[70:73], v17 offset:1056
	ds_load_b128 v[74:77], v17 offset:1072
	ds_load_2addr_b64 v[78:81], v14 offset0:224 offset1:240
	s_cmp_ge_i32 s14, s3
	s_waitcnt lgkmcnt(0)
	s_barrier
	buffer_gl0_inv
	v_dual_mul_f32 v82, v23, v19 :: v_dual_mul_f32 v85, v22, v21
	v_dual_mul_f32 v83, v22, v19 :: v_dual_mul_f32 v84, v23, v21
	v_mul_f32_e32 v86, v27, v19
	v_dual_mul_f32 v19, v26, v19 :: v_dual_mul_f32 v90, v25, v37
	v_dual_mul_f32 v87, v27, v21 :: v_dual_mul_f32 v88, v25, v35
	v_mul_f32_e32 v21, v26, v21
	v_mul_f32_e32 v89, v24, v35
	;; [unrolled: 1-line block ×3, first 2 shown]
	v_fma_f32 v82, v22, v18, -v82
	v_fmac_f32_e32 v83, v23, v18
	v_fma_f32 v22, v22, v20, -v84
	v_dual_fmac_f32 v85, v23, v20 :: v_dual_mul_f32 v84, v30, v47
	v_fma_f32 v23, v26, v18, -v86
	v_fmac_f32_e32 v19, v27, v18
	v_fma_f32 v18, v26, v20, -v87
	v_dual_mul_f32 v26, v28, v35 :: v_dual_fmac_f32 v21, v27, v20
	v_mul_f32_e32 v20, v29, v35
	v_mul_f32_e32 v27, v29, v37
	v_dual_mul_f32 v35, v28, v37 :: v_dual_fmac_f32 v84, v31, v46
	v_fma_f32 v37, v24, v34, -v88
	v_fma_f32 v24, v24, v36, -v90
	v_dual_fmac_f32 v91, v25, v36 :: v_dual_mul_f32 v90, v32, v57
	v_dual_mul_f32 v86, v31, v49 :: v_dual_fmac_f32 v89, v25, v34
	v_dual_mul_f32 v25, v31, v47 :: v_dual_mul_f32 v88, v33, v57
	v_fma_f32 v20, v28, v34, -v20
	v_fmac_f32_e32 v26, v29, v34
	v_fma_f32 v27, v28, v36, -v27
	v_dual_fmac_f32 v35, v29, v36 :: v_dual_mul_f32 v28, v51, v47
	v_dual_mul_f32 v29, v50, v47 :: v_dual_mul_f32 v34, v51, v49
	v_mul_f32_e32 v36, v50, v49
	v_mul_f32_e32 v87, v30, v49
	v_mul_f32_e32 v47, v33, v55
	v_dual_mul_f32 v49, v32, v55 :: v_dual_fmac_f32 v90, v33, v56
	v_fma_f32 v25, v30, v46, -v25
	v_fma_f32 v30, v30, v48, -v86
	;; [unrolled: 1-line block ×3, first 2 shown]
	v_fmac_f32_e32 v36, v51, v48
	v_fmac_f32_e32 v87, v31, v48
	v_fma_f32 v31, v50, v48, -v34
	v_mul_f32_e32 v34, v53, v55
	v_mul_f32_e32 v48, v53, v57
	v_dual_mul_f32 v50, v52, v57 :: v_dual_fmac_f32 v29, v51, v46
	v_mul_f32_e32 v46, v52, v55
	v_fma_f32 v47, v32, v54, -v47
	v_fmac_f32_e32 v49, v33, v54
	v_fma_f32 v32, v32, v56, -v88
	s_delay_alu instid0(VALU_DEP_4)
	v_dual_mul_f32 v33, v39, v59 :: v_dual_fmac_f32 v46, v53, v54
	v_mul_f32_e32 v51, v38, v59
	v_mul_f32_e32 v55, v39, v61
	v_fma_f32 v34, v52, v54, -v34
	v_fma_f32 v48, v52, v56, -v48
	v_fmac_f32_e32 v50, v53, v56
	v_mul_f32_e32 v52, v71, v59
	v_dual_mul_f32 v53, v70, v59 :: v_dual_mul_f32 v86, v41, v65
	v_mul_f32_e32 v54, v71, v61
	v_dual_mul_f32 v56, v70, v61 :: v_dual_mul_f32 v59, v41, v63
	v_mul_f32_e32 v57, v38, v61
	v_mul_f32_e32 v61, v40, v63
	v_dual_mul_f32 v88, v40, v65 :: v_dual_fmac_f32 v51, v39, v58
	v_fma_f32 v33, v38, v58, -v33
	v_fmac_f32_e32 v53, v71, v58
	v_fmac_f32_e32 v56, v71, v60
	s_delay_alu instid0(VALU_DEP_4)
	v_fmac_f32_e32 v88, v41, v64
	v_fmac_f32_e32 v57, v39, v60
	v_fma_f32 v39, v70, v58, -v52
	v_fma_f32 v52, v70, v60, -v54
	v_mul_f32_e32 v54, v73, v63
	v_fma_f32 v38, v38, v60, -v55
	v_mul_f32_e32 v60, v72, v65
	v_dual_mul_f32 v55, v72, v63 :: v_dual_mul_f32 v70, v42, v69
	v_mul_f32_e32 v58, v73, v65
	v_fma_f32 v59, v40, v62, -v59
	v_fmac_f32_e32 v61, v41, v62
	v_fma_f32 v40, v40, v64, -v86
	v_dual_mul_f32 v41, v43, v67 :: v_dual_fmac_f32 v60, v73, v64
	v_dual_mul_f32 v63, v42, v67 :: v_dual_mul_f32 v86, v44, v81
	v_mul_f32_e32 v65, v43, v69
	v_fma_f32 v54, v72, v62, -v54
	v_fmac_f32_e32 v55, v73, v62
	v_fma_f32 v58, v72, v64, -v58
	v_mul_f32_e32 v72, v44, v79
	v_mul_f32_e32 v62, v75, v67
	v_dual_mul_f32 v64, v74, v67 :: v_dual_mul_f32 v67, v75, v69
	v_dual_mul_f32 v69, v74, v69 :: v_dual_fmac_f32 v70, v43, v68
	s_delay_alu instid0(VALU_DEP_2)
	v_dual_mul_f32 v71, v45, v79 :: v_dual_fmac_f32 v64, v75, v66
	v_fma_f32 v41, v42, v66, -v41
	v_fmac_f32_e32 v63, v43, v66
	v_fma_f32 v43, v74, v66, -v62
	v_dual_mul_f32 v66, v76, v79 :: v_dual_mul_f32 v73, v45, v81
	v_add_f32_e32 v6, v6, v82
	v_fma_f32 v42, v42, v68, -v65
	v_fma_f32 v62, v74, v68, -v67
	v_dual_fmac_f32 v69, v75, v68 :: v_dual_fmac_f32 v72, v45, v78
	v_dual_mul_f32 v65, v77, v79 :: v_dual_add_f32 v4, v4, v22
	v_dual_mul_f32 v67, v77, v81 :: v_dual_add_f32 v2, v2, v23
	v_mul_f32_e32 v68, v76, v81
	v_dual_fmac_f32 v86, v45, v80 :: v_dual_add_f32 v7, v7, v83
	v_dual_fmac_f32 v66, v77, v78 :: v_dual_add_f32 v3, v3, v19
	v_dual_add_f32 v5, v5, v85 :: v_dual_add_f32 v0, v0, v18
	v_dual_add_f32 v1, v1, v21 :: v_dual_add_f32 v4, v4, v24
	s_delay_alu instid0(VALU_DEP_4) | instskip(NEXT) | instid1(VALU_DEP_3)
	v_dual_fmac_f32 v68, v77, v80 :: v_dual_add_f32 v7, v7, v89
	v_dual_add_f32 v6, v6, v37 :: v_dual_add_f32 v5, v5, v91
	v_dual_add_f32 v2, v2, v20 :: v_dual_add_f32 v3, v3, v26
	s_delay_alu instid0(VALU_DEP_3) | instskip(NEXT) | instid1(VALU_DEP_3)
	v_dual_add_f32 v0, v0, v27 :: v_dual_add_f32 v7, v7, v84
	v_dual_add_f32 v1, v1, v35 :: v_dual_add_f32 v6, v6, v25
	s_delay_alu instid0(VALU_DEP_4) | instskip(NEXT) | instid1(VALU_DEP_4)
	v_dual_add_f32 v4, v4, v30 :: v_dual_add_f32 v5, v5, v87
	v_dual_add_f32 v2, v2, v28 :: v_dual_add_f32 v3, v3, v29
	s_delay_alu instid0(VALU_DEP_3) | instskip(NEXT) | instid1(VALU_DEP_4)
	v_dual_add_f32 v0, v0, v31 :: v_dual_add_f32 v1, v1, v36
	v_dual_add_f32 v6, v6, v47 :: v_dual_add_f32 v7, v7, v49
	s_delay_alu instid0(VALU_DEP_4) | instskip(NEXT) | instid1(VALU_DEP_4)
	v_dual_add_f32 v4, v4, v32 :: v_dual_add_f32 v5, v5, v90
	v_add_f32_e32 v2, v2, v34
	s_delay_alu instid0(VALU_DEP_4) | instskip(NEXT) | instid1(VALU_DEP_4)
	v_dual_add_f32 v3, v3, v46 :: v_dual_add_f32 v0, v0, v48
	v_dual_add_f32 v1, v1, v50 :: v_dual_add_f32 v6, v6, v33
	s_delay_alu instid0(VALU_DEP_4) | instskip(NEXT) | instid1(VALU_DEP_4)
	v_dual_add_f32 v7, v7, v51 :: v_dual_add_f32 v4, v4, v38
	v_dual_add_f32 v5, v5, v57 :: v_dual_add_f32 v2, v2, v39
	s_delay_alu instid0(VALU_DEP_4) | instskip(NEXT) | instid1(VALU_DEP_3)
	v_dual_add_f32 v3, v3, v53 :: v_dual_add_f32 v0, v0, v52
	v_add_f32_e32 v7, v7, v61
	v_dual_add_f32 v1, v1, v56 :: v_dual_add_f32 v6, v6, v59
	s_delay_alu instid0(VALU_DEP_3) | instskip(SKIP_1) | instid1(VALU_DEP_3)
	v_dual_add_f32 v4, v4, v40 :: v_dual_add_f32 v3, v3, v55
	v_dual_add_f32 v5, v5, v88 :: v_dual_add_f32 v2, v2, v54
	;; [unrolled: 1-line block ×3, first 2 shown]
	v_fma_f32 v71, v44, v78, -v71
	v_fma_f32 v44, v44, v80, -v73
	;; [unrolled: 1-line block ×4, first 2 shown]
	v_dual_add_f32 v6, v6, v41 :: v_dual_add_f32 v7, v7, v63
	v_dual_add_f32 v4, v4, v42 :: v_dual_add_f32 v3, v3, v64
	v_dual_add_f32 v5, v5, v70 :: v_dual_add_f32 v2, v2, v43
	v_dual_add_f32 v0, v0, v62 :: v_dual_add_f32 v1, v1, v69
	s_delay_alu instid0(VALU_DEP_4) | instskip(NEXT) | instid1(VALU_DEP_3)
	v_dual_add_f32 v6, v6, v71 :: v_dual_add_f32 v7, v7, v72
	v_dual_add_f32 v4, v4, v44 :: v_dual_add_f32 v5, v5, v86
	s_delay_alu instid0(VALU_DEP_4) | instskip(NEXT) | instid1(VALU_DEP_4)
	v_dual_add_f32 v2, v2, v45 :: v_dual_add_f32 v3, v3, v66
	v_dual_add_f32 v0, v0, v65 :: v_dual_add_f32 v1, v1, v68
	s_cbranch_scc0 .LBB171_2
.LBB171_3:
	s_clause 0x1
	s_load_b32 s3, s[0:1], 0x40
	s_load_b64 s[0:1], s[0:1], 0x48
	v_add_nc_u32_e32 v10, s13, v13
	v_add_nc_u32_e32 v8, s12, v12
	s_delay_alu instid0(VALU_DEP_2)
	v_cmp_gt_i32_e32 vcc_lo, s2, v10
	s_waitcnt lgkmcnt(0)
	v_mad_i64_i32 v[13:14], null, v10, s3, 0
	s_mul_i32 s1, s15, s1
	s_mul_hi_u32 s4, s15, s0
	s_mul_i32 s0, s15, s0
	s_add_i32 s1, s4, s1
	s_delay_alu instid0(SALU_CYCLE_1) | instskip(NEXT) | instid1(VALU_DEP_1)
	s_lshl_b64 s[4:5], s[0:1], 3
	v_lshlrev_b64 v[11:12], 3, v[13:14]
	s_add_u32 s4, s6, s4
	v_cmp_le_i32_e64 s0, v8, v10
	s_addc_u32 s5, s7, s5
	s_delay_alu instid0(VALU_DEP_2) | instskip(NEXT) | instid1(VALU_DEP_1)
	v_add_co_u32 v11, s1, s4, v11
	v_add_co_ci_u32_e64 v12, s1, s5, v12, s1
	s_delay_alu instid0(VALU_DEP_3) | instskip(NEXT) | instid1(SALU_CYCLE_1)
	s_and_b32 s0, vcc_lo, s0
	s_and_saveexec_b32 s1, s0
	s_cbranch_execz .LBB171_5
; %bb.4:
	v_ashrrev_i32_e32 v9, 31, v8
	s_delay_alu instid0(VALU_DEP_1) | instskip(NEXT) | instid1(VALU_DEP_1)
	v_lshlrev_b64 v[13:14], 3, v[8:9]
	v_add_co_u32 v13, s0, v11, v13
	s_delay_alu instid0(VALU_DEP_1)
	v_add_co_ci_u32_e64 v14, s0, v12, v14, s0
	global_store_b64 v[13:14], v[6:7], off
.LBB171_5:
	s_or_b32 exec_lo, exec_lo, s1
	v_add_nc_u32_e32 v6, 16, v8
	s_delay_alu instid0(VALU_DEP_1) | instskip(NEXT) | instid1(VALU_DEP_1)
	v_cmp_le_i32_e64 s0, v6, v10
	s_and_b32 s1, vcc_lo, s0
	s_delay_alu instid0(SALU_CYCLE_1)
	s_and_saveexec_b32 s0, s1
	s_cbranch_execz .LBB171_7
; %bb.6:
	v_ashrrev_i32_e32 v7, 31, v6
	s_delay_alu instid0(VALU_DEP_1) | instskip(NEXT) | instid1(VALU_DEP_1)
	v_lshlrev_b64 v[13:14], 3, v[6:7]
	v_add_co_u32 v11, vcc_lo, v11, v13
	s_delay_alu instid0(VALU_DEP_2)
	v_add_co_ci_u32_e32 v12, vcc_lo, v12, v14, vcc_lo
	global_store_b64 v[11:12], v[4:5], off
.LBB171_7:
	s_or_b32 exec_lo, exec_lo, s0
	v_add_nc_u32_e32 v7, 16, v10
	s_delay_alu instid0(VALU_DEP_1) | instskip(SKIP_2) | instid1(VALU_DEP_1)
	v_mad_i64_i32 v[4:5], null, v7, s3, 0
	v_cmp_gt_i32_e32 vcc_lo, s2, v7
	v_cmp_le_i32_e64 s0, v8, v7
	s_and_b32 s0, vcc_lo, s0
	s_delay_alu instid0(VALU_DEP_3) | instskip(NEXT) | instid1(VALU_DEP_1)
	v_lshlrev_b64 v[4:5], 3, v[4:5]
	v_add_co_u32 v4, s1, s4, v4
	s_delay_alu instid0(VALU_DEP_1)
	v_add_co_ci_u32_e64 v5, s1, s5, v5, s1
	s_and_saveexec_b32 s1, s0
	s_cbranch_execz .LBB171_9
; %bb.8:
	v_ashrrev_i32_e32 v9, 31, v8
	s_delay_alu instid0(VALU_DEP_1) | instskip(NEXT) | instid1(VALU_DEP_1)
	v_lshlrev_b64 v[8:9], 3, v[8:9]
	v_add_co_u32 v8, s0, v4, v8
	s_delay_alu instid0(VALU_DEP_1)
	v_add_co_ci_u32_e64 v9, s0, v5, v9, s0
	global_store_b64 v[8:9], v[2:3], off
.LBB171_9:
	s_or_b32 exec_lo, exec_lo, s1
	v_cmp_le_i32_e64 s0, v6, v7
	s_delay_alu instid0(VALU_DEP_1) | instskip(NEXT) | instid1(SALU_CYCLE_1)
	s_and_b32 s0, vcc_lo, s0
	s_and_saveexec_b32 s1, s0
	s_cbranch_execz .LBB171_11
; %bb.10:
	v_ashrrev_i32_e32 v7, 31, v6
	s_delay_alu instid0(VALU_DEP_1) | instskip(NEXT) | instid1(VALU_DEP_1)
	v_lshlrev_b64 v[2:3], 3, v[6:7]
	v_add_co_u32 v2, vcc_lo, v4, v2
	s_delay_alu instid0(VALU_DEP_2)
	v_add_co_ci_u32_e32 v3, vcc_lo, v5, v3, vcc_lo
	global_store_b64 v[2:3], v[0:1], off
.LBB171_11:
	s_nop 0
	s_sendmsg sendmsg(MSG_DEALLOC_VGPRS)
	s_endpgm
	.section	.rodata,"a",@progbits
	.p2align	6, 0x0
	.amdhsa_kernel _ZL37rocblas_syrkx_herkx_restricted_kernelIi19rocblas_complex_numIfELi16ELi32ELi8ELi1ELi0ELb0ELc84ELc85EKS1_S1_EviT_PT9_S3_lS5_S3_lPT10_S3_li
		.amdhsa_group_segment_fixed_size 4096
		.amdhsa_private_segment_fixed_size 0
		.amdhsa_kernarg_size 84
		.amdhsa_user_sgpr_count 13
		.amdhsa_user_sgpr_dispatch_ptr 0
		.amdhsa_user_sgpr_queue_ptr 0
		.amdhsa_user_sgpr_kernarg_segment_ptr 1
		.amdhsa_user_sgpr_dispatch_id 0
		.amdhsa_user_sgpr_private_segment_size 0
		.amdhsa_wavefront_size32 1
		.amdhsa_uses_dynamic_stack 0
		.amdhsa_enable_private_segment 0
		.amdhsa_system_sgpr_workgroup_id_x 1
		.amdhsa_system_sgpr_workgroup_id_y 1
		.amdhsa_system_sgpr_workgroup_id_z 1
		.amdhsa_system_sgpr_workgroup_info 0
		.amdhsa_system_vgpr_workitem_id 1
		.amdhsa_next_free_vgpr 92
		.amdhsa_next_free_sgpr 20
		.amdhsa_reserve_vcc 1
		.amdhsa_float_round_mode_32 0
		.amdhsa_float_round_mode_16_64 0
		.amdhsa_float_denorm_mode_32 3
		.amdhsa_float_denorm_mode_16_64 3
		.amdhsa_dx10_clamp 1
		.amdhsa_ieee_mode 1
		.amdhsa_fp16_overflow 0
		.amdhsa_workgroup_processor_mode 1
		.amdhsa_memory_ordered 1
		.amdhsa_forward_progress 0
		.amdhsa_shared_vgpr_count 0
		.amdhsa_exception_fp_ieee_invalid_op 0
		.amdhsa_exception_fp_denorm_src 0
		.amdhsa_exception_fp_ieee_div_zero 0
		.amdhsa_exception_fp_ieee_overflow 0
		.amdhsa_exception_fp_ieee_underflow 0
		.amdhsa_exception_fp_ieee_inexact 0
		.amdhsa_exception_int_div_zero 0
	.end_amdhsa_kernel
	.section	.text._ZL37rocblas_syrkx_herkx_restricted_kernelIi19rocblas_complex_numIfELi16ELi32ELi8ELi1ELi0ELb0ELc84ELc85EKS1_S1_EviT_PT9_S3_lS5_S3_lPT10_S3_li,"axG",@progbits,_ZL37rocblas_syrkx_herkx_restricted_kernelIi19rocblas_complex_numIfELi16ELi32ELi8ELi1ELi0ELb0ELc84ELc85EKS1_S1_EviT_PT9_S3_lS5_S3_lPT10_S3_li,comdat
.Lfunc_end171:
	.size	_ZL37rocblas_syrkx_herkx_restricted_kernelIi19rocblas_complex_numIfELi16ELi32ELi8ELi1ELi0ELb0ELc84ELc85EKS1_S1_EviT_PT9_S3_lS5_S3_lPT10_S3_li, .Lfunc_end171-_ZL37rocblas_syrkx_herkx_restricted_kernelIi19rocblas_complex_numIfELi16ELi32ELi8ELi1ELi0ELb0ELc84ELc85EKS1_S1_EviT_PT9_S3_lS5_S3_lPT10_S3_li
                                        ; -- End function
	.section	.AMDGPU.csdata,"",@progbits
; Kernel info:
; codeLenInByte = 2044
; NumSgprs: 22
; NumVgprs: 92
; ScratchSize: 0
; MemoryBound: 0
; FloatMode: 240
; IeeeMode: 1
; LDSByteSize: 4096 bytes/workgroup (compile time only)
; SGPRBlocks: 2
; VGPRBlocks: 11
; NumSGPRsForWavesPerEU: 22
; NumVGPRsForWavesPerEU: 92
; Occupancy: 16
; WaveLimiterHint : 0
; COMPUTE_PGM_RSRC2:SCRATCH_EN: 0
; COMPUTE_PGM_RSRC2:USER_SGPR: 13
; COMPUTE_PGM_RSRC2:TRAP_HANDLER: 0
; COMPUTE_PGM_RSRC2:TGID_X_EN: 1
; COMPUTE_PGM_RSRC2:TGID_Y_EN: 1
; COMPUTE_PGM_RSRC2:TGID_Z_EN: 1
; COMPUTE_PGM_RSRC2:TIDIG_COMP_CNT: 1
	.section	.text._ZL37rocblas_syrkx_herkx_restricted_kernelIi19rocblas_complex_numIfELi16ELi32ELi8ELi1ELi0ELb0ELc67ELc85EKS1_S1_EviT_PT9_S3_lS5_S3_lPT10_S3_li,"axG",@progbits,_ZL37rocblas_syrkx_herkx_restricted_kernelIi19rocblas_complex_numIfELi16ELi32ELi8ELi1ELi0ELb0ELc67ELc85EKS1_S1_EviT_PT9_S3_lS5_S3_lPT10_S3_li,comdat
	.globl	_ZL37rocblas_syrkx_herkx_restricted_kernelIi19rocblas_complex_numIfELi16ELi32ELi8ELi1ELi0ELb0ELc67ELc85EKS1_S1_EviT_PT9_S3_lS5_S3_lPT10_S3_li ; -- Begin function _ZL37rocblas_syrkx_herkx_restricted_kernelIi19rocblas_complex_numIfELi16ELi32ELi8ELi1ELi0ELb0ELc67ELc85EKS1_S1_EviT_PT9_S3_lS5_S3_lPT10_S3_li
	.p2align	8
	.type	_ZL37rocblas_syrkx_herkx_restricted_kernelIi19rocblas_complex_numIfELi16ELi32ELi8ELi1ELi0ELb0ELc67ELc85EKS1_S1_EviT_PT9_S3_lS5_S3_lPT10_S3_li,@function
_ZL37rocblas_syrkx_herkx_restricted_kernelIi19rocblas_complex_numIfELi16ELi32ELi8ELi1ELi0ELb0ELc67ELc85EKS1_S1_EviT_PT9_S3_lS5_S3_lPT10_S3_li: ; @_ZL37rocblas_syrkx_herkx_restricted_kernelIi19rocblas_complex_numIfELi16ELi32ELi8ELi1ELi0ELb0ELc67ELc85EKS1_S1_EviT_PT9_S3_lS5_S3_lPT10_S3_li
; %bb.0:
	s_clause 0x1
	s_load_b64 s[2:3], s[0:1], 0x0
	s_load_b128 s[4:7], s[0:1], 0x30
	v_dual_mov_b32 v7, 0 :: v_dual_and_b32 v12, 0x3ff, v0
	v_bfe_u32 v13, v0, 10, 10
	v_dual_mov_b32 v6, 0 :: v_dual_mov_b32 v5, 0
	v_dual_mov_b32 v4, 0 :: v_dual_mov_b32 v3, 0
	;; [unrolled: 1-line block ×3, first 2 shown]
	v_mov_b32_e32 v0, 0
	s_lshl_b32 s12, s13, 5
	s_lshl_b32 s13, s14, 5
	s_mov_b32 s14, 0
	s_waitcnt lgkmcnt(0)
	s_cmp_lt_i32 s3, 1
	s_cbranch_scc1 .LBB172_3
; %bb.1:
	s_clause 0x3
	s_load_b32 s18, s[0:1], 0x10
	s_load_b128 s[8:11], s[0:1], 0x18
	s_load_b64 s[16:17], s[0:1], 0x8
	s_load_b32 s19, s[0:1], 0x28
	v_lshl_add_u32 v2, v13, 4, v12
	v_dual_mov_b32 v1, 0 :: v_dual_and_b32 v0, 7, v12
	v_lshlrev_b32_e32 v14, 3, v12
	s_mul_i32 s5, s5, s15
	s_delay_alu instid0(VALU_DEP_3)
	v_lshrrev_b32_e32 v4, 3, v2
	v_and_b32_e32 v5, 31, v2
	v_lshlrev_b32_e32 v3, 3, v0
	v_lshrrev_b32_e32 v2, 5, v2
	v_lshl_add_u32 v17, v13, 6, 0x800
	v_add_nc_u32_e32 v9, s13, v4
	v_add_nc_u32_e32 v8, s12, v5
	v_lshl_or_b32 v7, v4, 6, v3
	v_dual_mov_b32 v3, v1 :: v_dual_lshlrev_b32 v6, 3, v5
	s_delay_alu instid0(VALU_DEP_2) | instskip(SKIP_1) | instid1(VALU_DEP_2)
	v_dual_mov_b32 v7, v1 :: v_dual_add_nc_u32 v16, 0x800, v7
	s_waitcnt lgkmcnt(0)
	v_mad_i64_i32 v[4:5], null, s18, v8, v[2:3]
	s_delay_alu instid0(VALU_DEP_3)
	v_lshl_or_b32 v15, v2, 8, v6
	s_mul_i32 s9, s9, s15
	s_mul_hi_u32 s18, s8, s15
	v_mad_i64_i32 v[2:3], null, s19, v9, v[0:1]
	s_mul_i32 s8, s8, s15
	s_add_i32 s9, s18, s9
	s_delay_alu instid0(VALU_DEP_3)
	v_lshlrev_b64 v[4:5], 3, v[4:5]
	s_lshl_b64 s[8:9], s[8:9], 3
	v_mov_b32_e32 v6, v1
	s_add_u32 s8, s16, s8
	s_mul_hi_u32 s16, s4, s15
	s_addc_u32 s9, s17, s9
	s_add_i32 s5, s16, s5
	s_mul_i32 s4, s4, s15
	v_lshlrev_b64 v[2:3], 3, v[2:3]
	s_lshl_b64 s[4:5], s[4:5], 3
	v_add_co_u32 v0, vcc_lo, s8, v4
	s_add_u32 s4, s10, s4
	v_add_co_ci_u32_e32 v4, vcc_lo, s9, v5, vcc_lo
	s_addc_u32 s5, s11, s5
	v_add_co_u32 v2, vcc_lo, s4, v2
	v_add_co_ci_u32_e32 v3, vcc_lo, s5, v3, vcc_lo
	v_add_co_u32 v8, vcc_lo, v0, 4
	v_add_co_ci_u32_e32 v9, vcc_lo, 0, v4, vcc_lo
	s_delay_alu instid0(VALU_DEP_4) | instskip(NEXT) | instid1(VALU_DEP_4)
	v_add_co_u32 v10, vcc_lo, v2, 4
	v_add_co_ci_u32_e32 v11, vcc_lo, 0, v3, vcc_lo
	v_mov_b32_e32 v0, v1
	v_mov_b32_e32 v3, v1
	;; [unrolled: 1-line block ×5, first 2 shown]
.LBB172_2:                              ; =>This Inner Loop Header: Depth=1
	global_load_b64 v[18:19], v[8:9], off offset:-4
	global_load_b64 v[20:21], v[10:11], off offset:-4
	v_add_co_u32 v8, vcc_lo, v8, 64
	v_add_co_ci_u32_e32 v9, vcc_lo, 0, v9, vcc_lo
	v_add_co_u32 v10, vcc_lo, v10, 64
	v_add_co_ci_u32_e32 v11, vcc_lo, 0, v11, vcc_lo
	s_add_i32 s14, s14, 8
	s_waitcnt vmcnt(1)
	ds_store_b64 v15, v[18:19]
	s_waitcnt vmcnt(0)
	ds_store_b64 v16, v[20:21]
	s_waitcnt lgkmcnt(0)
	s_barrier
	buffer_gl0_inv
	ds_load_2addr_b64 v[18:21], v14 offset1:16
	ds_load_b128 v[22:25], v17
	ds_load_b128 v[26:29], v17 offset:1024
	ds_load_b128 v[30:33], v17 offset:16
	ds_load_2addr_b64 v[34:37], v14 offset0:32 offset1:48
	ds_load_b128 v[38:41], v17 offset:32
	ds_load_b128 v[42:45], v17 offset:48
	ds_load_2addr_b64 v[46:49], v14 offset0:64 offset1:80
	ds_load_b128 v[50:53], v17 offset:1040
	ds_load_2addr_b64 v[54:57], v14 offset0:96 offset1:112
	ds_load_2addr_b64 v[58:61], v14 offset0:128 offset1:144
	;; [unrolled: 1-line block ×4, first 2 shown]
	ds_load_b128 v[70:73], v17 offset:1056
	ds_load_b128 v[74:77], v17 offset:1072
	ds_load_2addr_b64 v[78:81], v14 offset0:224 offset1:240
	s_cmp_ge_i32 s14, s3
	s_waitcnt lgkmcnt(0)
	s_barrier
	buffer_gl0_inv
	v_dual_mul_f32 v82, v23, v19 :: v_dual_mul_f32 v85, v22, v21
	v_dual_mul_f32 v83, v22, v19 :: v_dual_mul_f32 v84, v23, v21
	v_mul_f32_e32 v86, v27, v19
	v_dual_mul_f32 v19, v26, v19 :: v_dual_mul_f32 v90, v25, v37
	v_dual_mul_f32 v87, v27, v21 :: v_dual_mul_f32 v88, v25, v35
	v_mul_f32_e32 v21, v26, v21
	v_mul_f32_e32 v89, v24, v35
	;; [unrolled: 1-line block ×3, first 2 shown]
	v_fma_f32 v82, v22, v18, -v82
	v_fmac_f32_e32 v83, v23, v18
	v_fma_f32 v22, v22, v20, -v84
	v_dual_fmac_f32 v85, v23, v20 :: v_dual_mul_f32 v84, v30, v47
	v_fma_f32 v23, v26, v18, -v86
	v_fmac_f32_e32 v19, v27, v18
	v_fma_f32 v18, v26, v20, -v87
	v_dual_mul_f32 v26, v28, v35 :: v_dual_fmac_f32 v21, v27, v20
	v_mul_f32_e32 v20, v29, v35
	v_mul_f32_e32 v27, v29, v37
	v_dual_mul_f32 v35, v28, v37 :: v_dual_fmac_f32 v84, v31, v46
	v_fma_f32 v37, v24, v34, -v88
	v_fma_f32 v24, v24, v36, -v90
	v_dual_fmac_f32 v91, v25, v36 :: v_dual_mul_f32 v90, v32, v57
	v_dual_mul_f32 v86, v31, v49 :: v_dual_fmac_f32 v89, v25, v34
	v_dual_mul_f32 v25, v31, v47 :: v_dual_mul_f32 v88, v33, v57
	v_fma_f32 v20, v28, v34, -v20
	v_fmac_f32_e32 v26, v29, v34
	v_fma_f32 v27, v28, v36, -v27
	v_dual_fmac_f32 v35, v29, v36 :: v_dual_mul_f32 v28, v51, v47
	v_dual_mul_f32 v29, v50, v47 :: v_dual_mul_f32 v34, v51, v49
	v_mul_f32_e32 v36, v50, v49
	v_mul_f32_e32 v87, v30, v49
	;; [unrolled: 1-line block ×3, first 2 shown]
	v_dual_mul_f32 v49, v32, v55 :: v_dual_fmac_f32 v90, v33, v56
	v_fma_f32 v25, v30, v46, -v25
	v_fma_f32 v30, v30, v48, -v86
	;; [unrolled: 1-line block ×3, first 2 shown]
	v_fmac_f32_e32 v36, v51, v48
	v_fmac_f32_e32 v87, v31, v48
	v_fma_f32 v31, v50, v48, -v34
	v_mul_f32_e32 v34, v53, v55
	v_mul_f32_e32 v48, v53, v57
	v_dual_mul_f32 v50, v52, v57 :: v_dual_fmac_f32 v29, v51, v46
	v_mul_f32_e32 v46, v52, v55
	v_fma_f32 v47, v32, v54, -v47
	v_fmac_f32_e32 v49, v33, v54
	v_fma_f32 v32, v32, v56, -v88
	s_delay_alu instid0(VALU_DEP_4)
	v_dual_mul_f32 v33, v39, v59 :: v_dual_fmac_f32 v46, v53, v54
	v_mul_f32_e32 v51, v38, v59
	v_mul_f32_e32 v55, v39, v61
	v_fma_f32 v34, v52, v54, -v34
	v_fma_f32 v48, v52, v56, -v48
	v_fmac_f32_e32 v50, v53, v56
	v_mul_f32_e32 v52, v71, v59
	v_dual_mul_f32 v53, v70, v59 :: v_dual_mul_f32 v86, v41, v65
	v_mul_f32_e32 v54, v71, v61
	v_dual_mul_f32 v56, v70, v61 :: v_dual_mul_f32 v59, v41, v63
	v_mul_f32_e32 v57, v38, v61
	v_mul_f32_e32 v61, v40, v63
	v_dual_mul_f32 v88, v40, v65 :: v_dual_fmac_f32 v51, v39, v58
	v_fma_f32 v33, v38, v58, -v33
	v_fmac_f32_e32 v53, v71, v58
	v_fmac_f32_e32 v56, v71, v60
	s_delay_alu instid0(VALU_DEP_4)
	v_fmac_f32_e32 v88, v41, v64
	v_fmac_f32_e32 v57, v39, v60
	v_fma_f32 v39, v70, v58, -v52
	v_fma_f32 v52, v70, v60, -v54
	v_mul_f32_e32 v54, v73, v63
	v_fma_f32 v38, v38, v60, -v55
	v_mul_f32_e32 v60, v72, v65
	v_dual_mul_f32 v55, v72, v63 :: v_dual_mul_f32 v70, v42, v69
	v_mul_f32_e32 v58, v73, v65
	v_fma_f32 v59, v40, v62, -v59
	v_fmac_f32_e32 v61, v41, v62
	v_fma_f32 v40, v40, v64, -v86
	v_dual_mul_f32 v41, v43, v67 :: v_dual_fmac_f32 v60, v73, v64
	v_dual_mul_f32 v63, v42, v67 :: v_dual_mul_f32 v86, v44, v81
	v_mul_f32_e32 v65, v43, v69
	v_fma_f32 v54, v72, v62, -v54
	v_fmac_f32_e32 v55, v73, v62
	v_fma_f32 v58, v72, v64, -v58
	v_mul_f32_e32 v72, v44, v79
	v_mul_f32_e32 v62, v75, v67
	v_dual_mul_f32 v64, v74, v67 :: v_dual_mul_f32 v67, v75, v69
	v_dual_mul_f32 v69, v74, v69 :: v_dual_fmac_f32 v70, v43, v68
	s_delay_alu instid0(VALU_DEP_2)
	v_dual_mul_f32 v71, v45, v79 :: v_dual_fmac_f32 v64, v75, v66
	v_fma_f32 v41, v42, v66, -v41
	v_fmac_f32_e32 v63, v43, v66
	v_fma_f32 v43, v74, v66, -v62
	v_dual_mul_f32 v66, v76, v79 :: v_dual_mul_f32 v73, v45, v81
	v_add_f32_e32 v6, v6, v82
	v_fma_f32 v42, v42, v68, -v65
	v_fma_f32 v62, v74, v68, -v67
	v_dual_fmac_f32 v69, v75, v68 :: v_dual_fmac_f32 v72, v45, v78
	v_dual_mul_f32 v65, v77, v79 :: v_dual_add_f32 v4, v4, v22
	v_dual_mul_f32 v67, v77, v81 :: v_dual_add_f32 v2, v2, v23
	v_mul_f32_e32 v68, v76, v81
	v_dual_fmac_f32 v86, v45, v80 :: v_dual_add_f32 v7, v7, v83
	v_dual_fmac_f32 v66, v77, v78 :: v_dual_add_f32 v3, v3, v19
	v_dual_add_f32 v5, v5, v85 :: v_dual_add_f32 v0, v0, v18
	v_dual_add_f32 v1, v1, v21 :: v_dual_add_f32 v4, v4, v24
	s_delay_alu instid0(VALU_DEP_4) | instskip(NEXT) | instid1(VALU_DEP_3)
	v_dual_fmac_f32 v68, v77, v80 :: v_dual_add_f32 v7, v7, v89
	v_dual_add_f32 v6, v6, v37 :: v_dual_add_f32 v5, v5, v91
	v_dual_add_f32 v2, v2, v20 :: v_dual_add_f32 v3, v3, v26
	s_delay_alu instid0(VALU_DEP_3) | instskip(NEXT) | instid1(VALU_DEP_3)
	v_dual_add_f32 v0, v0, v27 :: v_dual_add_f32 v7, v7, v84
	v_dual_add_f32 v1, v1, v35 :: v_dual_add_f32 v6, v6, v25
	s_delay_alu instid0(VALU_DEP_4) | instskip(NEXT) | instid1(VALU_DEP_4)
	v_dual_add_f32 v4, v4, v30 :: v_dual_add_f32 v5, v5, v87
	v_dual_add_f32 v2, v2, v28 :: v_dual_add_f32 v3, v3, v29
	s_delay_alu instid0(VALU_DEP_3) | instskip(NEXT) | instid1(VALU_DEP_4)
	v_dual_add_f32 v0, v0, v31 :: v_dual_add_f32 v1, v1, v36
	v_dual_add_f32 v6, v6, v47 :: v_dual_add_f32 v7, v7, v49
	s_delay_alu instid0(VALU_DEP_4) | instskip(NEXT) | instid1(VALU_DEP_4)
	v_dual_add_f32 v4, v4, v32 :: v_dual_add_f32 v5, v5, v90
	v_add_f32_e32 v2, v2, v34
	s_delay_alu instid0(VALU_DEP_4) | instskip(NEXT) | instid1(VALU_DEP_4)
	v_dual_add_f32 v3, v3, v46 :: v_dual_add_f32 v0, v0, v48
	v_dual_add_f32 v1, v1, v50 :: v_dual_add_f32 v6, v6, v33
	s_delay_alu instid0(VALU_DEP_4) | instskip(NEXT) | instid1(VALU_DEP_4)
	v_dual_add_f32 v7, v7, v51 :: v_dual_add_f32 v4, v4, v38
	v_dual_add_f32 v5, v5, v57 :: v_dual_add_f32 v2, v2, v39
	s_delay_alu instid0(VALU_DEP_4) | instskip(NEXT) | instid1(VALU_DEP_3)
	v_dual_add_f32 v3, v3, v53 :: v_dual_add_f32 v0, v0, v52
	v_add_f32_e32 v7, v7, v61
	v_dual_add_f32 v1, v1, v56 :: v_dual_add_f32 v6, v6, v59
	s_delay_alu instid0(VALU_DEP_3) | instskip(SKIP_1) | instid1(VALU_DEP_3)
	v_dual_add_f32 v4, v4, v40 :: v_dual_add_f32 v3, v3, v55
	v_dual_add_f32 v5, v5, v88 :: v_dual_add_f32 v2, v2, v54
	;; [unrolled: 1-line block ×3, first 2 shown]
	v_fma_f32 v71, v44, v78, -v71
	v_fma_f32 v44, v44, v80, -v73
	;; [unrolled: 1-line block ×4, first 2 shown]
	v_dual_add_f32 v6, v6, v41 :: v_dual_add_f32 v7, v7, v63
	v_dual_add_f32 v4, v4, v42 :: v_dual_add_f32 v3, v3, v64
	;; [unrolled: 1-line block ×4, first 2 shown]
	s_delay_alu instid0(VALU_DEP_4) | instskip(NEXT) | instid1(VALU_DEP_3)
	v_dual_add_f32 v6, v6, v71 :: v_dual_add_f32 v7, v7, v72
	v_dual_add_f32 v4, v4, v44 :: v_dual_add_f32 v5, v5, v86
	s_delay_alu instid0(VALU_DEP_4) | instskip(NEXT) | instid1(VALU_DEP_4)
	v_dual_add_f32 v2, v2, v45 :: v_dual_add_f32 v3, v3, v66
	v_dual_add_f32 v0, v0, v65 :: v_dual_add_f32 v1, v1, v68
	s_cbranch_scc0 .LBB172_2
.LBB172_3:
	s_clause 0x1
	s_load_b32 s3, s[0:1], 0x40
	s_load_b64 s[0:1], s[0:1], 0x48
	v_add_nc_u32_e32 v10, s13, v13
	v_add_nc_u32_e32 v8, s12, v12
	s_delay_alu instid0(VALU_DEP_2)
	v_cmp_gt_i32_e32 vcc_lo, s2, v10
	s_waitcnt lgkmcnt(0)
	v_mad_i64_i32 v[13:14], null, v10, s3, 0
	s_mul_i32 s1, s15, s1
	s_mul_hi_u32 s4, s15, s0
	s_mul_i32 s0, s15, s0
	s_add_i32 s1, s4, s1
	s_delay_alu instid0(SALU_CYCLE_1) | instskip(NEXT) | instid1(VALU_DEP_1)
	s_lshl_b64 s[4:5], s[0:1], 3
	v_lshlrev_b64 v[11:12], 3, v[13:14]
	s_add_u32 s4, s6, s4
	v_cmp_le_i32_e64 s0, v8, v10
	s_addc_u32 s5, s7, s5
	s_delay_alu instid0(VALU_DEP_2) | instskip(NEXT) | instid1(VALU_DEP_1)
	v_add_co_u32 v11, s1, s4, v11
	v_add_co_ci_u32_e64 v12, s1, s5, v12, s1
	s_delay_alu instid0(VALU_DEP_3) | instskip(NEXT) | instid1(SALU_CYCLE_1)
	s_and_b32 s0, vcc_lo, s0
	s_and_saveexec_b32 s1, s0
	s_cbranch_execz .LBB172_5
; %bb.4:
	v_ashrrev_i32_e32 v9, 31, v8
	s_delay_alu instid0(VALU_DEP_1) | instskip(NEXT) | instid1(VALU_DEP_1)
	v_lshlrev_b64 v[13:14], 3, v[8:9]
	v_add_co_u32 v13, s0, v11, v13
	s_delay_alu instid0(VALU_DEP_1)
	v_add_co_ci_u32_e64 v14, s0, v12, v14, s0
	global_store_b64 v[13:14], v[6:7], off
.LBB172_5:
	s_or_b32 exec_lo, exec_lo, s1
	v_add_nc_u32_e32 v6, 16, v8
	s_delay_alu instid0(VALU_DEP_1) | instskip(NEXT) | instid1(VALU_DEP_1)
	v_cmp_le_i32_e64 s0, v6, v10
	s_and_b32 s1, vcc_lo, s0
	s_delay_alu instid0(SALU_CYCLE_1)
	s_and_saveexec_b32 s0, s1
	s_cbranch_execz .LBB172_7
; %bb.6:
	v_ashrrev_i32_e32 v7, 31, v6
	s_delay_alu instid0(VALU_DEP_1) | instskip(NEXT) | instid1(VALU_DEP_1)
	v_lshlrev_b64 v[13:14], 3, v[6:7]
	v_add_co_u32 v11, vcc_lo, v11, v13
	s_delay_alu instid0(VALU_DEP_2)
	v_add_co_ci_u32_e32 v12, vcc_lo, v12, v14, vcc_lo
	global_store_b64 v[11:12], v[4:5], off
.LBB172_7:
	s_or_b32 exec_lo, exec_lo, s0
	v_add_nc_u32_e32 v7, 16, v10
	s_delay_alu instid0(VALU_DEP_1) | instskip(SKIP_2) | instid1(VALU_DEP_1)
	v_mad_i64_i32 v[4:5], null, v7, s3, 0
	v_cmp_gt_i32_e32 vcc_lo, s2, v7
	v_cmp_le_i32_e64 s0, v8, v7
	s_and_b32 s0, vcc_lo, s0
	s_delay_alu instid0(VALU_DEP_3) | instskip(NEXT) | instid1(VALU_DEP_1)
	v_lshlrev_b64 v[4:5], 3, v[4:5]
	v_add_co_u32 v4, s1, s4, v4
	s_delay_alu instid0(VALU_DEP_1)
	v_add_co_ci_u32_e64 v5, s1, s5, v5, s1
	s_and_saveexec_b32 s1, s0
	s_cbranch_execz .LBB172_9
; %bb.8:
	v_ashrrev_i32_e32 v9, 31, v8
	s_delay_alu instid0(VALU_DEP_1) | instskip(NEXT) | instid1(VALU_DEP_1)
	v_lshlrev_b64 v[8:9], 3, v[8:9]
	v_add_co_u32 v8, s0, v4, v8
	s_delay_alu instid0(VALU_DEP_1)
	v_add_co_ci_u32_e64 v9, s0, v5, v9, s0
	global_store_b64 v[8:9], v[2:3], off
.LBB172_9:
	s_or_b32 exec_lo, exec_lo, s1
	v_cmp_le_i32_e64 s0, v6, v7
	s_delay_alu instid0(VALU_DEP_1) | instskip(NEXT) | instid1(SALU_CYCLE_1)
	s_and_b32 s0, vcc_lo, s0
	s_and_saveexec_b32 s1, s0
	s_cbranch_execz .LBB172_11
; %bb.10:
	v_ashrrev_i32_e32 v7, 31, v6
	s_delay_alu instid0(VALU_DEP_1) | instskip(NEXT) | instid1(VALU_DEP_1)
	v_lshlrev_b64 v[2:3], 3, v[6:7]
	v_add_co_u32 v2, vcc_lo, v4, v2
	s_delay_alu instid0(VALU_DEP_2)
	v_add_co_ci_u32_e32 v3, vcc_lo, v5, v3, vcc_lo
	global_store_b64 v[2:3], v[0:1], off
.LBB172_11:
	s_nop 0
	s_sendmsg sendmsg(MSG_DEALLOC_VGPRS)
	s_endpgm
	.section	.rodata,"a",@progbits
	.p2align	6, 0x0
	.amdhsa_kernel _ZL37rocblas_syrkx_herkx_restricted_kernelIi19rocblas_complex_numIfELi16ELi32ELi8ELi1ELi0ELb0ELc67ELc85EKS1_S1_EviT_PT9_S3_lS5_S3_lPT10_S3_li
		.amdhsa_group_segment_fixed_size 4096
		.amdhsa_private_segment_fixed_size 0
		.amdhsa_kernarg_size 84
		.amdhsa_user_sgpr_count 13
		.amdhsa_user_sgpr_dispatch_ptr 0
		.amdhsa_user_sgpr_queue_ptr 0
		.amdhsa_user_sgpr_kernarg_segment_ptr 1
		.amdhsa_user_sgpr_dispatch_id 0
		.amdhsa_user_sgpr_private_segment_size 0
		.amdhsa_wavefront_size32 1
		.amdhsa_uses_dynamic_stack 0
		.amdhsa_enable_private_segment 0
		.amdhsa_system_sgpr_workgroup_id_x 1
		.amdhsa_system_sgpr_workgroup_id_y 1
		.amdhsa_system_sgpr_workgroup_id_z 1
		.amdhsa_system_sgpr_workgroup_info 0
		.amdhsa_system_vgpr_workitem_id 1
		.amdhsa_next_free_vgpr 92
		.amdhsa_next_free_sgpr 20
		.amdhsa_reserve_vcc 1
		.amdhsa_float_round_mode_32 0
		.amdhsa_float_round_mode_16_64 0
		.amdhsa_float_denorm_mode_32 3
		.amdhsa_float_denorm_mode_16_64 3
		.amdhsa_dx10_clamp 1
		.amdhsa_ieee_mode 1
		.amdhsa_fp16_overflow 0
		.amdhsa_workgroup_processor_mode 1
		.amdhsa_memory_ordered 1
		.amdhsa_forward_progress 0
		.amdhsa_shared_vgpr_count 0
		.amdhsa_exception_fp_ieee_invalid_op 0
		.amdhsa_exception_fp_denorm_src 0
		.amdhsa_exception_fp_ieee_div_zero 0
		.amdhsa_exception_fp_ieee_overflow 0
		.amdhsa_exception_fp_ieee_underflow 0
		.amdhsa_exception_fp_ieee_inexact 0
		.amdhsa_exception_int_div_zero 0
	.end_amdhsa_kernel
	.section	.text._ZL37rocblas_syrkx_herkx_restricted_kernelIi19rocblas_complex_numIfELi16ELi32ELi8ELi1ELi0ELb0ELc67ELc85EKS1_S1_EviT_PT9_S3_lS5_S3_lPT10_S3_li,"axG",@progbits,_ZL37rocblas_syrkx_herkx_restricted_kernelIi19rocblas_complex_numIfELi16ELi32ELi8ELi1ELi0ELb0ELc67ELc85EKS1_S1_EviT_PT9_S3_lS5_S3_lPT10_S3_li,comdat
.Lfunc_end172:
	.size	_ZL37rocblas_syrkx_herkx_restricted_kernelIi19rocblas_complex_numIfELi16ELi32ELi8ELi1ELi0ELb0ELc67ELc85EKS1_S1_EviT_PT9_S3_lS5_S3_lPT10_S3_li, .Lfunc_end172-_ZL37rocblas_syrkx_herkx_restricted_kernelIi19rocblas_complex_numIfELi16ELi32ELi8ELi1ELi0ELb0ELc67ELc85EKS1_S1_EviT_PT9_S3_lS5_S3_lPT10_S3_li
                                        ; -- End function
	.section	.AMDGPU.csdata,"",@progbits
; Kernel info:
; codeLenInByte = 2044
; NumSgprs: 22
; NumVgprs: 92
; ScratchSize: 0
; MemoryBound: 0
; FloatMode: 240
; IeeeMode: 1
; LDSByteSize: 4096 bytes/workgroup (compile time only)
; SGPRBlocks: 2
; VGPRBlocks: 11
; NumSGPRsForWavesPerEU: 22
; NumVGPRsForWavesPerEU: 92
; Occupancy: 16
; WaveLimiterHint : 0
; COMPUTE_PGM_RSRC2:SCRATCH_EN: 0
; COMPUTE_PGM_RSRC2:USER_SGPR: 13
; COMPUTE_PGM_RSRC2:TRAP_HANDLER: 0
; COMPUTE_PGM_RSRC2:TGID_X_EN: 1
; COMPUTE_PGM_RSRC2:TGID_Y_EN: 1
; COMPUTE_PGM_RSRC2:TGID_Z_EN: 1
; COMPUTE_PGM_RSRC2:TIDIG_COMP_CNT: 1
	.section	.text._ZL37rocblas_syrkx_herkx_restricted_kernelIi19rocblas_complex_numIfELi16ELi32ELi8ELi1ELi0ELb0ELc78ELc85EKS1_S1_EviT_PT9_S3_lS5_S3_lPT10_S3_li,"axG",@progbits,_ZL37rocblas_syrkx_herkx_restricted_kernelIi19rocblas_complex_numIfELi16ELi32ELi8ELi1ELi0ELb0ELc78ELc85EKS1_S1_EviT_PT9_S3_lS5_S3_lPT10_S3_li,comdat
	.globl	_ZL37rocblas_syrkx_herkx_restricted_kernelIi19rocblas_complex_numIfELi16ELi32ELi8ELi1ELi0ELb0ELc78ELc85EKS1_S1_EviT_PT9_S3_lS5_S3_lPT10_S3_li ; -- Begin function _ZL37rocblas_syrkx_herkx_restricted_kernelIi19rocblas_complex_numIfELi16ELi32ELi8ELi1ELi0ELb0ELc78ELc85EKS1_S1_EviT_PT9_S3_lS5_S3_lPT10_S3_li
	.p2align	8
	.type	_ZL37rocblas_syrkx_herkx_restricted_kernelIi19rocblas_complex_numIfELi16ELi32ELi8ELi1ELi0ELb0ELc78ELc85EKS1_S1_EviT_PT9_S3_lS5_S3_lPT10_S3_li,@function
_ZL37rocblas_syrkx_herkx_restricted_kernelIi19rocblas_complex_numIfELi16ELi32ELi8ELi1ELi0ELb0ELc78ELc85EKS1_S1_EviT_PT9_S3_lS5_S3_lPT10_S3_li: ; @_ZL37rocblas_syrkx_herkx_restricted_kernelIi19rocblas_complex_numIfELi16ELi32ELi8ELi1ELi0ELb0ELc78ELc85EKS1_S1_EviT_PT9_S3_lS5_S3_lPT10_S3_li
; %bb.0:
	s_clause 0x1
	s_load_b64 s[2:3], s[0:1], 0x0
	s_load_b128 s[4:7], s[0:1], 0x30
	v_dual_mov_b32 v7, 0 :: v_dual_and_b32 v12, 0x3ff, v0
	v_bfe_u32 v13, v0, 10, 10
	v_dual_mov_b32 v6, 0 :: v_dual_mov_b32 v5, 0
	v_dual_mov_b32 v4, 0 :: v_dual_mov_b32 v3, 0
	;; [unrolled: 1-line block ×3, first 2 shown]
	v_mov_b32_e32 v0, 0
	s_lshl_b32 s12, s13, 5
	s_lshl_b32 s13, s14, 5
	s_mov_b32 s14, 0
	s_waitcnt lgkmcnt(0)
	s_cmp_lt_i32 s3, 1
	s_cbranch_scc1 .LBB173_3
; %bb.1:
	s_clause 0x1
	s_load_b32 s16, s[0:1], 0x10
	s_load_b32 s18, s[0:1], 0x28
	v_lshl_add_u32 v0, v13, 4, v12
	v_and_b32_e32 v6, 7, v12
	s_clause 0x1
	s_load_b128 s[8:11], s[0:1], 0x18
	s_load_b64 s[20:21], s[0:1], 0x8
	s_mul_i32 s5, s5, s15
	v_lshrrev_b32_e32 v1, 3, v0
	v_and_b32_e32 v2, 31, v0
	v_lshrrev_b32_e32 v7, 5, v0
	v_lshlrev_b32_e32 v3, 3, v6
	v_lshlrev_b32_e32 v16, 3, v12
	v_add_nc_u32_e32 v0, s13, v1
	v_lshlrev_b32_e32 v4, 3, v2
	v_add_nc_u32_e32 v2, s12, v2
	v_lshl_or_b32 v8, v1, 6, v3
	v_lshl_add_u32 v17, v13, 6, 0x800
	v_ashrrev_i32_e32 v1, 31, v0
	v_lshl_or_b32 v14, v7, 8, v4
	v_ashrrev_i32_e32 v3, 31, v2
	s_waitcnt lgkmcnt(0)
	s_ashr_i32 s17, s16, 31
	s_ashr_i32 s19, s18, 31
	v_mad_i64_i32 v[4:5], null, s18, v6, v[0:1]
	v_mad_i64_i32 v[0:1], null, s16, v7, v[2:3]
	v_mov_b32_e32 v7, 0
	s_mul_i32 s9, s9, s15
	s_mul_hi_u32 s22, s8, s15
	s_mul_i32 s8, s8, s15
	s_add_i32 s9, s22, s9
	v_add_nc_u32_e32 v15, 0x800, v8
	s_delay_alu instid0(VALU_DEP_3)
	v_lshlrev_b64 v[0:1], 3, v[0:1]
	s_lshl_b64 s[8:9], s[8:9], 3
	v_mov_b32_e32 v6, 0
	s_add_u32 s8, s20, s8
	s_addc_u32 s9, s21, s9
	s_mul_hi_u32 s20, s4, s15
	v_add_co_u32 v2, vcc_lo, s8, v0
	v_add_co_ci_u32_e32 v3, vcc_lo, s9, v1, vcc_lo
	s_add_i32 s5, s20, s5
	s_mul_i32 s4, s4, s15
	v_lshlrev_b64 v[0:1], 3, v[4:5]
	s_lshl_b64 s[8:9], s[4:5], 3
	s_lshl_b64 s[4:5], s[16:17], 6
	s_add_u32 s8, s10, s8
	s_addc_u32 s9, s11, s9
	v_mov_b32_e32 v5, 0
	v_add_co_u32 v0, vcc_lo, s8, v0
	v_add_co_ci_u32_e32 v1, vcc_lo, s9, v1, vcc_lo
	v_add_co_u32 v8, vcc_lo, v2, 4
	v_mov_b32_e32 v2, 0
	v_add_co_ci_u32_e32 v9, vcc_lo, 0, v3, vcc_lo
	v_add_co_u32 v10, vcc_lo, v0, 4
	v_add_co_ci_u32_e32 v11, vcc_lo, 0, v1, vcc_lo
	v_dual_mov_b32 v1, 0 :: v_dual_mov_b32 v0, 0
	v_dual_mov_b32 v3, 0 :: v_dual_mov_b32 v4, 0
	s_lshl_b64 s[8:9], s[18:19], 6
.LBB173_2:                              ; =>This Inner Loop Header: Depth=1
	global_load_b64 v[18:19], v[8:9], off offset:-4
	global_load_b64 v[20:21], v[10:11], off offset:-4
	v_add_co_u32 v8, vcc_lo, v8, s4
	v_add_co_ci_u32_e32 v9, vcc_lo, s5, v9, vcc_lo
	v_add_co_u32 v10, vcc_lo, v10, s8
	v_add_co_ci_u32_e32 v11, vcc_lo, s9, v11, vcc_lo
	s_add_i32 s14, s14, 8
	s_waitcnt vmcnt(1)
	ds_store_b64 v14, v[18:19]
	s_waitcnt vmcnt(0)
	ds_store_b64 v15, v[20:21]
	s_waitcnt lgkmcnt(0)
	s_barrier
	buffer_gl0_inv
	ds_load_2addr_b64 v[18:21], v16 offset1:16
	ds_load_b128 v[22:25], v17
	ds_load_b128 v[26:29], v17 offset:1024
	ds_load_b128 v[30:33], v17 offset:16
	ds_load_2addr_b64 v[34:37], v16 offset0:32 offset1:48
	ds_load_b128 v[38:41], v17 offset:32
	ds_load_b128 v[42:45], v17 offset:48
	ds_load_2addr_b64 v[46:49], v16 offset0:64 offset1:80
	ds_load_b128 v[50:53], v17 offset:1040
	ds_load_2addr_b64 v[54:57], v16 offset0:96 offset1:112
	ds_load_2addr_b64 v[58:61], v16 offset0:128 offset1:144
	;; [unrolled: 1-line block ×4, first 2 shown]
	ds_load_b128 v[70:73], v17 offset:1056
	ds_load_b128 v[74:77], v17 offset:1072
	ds_load_2addr_b64 v[78:81], v16 offset0:224 offset1:240
	s_cmp_ge_i32 s14, s3
	s_waitcnt lgkmcnt(0)
	s_barrier
	buffer_gl0_inv
	v_dual_mul_f32 v82, v23, v19 :: v_dual_mul_f32 v85, v22, v21
	v_dual_mul_f32 v83, v22, v19 :: v_dual_mul_f32 v84, v23, v21
	v_mul_f32_e32 v86, v27, v19
	v_dual_mul_f32 v19, v26, v19 :: v_dual_mul_f32 v90, v25, v37
	v_dual_mul_f32 v87, v27, v21 :: v_dual_mul_f32 v88, v25, v35
	v_mul_f32_e32 v21, v26, v21
	v_mul_f32_e32 v89, v24, v35
	;; [unrolled: 1-line block ×3, first 2 shown]
	v_fma_f32 v82, v22, v18, -v82
	v_fmac_f32_e32 v83, v23, v18
	v_fma_f32 v22, v22, v20, -v84
	v_dual_fmac_f32 v85, v23, v20 :: v_dual_mul_f32 v84, v30, v47
	v_fma_f32 v23, v26, v18, -v86
	v_fmac_f32_e32 v19, v27, v18
	v_fma_f32 v18, v26, v20, -v87
	v_dual_mul_f32 v26, v28, v35 :: v_dual_fmac_f32 v21, v27, v20
	v_mul_f32_e32 v20, v29, v35
	v_mul_f32_e32 v27, v29, v37
	v_dual_mul_f32 v35, v28, v37 :: v_dual_fmac_f32 v84, v31, v46
	v_fma_f32 v37, v24, v34, -v88
	v_fma_f32 v24, v24, v36, -v90
	v_dual_fmac_f32 v91, v25, v36 :: v_dual_mul_f32 v90, v32, v57
	v_dual_mul_f32 v86, v31, v49 :: v_dual_fmac_f32 v89, v25, v34
	v_dual_mul_f32 v25, v31, v47 :: v_dual_mul_f32 v88, v33, v57
	v_fma_f32 v20, v28, v34, -v20
	v_fmac_f32_e32 v26, v29, v34
	v_fma_f32 v27, v28, v36, -v27
	v_dual_fmac_f32 v35, v29, v36 :: v_dual_mul_f32 v28, v51, v47
	v_dual_mul_f32 v29, v50, v47 :: v_dual_mul_f32 v34, v51, v49
	v_mul_f32_e32 v36, v50, v49
	v_mul_f32_e32 v87, v30, v49
	;; [unrolled: 1-line block ×3, first 2 shown]
	v_dual_mul_f32 v49, v32, v55 :: v_dual_fmac_f32 v90, v33, v56
	v_fma_f32 v25, v30, v46, -v25
	v_fma_f32 v30, v30, v48, -v86
	;; [unrolled: 1-line block ×3, first 2 shown]
	v_fmac_f32_e32 v36, v51, v48
	v_fmac_f32_e32 v87, v31, v48
	v_fma_f32 v31, v50, v48, -v34
	v_mul_f32_e32 v34, v53, v55
	v_mul_f32_e32 v48, v53, v57
	v_dual_mul_f32 v50, v52, v57 :: v_dual_fmac_f32 v29, v51, v46
	v_mul_f32_e32 v46, v52, v55
	v_fma_f32 v47, v32, v54, -v47
	v_fmac_f32_e32 v49, v33, v54
	v_fma_f32 v32, v32, v56, -v88
	s_delay_alu instid0(VALU_DEP_4)
	v_dual_mul_f32 v33, v39, v59 :: v_dual_fmac_f32 v46, v53, v54
	v_mul_f32_e32 v51, v38, v59
	v_mul_f32_e32 v55, v39, v61
	v_fma_f32 v34, v52, v54, -v34
	v_fma_f32 v48, v52, v56, -v48
	v_fmac_f32_e32 v50, v53, v56
	v_mul_f32_e32 v52, v71, v59
	v_dual_mul_f32 v53, v70, v59 :: v_dual_mul_f32 v86, v41, v65
	v_mul_f32_e32 v54, v71, v61
	v_dual_mul_f32 v56, v70, v61 :: v_dual_mul_f32 v59, v41, v63
	v_mul_f32_e32 v57, v38, v61
	v_mul_f32_e32 v61, v40, v63
	v_dual_mul_f32 v88, v40, v65 :: v_dual_fmac_f32 v51, v39, v58
	v_fma_f32 v33, v38, v58, -v33
	v_fmac_f32_e32 v53, v71, v58
	v_fmac_f32_e32 v56, v71, v60
	s_delay_alu instid0(VALU_DEP_4)
	v_fmac_f32_e32 v88, v41, v64
	v_fmac_f32_e32 v57, v39, v60
	v_fma_f32 v39, v70, v58, -v52
	v_fma_f32 v52, v70, v60, -v54
	v_mul_f32_e32 v54, v73, v63
	v_fma_f32 v38, v38, v60, -v55
	v_mul_f32_e32 v60, v72, v65
	v_dual_mul_f32 v55, v72, v63 :: v_dual_mul_f32 v70, v42, v69
	v_mul_f32_e32 v58, v73, v65
	v_fma_f32 v59, v40, v62, -v59
	v_fmac_f32_e32 v61, v41, v62
	v_fma_f32 v40, v40, v64, -v86
	v_dual_mul_f32 v41, v43, v67 :: v_dual_fmac_f32 v60, v73, v64
	v_dual_mul_f32 v63, v42, v67 :: v_dual_mul_f32 v86, v44, v81
	v_mul_f32_e32 v65, v43, v69
	v_fma_f32 v54, v72, v62, -v54
	v_fmac_f32_e32 v55, v73, v62
	v_fma_f32 v58, v72, v64, -v58
	v_mul_f32_e32 v72, v44, v79
	v_mul_f32_e32 v62, v75, v67
	v_dual_mul_f32 v64, v74, v67 :: v_dual_mul_f32 v67, v75, v69
	v_dual_mul_f32 v69, v74, v69 :: v_dual_fmac_f32 v70, v43, v68
	s_delay_alu instid0(VALU_DEP_2)
	v_dual_mul_f32 v71, v45, v79 :: v_dual_fmac_f32 v64, v75, v66
	v_fma_f32 v41, v42, v66, -v41
	v_fmac_f32_e32 v63, v43, v66
	v_fma_f32 v43, v74, v66, -v62
	v_dual_mul_f32 v66, v76, v79 :: v_dual_mul_f32 v73, v45, v81
	v_add_f32_e32 v6, v6, v82
	v_fma_f32 v42, v42, v68, -v65
	v_fma_f32 v62, v74, v68, -v67
	v_dual_fmac_f32 v69, v75, v68 :: v_dual_fmac_f32 v72, v45, v78
	v_dual_mul_f32 v65, v77, v79 :: v_dual_add_f32 v4, v4, v22
	v_dual_mul_f32 v67, v77, v81 :: v_dual_add_f32 v2, v2, v23
	v_mul_f32_e32 v68, v76, v81
	v_dual_fmac_f32 v86, v45, v80 :: v_dual_add_f32 v7, v7, v83
	v_dual_fmac_f32 v66, v77, v78 :: v_dual_add_f32 v3, v3, v19
	v_dual_add_f32 v5, v5, v85 :: v_dual_add_f32 v0, v0, v18
	v_dual_add_f32 v1, v1, v21 :: v_dual_add_f32 v4, v4, v24
	s_delay_alu instid0(VALU_DEP_4) | instskip(NEXT) | instid1(VALU_DEP_3)
	v_dual_fmac_f32 v68, v77, v80 :: v_dual_add_f32 v7, v7, v89
	v_dual_add_f32 v6, v6, v37 :: v_dual_add_f32 v5, v5, v91
	v_dual_add_f32 v2, v2, v20 :: v_dual_add_f32 v3, v3, v26
	s_delay_alu instid0(VALU_DEP_3) | instskip(NEXT) | instid1(VALU_DEP_3)
	v_dual_add_f32 v0, v0, v27 :: v_dual_add_f32 v7, v7, v84
	v_dual_add_f32 v1, v1, v35 :: v_dual_add_f32 v6, v6, v25
	s_delay_alu instid0(VALU_DEP_4) | instskip(NEXT) | instid1(VALU_DEP_4)
	v_dual_add_f32 v4, v4, v30 :: v_dual_add_f32 v5, v5, v87
	v_dual_add_f32 v2, v2, v28 :: v_dual_add_f32 v3, v3, v29
	s_delay_alu instid0(VALU_DEP_3) | instskip(NEXT) | instid1(VALU_DEP_4)
	v_dual_add_f32 v0, v0, v31 :: v_dual_add_f32 v1, v1, v36
	v_dual_add_f32 v6, v6, v47 :: v_dual_add_f32 v7, v7, v49
	s_delay_alu instid0(VALU_DEP_4) | instskip(NEXT) | instid1(VALU_DEP_4)
	v_dual_add_f32 v4, v4, v32 :: v_dual_add_f32 v5, v5, v90
	v_add_f32_e32 v2, v2, v34
	s_delay_alu instid0(VALU_DEP_4) | instskip(NEXT) | instid1(VALU_DEP_4)
	v_dual_add_f32 v3, v3, v46 :: v_dual_add_f32 v0, v0, v48
	v_dual_add_f32 v1, v1, v50 :: v_dual_add_f32 v6, v6, v33
	s_delay_alu instid0(VALU_DEP_4) | instskip(NEXT) | instid1(VALU_DEP_4)
	v_dual_add_f32 v7, v7, v51 :: v_dual_add_f32 v4, v4, v38
	v_dual_add_f32 v5, v5, v57 :: v_dual_add_f32 v2, v2, v39
	s_delay_alu instid0(VALU_DEP_4) | instskip(NEXT) | instid1(VALU_DEP_3)
	v_dual_add_f32 v3, v3, v53 :: v_dual_add_f32 v0, v0, v52
	v_add_f32_e32 v7, v7, v61
	v_dual_add_f32 v1, v1, v56 :: v_dual_add_f32 v6, v6, v59
	s_delay_alu instid0(VALU_DEP_3) | instskip(SKIP_1) | instid1(VALU_DEP_3)
	v_dual_add_f32 v4, v4, v40 :: v_dual_add_f32 v3, v3, v55
	v_dual_add_f32 v5, v5, v88 :: v_dual_add_f32 v2, v2, v54
	;; [unrolled: 1-line block ×3, first 2 shown]
	v_fma_f32 v71, v44, v78, -v71
	v_fma_f32 v44, v44, v80, -v73
	;; [unrolled: 1-line block ×4, first 2 shown]
	v_dual_add_f32 v6, v6, v41 :: v_dual_add_f32 v7, v7, v63
	v_dual_add_f32 v4, v4, v42 :: v_dual_add_f32 v3, v3, v64
	;; [unrolled: 1-line block ×4, first 2 shown]
	s_delay_alu instid0(VALU_DEP_4) | instskip(NEXT) | instid1(VALU_DEP_3)
	v_dual_add_f32 v6, v6, v71 :: v_dual_add_f32 v7, v7, v72
	v_dual_add_f32 v4, v4, v44 :: v_dual_add_f32 v5, v5, v86
	s_delay_alu instid0(VALU_DEP_4) | instskip(NEXT) | instid1(VALU_DEP_4)
	v_dual_add_f32 v2, v2, v45 :: v_dual_add_f32 v3, v3, v66
	v_dual_add_f32 v0, v0, v65 :: v_dual_add_f32 v1, v1, v68
	s_cbranch_scc0 .LBB173_2
.LBB173_3:
	s_clause 0x1
	s_load_b32 s3, s[0:1], 0x40
	s_load_b64 s[0:1], s[0:1], 0x48
	v_add_nc_u32_e32 v10, s13, v13
	v_add_nc_u32_e32 v8, s12, v12
	s_delay_alu instid0(VALU_DEP_2)
	v_cmp_gt_i32_e32 vcc_lo, s2, v10
	s_waitcnt lgkmcnt(0)
	v_mad_i64_i32 v[13:14], null, v10, s3, 0
	s_mul_i32 s1, s15, s1
	s_mul_hi_u32 s4, s15, s0
	s_mul_i32 s0, s15, s0
	s_add_i32 s1, s4, s1
	s_delay_alu instid0(SALU_CYCLE_1) | instskip(NEXT) | instid1(VALU_DEP_1)
	s_lshl_b64 s[4:5], s[0:1], 3
	v_lshlrev_b64 v[11:12], 3, v[13:14]
	s_add_u32 s4, s6, s4
	v_cmp_le_i32_e64 s0, v8, v10
	s_addc_u32 s5, s7, s5
	s_delay_alu instid0(VALU_DEP_2) | instskip(NEXT) | instid1(VALU_DEP_1)
	v_add_co_u32 v11, s1, s4, v11
	v_add_co_ci_u32_e64 v12, s1, s5, v12, s1
	s_delay_alu instid0(VALU_DEP_3) | instskip(NEXT) | instid1(SALU_CYCLE_1)
	s_and_b32 s0, vcc_lo, s0
	s_and_saveexec_b32 s1, s0
	s_cbranch_execz .LBB173_5
; %bb.4:
	v_ashrrev_i32_e32 v9, 31, v8
	s_delay_alu instid0(VALU_DEP_1) | instskip(NEXT) | instid1(VALU_DEP_1)
	v_lshlrev_b64 v[13:14], 3, v[8:9]
	v_add_co_u32 v13, s0, v11, v13
	s_delay_alu instid0(VALU_DEP_1)
	v_add_co_ci_u32_e64 v14, s0, v12, v14, s0
	global_store_b64 v[13:14], v[6:7], off
.LBB173_5:
	s_or_b32 exec_lo, exec_lo, s1
	v_add_nc_u32_e32 v6, 16, v8
	s_delay_alu instid0(VALU_DEP_1) | instskip(NEXT) | instid1(VALU_DEP_1)
	v_cmp_le_i32_e64 s0, v6, v10
	s_and_b32 s1, vcc_lo, s0
	s_delay_alu instid0(SALU_CYCLE_1)
	s_and_saveexec_b32 s0, s1
	s_cbranch_execz .LBB173_7
; %bb.6:
	v_ashrrev_i32_e32 v7, 31, v6
	s_delay_alu instid0(VALU_DEP_1) | instskip(NEXT) | instid1(VALU_DEP_1)
	v_lshlrev_b64 v[13:14], 3, v[6:7]
	v_add_co_u32 v11, vcc_lo, v11, v13
	s_delay_alu instid0(VALU_DEP_2)
	v_add_co_ci_u32_e32 v12, vcc_lo, v12, v14, vcc_lo
	global_store_b64 v[11:12], v[4:5], off
.LBB173_7:
	s_or_b32 exec_lo, exec_lo, s0
	v_add_nc_u32_e32 v7, 16, v10
	s_delay_alu instid0(VALU_DEP_1) | instskip(SKIP_2) | instid1(VALU_DEP_1)
	v_mad_i64_i32 v[4:5], null, v7, s3, 0
	v_cmp_gt_i32_e32 vcc_lo, s2, v7
	v_cmp_le_i32_e64 s0, v8, v7
	s_and_b32 s0, vcc_lo, s0
	s_delay_alu instid0(VALU_DEP_3) | instskip(NEXT) | instid1(VALU_DEP_1)
	v_lshlrev_b64 v[4:5], 3, v[4:5]
	v_add_co_u32 v4, s1, s4, v4
	s_delay_alu instid0(VALU_DEP_1)
	v_add_co_ci_u32_e64 v5, s1, s5, v5, s1
	s_and_saveexec_b32 s1, s0
	s_cbranch_execz .LBB173_9
; %bb.8:
	v_ashrrev_i32_e32 v9, 31, v8
	s_delay_alu instid0(VALU_DEP_1) | instskip(NEXT) | instid1(VALU_DEP_1)
	v_lshlrev_b64 v[8:9], 3, v[8:9]
	v_add_co_u32 v8, s0, v4, v8
	s_delay_alu instid0(VALU_DEP_1)
	v_add_co_ci_u32_e64 v9, s0, v5, v9, s0
	global_store_b64 v[8:9], v[2:3], off
.LBB173_9:
	s_or_b32 exec_lo, exec_lo, s1
	v_cmp_le_i32_e64 s0, v6, v7
	s_delay_alu instid0(VALU_DEP_1) | instskip(NEXT) | instid1(SALU_CYCLE_1)
	s_and_b32 s0, vcc_lo, s0
	s_and_saveexec_b32 s1, s0
	s_cbranch_execz .LBB173_11
; %bb.10:
	v_ashrrev_i32_e32 v7, 31, v6
	s_delay_alu instid0(VALU_DEP_1) | instskip(NEXT) | instid1(VALU_DEP_1)
	v_lshlrev_b64 v[2:3], 3, v[6:7]
	v_add_co_u32 v2, vcc_lo, v4, v2
	s_delay_alu instid0(VALU_DEP_2)
	v_add_co_ci_u32_e32 v3, vcc_lo, v5, v3, vcc_lo
	global_store_b64 v[2:3], v[0:1], off
.LBB173_11:
	s_nop 0
	s_sendmsg sendmsg(MSG_DEALLOC_VGPRS)
	s_endpgm
	.section	.rodata,"a",@progbits
	.p2align	6, 0x0
	.amdhsa_kernel _ZL37rocblas_syrkx_herkx_restricted_kernelIi19rocblas_complex_numIfELi16ELi32ELi8ELi1ELi0ELb0ELc78ELc85EKS1_S1_EviT_PT9_S3_lS5_S3_lPT10_S3_li
		.amdhsa_group_segment_fixed_size 4096
		.amdhsa_private_segment_fixed_size 0
		.amdhsa_kernarg_size 84
		.amdhsa_user_sgpr_count 13
		.amdhsa_user_sgpr_dispatch_ptr 0
		.amdhsa_user_sgpr_queue_ptr 0
		.amdhsa_user_sgpr_kernarg_segment_ptr 1
		.amdhsa_user_sgpr_dispatch_id 0
		.amdhsa_user_sgpr_private_segment_size 0
		.amdhsa_wavefront_size32 1
		.amdhsa_uses_dynamic_stack 0
		.amdhsa_enable_private_segment 0
		.amdhsa_system_sgpr_workgroup_id_x 1
		.amdhsa_system_sgpr_workgroup_id_y 1
		.amdhsa_system_sgpr_workgroup_id_z 1
		.amdhsa_system_sgpr_workgroup_info 0
		.amdhsa_system_vgpr_workitem_id 1
		.amdhsa_next_free_vgpr 92
		.amdhsa_next_free_sgpr 23
		.amdhsa_reserve_vcc 1
		.amdhsa_float_round_mode_32 0
		.amdhsa_float_round_mode_16_64 0
		.amdhsa_float_denorm_mode_32 3
		.amdhsa_float_denorm_mode_16_64 3
		.amdhsa_dx10_clamp 1
		.amdhsa_ieee_mode 1
		.amdhsa_fp16_overflow 0
		.amdhsa_workgroup_processor_mode 1
		.amdhsa_memory_ordered 1
		.amdhsa_forward_progress 0
		.amdhsa_shared_vgpr_count 0
		.amdhsa_exception_fp_ieee_invalid_op 0
		.amdhsa_exception_fp_denorm_src 0
		.amdhsa_exception_fp_ieee_div_zero 0
		.amdhsa_exception_fp_ieee_overflow 0
		.amdhsa_exception_fp_ieee_underflow 0
		.amdhsa_exception_fp_ieee_inexact 0
		.amdhsa_exception_int_div_zero 0
	.end_amdhsa_kernel
	.section	.text._ZL37rocblas_syrkx_herkx_restricted_kernelIi19rocblas_complex_numIfELi16ELi32ELi8ELi1ELi0ELb0ELc78ELc85EKS1_S1_EviT_PT9_S3_lS5_S3_lPT10_S3_li,"axG",@progbits,_ZL37rocblas_syrkx_herkx_restricted_kernelIi19rocblas_complex_numIfELi16ELi32ELi8ELi1ELi0ELb0ELc78ELc85EKS1_S1_EviT_PT9_S3_lS5_S3_lPT10_S3_li,comdat
.Lfunc_end173:
	.size	_ZL37rocblas_syrkx_herkx_restricted_kernelIi19rocblas_complex_numIfELi16ELi32ELi8ELi1ELi0ELb0ELc78ELc85EKS1_S1_EviT_PT9_S3_lS5_S3_lPT10_S3_li, .Lfunc_end173-_ZL37rocblas_syrkx_herkx_restricted_kernelIi19rocblas_complex_numIfELi16ELi32ELi8ELi1ELi0ELb0ELc78ELc85EKS1_S1_EviT_PT9_S3_lS5_S3_lPT10_S3_li
                                        ; -- End function
	.section	.AMDGPU.csdata,"",@progbits
; Kernel info:
; codeLenInByte = 2052
; NumSgprs: 25
; NumVgprs: 92
; ScratchSize: 0
; MemoryBound: 0
; FloatMode: 240
; IeeeMode: 1
; LDSByteSize: 4096 bytes/workgroup (compile time only)
; SGPRBlocks: 3
; VGPRBlocks: 11
; NumSGPRsForWavesPerEU: 25
; NumVGPRsForWavesPerEU: 92
; Occupancy: 16
; WaveLimiterHint : 0
; COMPUTE_PGM_RSRC2:SCRATCH_EN: 0
; COMPUTE_PGM_RSRC2:USER_SGPR: 13
; COMPUTE_PGM_RSRC2:TRAP_HANDLER: 0
; COMPUTE_PGM_RSRC2:TGID_X_EN: 1
; COMPUTE_PGM_RSRC2:TGID_Y_EN: 1
; COMPUTE_PGM_RSRC2:TGID_Z_EN: 1
; COMPUTE_PGM_RSRC2:TIDIG_COMP_CNT: 1
	.section	.text._ZL37rocblas_syrkx_herkx_restricted_kernelIi19rocblas_complex_numIfELi16ELi32ELi8ELin1ELi0ELb0ELc84ELc76EKS1_S1_EviT_PT9_S3_lS5_S3_lPT10_S3_li,"axG",@progbits,_ZL37rocblas_syrkx_herkx_restricted_kernelIi19rocblas_complex_numIfELi16ELi32ELi8ELin1ELi0ELb0ELc84ELc76EKS1_S1_EviT_PT9_S3_lS5_S3_lPT10_S3_li,comdat
	.globl	_ZL37rocblas_syrkx_herkx_restricted_kernelIi19rocblas_complex_numIfELi16ELi32ELi8ELin1ELi0ELb0ELc84ELc76EKS1_S1_EviT_PT9_S3_lS5_S3_lPT10_S3_li ; -- Begin function _ZL37rocblas_syrkx_herkx_restricted_kernelIi19rocblas_complex_numIfELi16ELi32ELi8ELin1ELi0ELb0ELc84ELc76EKS1_S1_EviT_PT9_S3_lS5_S3_lPT10_S3_li
	.p2align	8
	.type	_ZL37rocblas_syrkx_herkx_restricted_kernelIi19rocblas_complex_numIfELi16ELi32ELi8ELin1ELi0ELb0ELc84ELc76EKS1_S1_EviT_PT9_S3_lS5_S3_lPT10_S3_li,@function
_ZL37rocblas_syrkx_herkx_restricted_kernelIi19rocblas_complex_numIfELi16ELi32ELi8ELin1ELi0ELb0ELc84ELc76EKS1_S1_EviT_PT9_S3_lS5_S3_lPT10_S3_li: ; @_ZL37rocblas_syrkx_herkx_restricted_kernelIi19rocblas_complex_numIfELi16ELi32ELi8ELin1ELi0ELb0ELc84ELc76EKS1_S1_EviT_PT9_S3_lS5_S3_lPT10_S3_li
; %bb.0:
	s_clause 0x1
	s_load_b64 s[2:3], s[0:1], 0x0
	s_load_b128 s[4:7], s[0:1], 0x30
	v_dual_mov_b32 v17, 0 :: v_dual_and_b32 v6, 0x3ff, v0
	v_bfe_u32 v7, v0, 10, 10
	v_dual_mov_b32 v16, 0 :: v_dual_mov_b32 v11, 0
	v_dual_mov_b32 v12, 0 :: v_dual_mov_b32 v9, 0
	;; [unrolled: 1-line block ×3, first 2 shown]
	v_mov_b32_e32 v0, 0
	s_lshl_b32 s12, s13, 5
	s_lshl_b32 s13, s14, 5
	s_mov_b32 s14, 0
	s_waitcnt lgkmcnt(0)
	s_cmp_lt_i32 s3, 1
	s_cbranch_scc1 .LBB174_3
; %bb.1:
	s_clause 0x3
	s_load_b32 s18, s[0:1], 0x10
	s_load_b128 s[8:11], s[0:1], 0x18
	s_load_b64 s[16:17], s[0:1], 0x8
	s_load_b32 s19, s[0:1], 0x28
	v_lshl_add_u32 v2, v7, 4, v6
	v_dual_mov_b32 v1, 0 :: v_dual_and_b32 v0, 7, v6
	v_lshlrev_b32_e32 v10, 3, v6
	s_mul_i32 s5, s5, s15
	s_delay_alu instid0(VALU_DEP_3)
	v_lshrrev_b32_e32 v4, 3, v2
	v_and_b32_e32 v5, 31, v2
	v_lshlrev_b32_e32 v3, 3, v0
	v_lshrrev_b32_e32 v2, 5, v2
	v_lshl_add_u32 v15, v7, 6, 0x800
	v_add_nc_u32_e32 v12, s13, v4
	v_add_nc_u32_e32 v11, s12, v5
	v_lshl_or_b32 v9, v4, 6, v3
	v_dual_mov_b32 v3, v1 :: v_dual_lshlrev_b32 v8, 3, v5
	v_mov_b32_e32 v17, v1
	v_mov_b32_e32 v16, v1
	s_delay_alu instid0(VALU_DEP_4)
	v_add_nc_u32_e32 v14, 0x800, v9
	s_waitcnt lgkmcnt(0)
	v_mad_i64_i32 v[4:5], null, s18, v11, v[2:3]
	s_mul_i32 s9, s9, s15
	s_mul_hi_u32 s18, s8, s15
	v_mov_b32_e32 v9, v1
	v_lshl_or_b32 v13, v2, 8, v8
	v_mov_b32_e32 v11, v1
	v_mad_i64_i32 v[2:3], null, s19, v12, v[0:1]
	s_mul_i32 s8, s8, s15
	s_add_i32 s9, s18, s9
	v_lshlrev_b64 v[4:5], 3, v[4:5]
	s_lshl_b64 s[8:9], s[8:9], 3
	v_mov_b32_e32 v12, v1
	s_add_u32 s8, s16, s8
	s_mul_hi_u32 s16, s4, s15
	s_addc_u32 s9, s17, s9
	s_add_i32 s5, s16, s5
	s_mul_i32 s4, s4, s15
	v_lshlrev_b64 v[2:3], 3, v[2:3]
	s_lshl_b64 s[4:5], s[4:5], 3
	v_add_co_u32 v0, vcc_lo, s8, v4
	s_add_u32 s4, s10, s4
	v_add_co_ci_u32_e32 v4, vcc_lo, s9, v5, vcc_lo
	s_addc_u32 s5, s11, s5
	v_add_co_u32 v5, vcc_lo, s4, v2
	v_add_co_ci_u32_e32 v8, vcc_lo, s5, v3, vcc_lo
	v_add_co_u32 v2, vcc_lo, v0, 4
	v_add_co_ci_u32_e32 v3, vcc_lo, 0, v4, vcc_lo
	s_delay_alu instid0(VALU_DEP_4) | instskip(NEXT) | instid1(VALU_DEP_4)
	v_add_co_u32 v4, vcc_lo, v5, 4
	v_add_co_ci_u32_e32 v5, vcc_lo, 0, v8, vcc_lo
	v_mov_b32_e32 v0, v1
	v_mov_b32_e32 v8, v1
.LBB174_2:                              ; =>This Inner Loop Header: Depth=1
	global_load_b64 v[18:19], v[2:3], off offset:-4
	global_load_b64 v[20:21], v[4:5], off offset:-4
	v_add_co_u32 v2, vcc_lo, v2, 64
	v_add_co_ci_u32_e32 v3, vcc_lo, 0, v3, vcc_lo
	v_add_co_u32 v4, vcc_lo, v4, 64
	v_add_co_ci_u32_e32 v5, vcc_lo, 0, v5, vcc_lo
	s_add_i32 s14, s14, 8
	s_waitcnt vmcnt(1)
	ds_store_b64 v13, v[18:19]
	s_waitcnt vmcnt(0)
	ds_store_b64 v14, v[20:21]
	s_waitcnt lgkmcnt(0)
	s_barrier
	buffer_gl0_inv
	ds_load_2addr_b64 v[18:21], v10 offset1:16
	ds_load_b128 v[22:25], v15
	ds_load_b128 v[26:29], v15 offset:1024
	ds_load_b128 v[30:33], v15 offset:16
	ds_load_2addr_b64 v[34:37], v10 offset0:32 offset1:48
	ds_load_b128 v[38:41], v15 offset:32
	ds_load_b128 v[42:45], v15 offset:48
	ds_load_2addr_b64 v[46:49], v10 offset0:64 offset1:80
	ds_load_b128 v[50:53], v15 offset:1040
	ds_load_2addr_b64 v[54:57], v10 offset0:96 offset1:112
	ds_load_2addr_b64 v[58:61], v10 offset0:128 offset1:144
	;; [unrolled: 1-line block ×4, first 2 shown]
	ds_load_b128 v[70:73], v15 offset:1056
	ds_load_b128 v[74:77], v15 offset:1072
	ds_load_2addr_b64 v[78:81], v10 offset0:224 offset1:240
	s_cmp_ge_i32 s14, s3
	s_waitcnt lgkmcnt(0)
	s_barrier
	buffer_gl0_inv
	v_dual_mul_f32 v82, v23, v19 :: v_dual_mul_f32 v85, v22, v21
	v_dual_mul_f32 v83, v22, v19 :: v_dual_mul_f32 v84, v23, v21
	v_mul_f32_e32 v86, v27, v19
	v_dual_mul_f32 v19, v26, v19 :: v_dual_mul_f32 v90, v25, v37
	v_dual_mul_f32 v87, v27, v21 :: v_dual_mul_f32 v88, v25, v35
	v_mul_f32_e32 v21, v26, v21
	v_fma_f32 v82, v22, v18, -v82
	v_fmac_f32_e32 v83, v23, v18
	v_fma_f32 v22, v22, v20, -v84
	v_fmac_f32_e32 v85, v23, v20
	v_fma_f32 v23, v26, v18, -v86
	v_dual_fmac_f32 v19, v27, v18 :: v_dual_mul_f32 v86, v30, v47
	v_fma_f32 v18, v26, v20, -v87
	v_dual_fmac_f32 v21, v27, v20 :: v_dual_mul_f32 v20, v24, v37
	v_mul_f32_e32 v89, v24, v35
	v_mul_f32_e32 v26, v29, v35
	;; [unrolled: 1-line block ×4, first 2 shown]
	v_fmac_f32_e32 v20, v25, v36
	v_fmac_f32_e32 v89, v25, v34
	v_dual_mul_f32 v25, v28, v37 :: v_dual_fmac_f32 v86, v31, v46
	v_fma_f32 v84, v24, v34, -v88
	v_fma_f32 v24, v24, v36, -v90
	v_dual_mul_f32 v37, v31, v47 :: v_dual_mul_f32 v90, v33, v57
	v_fma_f32 v26, v28, v34, -v26
	v_fma_f32 v28, v28, v36, -v35
	v_fmac_f32_e32 v25, v29, v36
	v_dual_mul_f32 v35, v50, v47 :: v_dual_mul_f32 v36, v51, v49
	v_dual_fmac_f32 v27, v29, v34 :: v_dual_mul_f32 v34, v51, v47
	v_dual_mul_f32 v88, v32, v55 :: v_dual_mul_f32 v29, v30, v49
	v_mul_f32_e32 v87, v31, v49
	v_fma_f32 v37, v30, v46, -v37
	v_add_f32_e32 v16, v16, v82
	s_delay_alu instid0(VALU_DEP_4)
	v_dual_fmac_f32 v88, v33, v54 :: v_dual_fmac_f32 v29, v31, v48
	v_fma_f32 v31, v50, v46, -v34
	v_fma_f32 v34, v50, v48, -v36
	v_mul_f32_e32 v36, v32, v57
	v_mul_f32_e32 v47, v50, v49
	v_dual_mul_f32 v50, v53, v57 :: v_dual_fmac_f32 v35, v51, v46
	v_mul_f32_e32 v46, v53, v55
	v_mul_f32_e32 v49, v33, v55
	v_fma_f32 v30, v30, v48, -v87
	v_fmac_f32_e32 v36, v33, v56
	v_dual_fmac_f32 v47, v51, v48 :: v_dual_mul_f32 v48, v52, v55
	v_mul_f32_e32 v33, v52, v57
	v_fma_f32 v46, v52, v54, -v46
	v_fma_f32 v50, v52, v56, -v50
	v_mul_f32_e32 v52, v38, v61
	v_fma_f32 v49, v32, v54, -v49
	v_fma_f32 v32, v32, v56, -v90
	v_dual_mul_f32 v51, v39, v59 :: v_dual_fmac_f32 v48, v53, v54
	v_mul_f32_e32 v54, v70, v59
	v_dual_mul_f32 v55, v38, v59 :: v_dual_fmac_f32 v52, v39, v60
	v_fmac_f32_e32 v33, v53, v56
	v_mul_f32_e32 v53, v71, v59
	v_mul_f32_e32 v56, v71, v61
	v_mul_f32_e32 v57, v39, v61
	v_fmac_f32_e32 v54, v71, v58
	v_fmac_f32_e32 v55, v39, v58
	v_fma_f32 v39, v70, v58, -v53
	v_fma_f32 v53, v70, v60, -v56
	v_mul_f32_e32 v56, v40, v65
	v_mul_f32_e32 v59, v70, v61
	v_fma_f32 v51, v38, v58, -v51
	v_mul_f32_e32 v58, v72, v63
	v_mul_f32_e32 v87, v40, v63
	;; [unrolled: 1-line block ×4, first 2 shown]
	v_fma_f32 v38, v38, v60, -v57
	v_mul_f32_e32 v57, v73, v63
	v_fmac_f32_e32 v56, v41, v64
	v_dual_fmac_f32 v59, v71, v60 :: v_dual_mul_f32 v60, v73, v65
	v_mul_f32_e32 v63, v43, v67
	v_mul_f32_e32 v70, v43, v69
	v_fmac_f32_e32 v58, v73, v62
	v_fmac_f32_e32 v87, v41, v62
	v_mul_f32_e32 v41, v72, v65
	v_fma_f32 v61, v40, v62, -v61
	v_fma_f32 v40, v40, v64, -v90
	v_mul_f32_e32 v65, v42, v67
	v_fma_f32 v57, v72, v62, -v57
	v_fma_f32 v60, v72, v64, -v60
	v_dual_fmac_f32 v41, v73, v64 :: v_dual_mul_f32 v62, v42, v69
	v_mul_f32_e32 v64, v75, v67
	v_fma_f32 v63, v42, v66, -v63
	v_fma_f32 v42, v42, v68, -v70
	v_mul_f32_e32 v70, v76, v79
	v_mul_f32_e32 v67, v74, v67
	;; [unrolled: 1-line block ×3, first 2 shown]
	v_dual_mul_f32 v69, v74, v69 :: v_dual_add_f32 v12, v12, v22
	v_mul_f32_e32 v73, v44, v79
	v_dual_fmac_f32 v65, v43, v66 :: v_dual_add_f32 v8, v8, v19
	v_fmac_f32_e32 v62, v43, v68
	v_fma_f32 v43, v74, v66, -v64
	v_fmac_f32_e32 v70, v77, v78
	v_dual_fmac_f32 v67, v75, v66 :: v_dual_add_f32 v16, v16, v84
	v_mul_f32_e32 v66, v44, v81
	v_mul_f32_e32 v72, v45, v79
	v_dual_mul_f32 v90, v45, v81 :: v_dual_fmac_f32 v69, v75, v68
	v_add_f32_e32 v0, v0, v18
	v_dual_fmac_f32 v73, v45, v78 :: v_dual_add_f32 v8, v8, v27
	v_dual_fmac_f32 v66, v45, v80 :: v_dual_mul_f32 v45, v76, v81
	v_fma_f32 v64, v74, v68, -v71
	v_dual_mul_f32 v71, v77, v81 :: v_dual_add_f32 v12, v12, v24
	v_dual_add_f32 v17, v17, v83 :: v_dual_add_f32 v0, v0, v28
	s_delay_alu instid0(VALU_DEP_4) | instskip(NEXT) | instid1(VALU_DEP_3)
	v_dual_fmac_f32 v45, v77, v80 :: v_dual_add_f32 v16, v16, v37
	v_dual_add_f32 v11, v11, v85 :: v_dual_add_f32 v12, v12, v30
	s_delay_alu instid0(VALU_DEP_3) | instskip(SKIP_1) | instid1(VALU_DEP_3)
	v_dual_add_f32 v9, v9, v23 :: v_dual_add_f32 v0, v0, v34
	v_dual_add_f32 v1, v1, v21 :: v_dual_add_f32 v8, v8, v35
	;; [unrolled: 1-line block ×3, first 2 shown]
	s_delay_alu instid0(VALU_DEP_4) | instskip(NEXT) | instid1(VALU_DEP_3)
	v_dual_add_f32 v11, v11, v20 :: v_dual_add_f32 v16, v16, v49
	v_dual_add_f32 v9, v9, v26 :: v_dual_add_f32 v8, v8, v48
	s_delay_alu instid0(VALU_DEP_4) | instskip(NEXT) | instid1(VALU_DEP_3)
	v_dual_add_f32 v1, v1, v25 :: v_dual_add_f32 v0, v0, v50
	v_dual_add_f32 v17, v17, v86 :: v_dual_add_f32 v16, v16, v51
	s_delay_alu instid0(VALU_DEP_4) | instskip(NEXT) | instid1(VALU_DEP_4)
	v_dual_add_f32 v11, v11, v29 :: v_dual_add_f32 v12, v12, v38
	v_dual_add_f32 v9, v9, v31 :: v_dual_add_f32 v8, v8, v54
	s_delay_alu instid0(VALU_DEP_4) | instskip(NEXT) | instid1(VALU_DEP_4)
	v_dual_add_f32 v1, v1, v47 :: v_dual_add_f32 v0, v0, v53
	v_dual_add_f32 v17, v17, v88 :: v_dual_add_f32 v16, v16, v61
	s_delay_alu instid0(VALU_DEP_3) | instskip(NEXT) | instid1(VALU_DEP_4)
	v_dual_add_f32 v11, v11, v36 :: v_dual_add_f32 v8, v8, v58
	v_dual_add_f32 v9, v9, v46 :: v_dual_add_f32 v12, v12, v40
	s_delay_alu instid0(VALU_DEP_4) | instskip(SKIP_1) | instid1(VALU_DEP_3)
	v_dual_add_f32 v1, v1, v33 :: v_dual_add_f32 v0, v0, v60
	v_fma_f32 v72, v44, v78, -v72
	v_dual_add_f32 v17, v17, v55 :: v_dual_add_f32 v12, v12, v42
	v_dual_add_f32 v11, v11, v52 :: v_dual_add_f32 v16, v16, v63
	s_delay_alu instid0(VALU_DEP_4) | instskip(SKIP_2) | instid1(VALU_DEP_4)
	v_dual_add_f32 v9, v9, v39 :: v_dual_add_f32 v0, v0, v64
	v_add_f32_e32 v1, v1, v59
	v_mul_f32_e32 v68, v77, v79
	v_add_f32_e32 v16, v16, v72
	v_fma_f32 v44, v44, v80, -v90
	v_fma_f32 v71, v76, v80, -v71
	v_add_f32_e32 v17, v17, v87
	v_dual_add_f32 v11, v11, v56 :: v_dual_add_f32 v8, v8, v67
	v_add_f32_e32 v9, v9, v57
	s_delay_alu instid0(VALU_DEP_4) | instskip(SKIP_1) | instid1(VALU_DEP_4)
	v_dual_add_f32 v1, v1, v41 :: v_dual_add_f32 v0, v0, v71
	v_fma_f32 v68, v76, v78, -v68
	v_dual_add_f32 v11, v11, v62 :: v_dual_add_f32 v12, v12, v44
	v_add_f32_e32 v17, v17, v65
	s_delay_alu instid0(VALU_DEP_4) | instskip(SKIP_1) | instid1(VALU_DEP_4)
	v_dual_add_f32 v1, v1, v69 :: v_dual_add_f32 v8, v8, v70
	v_add_f32_e32 v9, v9, v43
	v_add_f32_e32 v11, v11, v66
	s_delay_alu instid0(VALU_DEP_4) | instskip(NEXT) | instid1(VALU_DEP_4)
	v_add_f32_e32 v17, v17, v73
	v_add_f32_e32 v1, v1, v45
	s_delay_alu instid0(VALU_DEP_4)
	v_add_f32_e32 v9, v9, v68
	s_cbranch_scc0 .LBB174_2
.LBB174_3:
	s_clause 0x1
	s_load_b32 s3, s[0:1], 0x40
	s_load_b64 s[4:5], s[0:1], 0x48
	v_add_nc_u32_e32 v7, s13, v7
	v_add_nc_u32_e32 v2, s12, v6
	s_delay_alu instid0(VALU_DEP_1)
	v_cmp_le_i32_e64 s0, v7, v2
	v_cmp_gt_i32_e32 vcc_lo, s2, v2
	s_waitcnt lgkmcnt(0)
	v_mad_i64_i32 v[3:4], null, v7, s3, 0
	s_mul_i32 s1, s15, s5
	s_mul_hi_u32 s5, s15, s4
	s_mul_i32 s4, s15, s4
	s_add_i32 s5, s5, s1
	s_delay_alu instid0(SALU_CYCLE_1) | instskip(NEXT) | instid1(VALU_DEP_1)
	s_lshl_b64 s[4:5], s[4:5], 3
	v_lshlrev_b64 v[3:4], 3, v[3:4]
	s_add_u32 s4, s6, s4
	s_addc_u32 s5, s7, s5
	s_and_b32 s0, s0, vcc_lo
	s_delay_alu instid0(VALU_DEP_1) | instskip(NEXT) | instid1(VALU_DEP_1)
	v_add_co_u32 v6, s1, s4, v3
	v_add_co_ci_u32_e64 v10, s1, s5, v4, s1
	s_and_saveexec_b32 s1, s0
	s_cbranch_execz .LBB174_5
; %bb.4:
	v_ashrrev_i32_e32 v3, 31, v2
	v_xor_b32_e32 v13, 0x80000000, v16
	v_xor_b32_e32 v14, 0x80000000, v17
	s_delay_alu instid0(VALU_DEP_3) | instskip(NEXT) | instid1(VALU_DEP_1)
	v_lshlrev_b64 v[3:4], 3, v[2:3]
	v_add_co_u32 v3, s0, v6, v3
	s_delay_alu instid0(VALU_DEP_1)
	v_add_co_ci_u32_e64 v4, s0, v10, v4, s0
	global_store_b64 v[3:4], v[13:14], off
.LBB174_5:
	s_or_b32 exec_lo, exec_lo, s1
	v_add_nc_u32_e32 v4, 16, v2
	s_delay_alu instid0(VALU_DEP_1) | instskip(SKIP_1) | instid1(VALU_DEP_1)
	v_cmp_le_i32_e64 s1, v7, v4
	v_cmp_gt_i32_e64 s0, s2, v4
	s_and_b32 s1, s1, s0
	s_delay_alu instid0(SALU_CYCLE_1)
	s_and_saveexec_b32 s2, s1
	s_cbranch_execz .LBB174_7
; %bb.6:
	v_ashrrev_i32_e32 v5, 31, v4
	v_xor_b32_e32 v15, 0x80000000, v12
	v_xor_b32_e32 v16, 0x80000000, v11
	s_delay_alu instid0(VALU_DEP_3) | instskip(NEXT) | instid1(VALU_DEP_1)
	v_lshlrev_b64 v[13:14], 3, v[4:5]
	v_add_co_u32 v5, s1, v6, v13
	s_delay_alu instid0(VALU_DEP_1)
	v_add_co_ci_u32_e64 v6, s1, v10, v14, s1
	global_store_b64 v[5:6], v[15:16], off
.LBB174_7:
	s_or_b32 exec_lo, exec_lo, s2
	v_add_nc_u32_e32 v5, 16, v7
	s_delay_alu instid0(VALU_DEP_1) | instskip(SKIP_1) | instid1(VALU_DEP_2)
	v_mad_i64_i32 v[6:7], null, v5, s3, 0
	v_cmp_le_i32_e64 s1, v5, v2
	v_lshlrev_b64 v[6:7], 3, v[6:7]
	s_delay_alu instid0(VALU_DEP_1) | instskip(NEXT) | instid1(VALU_DEP_1)
	v_add_co_u32 v6, s2, s4, v6
	v_add_co_ci_u32_e64 v7, s2, s5, v7, s2
	s_delay_alu instid0(VALU_DEP_4) | instskip(NEXT) | instid1(SALU_CYCLE_1)
	s_and_b32 s2, s1, vcc_lo
	s_and_saveexec_b32 s1, s2
	s_cbranch_execz .LBB174_9
; %bb.8:
	v_ashrrev_i32_e32 v3, 31, v2
	v_xor_b32_e32 v9, 0x80000000, v9
	v_xor_b32_e32 v10, 0x80000000, v8
	s_delay_alu instid0(VALU_DEP_3) | instskip(NEXT) | instid1(VALU_DEP_1)
	v_lshlrev_b64 v[2:3], 3, v[2:3]
	v_add_co_u32 v2, vcc_lo, v6, v2
	s_delay_alu instid0(VALU_DEP_2)
	v_add_co_ci_u32_e32 v3, vcc_lo, v7, v3, vcc_lo
	global_store_b64 v[2:3], v[9:10], off
.LBB174_9:
	s_or_b32 exec_lo, exec_lo, s1
	v_cmp_le_i32_e32 vcc_lo, v5, v4
	s_and_b32 s0, vcc_lo, s0
	s_delay_alu instid0(SALU_CYCLE_1)
	s_and_saveexec_b32 s1, s0
	s_cbranch_execz .LBB174_11
; %bb.10:
	v_ashrrev_i32_e32 v5, 31, v4
	v_xor_b32_e32 v0, 0x80000000, v0
	v_xor_b32_e32 v1, 0x80000000, v1
	s_delay_alu instid0(VALU_DEP_3) | instskip(NEXT) | instid1(VALU_DEP_1)
	v_lshlrev_b64 v[2:3], 3, v[4:5]
	v_add_co_u32 v2, vcc_lo, v6, v2
	s_delay_alu instid0(VALU_DEP_2)
	v_add_co_ci_u32_e32 v3, vcc_lo, v7, v3, vcc_lo
	global_store_b64 v[2:3], v[0:1], off
.LBB174_11:
	s_nop 0
	s_sendmsg sendmsg(MSG_DEALLOC_VGPRS)
	s_endpgm
	.section	.rodata,"a",@progbits
	.p2align	6, 0x0
	.amdhsa_kernel _ZL37rocblas_syrkx_herkx_restricted_kernelIi19rocblas_complex_numIfELi16ELi32ELi8ELin1ELi0ELb0ELc84ELc76EKS1_S1_EviT_PT9_S3_lS5_S3_lPT10_S3_li
		.amdhsa_group_segment_fixed_size 4096
		.amdhsa_private_segment_fixed_size 0
		.amdhsa_kernarg_size 84
		.amdhsa_user_sgpr_count 13
		.amdhsa_user_sgpr_dispatch_ptr 0
		.amdhsa_user_sgpr_queue_ptr 0
		.amdhsa_user_sgpr_kernarg_segment_ptr 1
		.amdhsa_user_sgpr_dispatch_id 0
		.amdhsa_user_sgpr_private_segment_size 0
		.amdhsa_wavefront_size32 1
		.amdhsa_uses_dynamic_stack 0
		.amdhsa_enable_private_segment 0
		.amdhsa_system_sgpr_workgroup_id_x 1
		.amdhsa_system_sgpr_workgroup_id_y 1
		.amdhsa_system_sgpr_workgroup_id_z 1
		.amdhsa_system_sgpr_workgroup_info 0
		.amdhsa_system_vgpr_workitem_id 1
		.amdhsa_next_free_vgpr 91
		.amdhsa_next_free_sgpr 20
		.amdhsa_reserve_vcc 1
		.amdhsa_float_round_mode_32 0
		.amdhsa_float_round_mode_16_64 0
		.amdhsa_float_denorm_mode_32 3
		.amdhsa_float_denorm_mode_16_64 3
		.amdhsa_dx10_clamp 1
		.amdhsa_ieee_mode 1
		.amdhsa_fp16_overflow 0
		.amdhsa_workgroup_processor_mode 1
		.amdhsa_memory_ordered 1
		.amdhsa_forward_progress 0
		.amdhsa_shared_vgpr_count 0
		.amdhsa_exception_fp_ieee_invalid_op 0
		.amdhsa_exception_fp_denorm_src 0
		.amdhsa_exception_fp_ieee_div_zero 0
		.amdhsa_exception_fp_ieee_overflow 0
		.amdhsa_exception_fp_ieee_underflow 0
		.amdhsa_exception_fp_ieee_inexact 0
		.amdhsa_exception_int_div_zero 0
	.end_amdhsa_kernel
	.section	.text._ZL37rocblas_syrkx_herkx_restricted_kernelIi19rocblas_complex_numIfELi16ELi32ELi8ELin1ELi0ELb0ELc84ELc76EKS1_S1_EviT_PT9_S3_lS5_S3_lPT10_S3_li,"axG",@progbits,_ZL37rocblas_syrkx_herkx_restricted_kernelIi19rocblas_complex_numIfELi16ELi32ELi8ELin1ELi0ELb0ELc84ELc76EKS1_S1_EviT_PT9_S3_lS5_S3_lPT10_S3_li,comdat
.Lfunc_end174:
	.size	_ZL37rocblas_syrkx_herkx_restricted_kernelIi19rocblas_complex_numIfELi16ELi32ELi8ELin1ELi0ELb0ELc84ELc76EKS1_S1_EviT_PT9_S3_lS5_S3_lPT10_S3_li, .Lfunc_end174-_ZL37rocblas_syrkx_herkx_restricted_kernelIi19rocblas_complex_numIfELi16ELi32ELi8ELin1ELi0ELb0ELc84ELc76EKS1_S1_EviT_PT9_S3_lS5_S3_lPT10_S3_li
                                        ; -- End function
	.section	.AMDGPU.csdata,"",@progbits
; Kernel info:
; codeLenInByte = 2096
; NumSgprs: 22
; NumVgprs: 91
; ScratchSize: 0
; MemoryBound: 0
; FloatMode: 240
; IeeeMode: 1
; LDSByteSize: 4096 bytes/workgroup (compile time only)
; SGPRBlocks: 2
; VGPRBlocks: 11
; NumSGPRsForWavesPerEU: 22
; NumVGPRsForWavesPerEU: 91
; Occupancy: 16
; WaveLimiterHint : 0
; COMPUTE_PGM_RSRC2:SCRATCH_EN: 0
; COMPUTE_PGM_RSRC2:USER_SGPR: 13
; COMPUTE_PGM_RSRC2:TRAP_HANDLER: 0
; COMPUTE_PGM_RSRC2:TGID_X_EN: 1
; COMPUTE_PGM_RSRC2:TGID_Y_EN: 1
; COMPUTE_PGM_RSRC2:TGID_Z_EN: 1
; COMPUTE_PGM_RSRC2:TIDIG_COMP_CNT: 1
	.section	.text._ZL37rocblas_syrkx_herkx_restricted_kernelIi19rocblas_complex_numIfELi16ELi32ELi8ELin1ELi0ELb0ELc67ELc76EKS1_S1_EviT_PT9_S3_lS5_S3_lPT10_S3_li,"axG",@progbits,_ZL37rocblas_syrkx_herkx_restricted_kernelIi19rocblas_complex_numIfELi16ELi32ELi8ELin1ELi0ELb0ELc67ELc76EKS1_S1_EviT_PT9_S3_lS5_S3_lPT10_S3_li,comdat
	.globl	_ZL37rocblas_syrkx_herkx_restricted_kernelIi19rocblas_complex_numIfELi16ELi32ELi8ELin1ELi0ELb0ELc67ELc76EKS1_S1_EviT_PT9_S3_lS5_S3_lPT10_S3_li ; -- Begin function _ZL37rocblas_syrkx_herkx_restricted_kernelIi19rocblas_complex_numIfELi16ELi32ELi8ELin1ELi0ELb0ELc67ELc76EKS1_S1_EviT_PT9_S3_lS5_S3_lPT10_S3_li
	.p2align	8
	.type	_ZL37rocblas_syrkx_herkx_restricted_kernelIi19rocblas_complex_numIfELi16ELi32ELi8ELin1ELi0ELb0ELc67ELc76EKS1_S1_EviT_PT9_S3_lS5_S3_lPT10_S3_li,@function
_ZL37rocblas_syrkx_herkx_restricted_kernelIi19rocblas_complex_numIfELi16ELi32ELi8ELin1ELi0ELb0ELc67ELc76EKS1_S1_EviT_PT9_S3_lS5_S3_lPT10_S3_li: ; @_ZL37rocblas_syrkx_herkx_restricted_kernelIi19rocblas_complex_numIfELi16ELi32ELi8ELin1ELi0ELb0ELc67ELc76EKS1_S1_EviT_PT9_S3_lS5_S3_lPT10_S3_li
; %bb.0:
	s_clause 0x1
	s_load_b64 s[2:3], s[0:1], 0x0
	s_load_b128 s[4:7], s[0:1], 0x30
	v_dual_mov_b32 v17, 0 :: v_dual_and_b32 v6, 0x3ff, v0
	v_bfe_u32 v7, v0, 10, 10
	v_dual_mov_b32 v16, 0 :: v_dual_mov_b32 v11, 0
	v_dual_mov_b32 v12, 0 :: v_dual_mov_b32 v9, 0
	;; [unrolled: 1-line block ×3, first 2 shown]
	v_mov_b32_e32 v0, 0
	s_lshl_b32 s12, s13, 5
	s_lshl_b32 s13, s14, 5
	s_mov_b32 s14, 0
	s_waitcnt lgkmcnt(0)
	s_cmp_lt_i32 s3, 1
	s_cbranch_scc1 .LBB175_3
; %bb.1:
	s_clause 0x3
	s_load_b32 s18, s[0:1], 0x10
	s_load_b128 s[8:11], s[0:1], 0x18
	s_load_b64 s[16:17], s[0:1], 0x8
	s_load_b32 s19, s[0:1], 0x28
	v_lshl_add_u32 v2, v7, 4, v6
	v_dual_mov_b32 v1, 0 :: v_dual_and_b32 v0, 7, v6
	v_lshlrev_b32_e32 v10, 3, v6
	s_mul_i32 s5, s5, s15
	s_delay_alu instid0(VALU_DEP_3)
	v_lshrrev_b32_e32 v4, 3, v2
	v_and_b32_e32 v5, 31, v2
	v_lshlrev_b32_e32 v3, 3, v0
	v_lshrrev_b32_e32 v2, 5, v2
	v_lshl_add_u32 v15, v7, 6, 0x800
	v_add_nc_u32_e32 v12, s13, v4
	v_add_nc_u32_e32 v11, s12, v5
	v_lshl_or_b32 v9, v4, 6, v3
	v_dual_mov_b32 v3, v1 :: v_dual_lshlrev_b32 v8, 3, v5
	v_mov_b32_e32 v17, v1
	v_mov_b32_e32 v16, v1
	s_delay_alu instid0(VALU_DEP_4)
	v_add_nc_u32_e32 v14, 0x800, v9
	s_waitcnt lgkmcnt(0)
	v_mad_i64_i32 v[4:5], null, s18, v11, v[2:3]
	s_mul_i32 s9, s9, s15
	s_mul_hi_u32 s18, s8, s15
	v_mov_b32_e32 v9, v1
	v_lshl_or_b32 v13, v2, 8, v8
	v_mov_b32_e32 v11, v1
	v_mad_i64_i32 v[2:3], null, s19, v12, v[0:1]
	s_mul_i32 s8, s8, s15
	s_add_i32 s9, s18, s9
	v_lshlrev_b64 v[4:5], 3, v[4:5]
	s_lshl_b64 s[8:9], s[8:9], 3
	v_mov_b32_e32 v12, v1
	s_add_u32 s8, s16, s8
	s_mul_hi_u32 s16, s4, s15
	s_addc_u32 s9, s17, s9
	s_add_i32 s5, s16, s5
	s_mul_i32 s4, s4, s15
	v_lshlrev_b64 v[2:3], 3, v[2:3]
	s_lshl_b64 s[4:5], s[4:5], 3
	v_add_co_u32 v0, vcc_lo, s8, v4
	s_add_u32 s4, s10, s4
	v_add_co_ci_u32_e32 v4, vcc_lo, s9, v5, vcc_lo
	s_addc_u32 s5, s11, s5
	v_add_co_u32 v5, vcc_lo, s4, v2
	v_add_co_ci_u32_e32 v8, vcc_lo, s5, v3, vcc_lo
	v_add_co_u32 v2, vcc_lo, v0, 4
	v_add_co_ci_u32_e32 v3, vcc_lo, 0, v4, vcc_lo
	s_delay_alu instid0(VALU_DEP_4) | instskip(NEXT) | instid1(VALU_DEP_4)
	v_add_co_u32 v4, vcc_lo, v5, 4
	v_add_co_ci_u32_e32 v5, vcc_lo, 0, v8, vcc_lo
	v_mov_b32_e32 v0, v1
	v_mov_b32_e32 v8, v1
.LBB175_2:                              ; =>This Inner Loop Header: Depth=1
	global_load_b64 v[18:19], v[2:3], off offset:-4
	global_load_b64 v[20:21], v[4:5], off offset:-4
	v_add_co_u32 v2, vcc_lo, v2, 64
	v_add_co_ci_u32_e32 v3, vcc_lo, 0, v3, vcc_lo
	v_add_co_u32 v4, vcc_lo, v4, 64
	v_add_co_ci_u32_e32 v5, vcc_lo, 0, v5, vcc_lo
	s_add_i32 s14, s14, 8
	s_waitcnt vmcnt(1)
	ds_store_b64 v13, v[18:19]
	s_waitcnt vmcnt(0)
	ds_store_b64 v14, v[20:21]
	s_waitcnt lgkmcnt(0)
	s_barrier
	buffer_gl0_inv
	ds_load_2addr_b64 v[18:21], v10 offset1:16
	ds_load_b128 v[22:25], v15
	ds_load_b128 v[26:29], v15 offset:1024
	ds_load_b128 v[30:33], v15 offset:16
	ds_load_2addr_b64 v[34:37], v10 offset0:32 offset1:48
	ds_load_b128 v[38:41], v15 offset:32
	ds_load_b128 v[42:45], v15 offset:48
	ds_load_2addr_b64 v[46:49], v10 offset0:64 offset1:80
	ds_load_b128 v[50:53], v15 offset:1040
	ds_load_2addr_b64 v[54:57], v10 offset0:96 offset1:112
	ds_load_2addr_b64 v[58:61], v10 offset0:128 offset1:144
	ds_load_2addr_b64 v[62:65], v10 offset0:160 offset1:176
	ds_load_2addr_b64 v[66:69], v10 offset0:192 offset1:208
	ds_load_b128 v[70:73], v15 offset:1056
	ds_load_b128 v[74:77], v15 offset:1072
	ds_load_2addr_b64 v[78:81], v10 offset0:224 offset1:240
	s_cmp_ge_i32 s14, s3
	s_waitcnt lgkmcnt(0)
	s_barrier
	buffer_gl0_inv
	v_dual_mul_f32 v82, v23, v19 :: v_dual_mul_f32 v85, v22, v21
	v_dual_mul_f32 v83, v22, v19 :: v_dual_mul_f32 v84, v23, v21
	v_mul_f32_e32 v86, v27, v19
	v_dual_mul_f32 v19, v26, v19 :: v_dual_mul_f32 v90, v25, v37
	v_dual_mul_f32 v87, v27, v21 :: v_dual_mul_f32 v88, v25, v35
	v_mul_f32_e32 v21, v26, v21
	v_fma_f32 v82, v22, v18, -v82
	v_fmac_f32_e32 v83, v23, v18
	v_fma_f32 v22, v22, v20, -v84
	v_fmac_f32_e32 v85, v23, v20
	v_fma_f32 v23, v26, v18, -v86
	v_dual_fmac_f32 v19, v27, v18 :: v_dual_mul_f32 v86, v30, v47
	v_fma_f32 v18, v26, v20, -v87
	v_dual_fmac_f32 v21, v27, v20 :: v_dual_mul_f32 v20, v24, v37
	v_mul_f32_e32 v89, v24, v35
	v_mul_f32_e32 v26, v29, v35
	;; [unrolled: 1-line block ×4, first 2 shown]
	v_fmac_f32_e32 v20, v25, v36
	v_fmac_f32_e32 v89, v25, v34
	v_dual_mul_f32 v25, v28, v37 :: v_dual_fmac_f32 v86, v31, v46
	v_fma_f32 v84, v24, v34, -v88
	v_fma_f32 v24, v24, v36, -v90
	v_dual_mul_f32 v37, v31, v47 :: v_dual_mul_f32 v90, v33, v57
	v_fma_f32 v26, v28, v34, -v26
	v_fma_f32 v28, v28, v36, -v35
	v_fmac_f32_e32 v25, v29, v36
	v_dual_mul_f32 v35, v50, v47 :: v_dual_mul_f32 v36, v51, v49
	v_dual_fmac_f32 v27, v29, v34 :: v_dual_mul_f32 v34, v51, v47
	v_dual_mul_f32 v88, v32, v55 :: v_dual_mul_f32 v29, v30, v49
	v_mul_f32_e32 v87, v31, v49
	v_fma_f32 v37, v30, v46, -v37
	v_add_f32_e32 v16, v16, v82
	s_delay_alu instid0(VALU_DEP_4)
	v_dual_fmac_f32 v88, v33, v54 :: v_dual_fmac_f32 v29, v31, v48
	v_fma_f32 v31, v50, v46, -v34
	v_fma_f32 v34, v50, v48, -v36
	v_mul_f32_e32 v36, v32, v57
	v_mul_f32_e32 v47, v50, v49
	v_dual_mul_f32 v50, v53, v57 :: v_dual_fmac_f32 v35, v51, v46
	v_mul_f32_e32 v46, v53, v55
	v_mul_f32_e32 v49, v33, v55
	v_fma_f32 v30, v30, v48, -v87
	v_fmac_f32_e32 v36, v33, v56
	v_dual_fmac_f32 v47, v51, v48 :: v_dual_mul_f32 v48, v52, v55
	v_mul_f32_e32 v33, v52, v57
	v_fma_f32 v46, v52, v54, -v46
	v_fma_f32 v50, v52, v56, -v50
	v_mul_f32_e32 v52, v38, v61
	v_fma_f32 v49, v32, v54, -v49
	v_fma_f32 v32, v32, v56, -v90
	v_dual_mul_f32 v51, v39, v59 :: v_dual_fmac_f32 v48, v53, v54
	v_mul_f32_e32 v54, v70, v59
	v_dual_mul_f32 v55, v38, v59 :: v_dual_fmac_f32 v52, v39, v60
	v_fmac_f32_e32 v33, v53, v56
	v_mul_f32_e32 v53, v71, v59
	v_mul_f32_e32 v56, v71, v61
	v_mul_f32_e32 v57, v39, v61
	v_fmac_f32_e32 v54, v71, v58
	v_fmac_f32_e32 v55, v39, v58
	v_fma_f32 v39, v70, v58, -v53
	v_fma_f32 v53, v70, v60, -v56
	v_mul_f32_e32 v56, v40, v65
	v_mul_f32_e32 v59, v70, v61
	v_fma_f32 v51, v38, v58, -v51
	v_mul_f32_e32 v58, v72, v63
	v_mul_f32_e32 v87, v40, v63
	;; [unrolled: 1-line block ×4, first 2 shown]
	v_fma_f32 v38, v38, v60, -v57
	v_mul_f32_e32 v57, v73, v63
	v_fmac_f32_e32 v56, v41, v64
	v_dual_fmac_f32 v59, v71, v60 :: v_dual_mul_f32 v60, v73, v65
	v_mul_f32_e32 v63, v43, v67
	v_mul_f32_e32 v70, v43, v69
	v_fmac_f32_e32 v58, v73, v62
	v_fmac_f32_e32 v87, v41, v62
	v_mul_f32_e32 v41, v72, v65
	v_fma_f32 v61, v40, v62, -v61
	v_fma_f32 v40, v40, v64, -v90
	v_mul_f32_e32 v65, v42, v67
	v_fma_f32 v57, v72, v62, -v57
	v_fma_f32 v60, v72, v64, -v60
	v_dual_fmac_f32 v41, v73, v64 :: v_dual_mul_f32 v62, v42, v69
	v_mul_f32_e32 v64, v75, v67
	v_fma_f32 v63, v42, v66, -v63
	v_fma_f32 v42, v42, v68, -v70
	v_mul_f32_e32 v70, v76, v79
	v_mul_f32_e32 v67, v74, v67
	;; [unrolled: 1-line block ×3, first 2 shown]
	v_dual_mul_f32 v69, v74, v69 :: v_dual_add_f32 v12, v12, v22
	v_mul_f32_e32 v73, v44, v79
	v_dual_fmac_f32 v65, v43, v66 :: v_dual_add_f32 v8, v8, v19
	v_fmac_f32_e32 v62, v43, v68
	v_fma_f32 v43, v74, v66, -v64
	v_fmac_f32_e32 v70, v77, v78
	v_dual_fmac_f32 v67, v75, v66 :: v_dual_add_f32 v16, v16, v84
	v_mul_f32_e32 v66, v44, v81
	v_mul_f32_e32 v72, v45, v79
	v_dual_mul_f32 v90, v45, v81 :: v_dual_fmac_f32 v69, v75, v68
	v_add_f32_e32 v0, v0, v18
	v_dual_fmac_f32 v73, v45, v78 :: v_dual_add_f32 v8, v8, v27
	v_dual_fmac_f32 v66, v45, v80 :: v_dual_mul_f32 v45, v76, v81
	v_fma_f32 v64, v74, v68, -v71
	v_dual_mul_f32 v71, v77, v81 :: v_dual_add_f32 v12, v12, v24
	v_dual_add_f32 v17, v17, v83 :: v_dual_add_f32 v0, v0, v28
	s_delay_alu instid0(VALU_DEP_4) | instskip(NEXT) | instid1(VALU_DEP_3)
	v_dual_fmac_f32 v45, v77, v80 :: v_dual_add_f32 v16, v16, v37
	v_dual_add_f32 v11, v11, v85 :: v_dual_add_f32 v12, v12, v30
	s_delay_alu instid0(VALU_DEP_3) | instskip(SKIP_1) | instid1(VALU_DEP_3)
	v_dual_add_f32 v9, v9, v23 :: v_dual_add_f32 v0, v0, v34
	v_dual_add_f32 v1, v1, v21 :: v_dual_add_f32 v8, v8, v35
	v_dual_add_f32 v17, v17, v89 :: v_dual_add_f32 v12, v12, v32
	s_delay_alu instid0(VALU_DEP_4) | instskip(NEXT) | instid1(VALU_DEP_3)
	v_dual_add_f32 v11, v11, v20 :: v_dual_add_f32 v16, v16, v49
	v_dual_add_f32 v9, v9, v26 :: v_dual_add_f32 v8, v8, v48
	s_delay_alu instid0(VALU_DEP_4) | instskip(NEXT) | instid1(VALU_DEP_3)
	v_dual_add_f32 v1, v1, v25 :: v_dual_add_f32 v0, v0, v50
	v_dual_add_f32 v17, v17, v86 :: v_dual_add_f32 v16, v16, v51
	s_delay_alu instid0(VALU_DEP_4) | instskip(NEXT) | instid1(VALU_DEP_4)
	v_dual_add_f32 v11, v11, v29 :: v_dual_add_f32 v12, v12, v38
	v_dual_add_f32 v9, v9, v31 :: v_dual_add_f32 v8, v8, v54
	s_delay_alu instid0(VALU_DEP_4) | instskip(NEXT) | instid1(VALU_DEP_4)
	v_dual_add_f32 v1, v1, v47 :: v_dual_add_f32 v0, v0, v53
	v_dual_add_f32 v17, v17, v88 :: v_dual_add_f32 v16, v16, v61
	s_delay_alu instid0(VALU_DEP_3) | instskip(NEXT) | instid1(VALU_DEP_4)
	v_dual_add_f32 v11, v11, v36 :: v_dual_add_f32 v8, v8, v58
	v_dual_add_f32 v9, v9, v46 :: v_dual_add_f32 v12, v12, v40
	s_delay_alu instid0(VALU_DEP_4) | instskip(SKIP_1) | instid1(VALU_DEP_3)
	v_dual_add_f32 v1, v1, v33 :: v_dual_add_f32 v0, v0, v60
	v_fma_f32 v72, v44, v78, -v72
	v_dual_add_f32 v17, v17, v55 :: v_dual_add_f32 v12, v12, v42
	v_dual_add_f32 v11, v11, v52 :: v_dual_add_f32 v16, v16, v63
	s_delay_alu instid0(VALU_DEP_4) | instskip(SKIP_2) | instid1(VALU_DEP_4)
	v_dual_add_f32 v9, v9, v39 :: v_dual_add_f32 v0, v0, v64
	v_add_f32_e32 v1, v1, v59
	v_mul_f32_e32 v68, v77, v79
	v_add_f32_e32 v16, v16, v72
	v_fma_f32 v44, v44, v80, -v90
	v_fma_f32 v71, v76, v80, -v71
	v_add_f32_e32 v17, v17, v87
	v_dual_add_f32 v11, v11, v56 :: v_dual_add_f32 v8, v8, v67
	v_add_f32_e32 v9, v9, v57
	s_delay_alu instid0(VALU_DEP_4) | instskip(SKIP_1) | instid1(VALU_DEP_4)
	v_dual_add_f32 v1, v1, v41 :: v_dual_add_f32 v0, v0, v71
	v_fma_f32 v68, v76, v78, -v68
	v_dual_add_f32 v11, v11, v62 :: v_dual_add_f32 v12, v12, v44
	v_add_f32_e32 v17, v17, v65
	s_delay_alu instid0(VALU_DEP_4) | instskip(SKIP_1) | instid1(VALU_DEP_4)
	v_dual_add_f32 v1, v1, v69 :: v_dual_add_f32 v8, v8, v70
	v_add_f32_e32 v9, v9, v43
	v_add_f32_e32 v11, v11, v66
	s_delay_alu instid0(VALU_DEP_4) | instskip(NEXT) | instid1(VALU_DEP_4)
	v_add_f32_e32 v17, v17, v73
	v_add_f32_e32 v1, v1, v45
	s_delay_alu instid0(VALU_DEP_4)
	v_add_f32_e32 v9, v9, v68
	s_cbranch_scc0 .LBB175_2
.LBB175_3:
	s_clause 0x1
	s_load_b32 s3, s[0:1], 0x40
	s_load_b64 s[4:5], s[0:1], 0x48
	v_add_nc_u32_e32 v7, s13, v7
	v_add_nc_u32_e32 v2, s12, v6
	s_delay_alu instid0(VALU_DEP_1)
	v_cmp_le_i32_e64 s0, v7, v2
	v_cmp_gt_i32_e32 vcc_lo, s2, v2
	s_waitcnt lgkmcnt(0)
	v_mad_i64_i32 v[3:4], null, v7, s3, 0
	s_mul_i32 s1, s15, s5
	s_mul_hi_u32 s5, s15, s4
	s_mul_i32 s4, s15, s4
	s_add_i32 s5, s5, s1
	s_delay_alu instid0(SALU_CYCLE_1) | instskip(NEXT) | instid1(VALU_DEP_1)
	s_lshl_b64 s[4:5], s[4:5], 3
	v_lshlrev_b64 v[3:4], 3, v[3:4]
	s_add_u32 s4, s6, s4
	s_addc_u32 s5, s7, s5
	s_and_b32 s0, s0, vcc_lo
	s_delay_alu instid0(VALU_DEP_1) | instskip(NEXT) | instid1(VALU_DEP_1)
	v_add_co_u32 v6, s1, s4, v3
	v_add_co_ci_u32_e64 v10, s1, s5, v4, s1
	s_and_saveexec_b32 s1, s0
	s_cbranch_execz .LBB175_5
; %bb.4:
	v_ashrrev_i32_e32 v3, 31, v2
	v_xor_b32_e32 v13, 0x80000000, v16
	v_xor_b32_e32 v14, 0x80000000, v17
	s_delay_alu instid0(VALU_DEP_3) | instskip(NEXT) | instid1(VALU_DEP_1)
	v_lshlrev_b64 v[3:4], 3, v[2:3]
	v_add_co_u32 v3, s0, v6, v3
	s_delay_alu instid0(VALU_DEP_1)
	v_add_co_ci_u32_e64 v4, s0, v10, v4, s0
	global_store_b64 v[3:4], v[13:14], off
.LBB175_5:
	s_or_b32 exec_lo, exec_lo, s1
	v_add_nc_u32_e32 v4, 16, v2
	s_delay_alu instid0(VALU_DEP_1) | instskip(SKIP_1) | instid1(VALU_DEP_1)
	v_cmp_le_i32_e64 s1, v7, v4
	v_cmp_gt_i32_e64 s0, s2, v4
	s_and_b32 s1, s1, s0
	s_delay_alu instid0(SALU_CYCLE_1)
	s_and_saveexec_b32 s2, s1
	s_cbranch_execz .LBB175_7
; %bb.6:
	v_ashrrev_i32_e32 v5, 31, v4
	v_xor_b32_e32 v15, 0x80000000, v12
	v_xor_b32_e32 v16, 0x80000000, v11
	s_delay_alu instid0(VALU_DEP_3) | instskip(NEXT) | instid1(VALU_DEP_1)
	v_lshlrev_b64 v[13:14], 3, v[4:5]
	v_add_co_u32 v5, s1, v6, v13
	s_delay_alu instid0(VALU_DEP_1)
	v_add_co_ci_u32_e64 v6, s1, v10, v14, s1
	global_store_b64 v[5:6], v[15:16], off
.LBB175_7:
	s_or_b32 exec_lo, exec_lo, s2
	v_add_nc_u32_e32 v5, 16, v7
	s_delay_alu instid0(VALU_DEP_1) | instskip(SKIP_1) | instid1(VALU_DEP_2)
	v_mad_i64_i32 v[6:7], null, v5, s3, 0
	v_cmp_le_i32_e64 s1, v5, v2
	v_lshlrev_b64 v[6:7], 3, v[6:7]
	s_delay_alu instid0(VALU_DEP_1) | instskip(NEXT) | instid1(VALU_DEP_1)
	v_add_co_u32 v6, s2, s4, v6
	v_add_co_ci_u32_e64 v7, s2, s5, v7, s2
	s_delay_alu instid0(VALU_DEP_4) | instskip(NEXT) | instid1(SALU_CYCLE_1)
	s_and_b32 s2, s1, vcc_lo
	s_and_saveexec_b32 s1, s2
	s_cbranch_execz .LBB175_9
; %bb.8:
	v_ashrrev_i32_e32 v3, 31, v2
	v_xor_b32_e32 v9, 0x80000000, v9
	v_xor_b32_e32 v10, 0x80000000, v8
	s_delay_alu instid0(VALU_DEP_3) | instskip(NEXT) | instid1(VALU_DEP_1)
	v_lshlrev_b64 v[2:3], 3, v[2:3]
	v_add_co_u32 v2, vcc_lo, v6, v2
	s_delay_alu instid0(VALU_DEP_2)
	v_add_co_ci_u32_e32 v3, vcc_lo, v7, v3, vcc_lo
	global_store_b64 v[2:3], v[9:10], off
.LBB175_9:
	s_or_b32 exec_lo, exec_lo, s1
	v_cmp_le_i32_e32 vcc_lo, v5, v4
	s_and_b32 s0, vcc_lo, s0
	s_delay_alu instid0(SALU_CYCLE_1)
	s_and_saveexec_b32 s1, s0
	s_cbranch_execz .LBB175_11
; %bb.10:
	v_ashrrev_i32_e32 v5, 31, v4
	v_xor_b32_e32 v0, 0x80000000, v0
	v_xor_b32_e32 v1, 0x80000000, v1
	s_delay_alu instid0(VALU_DEP_3) | instskip(NEXT) | instid1(VALU_DEP_1)
	v_lshlrev_b64 v[2:3], 3, v[4:5]
	v_add_co_u32 v2, vcc_lo, v6, v2
	s_delay_alu instid0(VALU_DEP_2)
	v_add_co_ci_u32_e32 v3, vcc_lo, v7, v3, vcc_lo
	global_store_b64 v[2:3], v[0:1], off
.LBB175_11:
	s_nop 0
	s_sendmsg sendmsg(MSG_DEALLOC_VGPRS)
	s_endpgm
	.section	.rodata,"a",@progbits
	.p2align	6, 0x0
	.amdhsa_kernel _ZL37rocblas_syrkx_herkx_restricted_kernelIi19rocblas_complex_numIfELi16ELi32ELi8ELin1ELi0ELb0ELc67ELc76EKS1_S1_EviT_PT9_S3_lS5_S3_lPT10_S3_li
		.amdhsa_group_segment_fixed_size 4096
		.amdhsa_private_segment_fixed_size 0
		.amdhsa_kernarg_size 84
		.amdhsa_user_sgpr_count 13
		.amdhsa_user_sgpr_dispatch_ptr 0
		.amdhsa_user_sgpr_queue_ptr 0
		.amdhsa_user_sgpr_kernarg_segment_ptr 1
		.amdhsa_user_sgpr_dispatch_id 0
		.amdhsa_user_sgpr_private_segment_size 0
		.amdhsa_wavefront_size32 1
		.amdhsa_uses_dynamic_stack 0
		.amdhsa_enable_private_segment 0
		.amdhsa_system_sgpr_workgroup_id_x 1
		.amdhsa_system_sgpr_workgroup_id_y 1
		.amdhsa_system_sgpr_workgroup_id_z 1
		.amdhsa_system_sgpr_workgroup_info 0
		.amdhsa_system_vgpr_workitem_id 1
		.amdhsa_next_free_vgpr 91
		.amdhsa_next_free_sgpr 20
		.amdhsa_reserve_vcc 1
		.amdhsa_float_round_mode_32 0
		.amdhsa_float_round_mode_16_64 0
		.amdhsa_float_denorm_mode_32 3
		.amdhsa_float_denorm_mode_16_64 3
		.amdhsa_dx10_clamp 1
		.amdhsa_ieee_mode 1
		.amdhsa_fp16_overflow 0
		.amdhsa_workgroup_processor_mode 1
		.amdhsa_memory_ordered 1
		.amdhsa_forward_progress 0
		.amdhsa_shared_vgpr_count 0
		.amdhsa_exception_fp_ieee_invalid_op 0
		.amdhsa_exception_fp_denorm_src 0
		.amdhsa_exception_fp_ieee_div_zero 0
		.amdhsa_exception_fp_ieee_overflow 0
		.amdhsa_exception_fp_ieee_underflow 0
		.amdhsa_exception_fp_ieee_inexact 0
		.amdhsa_exception_int_div_zero 0
	.end_amdhsa_kernel
	.section	.text._ZL37rocblas_syrkx_herkx_restricted_kernelIi19rocblas_complex_numIfELi16ELi32ELi8ELin1ELi0ELb0ELc67ELc76EKS1_S1_EviT_PT9_S3_lS5_S3_lPT10_S3_li,"axG",@progbits,_ZL37rocblas_syrkx_herkx_restricted_kernelIi19rocblas_complex_numIfELi16ELi32ELi8ELin1ELi0ELb0ELc67ELc76EKS1_S1_EviT_PT9_S3_lS5_S3_lPT10_S3_li,comdat
.Lfunc_end175:
	.size	_ZL37rocblas_syrkx_herkx_restricted_kernelIi19rocblas_complex_numIfELi16ELi32ELi8ELin1ELi0ELb0ELc67ELc76EKS1_S1_EviT_PT9_S3_lS5_S3_lPT10_S3_li, .Lfunc_end175-_ZL37rocblas_syrkx_herkx_restricted_kernelIi19rocblas_complex_numIfELi16ELi32ELi8ELin1ELi0ELb0ELc67ELc76EKS1_S1_EviT_PT9_S3_lS5_S3_lPT10_S3_li
                                        ; -- End function
	.section	.AMDGPU.csdata,"",@progbits
; Kernel info:
; codeLenInByte = 2096
; NumSgprs: 22
; NumVgprs: 91
; ScratchSize: 0
; MemoryBound: 0
; FloatMode: 240
; IeeeMode: 1
; LDSByteSize: 4096 bytes/workgroup (compile time only)
; SGPRBlocks: 2
; VGPRBlocks: 11
; NumSGPRsForWavesPerEU: 22
; NumVGPRsForWavesPerEU: 91
; Occupancy: 16
; WaveLimiterHint : 0
; COMPUTE_PGM_RSRC2:SCRATCH_EN: 0
; COMPUTE_PGM_RSRC2:USER_SGPR: 13
; COMPUTE_PGM_RSRC2:TRAP_HANDLER: 0
; COMPUTE_PGM_RSRC2:TGID_X_EN: 1
; COMPUTE_PGM_RSRC2:TGID_Y_EN: 1
; COMPUTE_PGM_RSRC2:TGID_Z_EN: 1
; COMPUTE_PGM_RSRC2:TIDIG_COMP_CNT: 1
	.section	.text._ZL37rocblas_syrkx_herkx_restricted_kernelIi19rocblas_complex_numIfELi16ELi32ELi8ELin1ELi0ELb0ELc78ELc76EKS1_S1_EviT_PT9_S3_lS5_S3_lPT10_S3_li,"axG",@progbits,_ZL37rocblas_syrkx_herkx_restricted_kernelIi19rocblas_complex_numIfELi16ELi32ELi8ELin1ELi0ELb0ELc78ELc76EKS1_S1_EviT_PT9_S3_lS5_S3_lPT10_S3_li,comdat
	.globl	_ZL37rocblas_syrkx_herkx_restricted_kernelIi19rocblas_complex_numIfELi16ELi32ELi8ELin1ELi0ELb0ELc78ELc76EKS1_S1_EviT_PT9_S3_lS5_S3_lPT10_S3_li ; -- Begin function _ZL37rocblas_syrkx_herkx_restricted_kernelIi19rocblas_complex_numIfELi16ELi32ELi8ELin1ELi0ELb0ELc78ELc76EKS1_S1_EviT_PT9_S3_lS5_S3_lPT10_S3_li
	.p2align	8
	.type	_ZL37rocblas_syrkx_herkx_restricted_kernelIi19rocblas_complex_numIfELi16ELi32ELi8ELin1ELi0ELb0ELc78ELc76EKS1_S1_EviT_PT9_S3_lS5_S3_lPT10_S3_li,@function
_ZL37rocblas_syrkx_herkx_restricted_kernelIi19rocblas_complex_numIfELi16ELi32ELi8ELin1ELi0ELb0ELc78ELc76EKS1_S1_EviT_PT9_S3_lS5_S3_lPT10_S3_li: ; @_ZL37rocblas_syrkx_herkx_restricted_kernelIi19rocblas_complex_numIfELi16ELi32ELi8ELin1ELi0ELb0ELc78ELc76EKS1_S1_EviT_PT9_S3_lS5_S3_lPT10_S3_li
; %bb.0:
	s_clause 0x1
	s_load_b64 s[2:3], s[0:1], 0x0
	s_load_b128 s[4:7], s[0:1], 0x30
	v_dual_mov_b32 v17, 0 :: v_dual_and_b32 v4, 0x3ff, v0
	v_bfe_u32 v5, v0, 10, 10
	v_dual_mov_b32 v16, 0 :: v_dual_mov_b32 v13, 0
	v_dual_mov_b32 v12, 0 :: v_dual_mov_b32 v9, 0
	;; [unrolled: 1-line block ×3, first 2 shown]
	v_mov_b32_e32 v6, 0
	s_lshl_b32 s12, s13, 5
	s_lshl_b32 s13, s14, 5
	s_mov_b32 s14, 0
	s_waitcnt lgkmcnt(0)
	s_cmp_lt_i32 s3, 1
	s_cbranch_scc1 .LBB176_3
; %bb.1:
	s_clause 0x1
	s_load_b32 s16, s[0:1], 0x10
	s_load_b32 s18, s[0:1], 0x28
	v_lshl_add_u32 v0, v5, 4, v4
	v_and_b32_e32 v8, 7, v4
	s_clause 0x1
	s_load_b128 s[8:11], s[0:1], 0x18
	s_load_b64 s[20:21], s[0:1], 0x8
	s_mul_i32 s5, s5, s15
	v_lshrrev_b32_e32 v1, 3, v0
	v_and_b32_e32 v2, 31, v0
	v_lshrrev_b32_e32 v9, 5, v0
	v_lshlrev_b32_e32 v3, 3, v8
	s_delay_alu instid0(VALU_DEP_4) | instskip(NEXT) | instid1(VALU_DEP_4)
	v_dual_mov_b32 v13, 0 :: v_dual_add_nc_u32 v0, s13, v1
	v_dual_mov_b32 v17, 0 :: v_dual_lshlrev_b32 v6, 3, v2
	v_add_nc_u32_e32 v2, s12, v2
	s_delay_alu instid0(VALU_DEP_4) | instskip(NEXT) | instid1(VALU_DEP_4)
	v_lshl_or_b32 v11, v1, 6, v3
	v_ashrrev_i32_e32 v1, 31, v0
	s_delay_alu instid0(VALU_DEP_4)
	v_lshl_or_b32 v10, v9, 8, v6
	v_lshlrev_b32_e32 v14, 3, v4
	v_ashrrev_i32_e32 v3, 31, v2
	s_waitcnt lgkmcnt(0)
	s_ashr_i32 s17, s16, 31
	v_mad_i64_i32 v[6:7], null, s18, v8, v[0:1]
	s_mul_i32 s9, s9, s15
	v_mad_i64_i32 v[0:1], null, s16, v9, v[2:3]
	s_mul_hi_u32 s22, s8, s15
	s_mul_i32 s8, s8, s15
	s_add_i32 s9, s22, s9
	s_ashr_i32 s19, s18, 31
	s_lshl_b64 s[8:9], s[8:9], 3
	v_dual_mov_b32 v8, 0 :: v_dual_add_nc_u32 v11, 0x800, v11
	s_delay_alu instid0(VALU_DEP_2)
	v_lshlrev_b64 v[0:1], 3, v[0:1]
	s_add_u32 s8, s20, s8
	s_addc_u32 s9, s21, s9
	s_mul_hi_u32 s20, s4, s15
	s_mul_i32 s4, s4, s15
	s_add_i32 s5, s20, s5
	v_add_co_u32 v2, vcc_lo, s8, v0
	v_add_co_ci_u32_e32 v3, vcc_lo, s9, v1, vcc_lo
	v_lshlrev_b64 v[0:1], 3, v[6:7]
	s_lshl_b64 s[8:9], s[4:5], 3
	s_lshl_b64 s[4:5], s[16:17], 6
	s_add_u32 s8, s10, s8
	s_addc_u32 s9, s11, s9
	v_lshl_add_u32 v15, v5, 6, 0x800
	v_add_co_u32 v6, vcc_lo, s8, v0
	v_add_co_ci_u32_e32 v7, vcc_lo, s9, v1, vcc_lo
	v_add_co_u32 v0, vcc_lo, v2, 4
	v_add_co_ci_u32_e32 v1, vcc_lo, 0, v3, vcc_lo
	s_delay_alu instid0(VALU_DEP_4) | instskip(NEXT) | instid1(VALU_DEP_4)
	v_add_co_u32 v2, vcc_lo, v6, 4
	v_add_co_ci_u32_e32 v3, vcc_lo, 0, v7, vcc_lo
	v_dual_mov_b32 v6, 0 :: v_dual_mov_b32 v7, 0
	v_dual_mov_b32 v9, 0 :: v_dual_mov_b32 v12, 0
	v_mov_b32_e32 v16, 0
	s_lshl_b64 s[8:9], s[18:19], 6
.LBB176_2:                              ; =>This Inner Loop Header: Depth=1
	global_load_b64 v[18:19], v[0:1], off offset:-4
	global_load_b64 v[20:21], v[2:3], off offset:-4
	v_add_co_u32 v0, vcc_lo, v0, s4
	v_add_co_ci_u32_e32 v1, vcc_lo, s5, v1, vcc_lo
	v_add_co_u32 v2, vcc_lo, v2, s8
	v_add_co_ci_u32_e32 v3, vcc_lo, s9, v3, vcc_lo
	s_add_i32 s14, s14, 8
	s_waitcnt vmcnt(1)
	ds_store_b64 v10, v[18:19]
	s_waitcnt vmcnt(0)
	ds_store_b64 v11, v[20:21]
	s_waitcnt lgkmcnt(0)
	s_barrier
	buffer_gl0_inv
	ds_load_2addr_b64 v[18:21], v14 offset1:16
	ds_load_b128 v[22:25], v15
	ds_load_b128 v[26:29], v15 offset:1024
	ds_load_b128 v[30:33], v15 offset:16
	ds_load_2addr_b64 v[34:37], v14 offset0:32 offset1:48
	ds_load_b128 v[38:41], v15 offset:32
	ds_load_b128 v[42:45], v15 offset:48
	ds_load_2addr_b64 v[46:49], v14 offset0:64 offset1:80
	ds_load_b128 v[50:53], v15 offset:1040
	ds_load_2addr_b64 v[54:57], v14 offset0:96 offset1:112
	ds_load_2addr_b64 v[58:61], v14 offset0:128 offset1:144
	;; [unrolled: 1-line block ×4, first 2 shown]
	ds_load_b128 v[70:73], v15 offset:1056
	ds_load_b128 v[74:77], v15 offset:1072
	ds_load_2addr_b64 v[78:81], v14 offset0:224 offset1:240
	s_cmp_ge_i32 s14, s3
	s_waitcnt lgkmcnt(0)
	s_barrier
	buffer_gl0_inv
	v_dual_mul_f32 v82, v23, v19 :: v_dual_mul_f32 v85, v22, v21
	v_dual_mul_f32 v83, v22, v19 :: v_dual_mul_f32 v84, v23, v21
	v_mul_f32_e32 v86, v27, v19
	v_dual_mul_f32 v19, v26, v19 :: v_dual_mul_f32 v90, v25, v37
	v_dual_mul_f32 v87, v27, v21 :: v_dual_mul_f32 v88, v25, v35
	v_mul_f32_e32 v21, v26, v21
	v_mul_f32_e32 v89, v24, v35
	;; [unrolled: 1-line block ×3, first 2 shown]
	v_fma_f32 v82, v22, v18, -v82
	v_fmac_f32_e32 v83, v23, v18
	v_fma_f32 v22, v22, v20, -v84
	v_dual_fmac_f32 v85, v23, v20 :: v_dual_mul_f32 v84, v30, v47
	v_fma_f32 v23, v26, v18, -v86
	v_fmac_f32_e32 v19, v27, v18
	v_fma_f32 v18, v26, v20, -v87
	v_dual_mul_f32 v26, v28, v35 :: v_dual_fmac_f32 v21, v27, v20
	v_mul_f32_e32 v20, v29, v35
	v_mul_f32_e32 v27, v29, v37
	v_dual_mul_f32 v35, v28, v37 :: v_dual_fmac_f32 v84, v31, v46
	v_fma_f32 v37, v24, v34, -v88
	v_fma_f32 v24, v24, v36, -v90
	v_dual_fmac_f32 v91, v25, v36 :: v_dual_mul_f32 v90, v32, v57
	v_dual_mul_f32 v86, v31, v49 :: v_dual_fmac_f32 v89, v25, v34
	v_dual_mul_f32 v25, v31, v47 :: v_dual_mul_f32 v88, v33, v57
	v_fma_f32 v20, v28, v34, -v20
	v_fmac_f32_e32 v26, v29, v34
	v_fma_f32 v27, v28, v36, -v27
	v_dual_fmac_f32 v35, v29, v36 :: v_dual_mul_f32 v28, v51, v47
	v_dual_mul_f32 v29, v50, v47 :: v_dual_mul_f32 v34, v51, v49
	v_mul_f32_e32 v36, v50, v49
	v_mul_f32_e32 v87, v30, v49
	v_mul_f32_e32 v47, v33, v55
	v_dual_mul_f32 v49, v32, v55 :: v_dual_fmac_f32 v90, v33, v56
	v_fma_f32 v25, v30, v46, -v25
	v_fma_f32 v30, v30, v48, -v86
	;; [unrolled: 1-line block ×3, first 2 shown]
	v_fmac_f32_e32 v36, v51, v48
	v_fmac_f32_e32 v87, v31, v48
	v_fma_f32 v31, v50, v48, -v34
	v_mul_f32_e32 v34, v53, v55
	v_mul_f32_e32 v48, v53, v57
	v_dual_mul_f32 v50, v52, v57 :: v_dual_fmac_f32 v29, v51, v46
	v_mul_f32_e32 v46, v52, v55
	v_fma_f32 v47, v32, v54, -v47
	v_fmac_f32_e32 v49, v33, v54
	v_fma_f32 v32, v32, v56, -v88
	s_delay_alu instid0(VALU_DEP_4)
	v_dual_mul_f32 v33, v39, v59 :: v_dual_fmac_f32 v46, v53, v54
	v_mul_f32_e32 v51, v38, v59
	v_mul_f32_e32 v55, v39, v61
	v_fma_f32 v34, v52, v54, -v34
	v_fma_f32 v48, v52, v56, -v48
	v_fmac_f32_e32 v50, v53, v56
	v_mul_f32_e32 v52, v71, v59
	v_dual_mul_f32 v53, v70, v59 :: v_dual_mul_f32 v86, v41, v65
	v_mul_f32_e32 v54, v71, v61
	v_dual_mul_f32 v56, v70, v61 :: v_dual_mul_f32 v59, v41, v63
	v_mul_f32_e32 v57, v38, v61
	v_mul_f32_e32 v61, v40, v63
	v_dual_mul_f32 v88, v40, v65 :: v_dual_fmac_f32 v51, v39, v58
	v_fma_f32 v33, v38, v58, -v33
	v_fmac_f32_e32 v53, v71, v58
	v_fmac_f32_e32 v56, v71, v60
	s_delay_alu instid0(VALU_DEP_4)
	v_fmac_f32_e32 v88, v41, v64
	v_fmac_f32_e32 v57, v39, v60
	v_fma_f32 v39, v70, v58, -v52
	v_fma_f32 v52, v70, v60, -v54
	v_mul_f32_e32 v54, v73, v63
	v_fma_f32 v38, v38, v60, -v55
	v_mul_f32_e32 v60, v72, v65
	v_dual_mul_f32 v55, v72, v63 :: v_dual_mul_f32 v70, v42, v69
	v_mul_f32_e32 v58, v73, v65
	v_fma_f32 v59, v40, v62, -v59
	v_fmac_f32_e32 v61, v41, v62
	v_fma_f32 v40, v40, v64, -v86
	v_dual_mul_f32 v41, v43, v67 :: v_dual_fmac_f32 v60, v73, v64
	v_dual_mul_f32 v63, v42, v67 :: v_dual_mul_f32 v86, v44, v81
	v_mul_f32_e32 v65, v43, v69
	v_fma_f32 v54, v72, v62, -v54
	v_fmac_f32_e32 v55, v73, v62
	v_fma_f32 v58, v72, v64, -v58
	v_mul_f32_e32 v72, v44, v79
	v_mul_f32_e32 v62, v75, v67
	v_dual_mul_f32 v64, v74, v67 :: v_dual_mul_f32 v67, v75, v69
	v_dual_mul_f32 v69, v74, v69 :: v_dual_fmac_f32 v70, v43, v68
	s_delay_alu instid0(VALU_DEP_2)
	v_dual_mul_f32 v71, v45, v79 :: v_dual_fmac_f32 v64, v75, v66
	v_dual_mul_f32 v73, v45, v81 :: v_dual_add_f32 v16, v16, v82
	v_fma_f32 v41, v42, v66, -v41
	v_fmac_f32_e32 v63, v43, v66
	v_fma_f32 v42, v42, v68, -v65
	v_fma_f32 v43, v74, v66, -v62
	v_dual_mul_f32 v65, v77, v79 :: v_dual_add_f32 v12, v12, v85
	v_mul_f32_e32 v66, v76, v79
	v_fma_f32 v62, v74, v68, -v67
	v_dual_mul_f32 v67, v77, v81 :: v_dual_add_f32 v8, v8, v19
	v_dual_fmac_f32 v86, v45, v80 :: v_dual_add_f32 v7, v7, v18
	v_dual_add_f32 v17, v17, v83 :: v_dual_add_f32 v6, v6, v21
	v_dual_add_f32 v13, v13, v22 :: v_dual_add_f32 v16, v16, v37
	s_delay_alu instid0(VALU_DEP_4)
	v_dual_add_f32 v9, v9, v23 :: v_dual_add_f32 v8, v8, v26
	v_dual_fmac_f32 v69, v75, v68 :: v_dual_fmac_f32 v72, v45, v78
	v_mul_f32_e32 v68, v76, v81
	v_dual_fmac_f32 v66, v77, v78 :: v_dual_add_f32 v7, v7, v27
	v_dual_add_f32 v17, v17, v89 :: v_dual_add_f32 v12, v12, v91
	v_dual_add_f32 v13, v13, v24 :: v_dual_add_f32 v6, v6, v35
	;; [unrolled: 1-line block ×3, first 2 shown]
	s_delay_alu instid0(VALU_DEP_4) | instskip(NEXT) | instid1(VALU_DEP_4)
	v_dual_fmac_f32 v68, v77, v80 :: v_dual_add_f32 v7, v7, v31
	v_dual_add_f32 v17, v17, v84 :: v_dual_add_f32 v12, v12, v87
	s_delay_alu instid0(VALU_DEP_4) | instskip(NEXT) | instid1(VALU_DEP_4)
	v_dual_add_f32 v13, v13, v30 :: v_dual_add_f32 v8, v8, v29
	v_dual_add_f32 v9, v9, v28 :: v_dual_add_f32 v16, v16, v47
	s_delay_alu instid0(VALU_DEP_3) | instskip(NEXT) | instid1(VALU_DEP_3)
	v_dual_add_f32 v6, v6, v36 :: v_dual_add_f32 v17, v17, v49
	v_dual_add_f32 v13, v13, v32 :: v_dual_add_f32 v12, v12, v90
	s_delay_alu instid0(VALU_DEP_3) | instskip(SKIP_1) | instid1(VALU_DEP_4)
	v_dual_add_f32 v9, v9, v34 :: v_dual_add_f32 v16, v16, v33
	v_dual_add_f32 v8, v8, v46 :: v_dual_add_f32 v7, v7, v48
	;; [unrolled: 1-line block ×3, first 2 shown]
	s_delay_alu instid0(VALU_DEP_4) | instskip(NEXT) | instid1(VALU_DEP_3)
	v_dual_add_f32 v13, v13, v38 :: v_dual_add_f32 v12, v12, v57
	v_dual_add_f32 v9, v9, v39 :: v_dual_add_f32 v8, v8, v53
	s_delay_alu instid0(VALU_DEP_4) | instskip(NEXT) | instid1(VALU_DEP_4)
	v_dual_add_f32 v7, v7, v52 :: v_dual_add_f32 v16, v16, v59
	v_dual_add_f32 v6, v6, v56 :: v_dual_add_f32 v17, v17, v61
	s_delay_alu instid0(VALU_DEP_3) | instskip(NEXT) | instid1(VALU_DEP_4)
	v_dual_add_f32 v13, v13, v40 :: v_dual_add_f32 v8, v8, v55
	v_dual_add_f32 v12, v12, v88 :: v_dual_add_f32 v9, v9, v54
	s_delay_alu instid0(VALU_DEP_3)
	v_dual_add_f32 v7, v7, v58 :: v_dual_add_f32 v6, v6, v60
	v_fma_f32 v71, v44, v78, -v71
	v_fma_f32 v44, v44, v80, -v73
	v_fma_f32 v45, v76, v78, -v65
	v_fma_f32 v65, v76, v80, -v67
	v_dual_add_f32 v16, v16, v41 :: v_dual_add_f32 v17, v17, v63
	v_dual_add_f32 v13, v13, v42 :: v_dual_add_f32 v8, v8, v64
	;; [unrolled: 1-line block ×4, first 2 shown]
	s_delay_alu instid0(VALU_DEP_4) | instskip(NEXT) | instid1(VALU_DEP_3)
	v_dual_add_f32 v16, v16, v71 :: v_dual_add_f32 v17, v17, v72
	v_dual_add_f32 v13, v13, v44 :: v_dual_add_f32 v12, v12, v86
	s_delay_alu instid0(VALU_DEP_4) | instskip(NEXT) | instid1(VALU_DEP_4)
	v_dual_add_f32 v9, v9, v45 :: v_dual_add_f32 v8, v8, v66
	v_dual_add_f32 v7, v7, v65 :: v_dual_add_f32 v6, v6, v68
	s_cbranch_scc0 .LBB176_2
.LBB176_3:
	s_clause 0x1
	s_load_b32 s3, s[0:1], 0x40
	s_load_b64 s[4:5], s[0:1], 0x48
	v_add_nc_u32_e32 v5, s13, v5
	v_add_nc_u32_e32 v0, s12, v4
	s_delay_alu instid0(VALU_DEP_1)
	v_cmp_le_i32_e64 s0, v5, v0
	v_cmp_gt_i32_e32 vcc_lo, s2, v0
	s_waitcnt lgkmcnt(0)
	v_mad_i64_i32 v[1:2], null, v5, s3, 0
	s_mul_i32 s1, s15, s5
	s_mul_hi_u32 s5, s15, s4
	s_mul_i32 s4, s15, s4
	s_add_i32 s5, s5, s1
	s_delay_alu instid0(SALU_CYCLE_1) | instskip(NEXT) | instid1(VALU_DEP_1)
	s_lshl_b64 s[4:5], s[4:5], 3
	v_lshlrev_b64 v[1:2], 3, v[1:2]
	s_add_u32 s4, s6, s4
	s_addc_u32 s5, s7, s5
	s_and_b32 s0, s0, vcc_lo
	s_delay_alu instid0(VALU_DEP_1) | instskip(NEXT) | instid1(VALU_DEP_1)
	v_add_co_u32 v4, s1, s4, v1
	v_add_co_ci_u32_e64 v10, s1, s5, v2, s1
	s_and_saveexec_b32 s1, s0
	s_cbranch_execz .LBB176_5
; %bb.4:
	v_ashrrev_i32_e32 v1, 31, v0
	v_xor_b32_e32 v14, 0x80000000, v16
	v_xor_b32_e32 v15, 0x80000000, v17
	s_delay_alu instid0(VALU_DEP_3) | instskip(NEXT) | instid1(VALU_DEP_1)
	v_lshlrev_b64 v[1:2], 3, v[0:1]
	v_add_co_u32 v1, s0, v4, v1
	s_delay_alu instid0(VALU_DEP_1)
	v_add_co_ci_u32_e64 v2, s0, v10, v2, s0
	global_store_b64 v[1:2], v[14:15], off
.LBB176_5:
	s_or_b32 exec_lo, exec_lo, s1
	v_add_nc_u32_e32 v2, 16, v0
	s_delay_alu instid0(VALU_DEP_1) | instskip(SKIP_1) | instid1(VALU_DEP_1)
	v_cmp_le_i32_e64 s1, v5, v2
	v_cmp_gt_i32_e64 s0, s2, v2
	s_and_b32 s1, s1, s0
	s_delay_alu instid0(SALU_CYCLE_1)
	s_and_saveexec_b32 s2, s1
	s_cbranch_execz .LBB176_7
; %bb.6:
	v_ashrrev_i32_e32 v3, 31, v2
	v_xor_b32_e32 v11, 0x80000000, v13
	v_xor_b32_e32 v12, 0x80000000, v12
	s_delay_alu instid0(VALU_DEP_3) | instskip(NEXT) | instid1(VALU_DEP_1)
	v_lshlrev_b64 v[14:15], 3, v[2:3]
	v_add_co_u32 v3, s1, v4, v14
	s_delay_alu instid0(VALU_DEP_1)
	v_add_co_ci_u32_e64 v4, s1, v10, v15, s1
	global_store_b64 v[3:4], v[11:12], off
.LBB176_7:
	s_or_b32 exec_lo, exec_lo, s2
	v_add_nc_u32_e32 v3, 16, v5
	s_delay_alu instid0(VALU_DEP_1) | instskip(SKIP_1) | instid1(VALU_DEP_2)
	v_mad_i64_i32 v[4:5], null, v3, s3, 0
	v_cmp_le_i32_e64 s1, v3, v0
	v_lshlrev_b64 v[4:5], 3, v[4:5]
	s_delay_alu instid0(VALU_DEP_1) | instskip(NEXT) | instid1(VALU_DEP_1)
	v_add_co_u32 v4, s2, s4, v4
	v_add_co_ci_u32_e64 v5, s2, s5, v5, s2
	s_delay_alu instid0(VALU_DEP_4) | instskip(NEXT) | instid1(SALU_CYCLE_1)
	s_and_b32 s2, s1, vcc_lo
	s_and_saveexec_b32 s1, s2
	s_cbranch_execz .LBB176_9
; %bb.8:
	v_ashrrev_i32_e32 v1, 31, v0
	v_xor_b32_e32 v9, 0x80000000, v9
	v_xor_b32_e32 v10, 0x80000000, v8
	s_delay_alu instid0(VALU_DEP_3) | instskip(NEXT) | instid1(VALU_DEP_1)
	v_lshlrev_b64 v[0:1], 3, v[0:1]
	v_add_co_u32 v0, vcc_lo, v4, v0
	s_delay_alu instid0(VALU_DEP_2)
	v_add_co_ci_u32_e32 v1, vcc_lo, v5, v1, vcc_lo
	global_store_b64 v[0:1], v[9:10], off
.LBB176_9:
	s_or_b32 exec_lo, exec_lo, s1
	v_cmp_le_i32_e32 vcc_lo, v3, v2
	s_and_b32 s0, vcc_lo, s0
	s_delay_alu instid0(SALU_CYCLE_1)
	s_and_saveexec_b32 s1, s0
	s_cbranch_execz .LBB176_11
; %bb.10:
	v_ashrrev_i32_e32 v3, 31, v2
	s_delay_alu instid0(VALU_DEP_1) | instskip(SKIP_2) | instid1(VALU_DEP_3)
	v_lshlrev_b64 v[0:1], 3, v[2:3]
	v_xor_b32_e32 v2, 0x80000000, v7
	v_xor_b32_e32 v3, 0x80000000, v6
	v_add_co_u32 v0, vcc_lo, v4, v0
	s_delay_alu instid0(VALU_DEP_4)
	v_add_co_ci_u32_e32 v1, vcc_lo, v5, v1, vcc_lo
	global_store_b64 v[0:1], v[2:3], off
.LBB176_11:
	s_nop 0
	s_sendmsg sendmsg(MSG_DEALLOC_VGPRS)
	s_endpgm
	.section	.rodata,"a",@progbits
	.p2align	6, 0x0
	.amdhsa_kernel _ZL37rocblas_syrkx_herkx_restricted_kernelIi19rocblas_complex_numIfELi16ELi32ELi8ELin1ELi0ELb0ELc78ELc76EKS1_S1_EviT_PT9_S3_lS5_S3_lPT10_S3_li
		.amdhsa_group_segment_fixed_size 4096
		.amdhsa_private_segment_fixed_size 0
		.amdhsa_kernarg_size 84
		.amdhsa_user_sgpr_count 13
		.amdhsa_user_sgpr_dispatch_ptr 0
		.amdhsa_user_sgpr_queue_ptr 0
		.amdhsa_user_sgpr_kernarg_segment_ptr 1
		.amdhsa_user_sgpr_dispatch_id 0
		.amdhsa_user_sgpr_private_segment_size 0
		.amdhsa_wavefront_size32 1
		.amdhsa_uses_dynamic_stack 0
		.amdhsa_enable_private_segment 0
		.amdhsa_system_sgpr_workgroup_id_x 1
		.amdhsa_system_sgpr_workgroup_id_y 1
		.amdhsa_system_sgpr_workgroup_id_z 1
		.amdhsa_system_sgpr_workgroup_info 0
		.amdhsa_system_vgpr_workitem_id 1
		.amdhsa_next_free_vgpr 92
		.amdhsa_next_free_sgpr 23
		.amdhsa_reserve_vcc 1
		.amdhsa_float_round_mode_32 0
		.amdhsa_float_round_mode_16_64 0
		.amdhsa_float_denorm_mode_32 3
		.amdhsa_float_denorm_mode_16_64 3
		.amdhsa_dx10_clamp 1
		.amdhsa_ieee_mode 1
		.amdhsa_fp16_overflow 0
		.amdhsa_workgroup_processor_mode 1
		.amdhsa_memory_ordered 1
		.amdhsa_forward_progress 0
		.amdhsa_shared_vgpr_count 0
		.amdhsa_exception_fp_ieee_invalid_op 0
		.amdhsa_exception_fp_denorm_src 0
		.amdhsa_exception_fp_ieee_div_zero 0
		.amdhsa_exception_fp_ieee_overflow 0
		.amdhsa_exception_fp_ieee_underflow 0
		.amdhsa_exception_fp_ieee_inexact 0
		.amdhsa_exception_int_div_zero 0
	.end_amdhsa_kernel
	.section	.text._ZL37rocblas_syrkx_herkx_restricted_kernelIi19rocblas_complex_numIfELi16ELi32ELi8ELin1ELi0ELb0ELc78ELc76EKS1_S1_EviT_PT9_S3_lS5_S3_lPT10_S3_li,"axG",@progbits,_ZL37rocblas_syrkx_herkx_restricted_kernelIi19rocblas_complex_numIfELi16ELi32ELi8ELin1ELi0ELb0ELc78ELc76EKS1_S1_EviT_PT9_S3_lS5_S3_lPT10_S3_li,comdat
.Lfunc_end176:
	.size	_ZL37rocblas_syrkx_herkx_restricted_kernelIi19rocblas_complex_numIfELi16ELi32ELi8ELin1ELi0ELb0ELc78ELc76EKS1_S1_EviT_PT9_S3_lS5_S3_lPT10_S3_li, .Lfunc_end176-_ZL37rocblas_syrkx_herkx_restricted_kernelIi19rocblas_complex_numIfELi16ELi32ELi8ELin1ELi0ELb0ELc78ELc76EKS1_S1_EviT_PT9_S3_lS5_S3_lPT10_S3_li
                                        ; -- End function
	.section	.AMDGPU.csdata,"",@progbits
; Kernel info:
; codeLenInByte = 2128
; NumSgprs: 25
; NumVgprs: 92
; ScratchSize: 0
; MemoryBound: 0
; FloatMode: 240
; IeeeMode: 1
; LDSByteSize: 4096 bytes/workgroup (compile time only)
; SGPRBlocks: 3
; VGPRBlocks: 11
; NumSGPRsForWavesPerEU: 25
; NumVGPRsForWavesPerEU: 92
; Occupancy: 16
; WaveLimiterHint : 0
; COMPUTE_PGM_RSRC2:SCRATCH_EN: 0
; COMPUTE_PGM_RSRC2:USER_SGPR: 13
; COMPUTE_PGM_RSRC2:TRAP_HANDLER: 0
; COMPUTE_PGM_RSRC2:TGID_X_EN: 1
; COMPUTE_PGM_RSRC2:TGID_Y_EN: 1
; COMPUTE_PGM_RSRC2:TGID_Z_EN: 1
; COMPUTE_PGM_RSRC2:TIDIG_COMP_CNT: 1
	.section	.text._ZL37rocblas_syrkx_herkx_restricted_kernelIi19rocblas_complex_numIfELi16ELi32ELi8ELin1ELi0ELb0ELc84ELc85EKS1_S1_EviT_PT9_S3_lS5_S3_lPT10_S3_li,"axG",@progbits,_ZL37rocblas_syrkx_herkx_restricted_kernelIi19rocblas_complex_numIfELi16ELi32ELi8ELin1ELi0ELb0ELc84ELc85EKS1_S1_EviT_PT9_S3_lS5_S3_lPT10_S3_li,comdat
	.globl	_ZL37rocblas_syrkx_herkx_restricted_kernelIi19rocblas_complex_numIfELi16ELi32ELi8ELin1ELi0ELb0ELc84ELc85EKS1_S1_EviT_PT9_S3_lS5_S3_lPT10_S3_li ; -- Begin function _ZL37rocblas_syrkx_herkx_restricted_kernelIi19rocblas_complex_numIfELi16ELi32ELi8ELin1ELi0ELb0ELc84ELc85EKS1_S1_EviT_PT9_S3_lS5_S3_lPT10_S3_li
	.p2align	8
	.type	_ZL37rocblas_syrkx_herkx_restricted_kernelIi19rocblas_complex_numIfELi16ELi32ELi8ELin1ELi0ELb0ELc84ELc85EKS1_S1_EviT_PT9_S3_lS5_S3_lPT10_S3_li,@function
_ZL37rocblas_syrkx_herkx_restricted_kernelIi19rocblas_complex_numIfELi16ELi32ELi8ELin1ELi0ELb0ELc84ELc85EKS1_S1_EviT_PT9_S3_lS5_S3_lPT10_S3_li: ; @_ZL37rocblas_syrkx_herkx_restricted_kernelIi19rocblas_complex_numIfELi16ELi32ELi8ELin1ELi0ELb0ELc84ELc85EKS1_S1_EviT_PT9_S3_lS5_S3_lPT10_S3_li
; %bb.0:
	s_clause 0x1
	s_load_b64 s[2:3], s[0:1], 0x0
	s_load_b128 s[4:7], s[0:1], 0x30
	v_dual_mov_b32 v17, 0 :: v_dual_and_b32 v6, 0x3ff, v0
	v_bfe_u32 v7, v0, 10, 10
	v_dual_mov_b32 v16, 0 :: v_dual_mov_b32 v11, 0
	v_dual_mov_b32 v12, 0 :: v_dual_mov_b32 v9, 0
	;; [unrolled: 1-line block ×3, first 2 shown]
	v_mov_b32_e32 v0, 0
	s_lshl_b32 s12, s13, 5
	s_lshl_b32 s13, s14, 5
	s_mov_b32 s14, 0
	s_waitcnt lgkmcnt(0)
	s_cmp_lt_i32 s3, 1
	s_cbranch_scc1 .LBB177_3
; %bb.1:
	s_clause 0x3
	s_load_b32 s18, s[0:1], 0x10
	s_load_b128 s[8:11], s[0:1], 0x18
	s_load_b64 s[16:17], s[0:1], 0x8
	s_load_b32 s19, s[0:1], 0x28
	v_lshl_add_u32 v2, v7, 4, v6
	v_dual_mov_b32 v1, 0 :: v_dual_and_b32 v0, 7, v6
	v_lshlrev_b32_e32 v10, 3, v6
	s_mul_i32 s5, s5, s15
	s_delay_alu instid0(VALU_DEP_3)
	v_lshrrev_b32_e32 v4, 3, v2
	v_and_b32_e32 v5, 31, v2
	v_lshlrev_b32_e32 v3, 3, v0
	v_lshrrev_b32_e32 v2, 5, v2
	v_lshl_add_u32 v15, v7, 6, 0x800
	v_add_nc_u32_e32 v12, s13, v4
	v_add_nc_u32_e32 v11, s12, v5
	v_lshl_or_b32 v9, v4, 6, v3
	v_dual_mov_b32 v3, v1 :: v_dual_lshlrev_b32 v8, 3, v5
	v_mov_b32_e32 v17, v1
	v_mov_b32_e32 v16, v1
	s_delay_alu instid0(VALU_DEP_4)
	v_add_nc_u32_e32 v14, 0x800, v9
	s_waitcnt lgkmcnt(0)
	v_mad_i64_i32 v[4:5], null, s18, v11, v[2:3]
	s_mul_i32 s9, s9, s15
	s_mul_hi_u32 s18, s8, s15
	v_mov_b32_e32 v9, v1
	v_lshl_or_b32 v13, v2, 8, v8
	v_mov_b32_e32 v11, v1
	v_mad_i64_i32 v[2:3], null, s19, v12, v[0:1]
	s_mul_i32 s8, s8, s15
	s_add_i32 s9, s18, s9
	v_lshlrev_b64 v[4:5], 3, v[4:5]
	s_lshl_b64 s[8:9], s[8:9], 3
	v_mov_b32_e32 v12, v1
	s_add_u32 s8, s16, s8
	s_mul_hi_u32 s16, s4, s15
	s_addc_u32 s9, s17, s9
	s_add_i32 s5, s16, s5
	s_mul_i32 s4, s4, s15
	v_lshlrev_b64 v[2:3], 3, v[2:3]
	s_lshl_b64 s[4:5], s[4:5], 3
	v_add_co_u32 v0, vcc_lo, s8, v4
	s_add_u32 s4, s10, s4
	v_add_co_ci_u32_e32 v4, vcc_lo, s9, v5, vcc_lo
	s_addc_u32 s5, s11, s5
	v_add_co_u32 v5, vcc_lo, s4, v2
	v_add_co_ci_u32_e32 v8, vcc_lo, s5, v3, vcc_lo
	v_add_co_u32 v2, vcc_lo, v0, 4
	v_add_co_ci_u32_e32 v3, vcc_lo, 0, v4, vcc_lo
	s_delay_alu instid0(VALU_DEP_4) | instskip(NEXT) | instid1(VALU_DEP_4)
	v_add_co_u32 v4, vcc_lo, v5, 4
	v_add_co_ci_u32_e32 v5, vcc_lo, 0, v8, vcc_lo
	v_mov_b32_e32 v0, v1
	v_mov_b32_e32 v8, v1
.LBB177_2:                              ; =>This Inner Loop Header: Depth=1
	global_load_b64 v[18:19], v[2:3], off offset:-4
	global_load_b64 v[20:21], v[4:5], off offset:-4
	v_add_co_u32 v2, vcc_lo, v2, 64
	v_add_co_ci_u32_e32 v3, vcc_lo, 0, v3, vcc_lo
	v_add_co_u32 v4, vcc_lo, v4, 64
	v_add_co_ci_u32_e32 v5, vcc_lo, 0, v5, vcc_lo
	s_add_i32 s14, s14, 8
	s_waitcnt vmcnt(1)
	ds_store_b64 v13, v[18:19]
	s_waitcnt vmcnt(0)
	ds_store_b64 v14, v[20:21]
	s_waitcnt lgkmcnt(0)
	s_barrier
	buffer_gl0_inv
	ds_load_2addr_b64 v[18:21], v10 offset1:16
	ds_load_b128 v[22:25], v15
	ds_load_b128 v[26:29], v15 offset:1024
	ds_load_b128 v[30:33], v15 offset:16
	ds_load_2addr_b64 v[34:37], v10 offset0:32 offset1:48
	ds_load_b128 v[38:41], v15 offset:32
	ds_load_b128 v[42:45], v15 offset:48
	ds_load_2addr_b64 v[46:49], v10 offset0:64 offset1:80
	ds_load_b128 v[50:53], v15 offset:1040
	ds_load_2addr_b64 v[54:57], v10 offset0:96 offset1:112
	ds_load_2addr_b64 v[58:61], v10 offset0:128 offset1:144
	;; [unrolled: 1-line block ×4, first 2 shown]
	ds_load_b128 v[70:73], v15 offset:1056
	ds_load_b128 v[74:77], v15 offset:1072
	ds_load_2addr_b64 v[78:81], v10 offset0:224 offset1:240
	s_cmp_ge_i32 s14, s3
	s_waitcnt lgkmcnt(0)
	s_barrier
	buffer_gl0_inv
	v_dual_mul_f32 v82, v23, v19 :: v_dual_mul_f32 v85, v22, v21
	v_dual_mul_f32 v83, v22, v19 :: v_dual_mul_f32 v84, v23, v21
	v_mul_f32_e32 v86, v27, v19
	v_dual_mul_f32 v19, v26, v19 :: v_dual_mul_f32 v90, v25, v37
	v_dual_mul_f32 v87, v27, v21 :: v_dual_mul_f32 v88, v25, v35
	v_mul_f32_e32 v21, v26, v21
	v_fma_f32 v82, v22, v18, -v82
	v_fmac_f32_e32 v83, v23, v18
	v_fma_f32 v22, v22, v20, -v84
	v_fmac_f32_e32 v85, v23, v20
	v_fma_f32 v23, v26, v18, -v86
	v_dual_fmac_f32 v19, v27, v18 :: v_dual_mul_f32 v86, v30, v47
	v_fma_f32 v18, v26, v20, -v87
	v_dual_fmac_f32 v21, v27, v20 :: v_dual_mul_f32 v20, v24, v37
	v_mul_f32_e32 v89, v24, v35
	v_mul_f32_e32 v26, v29, v35
	;; [unrolled: 1-line block ×4, first 2 shown]
	v_fmac_f32_e32 v20, v25, v36
	v_fmac_f32_e32 v89, v25, v34
	v_dual_mul_f32 v25, v28, v37 :: v_dual_fmac_f32 v86, v31, v46
	v_fma_f32 v84, v24, v34, -v88
	v_fma_f32 v24, v24, v36, -v90
	v_dual_mul_f32 v37, v31, v47 :: v_dual_mul_f32 v90, v33, v57
	v_fma_f32 v26, v28, v34, -v26
	v_fma_f32 v28, v28, v36, -v35
	v_fmac_f32_e32 v25, v29, v36
	v_dual_mul_f32 v35, v50, v47 :: v_dual_mul_f32 v36, v51, v49
	v_dual_fmac_f32 v27, v29, v34 :: v_dual_mul_f32 v34, v51, v47
	v_dual_mul_f32 v88, v32, v55 :: v_dual_mul_f32 v29, v30, v49
	v_mul_f32_e32 v87, v31, v49
	v_fma_f32 v37, v30, v46, -v37
	v_add_f32_e32 v16, v16, v82
	s_delay_alu instid0(VALU_DEP_4)
	v_dual_fmac_f32 v88, v33, v54 :: v_dual_fmac_f32 v29, v31, v48
	v_fma_f32 v31, v50, v46, -v34
	v_fma_f32 v34, v50, v48, -v36
	v_mul_f32_e32 v36, v32, v57
	v_mul_f32_e32 v47, v50, v49
	v_dual_mul_f32 v50, v53, v57 :: v_dual_fmac_f32 v35, v51, v46
	v_mul_f32_e32 v46, v53, v55
	v_mul_f32_e32 v49, v33, v55
	v_fma_f32 v30, v30, v48, -v87
	v_fmac_f32_e32 v36, v33, v56
	v_dual_fmac_f32 v47, v51, v48 :: v_dual_mul_f32 v48, v52, v55
	v_mul_f32_e32 v33, v52, v57
	v_fma_f32 v46, v52, v54, -v46
	v_fma_f32 v50, v52, v56, -v50
	v_mul_f32_e32 v52, v38, v61
	v_fma_f32 v49, v32, v54, -v49
	v_fma_f32 v32, v32, v56, -v90
	v_dual_mul_f32 v51, v39, v59 :: v_dual_fmac_f32 v48, v53, v54
	v_mul_f32_e32 v54, v70, v59
	v_dual_mul_f32 v55, v38, v59 :: v_dual_fmac_f32 v52, v39, v60
	v_fmac_f32_e32 v33, v53, v56
	v_mul_f32_e32 v53, v71, v59
	v_mul_f32_e32 v56, v71, v61
	;; [unrolled: 1-line block ×3, first 2 shown]
	v_fmac_f32_e32 v54, v71, v58
	v_fmac_f32_e32 v55, v39, v58
	v_fma_f32 v39, v70, v58, -v53
	v_fma_f32 v53, v70, v60, -v56
	v_mul_f32_e32 v56, v40, v65
	v_mul_f32_e32 v59, v70, v61
	v_fma_f32 v51, v38, v58, -v51
	v_mul_f32_e32 v58, v72, v63
	v_mul_f32_e32 v87, v40, v63
	;; [unrolled: 1-line block ×4, first 2 shown]
	v_fma_f32 v38, v38, v60, -v57
	v_mul_f32_e32 v57, v73, v63
	v_fmac_f32_e32 v56, v41, v64
	v_dual_fmac_f32 v59, v71, v60 :: v_dual_mul_f32 v60, v73, v65
	v_mul_f32_e32 v63, v43, v67
	v_mul_f32_e32 v70, v43, v69
	v_fmac_f32_e32 v58, v73, v62
	v_fmac_f32_e32 v87, v41, v62
	v_mul_f32_e32 v41, v72, v65
	v_fma_f32 v61, v40, v62, -v61
	v_fma_f32 v40, v40, v64, -v90
	v_mul_f32_e32 v65, v42, v67
	v_fma_f32 v57, v72, v62, -v57
	v_fma_f32 v60, v72, v64, -v60
	v_dual_fmac_f32 v41, v73, v64 :: v_dual_mul_f32 v62, v42, v69
	v_mul_f32_e32 v64, v75, v67
	v_fma_f32 v63, v42, v66, -v63
	v_fma_f32 v42, v42, v68, -v70
	v_mul_f32_e32 v70, v76, v79
	v_mul_f32_e32 v67, v74, v67
	;; [unrolled: 1-line block ×3, first 2 shown]
	v_dual_mul_f32 v69, v74, v69 :: v_dual_add_f32 v12, v12, v22
	v_mul_f32_e32 v73, v44, v79
	v_dual_fmac_f32 v65, v43, v66 :: v_dual_add_f32 v8, v8, v19
	v_fmac_f32_e32 v62, v43, v68
	v_fma_f32 v43, v74, v66, -v64
	v_fmac_f32_e32 v70, v77, v78
	v_dual_fmac_f32 v67, v75, v66 :: v_dual_add_f32 v16, v16, v84
	v_mul_f32_e32 v66, v44, v81
	v_mul_f32_e32 v72, v45, v79
	v_dual_mul_f32 v90, v45, v81 :: v_dual_fmac_f32 v69, v75, v68
	v_add_f32_e32 v0, v0, v18
	v_dual_fmac_f32 v73, v45, v78 :: v_dual_add_f32 v8, v8, v27
	v_dual_fmac_f32 v66, v45, v80 :: v_dual_mul_f32 v45, v76, v81
	v_fma_f32 v64, v74, v68, -v71
	v_dual_mul_f32 v71, v77, v81 :: v_dual_add_f32 v12, v12, v24
	v_dual_add_f32 v17, v17, v83 :: v_dual_add_f32 v0, v0, v28
	s_delay_alu instid0(VALU_DEP_4) | instskip(NEXT) | instid1(VALU_DEP_3)
	v_dual_fmac_f32 v45, v77, v80 :: v_dual_add_f32 v16, v16, v37
	v_dual_add_f32 v11, v11, v85 :: v_dual_add_f32 v12, v12, v30
	s_delay_alu instid0(VALU_DEP_3) | instskip(SKIP_1) | instid1(VALU_DEP_3)
	v_dual_add_f32 v9, v9, v23 :: v_dual_add_f32 v0, v0, v34
	v_dual_add_f32 v1, v1, v21 :: v_dual_add_f32 v8, v8, v35
	;; [unrolled: 1-line block ×3, first 2 shown]
	s_delay_alu instid0(VALU_DEP_4) | instskip(NEXT) | instid1(VALU_DEP_3)
	v_dual_add_f32 v11, v11, v20 :: v_dual_add_f32 v16, v16, v49
	v_dual_add_f32 v9, v9, v26 :: v_dual_add_f32 v8, v8, v48
	s_delay_alu instid0(VALU_DEP_4) | instskip(NEXT) | instid1(VALU_DEP_3)
	v_dual_add_f32 v1, v1, v25 :: v_dual_add_f32 v0, v0, v50
	v_dual_add_f32 v17, v17, v86 :: v_dual_add_f32 v16, v16, v51
	s_delay_alu instid0(VALU_DEP_4) | instskip(NEXT) | instid1(VALU_DEP_4)
	v_dual_add_f32 v11, v11, v29 :: v_dual_add_f32 v12, v12, v38
	v_dual_add_f32 v9, v9, v31 :: v_dual_add_f32 v8, v8, v54
	s_delay_alu instid0(VALU_DEP_4) | instskip(NEXT) | instid1(VALU_DEP_4)
	v_dual_add_f32 v1, v1, v47 :: v_dual_add_f32 v0, v0, v53
	v_dual_add_f32 v17, v17, v88 :: v_dual_add_f32 v16, v16, v61
	s_delay_alu instid0(VALU_DEP_3) | instskip(NEXT) | instid1(VALU_DEP_4)
	v_dual_add_f32 v11, v11, v36 :: v_dual_add_f32 v8, v8, v58
	v_dual_add_f32 v9, v9, v46 :: v_dual_add_f32 v12, v12, v40
	s_delay_alu instid0(VALU_DEP_4) | instskip(SKIP_1) | instid1(VALU_DEP_3)
	v_dual_add_f32 v1, v1, v33 :: v_dual_add_f32 v0, v0, v60
	v_fma_f32 v72, v44, v78, -v72
	v_dual_add_f32 v17, v17, v55 :: v_dual_add_f32 v12, v12, v42
	v_dual_add_f32 v11, v11, v52 :: v_dual_add_f32 v16, v16, v63
	s_delay_alu instid0(VALU_DEP_4) | instskip(SKIP_2) | instid1(VALU_DEP_4)
	v_dual_add_f32 v9, v9, v39 :: v_dual_add_f32 v0, v0, v64
	v_add_f32_e32 v1, v1, v59
	v_mul_f32_e32 v68, v77, v79
	v_add_f32_e32 v16, v16, v72
	v_fma_f32 v44, v44, v80, -v90
	v_fma_f32 v71, v76, v80, -v71
	v_add_f32_e32 v17, v17, v87
	v_dual_add_f32 v11, v11, v56 :: v_dual_add_f32 v8, v8, v67
	v_add_f32_e32 v9, v9, v57
	s_delay_alu instid0(VALU_DEP_4) | instskip(SKIP_1) | instid1(VALU_DEP_4)
	v_dual_add_f32 v1, v1, v41 :: v_dual_add_f32 v0, v0, v71
	v_fma_f32 v68, v76, v78, -v68
	v_dual_add_f32 v11, v11, v62 :: v_dual_add_f32 v12, v12, v44
	v_add_f32_e32 v17, v17, v65
	s_delay_alu instid0(VALU_DEP_4) | instskip(SKIP_1) | instid1(VALU_DEP_4)
	v_dual_add_f32 v1, v1, v69 :: v_dual_add_f32 v8, v8, v70
	v_add_f32_e32 v9, v9, v43
	v_add_f32_e32 v11, v11, v66
	s_delay_alu instid0(VALU_DEP_4) | instskip(NEXT) | instid1(VALU_DEP_4)
	v_add_f32_e32 v17, v17, v73
	v_add_f32_e32 v1, v1, v45
	s_delay_alu instid0(VALU_DEP_4)
	v_add_f32_e32 v9, v9, v68
	s_cbranch_scc0 .LBB177_2
.LBB177_3:
	s_clause 0x1
	s_load_b32 s3, s[0:1], 0x40
	s_load_b64 s[0:1], s[0:1], 0x48
	v_add_nc_u32_e32 v7, s13, v7
	v_add_nc_u32_e32 v2, s12, v6
	s_delay_alu instid0(VALU_DEP_2)
	v_cmp_gt_i32_e32 vcc_lo, s2, v7
	s_waitcnt lgkmcnt(0)
	v_mad_i64_i32 v[3:4], null, v7, s3, 0
	s_mul_i32 s1, s15, s1
	s_mul_hi_u32 s4, s15, s0
	s_mul_i32 s0, s15, s0
	s_add_i32 s1, s4, s1
	s_delay_alu instid0(SALU_CYCLE_1) | instskip(NEXT) | instid1(VALU_DEP_1)
	s_lshl_b64 s[4:5], s[0:1], 3
	v_lshlrev_b64 v[3:4], 3, v[3:4]
	s_add_u32 s4, s6, s4
	v_cmp_le_i32_e64 s0, v2, v7
	s_addc_u32 s5, s7, s5
	s_delay_alu instid0(VALU_DEP_2) | instskip(NEXT) | instid1(VALU_DEP_1)
	v_add_co_u32 v6, s1, s4, v3
	v_add_co_ci_u32_e64 v10, s1, s5, v4, s1
	s_delay_alu instid0(VALU_DEP_3) | instskip(NEXT) | instid1(SALU_CYCLE_1)
	s_and_b32 s0, vcc_lo, s0
	s_and_saveexec_b32 s1, s0
	s_cbranch_execz .LBB177_5
; %bb.4:
	v_ashrrev_i32_e32 v3, 31, v2
	v_xor_b32_e32 v13, 0x80000000, v16
	v_xor_b32_e32 v14, 0x80000000, v17
	s_delay_alu instid0(VALU_DEP_3) | instskip(NEXT) | instid1(VALU_DEP_1)
	v_lshlrev_b64 v[3:4], 3, v[2:3]
	v_add_co_u32 v3, s0, v6, v3
	s_delay_alu instid0(VALU_DEP_1)
	v_add_co_ci_u32_e64 v4, s0, v10, v4, s0
	global_store_b64 v[3:4], v[13:14], off
.LBB177_5:
	s_or_b32 exec_lo, exec_lo, s1
	v_add_nc_u32_e32 v4, 16, v2
	s_delay_alu instid0(VALU_DEP_1) | instskip(NEXT) | instid1(VALU_DEP_1)
	v_cmp_le_i32_e64 s0, v4, v7
	s_and_b32 s1, vcc_lo, s0
	s_delay_alu instid0(SALU_CYCLE_1)
	s_and_saveexec_b32 s0, s1
	s_cbranch_execz .LBB177_7
; %bb.6:
	v_ashrrev_i32_e32 v5, 31, v4
	v_xor_b32_e32 v15, 0x80000000, v12
	v_xor_b32_e32 v16, 0x80000000, v11
	s_delay_alu instid0(VALU_DEP_3) | instskip(NEXT) | instid1(VALU_DEP_1)
	v_lshlrev_b64 v[13:14], 3, v[4:5]
	v_add_co_u32 v5, vcc_lo, v6, v13
	s_delay_alu instid0(VALU_DEP_2)
	v_add_co_ci_u32_e32 v6, vcc_lo, v10, v14, vcc_lo
	global_store_b64 v[5:6], v[15:16], off
.LBB177_7:
	s_or_b32 exec_lo, exec_lo, s0
	v_add_nc_u32_e32 v5, 16, v7
	s_delay_alu instid0(VALU_DEP_1) | instskip(SKIP_2) | instid1(VALU_DEP_1)
	v_mad_i64_i32 v[6:7], null, v5, s3, 0
	v_cmp_gt_i32_e32 vcc_lo, s2, v5
	v_cmp_le_i32_e64 s0, v2, v5
	s_and_b32 s0, vcc_lo, s0
	s_delay_alu instid0(VALU_DEP_3) | instskip(NEXT) | instid1(VALU_DEP_1)
	v_lshlrev_b64 v[6:7], 3, v[6:7]
	v_add_co_u32 v6, s1, s4, v6
	s_delay_alu instid0(VALU_DEP_1)
	v_add_co_ci_u32_e64 v7, s1, s5, v7, s1
	s_and_saveexec_b32 s1, s0
	s_cbranch_execz .LBB177_9
; %bb.8:
	v_ashrrev_i32_e32 v3, 31, v2
	v_xor_b32_e32 v9, 0x80000000, v9
	v_xor_b32_e32 v10, 0x80000000, v8
	s_delay_alu instid0(VALU_DEP_3) | instskip(NEXT) | instid1(VALU_DEP_1)
	v_lshlrev_b64 v[2:3], 3, v[2:3]
	v_add_co_u32 v2, s0, v6, v2
	s_delay_alu instid0(VALU_DEP_1)
	v_add_co_ci_u32_e64 v3, s0, v7, v3, s0
	global_store_b64 v[2:3], v[9:10], off
.LBB177_9:
	s_or_b32 exec_lo, exec_lo, s1
	v_cmp_le_i32_e64 s0, v4, v5
	s_delay_alu instid0(VALU_DEP_1) | instskip(NEXT) | instid1(SALU_CYCLE_1)
	s_and_b32 s0, vcc_lo, s0
	s_and_saveexec_b32 s1, s0
	s_cbranch_execz .LBB177_11
; %bb.10:
	v_ashrrev_i32_e32 v5, 31, v4
	v_xor_b32_e32 v0, 0x80000000, v0
	v_xor_b32_e32 v1, 0x80000000, v1
	s_delay_alu instid0(VALU_DEP_3) | instskip(NEXT) | instid1(VALU_DEP_1)
	v_lshlrev_b64 v[2:3], 3, v[4:5]
	v_add_co_u32 v2, vcc_lo, v6, v2
	s_delay_alu instid0(VALU_DEP_2)
	v_add_co_ci_u32_e32 v3, vcc_lo, v7, v3, vcc_lo
	global_store_b64 v[2:3], v[0:1], off
.LBB177_11:
	s_nop 0
	s_sendmsg sendmsg(MSG_DEALLOC_VGPRS)
	s_endpgm
	.section	.rodata,"a",@progbits
	.p2align	6, 0x0
	.amdhsa_kernel _ZL37rocblas_syrkx_herkx_restricted_kernelIi19rocblas_complex_numIfELi16ELi32ELi8ELin1ELi0ELb0ELc84ELc85EKS1_S1_EviT_PT9_S3_lS5_S3_lPT10_S3_li
		.amdhsa_group_segment_fixed_size 4096
		.amdhsa_private_segment_fixed_size 0
		.amdhsa_kernarg_size 84
		.amdhsa_user_sgpr_count 13
		.amdhsa_user_sgpr_dispatch_ptr 0
		.amdhsa_user_sgpr_queue_ptr 0
		.amdhsa_user_sgpr_kernarg_segment_ptr 1
		.amdhsa_user_sgpr_dispatch_id 0
		.amdhsa_user_sgpr_private_segment_size 0
		.amdhsa_wavefront_size32 1
		.amdhsa_uses_dynamic_stack 0
		.amdhsa_enable_private_segment 0
		.amdhsa_system_sgpr_workgroup_id_x 1
		.amdhsa_system_sgpr_workgroup_id_y 1
		.amdhsa_system_sgpr_workgroup_id_z 1
		.amdhsa_system_sgpr_workgroup_info 0
		.amdhsa_system_vgpr_workitem_id 1
		.amdhsa_next_free_vgpr 91
		.amdhsa_next_free_sgpr 20
		.amdhsa_reserve_vcc 1
		.amdhsa_float_round_mode_32 0
		.amdhsa_float_round_mode_16_64 0
		.amdhsa_float_denorm_mode_32 3
		.amdhsa_float_denorm_mode_16_64 3
		.amdhsa_dx10_clamp 1
		.amdhsa_ieee_mode 1
		.amdhsa_fp16_overflow 0
		.amdhsa_workgroup_processor_mode 1
		.amdhsa_memory_ordered 1
		.amdhsa_forward_progress 0
		.amdhsa_shared_vgpr_count 0
		.amdhsa_exception_fp_ieee_invalid_op 0
		.amdhsa_exception_fp_denorm_src 0
		.amdhsa_exception_fp_ieee_div_zero 0
		.amdhsa_exception_fp_ieee_overflow 0
		.amdhsa_exception_fp_ieee_underflow 0
		.amdhsa_exception_fp_ieee_inexact 0
		.amdhsa_exception_int_div_zero 0
	.end_amdhsa_kernel
	.section	.text._ZL37rocblas_syrkx_herkx_restricted_kernelIi19rocblas_complex_numIfELi16ELi32ELi8ELin1ELi0ELb0ELc84ELc85EKS1_S1_EviT_PT9_S3_lS5_S3_lPT10_S3_li,"axG",@progbits,_ZL37rocblas_syrkx_herkx_restricted_kernelIi19rocblas_complex_numIfELi16ELi32ELi8ELin1ELi0ELb0ELc84ELc85EKS1_S1_EviT_PT9_S3_lS5_S3_lPT10_S3_li,comdat
.Lfunc_end177:
	.size	_ZL37rocblas_syrkx_herkx_restricted_kernelIi19rocblas_complex_numIfELi16ELi32ELi8ELin1ELi0ELb0ELc84ELc85EKS1_S1_EviT_PT9_S3_lS5_S3_lPT10_S3_li, .Lfunc_end177-_ZL37rocblas_syrkx_herkx_restricted_kernelIi19rocblas_complex_numIfELi16ELi32ELi8ELin1ELi0ELb0ELc84ELc85EKS1_S1_EviT_PT9_S3_lS5_S3_lPT10_S3_li
                                        ; -- End function
	.section	.AMDGPU.csdata,"",@progbits
; Kernel info:
; codeLenInByte = 2100
; NumSgprs: 22
; NumVgprs: 91
; ScratchSize: 0
; MemoryBound: 0
; FloatMode: 240
; IeeeMode: 1
; LDSByteSize: 4096 bytes/workgroup (compile time only)
; SGPRBlocks: 2
; VGPRBlocks: 11
; NumSGPRsForWavesPerEU: 22
; NumVGPRsForWavesPerEU: 91
; Occupancy: 16
; WaveLimiterHint : 0
; COMPUTE_PGM_RSRC2:SCRATCH_EN: 0
; COMPUTE_PGM_RSRC2:USER_SGPR: 13
; COMPUTE_PGM_RSRC2:TRAP_HANDLER: 0
; COMPUTE_PGM_RSRC2:TGID_X_EN: 1
; COMPUTE_PGM_RSRC2:TGID_Y_EN: 1
; COMPUTE_PGM_RSRC2:TGID_Z_EN: 1
; COMPUTE_PGM_RSRC2:TIDIG_COMP_CNT: 1
	.section	.text._ZL37rocblas_syrkx_herkx_restricted_kernelIi19rocblas_complex_numIfELi16ELi32ELi8ELin1ELi0ELb0ELc67ELc85EKS1_S1_EviT_PT9_S3_lS5_S3_lPT10_S3_li,"axG",@progbits,_ZL37rocblas_syrkx_herkx_restricted_kernelIi19rocblas_complex_numIfELi16ELi32ELi8ELin1ELi0ELb0ELc67ELc85EKS1_S1_EviT_PT9_S3_lS5_S3_lPT10_S3_li,comdat
	.globl	_ZL37rocblas_syrkx_herkx_restricted_kernelIi19rocblas_complex_numIfELi16ELi32ELi8ELin1ELi0ELb0ELc67ELc85EKS1_S1_EviT_PT9_S3_lS5_S3_lPT10_S3_li ; -- Begin function _ZL37rocblas_syrkx_herkx_restricted_kernelIi19rocblas_complex_numIfELi16ELi32ELi8ELin1ELi0ELb0ELc67ELc85EKS1_S1_EviT_PT9_S3_lS5_S3_lPT10_S3_li
	.p2align	8
	.type	_ZL37rocblas_syrkx_herkx_restricted_kernelIi19rocblas_complex_numIfELi16ELi32ELi8ELin1ELi0ELb0ELc67ELc85EKS1_S1_EviT_PT9_S3_lS5_S3_lPT10_S3_li,@function
_ZL37rocblas_syrkx_herkx_restricted_kernelIi19rocblas_complex_numIfELi16ELi32ELi8ELin1ELi0ELb0ELc67ELc85EKS1_S1_EviT_PT9_S3_lS5_S3_lPT10_S3_li: ; @_ZL37rocblas_syrkx_herkx_restricted_kernelIi19rocblas_complex_numIfELi16ELi32ELi8ELin1ELi0ELb0ELc67ELc85EKS1_S1_EviT_PT9_S3_lS5_S3_lPT10_S3_li
; %bb.0:
	s_clause 0x1
	s_load_b64 s[2:3], s[0:1], 0x0
	s_load_b128 s[4:7], s[0:1], 0x30
	v_dual_mov_b32 v17, 0 :: v_dual_and_b32 v6, 0x3ff, v0
	v_bfe_u32 v7, v0, 10, 10
	v_dual_mov_b32 v16, 0 :: v_dual_mov_b32 v11, 0
	v_dual_mov_b32 v12, 0 :: v_dual_mov_b32 v9, 0
	;; [unrolled: 1-line block ×3, first 2 shown]
	v_mov_b32_e32 v0, 0
	s_lshl_b32 s12, s13, 5
	s_lshl_b32 s13, s14, 5
	s_mov_b32 s14, 0
	s_waitcnt lgkmcnt(0)
	s_cmp_lt_i32 s3, 1
	s_cbranch_scc1 .LBB178_3
; %bb.1:
	s_clause 0x3
	s_load_b32 s18, s[0:1], 0x10
	s_load_b128 s[8:11], s[0:1], 0x18
	s_load_b64 s[16:17], s[0:1], 0x8
	s_load_b32 s19, s[0:1], 0x28
	v_lshl_add_u32 v2, v7, 4, v6
	v_dual_mov_b32 v1, 0 :: v_dual_and_b32 v0, 7, v6
	v_lshlrev_b32_e32 v10, 3, v6
	s_mul_i32 s5, s5, s15
	s_delay_alu instid0(VALU_DEP_3)
	v_lshrrev_b32_e32 v4, 3, v2
	v_and_b32_e32 v5, 31, v2
	v_lshlrev_b32_e32 v3, 3, v0
	v_lshrrev_b32_e32 v2, 5, v2
	v_lshl_add_u32 v15, v7, 6, 0x800
	v_add_nc_u32_e32 v12, s13, v4
	v_add_nc_u32_e32 v11, s12, v5
	v_lshl_or_b32 v9, v4, 6, v3
	v_dual_mov_b32 v3, v1 :: v_dual_lshlrev_b32 v8, 3, v5
	v_mov_b32_e32 v17, v1
	v_mov_b32_e32 v16, v1
	s_delay_alu instid0(VALU_DEP_4)
	v_add_nc_u32_e32 v14, 0x800, v9
	s_waitcnt lgkmcnt(0)
	v_mad_i64_i32 v[4:5], null, s18, v11, v[2:3]
	s_mul_i32 s9, s9, s15
	s_mul_hi_u32 s18, s8, s15
	v_mov_b32_e32 v9, v1
	v_lshl_or_b32 v13, v2, 8, v8
	v_mov_b32_e32 v11, v1
	v_mad_i64_i32 v[2:3], null, s19, v12, v[0:1]
	s_mul_i32 s8, s8, s15
	s_add_i32 s9, s18, s9
	v_lshlrev_b64 v[4:5], 3, v[4:5]
	s_lshl_b64 s[8:9], s[8:9], 3
	v_mov_b32_e32 v12, v1
	s_add_u32 s8, s16, s8
	s_mul_hi_u32 s16, s4, s15
	s_addc_u32 s9, s17, s9
	s_add_i32 s5, s16, s5
	s_mul_i32 s4, s4, s15
	v_lshlrev_b64 v[2:3], 3, v[2:3]
	s_lshl_b64 s[4:5], s[4:5], 3
	v_add_co_u32 v0, vcc_lo, s8, v4
	s_add_u32 s4, s10, s4
	v_add_co_ci_u32_e32 v4, vcc_lo, s9, v5, vcc_lo
	s_addc_u32 s5, s11, s5
	v_add_co_u32 v5, vcc_lo, s4, v2
	v_add_co_ci_u32_e32 v8, vcc_lo, s5, v3, vcc_lo
	v_add_co_u32 v2, vcc_lo, v0, 4
	v_add_co_ci_u32_e32 v3, vcc_lo, 0, v4, vcc_lo
	s_delay_alu instid0(VALU_DEP_4) | instskip(NEXT) | instid1(VALU_DEP_4)
	v_add_co_u32 v4, vcc_lo, v5, 4
	v_add_co_ci_u32_e32 v5, vcc_lo, 0, v8, vcc_lo
	v_mov_b32_e32 v0, v1
	v_mov_b32_e32 v8, v1
.LBB178_2:                              ; =>This Inner Loop Header: Depth=1
	global_load_b64 v[18:19], v[2:3], off offset:-4
	global_load_b64 v[20:21], v[4:5], off offset:-4
	v_add_co_u32 v2, vcc_lo, v2, 64
	v_add_co_ci_u32_e32 v3, vcc_lo, 0, v3, vcc_lo
	v_add_co_u32 v4, vcc_lo, v4, 64
	v_add_co_ci_u32_e32 v5, vcc_lo, 0, v5, vcc_lo
	s_add_i32 s14, s14, 8
	s_waitcnt vmcnt(1)
	ds_store_b64 v13, v[18:19]
	s_waitcnt vmcnt(0)
	ds_store_b64 v14, v[20:21]
	s_waitcnt lgkmcnt(0)
	s_barrier
	buffer_gl0_inv
	ds_load_2addr_b64 v[18:21], v10 offset1:16
	ds_load_b128 v[22:25], v15
	ds_load_b128 v[26:29], v15 offset:1024
	ds_load_b128 v[30:33], v15 offset:16
	ds_load_2addr_b64 v[34:37], v10 offset0:32 offset1:48
	ds_load_b128 v[38:41], v15 offset:32
	ds_load_b128 v[42:45], v15 offset:48
	ds_load_2addr_b64 v[46:49], v10 offset0:64 offset1:80
	ds_load_b128 v[50:53], v15 offset:1040
	ds_load_2addr_b64 v[54:57], v10 offset0:96 offset1:112
	ds_load_2addr_b64 v[58:61], v10 offset0:128 offset1:144
	;; [unrolled: 1-line block ×4, first 2 shown]
	ds_load_b128 v[70:73], v15 offset:1056
	ds_load_b128 v[74:77], v15 offset:1072
	ds_load_2addr_b64 v[78:81], v10 offset0:224 offset1:240
	s_cmp_ge_i32 s14, s3
	s_waitcnt lgkmcnt(0)
	s_barrier
	buffer_gl0_inv
	v_dual_mul_f32 v82, v23, v19 :: v_dual_mul_f32 v85, v22, v21
	v_dual_mul_f32 v83, v22, v19 :: v_dual_mul_f32 v84, v23, v21
	v_mul_f32_e32 v86, v27, v19
	v_dual_mul_f32 v19, v26, v19 :: v_dual_mul_f32 v90, v25, v37
	v_dual_mul_f32 v87, v27, v21 :: v_dual_mul_f32 v88, v25, v35
	v_mul_f32_e32 v21, v26, v21
	v_fma_f32 v82, v22, v18, -v82
	v_fmac_f32_e32 v83, v23, v18
	v_fma_f32 v22, v22, v20, -v84
	v_fmac_f32_e32 v85, v23, v20
	v_fma_f32 v23, v26, v18, -v86
	v_dual_fmac_f32 v19, v27, v18 :: v_dual_mul_f32 v86, v30, v47
	v_fma_f32 v18, v26, v20, -v87
	v_dual_fmac_f32 v21, v27, v20 :: v_dual_mul_f32 v20, v24, v37
	v_mul_f32_e32 v89, v24, v35
	v_mul_f32_e32 v26, v29, v35
	;; [unrolled: 1-line block ×4, first 2 shown]
	v_fmac_f32_e32 v20, v25, v36
	v_fmac_f32_e32 v89, v25, v34
	v_dual_mul_f32 v25, v28, v37 :: v_dual_fmac_f32 v86, v31, v46
	v_fma_f32 v84, v24, v34, -v88
	v_fma_f32 v24, v24, v36, -v90
	v_dual_mul_f32 v37, v31, v47 :: v_dual_mul_f32 v90, v33, v57
	v_fma_f32 v26, v28, v34, -v26
	v_fma_f32 v28, v28, v36, -v35
	v_fmac_f32_e32 v25, v29, v36
	v_dual_mul_f32 v35, v50, v47 :: v_dual_mul_f32 v36, v51, v49
	v_dual_fmac_f32 v27, v29, v34 :: v_dual_mul_f32 v34, v51, v47
	v_dual_mul_f32 v88, v32, v55 :: v_dual_mul_f32 v29, v30, v49
	v_mul_f32_e32 v87, v31, v49
	v_fma_f32 v37, v30, v46, -v37
	v_add_f32_e32 v16, v16, v82
	s_delay_alu instid0(VALU_DEP_4)
	v_dual_fmac_f32 v88, v33, v54 :: v_dual_fmac_f32 v29, v31, v48
	v_fma_f32 v31, v50, v46, -v34
	v_fma_f32 v34, v50, v48, -v36
	v_mul_f32_e32 v36, v32, v57
	v_mul_f32_e32 v47, v50, v49
	v_dual_mul_f32 v50, v53, v57 :: v_dual_fmac_f32 v35, v51, v46
	v_mul_f32_e32 v46, v53, v55
	v_mul_f32_e32 v49, v33, v55
	v_fma_f32 v30, v30, v48, -v87
	v_fmac_f32_e32 v36, v33, v56
	v_dual_fmac_f32 v47, v51, v48 :: v_dual_mul_f32 v48, v52, v55
	v_mul_f32_e32 v33, v52, v57
	v_fma_f32 v46, v52, v54, -v46
	v_fma_f32 v50, v52, v56, -v50
	v_mul_f32_e32 v52, v38, v61
	v_fma_f32 v49, v32, v54, -v49
	v_fma_f32 v32, v32, v56, -v90
	v_dual_mul_f32 v51, v39, v59 :: v_dual_fmac_f32 v48, v53, v54
	v_mul_f32_e32 v54, v70, v59
	v_dual_mul_f32 v55, v38, v59 :: v_dual_fmac_f32 v52, v39, v60
	v_fmac_f32_e32 v33, v53, v56
	v_mul_f32_e32 v53, v71, v59
	v_mul_f32_e32 v56, v71, v61
	;; [unrolled: 1-line block ×3, first 2 shown]
	v_fmac_f32_e32 v54, v71, v58
	v_fmac_f32_e32 v55, v39, v58
	v_fma_f32 v39, v70, v58, -v53
	v_fma_f32 v53, v70, v60, -v56
	v_mul_f32_e32 v56, v40, v65
	v_mul_f32_e32 v59, v70, v61
	v_fma_f32 v51, v38, v58, -v51
	v_mul_f32_e32 v58, v72, v63
	v_mul_f32_e32 v87, v40, v63
	;; [unrolled: 1-line block ×4, first 2 shown]
	v_fma_f32 v38, v38, v60, -v57
	v_mul_f32_e32 v57, v73, v63
	v_fmac_f32_e32 v56, v41, v64
	v_dual_fmac_f32 v59, v71, v60 :: v_dual_mul_f32 v60, v73, v65
	v_mul_f32_e32 v63, v43, v67
	v_mul_f32_e32 v70, v43, v69
	v_fmac_f32_e32 v58, v73, v62
	v_fmac_f32_e32 v87, v41, v62
	v_mul_f32_e32 v41, v72, v65
	v_fma_f32 v61, v40, v62, -v61
	v_fma_f32 v40, v40, v64, -v90
	v_mul_f32_e32 v65, v42, v67
	v_fma_f32 v57, v72, v62, -v57
	v_fma_f32 v60, v72, v64, -v60
	v_dual_fmac_f32 v41, v73, v64 :: v_dual_mul_f32 v62, v42, v69
	v_mul_f32_e32 v64, v75, v67
	v_fma_f32 v63, v42, v66, -v63
	v_fma_f32 v42, v42, v68, -v70
	v_mul_f32_e32 v70, v76, v79
	v_mul_f32_e32 v67, v74, v67
	;; [unrolled: 1-line block ×3, first 2 shown]
	v_dual_mul_f32 v69, v74, v69 :: v_dual_add_f32 v12, v12, v22
	v_mul_f32_e32 v73, v44, v79
	v_dual_fmac_f32 v65, v43, v66 :: v_dual_add_f32 v8, v8, v19
	v_fmac_f32_e32 v62, v43, v68
	v_fma_f32 v43, v74, v66, -v64
	v_fmac_f32_e32 v70, v77, v78
	v_dual_fmac_f32 v67, v75, v66 :: v_dual_add_f32 v16, v16, v84
	v_mul_f32_e32 v66, v44, v81
	v_mul_f32_e32 v72, v45, v79
	v_dual_mul_f32 v90, v45, v81 :: v_dual_fmac_f32 v69, v75, v68
	v_add_f32_e32 v0, v0, v18
	v_dual_fmac_f32 v73, v45, v78 :: v_dual_add_f32 v8, v8, v27
	v_dual_fmac_f32 v66, v45, v80 :: v_dual_mul_f32 v45, v76, v81
	v_fma_f32 v64, v74, v68, -v71
	v_dual_mul_f32 v71, v77, v81 :: v_dual_add_f32 v12, v12, v24
	v_dual_add_f32 v17, v17, v83 :: v_dual_add_f32 v0, v0, v28
	s_delay_alu instid0(VALU_DEP_4) | instskip(NEXT) | instid1(VALU_DEP_3)
	v_dual_fmac_f32 v45, v77, v80 :: v_dual_add_f32 v16, v16, v37
	v_dual_add_f32 v11, v11, v85 :: v_dual_add_f32 v12, v12, v30
	s_delay_alu instid0(VALU_DEP_3) | instskip(SKIP_1) | instid1(VALU_DEP_3)
	v_dual_add_f32 v9, v9, v23 :: v_dual_add_f32 v0, v0, v34
	v_dual_add_f32 v1, v1, v21 :: v_dual_add_f32 v8, v8, v35
	;; [unrolled: 1-line block ×3, first 2 shown]
	s_delay_alu instid0(VALU_DEP_4) | instskip(NEXT) | instid1(VALU_DEP_3)
	v_dual_add_f32 v11, v11, v20 :: v_dual_add_f32 v16, v16, v49
	v_dual_add_f32 v9, v9, v26 :: v_dual_add_f32 v8, v8, v48
	s_delay_alu instid0(VALU_DEP_4) | instskip(NEXT) | instid1(VALU_DEP_3)
	v_dual_add_f32 v1, v1, v25 :: v_dual_add_f32 v0, v0, v50
	v_dual_add_f32 v17, v17, v86 :: v_dual_add_f32 v16, v16, v51
	s_delay_alu instid0(VALU_DEP_4) | instskip(NEXT) | instid1(VALU_DEP_4)
	v_dual_add_f32 v11, v11, v29 :: v_dual_add_f32 v12, v12, v38
	v_dual_add_f32 v9, v9, v31 :: v_dual_add_f32 v8, v8, v54
	s_delay_alu instid0(VALU_DEP_4) | instskip(NEXT) | instid1(VALU_DEP_4)
	v_dual_add_f32 v1, v1, v47 :: v_dual_add_f32 v0, v0, v53
	v_dual_add_f32 v17, v17, v88 :: v_dual_add_f32 v16, v16, v61
	s_delay_alu instid0(VALU_DEP_3) | instskip(NEXT) | instid1(VALU_DEP_4)
	v_dual_add_f32 v11, v11, v36 :: v_dual_add_f32 v8, v8, v58
	v_dual_add_f32 v9, v9, v46 :: v_dual_add_f32 v12, v12, v40
	s_delay_alu instid0(VALU_DEP_4) | instskip(SKIP_1) | instid1(VALU_DEP_3)
	v_dual_add_f32 v1, v1, v33 :: v_dual_add_f32 v0, v0, v60
	v_fma_f32 v72, v44, v78, -v72
	v_dual_add_f32 v17, v17, v55 :: v_dual_add_f32 v12, v12, v42
	v_dual_add_f32 v11, v11, v52 :: v_dual_add_f32 v16, v16, v63
	s_delay_alu instid0(VALU_DEP_4) | instskip(SKIP_2) | instid1(VALU_DEP_4)
	v_dual_add_f32 v9, v9, v39 :: v_dual_add_f32 v0, v0, v64
	v_add_f32_e32 v1, v1, v59
	v_mul_f32_e32 v68, v77, v79
	v_add_f32_e32 v16, v16, v72
	v_fma_f32 v44, v44, v80, -v90
	v_fma_f32 v71, v76, v80, -v71
	v_add_f32_e32 v17, v17, v87
	v_dual_add_f32 v11, v11, v56 :: v_dual_add_f32 v8, v8, v67
	v_add_f32_e32 v9, v9, v57
	s_delay_alu instid0(VALU_DEP_4) | instskip(SKIP_1) | instid1(VALU_DEP_4)
	v_dual_add_f32 v1, v1, v41 :: v_dual_add_f32 v0, v0, v71
	v_fma_f32 v68, v76, v78, -v68
	v_dual_add_f32 v11, v11, v62 :: v_dual_add_f32 v12, v12, v44
	v_add_f32_e32 v17, v17, v65
	s_delay_alu instid0(VALU_DEP_4) | instskip(SKIP_1) | instid1(VALU_DEP_4)
	v_dual_add_f32 v1, v1, v69 :: v_dual_add_f32 v8, v8, v70
	v_add_f32_e32 v9, v9, v43
	v_add_f32_e32 v11, v11, v66
	s_delay_alu instid0(VALU_DEP_4) | instskip(NEXT) | instid1(VALU_DEP_4)
	v_add_f32_e32 v17, v17, v73
	v_add_f32_e32 v1, v1, v45
	s_delay_alu instid0(VALU_DEP_4)
	v_add_f32_e32 v9, v9, v68
	s_cbranch_scc0 .LBB178_2
.LBB178_3:
	s_clause 0x1
	s_load_b32 s3, s[0:1], 0x40
	s_load_b64 s[0:1], s[0:1], 0x48
	v_add_nc_u32_e32 v7, s13, v7
	v_add_nc_u32_e32 v2, s12, v6
	s_delay_alu instid0(VALU_DEP_2)
	v_cmp_gt_i32_e32 vcc_lo, s2, v7
	s_waitcnt lgkmcnt(0)
	v_mad_i64_i32 v[3:4], null, v7, s3, 0
	s_mul_i32 s1, s15, s1
	s_mul_hi_u32 s4, s15, s0
	s_mul_i32 s0, s15, s0
	s_add_i32 s1, s4, s1
	s_delay_alu instid0(SALU_CYCLE_1) | instskip(NEXT) | instid1(VALU_DEP_1)
	s_lshl_b64 s[4:5], s[0:1], 3
	v_lshlrev_b64 v[3:4], 3, v[3:4]
	s_add_u32 s4, s6, s4
	v_cmp_le_i32_e64 s0, v2, v7
	s_addc_u32 s5, s7, s5
	s_delay_alu instid0(VALU_DEP_2) | instskip(NEXT) | instid1(VALU_DEP_1)
	v_add_co_u32 v6, s1, s4, v3
	v_add_co_ci_u32_e64 v10, s1, s5, v4, s1
	s_delay_alu instid0(VALU_DEP_3) | instskip(NEXT) | instid1(SALU_CYCLE_1)
	s_and_b32 s0, vcc_lo, s0
	s_and_saveexec_b32 s1, s0
	s_cbranch_execz .LBB178_5
; %bb.4:
	v_ashrrev_i32_e32 v3, 31, v2
	v_xor_b32_e32 v13, 0x80000000, v16
	v_xor_b32_e32 v14, 0x80000000, v17
	s_delay_alu instid0(VALU_DEP_3) | instskip(NEXT) | instid1(VALU_DEP_1)
	v_lshlrev_b64 v[3:4], 3, v[2:3]
	v_add_co_u32 v3, s0, v6, v3
	s_delay_alu instid0(VALU_DEP_1)
	v_add_co_ci_u32_e64 v4, s0, v10, v4, s0
	global_store_b64 v[3:4], v[13:14], off
.LBB178_5:
	s_or_b32 exec_lo, exec_lo, s1
	v_add_nc_u32_e32 v4, 16, v2
	s_delay_alu instid0(VALU_DEP_1) | instskip(NEXT) | instid1(VALU_DEP_1)
	v_cmp_le_i32_e64 s0, v4, v7
	s_and_b32 s1, vcc_lo, s0
	s_delay_alu instid0(SALU_CYCLE_1)
	s_and_saveexec_b32 s0, s1
	s_cbranch_execz .LBB178_7
; %bb.6:
	v_ashrrev_i32_e32 v5, 31, v4
	v_xor_b32_e32 v15, 0x80000000, v12
	v_xor_b32_e32 v16, 0x80000000, v11
	s_delay_alu instid0(VALU_DEP_3) | instskip(NEXT) | instid1(VALU_DEP_1)
	v_lshlrev_b64 v[13:14], 3, v[4:5]
	v_add_co_u32 v5, vcc_lo, v6, v13
	s_delay_alu instid0(VALU_DEP_2)
	v_add_co_ci_u32_e32 v6, vcc_lo, v10, v14, vcc_lo
	global_store_b64 v[5:6], v[15:16], off
.LBB178_7:
	s_or_b32 exec_lo, exec_lo, s0
	v_add_nc_u32_e32 v5, 16, v7
	s_delay_alu instid0(VALU_DEP_1) | instskip(SKIP_2) | instid1(VALU_DEP_1)
	v_mad_i64_i32 v[6:7], null, v5, s3, 0
	v_cmp_gt_i32_e32 vcc_lo, s2, v5
	v_cmp_le_i32_e64 s0, v2, v5
	s_and_b32 s0, vcc_lo, s0
	s_delay_alu instid0(VALU_DEP_3) | instskip(NEXT) | instid1(VALU_DEP_1)
	v_lshlrev_b64 v[6:7], 3, v[6:7]
	v_add_co_u32 v6, s1, s4, v6
	s_delay_alu instid0(VALU_DEP_1)
	v_add_co_ci_u32_e64 v7, s1, s5, v7, s1
	s_and_saveexec_b32 s1, s0
	s_cbranch_execz .LBB178_9
; %bb.8:
	v_ashrrev_i32_e32 v3, 31, v2
	v_xor_b32_e32 v9, 0x80000000, v9
	v_xor_b32_e32 v10, 0x80000000, v8
	s_delay_alu instid0(VALU_DEP_3) | instskip(NEXT) | instid1(VALU_DEP_1)
	v_lshlrev_b64 v[2:3], 3, v[2:3]
	v_add_co_u32 v2, s0, v6, v2
	s_delay_alu instid0(VALU_DEP_1)
	v_add_co_ci_u32_e64 v3, s0, v7, v3, s0
	global_store_b64 v[2:3], v[9:10], off
.LBB178_9:
	s_or_b32 exec_lo, exec_lo, s1
	v_cmp_le_i32_e64 s0, v4, v5
	s_delay_alu instid0(VALU_DEP_1) | instskip(NEXT) | instid1(SALU_CYCLE_1)
	s_and_b32 s0, vcc_lo, s0
	s_and_saveexec_b32 s1, s0
	s_cbranch_execz .LBB178_11
; %bb.10:
	v_ashrrev_i32_e32 v5, 31, v4
	v_xor_b32_e32 v0, 0x80000000, v0
	v_xor_b32_e32 v1, 0x80000000, v1
	s_delay_alu instid0(VALU_DEP_3) | instskip(NEXT) | instid1(VALU_DEP_1)
	v_lshlrev_b64 v[2:3], 3, v[4:5]
	v_add_co_u32 v2, vcc_lo, v6, v2
	s_delay_alu instid0(VALU_DEP_2)
	v_add_co_ci_u32_e32 v3, vcc_lo, v7, v3, vcc_lo
	global_store_b64 v[2:3], v[0:1], off
.LBB178_11:
	s_nop 0
	s_sendmsg sendmsg(MSG_DEALLOC_VGPRS)
	s_endpgm
	.section	.rodata,"a",@progbits
	.p2align	6, 0x0
	.amdhsa_kernel _ZL37rocblas_syrkx_herkx_restricted_kernelIi19rocblas_complex_numIfELi16ELi32ELi8ELin1ELi0ELb0ELc67ELc85EKS1_S1_EviT_PT9_S3_lS5_S3_lPT10_S3_li
		.amdhsa_group_segment_fixed_size 4096
		.amdhsa_private_segment_fixed_size 0
		.amdhsa_kernarg_size 84
		.amdhsa_user_sgpr_count 13
		.amdhsa_user_sgpr_dispatch_ptr 0
		.amdhsa_user_sgpr_queue_ptr 0
		.amdhsa_user_sgpr_kernarg_segment_ptr 1
		.amdhsa_user_sgpr_dispatch_id 0
		.amdhsa_user_sgpr_private_segment_size 0
		.amdhsa_wavefront_size32 1
		.amdhsa_uses_dynamic_stack 0
		.amdhsa_enable_private_segment 0
		.amdhsa_system_sgpr_workgroup_id_x 1
		.amdhsa_system_sgpr_workgroup_id_y 1
		.amdhsa_system_sgpr_workgroup_id_z 1
		.amdhsa_system_sgpr_workgroup_info 0
		.amdhsa_system_vgpr_workitem_id 1
		.amdhsa_next_free_vgpr 91
		.amdhsa_next_free_sgpr 20
		.amdhsa_reserve_vcc 1
		.amdhsa_float_round_mode_32 0
		.amdhsa_float_round_mode_16_64 0
		.amdhsa_float_denorm_mode_32 3
		.amdhsa_float_denorm_mode_16_64 3
		.amdhsa_dx10_clamp 1
		.amdhsa_ieee_mode 1
		.amdhsa_fp16_overflow 0
		.amdhsa_workgroup_processor_mode 1
		.amdhsa_memory_ordered 1
		.amdhsa_forward_progress 0
		.amdhsa_shared_vgpr_count 0
		.amdhsa_exception_fp_ieee_invalid_op 0
		.amdhsa_exception_fp_denorm_src 0
		.amdhsa_exception_fp_ieee_div_zero 0
		.amdhsa_exception_fp_ieee_overflow 0
		.amdhsa_exception_fp_ieee_underflow 0
		.amdhsa_exception_fp_ieee_inexact 0
		.amdhsa_exception_int_div_zero 0
	.end_amdhsa_kernel
	.section	.text._ZL37rocblas_syrkx_herkx_restricted_kernelIi19rocblas_complex_numIfELi16ELi32ELi8ELin1ELi0ELb0ELc67ELc85EKS1_S1_EviT_PT9_S3_lS5_S3_lPT10_S3_li,"axG",@progbits,_ZL37rocblas_syrkx_herkx_restricted_kernelIi19rocblas_complex_numIfELi16ELi32ELi8ELin1ELi0ELb0ELc67ELc85EKS1_S1_EviT_PT9_S3_lS5_S3_lPT10_S3_li,comdat
.Lfunc_end178:
	.size	_ZL37rocblas_syrkx_herkx_restricted_kernelIi19rocblas_complex_numIfELi16ELi32ELi8ELin1ELi0ELb0ELc67ELc85EKS1_S1_EviT_PT9_S3_lS5_S3_lPT10_S3_li, .Lfunc_end178-_ZL37rocblas_syrkx_herkx_restricted_kernelIi19rocblas_complex_numIfELi16ELi32ELi8ELin1ELi0ELb0ELc67ELc85EKS1_S1_EviT_PT9_S3_lS5_S3_lPT10_S3_li
                                        ; -- End function
	.section	.AMDGPU.csdata,"",@progbits
; Kernel info:
; codeLenInByte = 2100
; NumSgprs: 22
; NumVgprs: 91
; ScratchSize: 0
; MemoryBound: 0
; FloatMode: 240
; IeeeMode: 1
; LDSByteSize: 4096 bytes/workgroup (compile time only)
; SGPRBlocks: 2
; VGPRBlocks: 11
; NumSGPRsForWavesPerEU: 22
; NumVGPRsForWavesPerEU: 91
; Occupancy: 16
; WaveLimiterHint : 0
; COMPUTE_PGM_RSRC2:SCRATCH_EN: 0
; COMPUTE_PGM_RSRC2:USER_SGPR: 13
; COMPUTE_PGM_RSRC2:TRAP_HANDLER: 0
; COMPUTE_PGM_RSRC2:TGID_X_EN: 1
; COMPUTE_PGM_RSRC2:TGID_Y_EN: 1
; COMPUTE_PGM_RSRC2:TGID_Z_EN: 1
; COMPUTE_PGM_RSRC2:TIDIG_COMP_CNT: 1
	.section	.text._ZL37rocblas_syrkx_herkx_restricted_kernelIi19rocblas_complex_numIfELi16ELi32ELi8ELin1ELi0ELb0ELc78ELc85EKS1_S1_EviT_PT9_S3_lS5_S3_lPT10_S3_li,"axG",@progbits,_ZL37rocblas_syrkx_herkx_restricted_kernelIi19rocblas_complex_numIfELi16ELi32ELi8ELin1ELi0ELb0ELc78ELc85EKS1_S1_EviT_PT9_S3_lS5_S3_lPT10_S3_li,comdat
	.globl	_ZL37rocblas_syrkx_herkx_restricted_kernelIi19rocblas_complex_numIfELi16ELi32ELi8ELin1ELi0ELb0ELc78ELc85EKS1_S1_EviT_PT9_S3_lS5_S3_lPT10_S3_li ; -- Begin function _ZL37rocblas_syrkx_herkx_restricted_kernelIi19rocblas_complex_numIfELi16ELi32ELi8ELin1ELi0ELb0ELc78ELc85EKS1_S1_EviT_PT9_S3_lS5_S3_lPT10_S3_li
	.p2align	8
	.type	_ZL37rocblas_syrkx_herkx_restricted_kernelIi19rocblas_complex_numIfELi16ELi32ELi8ELin1ELi0ELb0ELc78ELc85EKS1_S1_EviT_PT9_S3_lS5_S3_lPT10_S3_li,@function
_ZL37rocblas_syrkx_herkx_restricted_kernelIi19rocblas_complex_numIfELi16ELi32ELi8ELin1ELi0ELb0ELc78ELc85EKS1_S1_EviT_PT9_S3_lS5_S3_lPT10_S3_li: ; @_ZL37rocblas_syrkx_herkx_restricted_kernelIi19rocblas_complex_numIfELi16ELi32ELi8ELin1ELi0ELb0ELc78ELc85EKS1_S1_EviT_PT9_S3_lS5_S3_lPT10_S3_li
; %bb.0:
	s_clause 0x1
	s_load_b64 s[2:3], s[0:1], 0x0
	s_load_b128 s[4:7], s[0:1], 0x30
	v_dual_mov_b32 v17, 0 :: v_dual_and_b32 v4, 0x3ff, v0
	v_bfe_u32 v5, v0, 10, 10
	v_dual_mov_b32 v16, 0 :: v_dual_mov_b32 v13, 0
	v_dual_mov_b32 v12, 0 :: v_dual_mov_b32 v9, 0
	;; [unrolled: 1-line block ×3, first 2 shown]
	v_mov_b32_e32 v6, 0
	s_lshl_b32 s12, s13, 5
	s_lshl_b32 s13, s14, 5
	s_mov_b32 s14, 0
	s_waitcnt lgkmcnt(0)
	s_cmp_lt_i32 s3, 1
	s_cbranch_scc1 .LBB179_3
; %bb.1:
	s_clause 0x1
	s_load_b32 s16, s[0:1], 0x10
	s_load_b32 s18, s[0:1], 0x28
	v_lshl_add_u32 v0, v5, 4, v4
	v_and_b32_e32 v8, 7, v4
	s_clause 0x1
	s_load_b128 s[8:11], s[0:1], 0x18
	s_load_b64 s[20:21], s[0:1], 0x8
	s_mul_i32 s5, s5, s15
	v_lshrrev_b32_e32 v1, 3, v0
	v_and_b32_e32 v2, 31, v0
	v_lshrrev_b32_e32 v9, 5, v0
	v_lshlrev_b32_e32 v3, 3, v8
	s_delay_alu instid0(VALU_DEP_4) | instskip(NEXT) | instid1(VALU_DEP_4)
	v_dual_mov_b32 v13, 0 :: v_dual_add_nc_u32 v0, s13, v1
	v_dual_mov_b32 v17, 0 :: v_dual_lshlrev_b32 v6, 3, v2
	v_add_nc_u32_e32 v2, s12, v2
	s_delay_alu instid0(VALU_DEP_4) | instskip(NEXT) | instid1(VALU_DEP_4)
	v_lshl_or_b32 v11, v1, 6, v3
	v_ashrrev_i32_e32 v1, 31, v0
	s_delay_alu instid0(VALU_DEP_4)
	v_lshl_or_b32 v10, v9, 8, v6
	v_lshlrev_b32_e32 v14, 3, v4
	v_ashrrev_i32_e32 v3, 31, v2
	s_waitcnt lgkmcnt(0)
	s_ashr_i32 s17, s16, 31
	v_mad_i64_i32 v[6:7], null, s18, v8, v[0:1]
	s_mul_i32 s9, s9, s15
	v_mad_i64_i32 v[0:1], null, s16, v9, v[2:3]
	s_mul_hi_u32 s22, s8, s15
	s_mul_i32 s8, s8, s15
	s_add_i32 s9, s22, s9
	s_ashr_i32 s19, s18, 31
	s_lshl_b64 s[8:9], s[8:9], 3
	v_dual_mov_b32 v8, 0 :: v_dual_add_nc_u32 v11, 0x800, v11
	s_delay_alu instid0(VALU_DEP_2)
	v_lshlrev_b64 v[0:1], 3, v[0:1]
	s_add_u32 s8, s20, s8
	s_addc_u32 s9, s21, s9
	s_mul_hi_u32 s20, s4, s15
	s_mul_i32 s4, s4, s15
	s_add_i32 s5, s20, s5
	v_add_co_u32 v2, vcc_lo, s8, v0
	v_add_co_ci_u32_e32 v3, vcc_lo, s9, v1, vcc_lo
	v_lshlrev_b64 v[0:1], 3, v[6:7]
	s_lshl_b64 s[8:9], s[4:5], 3
	s_lshl_b64 s[4:5], s[16:17], 6
	s_add_u32 s8, s10, s8
	s_addc_u32 s9, s11, s9
	v_lshl_add_u32 v15, v5, 6, 0x800
	v_add_co_u32 v6, vcc_lo, s8, v0
	v_add_co_ci_u32_e32 v7, vcc_lo, s9, v1, vcc_lo
	v_add_co_u32 v0, vcc_lo, v2, 4
	v_add_co_ci_u32_e32 v1, vcc_lo, 0, v3, vcc_lo
	s_delay_alu instid0(VALU_DEP_4) | instskip(NEXT) | instid1(VALU_DEP_4)
	v_add_co_u32 v2, vcc_lo, v6, 4
	v_add_co_ci_u32_e32 v3, vcc_lo, 0, v7, vcc_lo
	v_dual_mov_b32 v6, 0 :: v_dual_mov_b32 v7, 0
	v_dual_mov_b32 v9, 0 :: v_dual_mov_b32 v12, 0
	v_mov_b32_e32 v16, 0
	s_lshl_b64 s[8:9], s[18:19], 6
.LBB179_2:                              ; =>This Inner Loop Header: Depth=1
	global_load_b64 v[18:19], v[0:1], off offset:-4
	global_load_b64 v[20:21], v[2:3], off offset:-4
	v_add_co_u32 v0, vcc_lo, v0, s4
	v_add_co_ci_u32_e32 v1, vcc_lo, s5, v1, vcc_lo
	v_add_co_u32 v2, vcc_lo, v2, s8
	v_add_co_ci_u32_e32 v3, vcc_lo, s9, v3, vcc_lo
	s_add_i32 s14, s14, 8
	s_waitcnt vmcnt(1)
	ds_store_b64 v10, v[18:19]
	s_waitcnt vmcnt(0)
	ds_store_b64 v11, v[20:21]
	s_waitcnt lgkmcnt(0)
	s_barrier
	buffer_gl0_inv
	ds_load_2addr_b64 v[18:21], v14 offset1:16
	ds_load_b128 v[22:25], v15
	ds_load_b128 v[26:29], v15 offset:1024
	ds_load_b128 v[30:33], v15 offset:16
	ds_load_2addr_b64 v[34:37], v14 offset0:32 offset1:48
	ds_load_b128 v[38:41], v15 offset:32
	ds_load_b128 v[42:45], v15 offset:48
	ds_load_2addr_b64 v[46:49], v14 offset0:64 offset1:80
	ds_load_b128 v[50:53], v15 offset:1040
	ds_load_2addr_b64 v[54:57], v14 offset0:96 offset1:112
	ds_load_2addr_b64 v[58:61], v14 offset0:128 offset1:144
	;; [unrolled: 1-line block ×4, first 2 shown]
	ds_load_b128 v[70:73], v15 offset:1056
	ds_load_b128 v[74:77], v15 offset:1072
	ds_load_2addr_b64 v[78:81], v14 offset0:224 offset1:240
	s_cmp_ge_i32 s14, s3
	s_waitcnt lgkmcnt(0)
	s_barrier
	buffer_gl0_inv
	v_dual_mul_f32 v82, v23, v19 :: v_dual_mul_f32 v85, v22, v21
	v_dual_mul_f32 v83, v22, v19 :: v_dual_mul_f32 v84, v23, v21
	v_mul_f32_e32 v86, v27, v19
	v_dual_mul_f32 v19, v26, v19 :: v_dual_mul_f32 v90, v25, v37
	v_dual_mul_f32 v87, v27, v21 :: v_dual_mul_f32 v88, v25, v35
	v_mul_f32_e32 v21, v26, v21
	v_mul_f32_e32 v89, v24, v35
	;; [unrolled: 1-line block ×3, first 2 shown]
	v_fma_f32 v82, v22, v18, -v82
	v_fmac_f32_e32 v83, v23, v18
	v_fma_f32 v22, v22, v20, -v84
	v_dual_fmac_f32 v85, v23, v20 :: v_dual_mul_f32 v84, v30, v47
	v_fma_f32 v23, v26, v18, -v86
	v_fmac_f32_e32 v19, v27, v18
	v_fma_f32 v18, v26, v20, -v87
	v_dual_mul_f32 v26, v28, v35 :: v_dual_fmac_f32 v21, v27, v20
	v_mul_f32_e32 v20, v29, v35
	v_mul_f32_e32 v27, v29, v37
	v_dual_mul_f32 v35, v28, v37 :: v_dual_fmac_f32 v84, v31, v46
	v_fma_f32 v37, v24, v34, -v88
	v_fma_f32 v24, v24, v36, -v90
	v_dual_fmac_f32 v91, v25, v36 :: v_dual_mul_f32 v90, v32, v57
	v_dual_mul_f32 v86, v31, v49 :: v_dual_fmac_f32 v89, v25, v34
	v_dual_mul_f32 v25, v31, v47 :: v_dual_mul_f32 v88, v33, v57
	v_fma_f32 v20, v28, v34, -v20
	v_fmac_f32_e32 v26, v29, v34
	v_fma_f32 v27, v28, v36, -v27
	v_dual_fmac_f32 v35, v29, v36 :: v_dual_mul_f32 v28, v51, v47
	v_dual_mul_f32 v29, v50, v47 :: v_dual_mul_f32 v34, v51, v49
	v_mul_f32_e32 v36, v50, v49
	v_mul_f32_e32 v87, v30, v49
	;; [unrolled: 1-line block ×3, first 2 shown]
	v_dual_mul_f32 v49, v32, v55 :: v_dual_fmac_f32 v90, v33, v56
	v_fma_f32 v25, v30, v46, -v25
	v_fma_f32 v30, v30, v48, -v86
	;; [unrolled: 1-line block ×3, first 2 shown]
	v_fmac_f32_e32 v36, v51, v48
	v_fmac_f32_e32 v87, v31, v48
	v_fma_f32 v31, v50, v48, -v34
	v_mul_f32_e32 v34, v53, v55
	v_mul_f32_e32 v48, v53, v57
	v_dual_mul_f32 v50, v52, v57 :: v_dual_fmac_f32 v29, v51, v46
	v_mul_f32_e32 v46, v52, v55
	v_fma_f32 v47, v32, v54, -v47
	v_fmac_f32_e32 v49, v33, v54
	v_fma_f32 v32, v32, v56, -v88
	s_delay_alu instid0(VALU_DEP_4)
	v_dual_mul_f32 v33, v39, v59 :: v_dual_fmac_f32 v46, v53, v54
	v_mul_f32_e32 v51, v38, v59
	v_mul_f32_e32 v55, v39, v61
	v_fma_f32 v34, v52, v54, -v34
	v_fma_f32 v48, v52, v56, -v48
	v_fmac_f32_e32 v50, v53, v56
	v_mul_f32_e32 v52, v71, v59
	v_dual_mul_f32 v53, v70, v59 :: v_dual_mul_f32 v86, v41, v65
	v_mul_f32_e32 v54, v71, v61
	v_dual_mul_f32 v56, v70, v61 :: v_dual_mul_f32 v59, v41, v63
	v_mul_f32_e32 v57, v38, v61
	v_mul_f32_e32 v61, v40, v63
	v_dual_mul_f32 v88, v40, v65 :: v_dual_fmac_f32 v51, v39, v58
	v_fma_f32 v33, v38, v58, -v33
	v_fmac_f32_e32 v53, v71, v58
	v_fmac_f32_e32 v56, v71, v60
	s_delay_alu instid0(VALU_DEP_4)
	v_fmac_f32_e32 v88, v41, v64
	v_fmac_f32_e32 v57, v39, v60
	v_fma_f32 v39, v70, v58, -v52
	v_fma_f32 v52, v70, v60, -v54
	v_mul_f32_e32 v54, v73, v63
	v_fma_f32 v38, v38, v60, -v55
	v_mul_f32_e32 v60, v72, v65
	v_dual_mul_f32 v55, v72, v63 :: v_dual_mul_f32 v70, v42, v69
	v_mul_f32_e32 v58, v73, v65
	v_fma_f32 v59, v40, v62, -v59
	v_fmac_f32_e32 v61, v41, v62
	v_fma_f32 v40, v40, v64, -v86
	v_dual_mul_f32 v41, v43, v67 :: v_dual_fmac_f32 v60, v73, v64
	v_dual_mul_f32 v63, v42, v67 :: v_dual_mul_f32 v86, v44, v81
	v_mul_f32_e32 v65, v43, v69
	v_fma_f32 v54, v72, v62, -v54
	v_fmac_f32_e32 v55, v73, v62
	v_fma_f32 v58, v72, v64, -v58
	v_mul_f32_e32 v72, v44, v79
	v_mul_f32_e32 v62, v75, v67
	v_dual_mul_f32 v64, v74, v67 :: v_dual_mul_f32 v67, v75, v69
	v_dual_mul_f32 v69, v74, v69 :: v_dual_fmac_f32 v70, v43, v68
	s_delay_alu instid0(VALU_DEP_2)
	v_dual_mul_f32 v71, v45, v79 :: v_dual_fmac_f32 v64, v75, v66
	v_dual_mul_f32 v73, v45, v81 :: v_dual_add_f32 v16, v16, v82
	v_fma_f32 v41, v42, v66, -v41
	v_fmac_f32_e32 v63, v43, v66
	v_fma_f32 v42, v42, v68, -v65
	v_fma_f32 v43, v74, v66, -v62
	v_dual_mul_f32 v65, v77, v79 :: v_dual_add_f32 v12, v12, v85
	v_mul_f32_e32 v66, v76, v79
	v_fma_f32 v62, v74, v68, -v67
	v_dual_mul_f32 v67, v77, v81 :: v_dual_add_f32 v8, v8, v19
	v_dual_fmac_f32 v86, v45, v80 :: v_dual_add_f32 v7, v7, v18
	v_dual_add_f32 v17, v17, v83 :: v_dual_add_f32 v6, v6, v21
	v_dual_add_f32 v13, v13, v22 :: v_dual_add_f32 v16, v16, v37
	s_delay_alu instid0(VALU_DEP_4)
	v_dual_add_f32 v9, v9, v23 :: v_dual_add_f32 v8, v8, v26
	v_dual_fmac_f32 v69, v75, v68 :: v_dual_fmac_f32 v72, v45, v78
	v_mul_f32_e32 v68, v76, v81
	v_dual_fmac_f32 v66, v77, v78 :: v_dual_add_f32 v7, v7, v27
	v_dual_add_f32 v17, v17, v89 :: v_dual_add_f32 v12, v12, v91
	v_dual_add_f32 v13, v13, v24 :: v_dual_add_f32 v6, v6, v35
	;; [unrolled: 1-line block ×3, first 2 shown]
	s_delay_alu instid0(VALU_DEP_4) | instskip(NEXT) | instid1(VALU_DEP_4)
	v_dual_fmac_f32 v68, v77, v80 :: v_dual_add_f32 v7, v7, v31
	v_dual_add_f32 v17, v17, v84 :: v_dual_add_f32 v12, v12, v87
	s_delay_alu instid0(VALU_DEP_4) | instskip(NEXT) | instid1(VALU_DEP_4)
	v_dual_add_f32 v13, v13, v30 :: v_dual_add_f32 v8, v8, v29
	v_dual_add_f32 v9, v9, v28 :: v_dual_add_f32 v16, v16, v47
	s_delay_alu instid0(VALU_DEP_3) | instskip(NEXT) | instid1(VALU_DEP_3)
	v_dual_add_f32 v6, v6, v36 :: v_dual_add_f32 v17, v17, v49
	v_dual_add_f32 v13, v13, v32 :: v_dual_add_f32 v12, v12, v90
	s_delay_alu instid0(VALU_DEP_3) | instskip(SKIP_1) | instid1(VALU_DEP_4)
	v_dual_add_f32 v9, v9, v34 :: v_dual_add_f32 v16, v16, v33
	v_dual_add_f32 v8, v8, v46 :: v_dual_add_f32 v7, v7, v48
	;; [unrolled: 1-line block ×3, first 2 shown]
	s_delay_alu instid0(VALU_DEP_4) | instskip(NEXT) | instid1(VALU_DEP_3)
	v_dual_add_f32 v13, v13, v38 :: v_dual_add_f32 v12, v12, v57
	v_dual_add_f32 v9, v9, v39 :: v_dual_add_f32 v8, v8, v53
	s_delay_alu instid0(VALU_DEP_4) | instskip(NEXT) | instid1(VALU_DEP_4)
	v_dual_add_f32 v7, v7, v52 :: v_dual_add_f32 v16, v16, v59
	v_dual_add_f32 v6, v6, v56 :: v_dual_add_f32 v17, v17, v61
	s_delay_alu instid0(VALU_DEP_3) | instskip(NEXT) | instid1(VALU_DEP_4)
	v_dual_add_f32 v13, v13, v40 :: v_dual_add_f32 v8, v8, v55
	v_dual_add_f32 v12, v12, v88 :: v_dual_add_f32 v9, v9, v54
	s_delay_alu instid0(VALU_DEP_3)
	v_dual_add_f32 v7, v7, v58 :: v_dual_add_f32 v6, v6, v60
	v_fma_f32 v71, v44, v78, -v71
	v_fma_f32 v44, v44, v80, -v73
	;; [unrolled: 1-line block ×4, first 2 shown]
	v_dual_add_f32 v16, v16, v41 :: v_dual_add_f32 v17, v17, v63
	v_dual_add_f32 v13, v13, v42 :: v_dual_add_f32 v8, v8, v64
	;; [unrolled: 1-line block ×4, first 2 shown]
	s_delay_alu instid0(VALU_DEP_4) | instskip(NEXT) | instid1(VALU_DEP_3)
	v_dual_add_f32 v16, v16, v71 :: v_dual_add_f32 v17, v17, v72
	v_dual_add_f32 v13, v13, v44 :: v_dual_add_f32 v12, v12, v86
	s_delay_alu instid0(VALU_DEP_4) | instskip(NEXT) | instid1(VALU_DEP_4)
	v_dual_add_f32 v9, v9, v45 :: v_dual_add_f32 v8, v8, v66
	v_dual_add_f32 v7, v7, v65 :: v_dual_add_f32 v6, v6, v68
	s_cbranch_scc0 .LBB179_2
.LBB179_3:
	s_clause 0x1
	s_load_b32 s3, s[0:1], 0x40
	s_load_b64 s[0:1], s[0:1], 0x48
	v_add_nc_u32_e32 v5, s13, v5
	v_add_nc_u32_e32 v0, s12, v4
	s_delay_alu instid0(VALU_DEP_2)
	v_cmp_gt_i32_e32 vcc_lo, s2, v5
	s_waitcnt lgkmcnt(0)
	v_mad_i64_i32 v[1:2], null, v5, s3, 0
	s_mul_i32 s1, s15, s1
	s_mul_hi_u32 s4, s15, s0
	s_mul_i32 s0, s15, s0
	s_add_i32 s1, s4, s1
	s_delay_alu instid0(SALU_CYCLE_1) | instskip(NEXT) | instid1(VALU_DEP_1)
	s_lshl_b64 s[4:5], s[0:1], 3
	v_lshlrev_b64 v[1:2], 3, v[1:2]
	s_add_u32 s4, s6, s4
	v_cmp_le_i32_e64 s0, v0, v5
	s_addc_u32 s5, s7, s5
	s_delay_alu instid0(VALU_DEP_2) | instskip(NEXT) | instid1(VALU_DEP_1)
	v_add_co_u32 v4, s1, s4, v1
	v_add_co_ci_u32_e64 v10, s1, s5, v2, s1
	s_delay_alu instid0(VALU_DEP_3) | instskip(NEXT) | instid1(SALU_CYCLE_1)
	s_and_b32 s0, vcc_lo, s0
	s_and_saveexec_b32 s1, s0
	s_cbranch_execz .LBB179_5
; %bb.4:
	v_ashrrev_i32_e32 v1, 31, v0
	v_xor_b32_e32 v14, 0x80000000, v16
	v_xor_b32_e32 v15, 0x80000000, v17
	s_delay_alu instid0(VALU_DEP_3) | instskip(NEXT) | instid1(VALU_DEP_1)
	v_lshlrev_b64 v[1:2], 3, v[0:1]
	v_add_co_u32 v1, s0, v4, v1
	s_delay_alu instid0(VALU_DEP_1)
	v_add_co_ci_u32_e64 v2, s0, v10, v2, s0
	global_store_b64 v[1:2], v[14:15], off
.LBB179_5:
	s_or_b32 exec_lo, exec_lo, s1
	v_add_nc_u32_e32 v2, 16, v0
	s_delay_alu instid0(VALU_DEP_1) | instskip(NEXT) | instid1(VALU_DEP_1)
	v_cmp_le_i32_e64 s0, v2, v5
	s_and_b32 s1, vcc_lo, s0
	s_delay_alu instid0(SALU_CYCLE_1)
	s_and_saveexec_b32 s0, s1
	s_cbranch_execz .LBB179_7
; %bb.6:
	v_ashrrev_i32_e32 v3, 31, v2
	v_xor_b32_e32 v11, 0x80000000, v13
	v_xor_b32_e32 v12, 0x80000000, v12
	s_delay_alu instid0(VALU_DEP_3) | instskip(NEXT) | instid1(VALU_DEP_1)
	v_lshlrev_b64 v[14:15], 3, v[2:3]
	v_add_co_u32 v3, vcc_lo, v4, v14
	s_delay_alu instid0(VALU_DEP_2)
	v_add_co_ci_u32_e32 v4, vcc_lo, v10, v15, vcc_lo
	global_store_b64 v[3:4], v[11:12], off
.LBB179_7:
	s_or_b32 exec_lo, exec_lo, s0
	v_add_nc_u32_e32 v3, 16, v5
	s_delay_alu instid0(VALU_DEP_1) | instskip(SKIP_2) | instid1(VALU_DEP_1)
	v_mad_i64_i32 v[4:5], null, v3, s3, 0
	v_cmp_gt_i32_e32 vcc_lo, s2, v3
	v_cmp_le_i32_e64 s0, v0, v3
	s_and_b32 s0, vcc_lo, s0
	s_delay_alu instid0(VALU_DEP_3) | instskip(NEXT) | instid1(VALU_DEP_1)
	v_lshlrev_b64 v[4:5], 3, v[4:5]
	v_add_co_u32 v4, s1, s4, v4
	s_delay_alu instid0(VALU_DEP_1)
	v_add_co_ci_u32_e64 v5, s1, s5, v5, s1
	s_and_saveexec_b32 s1, s0
	s_cbranch_execz .LBB179_9
; %bb.8:
	v_ashrrev_i32_e32 v1, 31, v0
	v_xor_b32_e32 v9, 0x80000000, v9
	v_xor_b32_e32 v10, 0x80000000, v8
	s_delay_alu instid0(VALU_DEP_3) | instskip(NEXT) | instid1(VALU_DEP_1)
	v_lshlrev_b64 v[0:1], 3, v[0:1]
	v_add_co_u32 v0, s0, v4, v0
	s_delay_alu instid0(VALU_DEP_1)
	v_add_co_ci_u32_e64 v1, s0, v5, v1, s0
	global_store_b64 v[0:1], v[9:10], off
.LBB179_9:
	s_or_b32 exec_lo, exec_lo, s1
	v_cmp_le_i32_e64 s0, v2, v3
	s_delay_alu instid0(VALU_DEP_1) | instskip(NEXT) | instid1(SALU_CYCLE_1)
	s_and_b32 s0, vcc_lo, s0
	s_and_saveexec_b32 s1, s0
	s_cbranch_execz .LBB179_11
; %bb.10:
	v_ashrrev_i32_e32 v3, 31, v2
	s_delay_alu instid0(VALU_DEP_1) | instskip(SKIP_2) | instid1(VALU_DEP_3)
	v_lshlrev_b64 v[0:1], 3, v[2:3]
	v_xor_b32_e32 v2, 0x80000000, v7
	v_xor_b32_e32 v3, 0x80000000, v6
	v_add_co_u32 v0, vcc_lo, v4, v0
	s_delay_alu instid0(VALU_DEP_4)
	v_add_co_ci_u32_e32 v1, vcc_lo, v5, v1, vcc_lo
	global_store_b64 v[0:1], v[2:3], off
.LBB179_11:
	s_nop 0
	s_sendmsg sendmsg(MSG_DEALLOC_VGPRS)
	s_endpgm
	.section	.rodata,"a",@progbits
	.p2align	6, 0x0
	.amdhsa_kernel _ZL37rocblas_syrkx_herkx_restricted_kernelIi19rocblas_complex_numIfELi16ELi32ELi8ELin1ELi0ELb0ELc78ELc85EKS1_S1_EviT_PT9_S3_lS5_S3_lPT10_S3_li
		.amdhsa_group_segment_fixed_size 4096
		.amdhsa_private_segment_fixed_size 0
		.amdhsa_kernarg_size 84
		.amdhsa_user_sgpr_count 13
		.amdhsa_user_sgpr_dispatch_ptr 0
		.amdhsa_user_sgpr_queue_ptr 0
		.amdhsa_user_sgpr_kernarg_segment_ptr 1
		.amdhsa_user_sgpr_dispatch_id 0
		.amdhsa_user_sgpr_private_segment_size 0
		.amdhsa_wavefront_size32 1
		.amdhsa_uses_dynamic_stack 0
		.amdhsa_enable_private_segment 0
		.amdhsa_system_sgpr_workgroup_id_x 1
		.amdhsa_system_sgpr_workgroup_id_y 1
		.amdhsa_system_sgpr_workgroup_id_z 1
		.amdhsa_system_sgpr_workgroup_info 0
		.amdhsa_system_vgpr_workitem_id 1
		.amdhsa_next_free_vgpr 92
		.amdhsa_next_free_sgpr 23
		.amdhsa_reserve_vcc 1
		.amdhsa_float_round_mode_32 0
		.amdhsa_float_round_mode_16_64 0
		.amdhsa_float_denorm_mode_32 3
		.amdhsa_float_denorm_mode_16_64 3
		.amdhsa_dx10_clamp 1
		.amdhsa_ieee_mode 1
		.amdhsa_fp16_overflow 0
		.amdhsa_workgroup_processor_mode 1
		.amdhsa_memory_ordered 1
		.amdhsa_forward_progress 0
		.amdhsa_shared_vgpr_count 0
		.amdhsa_exception_fp_ieee_invalid_op 0
		.amdhsa_exception_fp_denorm_src 0
		.amdhsa_exception_fp_ieee_div_zero 0
		.amdhsa_exception_fp_ieee_overflow 0
		.amdhsa_exception_fp_ieee_underflow 0
		.amdhsa_exception_fp_ieee_inexact 0
		.amdhsa_exception_int_div_zero 0
	.end_amdhsa_kernel
	.section	.text._ZL37rocblas_syrkx_herkx_restricted_kernelIi19rocblas_complex_numIfELi16ELi32ELi8ELin1ELi0ELb0ELc78ELc85EKS1_S1_EviT_PT9_S3_lS5_S3_lPT10_S3_li,"axG",@progbits,_ZL37rocblas_syrkx_herkx_restricted_kernelIi19rocblas_complex_numIfELi16ELi32ELi8ELin1ELi0ELb0ELc78ELc85EKS1_S1_EviT_PT9_S3_lS5_S3_lPT10_S3_li,comdat
.Lfunc_end179:
	.size	_ZL37rocblas_syrkx_herkx_restricted_kernelIi19rocblas_complex_numIfELi16ELi32ELi8ELin1ELi0ELb0ELc78ELc85EKS1_S1_EviT_PT9_S3_lS5_S3_lPT10_S3_li, .Lfunc_end179-_ZL37rocblas_syrkx_herkx_restricted_kernelIi19rocblas_complex_numIfELi16ELi32ELi8ELin1ELi0ELb0ELc78ELc85EKS1_S1_EviT_PT9_S3_lS5_S3_lPT10_S3_li
                                        ; -- End function
	.section	.AMDGPU.csdata,"",@progbits
; Kernel info:
; codeLenInByte = 2132
; NumSgprs: 25
; NumVgprs: 92
; ScratchSize: 0
; MemoryBound: 0
; FloatMode: 240
; IeeeMode: 1
; LDSByteSize: 4096 bytes/workgroup (compile time only)
; SGPRBlocks: 3
; VGPRBlocks: 11
; NumSGPRsForWavesPerEU: 25
; NumVGPRsForWavesPerEU: 92
; Occupancy: 16
; WaveLimiterHint : 0
; COMPUTE_PGM_RSRC2:SCRATCH_EN: 0
; COMPUTE_PGM_RSRC2:USER_SGPR: 13
; COMPUTE_PGM_RSRC2:TRAP_HANDLER: 0
; COMPUTE_PGM_RSRC2:TGID_X_EN: 1
; COMPUTE_PGM_RSRC2:TGID_Y_EN: 1
; COMPUTE_PGM_RSRC2:TGID_Z_EN: 1
; COMPUTE_PGM_RSRC2:TIDIG_COMP_CNT: 1
	.section	.text._ZL37rocblas_syrkx_herkx_restricted_kernelIi19rocblas_complex_numIfELi16ELi32ELi8ELb1ELb0ELc84ELc76EKS1_S1_EviT_T0_PT8_S3_lS6_S3_lS4_PT9_S3_li,"axG",@progbits,_ZL37rocblas_syrkx_herkx_restricted_kernelIi19rocblas_complex_numIfELi16ELi32ELi8ELb1ELb0ELc84ELc76EKS1_S1_EviT_T0_PT8_S3_lS6_S3_lS4_PT9_S3_li,comdat
	.globl	_ZL37rocblas_syrkx_herkx_restricted_kernelIi19rocblas_complex_numIfELi16ELi32ELi8ELb1ELb0ELc84ELc76EKS1_S1_EviT_T0_PT8_S3_lS6_S3_lS4_PT9_S3_li ; -- Begin function _ZL37rocblas_syrkx_herkx_restricted_kernelIi19rocblas_complex_numIfELi16ELi32ELi8ELb1ELb0ELc84ELc76EKS1_S1_EviT_T0_PT8_S3_lS6_S3_lS4_PT9_S3_li
	.p2align	8
	.type	_ZL37rocblas_syrkx_herkx_restricted_kernelIi19rocblas_complex_numIfELi16ELi32ELi8ELb1ELb0ELc84ELc76EKS1_S1_EviT_T0_PT8_S3_lS6_S3_lS4_PT9_S3_li,@function
_ZL37rocblas_syrkx_herkx_restricted_kernelIi19rocblas_complex_numIfELi16ELi32ELi8ELb1ELb0ELc84ELc76EKS1_S1_EviT_T0_PT8_S3_lS6_S3_lS4_PT9_S3_li: ; @_ZL37rocblas_syrkx_herkx_restricted_kernelIi19rocblas_complex_numIfELi16ELi32ELi8ELb1ELb0ELc84ELc76EKS1_S1_EviT_T0_PT8_S3_lS6_S3_lS4_PT9_S3_li
; %bb.0:
	s_clause 0x1
	s_load_b64 s[2:3], s[0:1], 0x0
	s_load_b128 s[4:7], s[0:1], 0x8
	v_dual_mov_b32 v15, 0 :: v_dual_and_b32 v6, 0x3ff, v0
	v_bfe_u32 v7, v0, 10, 10
	v_dual_mov_b32 v16, 0 :: v_dual_mov_b32 v11, 0
	v_dual_mov_b32 v12, 0 :: v_dual_mov_b32 v9, 0
	;; [unrolled: 1-line block ×3, first 2 shown]
	v_mov_b32_e32 v0, 0
	s_lshl_b32 s12, s13, 5
	s_lshl_b32 s13, s14, 5
	s_mov_b32 s14, 0
	s_waitcnt lgkmcnt(0)
	s_cmp_lt_i32 s3, 1
	s_cbranch_scc1 .LBB180_3
; %bb.1:
	s_clause 0x3
	s_load_b32 s18, s[0:1], 0x18
	s_load_b128 s[8:11], s[0:1], 0x20
	s_load_b32 s19, s[0:1], 0x30
	s_load_b64 s[16:17], s[0:1], 0x38
	v_lshl_add_u32 v2, v7, 4, v6
	v_dual_mov_b32 v1, 0 :: v_dual_and_b32 v0, 7, v6
	v_lshlrev_b32_e32 v10, 3, v6
	v_lshl_add_u32 v17, v7, 6, 0x800
	s_delay_alu instid0(VALU_DEP_4)
	v_lshrrev_b32_e32 v4, 3, v2
	v_and_b32_e32 v5, 31, v2
	v_lshlrev_b32_e32 v3, 3, v0
	v_lshrrev_b32_e32 v2, 5, v2
	v_mov_b32_e32 v16, v1
	v_add_nc_u32_e32 v12, s13, v4
	v_add_nc_u32_e32 v11, s12, v5
	v_lshl_or_b32 v9, v4, 6, v3
	v_dual_mov_b32 v3, v1 :: v_dual_lshlrev_b32 v8, 3, v5
	s_delay_alu instid0(VALU_DEP_2) | instskip(SKIP_1) | instid1(VALU_DEP_2)
	v_dual_mov_b32 v15, v1 :: v_dual_add_nc_u32 v14, 0x800, v9
	s_waitcnt lgkmcnt(0)
	v_mad_i64_i32 v[4:5], null, s18, v11, v[2:3]
	s_mul_i32 s9, s9, s15
	s_mul_hi_u32 s18, s8, s15
	v_mov_b32_e32 v9, v1
	v_lshl_or_b32 v13, v2, 8, v8
	v_mov_b32_e32 v11, v1
	v_mad_i64_i32 v[2:3], null, s19, v12, v[0:1]
	s_mul_i32 s8, s8, s15
	s_add_i32 s9, s18, s9
	v_lshlrev_b64 v[4:5], 3, v[4:5]
	s_lshl_b64 s[8:9], s[8:9], 3
	v_mov_b32_e32 v12, v1
	s_add_u32 s8, s6, s8
	s_mul_i32 s6, s17, s15
	s_mul_hi_u32 s17, s16, s15
	s_addc_u32 s9, s7, s9
	s_add_i32 s7, s17, s6
	s_mul_i32 s6, s16, s15
	v_lshlrev_b64 v[2:3], 3, v[2:3]
	s_lshl_b64 s[6:7], s[6:7], 3
	v_add_co_u32 v0, vcc_lo, s8, v4
	s_add_u32 s6, s10, s6
	v_add_co_ci_u32_e32 v4, vcc_lo, s9, v5, vcc_lo
	s_addc_u32 s7, s11, s7
	v_add_co_u32 v5, vcc_lo, s6, v2
	v_add_co_ci_u32_e32 v8, vcc_lo, s7, v3, vcc_lo
	v_add_co_u32 v2, vcc_lo, v0, 4
	v_add_co_ci_u32_e32 v3, vcc_lo, 0, v4, vcc_lo
	s_delay_alu instid0(VALU_DEP_4) | instskip(NEXT) | instid1(VALU_DEP_4)
	v_add_co_u32 v4, vcc_lo, v5, 4
	v_add_co_ci_u32_e32 v5, vcc_lo, 0, v8, vcc_lo
	v_mov_b32_e32 v0, v1
	v_mov_b32_e32 v8, v1
.LBB180_2:                              ; =>This Inner Loop Header: Depth=1
	global_load_b64 v[18:19], v[2:3], off offset:-4
	global_load_b64 v[20:21], v[4:5], off offset:-4
	v_add_co_u32 v2, vcc_lo, v2, 64
	v_add_co_ci_u32_e32 v3, vcc_lo, 0, v3, vcc_lo
	v_add_co_u32 v4, vcc_lo, v4, 64
	v_add_co_ci_u32_e32 v5, vcc_lo, 0, v5, vcc_lo
	s_add_i32 s14, s14, 8
	s_waitcnt vmcnt(1)
	ds_store_b64 v13, v[18:19]
	s_waitcnt vmcnt(0)
	ds_store_b64 v14, v[20:21]
	s_waitcnt lgkmcnt(0)
	s_barrier
	buffer_gl0_inv
	ds_load_2addr_b64 v[18:21], v10 offset1:16
	ds_load_b128 v[22:25], v17
	ds_load_b128 v[26:29], v17 offset:1024
	ds_load_b128 v[30:33], v17 offset:16
	ds_load_2addr_b64 v[34:37], v10 offset0:32 offset1:48
	ds_load_b128 v[38:41], v17 offset:32
	ds_load_b128 v[42:45], v17 offset:48
	ds_load_2addr_b64 v[46:49], v10 offset0:64 offset1:80
	ds_load_b128 v[50:53], v17 offset:1040
	ds_load_2addr_b64 v[54:57], v10 offset0:96 offset1:112
	ds_load_2addr_b64 v[58:61], v10 offset0:128 offset1:144
	;; [unrolled: 1-line block ×4, first 2 shown]
	ds_load_b128 v[70:73], v17 offset:1056
	ds_load_b128 v[74:77], v17 offset:1072
	ds_load_2addr_b64 v[78:81], v10 offset0:224 offset1:240
	s_cmp_ge_i32 s14, s3
	s_waitcnt lgkmcnt(0)
	s_barrier
	buffer_gl0_inv
	v_dual_mul_f32 v82, v23, v19 :: v_dual_mul_f32 v85, v22, v21
	v_dual_mul_f32 v83, v22, v19 :: v_dual_mul_f32 v84, v23, v21
	v_mul_f32_e32 v86, v27, v19
	v_dual_mul_f32 v19, v26, v19 :: v_dual_mul_f32 v90, v25, v37
	v_dual_mul_f32 v87, v27, v21 :: v_dual_mul_f32 v88, v25, v35
	v_mul_f32_e32 v21, v26, v21
	v_fma_f32 v82, v22, v18, -v82
	v_fmac_f32_e32 v83, v23, v18
	v_fma_f32 v22, v22, v20, -v84
	v_fmac_f32_e32 v85, v23, v20
	v_fma_f32 v23, v26, v18, -v86
	v_dual_fmac_f32 v19, v27, v18 :: v_dual_mul_f32 v86, v30, v47
	v_fma_f32 v18, v26, v20, -v87
	v_dual_fmac_f32 v21, v27, v20 :: v_dual_mul_f32 v20, v24, v37
	v_mul_f32_e32 v89, v24, v35
	v_mul_f32_e32 v26, v29, v35
	;; [unrolled: 1-line block ×4, first 2 shown]
	v_fmac_f32_e32 v20, v25, v36
	v_fmac_f32_e32 v89, v25, v34
	v_dual_mul_f32 v25, v28, v37 :: v_dual_fmac_f32 v86, v31, v46
	v_fma_f32 v84, v24, v34, -v88
	v_fma_f32 v24, v24, v36, -v90
	v_dual_mul_f32 v37, v31, v47 :: v_dual_mul_f32 v90, v33, v57
	v_fma_f32 v26, v28, v34, -v26
	v_fma_f32 v28, v28, v36, -v35
	v_fmac_f32_e32 v25, v29, v36
	v_dual_mul_f32 v35, v50, v47 :: v_dual_mul_f32 v36, v51, v49
	v_dual_fmac_f32 v27, v29, v34 :: v_dual_mul_f32 v34, v51, v47
	v_dual_mul_f32 v88, v32, v55 :: v_dual_mul_f32 v29, v30, v49
	v_mul_f32_e32 v87, v31, v49
	v_fma_f32 v37, v30, v46, -v37
	v_add_f32_e32 v16, v16, v83
	s_delay_alu instid0(VALU_DEP_4)
	v_dual_fmac_f32 v88, v33, v54 :: v_dual_fmac_f32 v29, v31, v48
	v_fma_f32 v31, v50, v46, -v34
	v_fma_f32 v34, v50, v48, -v36
	v_mul_f32_e32 v36, v32, v57
	v_mul_f32_e32 v47, v50, v49
	v_dual_mul_f32 v50, v53, v57 :: v_dual_fmac_f32 v35, v51, v46
	v_mul_f32_e32 v46, v53, v55
	v_mul_f32_e32 v49, v33, v55
	v_fma_f32 v30, v30, v48, -v87
	v_fmac_f32_e32 v36, v33, v56
	v_dual_fmac_f32 v47, v51, v48 :: v_dual_mul_f32 v48, v52, v55
	v_mul_f32_e32 v33, v52, v57
	v_fma_f32 v46, v52, v54, -v46
	v_fma_f32 v50, v52, v56, -v50
	v_mul_f32_e32 v52, v38, v61
	v_fma_f32 v49, v32, v54, -v49
	v_fma_f32 v32, v32, v56, -v90
	v_dual_mul_f32 v51, v39, v59 :: v_dual_fmac_f32 v48, v53, v54
	v_mul_f32_e32 v54, v70, v59
	v_dual_mul_f32 v55, v38, v59 :: v_dual_fmac_f32 v52, v39, v60
	v_fmac_f32_e32 v33, v53, v56
	v_mul_f32_e32 v53, v71, v59
	v_mul_f32_e32 v56, v71, v61
	;; [unrolled: 1-line block ×3, first 2 shown]
	v_fmac_f32_e32 v54, v71, v58
	v_fmac_f32_e32 v55, v39, v58
	v_fma_f32 v39, v70, v58, -v53
	v_fma_f32 v53, v70, v60, -v56
	v_mul_f32_e32 v56, v40, v65
	v_mul_f32_e32 v59, v70, v61
	v_fma_f32 v51, v38, v58, -v51
	v_mul_f32_e32 v58, v72, v63
	v_mul_f32_e32 v87, v40, v63
	;; [unrolled: 1-line block ×4, first 2 shown]
	v_fma_f32 v38, v38, v60, -v57
	v_mul_f32_e32 v57, v73, v63
	v_fmac_f32_e32 v56, v41, v64
	v_dual_fmac_f32 v59, v71, v60 :: v_dual_mul_f32 v60, v73, v65
	v_mul_f32_e32 v63, v43, v67
	v_mul_f32_e32 v70, v43, v69
	v_fmac_f32_e32 v58, v73, v62
	v_fmac_f32_e32 v87, v41, v62
	v_mul_f32_e32 v41, v72, v65
	v_fma_f32 v61, v40, v62, -v61
	v_fma_f32 v40, v40, v64, -v90
	v_mul_f32_e32 v65, v42, v67
	v_fma_f32 v57, v72, v62, -v57
	v_fma_f32 v60, v72, v64, -v60
	v_dual_fmac_f32 v41, v73, v64 :: v_dual_mul_f32 v62, v42, v69
	v_mul_f32_e32 v64, v75, v67
	v_fma_f32 v63, v42, v66, -v63
	v_fma_f32 v42, v42, v68, -v70
	v_mul_f32_e32 v70, v76, v79
	v_mul_f32_e32 v67, v74, v67
	;; [unrolled: 1-line block ×3, first 2 shown]
	v_dual_mul_f32 v69, v74, v69 :: v_dual_add_f32 v8, v8, v23
	v_mul_f32_e32 v73, v44, v79
	v_dual_fmac_f32 v65, v43, v66 :: v_dual_add_f32 v12, v12, v85
	v_fmac_f32_e32 v62, v43, v68
	v_fma_f32 v43, v74, v66, -v64
	v_fmac_f32_e32 v70, v77, v78
	v_dual_fmac_f32 v67, v75, v66 :: v_dual_add_f32 v16, v16, v89
	v_mul_f32_e32 v66, v44, v81
	v_mul_f32_e32 v72, v45, v79
	;; [unrolled: 1-line block ×3, first 2 shown]
	v_fma_f32 v64, v74, v68, -v71
	v_dual_fmac_f32 v69, v75, v68 :: v_dual_add_f32 v0, v0, v18
	v_dual_mul_f32 v71, v77, v81 :: v_dual_add_f32 v12, v12, v20
	v_fmac_f32_e32 v73, v45, v78
	v_fmac_f32_e32 v66, v45, v80
	s_delay_alu instid0(VALU_DEP_4) | instskip(SKIP_3) | instid1(VALU_DEP_3)
	v_add_f32_e32 v0, v0, v28
	v_mul_f32_e32 v45, v76, v81
	v_dual_add_f32 v15, v15, v82 :: v_dual_add_f32 v12, v12, v29
	v_dual_add_f32 v9, v9, v19 :: v_dual_add_f32 v16, v16, v86
	v_dual_fmac_f32 v45, v77, v80 :: v_dual_add_f32 v8, v8, v26
	v_add_f32_e32 v11, v11, v22
	v_dual_add_f32 v1, v1, v21 :: v_dual_add_f32 v0, v0, v34
	s_delay_alu instid0(VALU_DEP_4) | instskip(NEXT) | instid1(VALU_DEP_4)
	v_dual_add_f32 v9, v9, v27 :: v_dual_add_f32 v16, v16, v88
	v_dual_add_f32 v8, v8, v31 :: v_dual_add_f32 v15, v15, v84
	s_delay_alu instid0(VALU_DEP_3) | instskip(NEXT) | instid1(VALU_DEP_4)
	v_dual_add_f32 v11, v11, v24 :: v_dual_add_f32 v0, v0, v50
	v_dual_add_f32 v1, v1, v25 :: v_dual_add_f32 v12, v12, v36
	s_delay_alu instid0(VALU_DEP_4) | instskip(NEXT) | instid1(VALU_DEP_3)
	v_add_f32_e32 v9, v9, v35
	v_add_f32_e32 v11, v11, v30
	v_dual_add_f32 v8, v8, v46 :: v_dual_add_f32 v15, v15, v37
	v_add_f32_e32 v16, v16, v55
	v_dual_add_f32 v12, v12, v52 :: v_dual_add_f32 v1, v1, v47
	s_delay_alu instid0(VALU_DEP_4) | instskip(NEXT) | instid1(VALU_DEP_4)
	v_add_f32_e32 v11, v11, v32
	v_dual_add_f32 v15, v15, v49 :: v_dual_add_f32 v8, v8, v39
	v_dual_add_f32 v0, v0, v53 :: v_dual_add_f32 v9, v9, v48
	s_delay_alu instid0(VALU_DEP_4) | instskip(SKIP_1) | instid1(VALU_DEP_3)
	v_dual_add_f32 v12, v12, v56 :: v_dual_add_f32 v1, v1, v33
	v_mul_f32_e32 v68, v77, v79
	v_add_f32_e32 v0, v0, v60
	v_add_f32_e32 v16, v16, v87
	v_add_f32_e32 v15, v15, v51
	v_dual_add_f32 v1, v1, v59 :: v_dual_add_f32 v12, v12, v62
	v_dual_add_f32 v8, v8, v57 :: v_dual_add_f32 v11, v11, v38
	;; [unrolled: 1-line block ×3, first 2 shown]
	v_fma_f32 v68, v76, v78, -v68
	v_fma_f32 v71, v76, v80, -v71
	v_add_f32_e32 v1, v1, v41
	v_add_f32_e32 v16, v16, v65
	v_dual_add_f32 v15, v15, v61 :: v_dual_add_f32 v12, v12, v66
	v_dual_add_f32 v8, v8, v43 :: v_dual_add_f32 v11, v11, v40
	s_delay_alu instid0(VALU_DEP_3) | instskip(SKIP_1) | instid1(VALU_DEP_3)
	v_dual_add_f32 v16, v16, v73 :: v_dual_add_f32 v9, v9, v58
	v_fma_f32 v72, v44, v78, -v72
	v_add_f32_e32 v8, v8, v68
	v_fma_f32 v44, v44, v80, -v90
	v_add_f32_e32 v15, v15, v63
	v_add_f32_e32 v11, v11, v42
	;; [unrolled: 1-line block ×3, first 2 shown]
	v_dual_add_f32 v0, v0, v71 :: v_dual_add_f32 v1, v1, v69
	s_delay_alu instid0(VALU_DEP_4) | instskip(NEXT) | instid1(VALU_DEP_4)
	v_add_f32_e32 v15, v15, v72
	v_add_f32_e32 v11, v11, v44
	s_delay_alu instid0(VALU_DEP_4) | instskip(NEXT) | instid1(VALU_DEP_4)
	v_add_f32_e32 v9, v9, v70
	v_add_f32_e32 v1, v1, v45
	s_cbranch_scc0 .LBB180_2
.LBB180_3:
	s_clause 0x2
	s_load_b32 s3, s[0:1], 0x50
	s_load_b64 s[6:7], s[0:1], 0x58
	s_load_b64 s[8:9], s[0:1], 0x48
	v_add_nc_u32_e32 v7, s13, v7
	v_add_nc_u32_e32 v2, s12, v6
	s_delay_alu instid0(VALU_DEP_1)
	v_cmp_le_i32_e64 s0, v7, v2
	v_cmp_gt_i32_e32 vcc_lo, s2, v2
	s_waitcnt lgkmcnt(0)
	v_mad_i64_i32 v[3:4], null, v7, s3, 0
	s_mul_i32 s1, s15, s7
	s_mul_hi_u32 s7, s15, s6
	s_mul_i32 s6, s15, s6
	s_add_i32 s7, s7, s1
	s_delay_alu instid0(SALU_CYCLE_1) | instskip(NEXT) | instid1(VALU_DEP_1)
	s_lshl_b64 s[6:7], s[6:7], 3
	v_lshlrev_b64 v[3:4], 3, v[3:4]
	s_add_u32 s6, s8, s6
	s_addc_u32 s7, s9, s7
	s_and_b32 s0, s0, vcc_lo
	s_delay_alu instid0(VALU_DEP_1) | instskip(NEXT) | instid1(VALU_DEP_1)
	v_add_co_u32 v6, s1, s6, v3
	v_add_co_ci_u32_e64 v10, s1, s7, v4, s1
	s_and_saveexec_b32 s1, s0
	s_cbranch_execz .LBB180_5
; %bb.4:
	v_ashrrev_i32_e32 v3, 31, v2
	v_mul_f32_e32 v4, s4, v16
	v_mul_f32_e32 v5, s5, v16
	s_delay_alu instid0(VALU_DEP_3) | instskip(NEXT) | instid1(VALU_DEP_3)
	v_lshlrev_b64 v[13:14], 3, v[2:3]
	v_fmac_f32_e32 v4, s5, v15
	s_delay_alu instid0(VALU_DEP_3) | instskip(NEXT) | instid1(VALU_DEP_3)
	v_fma_f32 v3, v15, s4, -v5
	v_add_co_u32 v13, s0, v6, v13
	s_delay_alu instid0(VALU_DEP_1)
	v_add_co_ci_u32_e64 v14, s0, v10, v14, s0
	global_store_b64 v[13:14], v[3:4], off
.LBB180_5:
	s_or_b32 exec_lo, exec_lo, s1
	v_add_nc_u32_e32 v4, 16, v2
	s_delay_alu instid0(VALU_DEP_1) | instskip(SKIP_1) | instid1(VALU_DEP_1)
	v_cmp_le_i32_e64 s1, v7, v4
	v_cmp_gt_i32_e64 s0, s2, v4
	s_and_b32 s1, s1, s0
	s_delay_alu instid0(SALU_CYCLE_1)
	s_and_saveexec_b32 s2, s1
	s_cbranch_execz .LBB180_7
; %bb.6:
	v_ashrrev_i32_e32 v5, 31, v4
	v_mul_f32_e32 v3, s5, v12
	v_mul_f32_e32 v13, s4, v12
	s_delay_alu instid0(VALU_DEP_3) | instskip(NEXT) | instid1(VALU_DEP_3)
	v_lshlrev_b64 v[14:15], 3, v[4:5]
	v_fma_f32 v12, v11, s4, -v3
	s_delay_alu instid0(VALU_DEP_3) | instskip(NEXT) | instid1(VALU_DEP_3)
	v_fmac_f32_e32 v13, s5, v11
	v_add_co_u32 v5, s1, v6, v14
	s_delay_alu instid0(VALU_DEP_1)
	v_add_co_ci_u32_e64 v6, s1, v10, v15, s1
	global_store_b64 v[5:6], v[12:13], off
.LBB180_7:
	s_or_b32 exec_lo, exec_lo, s2
	v_add_nc_u32_e32 v5, 16, v7
	s_delay_alu instid0(VALU_DEP_1) | instskip(SKIP_1) | instid1(VALU_DEP_2)
	v_mad_i64_i32 v[6:7], null, v5, s3, 0
	v_cmp_le_i32_e64 s1, v5, v2
	v_lshlrev_b64 v[6:7], 3, v[6:7]
	s_delay_alu instid0(VALU_DEP_1) | instskip(NEXT) | instid1(VALU_DEP_1)
	v_add_co_u32 v6, s2, s6, v6
	v_add_co_ci_u32_e64 v7, s2, s7, v7, s2
	s_delay_alu instid0(VALU_DEP_4) | instskip(NEXT) | instid1(SALU_CYCLE_1)
	s_and_b32 s2, s1, vcc_lo
	s_and_saveexec_b32 s1, s2
	s_cbranch_execz .LBB180_9
; %bb.8:
	v_ashrrev_i32_e32 v3, 31, v2
	v_mul_f32_e32 v10, s4, v9
	v_mul_f32_e32 v11, s5, v9
	s_delay_alu instid0(VALU_DEP_3) | instskip(NEXT) | instid1(VALU_DEP_3)
	v_lshlrev_b64 v[2:3], 3, v[2:3]
	v_fmac_f32_e32 v10, s5, v8
	s_delay_alu instid0(VALU_DEP_3) | instskip(NEXT) | instid1(VALU_DEP_3)
	v_fma_f32 v9, v8, s4, -v11
	v_add_co_u32 v2, vcc_lo, v6, v2
	s_delay_alu instid0(VALU_DEP_4)
	v_add_co_ci_u32_e32 v3, vcc_lo, v7, v3, vcc_lo
	global_store_b64 v[2:3], v[9:10], off
.LBB180_9:
	s_or_b32 exec_lo, exec_lo, s1
	v_cmp_le_i32_e32 vcc_lo, v5, v4
	s_and_b32 s0, vcc_lo, s0
	s_delay_alu instid0(SALU_CYCLE_1)
	s_and_saveexec_b32 s1, s0
	s_cbranch_execz .LBB180_11
; %bb.10:
	v_ashrrev_i32_e32 v5, 31, v4
	v_mul_f32_e32 v8, s5, v1
	v_mul_f32_e32 v2, s4, v1
	s_delay_alu instid0(VALU_DEP_3) | instskip(NEXT) | instid1(VALU_DEP_3)
	v_lshlrev_b64 v[3:4], 3, v[4:5]
	v_fma_f32 v1, v0, s4, -v8
	s_delay_alu instid0(VALU_DEP_3) | instskip(NEXT) | instid1(VALU_DEP_3)
	v_fmac_f32_e32 v2, s5, v0
	v_add_co_u32 v3, vcc_lo, v6, v3
	s_delay_alu instid0(VALU_DEP_4)
	v_add_co_ci_u32_e32 v4, vcc_lo, v7, v4, vcc_lo
	global_store_b64 v[3:4], v[1:2], off
.LBB180_11:
	s_nop 0
	s_sendmsg sendmsg(MSG_DEALLOC_VGPRS)
	s_endpgm
	.section	.rodata,"a",@progbits
	.p2align	6, 0x0
	.amdhsa_kernel _ZL37rocblas_syrkx_herkx_restricted_kernelIi19rocblas_complex_numIfELi16ELi32ELi8ELb1ELb0ELc84ELc76EKS1_S1_EviT_T0_PT8_S3_lS6_S3_lS4_PT9_S3_li
		.amdhsa_group_segment_fixed_size 4096
		.amdhsa_private_segment_fixed_size 0
		.amdhsa_kernarg_size 100
		.amdhsa_user_sgpr_count 13
		.amdhsa_user_sgpr_dispatch_ptr 0
		.amdhsa_user_sgpr_queue_ptr 0
		.amdhsa_user_sgpr_kernarg_segment_ptr 1
		.amdhsa_user_sgpr_dispatch_id 0
		.amdhsa_user_sgpr_private_segment_size 0
		.amdhsa_wavefront_size32 1
		.amdhsa_uses_dynamic_stack 0
		.amdhsa_enable_private_segment 0
		.amdhsa_system_sgpr_workgroup_id_x 1
		.amdhsa_system_sgpr_workgroup_id_y 1
		.amdhsa_system_sgpr_workgroup_id_z 1
		.amdhsa_system_sgpr_workgroup_info 0
		.amdhsa_system_vgpr_workitem_id 1
		.amdhsa_next_free_vgpr 91
		.amdhsa_next_free_sgpr 20
		.amdhsa_reserve_vcc 1
		.amdhsa_float_round_mode_32 0
		.amdhsa_float_round_mode_16_64 0
		.amdhsa_float_denorm_mode_32 3
		.amdhsa_float_denorm_mode_16_64 3
		.amdhsa_dx10_clamp 1
		.amdhsa_ieee_mode 1
		.amdhsa_fp16_overflow 0
		.amdhsa_workgroup_processor_mode 1
		.amdhsa_memory_ordered 1
		.amdhsa_forward_progress 0
		.amdhsa_shared_vgpr_count 0
		.amdhsa_exception_fp_ieee_invalid_op 0
		.amdhsa_exception_fp_denorm_src 0
		.amdhsa_exception_fp_ieee_div_zero 0
		.amdhsa_exception_fp_ieee_overflow 0
		.amdhsa_exception_fp_ieee_underflow 0
		.amdhsa_exception_fp_ieee_inexact 0
		.amdhsa_exception_int_div_zero 0
	.end_amdhsa_kernel
	.section	.text._ZL37rocblas_syrkx_herkx_restricted_kernelIi19rocblas_complex_numIfELi16ELi32ELi8ELb1ELb0ELc84ELc76EKS1_S1_EviT_T0_PT8_S3_lS6_S3_lS4_PT9_S3_li,"axG",@progbits,_ZL37rocblas_syrkx_herkx_restricted_kernelIi19rocblas_complex_numIfELi16ELi32ELi8ELb1ELb0ELc84ELc76EKS1_S1_EviT_T0_PT8_S3_lS6_S3_lS4_PT9_S3_li,comdat
.Lfunc_end180:
	.size	_ZL37rocblas_syrkx_herkx_restricted_kernelIi19rocblas_complex_numIfELi16ELi32ELi8ELb1ELb0ELc84ELc76EKS1_S1_EviT_T0_PT8_S3_lS6_S3_lS4_PT9_S3_li, .Lfunc_end180-_ZL37rocblas_syrkx_herkx_restricted_kernelIi19rocblas_complex_numIfELi16ELi32ELi8ELb1ELb0ELc84ELc76EKS1_S1_EviT_T0_PT8_S3_lS6_S3_lS4_PT9_S3_li
                                        ; -- End function
	.section	.AMDGPU.csdata,"",@progbits
; Kernel info:
; codeLenInByte = 2120
; NumSgprs: 22
; NumVgprs: 91
; ScratchSize: 0
; MemoryBound: 0
; FloatMode: 240
; IeeeMode: 1
; LDSByteSize: 4096 bytes/workgroup (compile time only)
; SGPRBlocks: 2
; VGPRBlocks: 11
; NumSGPRsForWavesPerEU: 22
; NumVGPRsForWavesPerEU: 91
; Occupancy: 16
; WaveLimiterHint : 0
; COMPUTE_PGM_RSRC2:SCRATCH_EN: 0
; COMPUTE_PGM_RSRC2:USER_SGPR: 13
; COMPUTE_PGM_RSRC2:TRAP_HANDLER: 0
; COMPUTE_PGM_RSRC2:TGID_X_EN: 1
; COMPUTE_PGM_RSRC2:TGID_Y_EN: 1
; COMPUTE_PGM_RSRC2:TGID_Z_EN: 1
; COMPUTE_PGM_RSRC2:TIDIG_COMP_CNT: 1
	.section	.text._ZL37rocblas_syrkx_herkx_restricted_kernelIi19rocblas_complex_numIfELi16ELi32ELi8ELb1ELb0ELc67ELc76EKS1_S1_EviT_T0_PT8_S3_lS6_S3_lS4_PT9_S3_li,"axG",@progbits,_ZL37rocblas_syrkx_herkx_restricted_kernelIi19rocblas_complex_numIfELi16ELi32ELi8ELb1ELb0ELc67ELc76EKS1_S1_EviT_T0_PT8_S3_lS6_S3_lS4_PT9_S3_li,comdat
	.globl	_ZL37rocblas_syrkx_herkx_restricted_kernelIi19rocblas_complex_numIfELi16ELi32ELi8ELb1ELb0ELc67ELc76EKS1_S1_EviT_T0_PT8_S3_lS6_S3_lS4_PT9_S3_li ; -- Begin function _ZL37rocblas_syrkx_herkx_restricted_kernelIi19rocblas_complex_numIfELi16ELi32ELi8ELb1ELb0ELc67ELc76EKS1_S1_EviT_T0_PT8_S3_lS6_S3_lS4_PT9_S3_li
	.p2align	8
	.type	_ZL37rocblas_syrkx_herkx_restricted_kernelIi19rocblas_complex_numIfELi16ELi32ELi8ELb1ELb0ELc67ELc76EKS1_S1_EviT_T0_PT8_S3_lS6_S3_lS4_PT9_S3_li,@function
_ZL37rocblas_syrkx_herkx_restricted_kernelIi19rocblas_complex_numIfELi16ELi32ELi8ELb1ELb0ELc67ELc76EKS1_S1_EviT_T0_PT8_S3_lS6_S3_lS4_PT9_S3_li: ; @_ZL37rocblas_syrkx_herkx_restricted_kernelIi19rocblas_complex_numIfELi16ELi32ELi8ELb1ELb0ELc67ELc76EKS1_S1_EviT_T0_PT8_S3_lS6_S3_lS4_PT9_S3_li
; %bb.0:
	s_clause 0x1
	s_load_b64 s[2:3], s[0:1], 0x0
	s_load_b128 s[4:7], s[0:1], 0x8
	v_dual_mov_b32 v15, 0 :: v_dual_and_b32 v6, 0x3ff, v0
	v_bfe_u32 v7, v0, 10, 10
	v_dual_mov_b32 v16, 0 :: v_dual_mov_b32 v11, 0
	v_dual_mov_b32 v12, 0 :: v_dual_mov_b32 v9, 0
	;; [unrolled: 1-line block ×3, first 2 shown]
	v_mov_b32_e32 v0, 0
	s_lshl_b32 s12, s13, 5
	s_lshl_b32 s13, s14, 5
	s_mov_b32 s14, 0
	s_waitcnt lgkmcnt(0)
	s_cmp_lt_i32 s3, 1
	s_cbranch_scc1 .LBB181_3
; %bb.1:
	s_clause 0x3
	s_load_b32 s18, s[0:1], 0x18
	s_load_b128 s[8:11], s[0:1], 0x20
	s_load_b32 s19, s[0:1], 0x30
	s_load_b64 s[16:17], s[0:1], 0x38
	v_lshl_add_u32 v2, v7, 4, v6
	v_dual_mov_b32 v1, 0 :: v_dual_and_b32 v0, 7, v6
	v_lshlrev_b32_e32 v10, 3, v6
	v_lshl_add_u32 v17, v7, 6, 0x800
	s_delay_alu instid0(VALU_DEP_4)
	v_lshrrev_b32_e32 v4, 3, v2
	v_and_b32_e32 v5, 31, v2
	v_lshlrev_b32_e32 v3, 3, v0
	v_lshrrev_b32_e32 v2, 5, v2
	v_mov_b32_e32 v16, v1
	v_add_nc_u32_e32 v12, s13, v4
	v_add_nc_u32_e32 v11, s12, v5
	v_lshl_or_b32 v9, v4, 6, v3
	v_dual_mov_b32 v3, v1 :: v_dual_lshlrev_b32 v8, 3, v5
	s_delay_alu instid0(VALU_DEP_2) | instskip(SKIP_1) | instid1(VALU_DEP_2)
	v_dual_mov_b32 v15, v1 :: v_dual_add_nc_u32 v14, 0x800, v9
	s_waitcnt lgkmcnt(0)
	v_mad_i64_i32 v[4:5], null, s18, v11, v[2:3]
	s_mul_i32 s9, s9, s15
	s_mul_hi_u32 s18, s8, s15
	v_mov_b32_e32 v9, v1
	v_lshl_or_b32 v13, v2, 8, v8
	v_mov_b32_e32 v11, v1
	v_mad_i64_i32 v[2:3], null, s19, v12, v[0:1]
	s_mul_i32 s8, s8, s15
	s_add_i32 s9, s18, s9
	v_lshlrev_b64 v[4:5], 3, v[4:5]
	s_lshl_b64 s[8:9], s[8:9], 3
	v_mov_b32_e32 v12, v1
	s_add_u32 s8, s6, s8
	s_mul_i32 s6, s17, s15
	s_mul_hi_u32 s17, s16, s15
	s_addc_u32 s9, s7, s9
	s_add_i32 s7, s17, s6
	s_mul_i32 s6, s16, s15
	v_lshlrev_b64 v[2:3], 3, v[2:3]
	s_lshl_b64 s[6:7], s[6:7], 3
	v_add_co_u32 v0, vcc_lo, s8, v4
	s_add_u32 s6, s10, s6
	v_add_co_ci_u32_e32 v4, vcc_lo, s9, v5, vcc_lo
	s_addc_u32 s7, s11, s7
	v_add_co_u32 v5, vcc_lo, s6, v2
	v_add_co_ci_u32_e32 v8, vcc_lo, s7, v3, vcc_lo
	v_add_co_u32 v2, vcc_lo, v0, 4
	v_add_co_ci_u32_e32 v3, vcc_lo, 0, v4, vcc_lo
	s_delay_alu instid0(VALU_DEP_4) | instskip(NEXT) | instid1(VALU_DEP_4)
	v_add_co_u32 v4, vcc_lo, v5, 4
	v_add_co_ci_u32_e32 v5, vcc_lo, 0, v8, vcc_lo
	v_mov_b32_e32 v0, v1
	v_mov_b32_e32 v8, v1
.LBB181_2:                              ; =>This Inner Loop Header: Depth=1
	global_load_b64 v[18:19], v[2:3], off offset:-4
	global_load_b64 v[20:21], v[4:5], off offset:-4
	v_add_co_u32 v2, vcc_lo, v2, 64
	v_add_co_ci_u32_e32 v3, vcc_lo, 0, v3, vcc_lo
	v_add_co_u32 v4, vcc_lo, v4, 64
	v_add_co_ci_u32_e32 v5, vcc_lo, 0, v5, vcc_lo
	s_add_i32 s14, s14, 8
	s_waitcnt vmcnt(1)
	ds_store_b64 v13, v[18:19]
	s_waitcnt vmcnt(0)
	ds_store_b64 v14, v[20:21]
	s_waitcnt lgkmcnt(0)
	s_barrier
	buffer_gl0_inv
	ds_load_2addr_b64 v[18:21], v10 offset1:16
	ds_load_b128 v[22:25], v17
	ds_load_b128 v[26:29], v17 offset:1024
	ds_load_b128 v[30:33], v17 offset:16
	ds_load_2addr_b64 v[34:37], v10 offset0:32 offset1:48
	ds_load_b128 v[38:41], v17 offset:32
	ds_load_b128 v[42:45], v17 offset:48
	ds_load_2addr_b64 v[46:49], v10 offset0:64 offset1:80
	ds_load_b128 v[50:53], v17 offset:1040
	ds_load_2addr_b64 v[54:57], v10 offset0:96 offset1:112
	ds_load_2addr_b64 v[58:61], v10 offset0:128 offset1:144
	;; [unrolled: 1-line block ×4, first 2 shown]
	ds_load_b128 v[70:73], v17 offset:1056
	ds_load_b128 v[74:77], v17 offset:1072
	ds_load_2addr_b64 v[78:81], v10 offset0:224 offset1:240
	s_cmp_ge_i32 s14, s3
	s_waitcnt lgkmcnt(0)
	s_barrier
	buffer_gl0_inv
	v_dual_mul_f32 v82, v23, v19 :: v_dual_mul_f32 v85, v22, v21
	v_dual_mul_f32 v83, v22, v19 :: v_dual_mul_f32 v84, v23, v21
	v_mul_f32_e32 v86, v27, v19
	v_dual_mul_f32 v19, v26, v19 :: v_dual_mul_f32 v90, v25, v37
	v_dual_mul_f32 v87, v27, v21 :: v_dual_mul_f32 v88, v25, v35
	v_mul_f32_e32 v21, v26, v21
	v_fma_f32 v82, v22, v18, -v82
	v_fmac_f32_e32 v83, v23, v18
	v_fma_f32 v22, v22, v20, -v84
	v_fmac_f32_e32 v85, v23, v20
	v_fma_f32 v23, v26, v18, -v86
	v_dual_fmac_f32 v19, v27, v18 :: v_dual_mul_f32 v86, v30, v47
	v_fma_f32 v18, v26, v20, -v87
	v_dual_fmac_f32 v21, v27, v20 :: v_dual_mul_f32 v20, v24, v37
	v_mul_f32_e32 v89, v24, v35
	v_mul_f32_e32 v26, v29, v35
	;; [unrolled: 1-line block ×4, first 2 shown]
	v_fmac_f32_e32 v20, v25, v36
	v_fmac_f32_e32 v89, v25, v34
	v_dual_mul_f32 v25, v28, v37 :: v_dual_fmac_f32 v86, v31, v46
	v_fma_f32 v84, v24, v34, -v88
	v_fma_f32 v24, v24, v36, -v90
	v_dual_mul_f32 v37, v31, v47 :: v_dual_mul_f32 v90, v33, v57
	v_fma_f32 v26, v28, v34, -v26
	v_fma_f32 v28, v28, v36, -v35
	v_fmac_f32_e32 v25, v29, v36
	v_dual_mul_f32 v35, v50, v47 :: v_dual_mul_f32 v36, v51, v49
	v_dual_fmac_f32 v27, v29, v34 :: v_dual_mul_f32 v34, v51, v47
	v_dual_mul_f32 v88, v32, v55 :: v_dual_mul_f32 v29, v30, v49
	v_mul_f32_e32 v87, v31, v49
	v_fma_f32 v37, v30, v46, -v37
	v_add_f32_e32 v16, v16, v83
	s_delay_alu instid0(VALU_DEP_4)
	v_dual_fmac_f32 v88, v33, v54 :: v_dual_fmac_f32 v29, v31, v48
	v_fma_f32 v31, v50, v46, -v34
	v_fma_f32 v34, v50, v48, -v36
	v_mul_f32_e32 v36, v32, v57
	v_mul_f32_e32 v47, v50, v49
	v_dual_mul_f32 v50, v53, v57 :: v_dual_fmac_f32 v35, v51, v46
	v_mul_f32_e32 v46, v53, v55
	v_mul_f32_e32 v49, v33, v55
	v_fma_f32 v30, v30, v48, -v87
	v_fmac_f32_e32 v36, v33, v56
	v_dual_fmac_f32 v47, v51, v48 :: v_dual_mul_f32 v48, v52, v55
	v_mul_f32_e32 v33, v52, v57
	v_fma_f32 v46, v52, v54, -v46
	v_fma_f32 v50, v52, v56, -v50
	v_mul_f32_e32 v52, v38, v61
	v_fma_f32 v49, v32, v54, -v49
	v_fma_f32 v32, v32, v56, -v90
	v_dual_mul_f32 v51, v39, v59 :: v_dual_fmac_f32 v48, v53, v54
	v_mul_f32_e32 v54, v70, v59
	v_dual_mul_f32 v55, v38, v59 :: v_dual_fmac_f32 v52, v39, v60
	v_fmac_f32_e32 v33, v53, v56
	v_mul_f32_e32 v53, v71, v59
	v_mul_f32_e32 v56, v71, v61
	;; [unrolled: 1-line block ×3, first 2 shown]
	v_fmac_f32_e32 v54, v71, v58
	v_fmac_f32_e32 v55, v39, v58
	v_fma_f32 v39, v70, v58, -v53
	v_fma_f32 v53, v70, v60, -v56
	v_mul_f32_e32 v56, v40, v65
	v_mul_f32_e32 v59, v70, v61
	v_fma_f32 v51, v38, v58, -v51
	v_mul_f32_e32 v58, v72, v63
	v_mul_f32_e32 v87, v40, v63
	;; [unrolled: 1-line block ×4, first 2 shown]
	v_fma_f32 v38, v38, v60, -v57
	v_mul_f32_e32 v57, v73, v63
	v_fmac_f32_e32 v56, v41, v64
	v_dual_fmac_f32 v59, v71, v60 :: v_dual_mul_f32 v60, v73, v65
	v_mul_f32_e32 v63, v43, v67
	v_mul_f32_e32 v70, v43, v69
	v_fmac_f32_e32 v58, v73, v62
	v_fmac_f32_e32 v87, v41, v62
	v_mul_f32_e32 v41, v72, v65
	v_fma_f32 v61, v40, v62, -v61
	v_fma_f32 v40, v40, v64, -v90
	v_mul_f32_e32 v65, v42, v67
	v_fma_f32 v57, v72, v62, -v57
	v_fma_f32 v60, v72, v64, -v60
	v_dual_fmac_f32 v41, v73, v64 :: v_dual_mul_f32 v62, v42, v69
	v_mul_f32_e32 v64, v75, v67
	v_fma_f32 v63, v42, v66, -v63
	v_fma_f32 v42, v42, v68, -v70
	v_mul_f32_e32 v70, v76, v79
	v_mul_f32_e32 v67, v74, v67
	;; [unrolled: 1-line block ×3, first 2 shown]
	v_dual_mul_f32 v69, v74, v69 :: v_dual_add_f32 v8, v8, v23
	v_mul_f32_e32 v73, v44, v79
	v_dual_fmac_f32 v65, v43, v66 :: v_dual_add_f32 v12, v12, v85
	v_fmac_f32_e32 v62, v43, v68
	v_fma_f32 v43, v74, v66, -v64
	v_fmac_f32_e32 v70, v77, v78
	v_dual_fmac_f32 v67, v75, v66 :: v_dual_add_f32 v16, v16, v89
	v_mul_f32_e32 v66, v44, v81
	v_mul_f32_e32 v72, v45, v79
	;; [unrolled: 1-line block ×3, first 2 shown]
	v_fma_f32 v64, v74, v68, -v71
	v_dual_fmac_f32 v69, v75, v68 :: v_dual_add_f32 v0, v0, v18
	v_dual_mul_f32 v71, v77, v81 :: v_dual_add_f32 v12, v12, v20
	v_fmac_f32_e32 v73, v45, v78
	v_fmac_f32_e32 v66, v45, v80
	s_delay_alu instid0(VALU_DEP_4) | instskip(SKIP_3) | instid1(VALU_DEP_3)
	v_add_f32_e32 v0, v0, v28
	v_mul_f32_e32 v45, v76, v81
	v_dual_add_f32 v15, v15, v82 :: v_dual_add_f32 v12, v12, v29
	v_dual_add_f32 v9, v9, v19 :: v_dual_add_f32 v16, v16, v86
	v_dual_fmac_f32 v45, v77, v80 :: v_dual_add_f32 v8, v8, v26
	v_add_f32_e32 v11, v11, v22
	v_dual_add_f32 v1, v1, v21 :: v_dual_add_f32 v0, v0, v34
	s_delay_alu instid0(VALU_DEP_4) | instskip(NEXT) | instid1(VALU_DEP_4)
	v_dual_add_f32 v9, v9, v27 :: v_dual_add_f32 v16, v16, v88
	v_dual_add_f32 v8, v8, v31 :: v_dual_add_f32 v15, v15, v84
	s_delay_alu instid0(VALU_DEP_3) | instskip(NEXT) | instid1(VALU_DEP_4)
	v_dual_add_f32 v11, v11, v24 :: v_dual_add_f32 v0, v0, v50
	v_dual_add_f32 v1, v1, v25 :: v_dual_add_f32 v12, v12, v36
	s_delay_alu instid0(VALU_DEP_4) | instskip(NEXT) | instid1(VALU_DEP_3)
	v_add_f32_e32 v9, v9, v35
	v_add_f32_e32 v11, v11, v30
	v_dual_add_f32 v8, v8, v46 :: v_dual_add_f32 v15, v15, v37
	v_add_f32_e32 v16, v16, v55
	v_dual_add_f32 v12, v12, v52 :: v_dual_add_f32 v1, v1, v47
	s_delay_alu instid0(VALU_DEP_4) | instskip(NEXT) | instid1(VALU_DEP_4)
	v_add_f32_e32 v11, v11, v32
	v_dual_add_f32 v15, v15, v49 :: v_dual_add_f32 v8, v8, v39
	v_dual_add_f32 v0, v0, v53 :: v_dual_add_f32 v9, v9, v48
	s_delay_alu instid0(VALU_DEP_4) | instskip(SKIP_1) | instid1(VALU_DEP_3)
	v_dual_add_f32 v12, v12, v56 :: v_dual_add_f32 v1, v1, v33
	v_mul_f32_e32 v68, v77, v79
	v_add_f32_e32 v0, v0, v60
	v_add_f32_e32 v16, v16, v87
	;; [unrolled: 1-line block ×3, first 2 shown]
	v_dual_add_f32 v1, v1, v59 :: v_dual_add_f32 v12, v12, v62
	v_dual_add_f32 v8, v8, v57 :: v_dual_add_f32 v11, v11, v38
	;; [unrolled: 1-line block ×3, first 2 shown]
	v_fma_f32 v68, v76, v78, -v68
	v_fma_f32 v71, v76, v80, -v71
	v_add_f32_e32 v1, v1, v41
	v_add_f32_e32 v16, v16, v65
	v_dual_add_f32 v15, v15, v61 :: v_dual_add_f32 v12, v12, v66
	v_dual_add_f32 v8, v8, v43 :: v_dual_add_f32 v11, v11, v40
	s_delay_alu instid0(VALU_DEP_3) | instskip(SKIP_1) | instid1(VALU_DEP_3)
	v_dual_add_f32 v16, v16, v73 :: v_dual_add_f32 v9, v9, v58
	v_fma_f32 v72, v44, v78, -v72
	v_add_f32_e32 v8, v8, v68
	v_fma_f32 v44, v44, v80, -v90
	v_add_f32_e32 v15, v15, v63
	v_add_f32_e32 v11, v11, v42
	;; [unrolled: 1-line block ×3, first 2 shown]
	v_dual_add_f32 v0, v0, v71 :: v_dual_add_f32 v1, v1, v69
	s_delay_alu instid0(VALU_DEP_4) | instskip(NEXT) | instid1(VALU_DEP_4)
	v_add_f32_e32 v15, v15, v72
	v_add_f32_e32 v11, v11, v44
	s_delay_alu instid0(VALU_DEP_4) | instskip(NEXT) | instid1(VALU_DEP_4)
	v_add_f32_e32 v9, v9, v70
	v_add_f32_e32 v1, v1, v45
	s_cbranch_scc0 .LBB181_2
.LBB181_3:
	s_clause 0x2
	s_load_b32 s3, s[0:1], 0x50
	s_load_b64 s[6:7], s[0:1], 0x58
	s_load_b64 s[8:9], s[0:1], 0x48
	v_add_nc_u32_e32 v7, s13, v7
	v_add_nc_u32_e32 v2, s12, v6
	s_delay_alu instid0(VALU_DEP_1)
	v_cmp_le_i32_e64 s0, v7, v2
	v_cmp_gt_i32_e32 vcc_lo, s2, v2
	s_waitcnt lgkmcnt(0)
	v_mad_i64_i32 v[3:4], null, v7, s3, 0
	s_mul_i32 s1, s15, s7
	s_mul_hi_u32 s7, s15, s6
	s_mul_i32 s6, s15, s6
	s_add_i32 s7, s7, s1
	s_delay_alu instid0(SALU_CYCLE_1) | instskip(NEXT) | instid1(VALU_DEP_1)
	s_lshl_b64 s[6:7], s[6:7], 3
	v_lshlrev_b64 v[3:4], 3, v[3:4]
	s_add_u32 s6, s8, s6
	s_addc_u32 s7, s9, s7
	s_and_b32 s0, s0, vcc_lo
	s_delay_alu instid0(VALU_DEP_1) | instskip(NEXT) | instid1(VALU_DEP_1)
	v_add_co_u32 v6, s1, s6, v3
	v_add_co_ci_u32_e64 v10, s1, s7, v4, s1
	s_and_saveexec_b32 s1, s0
	s_cbranch_execz .LBB181_5
; %bb.4:
	v_ashrrev_i32_e32 v3, 31, v2
	v_mul_f32_e32 v4, s4, v16
	v_mul_f32_e32 v5, s5, v16
	s_delay_alu instid0(VALU_DEP_3) | instskip(NEXT) | instid1(VALU_DEP_3)
	v_lshlrev_b64 v[13:14], 3, v[2:3]
	v_fmac_f32_e32 v4, s5, v15
	s_delay_alu instid0(VALU_DEP_3) | instskip(NEXT) | instid1(VALU_DEP_3)
	v_fma_f32 v3, v15, s4, -v5
	v_add_co_u32 v13, s0, v6, v13
	s_delay_alu instid0(VALU_DEP_1)
	v_add_co_ci_u32_e64 v14, s0, v10, v14, s0
	global_store_b64 v[13:14], v[3:4], off
.LBB181_5:
	s_or_b32 exec_lo, exec_lo, s1
	v_add_nc_u32_e32 v4, 16, v2
	s_delay_alu instid0(VALU_DEP_1) | instskip(SKIP_1) | instid1(VALU_DEP_1)
	v_cmp_le_i32_e64 s1, v7, v4
	v_cmp_gt_i32_e64 s0, s2, v4
	s_and_b32 s1, s1, s0
	s_delay_alu instid0(SALU_CYCLE_1)
	s_and_saveexec_b32 s2, s1
	s_cbranch_execz .LBB181_7
; %bb.6:
	v_ashrrev_i32_e32 v5, 31, v4
	v_mul_f32_e32 v3, s5, v12
	v_mul_f32_e32 v13, s4, v12
	s_delay_alu instid0(VALU_DEP_3) | instskip(NEXT) | instid1(VALU_DEP_3)
	v_lshlrev_b64 v[14:15], 3, v[4:5]
	v_fma_f32 v12, v11, s4, -v3
	s_delay_alu instid0(VALU_DEP_3) | instskip(NEXT) | instid1(VALU_DEP_3)
	v_fmac_f32_e32 v13, s5, v11
	v_add_co_u32 v5, s1, v6, v14
	s_delay_alu instid0(VALU_DEP_1)
	v_add_co_ci_u32_e64 v6, s1, v10, v15, s1
	global_store_b64 v[5:6], v[12:13], off
.LBB181_7:
	s_or_b32 exec_lo, exec_lo, s2
	v_add_nc_u32_e32 v5, 16, v7
	s_delay_alu instid0(VALU_DEP_1) | instskip(SKIP_1) | instid1(VALU_DEP_2)
	v_mad_i64_i32 v[6:7], null, v5, s3, 0
	v_cmp_le_i32_e64 s1, v5, v2
	v_lshlrev_b64 v[6:7], 3, v[6:7]
	s_delay_alu instid0(VALU_DEP_1) | instskip(NEXT) | instid1(VALU_DEP_1)
	v_add_co_u32 v6, s2, s6, v6
	v_add_co_ci_u32_e64 v7, s2, s7, v7, s2
	s_delay_alu instid0(VALU_DEP_4) | instskip(NEXT) | instid1(SALU_CYCLE_1)
	s_and_b32 s2, s1, vcc_lo
	s_and_saveexec_b32 s1, s2
	s_cbranch_execz .LBB181_9
; %bb.8:
	v_ashrrev_i32_e32 v3, 31, v2
	v_mul_f32_e32 v10, s4, v9
	v_mul_f32_e32 v11, s5, v9
	s_delay_alu instid0(VALU_DEP_3) | instskip(NEXT) | instid1(VALU_DEP_3)
	v_lshlrev_b64 v[2:3], 3, v[2:3]
	v_fmac_f32_e32 v10, s5, v8
	s_delay_alu instid0(VALU_DEP_3) | instskip(NEXT) | instid1(VALU_DEP_3)
	v_fma_f32 v9, v8, s4, -v11
	v_add_co_u32 v2, vcc_lo, v6, v2
	s_delay_alu instid0(VALU_DEP_4)
	v_add_co_ci_u32_e32 v3, vcc_lo, v7, v3, vcc_lo
	global_store_b64 v[2:3], v[9:10], off
.LBB181_9:
	s_or_b32 exec_lo, exec_lo, s1
	v_cmp_le_i32_e32 vcc_lo, v5, v4
	s_and_b32 s0, vcc_lo, s0
	s_delay_alu instid0(SALU_CYCLE_1)
	s_and_saveexec_b32 s1, s0
	s_cbranch_execz .LBB181_11
; %bb.10:
	v_ashrrev_i32_e32 v5, 31, v4
	v_mul_f32_e32 v8, s5, v1
	v_mul_f32_e32 v2, s4, v1
	s_delay_alu instid0(VALU_DEP_3) | instskip(NEXT) | instid1(VALU_DEP_3)
	v_lshlrev_b64 v[3:4], 3, v[4:5]
	v_fma_f32 v1, v0, s4, -v8
	s_delay_alu instid0(VALU_DEP_3) | instskip(NEXT) | instid1(VALU_DEP_3)
	v_fmac_f32_e32 v2, s5, v0
	v_add_co_u32 v3, vcc_lo, v6, v3
	s_delay_alu instid0(VALU_DEP_4)
	v_add_co_ci_u32_e32 v4, vcc_lo, v7, v4, vcc_lo
	global_store_b64 v[3:4], v[1:2], off
.LBB181_11:
	s_nop 0
	s_sendmsg sendmsg(MSG_DEALLOC_VGPRS)
	s_endpgm
	.section	.rodata,"a",@progbits
	.p2align	6, 0x0
	.amdhsa_kernel _ZL37rocblas_syrkx_herkx_restricted_kernelIi19rocblas_complex_numIfELi16ELi32ELi8ELb1ELb0ELc67ELc76EKS1_S1_EviT_T0_PT8_S3_lS6_S3_lS4_PT9_S3_li
		.amdhsa_group_segment_fixed_size 4096
		.amdhsa_private_segment_fixed_size 0
		.amdhsa_kernarg_size 100
		.amdhsa_user_sgpr_count 13
		.amdhsa_user_sgpr_dispatch_ptr 0
		.amdhsa_user_sgpr_queue_ptr 0
		.amdhsa_user_sgpr_kernarg_segment_ptr 1
		.amdhsa_user_sgpr_dispatch_id 0
		.amdhsa_user_sgpr_private_segment_size 0
		.amdhsa_wavefront_size32 1
		.amdhsa_uses_dynamic_stack 0
		.amdhsa_enable_private_segment 0
		.amdhsa_system_sgpr_workgroup_id_x 1
		.amdhsa_system_sgpr_workgroup_id_y 1
		.amdhsa_system_sgpr_workgroup_id_z 1
		.amdhsa_system_sgpr_workgroup_info 0
		.amdhsa_system_vgpr_workitem_id 1
		.amdhsa_next_free_vgpr 91
		.amdhsa_next_free_sgpr 20
		.amdhsa_reserve_vcc 1
		.amdhsa_float_round_mode_32 0
		.amdhsa_float_round_mode_16_64 0
		.amdhsa_float_denorm_mode_32 3
		.amdhsa_float_denorm_mode_16_64 3
		.amdhsa_dx10_clamp 1
		.amdhsa_ieee_mode 1
		.amdhsa_fp16_overflow 0
		.amdhsa_workgroup_processor_mode 1
		.amdhsa_memory_ordered 1
		.amdhsa_forward_progress 0
		.amdhsa_shared_vgpr_count 0
		.amdhsa_exception_fp_ieee_invalid_op 0
		.amdhsa_exception_fp_denorm_src 0
		.amdhsa_exception_fp_ieee_div_zero 0
		.amdhsa_exception_fp_ieee_overflow 0
		.amdhsa_exception_fp_ieee_underflow 0
		.amdhsa_exception_fp_ieee_inexact 0
		.amdhsa_exception_int_div_zero 0
	.end_amdhsa_kernel
	.section	.text._ZL37rocblas_syrkx_herkx_restricted_kernelIi19rocblas_complex_numIfELi16ELi32ELi8ELb1ELb0ELc67ELc76EKS1_S1_EviT_T0_PT8_S3_lS6_S3_lS4_PT9_S3_li,"axG",@progbits,_ZL37rocblas_syrkx_herkx_restricted_kernelIi19rocblas_complex_numIfELi16ELi32ELi8ELb1ELb0ELc67ELc76EKS1_S1_EviT_T0_PT8_S3_lS6_S3_lS4_PT9_S3_li,comdat
.Lfunc_end181:
	.size	_ZL37rocblas_syrkx_herkx_restricted_kernelIi19rocblas_complex_numIfELi16ELi32ELi8ELb1ELb0ELc67ELc76EKS1_S1_EviT_T0_PT8_S3_lS6_S3_lS4_PT9_S3_li, .Lfunc_end181-_ZL37rocblas_syrkx_herkx_restricted_kernelIi19rocblas_complex_numIfELi16ELi32ELi8ELb1ELb0ELc67ELc76EKS1_S1_EviT_T0_PT8_S3_lS6_S3_lS4_PT9_S3_li
                                        ; -- End function
	.section	.AMDGPU.csdata,"",@progbits
; Kernel info:
; codeLenInByte = 2120
; NumSgprs: 22
; NumVgprs: 91
; ScratchSize: 0
; MemoryBound: 0
; FloatMode: 240
; IeeeMode: 1
; LDSByteSize: 4096 bytes/workgroup (compile time only)
; SGPRBlocks: 2
; VGPRBlocks: 11
; NumSGPRsForWavesPerEU: 22
; NumVGPRsForWavesPerEU: 91
; Occupancy: 16
; WaveLimiterHint : 0
; COMPUTE_PGM_RSRC2:SCRATCH_EN: 0
; COMPUTE_PGM_RSRC2:USER_SGPR: 13
; COMPUTE_PGM_RSRC2:TRAP_HANDLER: 0
; COMPUTE_PGM_RSRC2:TGID_X_EN: 1
; COMPUTE_PGM_RSRC2:TGID_Y_EN: 1
; COMPUTE_PGM_RSRC2:TGID_Z_EN: 1
; COMPUTE_PGM_RSRC2:TIDIG_COMP_CNT: 1
	.section	.text._ZL37rocblas_syrkx_herkx_restricted_kernelIi19rocblas_complex_numIfELi16ELi32ELi8ELb1ELb0ELc78ELc76EKS1_S1_EviT_T0_PT8_S3_lS6_S3_lS4_PT9_S3_li,"axG",@progbits,_ZL37rocblas_syrkx_herkx_restricted_kernelIi19rocblas_complex_numIfELi16ELi32ELi8ELb1ELb0ELc78ELc76EKS1_S1_EviT_T0_PT8_S3_lS6_S3_lS4_PT9_S3_li,comdat
	.globl	_ZL37rocblas_syrkx_herkx_restricted_kernelIi19rocblas_complex_numIfELi16ELi32ELi8ELb1ELb0ELc78ELc76EKS1_S1_EviT_T0_PT8_S3_lS6_S3_lS4_PT9_S3_li ; -- Begin function _ZL37rocblas_syrkx_herkx_restricted_kernelIi19rocblas_complex_numIfELi16ELi32ELi8ELb1ELb0ELc78ELc76EKS1_S1_EviT_T0_PT8_S3_lS6_S3_lS4_PT9_S3_li
	.p2align	8
	.type	_ZL37rocblas_syrkx_herkx_restricted_kernelIi19rocblas_complex_numIfELi16ELi32ELi8ELb1ELb0ELc78ELc76EKS1_S1_EviT_T0_PT8_S3_lS6_S3_lS4_PT9_S3_li,@function
_ZL37rocblas_syrkx_herkx_restricted_kernelIi19rocblas_complex_numIfELi16ELi32ELi8ELb1ELb0ELc78ELc76EKS1_S1_EviT_T0_PT8_S3_lS6_S3_lS4_PT9_S3_li: ; @_ZL37rocblas_syrkx_herkx_restricted_kernelIi19rocblas_complex_numIfELi16ELi32ELi8ELb1ELb0ELc78ELc76EKS1_S1_EviT_T0_PT8_S3_lS6_S3_lS4_PT9_S3_li
; %bb.0:
	s_clause 0x1
	s_load_b64 s[2:3], s[0:1], 0x0
	s_load_b128 s[4:7], s[0:1], 0x8
	v_dual_mov_b32 v17, 0 :: v_dual_and_b32 v4, 0x3ff, v0
	v_bfe_u32 v5, v0, 10, 10
	v_dual_mov_b32 v16, 0 :: v_dual_mov_b32 v9, 0
	v_dual_mov_b32 v10, 0 :: v_dual_mov_b32 v7, 0
	v_mov_b32_e32 v12, 0
	v_mov_b32_e32 v8, 0
	;; [unrolled: 1-line block ×3, first 2 shown]
	s_lshl_b32 s12, s13, 5
	s_lshl_b32 s13, s14, 5
	s_mov_b32 s14, 0
	s_waitcnt lgkmcnt(0)
	s_cmp_lt_i32 s3, 1
	s_cbranch_scc1 .LBB182_3
; %bb.1:
	s_clause 0x1
	s_load_b32 s16, s[0:1], 0x18
	s_load_b32 s18, s[0:1], 0x30
	v_lshl_add_u32 v0, v5, 4, v4
	v_and_b32_e32 v8, 7, v4
	s_clause 0x1
	s_load_b128 s[8:11], s[0:1], 0x20
	s_load_b64 s[20:21], s[0:1], 0x38
	v_lshlrev_b32_e32 v14, 3, v4
	v_lshrrev_b32_e32 v1, 3, v0
	v_and_b32_e32 v2, 31, v0
	v_lshrrev_b32_e32 v9, 5, v0
	v_lshlrev_b32_e32 v3, 3, v8
	s_delay_alu instid0(VALU_DEP_4) | instskip(NEXT) | instid1(VALU_DEP_4)
	v_dual_mov_b32 v17, 0 :: v_dual_add_nc_u32 v0, s13, v1
	v_lshlrev_b32_e32 v6, 3, v2
	v_add_nc_u32_e32 v2, s12, v2
	s_delay_alu instid0(VALU_DEP_4)
	v_lshl_or_b32 v10, v1, 6, v3
	v_lshl_add_u32 v15, v5, 6, 0x800
	v_ashrrev_i32_e32 v1, 31, v0
	v_lshl_or_b32 v11, v9, 8, v6
	v_ashrrev_i32_e32 v3, 31, v2
	s_waitcnt lgkmcnt(0)
	s_ashr_i32 s17, s16, 31
	s_ashr_i32 s19, s18, 31
	v_mad_i64_i32 v[6:7], null, s18, v8, v[0:1]
	v_mad_i64_i32 v[0:1], null, s16, v9, v[2:3]
	s_mul_i32 s9, s9, s15
	s_mul_hi_u32 s22, s8, s15
	s_mul_i32 s8, s8, s15
	s_add_i32 s9, s22, s9
	v_dual_mov_b32 v8, 0 :: v_dual_add_nc_u32 v13, 0x800, v10
	s_delay_alu instid0(VALU_DEP_2)
	v_lshlrev_b64 v[0:1], 3, v[0:1]
	s_lshl_b64 s[8:9], s[8:9], 3
	v_mov_b32_e32 v9, 0
	s_add_u32 s6, s6, s8
	s_addc_u32 s7, s7, s9
	s_mul_i32 s8, s21, s15
	s_mul_hi_u32 s9, s20, s15
	v_add_co_u32 v2, vcc_lo, s6, v0
	v_add_co_ci_u32_e32 v3, vcc_lo, s7, v1, vcc_lo
	s_add_i32 s7, s9, s8
	s_mul_i32 s6, s20, s15
	v_lshlrev_b64 v[0:1], 3, v[6:7]
	s_lshl_b64 s[8:9], s[6:7], 3
	s_lshl_b64 s[6:7], s[16:17], 6
	s_add_u32 s8, s10, s8
	s_addc_u32 s9, s11, s9
	v_mov_b32_e32 v12, 0
	v_add_co_u32 v6, vcc_lo, s8, v0
	v_add_co_ci_u32_e32 v7, vcc_lo, s9, v1, vcc_lo
	v_add_co_u32 v0, vcc_lo, v2, 4
	v_add_co_ci_u32_e32 v1, vcc_lo, 0, v3, vcc_lo
	s_delay_alu instid0(VALU_DEP_4) | instskip(NEXT) | instid1(VALU_DEP_4)
	v_add_co_u32 v2, vcc_lo, v6, 4
	v_add_co_ci_u32_e32 v3, vcc_lo, 0, v7, vcc_lo
	v_dual_mov_b32 v7, 0 :: v_dual_mov_b32 v6, 0
	v_mov_b32_e32 v10, 0
	v_mov_b32_e32 v16, 0
	s_lshl_b64 s[8:9], s[18:19], 6
.LBB182_2:                              ; =>This Inner Loop Header: Depth=1
	global_load_b64 v[18:19], v[0:1], off offset:-4
	global_load_b64 v[20:21], v[2:3], off offset:-4
	v_add_co_u32 v0, vcc_lo, v0, s6
	v_add_co_ci_u32_e32 v1, vcc_lo, s7, v1, vcc_lo
	v_add_co_u32 v2, vcc_lo, v2, s8
	v_add_co_ci_u32_e32 v3, vcc_lo, s9, v3, vcc_lo
	s_add_i32 s14, s14, 8
	s_waitcnt vmcnt(1)
	ds_store_b64 v11, v[18:19]
	s_waitcnt vmcnt(0)
	ds_store_b64 v13, v[20:21]
	s_waitcnt lgkmcnt(0)
	s_barrier
	buffer_gl0_inv
	ds_load_2addr_b64 v[18:21], v14 offset1:16
	ds_load_b128 v[22:25], v15
	ds_load_b128 v[26:29], v15 offset:1024
	ds_load_b128 v[30:33], v15 offset:16
	ds_load_2addr_b64 v[34:37], v14 offset0:32 offset1:48
	ds_load_b128 v[38:41], v15 offset:32
	ds_load_b128 v[42:45], v15 offset:48
	ds_load_2addr_b64 v[46:49], v14 offset0:64 offset1:80
	ds_load_b128 v[50:53], v15 offset:1040
	ds_load_2addr_b64 v[54:57], v14 offset0:96 offset1:112
	ds_load_2addr_b64 v[58:61], v14 offset0:128 offset1:144
	;; [unrolled: 1-line block ×4, first 2 shown]
	ds_load_b128 v[70:73], v15 offset:1056
	ds_load_b128 v[74:77], v15 offset:1072
	ds_load_2addr_b64 v[78:81], v14 offset0:224 offset1:240
	s_cmp_ge_i32 s14, s3
	s_waitcnt lgkmcnt(0)
	s_barrier
	buffer_gl0_inv
	v_dual_mul_f32 v82, v23, v19 :: v_dual_mul_f32 v85, v22, v21
	v_dual_mul_f32 v83, v22, v19 :: v_dual_mul_f32 v84, v23, v21
	v_mul_f32_e32 v86, v27, v19
	v_dual_mul_f32 v19, v26, v19 :: v_dual_mul_f32 v90, v25, v37
	v_dual_mul_f32 v87, v27, v21 :: v_dual_mul_f32 v88, v25, v35
	v_mul_f32_e32 v21, v26, v21
	v_mul_f32_e32 v89, v24, v35
	;; [unrolled: 1-line block ×3, first 2 shown]
	v_fma_f32 v82, v22, v18, -v82
	v_fmac_f32_e32 v83, v23, v18
	v_fma_f32 v22, v22, v20, -v84
	v_dual_fmac_f32 v85, v23, v20 :: v_dual_mul_f32 v84, v30, v47
	v_fma_f32 v23, v26, v18, -v86
	v_fmac_f32_e32 v19, v27, v18
	v_fma_f32 v18, v26, v20, -v87
	v_dual_mul_f32 v26, v28, v35 :: v_dual_fmac_f32 v21, v27, v20
	v_mul_f32_e32 v20, v29, v35
	v_mul_f32_e32 v27, v29, v37
	v_dual_mul_f32 v35, v28, v37 :: v_dual_fmac_f32 v84, v31, v46
	v_fma_f32 v37, v24, v34, -v88
	v_fma_f32 v24, v24, v36, -v90
	v_dual_fmac_f32 v91, v25, v36 :: v_dual_mul_f32 v90, v32, v57
	v_dual_mul_f32 v86, v31, v49 :: v_dual_fmac_f32 v89, v25, v34
	v_dual_mul_f32 v25, v31, v47 :: v_dual_mul_f32 v88, v33, v57
	v_fma_f32 v20, v28, v34, -v20
	v_fmac_f32_e32 v26, v29, v34
	v_fma_f32 v27, v28, v36, -v27
	v_dual_fmac_f32 v35, v29, v36 :: v_dual_mul_f32 v28, v51, v47
	v_dual_mul_f32 v29, v50, v47 :: v_dual_mul_f32 v34, v51, v49
	v_mul_f32_e32 v36, v50, v49
	v_mul_f32_e32 v87, v30, v49
	;; [unrolled: 1-line block ×3, first 2 shown]
	v_dual_mul_f32 v49, v32, v55 :: v_dual_fmac_f32 v90, v33, v56
	v_fma_f32 v25, v30, v46, -v25
	v_fma_f32 v30, v30, v48, -v86
	;; [unrolled: 1-line block ×3, first 2 shown]
	v_fmac_f32_e32 v36, v51, v48
	v_fmac_f32_e32 v87, v31, v48
	v_fma_f32 v31, v50, v48, -v34
	v_mul_f32_e32 v34, v53, v55
	v_mul_f32_e32 v48, v53, v57
	v_dual_mul_f32 v50, v52, v57 :: v_dual_fmac_f32 v29, v51, v46
	v_mul_f32_e32 v46, v52, v55
	v_fma_f32 v47, v32, v54, -v47
	v_fmac_f32_e32 v49, v33, v54
	v_fma_f32 v32, v32, v56, -v88
	s_delay_alu instid0(VALU_DEP_4)
	v_dual_mul_f32 v33, v39, v59 :: v_dual_fmac_f32 v46, v53, v54
	v_mul_f32_e32 v51, v38, v59
	v_mul_f32_e32 v55, v39, v61
	v_fma_f32 v34, v52, v54, -v34
	v_fma_f32 v48, v52, v56, -v48
	v_fmac_f32_e32 v50, v53, v56
	v_mul_f32_e32 v52, v71, v59
	v_dual_mul_f32 v53, v70, v59 :: v_dual_mul_f32 v86, v41, v65
	v_mul_f32_e32 v54, v71, v61
	v_dual_mul_f32 v56, v70, v61 :: v_dual_mul_f32 v59, v41, v63
	v_mul_f32_e32 v57, v38, v61
	v_mul_f32_e32 v61, v40, v63
	v_dual_mul_f32 v88, v40, v65 :: v_dual_fmac_f32 v51, v39, v58
	v_fma_f32 v33, v38, v58, -v33
	v_fmac_f32_e32 v53, v71, v58
	v_fmac_f32_e32 v56, v71, v60
	s_delay_alu instid0(VALU_DEP_4)
	v_fmac_f32_e32 v88, v41, v64
	v_fmac_f32_e32 v57, v39, v60
	v_fma_f32 v39, v70, v58, -v52
	v_fma_f32 v52, v70, v60, -v54
	v_mul_f32_e32 v54, v73, v63
	v_fma_f32 v38, v38, v60, -v55
	v_mul_f32_e32 v60, v72, v65
	v_dual_mul_f32 v55, v72, v63 :: v_dual_mul_f32 v70, v42, v69
	v_mul_f32_e32 v58, v73, v65
	v_fma_f32 v59, v40, v62, -v59
	v_fmac_f32_e32 v61, v41, v62
	v_fma_f32 v40, v40, v64, -v86
	v_dual_mul_f32 v41, v43, v67 :: v_dual_fmac_f32 v60, v73, v64
	v_dual_mul_f32 v63, v42, v67 :: v_dual_mul_f32 v86, v44, v81
	v_mul_f32_e32 v65, v43, v69
	v_fma_f32 v54, v72, v62, -v54
	v_fmac_f32_e32 v55, v73, v62
	v_fma_f32 v58, v72, v64, -v58
	v_mul_f32_e32 v72, v44, v79
	v_mul_f32_e32 v62, v75, v67
	v_dual_mul_f32 v64, v74, v67 :: v_dual_mul_f32 v67, v75, v69
	v_dual_mul_f32 v69, v74, v69 :: v_dual_fmac_f32 v70, v43, v68
	s_delay_alu instid0(VALU_DEP_2)
	v_dual_mul_f32 v71, v45, v79 :: v_dual_fmac_f32 v64, v75, v66
	v_dual_mul_f32 v73, v45, v81 :: v_dual_add_f32 v16, v16, v82
	v_fma_f32 v41, v42, v66, -v41
	v_fmac_f32_e32 v63, v43, v66
	v_fma_f32 v43, v74, v66, -v62
	v_mul_f32_e32 v66, v76, v79
	v_dual_fmac_f32 v86, v45, v80 :: v_dual_add_f32 v7, v7, v21
	v_dual_add_f32 v17, v17, v83 :: v_dual_add_f32 v12, v12, v85
	v_dual_add_f32 v9, v9, v19 :: v_dual_add_f32 v6, v6, v18
	v_fma_f32 v42, v42, v68, -v65
	v_fma_f32 v62, v74, v68, -v67
	v_dual_mul_f32 v65, v77, v79 :: v_dual_add_f32 v10, v10, v22
	v_dual_mul_f32 v67, v77, v81 :: v_dual_add_f32 v8, v8, v23
	v_dual_fmac_f32 v66, v77, v78 :: v_dual_add_f32 v7, v7, v35
	v_dual_add_f32 v16, v16, v37 :: v_dual_add_f32 v9, v9, v26
	s_delay_alu instid0(VALU_DEP_4) | instskip(SKIP_2) | instid1(VALU_DEP_3)
	v_dual_add_f32 v17, v17, v89 :: v_dual_add_f32 v10, v10, v24
	v_dual_fmac_f32 v69, v75, v68 :: v_dual_fmac_f32 v72, v45, v78
	v_mul_f32_e32 v68, v76, v81
	v_dual_add_f32 v12, v12, v91 :: v_dual_add_f32 v17, v17, v84
	v_dual_add_f32 v8, v8, v20 :: v_dual_add_f32 v9, v9, v29
	;; [unrolled: 1-line block ×3, first 2 shown]
	s_delay_alu instid0(VALU_DEP_4) | instskip(NEXT) | instid1(VALU_DEP_3)
	v_fmac_f32_e32 v68, v77, v80
	v_dual_add_f32 v16, v16, v25 :: v_dual_add_f32 v9, v9, v46
	v_dual_add_f32 v10, v10, v30 :: v_dual_add_f32 v17, v17, v49
	s_delay_alu instid0(VALU_DEP_4) | instskip(NEXT) | instid1(VALU_DEP_3)
	v_dual_add_f32 v7, v7, v50 :: v_dual_add_f32 v12, v12, v87
	v_dual_add_f32 v9, v9, v53 :: v_dual_add_f32 v8, v8, v28
	s_delay_alu instid0(VALU_DEP_3) | instskip(NEXT) | instid1(VALU_DEP_3)
	v_add_f32_e32 v17, v17, v51
	v_dual_add_f32 v6, v6, v31 :: v_dual_add_f32 v7, v7, v56
	v_add_f32_e32 v16, v16, v47
	s_delay_alu instid0(VALU_DEP_4) | instskip(NEXT) | instid1(VALU_DEP_3)
	v_dual_add_f32 v10, v10, v32 :: v_dual_add_f32 v9, v9, v55
	v_dual_add_f32 v12, v12, v90 :: v_dual_add_f32 v7, v7, v60
	s_delay_alu instid0(VALU_DEP_4) | instskip(SKIP_1) | instid1(VALU_DEP_4)
	v_dual_add_f32 v6, v6, v48 :: v_dual_add_f32 v17, v17, v61
	v_add_f32_e32 v8, v8, v34
	v_dual_add_f32 v16, v16, v33 :: v_dual_add_f32 v9, v9, v64
	s_delay_alu instid0(VALU_DEP_3) | instskip(SKIP_1) | instid1(VALU_DEP_4)
	v_dual_add_f32 v12, v12, v57 :: v_dual_add_f32 v17, v17, v63
	v_dual_add_f32 v10, v10, v38 :: v_dual_add_f32 v7, v7, v69
	v_add_f32_e32 v8, v8, v39
	v_add_f32_e32 v6, v6, v52
	s_delay_alu instid0(VALU_DEP_4) | instskip(NEXT) | instid1(VALU_DEP_4)
	v_dual_add_f32 v16, v16, v59 :: v_dual_add_f32 v17, v17, v72
	v_add_f32_e32 v7, v7, v68
	v_add_f32_e32 v10, v10, v40
	;; [unrolled: 1-line block ×4, first 2 shown]
	v_dual_add_f32 v9, v9, v66 :: v_dual_add_f32 v12, v12, v88
	v_fma_f32 v71, v44, v78, -v71
	v_fma_f32 v44, v44, v80, -v73
	;; [unrolled: 1-line block ×4, first 2 shown]
	v_add_f32_e32 v16, v16, v41
	v_add_f32_e32 v10, v10, v42
	;; [unrolled: 1-line block ×10, first 2 shown]
	s_cbranch_scc0 .LBB182_2
.LBB182_3:
	s_clause 0x2
	s_load_b32 s3, s[0:1], 0x50
	s_load_b64 s[6:7], s[0:1], 0x58
	s_load_b64 s[8:9], s[0:1], 0x48
	v_add_nc_u32_e32 v5, s13, v5
	v_add_nc_u32_e32 v0, s12, v4
	s_delay_alu instid0(VALU_DEP_1)
	v_cmp_le_i32_e64 s0, v5, v0
	v_cmp_gt_i32_e32 vcc_lo, s2, v0
	s_waitcnt lgkmcnt(0)
	v_mad_i64_i32 v[1:2], null, v5, s3, 0
	s_mul_i32 s1, s15, s7
	s_mul_hi_u32 s7, s15, s6
	s_mul_i32 s6, s15, s6
	s_add_i32 s7, s7, s1
	s_delay_alu instid0(SALU_CYCLE_1) | instskip(NEXT) | instid1(VALU_DEP_1)
	s_lshl_b64 s[6:7], s[6:7], 3
	v_lshlrev_b64 v[1:2], 3, v[1:2]
	s_add_u32 s6, s8, s6
	s_addc_u32 s7, s9, s7
	s_and_b32 s0, s0, vcc_lo
	s_delay_alu instid0(VALU_DEP_1) | instskip(NEXT) | instid1(VALU_DEP_1)
	v_add_co_u32 v4, s1, s6, v1
	v_add_co_ci_u32_e64 v11, s1, s7, v2, s1
	s_and_saveexec_b32 s1, s0
	s_cbranch_execz .LBB182_5
; %bb.4:
	v_ashrrev_i32_e32 v1, 31, v0
	v_mul_f32_e32 v2, s4, v17
	v_mul_f32_e32 v3, s5, v17
	s_delay_alu instid0(VALU_DEP_3) | instskip(NEXT) | instid1(VALU_DEP_3)
	v_lshlrev_b64 v[13:14], 3, v[0:1]
	v_fmac_f32_e32 v2, s5, v16
	s_delay_alu instid0(VALU_DEP_3) | instskip(NEXT) | instid1(VALU_DEP_3)
	v_fma_f32 v1, v16, s4, -v3
	v_add_co_u32 v13, s0, v4, v13
	s_delay_alu instid0(VALU_DEP_1)
	v_add_co_ci_u32_e64 v14, s0, v11, v14, s0
	global_store_b64 v[13:14], v[1:2], off
.LBB182_5:
	s_or_b32 exec_lo, exec_lo, s1
	v_add_nc_u32_e32 v2, 16, v0
	s_delay_alu instid0(VALU_DEP_1) | instskip(SKIP_1) | instid1(VALU_DEP_1)
	v_cmp_le_i32_e64 s1, v5, v2
	v_cmp_gt_i32_e64 s0, s2, v2
	s_and_b32 s1, s1, s0
	s_delay_alu instid0(SALU_CYCLE_1)
	s_and_saveexec_b32 s2, s1
	s_cbranch_execz .LBB182_7
; %bb.6:
	v_ashrrev_i32_e32 v3, 31, v2
	v_mul_f32_e32 v1, s5, v12
	v_mul_f32_e32 v13, s4, v12
	s_delay_alu instid0(VALU_DEP_3) | instskip(NEXT) | instid1(VALU_DEP_3)
	v_lshlrev_b64 v[14:15], 3, v[2:3]
	v_fma_f32 v12, v10, s4, -v1
	s_delay_alu instid0(VALU_DEP_3) | instskip(NEXT) | instid1(VALU_DEP_3)
	v_fmac_f32_e32 v13, s5, v10
	v_add_co_u32 v3, s1, v4, v14
	s_delay_alu instid0(VALU_DEP_1)
	v_add_co_ci_u32_e64 v4, s1, v11, v15, s1
	global_store_b64 v[3:4], v[12:13], off
.LBB182_7:
	s_or_b32 exec_lo, exec_lo, s2
	v_add_nc_u32_e32 v3, 16, v5
	s_delay_alu instid0(VALU_DEP_1) | instskip(SKIP_1) | instid1(VALU_DEP_2)
	v_mad_i64_i32 v[4:5], null, v3, s3, 0
	v_cmp_le_i32_e64 s1, v3, v0
	v_lshlrev_b64 v[4:5], 3, v[4:5]
	s_delay_alu instid0(VALU_DEP_1) | instskip(NEXT) | instid1(VALU_DEP_1)
	v_add_co_u32 v4, s2, s6, v4
	v_add_co_ci_u32_e64 v5, s2, s7, v5, s2
	s_delay_alu instid0(VALU_DEP_4) | instskip(NEXT) | instid1(SALU_CYCLE_1)
	s_and_b32 s2, s1, vcc_lo
	s_and_saveexec_b32 s1, s2
	s_cbranch_execz .LBB182_9
; %bb.8:
	v_ashrrev_i32_e32 v1, 31, v0
	v_mul_f32_e32 v10, s4, v9
	v_mul_f32_e32 v11, s5, v9
	s_delay_alu instid0(VALU_DEP_3) | instskip(NEXT) | instid1(VALU_DEP_3)
	v_lshlrev_b64 v[0:1], 3, v[0:1]
	v_fmac_f32_e32 v10, s5, v8
	s_delay_alu instid0(VALU_DEP_3) | instskip(NEXT) | instid1(VALU_DEP_3)
	v_fma_f32 v9, v8, s4, -v11
	v_add_co_u32 v0, vcc_lo, v4, v0
	s_delay_alu instid0(VALU_DEP_4)
	v_add_co_ci_u32_e32 v1, vcc_lo, v5, v1, vcc_lo
	global_store_b64 v[0:1], v[9:10], off
.LBB182_9:
	s_or_b32 exec_lo, exec_lo, s1
	v_cmp_le_i32_e32 vcc_lo, v3, v2
	s_and_b32 s0, vcc_lo, s0
	s_delay_alu instid0(SALU_CYCLE_1)
	s_and_saveexec_b32 s1, s0
	s_cbranch_execz .LBB182_11
; %bb.10:
	v_ashrrev_i32_e32 v3, 31, v2
	v_mul_f32_e32 v1, s4, v7
	v_mul_f32_e32 v0, s5, v7
	s_delay_alu instid0(VALU_DEP_3) | instskip(NEXT) | instid1(VALU_DEP_3)
	v_lshlrev_b64 v[2:3], 3, v[2:3]
	v_fmac_f32_e32 v1, s5, v6
	s_delay_alu instid0(VALU_DEP_3) | instskip(NEXT) | instid1(VALU_DEP_3)
	v_fma_f32 v0, v6, s4, -v0
	v_add_co_u32 v2, vcc_lo, v4, v2
	s_delay_alu instid0(VALU_DEP_4)
	v_add_co_ci_u32_e32 v3, vcc_lo, v5, v3, vcc_lo
	global_store_b64 v[2:3], v[0:1], off
.LBB182_11:
	s_nop 0
	s_sendmsg sendmsg(MSG_DEALLOC_VGPRS)
	s_endpgm
	.section	.rodata,"a",@progbits
	.p2align	6, 0x0
	.amdhsa_kernel _ZL37rocblas_syrkx_herkx_restricted_kernelIi19rocblas_complex_numIfELi16ELi32ELi8ELb1ELb0ELc78ELc76EKS1_S1_EviT_T0_PT8_S3_lS6_S3_lS4_PT9_S3_li
		.amdhsa_group_segment_fixed_size 4096
		.amdhsa_private_segment_fixed_size 0
		.amdhsa_kernarg_size 100
		.amdhsa_user_sgpr_count 13
		.amdhsa_user_sgpr_dispatch_ptr 0
		.amdhsa_user_sgpr_queue_ptr 0
		.amdhsa_user_sgpr_kernarg_segment_ptr 1
		.amdhsa_user_sgpr_dispatch_id 0
		.amdhsa_user_sgpr_private_segment_size 0
		.amdhsa_wavefront_size32 1
		.amdhsa_uses_dynamic_stack 0
		.amdhsa_enable_private_segment 0
		.amdhsa_system_sgpr_workgroup_id_x 1
		.amdhsa_system_sgpr_workgroup_id_y 1
		.amdhsa_system_sgpr_workgroup_id_z 1
		.amdhsa_system_sgpr_workgroup_info 0
		.amdhsa_system_vgpr_workitem_id 1
		.amdhsa_next_free_vgpr 92
		.amdhsa_next_free_sgpr 23
		.amdhsa_reserve_vcc 1
		.amdhsa_float_round_mode_32 0
		.amdhsa_float_round_mode_16_64 0
		.amdhsa_float_denorm_mode_32 3
		.amdhsa_float_denorm_mode_16_64 3
		.amdhsa_dx10_clamp 1
		.amdhsa_ieee_mode 1
		.amdhsa_fp16_overflow 0
		.amdhsa_workgroup_processor_mode 1
		.amdhsa_memory_ordered 1
		.amdhsa_forward_progress 0
		.amdhsa_shared_vgpr_count 0
		.amdhsa_exception_fp_ieee_invalid_op 0
		.amdhsa_exception_fp_denorm_src 0
		.amdhsa_exception_fp_ieee_div_zero 0
		.amdhsa_exception_fp_ieee_overflow 0
		.amdhsa_exception_fp_ieee_underflow 0
		.amdhsa_exception_fp_ieee_inexact 0
		.amdhsa_exception_int_div_zero 0
	.end_amdhsa_kernel
	.section	.text._ZL37rocblas_syrkx_herkx_restricted_kernelIi19rocblas_complex_numIfELi16ELi32ELi8ELb1ELb0ELc78ELc76EKS1_S1_EviT_T0_PT8_S3_lS6_S3_lS4_PT9_S3_li,"axG",@progbits,_ZL37rocblas_syrkx_herkx_restricted_kernelIi19rocblas_complex_numIfELi16ELi32ELi8ELb1ELb0ELc78ELc76EKS1_S1_EviT_T0_PT8_S3_lS6_S3_lS4_PT9_S3_li,comdat
.Lfunc_end182:
	.size	_ZL37rocblas_syrkx_herkx_restricted_kernelIi19rocblas_complex_numIfELi16ELi32ELi8ELb1ELb0ELc78ELc76EKS1_S1_EviT_T0_PT8_S3_lS6_S3_lS4_PT9_S3_li, .Lfunc_end182-_ZL37rocblas_syrkx_herkx_restricted_kernelIi19rocblas_complex_numIfELi16ELi32ELi8ELb1ELb0ELc78ELc76EKS1_S1_EviT_T0_PT8_S3_lS6_S3_lS4_PT9_S3_li
                                        ; -- End function
	.section	.AMDGPU.csdata,"",@progbits
; Kernel info:
; codeLenInByte = 2152
; NumSgprs: 25
; NumVgprs: 92
; ScratchSize: 0
; MemoryBound: 0
; FloatMode: 240
; IeeeMode: 1
; LDSByteSize: 4096 bytes/workgroup (compile time only)
; SGPRBlocks: 3
; VGPRBlocks: 11
; NumSGPRsForWavesPerEU: 25
; NumVGPRsForWavesPerEU: 92
; Occupancy: 16
; WaveLimiterHint : 0
; COMPUTE_PGM_RSRC2:SCRATCH_EN: 0
; COMPUTE_PGM_RSRC2:USER_SGPR: 13
; COMPUTE_PGM_RSRC2:TRAP_HANDLER: 0
; COMPUTE_PGM_RSRC2:TGID_X_EN: 1
; COMPUTE_PGM_RSRC2:TGID_Y_EN: 1
; COMPUTE_PGM_RSRC2:TGID_Z_EN: 1
; COMPUTE_PGM_RSRC2:TIDIG_COMP_CNT: 1
	.section	.text._ZL37rocblas_syrkx_herkx_restricted_kernelIi19rocblas_complex_numIfELi16ELi32ELi8ELb1ELb0ELc84ELc85EKS1_S1_EviT_T0_PT8_S3_lS6_S3_lS4_PT9_S3_li,"axG",@progbits,_ZL37rocblas_syrkx_herkx_restricted_kernelIi19rocblas_complex_numIfELi16ELi32ELi8ELb1ELb0ELc84ELc85EKS1_S1_EviT_T0_PT8_S3_lS6_S3_lS4_PT9_S3_li,comdat
	.globl	_ZL37rocblas_syrkx_herkx_restricted_kernelIi19rocblas_complex_numIfELi16ELi32ELi8ELb1ELb0ELc84ELc85EKS1_S1_EviT_T0_PT8_S3_lS6_S3_lS4_PT9_S3_li ; -- Begin function _ZL37rocblas_syrkx_herkx_restricted_kernelIi19rocblas_complex_numIfELi16ELi32ELi8ELb1ELb0ELc84ELc85EKS1_S1_EviT_T0_PT8_S3_lS6_S3_lS4_PT9_S3_li
	.p2align	8
	.type	_ZL37rocblas_syrkx_herkx_restricted_kernelIi19rocblas_complex_numIfELi16ELi32ELi8ELb1ELb0ELc84ELc85EKS1_S1_EviT_T0_PT8_S3_lS6_S3_lS4_PT9_S3_li,@function
_ZL37rocblas_syrkx_herkx_restricted_kernelIi19rocblas_complex_numIfELi16ELi32ELi8ELb1ELb0ELc84ELc85EKS1_S1_EviT_T0_PT8_S3_lS6_S3_lS4_PT9_S3_li: ; @_ZL37rocblas_syrkx_herkx_restricted_kernelIi19rocblas_complex_numIfELi16ELi32ELi8ELb1ELb0ELc84ELc85EKS1_S1_EviT_T0_PT8_S3_lS6_S3_lS4_PT9_S3_li
; %bb.0:
	s_clause 0x1
	s_load_b64 s[2:3], s[0:1], 0x0
	s_load_b128 s[4:7], s[0:1], 0x8
	v_dual_mov_b32 v15, 0 :: v_dual_and_b32 v6, 0x3ff, v0
	v_bfe_u32 v7, v0, 10, 10
	v_dual_mov_b32 v16, 0 :: v_dual_mov_b32 v11, 0
	v_dual_mov_b32 v12, 0 :: v_dual_mov_b32 v9, 0
	;; [unrolled: 1-line block ×3, first 2 shown]
	v_mov_b32_e32 v0, 0
	s_lshl_b32 s12, s13, 5
	s_lshl_b32 s13, s14, 5
	s_mov_b32 s14, 0
	s_waitcnt lgkmcnt(0)
	s_cmp_lt_i32 s3, 1
	s_cbranch_scc1 .LBB183_3
; %bb.1:
	s_clause 0x3
	s_load_b32 s18, s[0:1], 0x18
	s_load_b128 s[8:11], s[0:1], 0x20
	s_load_b32 s19, s[0:1], 0x30
	s_load_b64 s[16:17], s[0:1], 0x38
	v_lshl_add_u32 v2, v7, 4, v6
	v_dual_mov_b32 v1, 0 :: v_dual_and_b32 v0, 7, v6
	v_lshlrev_b32_e32 v10, 3, v6
	v_lshl_add_u32 v17, v7, 6, 0x800
	s_delay_alu instid0(VALU_DEP_4)
	v_lshrrev_b32_e32 v4, 3, v2
	v_and_b32_e32 v5, 31, v2
	v_lshlrev_b32_e32 v3, 3, v0
	v_lshrrev_b32_e32 v2, 5, v2
	v_mov_b32_e32 v16, v1
	v_add_nc_u32_e32 v12, s13, v4
	v_add_nc_u32_e32 v11, s12, v5
	v_lshl_or_b32 v9, v4, 6, v3
	v_dual_mov_b32 v3, v1 :: v_dual_lshlrev_b32 v8, 3, v5
	s_delay_alu instid0(VALU_DEP_2) | instskip(SKIP_1) | instid1(VALU_DEP_2)
	v_dual_mov_b32 v15, v1 :: v_dual_add_nc_u32 v14, 0x800, v9
	s_waitcnt lgkmcnt(0)
	v_mad_i64_i32 v[4:5], null, s18, v11, v[2:3]
	s_mul_i32 s9, s9, s15
	s_mul_hi_u32 s18, s8, s15
	v_mov_b32_e32 v9, v1
	v_lshl_or_b32 v13, v2, 8, v8
	v_mov_b32_e32 v11, v1
	v_mad_i64_i32 v[2:3], null, s19, v12, v[0:1]
	s_mul_i32 s8, s8, s15
	s_add_i32 s9, s18, s9
	v_lshlrev_b64 v[4:5], 3, v[4:5]
	s_lshl_b64 s[8:9], s[8:9], 3
	v_mov_b32_e32 v12, v1
	s_add_u32 s8, s6, s8
	s_mul_i32 s6, s17, s15
	s_mul_hi_u32 s17, s16, s15
	s_addc_u32 s9, s7, s9
	s_add_i32 s7, s17, s6
	s_mul_i32 s6, s16, s15
	v_lshlrev_b64 v[2:3], 3, v[2:3]
	s_lshl_b64 s[6:7], s[6:7], 3
	v_add_co_u32 v0, vcc_lo, s8, v4
	s_add_u32 s6, s10, s6
	v_add_co_ci_u32_e32 v4, vcc_lo, s9, v5, vcc_lo
	s_addc_u32 s7, s11, s7
	v_add_co_u32 v5, vcc_lo, s6, v2
	v_add_co_ci_u32_e32 v8, vcc_lo, s7, v3, vcc_lo
	v_add_co_u32 v2, vcc_lo, v0, 4
	v_add_co_ci_u32_e32 v3, vcc_lo, 0, v4, vcc_lo
	s_delay_alu instid0(VALU_DEP_4) | instskip(NEXT) | instid1(VALU_DEP_4)
	v_add_co_u32 v4, vcc_lo, v5, 4
	v_add_co_ci_u32_e32 v5, vcc_lo, 0, v8, vcc_lo
	v_mov_b32_e32 v0, v1
	v_mov_b32_e32 v8, v1
.LBB183_2:                              ; =>This Inner Loop Header: Depth=1
	global_load_b64 v[18:19], v[2:3], off offset:-4
	global_load_b64 v[20:21], v[4:5], off offset:-4
	v_add_co_u32 v2, vcc_lo, v2, 64
	v_add_co_ci_u32_e32 v3, vcc_lo, 0, v3, vcc_lo
	v_add_co_u32 v4, vcc_lo, v4, 64
	v_add_co_ci_u32_e32 v5, vcc_lo, 0, v5, vcc_lo
	s_add_i32 s14, s14, 8
	s_waitcnt vmcnt(1)
	ds_store_b64 v13, v[18:19]
	s_waitcnt vmcnt(0)
	ds_store_b64 v14, v[20:21]
	s_waitcnt lgkmcnt(0)
	s_barrier
	buffer_gl0_inv
	ds_load_2addr_b64 v[18:21], v10 offset1:16
	ds_load_b128 v[22:25], v17
	ds_load_b128 v[26:29], v17 offset:1024
	ds_load_b128 v[30:33], v17 offset:16
	ds_load_2addr_b64 v[34:37], v10 offset0:32 offset1:48
	ds_load_b128 v[38:41], v17 offset:32
	ds_load_b128 v[42:45], v17 offset:48
	ds_load_2addr_b64 v[46:49], v10 offset0:64 offset1:80
	ds_load_b128 v[50:53], v17 offset:1040
	ds_load_2addr_b64 v[54:57], v10 offset0:96 offset1:112
	ds_load_2addr_b64 v[58:61], v10 offset0:128 offset1:144
	;; [unrolled: 1-line block ×4, first 2 shown]
	ds_load_b128 v[70:73], v17 offset:1056
	ds_load_b128 v[74:77], v17 offset:1072
	ds_load_2addr_b64 v[78:81], v10 offset0:224 offset1:240
	s_cmp_ge_i32 s14, s3
	s_waitcnt lgkmcnt(0)
	s_barrier
	buffer_gl0_inv
	v_dual_mul_f32 v82, v23, v19 :: v_dual_mul_f32 v85, v22, v21
	v_dual_mul_f32 v83, v22, v19 :: v_dual_mul_f32 v84, v23, v21
	v_mul_f32_e32 v86, v27, v19
	v_dual_mul_f32 v19, v26, v19 :: v_dual_mul_f32 v90, v25, v37
	v_dual_mul_f32 v87, v27, v21 :: v_dual_mul_f32 v88, v25, v35
	v_mul_f32_e32 v21, v26, v21
	v_fma_f32 v82, v22, v18, -v82
	v_fmac_f32_e32 v83, v23, v18
	v_fma_f32 v22, v22, v20, -v84
	v_fmac_f32_e32 v85, v23, v20
	v_fma_f32 v23, v26, v18, -v86
	v_dual_fmac_f32 v19, v27, v18 :: v_dual_mul_f32 v86, v30, v47
	v_fma_f32 v18, v26, v20, -v87
	v_dual_fmac_f32 v21, v27, v20 :: v_dual_mul_f32 v20, v24, v37
	v_mul_f32_e32 v89, v24, v35
	v_mul_f32_e32 v26, v29, v35
	;; [unrolled: 1-line block ×4, first 2 shown]
	v_fmac_f32_e32 v20, v25, v36
	v_fmac_f32_e32 v89, v25, v34
	v_dual_mul_f32 v25, v28, v37 :: v_dual_fmac_f32 v86, v31, v46
	v_fma_f32 v84, v24, v34, -v88
	v_fma_f32 v24, v24, v36, -v90
	v_dual_mul_f32 v37, v31, v47 :: v_dual_mul_f32 v90, v33, v57
	v_fma_f32 v26, v28, v34, -v26
	v_fma_f32 v28, v28, v36, -v35
	v_fmac_f32_e32 v25, v29, v36
	v_dual_mul_f32 v35, v50, v47 :: v_dual_mul_f32 v36, v51, v49
	v_dual_fmac_f32 v27, v29, v34 :: v_dual_mul_f32 v34, v51, v47
	v_dual_mul_f32 v88, v32, v55 :: v_dual_mul_f32 v29, v30, v49
	v_mul_f32_e32 v87, v31, v49
	v_fma_f32 v37, v30, v46, -v37
	v_add_f32_e32 v16, v16, v83
	s_delay_alu instid0(VALU_DEP_4)
	v_dual_fmac_f32 v88, v33, v54 :: v_dual_fmac_f32 v29, v31, v48
	v_fma_f32 v31, v50, v46, -v34
	v_fma_f32 v34, v50, v48, -v36
	v_mul_f32_e32 v36, v32, v57
	v_mul_f32_e32 v47, v50, v49
	v_dual_mul_f32 v50, v53, v57 :: v_dual_fmac_f32 v35, v51, v46
	v_mul_f32_e32 v46, v53, v55
	v_mul_f32_e32 v49, v33, v55
	v_fma_f32 v30, v30, v48, -v87
	v_fmac_f32_e32 v36, v33, v56
	v_dual_fmac_f32 v47, v51, v48 :: v_dual_mul_f32 v48, v52, v55
	v_mul_f32_e32 v33, v52, v57
	v_fma_f32 v46, v52, v54, -v46
	v_fma_f32 v50, v52, v56, -v50
	v_mul_f32_e32 v52, v38, v61
	v_fma_f32 v49, v32, v54, -v49
	v_fma_f32 v32, v32, v56, -v90
	v_dual_mul_f32 v51, v39, v59 :: v_dual_fmac_f32 v48, v53, v54
	v_mul_f32_e32 v54, v70, v59
	v_dual_mul_f32 v55, v38, v59 :: v_dual_fmac_f32 v52, v39, v60
	v_fmac_f32_e32 v33, v53, v56
	v_mul_f32_e32 v53, v71, v59
	v_mul_f32_e32 v56, v71, v61
	;; [unrolled: 1-line block ×3, first 2 shown]
	v_fmac_f32_e32 v54, v71, v58
	v_fmac_f32_e32 v55, v39, v58
	v_fma_f32 v39, v70, v58, -v53
	v_fma_f32 v53, v70, v60, -v56
	v_mul_f32_e32 v56, v40, v65
	v_mul_f32_e32 v59, v70, v61
	v_fma_f32 v51, v38, v58, -v51
	v_mul_f32_e32 v58, v72, v63
	v_mul_f32_e32 v87, v40, v63
	v_mul_f32_e32 v61, v41, v63
	v_mul_f32_e32 v90, v41, v65
	v_fma_f32 v38, v38, v60, -v57
	v_mul_f32_e32 v57, v73, v63
	v_fmac_f32_e32 v56, v41, v64
	v_dual_fmac_f32 v59, v71, v60 :: v_dual_mul_f32 v60, v73, v65
	v_mul_f32_e32 v63, v43, v67
	v_mul_f32_e32 v70, v43, v69
	v_fmac_f32_e32 v58, v73, v62
	v_fmac_f32_e32 v87, v41, v62
	v_mul_f32_e32 v41, v72, v65
	v_fma_f32 v61, v40, v62, -v61
	v_fma_f32 v40, v40, v64, -v90
	v_mul_f32_e32 v65, v42, v67
	v_fma_f32 v57, v72, v62, -v57
	v_fma_f32 v60, v72, v64, -v60
	v_dual_fmac_f32 v41, v73, v64 :: v_dual_mul_f32 v62, v42, v69
	v_mul_f32_e32 v64, v75, v67
	v_fma_f32 v63, v42, v66, -v63
	v_fma_f32 v42, v42, v68, -v70
	v_mul_f32_e32 v70, v76, v79
	v_mul_f32_e32 v67, v74, v67
	;; [unrolled: 1-line block ×3, first 2 shown]
	v_dual_mul_f32 v69, v74, v69 :: v_dual_add_f32 v8, v8, v23
	v_mul_f32_e32 v73, v44, v79
	v_dual_fmac_f32 v65, v43, v66 :: v_dual_add_f32 v12, v12, v85
	v_fmac_f32_e32 v62, v43, v68
	v_fma_f32 v43, v74, v66, -v64
	v_fmac_f32_e32 v70, v77, v78
	v_dual_fmac_f32 v67, v75, v66 :: v_dual_add_f32 v16, v16, v89
	v_mul_f32_e32 v66, v44, v81
	v_mul_f32_e32 v72, v45, v79
	;; [unrolled: 1-line block ×3, first 2 shown]
	v_fma_f32 v64, v74, v68, -v71
	v_dual_fmac_f32 v69, v75, v68 :: v_dual_add_f32 v0, v0, v18
	v_dual_mul_f32 v71, v77, v81 :: v_dual_add_f32 v12, v12, v20
	v_fmac_f32_e32 v73, v45, v78
	v_fmac_f32_e32 v66, v45, v80
	s_delay_alu instid0(VALU_DEP_4) | instskip(SKIP_3) | instid1(VALU_DEP_3)
	v_add_f32_e32 v0, v0, v28
	v_mul_f32_e32 v45, v76, v81
	v_dual_add_f32 v15, v15, v82 :: v_dual_add_f32 v12, v12, v29
	v_dual_add_f32 v9, v9, v19 :: v_dual_add_f32 v16, v16, v86
	v_dual_fmac_f32 v45, v77, v80 :: v_dual_add_f32 v8, v8, v26
	v_add_f32_e32 v11, v11, v22
	v_dual_add_f32 v1, v1, v21 :: v_dual_add_f32 v0, v0, v34
	s_delay_alu instid0(VALU_DEP_4) | instskip(NEXT) | instid1(VALU_DEP_4)
	v_dual_add_f32 v9, v9, v27 :: v_dual_add_f32 v16, v16, v88
	v_dual_add_f32 v8, v8, v31 :: v_dual_add_f32 v15, v15, v84
	s_delay_alu instid0(VALU_DEP_3) | instskip(NEXT) | instid1(VALU_DEP_4)
	v_dual_add_f32 v11, v11, v24 :: v_dual_add_f32 v0, v0, v50
	v_dual_add_f32 v1, v1, v25 :: v_dual_add_f32 v12, v12, v36
	s_delay_alu instid0(VALU_DEP_4) | instskip(NEXT) | instid1(VALU_DEP_3)
	v_add_f32_e32 v9, v9, v35
	v_add_f32_e32 v11, v11, v30
	v_dual_add_f32 v8, v8, v46 :: v_dual_add_f32 v15, v15, v37
	v_add_f32_e32 v16, v16, v55
	v_dual_add_f32 v12, v12, v52 :: v_dual_add_f32 v1, v1, v47
	s_delay_alu instid0(VALU_DEP_4) | instskip(NEXT) | instid1(VALU_DEP_4)
	v_add_f32_e32 v11, v11, v32
	v_dual_add_f32 v15, v15, v49 :: v_dual_add_f32 v8, v8, v39
	v_dual_add_f32 v0, v0, v53 :: v_dual_add_f32 v9, v9, v48
	s_delay_alu instid0(VALU_DEP_4) | instskip(SKIP_1) | instid1(VALU_DEP_3)
	v_dual_add_f32 v12, v12, v56 :: v_dual_add_f32 v1, v1, v33
	v_mul_f32_e32 v68, v77, v79
	v_add_f32_e32 v0, v0, v60
	v_add_f32_e32 v16, v16, v87
	;; [unrolled: 1-line block ×3, first 2 shown]
	v_dual_add_f32 v1, v1, v59 :: v_dual_add_f32 v12, v12, v62
	v_dual_add_f32 v8, v8, v57 :: v_dual_add_f32 v11, v11, v38
	;; [unrolled: 1-line block ×3, first 2 shown]
	v_fma_f32 v68, v76, v78, -v68
	v_fma_f32 v71, v76, v80, -v71
	v_add_f32_e32 v1, v1, v41
	v_add_f32_e32 v16, v16, v65
	v_dual_add_f32 v15, v15, v61 :: v_dual_add_f32 v12, v12, v66
	v_dual_add_f32 v8, v8, v43 :: v_dual_add_f32 v11, v11, v40
	s_delay_alu instid0(VALU_DEP_3) | instskip(SKIP_1) | instid1(VALU_DEP_3)
	v_dual_add_f32 v16, v16, v73 :: v_dual_add_f32 v9, v9, v58
	v_fma_f32 v72, v44, v78, -v72
	v_add_f32_e32 v8, v8, v68
	v_fma_f32 v44, v44, v80, -v90
	v_add_f32_e32 v15, v15, v63
	v_add_f32_e32 v11, v11, v42
	;; [unrolled: 1-line block ×3, first 2 shown]
	v_dual_add_f32 v0, v0, v71 :: v_dual_add_f32 v1, v1, v69
	s_delay_alu instid0(VALU_DEP_4) | instskip(NEXT) | instid1(VALU_DEP_4)
	v_add_f32_e32 v15, v15, v72
	v_add_f32_e32 v11, v11, v44
	s_delay_alu instid0(VALU_DEP_4) | instskip(NEXT) | instid1(VALU_DEP_4)
	v_add_f32_e32 v9, v9, v70
	v_add_f32_e32 v1, v1, v45
	s_cbranch_scc0 .LBB183_2
.LBB183_3:
	s_clause 0x2
	s_load_b32 s3, s[0:1], 0x50
	s_load_b64 s[6:7], s[0:1], 0x58
	s_load_b64 s[8:9], s[0:1], 0x48
	v_add_nc_u32_e32 v7, s13, v7
	v_add_nc_u32_e32 v2, s12, v6
	s_delay_alu instid0(VALU_DEP_2)
	v_cmp_gt_i32_e32 vcc_lo, s2, v7
	s_waitcnt lgkmcnt(0)
	v_mad_i64_i32 v[3:4], null, v7, s3, 0
	s_mul_i32 s1, s15, s7
	s_mul_hi_u32 s7, s15, s6
	s_mul_i32 s0, s15, s6
	s_add_i32 s1, s7, s1
	s_delay_alu instid0(SALU_CYCLE_1) | instskip(NEXT) | instid1(VALU_DEP_1)
	s_lshl_b64 s[6:7], s[0:1], 3
	v_lshlrev_b64 v[3:4], 3, v[3:4]
	s_add_u32 s6, s8, s6
	v_cmp_le_i32_e64 s0, v2, v7
	s_addc_u32 s7, s9, s7
	s_delay_alu instid0(VALU_DEP_2) | instskip(NEXT) | instid1(VALU_DEP_1)
	v_add_co_u32 v6, s1, s6, v3
	v_add_co_ci_u32_e64 v10, s1, s7, v4, s1
	s_delay_alu instid0(VALU_DEP_3) | instskip(NEXT) | instid1(SALU_CYCLE_1)
	s_and_b32 s0, vcc_lo, s0
	s_and_saveexec_b32 s1, s0
	s_cbranch_execz .LBB183_5
; %bb.4:
	v_ashrrev_i32_e32 v3, 31, v2
	v_mul_f32_e32 v4, s4, v16
	v_mul_f32_e32 v5, s5, v16
	s_delay_alu instid0(VALU_DEP_3) | instskip(NEXT) | instid1(VALU_DEP_3)
	v_lshlrev_b64 v[13:14], 3, v[2:3]
	v_fmac_f32_e32 v4, s5, v15
	s_delay_alu instid0(VALU_DEP_3) | instskip(NEXT) | instid1(VALU_DEP_3)
	v_fma_f32 v3, v15, s4, -v5
	v_add_co_u32 v13, s0, v6, v13
	s_delay_alu instid0(VALU_DEP_1)
	v_add_co_ci_u32_e64 v14, s0, v10, v14, s0
	global_store_b64 v[13:14], v[3:4], off
.LBB183_5:
	s_or_b32 exec_lo, exec_lo, s1
	v_add_nc_u32_e32 v4, 16, v2
	s_delay_alu instid0(VALU_DEP_1) | instskip(NEXT) | instid1(VALU_DEP_1)
	v_cmp_le_i32_e64 s0, v4, v7
	s_and_b32 s1, vcc_lo, s0
	s_delay_alu instid0(SALU_CYCLE_1)
	s_and_saveexec_b32 s0, s1
	s_cbranch_execz .LBB183_7
; %bb.6:
	v_ashrrev_i32_e32 v5, 31, v4
	v_mul_f32_e32 v3, s5, v12
	v_mul_f32_e32 v13, s4, v12
	s_delay_alu instid0(VALU_DEP_3) | instskip(NEXT) | instid1(VALU_DEP_3)
	v_lshlrev_b64 v[14:15], 3, v[4:5]
	v_fma_f32 v12, v11, s4, -v3
	s_delay_alu instid0(VALU_DEP_3) | instskip(NEXT) | instid1(VALU_DEP_3)
	v_fmac_f32_e32 v13, s5, v11
	v_add_co_u32 v5, vcc_lo, v6, v14
	s_delay_alu instid0(VALU_DEP_4)
	v_add_co_ci_u32_e32 v6, vcc_lo, v10, v15, vcc_lo
	global_store_b64 v[5:6], v[12:13], off
.LBB183_7:
	s_or_b32 exec_lo, exec_lo, s0
	v_add_nc_u32_e32 v5, 16, v7
	s_delay_alu instid0(VALU_DEP_1) | instskip(SKIP_2) | instid1(VALU_DEP_1)
	v_mad_i64_i32 v[6:7], null, v5, s3, 0
	v_cmp_gt_i32_e32 vcc_lo, s2, v5
	v_cmp_le_i32_e64 s0, v2, v5
	s_and_b32 s0, vcc_lo, s0
	s_delay_alu instid0(VALU_DEP_3) | instskip(NEXT) | instid1(VALU_DEP_1)
	v_lshlrev_b64 v[6:7], 3, v[6:7]
	v_add_co_u32 v6, s1, s6, v6
	s_delay_alu instid0(VALU_DEP_1)
	v_add_co_ci_u32_e64 v7, s1, s7, v7, s1
	s_and_saveexec_b32 s1, s0
	s_cbranch_execz .LBB183_9
; %bb.8:
	v_ashrrev_i32_e32 v3, 31, v2
	v_mul_f32_e32 v10, s4, v9
	v_mul_f32_e32 v11, s5, v9
	s_delay_alu instid0(VALU_DEP_3) | instskip(NEXT) | instid1(VALU_DEP_3)
	v_lshlrev_b64 v[2:3], 3, v[2:3]
	v_fmac_f32_e32 v10, s5, v8
	s_delay_alu instid0(VALU_DEP_3) | instskip(NEXT) | instid1(VALU_DEP_3)
	v_fma_f32 v9, v8, s4, -v11
	v_add_co_u32 v2, s0, v6, v2
	s_delay_alu instid0(VALU_DEP_1)
	v_add_co_ci_u32_e64 v3, s0, v7, v3, s0
	global_store_b64 v[2:3], v[9:10], off
.LBB183_9:
	s_or_b32 exec_lo, exec_lo, s1
	v_cmp_le_i32_e64 s0, v4, v5
	s_delay_alu instid0(VALU_DEP_1) | instskip(NEXT) | instid1(SALU_CYCLE_1)
	s_and_b32 s0, vcc_lo, s0
	s_and_saveexec_b32 s1, s0
	s_cbranch_execz .LBB183_11
; %bb.10:
	v_ashrrev_i32_e32 v5, 31, v4
	v_mul_f32_e32 v8, s5, v1
	v_mul_f32_e32 v2, s4, v1
	s_delay_alu instid0(VALU_DEP_3) | instskip(NEXT) | instid1(VALU_DEP_3)
	v_lshlrev_b64 v[3:4], 3, v[4:5]
	v_fma_f32 v1, v0, s4, -v8
	s_delay_alu instid0(VALU_DEP_3) | instskip(NEXT) | instid1(VALU_DEP_3)
	v_fmac_f32_e32 v2, s5, v0
	v_add_co_u32 v3, vcc_lo, v6, v3
	s_delay_alu instid0(VALU_DEP_4)
	v_add_co_ci_u32_e32 v4, vcc_lo, v7, v4, vcc_lo
	global_store_b64 v[3:4], v[1:2], off
.LBB183_11:
	s_nop 0
	s_sendmsg sendmsg(MSG_DEALLOC_VGPRS)
	s_endpgm
	.section	.rodata,"a",@progbits
	.p2align	6, 0x0
	.amdhsa_kernel _ZL37rocblas_syrkx_herkx_restricted_kernelIi19rocblas_complex_numIfELi16ELi32ELi8ELb1ELb0ELc84ELc85EKS1_S1_EviT_T0_PT8_S3_lS6_S3_lS4_PT9_S3_li
		.amdhsa_group_segment_fixed_size 4096
		.amdhsa_private_segment_fixed_size 0
		.amdhsa_kernarg_size 100
		.amdhsa_user_sgpr_count 13
		.amdhsa_user_sgpr_dispatch_ptr 0
		.amdhsa_user_sgpr_queue_ptr 0
		.amdhsa_user_sgpr_kernarg_segment_ptr 1
		.amdhsa_user_sgpr_dispatch_id 0
		.amdhsa_user_sgpr_private_segment_size 0
		.amdhsa_wavefront_size32 1
		.amdhsa_uses_dynamic_stack 0
		.amdhsa_enable_private_segment 0
		.amdhsa_system_sgpr_workgroup_id_x 1
		.amdhsa_system_sgpr_workgroup_id_y 1
		.amdhsa_system_sgpr_workgroup_id_z 1
		.amdhsa_system_sgpr_workgroup_info 0
		.amdhsa_system_vgpr_workitem_id 1
		.amdhsa_next_free_vgpr 91
		.amdhsa_next_free_sgpr 20
		.amdhsa_reserve_vcc 1
		.amdhsa_float_round_mode_32 0
		.amdhsa_float_round_mode_16_64 0
		.amdhsa_float_denorm_mode_32 3
		.amdhsa_float_denorm_mode_16_64 3
		.amdhsa_dx10_clamp 1
		.amdhsa_ieee_mode 1
		.amdhsa_fp16_overflow 0
		.amdhsa_workgroup_processor_mode 1
		.amdhsa_memory_ordered 1
		.amdhsa_forward_progress 0
		.amdhsa_shared_vgpr_count 0
		.amdhsa_exception_fp_ieee_invalid_op 0
		.amdhsa_exception_fp_denorm_src 0
		.amdhsa_exception_fp_ieee_div_zero 0
		.amdhsa_exception_fp_ieee_overflow 0
		.amdhsa_exception_fp_ieee_underflow 0
		.amdhsa_exception_fp_ieee_inexact 0
		.amdhsa_exception_int_div_zero 0
	.end_amdhsa_kernel
	.section	.text._ZL37rocblas_syrkx_herkx_restricted_kernelIi19rocblas_complex_numIfELi16ELi32ELi8ELb1ELb0ELc84ELc85EKS1_S1_EviT_T0_PT8_S3_lS6_S3_lS4_PT9_S3_li,"axG",@progbits,_ZL37rocblas_syrkx_herkx_restricted_kernelIi19rocblas_complex_numIfELi16ELi32ELi8ELb1ELb0ELc84ELc85EKS1_S1_EviT_T0_PT8_S3_lS6_S3_lS4_PT9_S3_li,comdat
.Lfunc_end183:
	.size	_ZL37rocblas_syrkx_herkx_restricted_kernelIi19rocblas_complex_numIfELi16ELi32ELi8ELb1ELb0ELc84ELc85EKS1_S1_EviT_T0_PT8_S3_lS6_S3_lS4_PT9_S3_li, .Lfunc_end183-_ZL37rocblas_syrkx_herkx_restricted_kernelIi19rocblas_complex_numIfELi16ELi32ELi8ELb1ELb0ELc84ELc85EKS1_S1_EviT_T0_PT8_S3_lS6_S3_lS4_PT9_S3_li
                                        ; -- End function
	.section	.AMDGPU.csdata,"",@progbits
; Kernel info:
; codeLenInByte = 2124
; NumSgprs: 22
; NumVgprs: 91
; ScratchSize: 0
; MemoryBound: 0
; FloatMode: 240
; IeeeMode: 1
; LDSByteSize: 4096 bytes/workgroup (compile time only)
; SGPRBlocks: 2
; VGPRBlocks: 11
; NumSGPRsForWavesPerEU: 22
; NumVGPRsForWavesPerEU: 91
; Occupancy: 16
; WaveLimiterHint : 0
; COMPUTE_PGM_RSRC2:SCRATCH_EN: 0
; COMPUTE_PGM_RSRC2:USER_SGPR: 13
; COMPUTE_PGM_RSRC2:TRAP_HANDLER: 0
; COMPUTE_PGM_RSRC2:TGID_X_EN: 1
; COMPUTE_PGM_RSRC2:TGID_Y_EN: 1
; COMPUTE_PGM_RSRC2:TGID_Z_EN: 1
; COMPUTE_PGM_RSRC2:TIDIG_COMP_CNT: 1
	.section	.text._ZL37rocblas_syrkx_herkx_restricted_kernelIi19rocblas_complex_numIfELi16ELi32ELi8ELb1ELb0ELc67ELc85EKS1_S1_EviT_T0_PT8_S3_lS6_S3_lS4_PT9_S3_li,"axG",@progbits,_ZL37rocblas_syrkx_herkx_restricted_kernelIi19rocblas_complex_numIfELi16ELi32ELi8ELb1ELb0ELc67ELc85EKS1_S1_EviT_T0_PT8_S3_lS6_S3_lS4_PT9_S3_li,comdat
	.globl	_ZL37rocblas_syrkx_herkx_restricted_kernelIi19rocblas_complex_numIfELi16ELi32ELi8ELb1ELb0ELc67ELc85EKS1_S1_EviT_T0_PT8_S3_lS6_S3_lS4_PT9_S3_li ; -- Begin function _ZL37rocblas_syrkx_herkx_restricted_kernelIi19rocblas_complex_numIfELi16ELi32ELi8ELb1ELb0ELc67ELc85EKS1_S1_EviT_T0_PT8_S3_lS6_S3_lS4_PT9_S3_li
	.p2align	8
	.type	_ZL37rocblas_syrkx_herkx_restricted_kernelIi19rocblas_complex_numIfELi16ELi32ELi8ELb1ELb0ELc67ELc85EKS1_S1_EviT_T0_PT8_S3_lS6_S3_lS4_PT9_S3_li,@function
_ZL37rocblas_syrkx_herkx_restricted_kernelIi19rocblas_complex_numIfELi16ELi32ELi8ELb1ELb0ELc67ELc85EKS1_S1_EviT_T0_PT8_S3_lS6_S3_lS4_PT9_S3_li: ; @_ZL37rocblas_syrkx_herkx_restricted_kernelIi19rocblas_complex_numIfELi16ELi32ELi8ELb1ELb0ELc67ELc85EKS1_S1_EviT_T0_PT8_S3_lS6_S3_lS4_PT9_S3_li
; %bb.0:
	s_clause 0x1
	s_load_b64 s[2:3], s[0:1], 0x0
	s_load_b128 s[4:7], s[0:1], 0x8
	v_dual_mov_b32 v15, 0 :: v_dual_and_b32 v6, 0x3ff, v0
	v_bfe_u32 v7, v0, 10, 10
	v_dual_mov_b32 v16, 0 :: v_dual_mov_b32 v11, 0
	v_dual_mov_b32 v12, 0 :: v_dual_mov_b32 v9, 0
	;; [unrolled: 1-line block ×3, first 2 shown]
	v_mov_b32_e32 v0, 0
	s_lshl_b32 s12, s13, 5
	s_lshl_b32 s13, s14, 5
	s_mov_b32 s14, 0
	s_waitcnt lgkmcnt(0)
	s_cmp_lt_i32 s3, 1
	s_cbranch_scc1 .LBB184_3
; %bb.1:
	s_clause 0x3
	s_load_b32 s18, s[0:1], 0x18
	s_load_b128 s[8:11], s[0:1], 0x20
	s_load_b32 s19, s[0:1], 0x30
	s_load_b64 s[16:17], s[0:1], 0x38
	v_lshl_add_u32 v2, v7, 4, v6
	v_dual_mov_b32 v1, 0 :: v_dual_and_b32 v0, 7, v6
	v_lshlrev_b32_e32 v10, 3, v6
	v_lshl_add_u32 v17, v7, 6, 0x800
	s_delay_alu instid0(VALU_DEP_4)
	v_lshrrev_b32_e32 v4, 3, v2
	v_and_b32_e32 v5, 31, v2
	v_lshlrev_b32_e32 v3, 3, v0
	v_lshrrev_b32_e32 v2, 5, v2
	v_mov_b32_e32 v16, v1
	v_add_nc_u32_e32 v12, s13, v4
	v_add_nc_u32_e32 v11, s12, v5
	v_lshl_or_b32 v9, v4, 6, v3
	v_dual_mov_b32 v3, v1 :: v_dual_lshlrev_b32 v8, 3, v5
	s_delay_alu instid0(VALU_DEP_2) | instskip(SKIP_1) | instid1(VALU_DEP_2)
	v_dual_mov_b32 v15, v1 :: v_dual_add_nc_u32 v14, 0x800, v9
	s_waitcnt lgkmcnt(0)
	v_mad_i64_i32 v[4:5], null, s18, v11, v[2:3]
	s_mul_i32 s9, s9, s15
	s_mul_hi_u32 s18, s8, s15
	v_mov_b32_e32 v9, v1
	v_lshl_or_b32 v13, v2, 8, v8
	v_mov_b32_e32 v11, v1
	v_mad_i64_i32 v[2:3], null, s19, v12, v[0:1]
	s_mul_i32 s8, s8, s15
	s_add_i32 s9, s18, s9
	v_lshlrev_b64 v[4:5], 3, v[4:5]
	s_lshl_b64 s[8:9], s[8:9], 3
	v_mov_b32_e32 v12, v1
	s_add_u32 s8, s6, s8
	s_mul_i32 s6, s17, s15
	s_mul_hi_u32 s17, s16, s15
	s_addc_u32 s9, s7, s9
	s_add_i32 s7, s17, s6
	s_mul_i32 s6, s16, s15
	v_lshlrev_b64 v[2:3], 3, v[2:3]
	s_lshl_b64 s[6:7], s[6:7], 3
	v_add_co_u32 v0, vcc_lo, s8, v4
	s_add_u32 s6, s10, s6
	v_add_co_ci_u32_e32 v4, vcc_lo, s9, v5, vcc_lo
	s_addc_u32 s7, s11, s7
	v_add_co_u32 v5, vcc_lo, s6, v2
	v_add_co_ci_u32_e32 v8, vcc_lo, s7, v3, vcc_lo
	v_add_co_u32 v2, vcc_lo, v0, 4
	v_add_co_ci_u32_e32 v3, vcc_lo, 0, v4, vcc_lo
	s_delay_alu instid0(VALU_DEP_4) | instskip(NEXT) | instid1(VALU_DEP_4)
	v_add_co_u32 v4, vcc_lo, v5, 4
	v_add_co_ci_u32_e32 v5, vcc_lo, 0, v8, vcc_lo
	v_mov_b32_e32 v0, v1
	v_mov_b32_e32 v8, v1
.LBB184_2:                              ; =>This Inner Loop Header: Depth=1
	global_load_b64 v[18:19], v[2:3], off offset:-4
	global_load_b64 v[20:21], v[4:5], off offset:-4
	v_add_co_u32 v2, vcc_lo, v2, 64
	v_add_co_ci_u32_e32 v3, vcc_lo, 0, v3, vcc_lo
	v_add_co_u32 v4, vcc_lo, v4, 64
	v_add_co_ci_u32_e32 v5, vcc_lo, 0, v5, vcc_lo
	s_add_i32 s14, s14, 8
	s_waitcnt vmcnt(1)
	ds_store_b64 v13, v[18:19]
	s_waitcnt vmcnt(0)
	ds_store_b64 v14, v[20:21]
	s_waitcnt lgkmcnt(0)
	s_barrier
	buffer_gl0_inv
	ds_load_2addr_b64 v[18:21], v10 offset1:16
	ds_load_b128 v[22:25], v17
	ds_load_b128 v[26:29], v17 offset:1024
	ds_load_b128 v[30:33], v17 offset:16
	ds_load_2addr_b64 v[34:37], v10 offset0:32 offset1:48
	ds_load_b128 v[38:41], v17 offset:32
	ds_load_b128 v[42:45], v17 offset:48
	ds_load_2addr_b64 v[46:49], v10 offset0:64 offset1:80
	ds_load_b128 v[50:53], v17 offset:1040
	ds_load_2addr_b64 v[54:57], v10 offset0:96 offset1:112
	ds_load_2addr_b64 v[58:61], v10 offset0:128 offset1:144
	;; [unrolled: 1-line block ×4, first 2 shown]
	ds_load_b128 v[70:73], v17 offset:1056
	ds_load_b128 v[74:77], v17 offset:1072
	ds_load_2addr_b64 v[78:81], v10 offset0:224 offset1:240
	s_cmp_ge_i32 s14, s3
	s_waitcnt lgkmcnt(0)
	s_barrier
	buffer_gl0_inv
	v_dual_mul_f32 v82, v23, v19 :: v_dual_mul_f32 v85, v22, v21
	v_dual_mul_f32 v83, v22, v19 :: v_dual_mul_f32 v84, v23, v21
	v_mul_f32_e32 v86, v27, v19
	v_dual_mul_f32 v19, v26, v19 :: v_dual_mul_f32 v90, v25, v37
	v_dual_mul_f32 v87, v27, v21 :: v_dual_mul_f32 v88, v25, v35
	v_mul_f32_e32 v21, v26, v21
	v_fma_f32 v82, v22, v18, -v82
	v_fmac_f32_e32 v83, v23, v18
	v_fma_f32 v22, v22, v20, -v84
	v_fmac_f32_e32 v85, v23, v20
	v_fma_f32 v23, v26, v18, -v86
	v_dual_fmac_f32 v19, v27, v18 :: v_dual_mul_f32 v86, v30, v47
	v_fma_f32 v18, v26, v20, -v87
	v_dual_fmac_f32 v21, v27, v20 :: v_dual_mul_f32 v20, v24, v37
	v_mul_f32_e32 v89, v24, v35
	v_mul_f32_e32 v26, v29, v35
	;; [unrolled: 1-line block ×4, first 2 shown]
	v_fmac_f32_e32 v20, v25, v36
	v_fmac_f32_e32 v89, v25, v34
	v_dual_mul_f32 v25, v28, v37 :: v_dual_fmac_f32 v86, v31, v46
	v_fma_f32 v84, v24, v34, -v88
	v_fma_f32 v24, v24, v36, -v90
	v_dual_mul_f32 v37, v31, v47 :: v_dual_mul_f32 v90, v33, v57
	v_fma_f32 v26, v28, v34, -v26
	v_fma_f32 v28, v28, v36, -v35
	v_fmac_f32_e32 v25, v29, v36
	v_dual_mul_f32 v35, v50, v47 :: v_dual_mul_f32 v36, v51, v49
	v_dual_fmac_f32 v27, v29, v34 :: v_dual_mul_f32 v34, v51, v47
	v_dual_mul_f32 v88, v32, v55 :: v_dual_mul_f32 v29, v30, v49
	v_mul_f32_e32 v87, v31, v49
	v_fma_f32 v37, v30, v46, -v37
	v_add_f32_e32 v16, v16, v83
	s_delay_alu instid0(VALU_DEP_4)
	v_dual_fmac_f32 v88, v33, v54 :: v_dual_fmac_f32 v29, v31, v48
	v_fma_f32 v31, v50, v46, -v34
	v_fma_f32 v34, v50, v48, -v36
	v_mul_f32_e32 v36, v32, v57
	v_mul_f32_e32 v47, v50, v49
	v_dual_mul_f32 v50, v53, v57 :: v_dual_fmac_f32 v35, v51, v46
	v_mul_f32_e32 v46, v53, v55
	v_mul_f32_e32 v49, v33, v55
	v_fma_f32 v30, v30, v48, -v87
	v_fmac_f32_e32 v36, v33, v56
	v_dual_fmac_f32 v47, v51, v48 :: v_dual_mul_f32 v48, v52, v55
	v_mul_f32_e32 v33, v52, v57
	v_fma_f32 v46, v52, v54, -v46
	v_fma_f32 v50, v52, v56, -v50
	v_mul_f32_e32 v52, v38, v61
	v_fma_f32 v49, v32, v54, -v49
	v_fma_f32 v32, v32, v56, -v90
	v_dual_mul_f32 v51, v39, v59 :: v_dual_fmac_f32 v48, v53, v54
	v_mul_f32_e32 v54, v70, v59
	v_dual_mul_f32 v55, v38, v59 :: v_dual_fmac_f32 v52, v39, v60
	v_fmac_f32_e32 v33, v53, v56
	v_mul_f32_e32 v53, v71, v59
	v_mul_f32_e32 v56, v71, v61
	;; [unrolled: 1-line block ×3, first 2 shown]
	v_fmac_f32_e32 v54, v71, v58
	v_fmac_f32_e32 v55, v39, v58
	v_fma_f32 v39, v70, v58, -v53
	v_fma_f32 v53, v70, v60, -v56
	v_mul_f32_e32 v56, v40, v65
	v_mul_f32_e32 v59, v70, v61
	v_fma_f32 v51, v38, v58, -v51
	v_mul_f32_e32 v58, v72, v63
	v_mul_f32_e32 v87, v40, v63
	;; [unrolled: 1-line block ×4, first 2 shown]
	v_fma_f32 v38, v38, v60, -v57
	v_mul_f32_e32 v57, v73, v63
	v_fmac_f32_e32 v56, v41, v64
	v_dual_fmac_f32 v59, v71, v60 :: v_dual_mul_f32 v60, v73, v65
	v_mul_f32_e32 v63, v43, v67
	v_mul_f32_e32 v70, v43, v69
	v_fmac_f32_e32 v58, v73, v62
	v_fmac_f32_e32 v87, v41, v62
	v_mul_f32_e32 v41, v72, v65
	v_fma_f32 v61, v40, v62, -v61
	v_fma_f32 v40, v40, v64, -v90
	v_mul_f32_e32 v65, v42, v67
	v_fma_f32 v57, v72, v62, -v57
	v_fma_f32 v60, v72, v64, -v60
	v_dual_fmac_f32 v41, v73, v64 :: v_dual_mul_f32 v62, v42, v69
	v_mul_f32_e32 v64, v75, v67
	v_fma_f32 v63, v42, v66, -v63
	v_fma_f32 v42, v42, v68, -v70
	v_mul_f32_e32 v70, v76, v79
	v_mul_f32_e32 v67, v74, v67
	;; [unrolled: 1-line block ×3, first 2 shown]
	v_dual_mul_f32 v69, v74, v69 :: v_dual_add_f32 v8, v8, v23
	v_mul_f32_e32 v73, v44, v79
	v_dual_fmac_f32 v65, v43, v66 :: v_dual_add_f32 v12, v12, v85
	v_fmac_f32_e32 v62, v43, v68
	v_fma_f32 v43, v74, v66, -v64
	v_fmac_f32_e32 v70, v77, v78
	v_dual_fmac_f32 v67, v75, v66 :: v_dual_add_f32 v16, v16, v89
	v_mul_f32_e32 v66, v44, v81
	v_mul_f32_e32 v72, v45, v79
	;; [unrolled: 1-line block ×3, first 2 shown]
	v_fma_f32 v64, v74, v68, -v71
	v_dual_fmac_f32 v69, v75, v68 :: v_dual_add_f32 v0, v0, v18
	v_dual_mul_f32 v71, v77, v81 :: v_dual_add_f32 v12, v12, v20
	v_fmac_f32_e32 v73, v45, v78
	v_fmac_f32_e32 v66, v45, v80
	s_delay_alu instid0(VALU_DEP_4) | instskip(SKIP_3) | instid1(VALU_DEP_3)
	v_add_f32_e32 v0, v0, v28
	v_mul_f32_e32 v45, v76, v81
	v_dual_add_f32 v15, v15, v82 :: v_dual_add_f32 v12, v12, v29
	v_dual_add_f32 v9, v9, v19 :: v_dual_add_f32 v16, v16, v86
	v_dual_fmac_f32 v45, v77, v80 :: v_dual_add_f32 v8, v8, v26
	v_add_f32_e32 v11, v11, v22
	v_dual_add_f32 v1, v1, v21 :: v_dual_add_f32 v0, v0, v34
	s_delay_alu instid0(VALU_DEP_4) | instskip(NEXT) | instid1(VALU_DEP_4)
	v_dual_add_f32 v9, v9, v27 :: v_dual_add_f32 v16, v16, v88
	v_dual_add_f32 v8, v8, v31 :: v_dual_add_f32 v15, v15, v84
	s_delay_alu instid0(VALU_DEP_3) | instskip(NEXT) | instid1(VALU_DEP_4)
	v_dual_add_f32 v11, v11, v24 :: v_dual_add_f32 v0, v0, v50
	v_dual_add_f32 v1, v1, v25 :: v_dual_add_f32 v12, v12, v36
	s_delay_alu instid0(VALU_DEP_4) | instskip(NEXT) | instid1(VALU_DEP_3)
	v_add_f32_e32 v9, v9, v35
	v_add_f32_e32 v11, v11, v30
	v_dual_add_f32 v8, v8, v46 :: v_dual_add_f32 v15, v15, v37
	v_add_f32_e32 v16, v16, v55
	v_dual_add_f32 v12, v12, v52 :: v_dual_add_f32 v1, v1, v47
	s_delay_alu instid0(VALU_DEP_4) | instskip(NEXT) | instid1(VALU_DEP_4)
	v_add_f32_e32 v11, v11, v32
	v_dual_add_f32 v15, v15, v49 :: v_dual_add_f32 v8, v8, v39
	v_dual_add_f32 v0, v0, v53 :: v_dual_add_f32 v9, v9, v48
	s_delay_alu instid0(VALU_DEP_4) | instskip(SKIP_1) | instid1(VALU_DEP_3)
	v_dual_add_f32 v12, v12, v56 :: v_dual_add_f32 v1, v1, v33
	v_mul_f32_e32 v68, v77, v79
	v_add_f32_e32 v0, v0, v60
	v_add_f32_e32 v16, v16, v87
	;; [unrolled: 1-line block ×3, first 2 shown]
	v_dual_add_f32 v1, v1, v59 :: v_dual_add_f32 v12, v12, v62
	v_dual_add_f32 v8, v8, v57 :: v_dual_add_f32 v11, v11, v38
	;; [unrolled: 1-line block ×3, first 2 shown]
	v_fma_f32 v68, v76, v78, -v68
	v_fma_f32 v71, v76, v80, -v71
	v_add_f32_e32 v1, v1, v41
	v_add_f32_e32 v16, v16, v65
	v_dual_add_f32 v15, v15, v61 :: v_dual_add_f32 v12, v12, v66
	v_dual_add_f32 v8, v8, v43 :: v_dual_add_f32 v11, v11, v40
	s_delay_alu instid0(VALU_DEP_3) | instskip(SKIP_1) | instid1(VALU_DEP_3)
	v_dual_add_f32 v16, v16, v73 :: v_dual_add_f32 v9, v9, v58
	v_fma_f32 v72, v44, v78, -v72
	v_add_f32_e32 v8, v8, v68
	v_fma_f32 v44, v44, v80, -v90
	v_add_f32_e32 v15, v15, v63
	v_add_f32_e32 v11, v11, v42
	;; [unrolled: 1-line block ×3, first 2 shown]
	v_dual_add_f32 v0, v0, v71 :: v_dual_add_f32 v1, v1, v69
	s_delay_alu instid0(VALU_DEP_4) | instskip(NEXT) | instid1(VALU_DEP_4)
	v_add_f32_e32 v15, v15, v72
	v_add_f32_e32 v11, v11, v44
	s_delay_alu instid0(VALU_DEP_4) | instskip(NEXT) | instid1(VALU_DEP_4)
	v_add_f32_e32 v9, v9, v70
	v_add_f32_e32 v1, v1, v45
	s_cbranch_scc0 .LBB184_2
.LBB184_3:
	s_clause 0x2
	s_load_b32 s3, s[0:1], 0x50
	s_load_b64 s[6:7], s[0:1], 0x58
	s_load_b64 s[8:9], s[0:1], 0x48
	v_add_nc_u32_e32 v7, s13, v7
	v_add_nc_u32_e32 v2, s12, v6
	s_delay_alu instid0(VALU_DEP_2)
	v_cmp_gt_i32_e32 vcc_lo, s2, v7
	s_waitcnt lgkmcnt(0)
	v_mad_i64_i32 v[3:4], null, v7, s3, 0
	s_mul_i32 s1, s15, s7
	s_mul_hi_u32 s7, s15, s6
	s_mul_i32 s0, s15, s6
	s_add_i32 s1, s7, s1
	s_delay_alu instid0(SALU_CYCLE_1) | instskip(NEXT) | instid1(VALU_DEP_1)
	s_lshl_b64 s[6:7], s[0:1], 3
	v_lshlrev_b64 v[3:4], 3, v[3:4]
	s_add_u32 s6, s8, s6
	v_cmp_le_i32_e64 s0, v2, v7
	s_addc_u32 s7, s9, s7
	s_delay_alu instid0(VALU_DEP_2) | instskip(NEXT) | instid1(VALU_DEP_1)
	v_add_co_u32 v6, s1, s6, v3
	v_add_co_ci_u32_e64 v10, s1, s7, v4, s1
	s_delay_alu instid0(VALU_DEP_3) | instskip(NEXT) | instid1(SALU_CYCLE_1)
	s_and_b32 s0, vcc_lo, s0
	s_and_saveexec_b32 s1, s0
	s_cbranch_execz .LBB184_5
; %bb.4:
	v_ashrrev_i32_e32 v3, 31, v2
	v_mul_f32_e32 v4, s4, v16
	v_mul_f32_e32 v5, s5, v16
	s_delay_alu instid0(VALU_DEP_3) | instskip(NEXT) | instid1(VALU_DEP_3)
	v_lshlrev_b64 v[13:14], 3, v[2:3]
	v_fmac_f32_e32 v4, s5, v15
	s_delay_alu instid0(VALU_DEP_3) | instskip(NEXT) | instid1(VALU_DEP_3)
	v_fma_f32 v3, v15, s4, -v5
	v_add_co_u32 v13, s0, v6, v13
	s_delay_alu instid0(VALU_DEP_1)
	v_add_co_ci_u32_e64 v14, s0, v10, v14, s0
	global_store_b64 v[13:14], v[3:4], off
.LBB184_5:
	s_or_b32 exec_lo, exec_lo, s1
	v_add_nc_u32_e32 v4, 16, v2
	s_delay_alu instid0(VALU_DEP_1) | instskip(NEXT) | instid1(VALU_DEP_1)
	v_cmp_le_i32_e64 s0, v4, v7
	s_and_b32 s1, vcc_lo, s0
	s_delay_alu instid0(SALU_CYCLE_1)
	s_and_saveexec_b32 s0, s1
	s_cbranch_execz .LBB184_7
; %bb.6:
	v_ashrrev_i32_e32 v5, 31, v4
	v_mul_f32_e32 v3, s5, v12
	v_mul_f32_e32 v13, s4, v12
	s_delay_alu instid0(VALU_DEP_3) | instskip(NEXT) | instid1(VALU_DEP_3)
	v_lshlrev_b64 v[14:15], 3, v[4:5]
	v_fma_f32 v12, v11, s4, -v3
	s_delay_alu instid0(VALU_DEP_3) | instskip(NEXT) | instid1(VALU_DEP_3)
	v_fmac_f32_e32 v13, s5, v11
	v_add_co_u32 v5, vcc_lo, v6, v14
	s_delay_alu instid0(VALU_DEP_4)
	v_add_co_ci_u32_e32 v6, vcc_lo, v10, v15, vcc_lo
	global_store_b64 v[5:6], v[12:13], off
.LBB184_7:
	s_or_b32 exec_lo, exec_lo, s0
	v_add_nc_u32_e32 v5, 16, v7
	s_delay_alu instid0(VALU_DEP_1) | instskip(SKIP_2) | instid1(VALU_DEP_1)
	v_mad_i64_i32 v[6:7], null, v5, s3, 0
	v_cmp_gt_i32_e32 vcc_lo, s2, v5
	v_cmp_le_i32_e64 s0, v2, v5
	s_and_b32 s0, vcc_lo, s0
	s_delay_alu instid0(VALU_DEP_3) | instskip(NEXT) | instid1(VALU_DEP_1)
	v_lshlrev_b64 v[6:7], 3, v[6:7]
	v_add_co_u32 v6, s1, s6, v6
	s_delay_alu instid0(VALU_DEP_1)
	v_add_co_ci_u32_e64 v7, s1, s7, v7, s1
	s_and_saveexec_b32 s1, s0
	s_cbranch_execz .LBB184_9
; %bb.8:
	v_ashrrev_i32_e32 v3, 31, v2
	v_mul_f32_e32 v10, s4, v9
	v_mul_f32_e32 v11, s5, v9
	s_delay_alu instid0(VALU_DEP_3) | instskip(NEXT) | instid1(VALU_DEP_3)
	v_lshlrev_b64 v[2:3], 3, v[2:3]
	v_fmac_f32_e32 v10, s5, v8
	s_delay_alu instid0(VALU_DEP_3) | instskip(NEXT) | instid1(VALU_DEP_3)
	v_fma_f32 v9, v8, s4, -v11
	v_add_co_u32 v2, s0, v6, v2
	s_delay_alu instid0(VALU_DEP_1)
	v_add_co_ci_u32_e64 v3, s0, v7, v3, s0
	global_store_b64 v[2:3], v[9:10], off
.LBB184_9:
	s_or_b32 exec_lo, exec_lo, s1
	v_cmp_le_i32_e64 s0, v4, v5
	s_delay_alu instid0(VALU_DEP_1) | instskip(NEXT) | instid1(SALU_CYCLE_1)
	s_and_b32 s0, vcc_lo, s0
	s_and_saveexec_b32 s1, s0
	s_cbranch_execz .LBB184_11
; %bb.10:
	v_ashrrev_i32_e32 v5, 31, v4
	v_mul_f32_e32 v8, s5, v1
	v_mul_f32_e32 v2, s4, v1
	s_delay_alu instid0(VALU_DEP_3) | instskip(NEXT) | instid1(VALU_DEP_3)
	v_lshlrev_b64 v[3:4], 3, v[4:5]
	v_fma_f32 v1, v0, s4, -v8
	s_delay_alu instid0(VALU_DEP_3) | instskip(NEXT) | instid1(VALU_DEP_3)
	v_fmac_f32_e32 v2, s5, v0
	v_add_co_u32 v3, vcc_lo, v6, v3
	s_delay_alu instid0(VALU_DEP_4)
	v_add_co_ci_u32_e32 v4, vcc_lo, v7, v4, vcc_lo
	global_store_b64 v[3:4], v[1:2], off
.LBB184_11:
	s_nop 0
	s_sendmsg sendmsg(MSG_DEALLOC_VGPRS)
	s_endpgm
	.section	.rodata,"a",@progbits
	.p2align	6, 0x0
	.amdhsa_kernel _ZL37rocblas_syrkx_herkx_restricted_kernelIi19rocblas_complex_numIfELi16ELi32ELi8ELb1ELb0ELc67ELc85EKS1_S1_EviT_T0_PT8_S3_lS6_S3_lS4_PT9_S3_li
		.amdhsa_group_segment_fixed_size 4096
		.amdhsa_private_segment_fixed_size 0
		.amdhsa_kernarg_size 100
		.amdhsa_user_sgpr_count 13
		.amdhsa_user_sgpr_dispatch_ptr 0
		.amdhsa_user_sgpr_queue_ptr 0
		.amdhsa_user_sgpr_kernarg_segment_ptr 1
		.amdhsa_user_sgpr_dispatch_id 0
		.amdhsa_user_sgpr_private_segment_size 0
		.amdhsa_wavefront_size32 1
		.amdhsa_uses_dynamic_stack 0
		.amdhsa_enable_private_segment 0
		.amdhsa_system_sgpr_workgroup_id_x 1
		.amdhsa_system_sgpr_workgroup_id_y 1
		.amdhsa_system_sgpr_workgroup_id_z 1
		.amdhsa_system_sgpr_workgroup_info 0
		.amdhsa_system_vgpr_workitem_id 1
		.amdhsa_next_free_vgpr 91
		.amdhsa_next_free_sgpr 20
		.amdhsa_reserve_vcc 1
		.amdhsa_float_round_mode_32 0
		.amdhsa_float_round_mode_16_64 0
		.amdhsa_float_denorm_mode_32 3
		.amdhsa_float_denorm_mode_16_64 3
		.amdhsa_dx10_clamp 1
		.amdhsa_ieee_mode 1
		.amdhsa_fp16_overflow 0
		.amdhsa_workgroup_processor_mode 1
		.amdhsa_memory_ordered 1
		.amdhsa_forward_progress 0
		.amdhsa_shared_vgpr_count 0
		.amdhsa_exception_fp_ieee_invalid_op 0
		.amdhsa_exception_fp_denorm_src 0
		.amdhsa_exception_fp_ieee_div_zero 0
		.amdhsa_exception_fp_ieee_overflow 0
		.amdhsa_exception_fp_ieee_underflow 0
		.amdhsa_exception_fp_ieee_inexact 0
		.amdhsa_exception_int_div_zero 0
	.end_amdhsa_kernel
	.section	.text._ZL37rocblas_syrkx_herkx_restricted_kernelIi19rocblas_complex_numIfELi16ELi32ELi8ELb1ELb0ELc67ELc85EKS1_S1_EviT_T0_PT8_S3_lS6_S3_lS4_PT9_S3_li,"axG",@progbits,_ZL37rocblas_syrkx_herkx_restricted_kernelIi19rocblas_complex_numIfELi16ELi32ELi8ELb1ELb0ELc67ELc85EKS1_S1_EviT_T0_PT8_S3_lS6_S3_lS4_PT9_S3_li,comdat
.Lfunc_end184:
	.size	_ZL37rocblas_syrkx_herkx_restricted_kernelIi19rocblas_complex_numIfELi16ELi32ELi8ELb1ELb0ELc67ELc85EKS1_S1_EviT_T0_PT8_S3_lS6_S3_lS4_PT9_S3_li, .Lfunc_end184-_ZL37rocblas_syrkx_herkx_restricted_kernelIi19rocblas_complex_numIfELi16ELi32ELi8ELb1ELb0ELc67ELc85EKS1_S1_EviT_T0_PT8_S3_lS6_S3_lS4_PT9_S3_li
                                        ; -- End function
	.section	.AMDGPU.csdata,"",@progbits
; Kernel info:
; codeLenInByte = 2124
; NumSgprs: 22
; NumVgprs: 91
; ScratchSize: 0
; MemoryBound: 0
; FloatMode: 240
; IeeeMode: 1
; LDSByteSize: 4096 bytes/workgroup (compile time only)
; SGPRBlocks: 2
; VGPRBlocks: 11
; NumSGPRsForWavesPerEU: 22
; NumVGPRsForWavesPerEU: 91
; Occupancy: 16
; WaveLimiterHint : 0
; COMPUTE_PGM_RSRC2:SCRATCH_EN: 0
; COMPUTE_PGM_RSRC2:USER_SGPR: 13
; COMPUTE_PGM_RSRC2:TRAP_HANDLER: 0
; COMPUTE_PGM_RSRC2:TGID_X_EN: 1
; COMPUTE_PGM_RSRC2:TGID_Y_EN: 1
; COMPUTE_PGM_RSRC2:TGID_Z_EN: 1
; COMPUTE_PGM_RSRC2:TIDIG_COMP_CNT: 1
	.section	.text._ZL37rocblas_syrkx_herkx_restricted_kernelIi19rocblas_complex_numIfELi16ELi32ELi8ELb1ELb0ELc78ELc85EKS1_S1_EviT_T0_PT8_S3_lS6_S3_lS4_PT9_S3_li,"axG",@progbits,_ZL37rocblas_syrkx_herkx_restricted_kernelIi19rocblas_complex_numIfELi16ELi32ELi8ELb1ELb0ELc78ELc85EKS1_S1_EviT_T0_PT8_S3_lS6_S3_lS4_PT9_S3_li,comdat
	.globl	_ZL37rocblas_syrkx_herkx_restricted_kernelIi19rocblas_complex_numIfELi16ELi32ELi8ELb1ELb0ELc78ELc85EKS1_S1_EviT_T0_PT8_S3_lS6_S3_lS4_PT9_S3_li ; -- Begin function _ZL37rocblas_syrkx_herkx_restricted_kernelIi19rocblas_complex_numIfELi16ELi32ELi8ELb1ELb0ELc78ELc85EKS1_S1_EviT_T0_PT8_S3_lS6_S3_lS4_PT9_S3_li
	.p2align	8
	.type	_ZL37rocblas_syrkx_herkx_restricted_kernelIi19rocblas_complex_numIfELi16ELi32ELi8ELb1ELb0ELc78ELc85EKS1_S1_EviT_T0_PT8_S3_lS6_S3_lS4_PT9_S3_li,@function
_ZL37rocblas_syrkx_herkx_restricted_kernelIi19rocblas_complex_numIfELi16ELi32ELi8ELb1ELb0ELc78ELc85EKS1_S1_EviT_T0_PT8_S3_lS6_S3_lS4_PT9_S3_li: ; @_ZL37rocblas_syrkx_herkx_restricted_kernelIi19rocblas_complex_numIfELi16ELi32ELi8ELb1ELb0ELc78ELc85EKS1_S1_EviT_T0_PT8_S3_lS6_S3_lS4_PT9_S3_li
; %bb.0:
	s_clause 0x1
	s_load_b64 s[2:3], s[0:1], 0x0
	s_load_b128 s[4:7], s[0:1], 0x8
	v_dual_mov_b32 v17, 0 :: v_dual_and_b32 v4, 0x3ff, v0
	v_bfe_u32 v5, v0, 10, 10
	v_dual_mov_b32 v16, 0 :: v_dual_mov_b32 v9, 0
	v_dual_mov_b32 v10, 0 :: v_dual_mov_b32 v7, 0
	v_mov_b32_e32 v12, 0
	v_mov_b32_e32 v8, 0
	;; [unrolled: 1-line block ×3, first 2 shown]
	s_lshl_b32 s12, s13, 5
	s_lshl_b32 s13, s14, 5
	s_mov_b32 s14, 0
	s_waitcnt lgkmcnt(0)
	s_cmp_lt_i32 s3, 1
	s_cbranch_scc1 .LBB185_3
; %bb.1:
	s_clause 0x1
	s_load_b32 s16, s[0:1], 0x18
	s_load_b32 s18, s[0:1], 0x30
	v_lshl_add_u32 v0, v5, 4, v4
	v_and_b32_e32 v8, 7, v4
	s_clause 0x1
	s_load_b128 s[8:11], s[0:1], 0x20
	s_load_b64 s[20:21], s[0:1], 0x38
	v_lshlrev_b32_e32 v14, 3, v4
	v_lshrrev_b32_e32 v1, 3, v0
	v_and_b32_e32 v2, 31, v0
	v_lshrrev_b32_e32 v9, 5, v0
	v_lshlrev_b32_e32 v3, 3, v8
	s_delay_alu instid0(VALU_DEP_4) | instskip(NEXT) | instid1(VALU_DEP_4)
	v_dual_mov_b32 v17, 0 :: v_dual_add_nc_u32 v0, s13, v1
	v_lshlrev_b32_e32 v6, 3, v2
	v_add_nc_u32_e32 v2, s12, v2
	s_delay_alu instid0(VALU_DEP_4)
	v_lshl_or_b32 v10, v1, 6, v3
	v_lshl_add_u32 v15, v5, 6, 0x800
	v_ashrrev_i32_e32 v1, 31, v0
	v_lshl_or_b32 v11, v9, 8, v6
	v_ashrrev_i32_e32 v3, 31, v2
	s_waitcnt lgkmcnt(0)
	s_ashr_i32 s17, s16, 31
	s_ashr_i32 s19, s18, 31
	v_mad_i64_i32 v[6:7], null, s18, v8, v[0:1]
	v_mad_i64_i32 v[0:1], null, s16, v9, v[2:3]
	s_mul_i32 s9, s9, s15
	s_mul_hi_u32 s22, s8, s15
	s_mul_i32 s8, s8, s15
	s_add_i32 s9, s22, s9
	v_dual_mov_b32 v8, 0 :: v_dual_add_nc_u32 v13, 0x800, v10
	s_delay_alu instid0(VALU_DEP_2)
	v_lshlrev_b64 v[0:1], 3, v[0:1]
	s_lshl_b64 s[8:9], s[8:9], 3
	v_mov_b32_e32 v9, 0
	s_add_u32 s6, s6, s8
	s_addc_u32 s7, s7, s9
	s_mul_i32 s8, s21, s15
	s_mul_hi_u32 s9, s20, s15
	v_add_co_u32 v2, vcc_lo, s6, v0
	v_add_co_ci_u32_e32 v3, vcc_lo, s7, v1, vcc_lo
	s_add_i32 s7, s9, s8
	s_mul_i32 s6, s20, s15
	v_lshlrev_b64 v[0:1], 3, v[6:7]
	s_lshl_b64 s[8:9], s[6:7], 3
	s_lshl_b64 s[6:7], s[16:17], 6
	s_add_u32 s8, s10, s8
	s_addc_u32 s9, s11, s9
	v_mov_b32_e32 v12, 0
	v_add_co_u32 v6, vcc_lo, s8, v0
	v_add_co_ci_u32_e32 v7, vcc_lo, s9, v1, vcc_lo
	v_add_co_u32 v0, vcc_lo, v2, 4
	v_add_co_ci_u32_e32 v1, vcc_lo, 0, v3, vcc_lo
	s_delay_alu instid0(VALU_DEP_4) | instskip(NEXT) | instid1(VALU_DEP_4)
	v_add_co_u32 v2, vcc_lo, v6, 4
	v_add_co_ci_u32_e32 v3, vcc_lo, 0, v7, vcc_lo
	v_dual_mov_b32 v7, 0 :: v_dual_mov_b32 v6, 0
	v_mov_b32_e32 v10, 0
	v_mov_b32_e32 v16, 0
	s_lshl_b64 s[8:9], s[18:19], 6
.LBB185_2:                              ; =>This Inner Loop Header: Depth=1
	global_load_b64 v[18:19], v[0:1], off offset:-4
	global_load_b64 v[20:21], v[2:3], off offset:-4
	v_add_co_u32 v0, vcc_lo, v0, s6
	v_add_co_ci_u32_e32 v1, vcc_lo, s7, v1, vcc_lo
	v_add_co_u32 v2, vcc_lo, v2, s8
	v_add_co_ci_u32_e32 v3, vcc_lo, s9, v3, vcc_lo
	s_add_i32 s14, s14, 8
	s_waitcnt vmcnt(1)
	ds_store_b64 v11, v[18:19]
	s_waitcnt vmcnt(0)
	ds_store_b64 v13, v[20:21]
	s_waitcnt lgkmcnt(0)
	s_barrier
	buffer_gl0_inv
	ds_load_2addr_b64 v[18:21], v14 offset1:16
	ds_load_b128 v[22:25], v15
	ds_load_b128 v[26:29], v15 offset:1024
	ds_load_b128 v[30:33], v15 offset:16
	ds_load_2addr_b64 v[34:37], v14 offset0:32 offset1:48
	ds_load_b128 v[38:41], v15 offset:32
	ds_load_b128 v[42:45], v15 offset:48
	ds_load_2addr_b64 v[46:49], v14 offset0:64 offset1:80
	ds_load_b128 v[50:53], v15 offset:1040
	ds_load_2addr_b64 v[54:57], v14 offset0:96 offset1:112
	ds_load_2addr_b64 v[58:61], v14 offset0:128 offset1:144
	;; [unrolled: 1-line block ×4, first 2 shown]
	ds_load_b128 v[70:73], v15 offset:1056
	ds_load_b128 v[74:77], v15 offset:1072
	ds_load_2addr_b64 v[78:81], v14 offset0:224 offset1:240
	s_cmp_ge_i32 s14, s3
	s_waitcnt lgkmcnt(0)
	s_barrier
	buffer_gl0_inv
	v_dual_mul_f32 v82, v23, v19 :: v_dual_mul_f32 v85, v22, v21
	v_dual_mul_f32 v83, v22, v19 :: v_dual_mul_f32 v84, v23, v21
	v_mul_f32_e32 v86, v27, v19
	v_dual_mul_f32 v19, v26, v19 :: v_dual_mul_f32 v90, v25, v37
	v_dual_mul_f32 v87, v27, v21 :: v_dual_mul_f32 v88, v25, v35
	v_mul_f32_e32 v21, v26, v21
	v_mul_f32_e32 v89, v24, v35
	;; [unrolled: 1-line block ×3, first 2 shown]
	v_fma_f32 v82, v22, v18, -v82
	v_fmac_f32_e32 v83, v23, v18
	v_fma_f32 v22, v22, v20, -v84
	v_dual_fmac_f32 v85, v23, v20 :: v_dual_mul_f32 v84, v30, v47
	v_fma_f32 v23, v26, v18, -v86
	v_fmac_f32_e32 v19, v27, v18
	v_fma_f32 v18, v26, v20, -v87
	v_dual_mul_f32 v26, v28, v35 :: v_dual_fmac_f32 v21, v27, v20
	v_mul_f32_e32 v20, v29, v35
	v_mul_f32_e32 v27, v29, v37
	v_dual_mul_f32 v35, v28, v37 :: v_dual_fmac_f32 v84, v31, v46
	v_fma_f32 v37, v24, v34, -v88
	v_fma_f32 v24, v24, v36, -v90
	v_dual_fmac_f32 v91, v25, v36 :: v_dual_mul_f32 v90, v32, v57
	v_dual_mul_f32 v86, v31, v49 :: v_dual_fmac_f32 v89, v25, v34
	v_dual_mul_f32 v25, v31, v47 :: v_dual_mul_f32 v88, v33, v57
	v_fma_f32 v20, v28, v34, -v20
	v_fmac_f32_e32 v26, v29, v34
	v_fma_f32 v27, v28, v36, -v27
	v_dual_fmac_f32 v35, v29, v36 :: v_dual_mul_f32 v28, v51, v47
	v_dual_mul_f32 v29, v50, v47 :: v_dual_mul_f32 v34, v51, v49
	v_mul_f32_e32 v36, v50, v49
	v_mul_f32_e32 v87, v30, v49
	;; [unrolled: 1-line block ×3, first 2 shown]
	v_dual_mul_f32 v49, v32, v55 :: v_dual_fmac_f32 v90, v33, v56
	v_fma_f32 v25, v30, v46, -v25
	v_fma_f32 v30, v30, v48, -v86
	;; [unrolled: 1-line block ×3, first 2 shown]
	v_fmac_f32_e32 v36, v51, v48
	v_fmac_f32_e32 v87, v31, v48
	v_fma_f32 v31, v50, v48, -v34
	v_mul_f32_e32 v34, v53, v55
	v_mul_f32_e32 v48, v53, v57
	v_dual_mul_f32 v50, v52, v57 :: v_dual_fmac_f32 v29, v51, v46
	v_mul_f32_e32 v46, v52, v55
	v_fma_f32 v47, v32, v54, -v47
	v_fmac_f32_e32 v49, v33, v54
	v_fma_f32 v32, v32, v56, -v88
	s_delay_alu instid0(VALU_DEP_4)
	v_dual_mul_f32 v33, v39, v59 :: v_dual_fmac_f32 v46, v53, v54
	v_mul_f32_e32 v51, v38, v59
	v_mul_f32_e32 v55, v39, v61
	v_fma_f32 v34, v52, v54, -v34
	v_fma_f32 v48, v52, v56, -v48
	v_fmac_f32_e32 v50, v53, v56
	v_mul_f32_e32 v52, v71, v59
	v_dual_mul_f32 v53, v70, v59 :: v_dual_mul_f32 v86, v41, v65
	v_mul_f32_e32 v54, v71, v61
	v_dual_mul_f32 v56, v70, v61 :: v_dual_mul_f32 v59, v41, v63
	v_mul_f32_e32 v57, v38, v61
	v_mul_f32_e32 v61, v40, v63
	v_dual_mul_f32 v88, v40, v65 :: v_dual_fmac_f32 v51, v39, v58
	v_fma_f32 v33, v38, v58, -v33
	v_fmac_f32_e32 v53, v71, v58
	v_fmac_f32_e32 v56, v71, v60
	s_delay_alu instid0(VALU_DEP_4)
	v_fmac_f32_e32 v88, v41, v64
	v_fmac_f32_e32 v57, v39, v60
	v_fma_f32 v39, v70, v58, -v52
	v_fma_f32 v52, v70, v60, -v54
	v_mul_f32_e32 v54, v73, v63
	v_fma_f32 v38, v38, v60, -v55
	v_mul_f32_e32 v60, v72, v65
	v_dual_mul_f32 v55, v72, v63 :: v_dual_mul_f32 v70, v42, v69
	v_mul_f32_e32 v58, v73, v65
	v_fma_f32 v59, v40, v62, -v59
	v_fmac_f32_e32 v61, v41, v62
	v_fma_f32 v40, v40, v64, -v86
	v_dual_mul_f32 v41, v43, v67 :: v_dual_fmac_f32 v60, v73, v64
	v_dual_mul_f32 v63, v42, v67 :: v_dual_mul_f32 v86, v44, v81
	v_mul_f32_e32 v65, v43, v69
	v_fma_f32 v54, v72, v62, -v54
	v_fmac_f32_e32 v55, v73, v62
	v_fma_f32 v58, v72, v64, -v58
	v_mul_f32_e32 v72, v44, v79
	v_mul_f32_e32 v62, v75, v67
	v_dual_mul_f32 v64, v74, v67 :: v_dual_mul_f32 v67, v75, v69
	v_dual_mul_f32 v69, v74, v69 :: v_dual_fmac_f32 v70, v43, v68
	s_delay_alu instid0(VALU_DEP_2)
	v_dual_mul_f32 v71, v45, v79 :: v_dual_fmac_f32 v64, v75, v66
	v_dual_mul_f32 v73, v45, v81 :: v_dual_add_f32 v16, v16, v82
	v_fma_f32 v41, v42, v66, -v41
	v_fmac_f32_e32 v63, v43, v66
	v_fma_f32 v43, v74, v66, -v62
	v_mul_f32_e32 v66, v76, v79
	v_dual_fmac_f32 v86, v45, v80 :: v_dual_add_f32 v7, v7, v21
	v_dual_add_f32 v17, v17, v83 :: v_dual_add_f32 v12, v12, v85
	v_dual_add_f32 v9, v9, v19 :: v_dual_add_f32 v6, v6, v18
	v_fma_f32 v42, v42, v68, -v65
	v_fma_f32 v62, v74, v68, -v67
	v_dual_mul_f32 v65, v77, v79 :: v_dual_add_f32 v10, v10, v22
	v_dual_mul_f32 v67, v77, v81 :: v_dual_add_f32 v8, v8, v23
	v_dual_fmac_f32 v66, v77, v78 :: v_dual_add_f32 v7, v7, v35
	v_dual_add_f32 v16, v16, v37 :: v_dual_add_f32 v9, v9, v26
	s_delay_alu instid0(VALU_DEP_4) | instskip(SKIP_2) | instid1(VALU_DEP_3)
	v_dual_add_f32 v17, v17, v89 :: v_dual_add_f32 v10, v10, v24
	v_dual_fmac_f32 v69, v75, v68 :: v_dual_fmac_f32 v72, v45, v78
	v_mul_f32_e32 v68, v76, v81
	v_dual_add_f32 v12, v12, v91 :: v_dual_add_f32 v17, v17, v84
	v_dual_add_f32 v8, v8, v20 :: v_dual_add_f32 v9, v9, v29
	;; [unrolled: 1-line block ×3, first 2 shown]
	s_delay_alu instid0(VALU_DEP_4) | instskip(NEXT) | instid1(VALU_DEP_3)
	v_fmac_f32_e32 v68, v77, v80
	v_dual_add_f32 v16, v16, v25 :: v_dual_add_f32 v9, v9, v46
	v_dual_add_f32 v10, v10, v30 :: v_dual_add_f32 v17, v17, v49
	s_delay_alu instid0(VALU_DEP_4) | instskip(NEXT) | instid1(VALU_DEP_3)
	v_dual_add_f32 v7, v7, v50 :: v_dual_add_f32 v12, v12, v87
	v_dual_add_f32 v9, v9, v53 :: v_dual_add_f32 v8, v8, v28
	s_delay_alu instid0(VALU_DEP_3) | instskip(NEXT) | instid1(VALU_DEP_3)
	v_add_f32_e32 v17, v17, v51
	v_dual_add_f32 v6, v6, v31 :: v_dual_add_f32 v7, v7, v56
	v_add_f32_e32 v16, v16, v47
	s_delay_alu instid0(VALU_DEP_4) | instskip(NEXT) | instid1(VALU_DEP_3)
	v_dual_add_f32 v10, v10, v32 :: v_dual_add_f32 v9, v9, v55
	v_dual_add_f32 v12, v12, v90 :: v_dual_add_f32 v7, v7, v60
	s_delay_alu instid0(VALU_DEP_4) | instskip(SKIP_1) | instid1(VALU_DEP_4)
	v_dual_add_f32 v6, v6, v48 :: v_dual_add_f32 v17, v17, v61
	v_add_f32_e32 v8, v8, v34
	v_dual_add_f32 v16, v16, v33 :: v_dual_add_f32 v9, v9, v64
	s_delay_alu instid0(VALU_DEP_3) | instskip(SKIP_1) | instid1(VALU_DEP_4)
	v_dual_add_f32 v12, v12, v57 :: v_dual_add_f32 v17, v17, v63
	v_dual_add_f32 v10, v10, v38 :: v_dual_add_f32 v7, v7, v69
	v_add_f32_e32 v8, v8, v39
	v_add_f32_e32 v6, v6, v52
	s_delay_alu instid0(VALU_DEP_4) | instskip(NEXT) | instid1(VALU_DEP_4)
	v_dual_add_f32 v16, v16, v59 :: v_dual_add_f32 v17, v17, v72
	v_add_f32_e32 v7, v7, v68
	v_add_f32_e32 v10, v10, v40
	;; [unrolled: 1-line block ×4, first 2 shown]
	v_dual_add_f32 v9, v9, v66 :: v_dual_add_f32 v12, v12, v88
	v_fma_f32 v71, v44, v78, -v71
	v_fma_f32 v44, v44, v80, -v73
	;; [unrolled: 1-line block ×4, first 2 shown]
	v_add_f32_e32 v16, v16, v41
	v_add_f32_e32 v10, v10, v42
	;; [unrolled: 1-line block ×10, first 2 shown]
	s_cbranch_scc0 .LBB185_2
.LBB185_3:
	s_clause 0x2
	s_load_b32 s3, s[0:1], 0x50
	s_load_b64 s[6:7], s[0:1], 0x58
	s_load_b64 s[8:9], s[0:1], 0x48
	v_add_nc_u32_e32 v5, s13, v5
	v_add_nc_u32_e32 v0, s12, v4
	s_delay_alu instid0(VALU_DEP_2)
	v_cmp_gt_i32_e32 vcc_lo, s2, v5
	s_waitcnt lgkmcnt(0)
	v_mad_i64_i32 v[1:2], null, v5, s3, 0
	s_mul_i32 s1, s15, s7
	s_mul_hi_u32 s7, s15, s6
	s_mul_i32 s0, s15, s6
	s_add_i32 s1, s7, s1
	s_delay_alu instid0(SALU_CYCLE_1) | instskip(NEXT) | instid1(VALU_DEP_1)
	s_lshl_b64 s[6:7], s[0:1], 3
	v_lshlrev_b64 v[1:2], 3, v[1:2]
	s_add_u32 s6, s8, s6
	v_cmp_le_i32_e64 s0, v0, v5
	s_addc_u32 s7, s9, s7
	s_delay_alu instid0(VALU_DEP_2) | instskip(NEXT) | instid1(VALU_DEP_1)
	v_add_co_u32 v4, s1, s6, v1
	v_add_co_ci_u32_e64 v11, s1, s7, v2, s1
	s_delay_alu instid0(VALU_DEP_3) | instskip(NEXT) | instid1(SALU_CYCLE_1)
	s_and_b32 s0, vcc_lo, s0
	s_and_saveexec_b32 s1, s0
	s_cbranch_execz .LBB185_5
; %bb.4:
	v_ashrrev_i32_e32 v1, 31, v0
	v_mul_f32_e32 v2, s4, v17
	v_mul_f32_e32 v3, s5, v17
	s_delay_alu instid0(VALU_DEP_3) | instskip(NEXT) | instid1(VALU_DEP_3)
	v_lshlrev_b64 v[13:14], 3, v[0:1]
	v_fmac_f32_e32 v2, s5, v16
	s_delay_alu instid0(VALU_DEP_3) | instskip(NEXT) | instid1(VALU_DEP_3)
	v_fma_f32 v1, v16, s4, -v3
	v_add_co_u32 v13, s0, v4, v13
	s_delay_alu instid0(VALU_DEP_1)
	v_add_co_ci_u32_e64 v14, s0, v11, v14, s0
	global_store_b64 v[13:14], v[1:2], off
.LBB185_5:
	s_or_b32 exec_lo, exec_lo, s1
	v_add_nc_u32_e32 v2, 16, v0
	s_delay_alu instid0(VALU_DEP_1) | instskip(NEXT) | instid1(VALU_DEP_1)
	v_cmp_le_i32_e64 s0, v2, v5
	s_and_b32 s1, vcc_lo, s0
	s_delay_alu instid0(SALU_CYCLE_1)
	s_and_saveexec_b32 s0, s1
	s_cbranch_execz .LBB185_7
; %bb.6:
	v_ashrrev_i32_e32 v3, 31, v2
	v_mul_f32_e32 v1, s5, v12
	v_mul_f32_e32 v13, s4, v12
	s_delay_alu instid0(VALU_DEP_3) | instskip(NEXT) | instid1(VALU_DEP_3)
	v_lshlrev_b64 v[14:15], 3, v[2:3]
	v_fma_f32 v12, v10, s4, -v1
	s_delay_alu instid0(VALU_DEP_3) | instskip(NEXT) | instid1(VALU_DEP_3)
	v_fmac_f32_e32 v13, s5, v10
	v_add_co_u32 v3, vcc_lo, v4, v14
	s_delay_alu instid0(VALU_DEP_4)
	v_add_co_ci_u32_e32 v4, vcc_lo, v11, v15, vcc_lo
	global_store_b64 v[3:4], v[12:13], off
.LBB185_7:
	s_or_b32 exec_lo, exec_lo, s0
	v_add_nc_u32_e32 v3, 16, v5
	s_delay_alu instid0(VALU_DEP_1) | instskip(SKIP_2) | instid1(VALU_DEP_1)
	v_mad_i64_i32 v[4:5], null, v3, s3, 0
	v_cmp_gt_i32_e32 vcc_lo, s2, v3
	v_cmp_le_i32_e64 s0, v0, v3
	s_and_b32 s0, vcc_lo, s0
	s_delay_alu instid0(VALU_DEP_3) | instskip(NEXT) | instid1(VALU_DEP_1)
	v_lshlrev_b64 v[4:5], 3, v[4:5]
	v_add_co_u32 v4, s1, s6, v4
	s_delay_alu instid0(VALU_DEP_1)
	v_add_co_ci_u32_e64 v5, s1, s7, v5, s1
	s_and_saveexec_b32 s1, s0
	s_cbranch_execz .LBB185_9
; %bb.8:
	v_ashrrev_i32_e32 v1, 31, v0
	v_mul_f32_e32 v10, s4, v9
	v_mul_f32_e32 v11, s5, v9
	s_delay_alu instid0(VALU_DEP_3) | instskip(NEXT) | instid1(VALU_DEP_3)
	v_lshlrev_b64 v[0:1], 3, v[0:1]
	v_fmac_f32_e32 v10, s5, v8
	s_delay_alu instid0(VALU_DEP_3) | instskip(NEXT) | instid1(VALU_DEP_3)
	v_fma_f32 v9, v8, s4, -v11
	v_add_co_u32 v0, s0, v4, v0
	s_delay_alu instid0(VALU_DEP_1)
	v_add_co_ci_u32_e64 v1, s0, v5, v1, s0
	global_store_b64 v[0:1], v[9:10], off
.LBB185_9:
	s_or_b32 exec_lo, exec_lo, s1
	v_cmp_le_i32_e64 s0, v2, v3
	s_delay_alu instid0(VALU_DEP_1) | instskip(NEXT) | instid1(SALU_CYCLE_1)
	s_and_b32 s0, vcc_lo, s0
	s_and_saveexec_b32 s1, s0
	s_cbranch_execz .LBB185_11
; %bb.10:
	v_ashrrev_i32_e32 v3, 31, v2
	v_mul_f32_e32 v1, s4, v7
	v_mul_f32_e32 v0, s5, v7
	s_delay_alu instid0(VALU_DEP_3) | instskip(NEXT) | instid1(VALU_DEP_3)
	v_lshlrev_b64 v[2:3], 3, v[2:3]
	v_fmac_f32_e32 v1, s5, v6
	s_delay_alu instid0(VALU_DEP_3) | instskip(NEXT) | instid1(VALU_DEP_3)
	v_fma_f32 v0, v6, s4, -v0
	v_add_co_u32 v2, vcc_lo, v4, v2
	s_delay_alu instid0(VALU_DEP_4)
	v_add_co_ci_u32_e32 v3, vcc_lo, v5, v3, vcc_lo
	global_store_b64 v[2:3], v[0:1], off
.LBB185_11:
	s_nop 0
	s_sendmsg sendmsg(MSG_DEALLOC_VGPRS)
	s_endpgm
	.section	.rodata,"a",@progbits
	.p2align	6, 0x0
	.amdhsa_kernel _ZL37rocblas_syrkx_herkx_restricted_kernelIi19rocblas_complex_numIfELi16ELi32ELi8ELb1ELb0ELc78ELc85EKS1_S1_EviT_T0_PT8_S3_lS6_S3_lS4_PT9_S3_li
		.amdhsa_group_segment_fixed_size 4096
		.amdhsa_private_segment_fixed_size 0
		.amdhsa_kernarg_size 100
		.amdhsa_user_sgpr_count 13
		.amdhsa_user_sgpr_dispatch_ptr 0
		.amdhsa_user_sgpr_queue_ptr 0
		.amdhsa_user_sgpr_kernarg_segment_ptr 1
		.amdhsa_user_sgpr_dispatch_id 0
		.amdhsa_user_sgpr_private_segment_size 0
		.amdhsa_wavefront_size32 1
		.amdhsa_uses_dynamic_stack 0
		.amdhsa_enable_private_segment 0
		.amdhsa_system_sgpr_workgroup_id_x 1
		.amdhsa_system_sgpr_workgroup_id_y 1
		.amdhsa_system_sgpr_workgroup_id_z 1
		.amdhsa_system_sgpr_workgroup_info 0
		.amdhsa_system_vgpr_workitem_id 1
		.amdhsa_next_free_vgpr 92
		.amdhsa_next_free_sgpr 23
		.amdhsa_reserve_vcc 1
		.amdhsa_float_round_mode_32 0
		.amdhsa_float_round_mode_16_64 0
		.amdhsa_float_denorm_mode_32 3
		.amdhsa_float_denorm_mode_16_64 3
		.amdhsa_dx10_clamp 1
		.amdhsa_ieee_mode 1
		.amdhsa_fp16_overflow 0
		.amdhsa_workgroup_processor_mode 1
		.amdhsa_memory_ordered 1
		.amdhsa_forward_progress 0
		.amdhsa_shared_vgpr_count 0
		.amdhsa_exception_fp_ieee_invalid_op 0
		.amdhsa_exception_fp_denorm_src 0
		.amdhsa_exception_fp_ieee_div_zero 0
		.amdhsa_exception_fp_ieee_overflow 0
		.amdhsa_exception_fp_ieee_underflow 0
		.amdhsa_exception_fp_ieee_inexact 0
		.amdhsa_exception_int_div_zero 0
	.end_amdhsa_kernel
	.section	.text._ZL37rocblas_syrkx_herkx_restricted_kernelIi19rocblas_complex_numIfELi16ELi32ELi8ELb1ELb0ELc78ELc85EKS1_S1_EviT_T0_PT8_S3_lS6_S3_lS4_PT9_S3_li,"axG",@progbits,_ZL37rocblas_syrkx_herkx_restricted_kernelIi19rocblas_complex_numIfELi16ELi32ELi8ELb1ELb0ELc78ELc85EKS1_S1_EviT_T0_PT8_S3_lS6_S3_lS4_PT9_S3_li,comdat
.Lfunc_end185:
	.size	_ZL37rocblas_syrkx_herkx_restricted_kernelIi19rocblas_complex_numIfELi16ELi32ELi8ELb1ELb0ELc78ELc85EKS1_S1_EviT_T0_PT8_S3_lS6_S3_lS4_PT9_S3_li, .Lfunc_end185-_ZL37rocblas_syrkx_herkx_restricted_kernelIi19rocblas_complex_numIfELi16ELi32ELi8ELb1ELb0ELc78ELc85EKS1_S1_EviT_T0_PT8_S3_lS6_S3_lS4_PT9_S3_li
                                        ; -- End function
	.section	.AMDGPU.csdata,"",@progbits
; Kernel info:
; codeLenInByte = 2156
; NumSgprs: 25
; NumVgprs: 92
; ScratchSize: 0
; MemoryBound: 0
; FloatMode: 240
; IeeeMode: 1
; LDSByteSize: 4096 bytes/workgroup (compile time only)
; SGPRBlocks: 3
; VGPRBlocks: 11
; NumSGPRsForWavesPerEU: 25
; NumVGPRsForWavesPerEU: 92
; Occupancy: 16
; WaveLimiterHint : 0
; COMPUTE_PGM_RSRC2:SCRATCH_EN: 0
; COMPUTE_PGM_RSRC2:USER_SGPR: 13
; COMPUTE_PGM_RSRC2:TRAP_HANDLER: 0
; COMPUTE_PGM_RSRC2:TGID_X_EN: 1
; COMPUTE_PGM_RSRC2:TGID_Y_EN: 1
; COMPUTE_PGM_RSRC2:TGID_Z_EN: 1
; COMPUTE_PGM_RSRC2:TIDIG_COMP_CNT: 1
	.section	.text._ZL37rocblas_syrkx_herkx_restricted_kernelIi19rocblas_complex_numIfELi16ELi32ELi8ELb0ELb0ELc84ELc76EKS1_S1_EviT_T0_PT8_S3_lS6_S3_lS4_PT9_S3_li,"axG",@progbits,_ZL37rocblas_syrkx_herkx_restricted_kernelIi19rocblas_complex_numIfELi16ELi32ELi8ELb0ELb0ELc84ELc76EKS1_S1_EviT_T0_PT8_S3_lS6_S3_lS4_PT9_S3_li,comdat
	.globl	_ZL37rocblas_syrkx_herkx_restricted_kernelIi19rocblas_complex_numIfELi16ELi32ELi8ELb0ELb0ELc84ELc76EKS1_S1_EviT_T0_PT8_S3_lS6_S3_lS4_PT9_S3_li ; -- Begin function _ZL37rocblas_syrkx_herkx_restricted_kernelIi19rocblas_complex_numIfELi16ELi32ELi8ELb0ELb0ELc84ELc76EKS1_S1_EviT_T0_PT8_S3_lS6_S3_lS4_PT9_S3_li
	.p2align	8
	.type	_ZL37rocblas_syrkx_herkx_restricted_kernelIi19rocblas_complex_numIfELi16ELi32ELi8ELb0ELb0ELc84ELc76EKS1_S1_EviT_T0_PT8_S3_lS6_S3_lS4_PT9_S3_li,@function
_ZL37rocblas_syrkx_herkx_restricted_kernelIi19rocblas_complex_numIfELi16ELi32ELi8ELb0ELb0ELc84ELc76EKS1_S1_EviT_T0_PT8_S3_lS6_S3_lS4_PT9_S3_li: ; @_ZL37rocblas_syrkx_herkx_restricted_kernelIi19rocblas_complex_numIfELi16ELi32ELi8ELb0ELb0ELc84ELc76EKS1_S1_EviT_T0_PT8_S3_lS6_S3_lS4_PT9_S3_li
; %bb.0:
	s_clause 0x3
	s_load_b64 s[2:3], s[0:1], 0x0
	s_load_b128 s[8:11], s[0:1], 0x8
	s_load_b128 s[4:7], s[0:1], 0x38
	s_load_b64 s[20:21], s[0:1], 0x48
	v_dual_mov_b32 v15, 0 :: v_dual_and_b32 v6, 0x3ff, v0
	v_bfe_u32 v7, v0, 10, 10
	v_dual_mov_b32 v16, 0 :: v_dual_mov_b32 v11, 0
	v_dual_mov_b32 v10, 0 :: v_dual_mov_b32 v9, 0
	;; [unrolled: 1-line block ×3, first 2 shown]
	v_mov_b32_e32 v0, 0
	s_lshl_b32 s12, s13, 5
	s_lshl_b32 s13, s14, 5
	s_mov_b32 s14, 0
	s_waitcnt lgkmcnt(0)
	s_cmp_lt_i32 s3, 1
	s_cbranch_scc1 .LBB186_3
; %bb.1:
	s_clause 0x2
	s_load_b128 s[16:19], s[0:1], 0x20
	s_load_b32 s22, s[0:1], 0x18
	s_load_b32 s23, s[0:1], 0x30
	v_lshl_add_u32 v2, v7, 4, v6
	v_dual_mov_b32 v1, 0 :: v_dual_and_b32 v0, 7, v6
	s_mul_i32 s5, s5, s15
	v_lshlrev_b32_e32 v12, 3, v6
	s_delay_alu instid0(VALU_DEP_3) | instskip(SKIP_3) | instid1(VALU_DEP_4)
	v_and_b32_e32 v4, 31, v2
	v_lshrrev_b32_e32 v5, 3, v2
	v_dual_mov_b32 v3, v1 :: v_dual_lshlrev_b32 v8, 3, v0
	v_lshrrev_b32_e32 v2, 5, v2
	v_add_nc_u32_e32 v11, s12, v4
	v_lshlrev_b32_e32 v9, 3, v4
	v_dual_mov_b32 v15, v1 :: v_dual_add_nc_u32 v10, s13, v5
	v_lshl_or_b32 v8, v5, 6, v8
	v_lshl_add_u32 v17, v7, 6, 0x800
	s_delay_alu instid0(VALU_DEP_4)
	v_lshl_or_b32 v13, v2, 8, v9
	s_waitcnt lgkmcnt(0)
	s_mul_i32 s17, s17, s15
	v_mad_i64_i32 v[4:5], null, s22, v11, v[2:3]
	s_mul_hi_u32 s24, s16, s15
	v_mad_i64_i32 v[2:3], null, s23, v10, v[0:1]
	s_mul_i32 s16, s16, s15
	s_add_i32 s17, s24, s17
	v_add_nc_u32_e32 v14, 0x800, v8
	s_lshl_b64 s[16:17], s[16:17], 3
	s_delay_alu instid0(VALU_DEP_3)
	v_lshlrev_b64 v[4:5], 3, v[4:5]
	s_add_u32 s10, s10, s16
	s_mul_hi_u32 s16, s4, s15
	s_addc_u32 s11, s11, s17
	s_add_i32 s5, s16, s5
	s_mul_i32 s4, s4, s15
	v_lshlrev_b64 v[2:3], 3, v[2:3]
	s_lshl_b64 s[4:5], s[4:5], 3
	v_add_co_u32 v0, vcc_lo, s10, v4
	s_add_u32 s4, s18, s4
	v_add_co_ci_u32_e32 v4, vcc_lo, s11, v5, vcc_lo
	s_addc_u32 s5, s19, s5
	v_add_co_u32 v5, vcc_lo, s4, v2
	v_add_co_ci_u32_e32 v8, vcc_lo, s5, v3, vcc_lo
	v_add_co_u32 v2, vcc_lo, v0, 4
	v_add_co_ci_u32_e32 v3, vcc_lo, 0, v4, vcc_lo
	s_delay_alu instid0(VALU_DEP_4) | instskip(NEXT) | instid1(VALU_DEP_4)
	v_add_co_u32 v4, vcc_lo, v5, 4
	v_add_co_ci_u32_e32 v5, vcc_lo, 0, v8, vcc_lo
	v_mov_b32_e32 v0, v1
	v_mov_b32_e32 v9, v1
	;; [unrolled: 1-line block ×6, first 2 shown]
.LBB186_2:                              ; =>This Inner Loop Header: Depth=1
	global_load_b64 v[18:19], v[2:3], off offset:-4
	global_load_b64 v[20:21], v[4:5], off offset:-4
	v_add_co_u32 v2, vcc_lo, v2, 64
	v_add_co_ci_u32_e32 v3, vcc_lo, 0, v3, vcc_lo
	v_add_co_u32 v4, vcc_lo, v4, 64
	v_add_co_ci_u32_e32 v5, vcc_lo, 0, v5, vcc_lo
	s_add_i32 s14, s14, 8
	s_waitcnt vmcnt(1)
	ds_store_b64 v13, v[18:19]
	s_waitcnt vmcnt(0)
	ds_store_b64 v14, v[20:21]
	s_waitcnt lgkmcnt(0)
	s_barrier
	buffer_gl0_inv
	ds_load_2addr_b64 v[18:21], v12 offset1:16
	ds_load_b128 v[22:25], v17
	ds_load_b128 v[26:29], v17 offset:1024
	ds_load_b128 v[30:33], v17 offset:16
	ds_load_2addr_b64 v[34:37], v12 offset0:32 offset1:48
	ds_load_b128 v[38:41], v17 offset:32
	ds_load_b128 v[42:45], v17 offset:48
	ds_load_2addr_b64 v[46:49], v12 offset0:64 offset1:80
	ds_load_b128 v[50:53], v17 offset:1040
	ds_load_2addr_b64 v[54:57], v12 offset0:96 offset1:112
	ds_load_2addr_b64 v[58:61], v12 offset0:128 offset1:144
	ds_load_2addr_b64 v[62:65], v12 offset0:160 offset1:176
	ds_load_2addr_b64 v[66:69], v12 offset0:192 offset1:208
	ds_load_b128 v[70:73], v17 offset:1056
	ds_load_b128 v[74:77], v17 offset:1072
	ds_load_2addr_b64 v[78:81], v12 offset0:224 offset1:240
	s_cmp_ge_i32 s14, s3
	s_waitcnt lgkmcnt(0)
	s_barrier
	buffer_gl0_inv
	v_dual_mul_f32 v82, v23, v19 :: v_dual_mul_f32 v85, v22, v21
	v_dual_mul_f32 v83, v22, v19 :: v_dual_mul_f32 v84, v23, v21
	v_mul_f32_e32 v86, v27, v19
	v_dual_mul_f32 v19, v26, v19 :: v_dual_mul_f32 v90, v25, v37
	v_dual_mul_f32 v87, v27, v21 :: v_dual_mul_f32 v88, v25, v35
	v_mul_f32_e32 v21, v26, v21
	v_fma_f32 v82, v22, v18, -v82
	v_fmac_f32_e32 v83, v23, v18
	v_fma_f32 v22, v22, v20, -v84
	v_fmac_f32_e32 v85, v23, v20
	v_fma_f32 v23, v26, v18, -v86
	v_dual_fmac_f32 v19, v27, v18 :: v_dual_mul_f32 v86, v30, v47
	v_fma_f32 v18, v26, v20, -v87
	v_dual_fmac_f32 v21, v27, v20 :: v_dual_mul_f32 v20, v24, v37
	v_mul_f32_e32 v89, v24, v35
	v_mul_f32_e32 v26, v29, v35
	;; [unrolled: 1-line block ×4, first 2 shown]
	v_fmac_f32_e32 v20, v25, v36
	v_fmac_f32_e32 v89, v25, v34
	v_dual_mul_f32 v25, v28, v37 :: v_dual_fmac_f32 v86, v31, v46
	v_fma_f32 v84, v24, v34, -v88
	v_fma_f32 v24, v24, v36, -v90
	v_dual_mul_f32 v37, v31, v47 :: v_dual_mul_f32 v90, v33, v57
	v_fma_f32 v26, v28, v34, -v26
	v_fma_f32 v28, v28, v36, -v35
	v_fmac_f32_e32 v25, v29, v36
	v_dual_mul_f32 v35, v50, v47 :: v_dual_mul_f32 v36, v51, v49
	v_dual_fmac_f32 v27, v29, v34 :: v_dual_mul_f32 v34, v51, v47
	v_dual_mul_f32 v88, v32, v55 :: v_dual_mul_f32 v29, v30, v49
	v_mul_f32_e32 v87, v31, v49
	v_fma_f32 v37, v30, v46, -v37
	v_add_f32_e32 v16, v16, v83
	s_delay_alu instid0(VALU_DEP_4)
	v_dual_fmac_f32 v88, v33, v54 :: v_dual_fmac_f32 v29, v31, v48
	v_fma_f32 v31, v50, v46, -v34
	v_fma_f32 v34, v50, v48, -v36
	v_mul_f32_e32 v36, v32, v57
	v_mul_f32_e32 v47, v50, v49
	v_dual_mul_f32 v50, v53, v57 :: v_dual_fmac_f32 v35, v51, v46
	v_mul_f32_e32 v46, v53, v55
	v_mul_f32_e32 v49, v33, v55
	v_fma_f32 v30, v30, v48, -v87
	v_fmac_f32_e32 v36, v33, v56
	v_dual_fmac_f32 v47, v51, v48 :: v_dual_mul_f32 v48, v52, v55
	v_mul_f32_e32 v33, v52, v57
	v_fma_f32 v46, v52, v54, -v46
	v_fma_f32 v50, v52, v56, -v50
	v_mul_f32_e32 v52, v38, v61
	v_fma_f32 v49, v32, v54, -v49
	v_fma_f32 v32, v32, v56, -v90
	v_dual_mul_f32 v51, v39, v59 :: v_dual_fmac_f32 v48, v53, v54
	v_mul_f32_e32 v54, v70, v59
	v_dual_mul_f32 v55, v38, v59 :: v_dual_fmac_f32 v52, v39, v60
	v_fmac_f32_e32 v33, v53, v56
	v_mul_f32_e32 v53, v71, v59
	v_mul_f32_e32 v56, v71, v61
	;; [unrolled: 1-line block ×3, first 2 shown]
	v_fmac_f32_e32 v54, v71, v58
	v_fmac_f32_e32 v55, v39, v58
	v_fma_f32 v39, v70, v58, -v53
	v_fma_f32 v53, v70, v60, -v56
	v_mul_f32_e32 v56, v40, v65
	v_mul_f32_e32 v59, v70, v61
	v_fma_f32 v51, v38, v58, -v51
	v_mul_f32_e32 v58, v72, v63
	v_mul_f32_e32 v87, v40, v63
	;; [unrolled: 1-line block ×4, first 2 shown]
	v_fma_f32 v38, v38, v60, -v57
	v_mul_f32_e32 v57, v73, v63
	v_fmac_f32_e32 v56, v41, v64
	v_dual_fmac_f32 v59, v71, v60 :: v_dual_mul_f32 v60, v73, v65
	v_mul_f32_e32 v63, v43, v67
	v_mul_f32_e32 v70, v43, v69
	v_fmac_f32_e32 v58, v73, v62
	v_fmac_f32_e32 v87, v41, v62
	v_mul_f32_e32 v41, v72, v65
	v_fma_f32 v61, v40, v62, -v61
	v_fma_f32 v40, v40, v64, -v90
	v_mul_f32_e32 v65, v42, v67
	v_fma_f32 v57, v72, v62, -v57
	v_fma_f32 v60, v72, v64, -v60
	v_dual_fmac_f32 v41, v73, v64 :: v_dual_mul_f32 v62, v42, v69
	v_mul_f32_e32 v64, v75, v67
	v_fma_f32 v63, v42, v66, -v63
	v_fma_f32 v42, v42, v68, -v70
	v_mul_f32_e32 v70, v76, v79
	v_mul_f32_e32 v67, v74, v67
	;; [unrolled: 1-line block ×3, first 2 shown]
	v_dual_mul_f32 v69, v74, v69 :: v_dual_add_f32 v8, v8, v23
	v_dual_mul_f32 v73, v44, v79 :: v_dual_add_f32 v10, v10, v22
	v_dual_fmac_f32 v65, v43, v66 :: v_dual_add_f32 v16, v16, v89
	v_fmac_f32_e32 v62, v43, v68
	v_fma_f32 v43, v74, v66, -v64
	v_fmac_f32_e32 v70, v77, v78
	v_dual_fmac_f32 v67, v75, v66 :: v_dual_add_f32 v10, v10, v24
	v_mul_f32_e32 v66, v44, v81
	v_mul_f32_e32 v72, v45, v79
	v_dual_mul_f32 v90, v45, v81 :: v_dual_fmac_f32 v69, v75, v68
	v_add_f32_e32 v0, v0, v18
	v_fmac_f32_e32 v73, v45, v78
	v_dual_fmac_f32 v66, v45, v80 :: v_dual_mul_f32 v45, v76, v81
	v_add_f32_e32 v10, v10, v30
	v_fma_f32 v64, v74, v68, -v71
	v_dual_mul_f32 v71, v77, v81 :: v_dual_add_f32 v8, v8, v26
	s_delay_alu instid0(VALU_DEP_4) | instskip(SKIP_4) | instid1(VALU_DEP_4)
	v_dual_fmac_f32 v45, v77, v80 :: v_dual_add_f32 v16, v16, v86
	v_add_f32_e32 v15, v15, v82
	v_add_f32_e32 v9, v9, v19
	v_dual_add_f32 v1, v1, v21 :: v_dual_add_f32 v10, v10, v32
	v_dual_add_f32 v0, v0, v28 :: v_dual_add_f32 v11, v11, v85
	;; [unrolled: 1-line block ×3, first 2 shown]
	s_delay_alu instid0(VALU_DEP_4) | instskip(NEXT) | instid1(VALU_DEP_4)
	v_dual_add_f32 v16, v16, v88 :: v_dual_add_f32 v9, v9, v27
	v_dual_add_f32 v10, v10, v38 :: v_dual_add_f32 v1, v1, v25
	s_delay_alu instid0(VALU_DEP_4) | instskip(NEXT) | instid1(VALU_DEP_3)
	v_add_f32_e32 v0, v0, v34
	v_dual_add_f32 v16, v16, v55 :: v_dual_add_f32 v11, v11, v20
	v_dual_add_f32 v8, v8, v46 :: v_dual_add_f32 v15, v15, v37
	s_delay_alu instid0(VALU_DEP_4) | instskip(NEXT) | instid1(VALU_DEP_3)
	v_dual_add_f32 v1, v1, v47 :: v_dual_add_f32 v10, v10, v40
	v_dual_add_f32 v0, v0, v50 :: v_dual_add_f32 v11, v11, v29
	s_delay_alu instid0(VALU_DEP_4) | instskip(SKIP_1) | instid1(VALU_DEP_4)
	v_add_f32_e32 v16, v16, v87
	v_add_f32_e32 v9, v9, v35
	v_dual_add_f32 v1, v1, v33 :: v_dual_add_f32 v10, v10, v42
	s_delay_alu instid0(VALU_DEP_4)
	v_dual_add_f32 v8, v8, v39 :: v_dual_add_f32 v11, v11, v36
	v_add_f32_e32 v0, v0, v53
	v_add_f32_e32 v15, v15, v49
	v_dual_add_f32 v9, v9, v48 :: v_dual_add_f32 v16, v16, v65
	v_mul_f32_e32 v68, v77, v79
	v_fma_f32 v72, v44, v78, -v72
	v_fma_f32 v44, v44, v80, -v90
	s_delay_alu instid0(VALU_DEP_4) | instskip(SKIP_1) | instid1(VALU_DEP_3)
	v_dual_add_f32 v9, v9, v54 :: v_dual_add_f32 v16, v16, v73
	v_dual_add_f32 v1, v1, v59 :: v_dual_add_f32 v8, v8, v57
	v_add_f32_e32 v10, v10, v44
	v_add_f32_e32 v11, v11, v52
	v_dual_add_f32 v0, v0, v60 :: v_dual_add_f32 v15, v15, v51
	v_fma_f32 v68, v76, v78, -v68
	v_fma_f32 v71, v76, v80, -v71
	s_delay_alu instid0(VALU_DEP_3) | instskip(SKIP_2) | instid1(VALU_DEP_3)
	v_dual_add_f32 v9, v9, v58 :: v_dual_add_f32 v0, v0, v64
	v_dual_add_f32 v1, v1, v41 :: v_dual_add_f32 v8, v8, v43
	v_add_f32_e32 v15, v15, v61
	v_dual_add_f32 v11, v11, v56 :: v_dual_add_f32 v0, v0, v71
	s_delay_alu instid0(VALU_DEP_4) | instskip(NEXT) | instid1(VALU_DEP_4)
	v_add_f32_e32 v9, v9, v67
	v_dual_add_f32 v1, v1, v69 :: v_dual_add_f32 v8, v8, v68
	s_delay_alu instid0(VALU_DEP_4) | instskip(NEXT) | instid1(VALU_DEP_4)
	v_add_f32_e32 v15, v15, v63
	v_add_f32_e32 v11, v11, v62
	s_delay_alu instid0(VALU_DEP_4) | instskip(NEXT) | instid1(VALU_DEP_4)
	v_add_f32_e32 v9, v9, v70
	v_add_f32_e32 v1, v1, v45
	;; [unrolled: 3-line block ×3, first 2 shown]
	s_cbranch_scc0 .LBB186_2
.LBB186_3:
	s_clause 0x1
	s_load_b32 s3, s[0:1], 0x50
	s_load_b64 s[4:5], s[0:1], 0x58
	v_add_nc_u32_e32 v7, s13, v7
	v_add_nc_u32_e32 v2, s12, v6
	s_delay_alu instid0(VALU_DEP_1)
	v_cmp_le_i32_e64 s0, v7, v2
	v_cmp_gt_i32_e32 vcc_lo, s2, v2
	s_waitcnt lgkmcnt(0)
	v_mad_i64_i32 v[3:4], null, v7, s3, 0
	s_mul_i32 s1, s15, s5
	s_mul_hi_u32 s5, s15, s4
	s_mul_i32 s4, s15, s4
	s_add_i32 s5, s5, s1
	s_delay_alu instid0(SALU_CYCLE_1) | instskip(NEXT) | instid1(VALU_DEP_1)
	s_lshl_b64 s[4:5], s[4:5], 3
	v_lshlrev_b64 v[3:4], 3, v[3:4]
	s_add_u32 s4, s20, s4
	s_addc_u32 s5, s21, s5
	s_and_b32 s0, s0, vcc_lo
	s_delay_alu instid0(VALU_DEP_1) | instskip(NEXT) | instid1(VALU_DEP_1)
	v_add_co_u32 v6, s1, s4, v3
	v_add_co_ci_u32_e64 v12, s1, s5, v4, s1
	s_and_saveexec_b32 s1, s0
	s_cbranch_execz .LBB186_5
; %bb.4:
	v_ashrrev_i32_e32 v3, 31, v2
	s_delay_alu instid0(VALU_DEP_1) | instskip(NEXT) | instid1(VALU_DEP_1)
	v_lshlrev_b64 v[3:4], 3, v[2:3]
	v_add_co_u32 v3, s0, v6, v3
	s_delay_alu instid0(VALU_DEP_1)
	v_add_co_ci_u32_e64 v4, s0, v12, v4, s0
	global_load_b64 v[13:14], v[3:4], off
	v_mul_f32_e32 v5, s9, v16
	s_waitcnt vmcnt(0)
	v_dual_mul_f32 v16, s8, v16 :: v_dual_mul_f32 v17, s7, v14
	v_mul_f32_e32 v14, s6, v14
	s_delay_alu instid0(VALU_DEP_3) | instskip(NEXT) | instid1(VALU_DEP_3)
	v_fma_f32 v5, v15, s8, -v5
	v_fmac_f32_e32 v16, s9, v15
	s_delay_alu instid0(VALU_DEP_4) | instskip(NEXT) | instid1(VALU_DEP_1)
	v_fma_f32 v15, v13, s6, -v17
	v_dual_fmac_f32 v14, s7, v13 :: v_dual_add_f32 v13, v5, v15
	s_delay_alu instid0(VALU_DEP_1)
	v_add_f32_e32 v14, v16, v14
	global_store_b64 v[3:4], v[13:14], off
.LBB186_5:
	s_or_b32 exec_lo, exec_lo, s1
	v_add_nc_u32_e32 v4, 16, v2
	s_delay_alu instid0(VALU_DEP_1) | instskip(SKIP_1) | instid1(VALU_DEP_1)
	v_cmp_le_i32_e64 s1, v7, v4
	v_cmp_gt_i32_e64 s0, s2, v4
	s_and_b32 s1, s1, s0
	s_delay_alu instid0(SALU_CYCLE_1)
	s_and_saveexec_b32 s2, s1
	s_cbranch_execz .LBB186_7
; %bb.6:
	v_ashrrev_i32_e32 v5, 31, v4
	s_delay_alu instid0(VALU_DEP_1) | instskip(NEXT) | instid1(VALU_DEP_1)
	v_lshlrev_b64 v[13:14], 3, v[4:5]
	v_add_co_u32 v5, s1, v6, v13
	s_delay_alu instid0(VALU_DEP_1) | instskip(SKIP_4) | instid1(VALU_DEP_2)
	v_add_co_ci_u32_e64 v6, s1, v12, v14, s1
	global_load_b64 v[12:13], v[5:6], off
	s_waitcnt vmcnt(0)
	v_dual_mul_f32 v3, s9, v11 :: v_dual_mul_f32 v14, s7, v13
	v_mul_f32_e32 v13, s6, v13
	v_fma_f32 v3, v10, s8, -v3
	v_mul_f32_e32 v11, s8, v11
	s_delay_alu instid0(VALU_DEP_3) | instskip(NEXT) | instid1(VALU_DEP_2)
	v_fmac_f32_e32 v13, s7, v12
	v_fmac_f32_e32 v11, s9, v10
	v_fma_f32 v10, v12, s6, -v14
	s_delay_alu instid0(VALU_DEP_2) | instskip(NEXT) | instid1(VALU_DEP_2)
	v_add_f32_e32 v11, v11, v13
	v_add_f32_e32 v10, v3, v10
	global_store_b64 v[5:6], v[10:11], off
.LBB186_7:
	s_or_b32 exec_lo, exec_lo, s2
	v_add_nc_u32_e32 v5, 16, v7
	s_delay_alu instid0(VALU_DEP_1) | instskip(SKIP_1) | instid1(VALU_DEP_2)
	v_mad_i64_i32 v[6:7], null, v5, s3, 0
	v_cmp_le_i32_e64 s1, v5, v2
	v_lshlrev_b64 v[6:7], 3, v[6:7]
	s_delay_alu instid0(VALU_DEP_1) | instskip(NEXT) | instid1(VALU_DEP_1)
	v_add_co_u32 v6, s2, s4, v6
	v_add_co_ci_u32_e64 v7, s2, s5, v7, s2
	s_delay_alu instid0(VALU_DEP_4) | instskip(NEXT) | instid1(SALU_CYCLE_1)
	s_and_b32 s2, s1, vcc_lo
	s_and_saveexec_b32 s1, s2
	s_cbranch_execz .LBB186_9
; %bb.8:
	v_ashrrev_i32_e32 v3, 31, v2
	s_delay_alu instid0(VALU_DEP_1) | instskip(NEXT) | instid1(VALU_DEP_1)
	v_lshlrev_b64 v[2:3], 3, v[2:3]
	v_add_co_u32 v2, vcc_lo, v6, v2
	s_delay_alu instid0(VALU_DEP_2) | instskip(SKIP_4) | instid1(VALU_DEP_2)
	v_add_co_ci_u32_e32 v3, vcc_lo, v7, v3, vcc_lo
	global_load_b64 v[10:11], v[2:3], off
	s_waitcnt vmcnt(0)
	v_dual_mul_f32 v12, s9, v9 :: v_dual_mul_f32 v13, s7, v11
	v_mul_f32_e32 v11, s6, v11
	v_fma_f32 v12, v8, s8, -v12
	v_mul_f32_e32 v9, s8, v9
	s_delay_alu instid0(VALU_DEP_3) | instskip(NEXT) | instid1(VALU_DEP_2)
	v_fmac_f32_e32 v11, s7, v10
	v_fmac_f32_e32 v9, s9, v8
	v_fma_f32 v8, v10, s6, -v13
	s_delay_alu instid0(VALU_DEP_1)
	v_dual_add_f32 v9, v9, v11 :: v_dual_add_f32 v8, v12, v8
	global_store_b64 v[2:3], v[8:9], off
.LBB186_9:
	s_or_b32 exec_lo, exec_lo, s1
	v_cmp_le_i32_e32 vcc_lo, v5, v4
	s_and_b32 s0, vcc_lo, s0
	s_delay_alu instid0(SALU_CYCLE_1)
	s_and_saveexec_b32 s1, s0
	s_cbranch_execz .LBB186_11
; %bb.10:
	v_ashrrev_i32_e32 v5, 31, v4
	s_delay_alu instid0(VALU_DEP_1) | instskip(NEXT) | instid1(VALU_DEP_1)
	v_lshlrev_b64 v[2:3], 3, v[4:5]
	v_add_co_u32 v2, vcc_lo, v6, v2
	s_delay_alu instid0(VALU_DEP_2)
	v_add_co_ci_u32_e32 v3, vcc_lo, v7, v3, vcc_lo
	v_mul_f32_e32 v6, s9, v1
	v_mul_f32_e32 v1, s8, v1
	global_load_b64 v[4:5], v[2:3], off
	v_fmac_f32_e32 v1, s9, v0
	v_fma_f32 v6, v0, s8, -v6
	s_waitcnt vmcnt(0)
	v_mul_f32_e32 v7, s7, v5
	v_mul_f32_e32 v5, s6, v5
	s_delay_alu instid0(VALU_DEP_2) | instskip(NEXT) | instid1(VALU_DEP_2)
	v_fma_f32 v0, v4, s6, -v7
	v_fmac_f32_e32 v5, s7, v4
	s_delay_alu instid0(VALU_DEP_1)
	v_dual_add_f32 v0, v6, v0 :: v_dual_add_f32 v1, v1, v5
	global_store_b64 v[2:3], v[0:1], off
.LBB186_11:
	s_nop 0
	s_sendmsg sendmsg(MSG_DEALLOC_VGPRS)
	s_endpgm
	.section	.rodata,"a",@progbits
	.p2align	6, 0x0
	.amdhsa_kernel _ZL37rocblas_syrkx_herkx_restricted_kernelIi19rocblas_complex_numIfELi16ELi32ELi8ELb0ELb0ELc84ELc76EKS1_S1_EviT_T0_PT8_S3_lS6_S3_lS4_PT9_S3_li
		.amdhsa_group_segment_fixed_size 4096
		.amdhsa_private_segment_fixed_size 0
		.amdhsa_kernarg_size 100
		.amdhsa_user_sgpr_count 13
		.amdhsa_user_sgpr_dispatch_ptr 0
		.amdhsa_user_sgpr_queue_ptr 0
		.amdhsa_user_sgpr_kernarg_segment_ptr 1
		.amdhsa_user_sgpr_dispatch_id 0
		.amdhsa_user_sgpr_private_segment_size 0
		.amdhsa_wavefront_size32 1
		.amdhsa_uses_dynamic_stack 0
		.amdhsa_enable_private_segment 0
		.amdhsa_system_sgpr_workgroup_id_x 1
		.amdhsa_system_sgpr_workgroup_id_y 1
		.amdhsa_system_sgpr_workgroup_id_z 1
		.amdhsa_system_sgpr_workgroup_info 0
		.amdhsa_system_vgpr_workitem_id 1
		.amdhsa_next_free_vgpr 91
		.amdhsa_next_free_sgpr 25
		.amdhsa_reserve_vcc 1
		.amdhsa_float_round_mode_32 0
		.amdhsa_float_round_mode_16_64 0
		.amdhsa_float_denorm_mode_32 3
		.amdhsa_float_denorm_mode_16_64 3
		.amdhsa_dx10_clamp 1
		.amdhsa_ieee_mode 1
		.amdhsa_fp16_overflow 0
		.amdhsa_workgroup_processor_mode 1
		.amdhsa_memory_ordered 1
		.amdhsa_forward_progress 0
		.amdhsa_shared_vgpr_count 0
		.amdhsa_exception_fp_ieee_invalid_op 0
		.amdhsa_exception_fp_denorm_src 0
		.amdhsa_exception_fp_ieee_div_zero 0
		.amdhsa_exception_fp_ieee_overflow 0
		.amdhsa_exception_fp_ieee_underflow 0
		.amdhsa_exception_fp_ieee_inexact 0
		.amdhsa_exception_int_div_zero 0
	.end_amdhsa_kernel
	.section	.text._ZL37rocblas_syrkx_herkx_restricted_kernelIi19rocblas_complex_numIfELi16ELi32ELi8ELb0ELb0ELc84ELc76EKS1_S1_EviT_T0_PT8_S3_lS6_S3_lS4_PT9_S3_li,"axG",@progbits,_ZL37rocblas_syrkx_herkx_restricted_kernelIi19rocblas_complex_numIfELi16ELi32ELi8ELb0ELb0ELc84ELc76EKS1_S1_EviT_T0_PT8_S3_lS6_S3_lS4_PT9_S3_li,comdat
.Lfunc_end186:
	.size	_ZL37rocblas_syrkx_herkx_restricted_kernelIi19rocblas_complex_numIfELi16ELi32ELi8ELb0ELb0ELc84ELc76EKS1_S1_EviT_T0_PT8_S3_lS6_S3_lS4_PT9_S3_li, .Lfunc_end186-_ZL37rocblas_syrkx_herkx_restricted_kernelIi19rocblas_complex_numIfELi16ELi32ELi8ELb0ELb0ELc84ELc76EKS1_S1_EviT_T0_PT8_S3_lS6_S3_lS4_PT9_S3_li
                                        ; -- End function
	.section	.AMDGPU.csdata,"",@progbits
; Kernel info:
; codeLenInByte = 2316
; NumSgprs: 27
; NumVgprs: 91
; ScratchSize: 0
; MemoryBound: 0
; FloatMode: 240
; IeeeMode: 1
; LDSByteSize: 4096 bytes/workgroup (compile time only)
; SGPRBlocks: 3
; VGPRBlocks: 11
; NumSGPRsForWavesPerEU: 27
; NumVGPRsForWavesPerEU: 91
; Occupancy: 16
; WaveLimiterHint : 0
; COMPUTE_PGM_RSRC2:SCRATCH_EN: 0
; COMPUTE_PGM_RSRC2:USER_SGPR: 13
; COMPUTE_PGM_RSRC2:TRAP_HANDLER: 0
; COMPUTE_PGM_RSRC2:TGID_X_EN: 1
; COMPUTE_PGM_RSRC2:TGID_Y_EN: 1
; COMPUTE_PGM_RSRC2:TGID_Z_EN: 1
; COMPUTE_PGM_RSRC2:TIDIG_COMP_CNT: 1
	.section	.text._ZL37rocblas_syrkx_herkx_restricted_kernelIi19rocblas_complex_numIfELi16ELi32ELi8ELb0ELb0ELc67ELc76EKS1_S1_EviT_T0_PT8_S3_lS6_S3_lS4_PT9_S3_li,"axG",@progbits,_ZL37rocblas_syrkx_herkx_restricted_kernelIi19rocblas_complex_numIfELi16ELi32ELi8ELb0ELb0ELc67ELc76EKS1_S1_EviT_T0_PT8_S3_lS6_S3_lS4_PT9_S3_li,comdat
	.globl	_ZL37rocblas_syrkx_herkx_restricted_kernelIi19rocblas_complex_numIfELi16ELi32ELi8ELb0ELb0ELc67ELc76EKS1_S1_EviT_T0_PT8_S3_lS6_S3_lS4_PT9_S3_li ; -- Begin function _ZL37rocblas_syrkx_herkx_restricted_kernelIi19rocblas_complex_numIfELi16ELi32ELi8ELb0ELb0ELc67ELc76EKS1_S1_EviT_T0_PT8_S3_lS6_S3_lS4_PT9_S3_li
	.p2align	8
	.type	_ZL37rocblas_syrkx_herkx_restricted_kernelIi19rocblas_complex_numIfELi16ELi32ELi8ELb0ELb0ELc67ELc76EKS1_S1_EviT_T0_PT8_S3_lS6_S3_lS4_PT9_S3_li,@function
_ZL37rocblas_syrkx_herkx_restricted_kernelIi19rocblas_complex_numIfELi16ELi32ELi8ELb0ELb0ELc67ELc76EKS1_S1_EviT_T0_PT8_S3_lS6_S3_lS4_PT9_S3_li: ; @_ZL37rocblas_syrkx_herkx_restricted_kernelIi19rocblas_complex_numIfELi16ELi32ELi8ELb0ELb0ELc67ELc76EKS1_S1_EviT_T0_PT8_S3_lS6_S3_lS4_PT9_S3_li
; %bb.0:
	s_clause 0x3
	s_load_b64 s[2:3], s[0:1], 0x0
	s_load_b128 s[8:11], s[0:1], 0x8
	s_load_b128 s[4:7], s[0:1], 0x38
	s_load_b64 s[20:21], s[0:1], 0x48
	v_dual_mov_b32 v15, 0 :: v_dual_and_b32 v6, 0x3ff, v0
	v_bfe_u32 v7, v0, 10, 10
	v_dual_mov_b32 v16, 0 :: v_dual_mov_b32 v11, 0
	v_dual_mov_b32 v10, 0 :: v_dual_mov_b32 v9, 0
	;; [unrolled: 1-line block ×3, first 2 shown]
	v_mov_b32_e32 v0, 0
	s_lshl_b32 s12, s13, 5
	s_lshl_b32 s13, s14, 5
	s_mov_b32 s14, 0
	s_waitcnt lgkmcnt(0)
	s_cmp_lt_i32 s3, 1
	s_cbranch_scc1 .LBB187_3
; %bb.1:
	s_clause 0x2
	s_load_b128 s[16:19], s[0:1], 0x20
	s_load_b32 s22, s[0:1], 0x18
	s_load_b32 s23, s[0:1], 0x30
	v_lshl_add_u32 v2, v7, 4, v6
	v_dual_mov_b32 v1, 0 :: v_dual_and_b32 v0, 7, v6
	s_mul_i32 s5, s5, s15
	v_lshlrev_b32_e32 v12, 3, v6
	s_delay_alu instid0(VALU_DEP_3) | instskip(SKIP_3) | instid1(VALU_DEP_4)
	v_and_b32_e32 v4, 31, v2
	v_lshrrev_b32_e32 v5, 3, v2
	v_dual_mov_b32 v3, v1 :: v_dual_lshlrev_b32 v8, 3, v0
	v_lshrrev_b32_e32 v2, 5, v2
	v_add_nc_u32_e32 v11, s12, v4
	v_lshlrev_b32_e32 v9, 3, v4
	v_dual_mov_b32 v15, v1 :: v_dual_add_nc_u32 v10, s13, v5
	v_lshl_or_b32 v8, v5, 6, v8
	v_lshl_add_u32 v17, v7, 6, 0x800
	s_delay_alu instid0(VALU_DEP_4)
	v_lshl_or_b32 v13, v2, 8, v9
	s_waitcnt lgkmcnt(0)
	s_mul_i32 s17, s17, s15
	v_mad_i64_i32 v[4:5], null, s22, v11, v[2:3]
	s_mul_hi_u32 s24, s16, s15
	v_mad_i64_i32 v[2:3], null, s23, v10, v[0:1]
	s_mul_i32 s16, s16, s15
	s_add_i32 s17, s24, s17
	v_add_nc_u32_e32 v14, 0x800, v8
	s_lshl_b64 s[16:17], s[16:17], 3
	s_delay_alu instid0(VALU_DEP_3)
	v_lshlrev_b64 v[4:5], 3, v[4:5]
	s_add_u32 s10, s10, s16
	s_mul_hi_u32 s16, s4, s15
	s_addc_u32 s11, s11, s17
	s_add_i32 s5, s16, s5
	s_mul_i32 s4, s4, s15
	v_lshlrev_b64 v[2:3], 3, v[2:3]
	s_lshl_b64 s[4:5], s[4:5], 3
	v_add_co_u32 v0, vcc_lo, s10, v4
	s_add_u32 s4, s18, s4
	v_add_co_ci_u32_e32 v4, vcc_lo, s11, v5, vcc_lo
	s_addc_u32 s5, s19, s5
	v_add_co_u32 v5, vcc_lo, s4, v2
	v_add_co_ci_u32_e32 v8, vcc_lo, s5, v3, vcc_lo
	v_add_co_u32 v2, vcc_lo, v0, 4
	v_add_co_ci_u32_e32 v3, vcc_lo, 0, v4, vcc_lo
	s_delay_alu instid0(VALU_DEP_4) | instskip(NEXT) | instid1(VALU_DEP_4)
	v_add_co_u32 v4, vcc_lo, v5, 4
	v_add_co_ci_u32_e32 v5, vcc_lo, 0, v8, vcc_lo
	v_mov_b32_e32 v0, v1
	v_mov_b32_e32 v9, v1
	;; [unrolled: 1-line block ×6, first 2 shown]
.LBB187_2:                              ; =>This Inner Loop Header: Depth=1
	global_load_b64 v[18:19], v[2:3], off offset:-4
	global_load_b64 v[20:21], v[4:5], off offset:-4
	v_add_co_u32 v2, vcc_lo, v2, 64
	v_add_co_ci_u32_e32 v3, vcc_lo, 0, v3, vcc_lo
	v_add_co_u32 v4, vcc_lo, v4, 64
	v_add_co_ci_u32_e32 v5, vcc_lo, 0, v5, vcc_lo
	s_add_i32 s14, s14, 8
	s_waitcnt vmcnt(1)
	ds_store_b64 v13, v[18:19]
	s_waitcnt vmcnt(0)
	ds_store_b64 v14, v[20:21]
	s_waitcnt lgkmcnt(0)
	s_barrier
	buffer_gl0_inv
	ds_load_2addr_b64 v[18:21], v12 offset1:16
	ds_load_b128 v[22:25], v17
	ds_load_b128 v[26:29], v17 offset:1024
	ds_load_b128 v[30:33], v17 offset:16
	ds_load_2addr_b64 v[34:37], v12 offset0:32 offset1:48
	ds_load_b128 v[38:41], v17 offset:32
	ds_load_b128 v[42:45], v17 offset:48
	ds_load_2addr_b64 v[46:49], v12 offset0:64 offset1:80
	ds_load_b128 v[50:53], v17 offset:1040
	ds_load_2addr_b64 v[54:57], v12 offset0:96 offset1:112
	ds_load_2addr_b64 v[58:61], v12 offset0:128 offset1:144
	;; [unrolled: 1-line block ×4, first 2 shown]
	ds_load_b128 v[70:73], v17 offset:1056
	ds_load_b128 v[74:77], v17 offset:1072
	ds_load_2addr_b64 v[78:81], v12 offset0:224 offset1:240
	s_cmp_ge_i32 s14, s3
	s_waitcnt lgkmcnt(0)
	s_barrier
	buffer_gl0_inv
	v_dual_mul_f32 v82, v23, v19 :: v_dual_mul_f32 v85, v22, v21
	v_dual_mul_f32 v83, v22, v19 :: v_dual_mul_f32 v84, v23, v21
	v_mul_f32_e32 v86, v27, v19
	v_dual_mul_f32 v19, v26, v19 :: v_dual_mul_f32 v90, v25, v37
	v_dual_mul_f32 v87, v27, v21 :: v_dual_mul_f32 v88, v25, v35
	v_mul_f32_e32 v21, v26, v21
	v_fma_f32 v82, v22, v18, -v82
	v_fmac_f32_e32 v83, v23, v18
	v_fma_f32 v22, v22, v20, -v84
	v_fmac_f32_e32 v85, v23, v20
	v_fma_f32 v23, v26, v18, -v86
	v_dual_fmac_f32 v19, v27, v18 :: v_dual_mul_f32 v86, v30, v47
	v_fma_f32 v18, v26, v20, -v87
	v_dual_fmac_f32 v21, v27, v20 :: v_dual_mul_f32 v20, v24, v37
	v_mul_f32_e32 v89, v24, v35
	v_mul_f32_e32 v26, v29, v35
	;; [unrolled: 1-line block ×4, first 2 shown]
	v_fmac_f32_e32 v20, v25, v36
	v_fmac_f32_e32 v89, v25, v34
	v_dual_mul_f32 v25, v28, v37 :: v_dual_fmac_f32 v86, v31, v46
	v_fma_f32 v84, v24, v34, -v88
	v_fma_f32 v24, v24, v36, -v90
	v_dual_mul_f32 v37, v31, v47 :: v_dual_mul_f32 v90, v33, v57
	v_fma_f32 v26, v28, v34, -v26
	v_fma_f32 v28, v28, v36, -v35
	v_fmac_f32_e32 v25, v29, v36
	v_dual_mul_f32 v35, v50, v47 :: v_dual_mul_f32 v36, v51, v49
	v_dual_fmac_f32 v27, v29, v34 :: v_dual_mul_f32 v34, v51, v47
	v_dual_mul_f32 v88, v32, v55 :: v_dual_mul_f32 v29, v30, v49
	v_mul_f32_e32 v87, v31, v49
	v_fma_f32 v37, v30, v46, -v37
	v_add_f32_e32 v16, v16, v83
	s_delay_alu instid0(VALU_DEP_4)
	v_dual_fmac_f32 v88, v33, v54 :: v_dual_fmac_f32 v29, v31, v48
	v_fma_f32 v31, v50, v46, -v34
	v_fma_f32 v34, v50, v48, -v36
	v_mul_f32_e32 v36, v32, v57
	v_mul_f32_e32 v47, v50, v49
	v_dual_mul_f32 v50, v53, v57 :: v_dual_fmac_f32 v35, v51, v46
	v_mul_f32_e32 v46, v53, v55
	v_mul_f32_e32 v49, v33, v55
	v_fma_f32 v30, v30, v48, -v87
	v_fmac_f32_e32 v36, v33, v56
	v_dual_fmac_f32 v47, v51, v48 :: v_dual_mul_f32 v48, v52, v55
	v_mul_f32_e32 v33, v52, v57
	v_fma_f32 v46, v52, v54, -v46
	v_fma_f32 v50, v52, v56, -v50
	v_mul_f32_e32 v52, v38, v61
	v_fma_f32 v49, v32, v54, -v49
	v_fma_f32 v32, v32, v56, -v90
	v_dual_mul_f32 v51, v39, v59 :: v_dual_fmac_f32 v48, v53, v54
	v_mul_f32_e32 v54, v70, v59
	v_dual_mul_f32 v55, v38, v59 :: v_dual_fmac_f32 v52, v39, v60
	v_fmac_f32_e32 v33, v53, v56
	v_mul_f32_e32 v53, v71, v59
	v_mul_f32_e32 v56, v71, v61
	;; [unrolled: 1-line block ×3, first 2 shown]
	v_fmac_f32_e32 v54, v71, v58
	v_fmac_f32_e32 v55, v39, v58
	v_fma_f32 v39, v70, v58, -v53
	v_fma_f32 v53, v70, v60, -v56
	v_mul_f32_e32 v56, v40, v65
	v_mul_f32_e32 v59, v70, v61
	v_fma_f32 v51, v38, v58, -v51
	v_mul_f32_e32 v58, v72, v63
	v_mul_f32_e32 v87, v40, v63
	;; [unrolled: 1-line block ×4, first 2 shown]
	v_fma_f32 v38, v38, v60, -v57
	v_mul_f32_e32 v57, v73, v63
	v_fmac_f32_e32 v56, v41, v64
	v_dual_fmac_f32 v59, v71, v60 :: v_dual_mul_f32 v60, v73, v65
	v_mul_f32_e32 v63, v43, v67
	v_mul_f32_e32 v70, v43, v69
	v_fmac_f32_e32 v58, v73, v62
	v_fmac_f32_e32 v87, v41, v62
	v_mul_f32_e32 v41, v72, v65
	v_fma_f32 v61, v40, v62, -v61
	v_fma_f32 v40, v40, v64, -v90
	v_mul_f32_e32 v65, v42, v67
	v_fma_f32 v57, v72, v62, -v57
	v_fma_f32 v60, v72, v64, -v60
	v_dual_fmac_f32 v41, v73, v64 :: v_dual_mul_f32 v62, v42, v69
	v_mul_f32_e32 v64, v75, v67
	v_fma_f32 v63, v42, v66, -v63
	v_fma_f32 v42, v42, v68, -v70
	v_mul_f32_e32 v70, v76, v79
	v_mul_f32_e32 v67, v74, v67
	;; [unrolled: 1-line block ×3, first 2 shown]
	v_dual_mul_f32 v69, v74, v69 :: v_dual_add_f32 v8, v8, v23
	v_dual_mul_f32 v73, v44, v79 :: v_dual_add_f32 v10, v10, v22
	v_dual_fmac_f32 v65, v43, v66 :: v_dual_add_f32 v16, v16, v89
	v_fmac_f32_e32 v62, v43, v68
	v_fma_f32 v43, v74, v66, -v64
	v_fmac_f32_e32 v70, v77, v78
	v_dual_fmac_f32 v67, v75, v66 :: v_dual_add_f32 v10, v10, v24
	v_mul_f32_e32 v66, v44, v81
	v_mul_f32_e32 v72, v45, v79
	v_dual_mul_f32 v90, v45, v81 :: v_dual_fmac_f32 v69, v75, v68
	v_add_f32_e32 v0, v0, v18
	v_fmac_f32_e32 v73, v45, v78
	v_dual_fmac_f32 v66, v45, v80 :: v_dual_mul_f32 v45, v76, v81
	v_add_f32_e32 v10, v10, v30
	v_fma_f32 v64, v74, v68, -v71
	v_dual_mul_f32 v71, v77, v81 :: v_dual_add_f32 v8, v8, v26
	s_delay_alu instid0(VALU_DEP_4) | instskip(SKIP_4) | instid1(VALU_DEP_4)
	v_dual_fmac_f32 v45, v77, v80 :: v_dual_add_f32 v16, v16, v86
	v_add_f32_e32 v15, v15, v82
	v_add_f32_e32 v9, v9, v19
	v_dual_add_f32 v1, v1, v21 :: v_dual_add_f32 v10, v10, v32
	v_dual_add_f32 v0, v0, v28 :: v_dual_add_f32 v11, v11, v85
	;; [unrolled: 1-line block ×3, first 2 shown]
	s_delay_alu instid0(VALU_DEP_4) | instskip(NEXT) | instid1(VALU_DEP_4)
	v_dual_add_f32 v16, v16, v88 :: v_dual_add_f32 v9, v9, v27
	v_dual_add_f32 v10, v10, v38 :: v_dual_add_f32 v1, v1, v25
	s_delay_alu instid0(VALU_DEP_4) | instskip(NEXT) | instid1(VALU_DEP_3)
	v_add_f32_e32 v0, v0, v34
	v_dual_add_f32 v16, v16, v55 :: v_dual_add_f32 v11, v11, v20
	v_dual_add_f32 v8, v8, v46 :: v_dual_add_f32 v15, v15, v37
	s_delay_alu instid0(VALU_DEP_4) | instskip(NEXT) | instid1(VALU_DEP_3)
	v_dual_add_f32 v1, v1, v47 :: v_dual_add_f32 v10, v10, v40
	v_dual_add_f32 v0, v0, v50 :: v_dual_add_f32 v11, v11, v29
	s_delay_alu instid0(VALU_DEP_4) | instskip(SKIP_1) | instid1(VALU_DEP_4)
	v_add_f32_e32 v16, v16, v87
	v_add_f32_e32 v9, v9, v35
	v_dual_add_f32 v1, v1, v33 :: v_dual_add_f32 v10, v10, v42
	s_delay_alu instid0(VALU_DEP_4)
	v_dual_add_f32 v8, v8, v39 :: v_dual_add_f32 v11, v11, v36
	v_add_f32_e32 v0, v0, v53
	v_add_f32_e32 v15, v15, v49
	v_dual_add_f32 v9, v9, v48 :: v_dual_add_f32 v16, v16, v65
	v_mul_f32_e32 v68, v77, v79
	v_fma_f32 v72, v44, v78, -v72
	v_fma_f32 v44, v44, v80, -v90
	s_delay_alu instid0(VALU_DEP_4) | instskip(SKIP_1) | instid1(VALU_DEP_3)
	v_dual_add_f32 v9, v9, v54 :: v_dual_add_f32 v16, v16, v73
	v_dual_add_f32 v1, v1, v59 :: v_dual_add_f32 v8, v8, v57
	v_add_f32_e32 v10, v10, v44
	v_add_f32_e32 v11, v11, v52
	v_dual_add_f32 v0, v0, v60 :: v_dual_add_f32 v15, v15, v51
	v_fma_f32 v68, v76, v78, -v68
	v_fma_f32 v71, v76, v80, -v71
	s_delay_alu instid0(VALU_DEP_3) | instskip(SKIP_2) | instid1(VALU_DEP_3)
	v_dual_add_f32 v9, v9, v58 :: v_dual_add_f32 v0, v0, v64
	v_dual_add_f32 v1, v1, v41 :: v_dual_add_f32 v8, v8, v43
	v_add_f32_e32 v15, v15, v61
	v_dual_add_f32 v11, v11, v56 :: v_dual_add_f32 v0, v0, v71
	s_delay_alu instid0(VALU_DEP_4) | instskip(NEXT) | instid1(VALU_DEP_4)
	v_add_f32_e32 v9, v9, v67
	v_dual_add_f32 v1, v1, v69 :: v_dual_add_f32 v8, v8, v68
	s_delay_alu instid0(VALU_DEP_4) | instskip(NEXT) | instid1(VALU_DEP_4)
	v_add_f32_e32 v15, v15, v63
	v_add_f32_e32 v11, v11, v62
	s_delay_alu instid0(VALU_DEP_4) | instskip(NEXT) | instid1(VALU_DEP_4)
	v_add_f32_e32 v9, v9, v70
	v_add_f32_e32 v1, v1, v45
	;; [unrolled: 3-line block ×3, first 2 shown]
	s_cbranch_scc0 .LBB187_2
.LBB187_3:
	s_clause 0x1
	s_load_b32 s3, s[0:1], 0x50
	s_load_b64 s[4:5], s[0:1], 0x58
	v_add_nc_u32_e32 v7, s13, v7
	v_add_nc_u32_e32 v2, s12, v6
	s_delay_alu instid0(VALU_DEP_1)
	v_cmp_le_i32_e64 s0, v7, v2
	v_cmp_gt_i32_e32 vcc_lo, s2, v2
	s_waitcnt lgkmcnt(0)
	v_mad_i64_i32 v[3:4], null, v7, s3, 0
	s_mul_i32 s1, s15, s5
	s_mul_hi_u32 s5, s15, s4
	s_mul_i32 s4, s15, s4
	s_add_i32 s5, s5, s1
	s_delay_alu instid0(SALU_CYCLE_1) | instskip(NEXT) | instid1(VALU_DEP_1)
	s_lshl_b64 s[4:5], s[4:5], 3
	v_lshlrev_b64 v[3:4], 3, v[3:4]
	s_add_u32 s4, s20, s4
	s_addc_u32 s5, s21, s5
	s_and_b32 s0, s0, vcc_lo
	s_delay_alu instid0(VALU_DEP_1) | instskip(NEXT) | instid1(VALU_DEP_1)
	v_add_co_u32 v6, s1, s4, v3
	v_add_co_ci_u32_e64 v12, s1, s5, v4, s1
	s_and_saveexec_b32 s1, s0
	s_cbranch_execz .LBB187_5
; %bb.4:
	v_ashrrev_i32_e32 v3, 31, v2
	s_delay_alu instid0(VALU_DEP_1) | instskip(NEXT) | instid1(VALU_DEP_1)
	v_lshlrev_b64 v[3:4], 3, v[2:3]
	v_add_co_u32 v3, s0, v6, v3
	s_delay_alu instid0(VALU_DEP_1)
	v_add_co_ci_u32_e64 v4, s0, v12, v4, s0
	global_load_b64 v[13:14], v[3:4], off
	v_mul_f32_e32 v5, s9, v16
	s_waitcnt vmcnt(0)
	v_dual_mul_f32 v16, s8, v16 :: v_dual_mul_f32 v17, s7, v14
	v_mul_f32_e32 v14, s6, v14
	s_delay_alu instid0(VALU_DEP_3) | instskip(NEXT) | instid1(VALU_DEP_3)
	v_fma_f32 v5, v15, s8, -v5
	v_fmac_f32_e32 v16, s9, v15
	s_delay_alu instid0(VALU_DEP_4) | instskip(NEXT) | instid1(VALU_DEP_1)
	v_fma_f32 v15, v13, s6, -v17
	v_dual_fmac_f32 v14, s7, v13 :: v_dual_add_f32 v13, v5, v15
	s_delay_alu instid0(VALU_DEP_1)
	v_add_f32_e32 v14, v16, v14
	global_store_b64 v[3:4], v[13:14], off
.LBB187_5:
	s_or_b32 exec_lo, exec_lo, s1
	v_add_nc_u32_e32 v4, 16, v2
	s_delay_alu instid0(VALU_DEP_1) | instskip(SKIP_1) | instid1(VALU_DEP_1)
	v_cmp_le_i32_e64 s1, v7, v4
	v_cmp_gt_i32_e64 s0, s2, v4
	s_and_b32 s1, s1, s0
	s_delay_alu instid0(SALU_CYCLE_1)
	s_and_saveexec_b32 s2, s1
	s_cbranch_execz .LBB187_7
; %bb.6:
	v_ashrrev_i32_e32 v5, 31, v4
	s_delay_alu instid0(VALU_DEP_1) | instskip(NEXT) | instid1(VALU_DEP_1)
	v_lshlrev_b64 v[13:14], 3, v[4:5]
	v_add_co_u32 v5, s1, v6, v13
	s_delay_alu instid0(VALU_DEP_1) | instskip(SKIP_4) | instid1(VALU_DEP_2)
	v_add_co_ci_u32_e64 v6, s1, v12, v14, s1
	global_load_b64 v[12:13], v[5:6], off
	s_waitcnt vmcnt(0)
	v_dual_mul_f32 v3, s9, v11 :: v_dual_mul_f32 v14, s7, v13
	v_mul_f32_e32 v13, s6, v13
	v_fma_f32 v3, v10, s8, -v3
	v_mul_f32_e32 v11, s8, v11
	s_delay_alu instid0(VALU_DEP_3) | instskip(NEXT) | instid1(VALU_DEP_2)
	v_fmac_f32_e32 v13, s7, v12
	v_fmac_f32_e32 v11, s9, v10
	v_fma_f32 v10, v12, s6, -v14
	s_delay_alu instid0(VALU_DEP_2) | instskip(NEXT) | instid1(VALU_DEP_2)
	v_add_f32_e32 v11, v11, v13
	v_add_f32_e32 v10, v3, v10
	global_store_b64 v[5:6], v[10:11], off
.LBB187_7:
	s_or_b32 exec_lo, exec_lo, s2
	v_add_nc_u32_e32 v5, 16, v7
	s_delay_alu instid0(VALU_DEP_1) | instskip(SKIP_1) | instid1(VALU_DEP_2)
	v_mad_i64_i32 v[6:7], null, v5, s3, 0
	v_cmp_le_i32_e64 s1, v5, v2
	v_lshlrev_b64 v[6:7], 3, v[6:7]
	s_delay_alu instid0(VALU_DEP_1) | instskip(NEXT) | instid1(VALU_DEP_1)
	v_add_co_u32 v6, s2, s4, v6
	v_add_co_ci_u32_e64 v7, s2, s5, v7, s2
	s_delay_alu instid0(VALU_DEP_4) | instskip(NEXT) | instid1(SALU_CYCLE_1)
	s_and_b32 s2, s1, vcc_lo
	s_and_saveexec_b32 s1, s2
	s_cbranch_execz .LBB187_9
; %bb.8:
	v_ashrrev_i32_e32 v3, 31, v2
	s_delay_alu instid0(VALU_DEP_1) | instskip(NEXT) | instid1(VALU_DEP_1)
	v_lshlrev_b64 v[2:3], 3, v[2:3]
	v_add_co_u32 v2, vcc_lo, v6, v2
	s_delay_alu instid0(VALU_DEP_2) | instskip(SKIP_4) | instid1(VALU_DEP_2)
	v_add_co_ci_u32_e32 v3, vcc_lo, v7, v3, vcc_lo
	global_load_b64 v[10:11], v[2:3], off
	s_waitcnt vmcnt(0)
	v_dual_mul_f32 v12, s9, v9 :: v_dual_mul_f32 v13, s7, v11
	v_mul_f32_e32 v11, s6, v11
	v_fma_f32 v12, v8, s8, -v12
	v_mul_f32_e32 v9, s8, v9
	s_delay_alu instid0(VALU_DEP_3) | instskip(NEXT) | instid1(VALU_DEP_2)
	v_fmac_f32_e32 v11, s7, v10
	v_fmac_f32_e32 v9, s9, v8
	v_fma_f32 v8, v10, s6, -v13
	s_delay_alu instid0(VALU_DEP_1)
	v_dual_add_f32 v9, v9, v11 :: v_dual_add_f32 v8, v12, v8
	global_store_b64 v[2:3], v[8:9], off
.LBB187_9:
	s_or_b32 exec_lo, exec_lo, s1
	v_cmp_le_i32_e32 vcc_lo, v5, v4
	s_and_b32 s0, vcc_lo, s0
	s_delay_alu instid0(SALU_CYCLE_1)
	s_and_saveexec_b32 s1, s0
	s_cbranch_execz .LBB187_11
; %bb.10:
	v_ashrrev_i32_e32 v5, 31, v4
	s_delay_alu instid0(VALU_DEP_1) | instskip(NEXT) | instid1(VALU_DEP_1)
	v_lshlrev_b64 v[2:3], 3, v[4:5]
	v_add_co_u32 v2, vcc_lo, v6, v2
	s_delay_alu instid0(VALU_DEP_2)
	v_add_co_ci_u32_e32 v3, vcc_lo, v7, v3, vcc_lo
	v_mul_f32_e32 v6, s9, v1
	v_mul_f32_e32 v1, s8, v1
	global_load_b64 v[4:5], v[2:3], off
	v_fmac_f32_e32 v1, s9, v0
	v_fma_f32 v6, v0, s8, -v6
	s_waitcnt vmcnt(0)
	v_mul_f32_e32 v7, s7, v5
	v_mul_f32_e32 v5, s6, v5
	s_delay_alu instid0(VALU_DEP_2) | instskip(NEXT) | instid1(VALU_DEP_2)
	v_fma_f32 v0, v4, s6, -v7
	v_fmac_f32_e32 v5, s7, v4
	s_delay_alu instid0(VALU_DEP_1)
	v_dual_add_f32 v0, v6, v0 :: v_dual_add_f32 v1, v1, v5
	global_store_b64 v[2:3], v[0:1], off
.LBB187_11:
	s_nop 0
	s_sendmsg sendmsg(MSG_DEALLOC_VGPRS)
	s_endpgm
	.section	.rodata,"a",@progbits
	.p2align	6, 0x0
	.amdhsa_kernel _ZL37rocblas_syrkx_herkx_restricted_kernelIi19rocblas_complex_numIfELi16ELi32ELi8ELb0ELb0ELc67ELc76EKS1_S1_EviT_T0_PT8_S3_lS6_S3_lS4_PT9_S3_li
		.amdhsa_group_segment_fixed_size 4096
		.amdhsa_private_segment_fixed_size 0
		.amdhsa_kernarg_size 100
		.amdhsa_user_sgpr_count 13
		.amdhsa_user_sgpr_dispatch_ptr 0
		.amdhsa_user_sgpr_queue_ptr 0
		.amdhsa_user_sgpr_kernarg_segment_ptr 1
		.amdhsa_user_sgpr_dispatch_id 0
		.amdhsa_user_sgpr_private_segment_size 0
		.amdhsa_wavefront_size32 1
		.amdhsa_uses_dynamic_stack 0
		.amdhsa_enable_private_segment 0
		.amdhsa_system_sgpr_workgroup_id_x 1
		.amdhsa_system_sgpr_workgroup_id_y 1
		.amdhsa_system_sgpr_workgroup_id_z 1
		.amdhsa_system_sgpr_workgroup_info 0
		.amdhsa_system_vgpr_workitem_id 1
		.amdhsa_next_free_vgpr 91
		.amdhsa_next_free_sgpr 25
		.amdhsa_reserve_vcc 1
		.amdhsa_float_round_mode_32 0
		.amdhsa_float_round_mode_16_64 0
		.amdhsa_float_denorm_mode_32 3
		.amdhsa_float_denorm_mode_16_64 3
		.amdhsa_dx10_clamp 1
		.amdhsa_ieee_mode 1
		.amdhsa_fp16_overflow 0
		.amdhsa_workgroup_processor_mode 1
		.amdhsa_memory_ordered 1
		.amdhsa_forward_progress 0
		.amdhsa_shared_vgpr_count 0
		.amdhsa_exception_fp_ieee_invalid_op 0
		.amdhsa_exception_fp_denorm_src 0
		.amdhsa_exception_fp_ieee_div_zero 0
		.amdhsa_exception_fp_ieee_overflow 0
		.amdhsa_exception_fp_ieee_underflow 0
		.amdhsa_exception_fp_ieee_inexact 0
		.amdhsa_exception_int_div_zero 0
	.end_amdhsa_kernel
	.section	.text._ZL37rocblas_syrkx_herkx_restricted_kernelIi19rocblas_complex_numIfELi16ELi32ELi8ELb0ELb0ELc67ELc76EKS1_S1_EviT_T0_PT8_S3_lS6_S3_lS4_PT9_S3_li,"axG",@progbits,_ZL37rocblas_syrkx_herkx_restricted_kernelIi19rocblas_complex_numIfELi16ELi32ELi8ELb0ELb0ELc67ELc76EKS1_S1_EviT_T0_PT8_S3_lS6_S3_lS4_PT9_S3_li,comdat
.Lfunc_end187:
	.size	_ZL37rocblas_syrkx_herkx_restricted_kernelIi19rocblas_complex_numIfELi16ELi32ELi8ELb0ELb0ELc67ELc76EKS1_S1_EviT_T0_PT8_S3_lS6_S3_lS4_PT9_S3_li, .Lfunc_end187-_ZL37rocblas_syrkx_herkx_restricted_kernelIi19rocblas_complex_numIfELi16ELi32ELi8ELb0ELb0ELc67ELc76EKS1_S1_EviT_T0_PT8_S3_lS6_S3_lS4_PT9_S3_li
                                        ; -- End function
	.section	.AMDGPU.csdata,"",@progbits
; Kernel info:
; codeLenInByte = 2316
; NumSgprs: 27
; NumVgprs: 91
; ScratchSize: 0
; MemoryBound: 0
; FloatMode: 240
; IeeeMode: 1
; LDSByteSize: 4096 bytes/workgroup (compile time only)
; SGPRBlocks: 3
; VGPRBlocks: 11
; NumSGPRsForWavesPerEU: 27
; NumVGPRsForWavesPerEU: 91
; Occupancy: 16
; WaveLimiterHint : 0
; COMPUTE_PGM_RSRC2:SCRATCH_EN: 0
; COMPUTE_PGM_RSRC2:USER_SGPR: 13
; COMPUTE_PGM_RSRC2:TRAP_HANDLER: 0
; COMPUTE_PGM_RSRC2:TGID_X_EN: 1
; COMPUTE_PGM_RSRC2:TGID_Y_EN: 1
; COMPUTE_PGM_RSRC2:TGID_Z_EN: 1
; COMPUTE_PGM_RSRC2:TIDIG_COMP_CNT: 1
	.section	.text._ZL37rocblas_syrkx_herkx_restricted_kernelIi19rocblas_complex_numIfELi16ELi32ELi8ELb0ELb0ELc78ELc76EKS1_S1_EviT_T0_PT8_S3_lS6_S3_lS4_PT9_S3_li,"axG",@progbits,_ZL37rocblas_syrkx_herkx_restricted_kernelIi19rocblas_complex_numIfELi16ELi32ELi8ELb0ELb0ELc78ELc76EKS1_S1_EviT_T0_PT8_S3_lS6_S3_lS4_PT9_S3_li,comdat
	.globl	_ZL37rocblas_syrkx_herkx_restricted_kernelIi19rocblas_complex_numIfELi16ELi32ELi8ELb0ELb0ELc78ELc76EKS1_S1_EviT_T0_PT8_S3_lS6_S3_lS4_PT9_S3_li ; -- Begin function _ZL37rocblas_syrkx_herkx_restricted_kernelIi19rocblas_complex_numIfELi16ELi32ELi8ELb0ELb0ELc78ELc76EKS1_S1_EviT_T0_PT8_S3_lS6_S3_lS4_PT9_S3_li
	.p2align	8
	.type	_ZL37rocblas_syrkx_herkx_restricted_kernelIi19rocblas_complex_numIfELi16ELi32ELi8ELb0ELb0ELc78ELc76EKS1_S1_EviT_T0_PT8_S3_lS6_S3_lS4_PT9_S3_li,@function
_ZL37rocblas_syrkx_herkx_restricted_kernelIi19rocblas_complex_numIfELi16ELi32ELi8ELb0ELb0ELc78ELc76EKS1_S1_EviT_T0_PT8_S3_lS6_S3_lS4_PT9_S3_li: ; @_ZL37rocblas_syrkx_herkx_restricted_kernelIi19rocblas_complex_numIfELi16ELi32ELi8ELb0ELb0ELc78ELc76EKS1_S1_EviT_T0_PT8_S3_lS6_S3_lS4_PT9_S3_li
; %bb.0:
	s_clause 0x3
	s_load_b64 s[2:3], s[0:1], 0x0
	s_load_b128 s[8:11], s[0:1], 0x8
	s_load_b128 s[4:7], s[0:1], 0x38
	s_load_b64 s[20:21], s[0:1], 0x48
	v_dual_mov_b32 v17, 0 :: v_dual_and_b32 v6, 0x3ff, v0
	v_bfe_u32 v7, v0, 10, 10
	v_dual_mov_b32 v16, 0 :: v_dual_mov_b32 v11, 0
	v_dual_mov_b32 v10, 0 :: v_dual_mov_b32 v9, 0
	;; [unrolled: 1-line block ×3, first 2 shown]
	v_mov_b32_e32 v4, 0
	s_lshl_b32 s12, s13, 5
	s_lshl_b32 s13, s14, 5
	s_mov_b32 s14, 0
	s_waitcnt lgkmcnt(0)
	s_cmp_lt_i32 s3, 1
	s_cbranch_scc1 .LBB188_3
; %bb.1:
	s_clause 0x1
	s_load_b32 s22, s[0:1], 0x30
	s_load_b32 s24, s[0:1], 0x18
	v_lshl_add_u32 v0, v7, 4, v6
	v_and_b32_e32 v8, 7, v6
	s_load_b128 s[16:19], s[0:1], 0x20
	s_mul_i32 s5, s5, s15
	v_lshlrev_b32_e32 v14, 3, v6
	v_lshrrev_b32_e32 v1, 3, v0
	v_and_b32_e32 v2, 31, v0
	v_lshlrev_b32_e32 v3, 3, v8
	v_lshrrev_b32_e32 v9, 5, v0
	s_delay_alu instid0(VALU_DEP_4) | instskip(NEXT) | instid1(VALU_DEP_4)
	v_dual_mov_b32 v11, 0 :: v_dual_add_nc_u32 v0, s13, v1
	v_dual_mov_b32 v17, 0 :: v_dual_lshlrev_b32 v4, 3, v2
	s_delay_alu instid0(VALU_DEP_4) | instskip(SKIP_1) | instid1(VALU_DEP_4)
	v_lshl_or_b32 v3, v1, 6, v3
	v_add_nc_u32_e32 v2, s12, v2
	v_ashrrev_i32_e32 v1, 31, v0
	s_delay_alu instid0(VALU_DEP_4)
	v_lshl_or_b32 v12, v9, 8, v4
	v_lshl_add_u32 v15, v7, 6, 0x800
	v_add_nc_u32_e32 v13, 0x800, v3
	v_ashrrev_i32_e32 v3, 31, v2
	s_waitcnt lgkmcnt(0)
	v_mad_i64_i32 v[4:5], null, s22, v8, v[0:1]
	v_mov_b32_e32 v8, 0
	s_mul_i32 s17, s17, s15
	v_mad_i64_i32 v[0:1], null, s24, v9, v[2:3]
	s_mul_hi_u32 s26, s16, s15
	s_mul_i32 s16, s16, s15
	s_add_i32 s17, s26, s17
	s_ashr_i32 s25, s24, 31
	s_lshl_b64 s[16:17], s[16:17], 3
	s_ashr_i32 s23, s22, 31
	s_delay_alu instid0(VALU_DEP_1)
	v_lshlrev_b64 v[0:1], 3, v[0:1]
	s_add_u32 s10, s10, s16
	s_addc_u32 s11, s11, s17
	s_mul_hi_u32 s16, s4, s15
	s_mul_i32 s4, s4, s15
	s_add_i32 s5, s16, s5
	v_add_co_u32 v2, vcc_lo, s10, v0
	v_add_co_ci_u32_e32 v3, vcc_lo, s11, v1, vcc_lo
	v_lshlrev_b64 v[0:1], 3, v[4:5]
	s_lshl_b64 s[10:11], s[4:5], 3
	s_lshl_b64 s[4:5], s[24:25], 6
	s_add_u32 s10, s18, s10
	s_addc_u32 s11, s19, s11
	v_mov_b32_e32 v9, 0
	v_add_co_u32 v4, vcc_lo, s10, v0
	v_add_co_ci_u32_e32 v5, vcc_lo, s11, v1, vcc_lo
	v_add_co_u32 v0, vcc_lo, v2, 4
	v_add_co_ci_u32_e32 v1, vcc_lo, 0, v3, vcc_lo
	s_delay_alu instid0(VALU_DEP_4) | instskip(NEXT) | instid1(VALU_DEP_4)
	v_add_co_u32 v2, vcc_lo, v4, 4
	v_add_co_ci_u32_e32 v3, vcc_lo, 0, v5, vcc_lo
	v_dual_mov_b32 v5, 0 :: v_dual_mov_b32 v4, 0
	v_mov_b32_e32 v10, 0
	v_mov_b32_e32 v16, 0
	s_lshl_b64 s[10:11], s[22:23], 6
.LBB188_2:                              ; =>This Inner Loop Header: Depth=1
	global_load_b64 v[18:19], v[0:1], off offset:-4
	global_load_b64 v[20:21], v[2:3], off offset:-4
	v_add_co_u32 v0, vcc_lo, v0, s4
	v_add_co_ci_u32_e32 v1, vcc_lo, s5, v1, vcc_lo
	v_add_co_u32 v2, vcc_lo, v2, s10
	v_add_co_ci_u32_e32 v3, vcc_lo, s11, v3, vcc_lo
	s_add_i32 s14, s14, 8
	s_waitcnt vmcnt(1)
	ds_store_b64 v12, v[18:19]
	s_waitcnt vmcnt(0)
	ds_store_b64 v13, v[20:21]
	s_waitcnt lgkmcnt(0)
	s_barrier
	buffer_gl0_inv
	ds_load_2addr_b64 v[18:21], v14 offset1:16
	ds_load_b128 v[22:25], v15
	ds_load_b128 v[26:29], v15 offset:1024
	ds_load_b128 v[30:33], v15 offset:16
	ds_load_2addr_b64 v[34:37], v14 offset0:32 offset1:48
	ds_load_b128 v[38:41], v15 offset:32
	ds_load_b128 v[42:45], v15 offset:48
	ds_load_2addr_b64 v[46:49], v14 offset0:64 offset1:80
	ds_load_b128 v[50:53], v15 offset:1040
	ds_load_2addr_b64 v[54:57], v14 offset0:96 offset1:112
	ds_load_2addr_b64 v[58:61], v14 offset0:128 offset1:144
	ds_load_2addr_b64 v[62:65], v14 offset0:160 offset1:176
	ds_load_2addr_b64 v[66:69], v14 offset0:192 offset1:208
	ds_load_b128 v[70:73], v15 offset:1056
	ds_load_b128 v[74:77], v15 offset:1072
	ds_load_2addr_b64 v[78:81], v14 offset0:224 offset1:240
	s_cmp_ge_i32 s14, s3
	s_waitcnt lgkmcnt(0)
	s_barrier
	buffer_gl0_inv
	v_dual_mul_f32 v82, v23, v19 :: v_dual_mul_f32 v85, v22, v21
	v_dual_mul_f32 v83, v22, v19 :: v_dual_mul_f32 v84, v23, v21
	v_mul_f32_e32 v86, v27, v19
	v_dual_mul_f32 v19, v26, v19 :: v_dual_mul_f32 v90, v25, v37
	v_dual_mul_f32 v87, v27, v21 :: v_dual_mul_f32 v88, v25, v35
	v_mul_f32_e32 v21, v26, v21
	v_mul_f32_e32 v89, v24, v35
	;; [unrolled: 1-line block ×3, first 2 shown]
	v_fma_f32 v82, v22, v18, -v82
	v_fmac_f32_e32 v83, v23, v18
	v_fma_f32 v22, v22, v20, -v84
	v_dual_fmac_f32 v85, v23, v20 :: v_dual_mul_f32 v84, v30, v47
	v_fma_f32 v23, v26, v18, -v86
	v_fmac_f32_e32 v19, v27, v18
	v_fma_f32 v18, v26, v20, -v87
	v_dual_mul_f32 v26, v28, v35 :: v_dual_fmac_f32 v21, v27, v20
	v_mul_f32_e32 v20, v29, v35
	v_mul_f32_e32 v27, v29, v37
	v_dual_mul_f32 v35, v28, v37 :: v_dual_fmac_f32 v84, v31, v46
	v_fma_f32 v37, v24, v34, -v88
	v_fma_f32 v24, v24, v36, -v90
	v_dual_fmac_f32 v91, v25, v36 :: v_dual_mul_f32 v90, v32, v57
	v_dual_mul_f32 v86, v31, v49 :: v_dual_fmac_f32 v89, v25, v34
	v_dual_mul_f32 v25, v31, v47 :: v_dual_mul_f32 v88, v33, v57
	v_fma_f32 v20, v28, v34, -v20
	v_fmac_f32_e32 v26, v29, v34
	v_fma_f32 v27, v28, v36, -v27
	v_dual_fmac_f32 v35, v29, v36 :: v_dual_mul_f32 v28, v51, v47
	v_dual_mul_f32 v29, v50, v47 :: v_dual_mul_f32 v34, v51, v49
	v_mul_f32_e32 v36, v50, v49
	v_mul_f32_e32 v87, v30, v49
	v_mul_f32_e32 v47, v33, v55
	v_dual_mul_f32 v49, v32, v55 :: v_dual_fmac_f32 v90, v33, v56
	v_fma_f32 v25, v30, v46, -v25
	v_fma_f32 v30, v30, v48, -v86
	;; [unrolled: 1-line block ×3, first 2 shown]
	v_fmac_f32_e32 v36, v51, v48
	v_fmac_f32_e32 v87, v31, v48
	v_fma_f32 v31, v50, v48, -v34
	v_mul_f32_e32 v34, v53, v55
	v_mul_f32_e32 v48, v53, v57
	v_dual_mul_f32 v50, v52, v57 :: v_dual_fmac_f32 v29, v51, v46
	v_mul_f32_e32 v46, v52, v55
	v_fma_f32 v47, v32, v54, -v47
	v_fmac_f32_e32 v49, v33, v54
	v_fma_f32 v32, v32, v56, -v88
	s_delay_alu instid0(VALU_DEP_4)
	v_dual_mul_f32 v33, v39, v59 :: v_dual_fmac_f32 v46, v53, v54
	v_mul_f32_e32 v51, v38, v59
	v_mul_f32_e32 v55, v39, v61
	v_fma_f32 v34, v52, v54, -v34
	v_fma_f32 v48, v52, v56, -v48
	v_fmac_f32_e32 v50, v53, v56
	v_mul_f32_e32 v52, v71, v59
	v_dual_mul_f32 v53, v70, v59 :: v_dual_mul_f32 v86, v41, v65
	v_mul_f32_e32 v54, v71, v61
	v_dual_mul_f32 v56, v70, v61 :: v_dual_mul_f32 v59, v41, v63
	v_mul_f32_e32 v57, v38, v61
	v_mul_f32_e32 v61, v40, v63
	v_dual_mul_f32 v88, v40, v65 :: v_dual_fmac_f32 v51, v39, v58
	v_fma_f32 v33, v38, v58, -v33
	v_fmac_f32_e32 v53, v71, v58
	v_fmac_f32_e32 v56, v71, v60
	s_delay_alu instid0(VALU_DEP_4)
	v_fmac_f32_e32 v88, v41, v64
	v_fmac_f32_e32 v57, v39, v60
	v_fma_f32 v39, v70, v58, -v52
	v_fma_f32 v52, v70, v60, -v54
	v_mul_f32_e32 v54, v73, v63
	v_fma_f32 v38, v38, v60, -v55
	v_mul_f32_e32 v60, v72, v65
	v_dual_mul_f32 v55, v72, v63 :: v_dual_mul_f32 v70, v42, v69
	v_mul_f32_e32 v58, v73, v65
	v_fma_f32 v59, v40, v62, -v59
	v_fmac_f32_e32 v61, v41, v62
	v_fma_f32 v40, v40, v64, -v86
	v_dual_mul_f32 v41, v43, v67 :: v_dual_fmac_f32 v60, v73, v64
	v_dual_mul_f32 v63, v42, v67 :: v_dual_mul_f32 v86, v44, v81
	v_mul_f32_e32 v65, v43, v69
	v_fma_f32 v54, v72, v62, -v54
	v_fmac_f32_e32 v55, v73, v62
	v_fma_f32 v58, v72, v64, -v58
	v_mul_f32_e32 v72, v44, v79
	v_mul_f32_e32 v62, v75, v67
	v_dual_mul_f32 v64, v74, v67 :: v_dual_mul_f32 v67, v75, v69
	v_dual_mul_f32 v69, v74, v69 :: v_dual_fmac_f32 v70, v43, v68
	s_delay_alu instid0(VALU_DEP_2)
	v_dual_mul_f32 v71, v45, v79 :: v_dual_fmac_f32 v64, v75, v66
	v_dual_mul_f32 v73, v45, v81 :: v_dual_add_f32 v16, v16, v82
	v_fma_f32 v41, v42, v66, -v41
	v_fmac_f32_e32 v63, v43, v66
	v_fma_f32 v42, v42, v68, -v65
	v_fma_f32 v43, v74, v66, -v62
	v_dual_mul_f32 v65, v77, v79 :: v_dual_add_f32 v10, v10, v22
	v_mul_f32_e32 v66, v76, v79
	v_fma_f32 v62, v74, v68, -v67
	v_dual_mul_f32 v67, v77, v81 :: v_dual_add_f32 v8, v8, v23
	v_dual_fmac_f32 v86, v45, v80 :: v_dual_add_f32 v11, v11, v85
	v_dual_add_f32 v17, v17, v83 :: v_dual_add_f32 v4, v4, v18
	v_dual_add_f32 v9, v9, v19 :: v_dual_add_f32 v16, v16, v37
	v_dual_add_f32 v5, v5, v21 :: v_dual_add_f32 v10, v10, v24
	v_dual_fmac_f32 v69, v75, v68 :: v_dual_fmac_f32 v72, v45, v78
	v_mul_f32_e32 v68, v76, v81
	v_dual_fmac_f32 v66, v77, v78 :: v_dual_add_f32 v11, v11, v91
	v_dual_add_f32 v17, v17, v89 :: v_dual_add_f32 v8, v8, v20
	v_dual_add_f32 v9, v9, v26 :: v_dual_add_f32 v4, v4, v27
	;; [unrolled: 1-line block ×3, first 2 shown]
	s_delay_alu instid0(VALU_DEP_4) | instskip(NEXT) | instid1(VALU_DEP_4)
	v_dual_fmac_f32 v68, v77, v80 :: v_dual_add_f32 v11, v11, v87
	v_dual_add_f32 v17, v17, v84 :: v_dual_add_f32 v10, v10, v30
	s_delay_alu instid0(VALU_DEP_4) | instskip(NEXT) | instid1(VALU_DEP_4)
	v_dual_add_f32 v8, v8, v28 :: v_dual_add_f32 v9, v9, v29
	v_dual_add_f32 v4, v4, v31 :: v_dual_add_f32 v5, v5, v36
	s_delay_alu instid0(VALU_DEP_3) | instskip(NEXT) | instid1(VALU_DEP_4)
	v_dual_add_f32 v16, v16, v47 :: v_dual_add_f32 v17, v17, v49
	v_dual_add_f32 v10, v10, v32 :: v_dual_add_f32 v11, v11, v90
	s_delay_alu instid0(VALU_DEP_4) | instskip(NEXT) | instid1(VALU_DEP_4)
	v_add_f32_e32 v8, v8, v34
	v_dual_add_f32 v9, v9, v46 :: v_dual_add_f32 v4, v4, v48
	s_delay_alu instid0(VALU_DEP_4) | instskip(NEXT) | instid1(VALU_DEP_4)
	v_dual_add_f32 v5, v5, v50 :: v_dual_add_f32 v16, v16, v33
	v_dual_add_f32 v17, v17, v51 :: v_dual_add_f32 v10, v10, v38
	s_delay_alu instid0(VALU_DEP_4) | instskip(NEXT) | instid1(VALU_DEP_4)
	v_dual_add_f32 v11, v11, v57 :: v_dual_add_f32 v8, v8, v39
	v_dual_add_f32 v9, v9, v53 :: v_dual_add_f32 v4, v4, v52
	s_delay_alu instid0(VALU_DEP_3) | instskip(SKIP_1) | instid1(VALU_DEP_3)
	v_add_f32_e32 v17, v17, v61
	v_dual_add_f32 v5, v5, v56 :: v_dual_add_f32 v16, v16, v59
	v_dual_add_f32 v10, v10, v40 :: v_dual_add_f32 v9, v9, v55
	;; [unrolled: 1-line block ×3, first 2 shown]
	s_delay_alu instid0(VALU_DEP_3)
	v_dual_add_f32 v4, v4, v58 :: v_dual_add_f32 v5, v5, v60
	v_fma_f32 v71, v44, v78, -v71
	v_fma_f32 v44, v44, v80, -v73
	;; [unrolled: 1-line block ×4, first 2 shown]
	v_dual_add_f32 v16, v16, v41 :: v_dual_add_f32 v17, v17, v63
	v_dual_add_f32 v10, v10, v42 :: v_dual_add_f32 v9, v9, v64
	;; [unrolled: 1-line block ×4, first 2 shown]
	s_delay_alu instid0(VALU_DEP_4) | instskip(NEXT) | instid1(VALU_DEP_3)
	v_dual_add_f32 v16, v16, v71 :: v_dual_add_f32 v17, v17, v72
	v_dual_add_f32 v10, v10, v44 :: v_dual_add_f32 v11, v11, v86
	s_delay_alu instid0(VALU_DEP_4) | instskip(NEXT) | instid1(VALU_DEP_4)
	v_dual_add_f32 v8, v8, v45 :: v_dual_add_f32 v9, v9, v66
	v_dual_add_f32 v4, v4, v65 :: v_dual_add_f32 v5, v5, v68
	s_cbranch_scc0 .LBB188_2
.LBB188_3:
	s_clause 0x1
	s_load_b32 s3, s[0:1], 0x50
	s_load_b64 s[4:5], s[0:1], 0x58
	v_add_nc_u32_e32 v7, s13, v7
	v_add_nc_u32_e32 v0, s12, v6
	s_delay_alu instid0(VALU_DEP_1)
	v_cmp_le_i32_e64 s0, v7, v0
	v_cmp_gt_i32_e32 vcc_lo, s2, v0
	s_waitcnt lgkmcnt(0)
	v_mad_i64_i32 v[1:2], null, v7, s3, 0
	s_mul_i32 s1, s15, s5
	s_mul_hi_u32 s5, s15, s4
	s_mul_i32 s4, s15, s4
	s_add_i32 s5, s5, s1
	s_delay_alu instid0(SALU_CYCLE_1) | instskip(NEXT) | instid1(VALU_DEP_1)
	s_lshl_b64 s[4:5], s[4:5], 3
	v_lshlrev_b64 v[1:2], 3, v[1:2]
	s_add_u32 s4, s20, s4
	s_addc_u32 s5, s21, s5
	s_and_b32 s0, s0, vcc_lo
	s_delay_alu instid0(VALU_DEP_1) | instskip(NEXT) | instid1(VALU_DEP_1)
	v_add_co_u32 v6, s1, s4, v1
	v_add_co_ci_u32_e64 v12, s1, s5, v2, s1
	s_and_saveexec_b32 s1, s0
	s_cbranch_execz .LBB188_5
; %bb.4:
	v_ashrrev_i32_e32 v1, 31, v0
	v_mul_f32_e32 v15, s8, v17
	s_delay_alu instid0(VALU_DEP_2) | instskip(NEXT) | instid1(VALU_DEP_2)
	v_lshlrev_b64 v[1:2], 3, v[0:1]
	v_fmac_f32_e32 v15, s9, v16
	s_delay_alu instid0(VALU_DEP_2) | instskip(NEXT) | instid1(VALU_DEP_1)
	v_add_co_u32 v1, s0, v6, v1
	v_add_co_ci_u32_e64 v2, s0, v12, v2, s0
	global_load_b64 v[13:14], v[1:2], off
	v_mul_f32_e32 v3, s9, v17
	s_waitcnt vmcnt(0)
	v_mul_f32_e32 v17, s7, v14
	v_mul_f32_e32 v14, s6, v14
	s_delay_alu instid0(VALU_DEP_3) | instskip(NEXT) | instid1(VALU_DEP_2)
	v_fma_f32 v3, v16, s8, -v3
	v_fmac_f32_e32 v14, s7, v13
	s_delay_alu instid0(VALU_DEP_4) | instskip(NEXT) | instid1(VALU_DEP_2)
	v_fma_f32 v16, v13, s6, -v17
	v_add_f32_e32 v14, v15, v14
	s_delay_alu instid0(VALU_DEP_2)
	v_add_f32_e32 v13, v3, v16
	global_store_b64 v[1:2], v[13:14], off
.LBB188_5:
	s_or_b32 exec_lo, exec_lo, s1
	v_add_nc_u32_e32 v2, 16, v0
	s_delay_alu instid0(VALU_DEP_1) | instskip(SKIP_1) | instid1(VALU_DEP_1)
	v_cmp_le_i32_e64 s1, v7, v2
	v_cmp_gt_i32_e64 s0, s2, v2
	s_and_b32 s1, s1, s0
	s_delay_alu instid0(SALU_CYCLE_1)
	s_and_saveexec_b32 s2, s1
	s_cbranch_execz .LBB188_7
; %bb.6:
	v_ashrrev_i32_e32 v3, 31, v2
	s_delay_alu instid0(VALU_DEP_1) | instskip(NEXT) | instid1(VALU_DEP_1)
	v_lshlrev_b64 v[13:14], 3, v[2:3]
	v_add_co_u32 v13, s1, v6, v13
	s_delay_alu instid0(VALU_DEP_1) | instskip(SKIP_3) | instid1(VALU_DEP_1)
	v_add_co_ci_u32_e64 v14, s1, v12, v14, s1
	global_load_b64 v[15:16], v[13:14], off
	s_waitcnt vmcnt(0)
	v_dual_mul_f32 v1, s9, v11 :: v_dual_mul_f32 v6, s7, v16
	v_fma_f32 v1, v10, s8, -v1
	s_delay_alu instid0(VALU_DEP_2) | instskip(SKIP_2) | instid1(VALU_DEP_2)
	v_fma_f32 v6, v15, s6, -v6
	v_mul_f32_e32 v3, s8, v11
	v_mul_f32_e32 v11, s6, v16
	v_fmac_f32_e32 v3, s9, v10
	s_delay_alu instid0(VALU_DEP_2) | instskip(NEXT) | instid1(VALU_DEP_1)
	v_dual_add_f32 v10, v1, v6 :: v_dual_fmac_f32 v11, s7, v15
	v_add_f32_e32 v11, v3, v11
	global_store_b64 v[13:14], v[10:11], off
.LBB188_7:
	s_or_b32 exec_lo, exec_lo, s2
	v_add_nc_u32_e32 v3, 16, v7
	s_delay_alu instid0(VALU_DEP_1) | instskip(SKIP_1) | instid1(VALU_DEP_2)
	v_mad_i64_i32 v[6:7], null, v3, s3, 0
	v_cmp_le_i32_e64 s1, v3, v0
	v_lshlrev_b64 v[6:7], 3, v[6:7]
	s_delay_alu instid0(VALU_DEP_1) | instskip(NEXT) | instid1(VALU_DEP_1)
	v_add_co_u32 v6, s2, s4, v6
	v_add_co_ci_u32_e64 v7, s2, s5, v7, s2
	s_delay_alu instid0(VALU_DEP_4) | instskip(NEXT) | instid1(SALU_CYCLE_1)
	s_and_b32 s2, s1, vcc_lo
	s_and_saveexec_b32 s1, s2
	s_cbranch_execz .LBB188_9
; %bb.8:
	v_ashrrev_i32_e32 v1, 31, v0
	s_delay_alu instid0(VALU_DEP_1) | instskip(NEXT) | instid1(VALU_DEP_1)
	v_lshlrev_b64 v[0:1], 3, v[0:1]
	v_add_co_u32 v0, vcc_lo, v6, v0
	s_delay_alu instid0(VALU_DEP_2) | instskip(SKIP_4) | instid1(VALU_DEP_2)
	v_add_co_ci_u32_e32 v1, vcc_lo, v7, v1, vcc_lo
	global_load_b64 v[10:11], v[0:1], off
	s_waitcnt vmcnt(0)
	v_dual_mul_f32 v12, s9, v9 :: v_dual_mul_f32 v13, s7, v11
	v_mul_f32_e32 v11, s6, v11
	v_fma_f32 v12, v8, s8, -v12
	v_mul_f32_e32 v9, s8, v9
	s_delay_alu instid0(VALU_DEP_3) | instskip(NEXT) | instid1(VALU_DEP_2)
	v_fmac_f32_e32 v11, s7, v10
	v_fmac_f32_e32 v9, s9, v8
	v_fma_f32 v8, v10, s6, -v13
	s_delay_alu instid0(VALU_DEP_1)
	v_dual_add_f32 v9, v9, v11 :: v_dual_add_f32 v8, v12, v8
	global_store_b64 v[0:1], v[8:9], off
.LBB188_9:
	s_or_b32 exec_lo, exec_lo, s1
	v_cmp_le_i32_e32 vcc_lo, v3, v2
	s_and_b32 s0, vcc_lo, s0
	s_delay_alu instid0(SALU_CYCLE_1)
	s_and_saveexec_b32 s1, s0
	s_cbranch_execz .LBB188_11
; %bb.10:
	v_ashrrev_i32_e32 v3, 31, v2
	s_delay_alu instid0(VALU_DEP_1) | instskip(NEXT) | instid1(VALU_DEP_1)
	v_lshlrev_b64 v[0:1], 3, v[2:3]
	v_add_co_u32 v0, vcc_lo, v6, v0
	s_delay_alu instid0(VALU_DEP_2) | instskip(SKIP_4) | instid1(VALU_DEP_2)
	v_add_co_ci_u32_e32 v1, vcc_lo, v7, v1, vcc_lo
	global_load_b64 v[2:3], v[0:1], off
	s_waitcnt vmcnt(0)
	v_dual_mul_f32 v6, s9, v5 :: v_dual_mul_f32 v7, s7, v3
	v_mul_f32_e32 v3, s6, v3
	v_fma_f32 v6, v4, s8, -v6
	v_mul_f32_e32 v5, s8, v5
	s_delay_alu instid0(VALU_DEP_3) | instskip(NEXT) | instid1(VALU_DEP_2)
	v_fmac_f32_e32 v3, s7, v2
	v_fmac_f32_e32 v5, s9, v4
	v_fma_f32 v4, v2, s6, -v7
	s_delay_alu instid0(VALU_DEP_1)
	v_dual_add_f32 v3, v5, v3 :: v_dual_add_f32 v2, v6, v4
	global_store_b64 v[0:1], v[2:3], off
.LBB188_11:
	s_nop 0
	s_sendmsg sendmsg(MSG_DEALLOC_VGPRS)
	s_endpgm
	.section	.rodata,"a",@progbits
	.p2align	6, 0x0
	.amdhsa_kernel _ZL37rocblas_syrkx_herkx_restricted_kernelIi19rocblas_complex_numIfELi16ELi32ELi8ELb0ELb0ELc78ELc76EKS1_S1_EviT_T0_PT8_S3_lS6_S3_lS4_PT9_S3_li
		.amdhsa_group_segment_fixed_size 4096
		.amdhsa_private_segment_fixed_size 0
		.amdhsa_kernarg_size 100
		.amdhsa_user_sgpr_count 13
		.amdhsa_user_sgpr_dispatch_ptr 0
		.amdhsa_user_sgpr_queue_ptr 0
		.amdhsa_user_sgpr_kernarg_segment_ptr 1
		.amdhsa_user_sgpr_dispatch_id 0
		.amdhsa_user_sgpr_private_segment_size 0
		.amdhsa_wavefront_size32 1
		.amdhsa_uses_dynamic_stack 0
		.amdhsa_enable_private_segment 0
		.amdhsa_system_sgpr_workgroup_id_x 1
		.amdhsa_system_sgpr_workgroup_id_y 1
		.amdhsa_system_sgpr_workgroup_id_z 1
		.amdhsa_system_sgpr_workgroup_info 0
		.amdhsa_system_vgpr_workitem_id 1
		.amdhsa_next_free_vgpr 92
		.amdhsa_next_free_sgpr 27
		.amdhsa_reserve_vcc 1
		.amdhsa_float_round_mode_32 0
		.amdhsa_float_round_mode_16_64 0
		.amdhsa_float_denorm_mode_32 3
		.amdhsa_float_denorm_mode_16_64 3
		.amdhsa_dx10_clamp 1
		.amdhsa_ieee_mode 1
		.amdhsa_fp16_overflow 0
		.amdhsa_workgroup_processor_mode 1
		.amdhsa_memory_ordered 1
		.amdhsa_forward_progress 0
		.amdhsa_shared_vgpr_count 0
		.amdhsa_exception_fp_ieee_invalid_op 0
		.amdhsa_exception_fp_denorm_src 0
		.amdhsa_exception_fp_ieee_div_zero 0
		.amdhsa_exception_fp_ieee_overflow 0
		.amdhsa_exception_fp_ieee_underflow 0
		.amdhsa_exception_fp_ieee_inexact 0
		.amdhsa_exception_int_div_zero 0
	.end_amdhsa_kernel
	.section	.text._ZL37rocblas_syrkx_herkx_restricted_kernelIi19rocblas_complex_numIfELi16ELi32ELi8ELb0ELb0ELc78ELc76EKS1_S1_EviT_T0_PT8_S3_lS6_S3_lS4_PT9_S3_li,"axG",@progbits,_ZL37rocblas_syrkx_herkx_restricted_kernelIi19rocblas_complex_numIfELi16ELi32ELi8ELb0ELb0ELc78ELc76EKS1_S1_EviT_T0_PT8_S3_lS6_S3_lS4_PT9_S3_li,comdat
.Lfunc_end188:
	.size	_ZL37rocblas_syrkx_herkx_restricted_kernelIi19rocblas_complex_numIfELi16ELi32ELi8ELb0ELb0ELc78ELc76EKS1_S1_EviT_T0_PT8_S3_lS6_S3_lS4_PT9_S3_li, .Lfunc_end188-_ZL37rocblas_syrkx_herkx_restricted_kernelIi19rocblas_complex_numIfELi16ELi32ELi8ELb0ELb0ELc78ELc76EKS1_S1_EviT_T0_PT8_S3_lS6_S3_lS4_PT9_S3_li
                                        ; -- End function
	.section	.AMDGPU.csdata,"",@progbits
; Kernel info:
; codeLenInByte = 2340
; NumSgprs: 29
; NumVgprs: 92
; ScratchSize: 0
; MemoryBound: 0
; FloatMode: 240
; IeeeMode: 1
; LDSByteSize: 4096 bytes/workgroup (compile time only)
; SGPRBlocks: 3
; VGPRBlocks: 11
; NumSGPRsForWavesPerEU: 29
; NumVGPRsForWavesPerEU: 92
; Occupancy: 16
; WaveLimiterHint : 0
; COMPUTE_PGM_RSRC2:SCRATCH_EN: 0
; COMPUTE_PGM_RSRC2:USER_SGPR: 13
; COMPUTE_PGM_RSRC2:TRAP_HANDLER: 0
; COMPUTE_PGM_RSRC2:TGID_X_EN: 1
; COMPUTE_PGM_RSRC2:TGID_Y_EN: 1
; COMPUTE_PGM_RSRC2:TGID_Z_EN: 1
; COMPUTE_PGM_RSRC2:TIDIG_COMP_CNT: 1
	.section	.text._ZL37rocblas_syrkx_herkx_restricted_kernelIi19rocblas_complex_numIfELi16ELi32ELi8ELb0ELb0ELc84ELc85EKS1_S1_EviT_T0_PT8_S3_lS6_S3_lS4_PT9_S3_li,"axG",@progbits,_ZL37rocblas_syrkx_herkx_restricted_kernelIi19rocblas_complex_numIfELi16ELi32ELi8ELb0ELb0ELc84ELc85EKS1_S1_EviT_T0_PT8_S3_lS6_S3_lS4_PT9_S3_li,comdat
	.globl	_ZL37rocblas_syrkx_herkx_restricted_kernelIi19rocblas_complex_numIfELi16ELi32ELi8ELb0ELb0ELc84ELc85EKS1_S1_EviT_T0_PT8_S3_lS6_S3_lS4_PT9_S3_li ; -- Begin function _ZL37rocblas_syrkx_herkx_restricted_kernelIi19rocblas_complex_numIfELi16ELi32ELi8ELb0ELb0ELc84ELc85EKS1_S1_EviT_T0_PT8_S3_lS6_S3_lS4_PT9_S3_li
	.p2align	8
	.type	_ZL37rocblas_syrkx_herkx_restricted_kernelIi19rocblas_complex_numIfELi16ELi32ELi8ELb0ELb0ELc84ELc85EKS1_S1_EviT_T0_PT8_S3_lS6_S3_lS4_PT9_S3_li,@function
_ZL37rocblas_syrkx_herkx_restricted_kernelIi19rocblas_complex_numIfELi16ELi32ELi8ELb0ELb0ELc84ELc85EKS1_S1_EviT_T0_PT8_S3_lS6_S3_lS4_PT9_S3_li: ; @_ZL37rocblas_syrkx_herkx_restricted_kernelIi19rocblas_complex_numIfELi16ELi32ELi8ELb0ELb0ELc84ELc85EKS1_S1_EviT_T0_PT8_S3_lS6_S3_lS4_PT9_S3_li
; %bb.0:
	s_clause 0x3
	s_load_b64 s[2:3], s[0:1], 0x0
	s_load_b128 s[8:11], s[0:1], 0x8
	s_load_b128 s[4:7], s[0:1], 0x38
	s_load_b64 s[20:21], s[0:1], 0x48
	v_dual_mov_b32 v15, 0 :: v_dual_and_b32 v6, 0x3ff, v0
	v_bfe_u32 v7, v0, 10, 10
	v_dual_mov_b32 v16, 0 :: v_dual_mov_b32 v11, 0
	v_dual_mov_b32 v10, 0 :: v_dual_mov_b32 v9, 0
	;; [unrolled: 1-line block ×3, first 2 shown]
	v_mov_b32_e32 v0, 0
	s_lshl_b32 s12, s13, 5
	s_lshl_b32 s13, s14, 5
	s_mov_b32 s14, 0
	s_waitcnt lgkmcnt(0)
	s_cmp_lt_i32 s3, 1
	s_cbranch_scc1 .LBB189_3
; %bb.1:
	s_clause 0x2
	s_load_b128 s[16:19], s[0:1], 0x20
	s_load_b32 s22, s[0:1], 0x18
	s_load_b32 s23, s[0:1], 0x30
	v_lshl_add_u32 v2, v7, 4, v6
	v_dual_mov_b32 v1, 0 :: v_dual_and_b32 v0, 7, v6
	s_mul_i32 s5, s5, s15
	v_lshlrev_b32_e32 v12, 3, v6
	s_delay_alu instid0(VALU_DEP_3) | instskip(SKIP_3) | instid1(VALU_DEP_4)
	v_and_b32_e32 v4, 31, v2
	v_lshrrev_b32_e32 v5, 3, v2
	v_dual_mov_b32 v3, v1 :: v_dual_lshlrev_b32 v8, 3, v0
	v_lshrrev_b32_e32 v2, 5, v2
	v_add_nc_u32_e32 v11, s12, v4
	v_lshlrev_b32_e32 v9, 3, v4
	v_dual_mov_b32 v15, v1 :: v_dual_add_nc_u32 v10, s13, v5
	v_lshl_or_b32 v8, v5, 6, v8
	v_lshl_add_u32 v17, v7, 6, 0x800
	s_delay_alu instid0(VALU_DEP_4)
	v_lshl_or_b32 v13, v2, 8, v9
	s_waitcnt lgkmcnt(0)
	s_mul_i32 s17, s17, s15
	v_mad_i64_i32 v[4:5], null, s22, v11, v[2:3]
	s_mul_hi_u32 s24, s16, s15
	v_mad_i64_i32 v[2:3], null, s23, v10, v[0:1]
	s_mul_i32 s16, s16, s15
	s_add_i32 s17, s24, s17
	v_add_nc_u32_e32 v14, 0x800, v8
	s_lshl_b64 s[16:17], s[16:17], 3
	s_delay_alu instid0(VALU_DEP_3)
	v_lshlrev_b64 v[4:5], 3, v[4:5]
	s_add_u32 s10, s10, s16
	s_mul_hi_u32 s16, s4, s15
	s_addc_u32 s11, s11, s17
	s_add_i32 s5, s16, s5
	s_mul_i32 s4, s4, s15
	v_lshlrev_b64 v[2:3], 3, v[2:3]
	s_lshl_b64 s[4:5], s[4:5], 3
	v_add_co_u32 v0, vcc_lo, s10, v4
	s_add_u32 s4, s18, s4
	v_add_co_ci_u32_e32 v4, vcc_lo, s11, v5, vcc_lo
	s_addc_u32 s5, s19, s5
	v_add_co_u32 v5, vcc_lo, s4, v2
	v_add_co_ci_u32_e32 v8, vcc_lo, s5, v3, vcc_lo
	v_add_co_u32 v2, vcc_lo, v0, 4
	v_add_co_ci_u32_e32 v3, vcc_lo, 0, v4, vcc_lo
	s_delay_alu instid0(VALU_DEP_4) | instskip(NEXT) | instid1(VALU_DEP_4)
	v_add_co_u32 v4, vcc_lo, v5, 4
	v_add_co_ci_u32_e32 v5, vcc_lo, 0, v8, vcc_lo
	v_mov_b32_e32 v0, v1
	v_mov_b32_e32 v9, v1
	;; [unrolled: 1-line block ×6, first 2 shown]
.LBB189_2:                              ; =>This Inner Loop Header: Depth=1
	global_load_b64 v[18:19], v[2:3], off offset:-4
	global_load_b64 v[20:21], v[4:5], off offset:-4
	v_add_co_u32 v2, vcc_lo, v2, 64
	v_add_co_ci_u32_e32 v3, vcc_lo, 0, v3, vcc_lo
	v_add_co_u32 v4, vcc_lo, v4, 64
	v_add_co_ci_u32_e32 v5, vcc_lo, 0, v5, vcc_lo
	s_add_i32 s14, s14, 8
	s_waitcnt vmcnt(1)
	ds_store_b64 v13, v[18:19]
	s_waitcnt vmcnt(0)
	ds_store_b64 v14, v[20:21]
	s_waitcnt lgkmcnt(0)
	s_barrier
	buffer_gl0_inv
	ds_load_2addr_b64 v[18:21], v12 offset1:16
	ds_load_b128 v[22:25], v17
	ds_load_b128 v[26:29], v17 offset:1024
	ds_load_b128 v[30:33], v17 offset:16
	ds_load_2addr_b64 v[34:37], v12 offset0:32 offset1:48
	ds_load_b128 v[38:41], v17 offset:32
	ds_load_b128 v[42:45], v17 offset:48
	ds_load_2addr_b64 v[46:49], v12 offset0:64 offset1:80
	ds_load_b128 v[50:53], v17 offset:1040
	ds_load_2addr_b64 v[54:57], v12 offset0:96 offset1:112
	ds_load_2addr_b64 v[58:61], v12 offset0:128 offset1:144
	;; [unrolled: 1-line block ×4, first 2 shown]
	ds_load_b128 v[70:73], v17 offset:1056
	ds_load_b128 v[74:77], v17 offset:1072
	ds_load_2addr_b64 v[78:81], v12 offset0:224 offset1:240
	s_cmp_ge_i32 s14, s3
	s_waitcnt lgkmcnt(0)
	s_barrier
	buffer_gl0_inv
	v_dual_mul_f32 v82, v23, v19 :: v_dual_mul_f32 v85, v22, v21
	v_dual_mul_f32 v83, v22, v19 :: v_dual_mul_f32 v84, v23, v21
	v_mul_f32_e32 v86, v27, v19
	v_dual_mul_f32 v19, v26, v19 :: v_dual_mul_f32 v90, v25, v37
	v_dual_mul_f32 v87, v27, v21 :: v_dual_mul_f32 v88, v25, v35
	v_mul_f32_e32 v21, v26, v21
	v_fma_f32 v82, v22, v18, -v82
	v_fmac_f32_e32 v83, v23, v18
	v_fma_f32 v22, v22, v20, -v84
	v_fmac_f32_e32 v85, v23, v20
	v_fma_f32 v23, v26, v18, -v86
	v_dual_fmac_f32 v19, v27, v18 :: v_dual_mul_f32 v86, v30, v47
	v_fma_f32 v18, v26, v20, -v87
	v_dual_fmac_f32 v21, v27, v20 :: v_dual_mul_f32 v20, v24, v37
	v_mul_f32_e32 v89, v24, v35
	v_mul_f32_e32 v26, v29, v35
	;; [unrolled: 1-line block ×4, first 2 shown]
	v_fmac_f32_e32 v20, v25, v36
	v_fmac_f32_e32 v89, v25, v34
	v_dual_mul_f32 v25, v28, v37 :: v_dual_fmac_f32 v86, v31, v46
	v_fma_f32 v84, v24, v34, -v88
	v_fma_f32 v24, v24, v36, -v90
	v_dual_mul_f32 v37, v31, v47 :: v_dual_mul_f32 v90, v33, v57
	v_fma_f32 v26, v28, v34, -v26
	v_fma_f32 v28, v28, v36, -v35
	v_fmac_f32_e32 v25, v29, v36
	v_dual_mul_f32 v35, v50, v47 :: v_dual_mul_f32 v36, v51, v49
	v_dual_fmac_f32 v27, v29, v34 :: v_dual_mul_f32 v34, v51, v47
	v_dual_mul_f32 v88, v32, v55 :: v_dual_mul_f32 v29, v30, v49
	v_mul_f32_e32 v87, v31, v49
	v_fma_f32 v37, v30, v46, -v37
	v_add_f32_e32 v16, v16, v83
	s_delay_alu instid0(VALU_DEP_4)
	v_dual_fmac_f32 v88, v33, v54 :: v_dual_fmac_f32 v29, v31, v48
	v_fma_f32 v31, v50, v46, -v34
	v_fma_f32 v34, v50, v48, -v36
	v_mul_f32_e32 v36, v32, v57
	v_mul_f32_e32 v47, v50, v49
	v_dual_mul_f32 v50, v53, v57 :: v_dual_fmac_f32 v35, v51, v46
	v_mul_f32_e32 v46, v53, v55
	v_mul_f32_e32 v49, v33, v55
	v_fma_f32 v30, v30, v48, -v87
	v_fmac_f32_e32 v36, v33, v56
	v_dual_fmac_f32 v47, v51, v48 :: v_dual_mul_f32 v48, v52, v55
	v_mul_f32_e32 v33, v52, v57
	v_fma_f32 v46, v52, v54, -v46
	v_fma_f32 v50, v52, v56, -v50
	v_mul_f32_e32 v52, v38, v61
	v_fma_f32 v49, v32, v54, -v49
	v_fma_f32 v32, v32, v56, -v90
	v_dual_mul_f32 v51, v39, v59 :: v_dual_fmac_f32 v48, v53, v54
	v_mul_f32_e32 v54, v70, v59
	v_dual_mul_f32 v55, v38, v59 :: v_dual_fmac_f32 v52, v39, v60
	v_fmac_f32_e32 v33, v53, v56
	v_mul_f32_e32 v53, v71, v59
	v_mul_f32_e32 v56, v71, v61
	;; [unrolled: 1-line block ×3, first 2 shown]
	v_fmac_f32_e32 v54, v71, v58
	v_fmac_f32_e32 v55, v39, v58
	v_fma_f32 v39, v70, v58, -v53
	v_fma_f32 v53, v70, v60, -v56
	v_mul_f32_e32 v56, v40, v65
	v_mul_f32_e32 v59, v70, v61
	v_fma_f32 v51, v38, v58, -v51
	v_mul_f32_e32 v58, v72, v63
	v_mul_f32_e32 v87, v40, v63
	;; [unrolled: 1-line block ×4, first 2 shown]
	v_fma_f32 v38, v38, v60, -v57
	v_mul_f32_e32 v57, v73, v63
	v_fmac_f32_e32 v56, v41, v64
	v_dual_fmac_f32 v59, v71, v60 :: v_dual_mul_f32 v60, v73, v65
	v_mul_f32_e32 v63, v43, v67
	v_mul_f32_e32 v70, v43, v69
	v_fmac_f32_e32 v58, v73, v62
	v_fmac_f32_e32 v87, v41, v62
	v_mul_f32_e32 v41, v72, v65
	v_fma_f32 v61, v40, v62, -v61
	v_fma_f32 v40, v40, v64, -v90
	v_mul_f32_e32 v65, v42, v67
	v_fma_f32 v57, v72, v62, -v57
	v_fma_f32 v60, v72, v64, -v60
	v_dual_fmac_f32 v41, v73, v64 :: v_dual_mul_f32 v62, v42, v69
	v_mul_f32_e32 v64, v75, v67
	v_fma_f32 v63, v42, v66, -v63
	v_fma_f32 v42, v42, v68, -v70
	v_mul_f32_e32 v70, v76, v79
	v_mul_f32_e32 v67, v74, v67
	;; [unrolled: 1-line block ×3, first 2 shown]
	v_dual_mul_f32 v69, v74, v69 :: v_dual_add_f32 v8, v8, v23
	v_dual_mul_f32 v73, v44, v79 :: v_dual_add_f32 v10, v10, v22
	v_dual_fmac_f32 v65, v43, v66 :: v_dual_add_f32 v16, v16, v89
	v_fmac_f32_e32 v62, v43, v68
	v_fma_f32 v43, v74, v66, -v64
	v_fmac_f32_e32 v70, v77, v78
	v_dual_fmac_f32 v67, v75, v66 :: v_dual_add_f32 v10, v10, v24
	v_mul_f32_e32 v66, v44, v81
	v_mul_f32_e32 v72, v45, v79
	v_dual_mul_f32 v90, v45, v81 :: v_dual_fmac_f32 v69, v75, v68
	v_add_f32_e32 v0, v0, v18
	v_fmac_f32_e32 v73, v45, v78
	v_dual_fmac_f32 v66, v45, v80 :: v_dual_mul_f32 v45, v76, v81
	v_add_f32_e32 v10, v10, v30
	v_fma_f32 v64, v74, v68, -v71
	v_dual_mul_f32 v71, v77, v81 :: v_dual_add_f32 v8, v8, v26
	s_delay_alu instid0(VALU_DEP_4) | instskip(SKIP_4) | instid1(VALU_DEP_4)
	v_dual_fmac_f32 v45, v77, v80 :: v_dual_add_f32 v16, v16, v86
	v_add_f32_e32 v15, v15, v82
	v_add_f32_e32 v9, v9, v19
	v_dual_add_f32 v1, v1, v21 :: v_dual_add_f32 v10, v10, v32
	v_dual_add_f32 v0, v0, v28 :: v_dual_add_f32 v11, v11, v85
	;; [unrolled: 1-line block ×3, first 2 shown]
	s_delay_alu instid0(VALU_DEP_4) | instskip(NEXT) | instid1(VALU_DEP_4)
	v_dual_add_f32 v16, v16, v88 :: v_dual_add_f32 v9, v9, v27
	v_dual_add_f32 v10, v10, v38 :: v_dual_add_f32 v1, v1, v25
	s_delay_alu instid0(VALU_DEP_4) | instskip(NEXT) | instid1(VALU_DEP_3)
	v_add_f32_e32 v0, v0, v34
	v_dual_add_f32 v16, v16, v55 :: v_dual_add_f32 v11, v11, v20
	v_dual_add_f32 v8, v8, v46 :: v_dual_add_f32 v15, v15, v37
	s_delay_alu instid0(VALU_DEP_4) | instskip(NEXT) | instid1(VALU_DEP_3)
	v_dual_add_f32 v1, v1, v47 :: v_dual_add_f32 v10, v10, v40
	v_dual_add_f32 v0, v0, v50 :: v_dual_add_f32 v11, v11, v29
	s_delay_alu instid0(VALU_DEP_4) | instskip(SKIP_1) | instid1(VALU_DEP_4)
	v_add_f32_e32 v16, v16, v87
	v_add_f32_e32 v9, v9, v35
	v_dual_add_f32 v1, v1, v33 :: v_dual_add_f32 v10, v10, v42
	s_delay_alu instid0(VALU_DEP_4)
	v_dual_add_f32 v8, v8, v39 :: v_dual_add_f32 v11, v11, v36
	v_add_f32_e32 v0, v0, v53
	v_add_f32_e32 v15, v15, v49
	v_dual_add_f32 v9, v9, v48 :: v_dual_add_f32 v16, v16, v65
	v_mul_f32_e32 v68, v77, v79
	v_fma_f32 v72, v44, v78, -v72
	v_fma_f32 v44, v44, v80, -v90
	s_delay_alu instid0(VALU_DEP_4) | instskip(SKIP_1) | instid1(VALU_DEP_3)
	v_dual_add_f32 v9, v9, v54 :: v_dual_add_f32 v16, v16, v73
	v_dual_add_f32 v1, v1, v59 :: v_dual_add_f32 v8, v8, v57
	v_add_f32_e32 v10, v10, v44
	v_add_f32_e32 v11, v11, v52
	v_dual_add_f32 v0, v0, v60 :: v_dual_add_f32 v15, v15, v51
	v_fma_f32 v68, v76, v78, -v68
	v_fma_f32 v71, v76, v80, -v71
	s_delay_alu instid0(VALU_DEP_3) | instskip(SKIP_2) | instid1(VALU_DEP_3)
	v_dual_add_f32 v9, v9, v58 :: v_dual_add_f32 v0, v0, v64
	v_dual_add_f32 v1, v1, v41 :: v_dual_add_f32 v8, v8, v43
	v_add_f32_e32 v15, v15, v61
	v_dual_add_f32 v11, v11, v56 :: v_dual_add_f32 v0, v0, v71
	s_delay_alu instid0(VALU_DEP_4) | instskip(NEXT) | instid1(VALU_DEP_4)
	v_add_f32_e32 v9, v9, v67
	v_dual_add_f32 v1, v1, v69 :: v_dual_add_f32 v8, v8, v68
	s_delay_alu instid0(VALU_DEP_4) | instskip(NEXT) | instid1(VALU_DEP_4)
	v_add_f32_e32 v15, v15, v63
	v_add_f32_e32 v11, v11, v62
	s_delay_alu instid0(VALU_DEP_4) | instskip(NEXT) | instid1(VALU_DEP_4)
	v_add_f32_e32 v9, v9, v70
	v_add_f32_e32 v1, v1, v45
	;; [unrolled: 3-line block ×3, first 2 shown]
	s_cbranch_scc0 .LBB189_2
.LBB189_3:
	s_clause 0x1
	s_load_b32 s3, s[0:1], 0x50
	s_load_b64 s[0:1], s[0:1], 0x58
	v_add_nc_u32_e32 v7, s13, v7
	v_add_nc_u32_e32 v2, s12, v6
	s_delay_alu instid0(VALU_DEP_2)
	v_cmp_gt_i32_e32 vcc_lo, s2, v7
	s_waitcnt lgkmcnt(0)
	v_mad_i64_i32 v[3:4], null, v7, s3, 0
	s_mul_i32 s1, s15, s1
	s_mul_hi_u32 s4, s15, s0
	s_mul_i32 s0, s15, s0
	s_add_i32 s1, s4, s1
	s_delay_alu instid0(SALU_CYCLE_1) | instskip(NEXT) | instid1(VALU_DEP_1)
	s_lshl_b64 s[4:5], s[0:1], 3
	v_lshlrev_b64 v[3:4], 3, v[3:4]
	s_add_u32 s4, s20, s4
	v_cmp_le_i32_e64 s0, v2, v7
	s_addc_u32 s5, s21, s5
	s_delay_alu instid0(VALU_DEP_2) | instskip(NEXT) | instid1(VALU_DEP_1)
	v_add_co_u32 v6, s1, s4, v3
	v_add_co_ci_u32_e64 v12, s1, s5, v4, s1
	s_delay_alu instid0(VALU_DEP_3) | instskip(NEXT) | instid1(SALU_CYCLE_1)
	s_and_b32 s0, vcc_lo, s0
	s_and_saveexec_b32 s1, s0
	s_cbranch_execz .LBB189_5
; %bb.4:
	v_ashrrev_i32_e32 v3, 31, v2
	s_delay_alu instid0(VALU_DEP_1) | instskip(NEXT) | instid1(VALU_DEP_1)
	v_lshlrev_b64 v[3:4], 3, v[2:3]
	v_add_co_u32 v3, s0, v6, v3
	s_delay_alu instid0(VALU_DEP_1)
	v_add_co_ci_u32_e64 v4, s0, v12, v4, s0
	global_load_b64 v[13:14], v[3:4], off
	v_mul_f32_e32 v5, s9, v16
	s_waitcnt vmcnt(0)
	v_dual_mul_f32 v16, s8, v16 :: v_dual_mul_f32 v17, s7, v14
	v_mul_f32_e32 v14, s6, v14
	s_delay_alu instid0(VALU_DEP_3) | instskip(NEXT) | instid1(VALU_DEP_3)
	v_fma_f32 v5, v15, s8, -v5
	v_fmac_f32_e32 v16, s9, v15
	s_delay_alu instid0(VALU_DEP_4) | instskip(NEXT) | instid1(VALU_DEP_1)
	v_fma_f32 v15, v13, s6, -v17
	v_dual_fmac_f32 v14, s7, v13 :: v_dual_add_f32 v13, v5, v15
	s_delay_alu instid0(VALU_DEP_1)
	v_add_f32_e32 v14, v16, v14
	global_store_b64 v[3:4], v[13:14], off
.LBB189_5:
	s_or_b32 exec_lo, exec_lo, s1
	v_add_nc_u32_e32 v4, 16, v2
	s_delay_alu instid0(VALU_DEP_1) | instskip(NEXT) | instid1(VALU_DEP_1)
	v_cmp_le_i32_e64 s0, v4, v7
	s_and_b32 s1, vcc_lo, s0
	s_delay_alu instid0(SALU_CYCLE_1)
	s_and_saveexec_b32 s0, s1
	s_cbranch_execz .LBB189_7
; %bb.6:
	v_ashrrev_i32_e32 v5, 31, v4
	s_delay_alu instid0(VALU_DEP_1) | instskip(NEXT) | instid1(VALU_DEP_1)
	v_lshlrev_b64 v[13:14], 3, v[4:5]
	v_add_co_u32 v5, vcc_lo, v6, v13
	s_delay_alu instid0(VALU_DEP_2) | instskip(SKIP_4) | instid1(VALU_DEP_2)
	v_add_co_ci_u32_e32 v6, vcc_lo, v12, v14, vcc_lo
	global_load_b64 v[12:13], v[5:6], off
	s_waitcnt vmcnt(0)
	v_dual_mul_f32 v3, s9, v11 :: v_dual_mul_f32 v14, s7, v13
	v_mul_f32_e32 v13, s6, v13
	v_fma_f32 v3, v10, s8, -v3
	v_mul_f32_e32 v11, s8, v11
	s_delay_alu instid0(VALU_DEP_3) | instskip(NEXT) | instid1(VALU_DEP_2)
	v_fmac_f32_e32 v13, s7, v12
	v_fmac_f32_e32 v11, s9, v10
	v_fma_f32 v10, v12, s6, -v14
	s_delay_alu instid0(VALU_DEP_2) | instskip(NEXT) | instid1(VALU_DEP_2)
	v_add_f32_e32 v11, v11, v13
	v_add_f32_e32 v10, v3, v10
	global_store_b64 v[5:6], v[10:11], off
.LBB189_7:
	s_or_b32 exec_lo, exec_lo, s0
	v_add_nc_u32_e32 v5, 16, v7
	s_delay_alu instid0(VALU_DEP_1) | instskip(SKIP_2) | instid1(VALU_DEP_1)
	v_mad_i64_i32 v[6:7], null, v5, s3, 0
	v_cmp_gt_i32_e32 vcc_lo, s2, v5
	v_cmp_le_i32_e64 s0, v2, v5
	s_and_b32 s0, vcc_lo, s0
	s_delay_alu instid0(VALU_DEP_3) | instskip(NEXT) | instid1(VALU_DEP_1)
	v_lshlrev_b64 v[6:7], 3, v[6:7]
	v_add_co_u32 v6, s1, s4, v6
	s_delay_alu instid0(VALU_DEP_1)
	v_add_co_ci_u32_e64 v7, s1, s5, v7, s1
	s_and_saveexec_b32 s1, s0
	s_cbranch_execz .LBB189_9
; %bb.8:
	v_ashrrev_i32_e32 v3, 31, v2
	s_delay_alu instid0(VALU_DEP_1) | instskip(NEXT) | instid1(VALU_DEP_1)
	v_lshlrev_b64 v[2:3], 3, v[2:3]
	v_add_co_u32 v2, s0, v6, v2
	s_delay_alu instid0(VALU_DEP_1) | instskip(SKIP_4) | instid1(VALU_DEP_2)
	v_add_co_ci_u32_e64 v3, s0, v7, v3, s0
	global_load_b64 v[10:11], v[2:3], off
	s_waitcnt vmcnt(0)
	v_dual_mul_f32 v12, s9, v9 :: v_dual_mul_f32 v13, s7, v11
	v_mul_f32_e32 v11, s6, v11
	v_fma_f32 v12, v8, s8, -v12
	v_mul_f32_e32 v9, s8, v9
	s_delay_alu instid0(VALU_DEP_3) | instskip(NEXT) | instid1(VALU_DEP_2)
	v_fmac_f32_e32 v11, s7, v10
	v_fmac_f32_e32 v9, s9, v8
	v_fma_f32 v8, v10, s6, -v13
	s_delay_alu instid0(VALU_DEP_1)
	v_dual_add_f32 v9, v9, v11 :: v_dual_add_f32 v8, v12, v8
	global_store_b64 v[2:3], v[8:9], off
.LBB189_9:
	s_or_b32 exec_lo, exec_lo, s1
	v_cmp_le_i32_e64 s0, v4, v5
	s_delay_alu instid0(VALU_DEP_1) | instskip(NEXT) | instid1(SALU_CYCLE_1)
	s_and_b32 s0, vcc_lo, s0
	s_and_saveexec_b32 s1, s0
	s_cbranch_execz .LBB189_11
; %bb.10:
	v_ashrrev_i32_e32 v5, 31, v4
	s_delay_alu instid0(VALU_DEP_1) | instskip(NEXT) | instid1(VALU_DEP_1)
	v_lshlrev_b64 v[2:3], 3, v[4:5]
	v_add_co_u32 v2, vcc_lo, v6, v2
	s_delay_alu instid0(VALU_DEP_2)
	v_add_co_ci_u32_e32 v3, vcc_lo, v7, v3, vcc_lo
	v_mul_f32_e32 v6, s9, v1
	v_mul_f32_e32 v1, s8, v1
	global_load_b64 v[4:5], v[2:3], off
	v_fmac_f32_e32 v1, s9, v0
	v_fma_f32 v6, v0, s8, -v6
	s_waitcnt vmcnt(0)
	v_mul_f32_e32 v7, s7, v5
	v_mul_f32_e32 v5, s6, v5
	s_delay_alu instid0(VALU_DEP_2) | instskip(NEXT) | instid1(VALU_DEP_2)
	v_fma_f32 v0, v4, s6, -v7
	v_fmac_f32_e32 v5, s7, v4
	s_delay_alu instid0(VALU_DEP_1)
	v_dual_add_f32 v0, v6, v0 :: v_dual_add_f32 v1, v1, v5
	global_store_b64 v[2:3], v[0:1], off
.LBB189_11:
	s_nop 0
	s_sendmsg sendmsg(MSG_DEALLOC_VGPRS)
	s_endpgm
	.section	.rodata,"a",@progbits
	.p2align	6, 0x0
	.amdhsa_kernel _ZL37rocblas_syrkx_herkx_restricted_kernelIi19rocblas_complex_numIfELi16ELi32ELi8ELb0ELb0ELc84ELc85EKS1_S1_EviT_T0_PT8_S3_lS6_S3_lS4_PT9_S3_li
		.amdhsa_group_segment_fixed_size 4096
		.amdhsa_private_segment_fixed_size 0
		.amdhsa_kernarg_size 100
		.amdhsa_user_sgpr_count 13
		.amdhsa_user_sgpr_dispatch_ptr 0
		.amdhsa_user_sgpr_queue_ptr 0
		.amdhsa_user_sgpr_kernarg_segment_ptr 1
		.amdhsa_user_sgpr_dispatch_id 0
		.amdhsa_user_sgpr_private_segment_size 0
		.amdhsa_wavefront_size32 1
		.amdhsa_uses_dynamic_stack 0
		.amdhsa_enable_private_segment 0
		.amdhsa_system_sgpr_workgroup_id_x 1
		.amdhsa_system_sgpr_workgroup_id_y 1
		.amdhsa_system_sgpr_workgroup_id_z 1
		.amdhsa_system_sgpr_workgroup_info 0
		.amdhsa_system_vgpr_workitem_id 1
		.amdhsa_next_free_vgpr 91
		.amdhsa_next_free_sgpr 25
		.amdhsa_reserve_vcc 1
		.amdhsa_float_round_mode_32 0
		.amdhsa_float_round_mode_16_64 0
		.amdhsa_float_denorm_mode_32 3
		.amdhsa_float_denorm_mode_16_64 3
		.amdhsa_dx10_clamp 1
		.amdhsa_ieee_mode 1
		.amdhsa_fp16_overflow 0
		.amdhsa_workgroup_processor_mode 1
		.amdhsa_memory_ordered 1
		.amdhsa_forward_progress 0
		.amdhsa_shared_vgpr_count 0
		.amdhsa_exception_fp_ieee_invalid_op 0
		.amdhsa_exception_fp_denorm_src 0
		.amdhsa_exception_fp_ieee_div_zero 0
		.amdhsa_exception_fp_ieee_overflow 0
		.amdhsa_exception_fp_ieee_underflow 0
		.amdhsa_exception_fp_ieee_inexact 0
		.amdhsa_exception_int_div_zero 0
	.end_amdhsa_kernel
	.section	.text._ZL37rocblas_syrkx_herkx_restricted_kernelIi19rocblas_complex_numIfELi16ELi32ELi8ELb0ELb0ELc84ELc85EKS1_S1_EviT_T0_PT8_S3_lS6_S3_lS4_PT9_S3_li,"axG",@progbits,_ZL37rocblas_syrkx_herkx_restricted_kernelIi19rocblas_complex_numIfELi16ELi32ELi8ELb0ELb0ELc84ELc85EKS1_S1_EviT_T0_PT8_S3_lS6_S3_lS4_PT9_S3_li,comdat
.Lfunc_end189:
	.size	_ZL37rocblas_syrkx_herkx_restricted_kernelIi19rocblas_complex_numIfELi16ELi32ELi8ELb0ELb0ELc84ELc85EKS1_S1_EviT_T0_PT8_S3_lS6_S3_lS4_PT9_S3_li, .Lfunc_end189-_ZL37rocblas_syrkx_herkx_restricted_kernelIi19rocblas_complex_numIfELi16ELi32ELi8ELb0ELb0ELc84ELc85EKS1_S1_EviT_T0_PT8_S3_lS6_S3_lS4_PT9_S3_li
                                        ; -- End function
	.section	.AMDGPU.csdata,"",@progbits
; Kernel info:
; codeLenInByte = 2320
; NumSgprs: 27
; NumVgprs: 91
; ScratchSize: 0
; MemoryBound: 0
; FloatMode: 240
; IeeeMode: 1
; LDSByteSize: 4096 bytes/workgroup (compile time only)
; SGPRBlocks: 3
; VGPRBlocks: 11
; NumSGPRsForWavesPerEU: 27
; NumVGPRsForWavesPerEU: 91
; Occupancy: 16
; WaveLimiterHint : 0
; COMPUTE_PGM_RSRC2:SCRATCH_EN: 0
; COMPUTE_PGM_RSRC2:USER_SGPR: 13
; COMPUTE_PGM_RSRC2:TRAP_HANDLER: 0
; COMPUTE_PGM_RSRC2:TGID_X_EN: 1
; COMPUTE_PGM_RSRC2:TGID_Y_EN: 1
; COMPUTE_PGM_RSRC2:TGID_Z_EN: 1
; COMPUTE_PGM_RSRC2:TIDIG_COMP_CNT: 1
	.section	.text._ZL37rocblas_syrkx_herkx_restricted_kernelIi19rocblas_complex_numIfELi16ELi32ELi8ELb0ELb0ELc67ELc85EKS1_S1_EviT_T0_PT8_S3_lS6_S3_lS4_PT9_S3_li,"axG",@progbits,_ZL37rocblas_syrkx_herkx_restricted_kernelIi19rocblas_complex_numIfELi16ELi32ELi8ELb0ELb0ELc67ELc85EKS1_S1_EviT_T0_PT8_S3_lS6_S3_lS4_PT9_S3_li,comdat
	.globl	_ZL37rocblas_syrkx_herkx_restricted_kernelIi19rocblas_complex_numIfELi16ELi32ELi8ELb0ELb0ELc67ELc85EKS1_S1_EviT_T0_PT8_S3_lS6_S3_lS4_PT9_S3_li ; -- Begin function _ZL37rocblas_syrkx_herkx_restricted_kernelIi19rocblas_complex_numIfELi16ELi32ELi8ELb0ELb0ELc67ELc85EKS1_S1_EviT_T0_PT8_S3_lS6_S3_lS4_PT9_S3_li
	.p2align	8
	.type	_ZL37rocblas_syrkx_herkx_restricted_kernelIi19rocblas_complex_numIfELi16ELi32ELi8ELb0ELb0ELc67ELc85EKS1_S1_EviT_T0_PT8_S3_lS6_S3_lS4_PT9_S3_li,@function
_ZL37rocblas_syrkx_herkx_restricted_kernelIi19rocblas_complex_numIfELi16ELi32ELi8ELb0ELb0ELc67ELc85EKS1_S1_EviT_T0_PT8_S3_lS6_S3_lS4_PT9_S3_li: ; @_ZL37rocblas_syrkx_herkx_restricted_kernelIi19rocblas_complex_numIfELi16ELi32ELi8ELb0ELb0ELc67ELc85EKS1_S1_EviT_T0_PT8_S3_lS6_S3_lS4_PT9_S3_li
; %bb.0:
	s_clause 0x3
	s_load_b64 s[2:3], s[0:1], 0x0
	s_load_b128 s[8:11], s[0:1], 0x8
	s_load_b128 s[4:7], s[0:1], 0x38
	s_load_b64 s[20:21], s[0:1], 0x48
	v_dual_mov_b32 v15, 0 :: v_dual_and_b32 v6, 0x3ff, v0
	v_bfe_u32 v7, v0, 10, 10
	v_dual_mov_b32 v16, 0 :: v_dual_mov_b32 v11, 0
	v_dual_mov_b32 v10, 0 :: v_dual_mov_b32 v9, 0
	;; [unrolled: 1-line block ×3, first 2 shown]
	v_mov_b32_e32 v0, 0
	s_lshl_b32 s12, s13, 5
	s_lshl_b32 s13, s14, 5
	s_mov_b32 s14, 0
	s_waitcnt lgkmcnt(0)
	s_cmp_lt_i32 s3, 1
	s_cbranch_scc1 .LBB190_3
; %bb.1:
	s_clause 0x2
	s_load_b128 s[16:19], s[0:1], 0x20
	s_load_b32 s22, s[0:1], 0x18
	s_load_b32 s23, s[0:1], 0x30
	v_lshl_add_u32 v2, v7, 4, v6
	v_dual_mov_b32 v1, 0 :: v_dual_and_b32 v0, 7, v6
	s_mul_i32 s5, s5, s15
	v_lshlrev_b32_e32 v12, 3, v6
	s_delay_alu instid0(VALU_DEP_3) | instskip(SKIP_3) | instid1(VALU_DEP_4)
	v_and_b32_e32 v4, 31, v2
	v_lshrrev_b32_e32 v5, 3, v2
	v_dual_mov_b32 v3, v1 :: v_dual_lshlrev_b32 v8, 3, v0
	v_lshrrev_b32_e32 v2, 5, v2
	v_add_nc_u32_e32 v11, s12, v4
	v_lshlrev_b32_e32 v9, 3, v4
	v_dual_mov_b32 v15, v1 :: v_dual_add_nc_u32 v10, s13, v5
	v_lshl_or_b32 v8, v5, 6, v8
	v_lshl_add_u32 v17, v7, 6, 0x800
	s_delay_alu instid0(VALU_DEP_4)
	v_lshl_or_b32 v13, v2, 8, v9
	s_waitcnt lgkmcnt(0)
	s_mul_i32 s17, s17, s15
	v_mad_i64_i32 v[4:5], null, s22, v11, v[2:3]
	s_mul_hi_u32 s24, s16, s15
	v_mad_i64_i32 v[2:3], null, s23, v10, v[0:1]
	s_mul_i32 s16, s16, s15
	s_add_i32 s17, s24, s17
	v_add_nc_u32_e32 v14, 0x800, v8
	s_lshl_b64 s[16:17], s[16:17], 3
	s_delay_alu instid0(VALU_DEP_3)
	v_lshlrev_b64 v[4:5], 3, v[4:5]
	s_add_u32 s10, s10, s16
	s_mul_hi_u32 s16, s4, s15
	s_addc_u32 s11, s11, s17
	s_add_i32 s5, s16, s5
	s_mul_i32 s4, s4, s15
	v_lshlrev_b64 v[2:3], 3, v[2:3]
	s_lshl_b64 s[4:5], s[4:5], 3
	v_add_co_u32 v0, vcc_lo, s10, v4
	s_add_u32 s4, s18, s4
	v_add_co_ci_u32_e32 v4, vcc_lo, s11, v5, vcc_lo
	s_addc_u32 s5, s19, s5
	v_add_co_u32 v5, vcc_lo, s4, v2
	v_add_co_ci_u32_e32 v8, vcc_lo, s5, v3, vcc_lo
	v_add_co_u32 v2, vcc_lo, v0, 4
	v_add_co_ci_u32_e32 v3, vcc_lo, 0, v4, vcc_lo
	s_delay_alu instid0(VALU_DEP_4) | instskip(NEXT) | instid1(VALU_DEP_4)
	v_add_co_u32 v4, vcc_lo, v5, 4
	v_add_co_ci_u32_e32 v5, vcc_lo, 0, v8, vcc_lo
	v_mov_b32_e32 v0, v1
	v_mov_b32_e32 v9, v1
	;; [unrolled: 1-line block ×6, first 2 shown]
.LBB190_2:                              ; =>This Inner Loop Header: Depth=1
	global_load_b64 v[18:19], v[2:3], off offset:-4
	global_load_b64 v[20:21], v[4:5], off offset:-4
	v_add_co_u32 v2, vcc_lo, v2, 64
	v_add_co_ci_u32_e32 v3, vcc_lo, 0, v3, vcc_lo
	v_add_co_u32 v4, vcc_lo, v4, 64
	v_add_co_ci_u32_e32 v5, vcc_lo, 0, v5, vcc_lo
	s_add_i32 s14, s14, 8
	s_waitcnt vmcnt(1)
	ds_store_b64 v13, v[18:19]
	s_waitcnt vmcnt(0)
	ds_store_b64 v14, v[20:21]
	s_waitcnt lgkmcnt(0)
	s_barrier
	buffer_gl0_inv
	ds_load_2addr_b64 v[18:21], v12 offset1:16
	ds_load_b128 v[22:25], v17
	ds_load_b128 v[26:29], v17 offset:1024
	ds_load_b128 v[30:33], v17 offset:16
	ds_load_2addr_b64 v[34:37], v12 offset0:32 offset1:48
	ds_load_b128 v[38:41], v17 offset:32
	ds_load_b128 v[42:45], v17 offset:48
	ds_load_2addr_b64 v[46:49], v12 offset0:64 offset1:80
	ds_load_b128 v[50:53], v17 offset:1040
	ds_load_2addr_b64 v[54:57], v12 offset0:96 offset1:112
	ds_load_2addr_b64 v[58:61], v12 offset0:128 offset1:144
	;; [unrolled: 1-line block ×4, first 2 shown]
	ds_load_b128 v[70:73], v17 offset:1056
	ds_load_b128 v[74:77], v17 offset:1072
	ds_load_2addr_b64 v[78:81], v12 offset0:224 offset1:240
	s_cmp_ge_i32 s14, s3
	s_waitcnt lgkmcnt(0)
	s_barrier
	buffer_gl0_inv
	v_dual_mul_f32 v82, v23, v19 :: v_dual_mul_f32 v85, v22, v21
	v_dual_mul_f32 v83, v22, v19 :: v_dual_mul_f32 v84, v23, v21
	v_mul_f32_e32 v86, v27, v19
	v_dual_mul_f32 v19, v26, v19 :: v_dual_mul_f32 v90, v25, v37
	v_dual_mul_f32 v87, v27, v21 :: v_dual_mul_f32 v88, v25, v35
	v_mul_f32_e32 v21, v26, v21
	v_fma_f32 v82, v22, v18, -v82
	v_fmac_f32_e32 v83, v23, v18
	v_fma_f32 v22, v22, v20, -v84
	v_fmac_f32_e32 v85, v23, v20
	v_fma_f32 v23, v26, v18, -v86
	v_dual_fmac_f32 v19, v27, v18 :: v_dual_mul_f32 v86, v30, v47
	v_fma_f32 v18, v26, v20, -v87
	v_dual_fmac_f32 v21, v27, v20 :: v_dual_mul_f32 v20, v24, v37
	v_mul_f32_e32 v89, v24, v35
	v_mul_f32_e32 v26, v29, v35
	;; [unrolled: 1-line block ×4, first 2 shown]
	v_fmac_f32_e32 v20, v25, v36
	v_fmac_f32_e32 v89, v25, v34
	v_dual_mul_f32 v25, v28, v37 :: v_dual_fmac_f32 v86, v31, v46
	v_fma_f32 v84, v24, v34, -v88
	v_fma_f32 v24, v24, v36, -v90
	v_dual_mul_f32 v37, v31, v47 :: v_dual_mul_f32 v90, v33, v57
	v_fma_f32 v26, v28, v34, -v26
	v_fma_f32 v28, v28, v36, -v35
	v_fmac_f32_e32 v25, v29, v36
	v_dual_mul_f32 v35, v50, v47 :: v_dual_mul_f32 v36, v51, v49
	v_dual_fmac_f32 v27, v29, v34 :: v_dual_mul_f32 v34, v51, v47
	v_dual_mul_f32 v88, v32, v55 :: v_dual_mul_f32 v29, v30, v49
	v_mul_f32_e32 v87, v31, v49
	v_fma_f32 v37, v30, v46, -v37
	v_add_f32_e32 v16, v16, v83
	s_delay_alu instid0(VALU_DEP_4)
	v_dual_fmac_f32 v88, v33, v54 :: v_dual_fmac_f32 v29, v31, v48
	v_fma_f32 v31, v50, v46, -v34
	v_fma_f32 v34, v50, v48, -v36
	v_mul_f32_e32 v36, v32, v57
	v_mul_f32_e32 v47, v50, v49
	v_dual_mul_f32 v50, v53, v57 :: v_dual_fmac_f32 v35, v51, v46
	v_mul_f32_e32 v46, v53, v55
	v_mul_f32_e32 v49, v33, v55
	v_fma_f32 v30, v30, v48, -v87
	v_fmac_f32_e32 v36, v33, v56
	v_dual_fmac_f32 v47, v51, v48 :: v_dual_mul_f32 v48, v52, v55
	v_mul_f32_e32 v33, v52, v57
	v_fma_f32 v46, v52, v54, -v46
	v_fma_f32 v50, v52, v56, -v50
	v_mul_f32_e32 v52, v38, v61
	v_fma_f32 v49, v32, v54, -v49
	v_fma_f32 v32, v32, v56, -v90
	v_dual_mul_f32 v51, v39, v59 :: v_dual_fmac_f32 v48, v53, v54
	v_mul_f32_e32 v54, v70, v59
	v_dual_mul_f32 v55, v38, v59 :: v_dual_fmac_f32 v52, v39, v60
	v_fmac_f32_e32 v33, v53, v56
	v_mul_f32_e32 v53, v71, v59
	v_mul_f32_e32 v56, v71, v61
	;; [unrolled: 1-line block ×3, first 2 shown]
	v_fmac_f32_e32 v54, v71, v58
	v_fmac_f32_e32 v55, v39, v58
	v_fma_f32 v39, v70, v58, -v53
	v_fma_f32 v53, v70, v60, -v56
	v_mul_f32_e32 v56, v40, v65
	v_mul_f32_e32 v59, v70, v61
	v_fma_f32 v51, v38, v58, -v51
	v_mul_f32_e32 v58, v72, v63
	v_mul_f32_e32 v87, v40, v63
	;; [unrolled: 1-line block ×4, first 2 shown]
	v_fma_f32 v38, v38, v60, -v57
	v_mul_f32_e32 v57, v73, v63
	v_fmac_f32_e32 v56, v41, v64
	v_dual_fmac_f32 v59, v71, v60 :: v_dual_mul_f32 v60, v73, v65
	v_mul_f32_e32 v63, v43, v67
	v_mul_f32_e32 v70, v43, v69
	v_fmac_f32_e32 v58, v73, v62
	v_fmac_f32_e32 v87, v41, v62
	v_mul_f32_e32 v41, v72, v65
	v_fma_f32 v61, v40, v62, -v61
	v_fma_f32 v40, v40, v64, -v90
	v_mul_f32_e32 v65, v42, v67
	v_fma_f32 v57, v72, v62, -v57
	v_fma_f32 v60, v72, v64, -v60
	v_dual_fmac_f32 v41, v73, v64 :: v_dual_mul_f32 v62, v42, v69
	v_mul_f32_e32 v64, v75, v67
	v_fma_f32 v63, v42, v66, -v63
	v_fma_f32 v42, v42, v68, -v70
	v_mul_f32_e32 v70, v76, v79
	v_mul_f32_e32 v67, v74, v67
	;; [unrolled: 1-line block ×3, first 2 shown]
	v_dual_mul_f32 v69, v74, v69 :: v_dual_add_f32 v8, v8, v23
	v_dual_mul_f32 v73, v44, v79 :: v_dual_add_f32 v10, v10, v22
	v_dual_fmac_f32 v65, v43, v66 :: v_dual_add_f32 v16, v16, v89
	v_fmac_f32_e32 v62, v43, v68
	v_fma_f32 v43, v74, v66, -v64
	v_fmac_f32_e32 v70, v77, v78
	v_dual_fmac_f32 v67, v75, v66 :: v_dual_add_f32 v10, v10, v24
	v_mul_f32_e32 v66, v44, v81
	v_mul_f32_e32 v72, v45, v79
	v_dual_mul_f32 v90, v45, v81 :: v_dual_fmac_f32 v69, v75, v68
	v_add_f32_e32 v0, v0, v18
	v_fmac_f32_e32 v73, v45, v78
	v_dual_fmac_f32 v66, v45, v80 :: v_dual_mul_f32 v45, v76, v81
	v_add_f32_e32 v10, v10, v30
	v_fma_f32 v64, v74, v68, -v71
	v_dual_mul_f32 v71, v77, v81 :: v_dual_add_f32 v8, v8, v26
	s_delay_alu instid0(VALU_DEP_4) | instskip(SKIP_4) | instid1(VALU_DEP_4)
	v_dual_fmac_f32 v45, v77, v80 :: v_dual_add_f32 v16, v16, v86
	v_add_f32_e32 v15, v15, v82
	v_add_f32_e32 v9, v9, v19
	v_dual_add_f32 v1, v1, v21 :: v_dual_add_f32 v10, v10, v32
	v_dual_add_f32 v0, v0, v28 :: v_dual_add_f32 v11, v11, v85
	;; [unrolled: 1-line block ×3, first 2 shown]
	s_delay_alu instid0(VALU_DEP_4) | instskip(NEXT) | instid1(VALU_DEP_4)
	v_dual_add_f32 v16, v16, v88 :: v_dual_add_f32 v9, v9, v27
	v_dual_add_f32 v10, v10, v38 :: v_dual_add_f32 v1, v1, v25
	s_delay_alu instid0(VALU_DEP_4) | instskip(NEXT) | instid1(VALU_DEP_3)
	v_add_f32_e32 v0, v0, v34
	v_dual_add_f32 v16, v16, v55 :: v_dual_add_f32 v11, v11, v20
	v_dual_add_f32 v8, v8, v46 :: v_dual_add_f32 v15, v15, v37
	s_delay_alu instid0(VALU_DEP_4) | instskip(NEXT) | instid1(VALU_DEP_3)
	v_dual_add_f32 v1, v1, v47 :: v_dual_add_f32 v10, v10, v40
	v_dual_add_f32 v0, v0, v50 :: v_dual_add_f32 v11, v11, v29
	s_delay_alu instid0(VALU_DEP_4) | instskip(SKIP_1) | instid1(VALU_DEP_4)
	v_add_f32_e32 v16, v16, v87
	v_add_f32_e32 v9, v9, v35
	v_dual_add_f32 v1, v1, v33 :: v_dual_add_f32 v10, v10, v42
	s_delay_alu instid0(VALU_DEP_4)
	v_dual_add_f32 v8, v8, v39 :: v_dual_add_f32 v11, v11, v36
	v_add_f32_e32 v0, v0, v53
	v_add_f32_e32 v15, v15, v49
	v_dual_add_f32 v9, v9, v48 :: v_dual_add_f32 v16, v16, v65
	v_mul_f32_e32 v68, v77, v79
	v_fma_f32 v72, v44, v78, -v72
	v_fma_f32 v44, v44, v80, -v90
	s_delay_alu instid0(VALU_DEP_4) | instskip(SKIP_1) | instid1(VALU_DEP_3)
	v_dual_add_f32 v9, v9, v54 :: v_dual_add_f32 v16, v16, v73
	v_dual_add_f32 v1, v1, v59 :: v_dual_add_f32 v8, v8, v57
	v_add_f32_e32 v10, v10, v44
	v_add_f32_e32 v11, v11, v52
	v_dual_add_f32 v0, v0, v60 :: v_dual_add_f32 v15, v15, v51
	v_fma_f32 v68, v76, v78, -v68
	v_fma_f32 v71, v76, v80, -v71
	s_delay_alu instid0(VALU_DEP_3) | instskip(SKIP_2) | instid1(VALU_DEP_3)
	v_dual_add_f32 v9, v9, v58 :: v_dual_add_f32 v0, v0, v64
	v_dual_add_f32 v1, v1, v41 :: v_dual_add_f32 v8, v8, v43
	v_add_f32_e32 v15, v15, v61
	v_dual_add_f32 v11, v11, v56 :: v_dual_add_f32 v0, v0, v71
	s_delay_alu instid0(VALU_DEP_4) | instskip(NEXT) | instid1(VALU_DEP_4)
	v_add_f32_e32 v9, v9, v67
	v_dual_add_f32 v1, v1, v69 :: v_dual_add_f32 v8, v8, v68
	s_delay_alu instid0(VALU_DEP_4) | instskip(NEXT) | instid1(VALU_DEP_4)
	v_add_f32_e32 v15, v15, v63
	v_add_f32_e32 v11, v11, v62
	s_delay_alu instid0(VALU_DEP_4) | instskip(NEXT) | instid1(VALU_DEP_4)
	v_add_f32_e32 v9, v9, v70
	v_add_f32_e32 v1, v1, v45
	;; [unrolled: 3-line block ×3, first 2 shown]
	s_cbranch_scc0 .LBB190_2
.LBB190_3:
	s_clause 0x1
	s_load_b32 s3, s[0:1], 0x50
	s_load_b64 s[0:1], s[0:1], 0x58
	v_add_nc_u32_e32 v7, s13, v7
	v_add_nc_u32_e32 v2, s12, v6
	s_delay_alu instid0(VALU_DEP_2)
	v_cmp_gt_i32_e32 vcc_lo, s2, v7
	s_waitcnt lgkmcnt(0)
	v_mad_i64_i32 v[3:4], null, v7, s3, 0
	s_mul_i32 s1, s15, s1
	s_mul_hi_u32 s4, s15, s0
	s_mul_i32 s0, s15, s0
	s_add_i32 s1, s4, s1
	s_delay_alu instid0(SALU_CYCLE_1) | instskip(NEXT) | instid1(VALU_DEP_1)
	s_lshl_b64 s[4:5], s[0:1], 3
	v_lshlrev_b64 v[3:4], 3, v[3:4]
	s_add_u32 s4, s20, s4
	v_cmp_le_i32_e64 s0, v2, v7
	s_addc_u32 s5, s21, s5
	s_delay_alu instid0(VALU_DEP_2) | instskip(NEXT) | instid1(VALU_DEP_1)
	v_add_co_u32 v6, s1, s4, v3
	v_add_co_ci_u32_e64 v12, s1, s5, v4, s1
	s_delay_alu instid0(VALU_DEP_3) | instskip(NEXT) | instid1(SALU_CYCLE_1)
	s_and_b32 s0, vcc_lo, s0
	s_and_saveexec_b32 s1, s0
	s_cbranch_execz .LBB190_5
; %bb.4:
	v_ashrrev_i32_e32 v3, 31, v2
	s_delay_alu instid0(VALU_DEP_1) | instskip(NEXT) | instid1(VALU_DEP_1)
	v_lshlrev_b64 v[3:4], 3, v[2:3]
	v_add_co_u32 v3, s0, v6, v3
	s_delay_alu instid0(VALU_DEP_1)
	v_add_co_ci_u32_e64 v4, s0, v12, v4, s0
	global_load_b64 v[13:14], v[3:4], off
	v_mul_f32_e32 v5, s9, v16
	s_waitcnt vmcnt(0)
	v_dual_mul_f32 v16, s8, v16 :: v_dual_mul_f32 v17, s7, v14
	v_mul_f32_e32 v14, s6, v14
	s_delay_alu instid0(VALU_DEP_3) | instskip(NEXT) | instid1(VALU_DEP_3)
	v_fma_f32 v5, v15, s8, -v5
	v_fmac_f32_e32 v16, s9, v15
	s_delay_alu instid0(VALU_DEP_4) | instskip(NEXT) | instid1(VALU_DEP_1)
	v_fma_f32 v15, v13, s6, -v17
	v_dual_fmac_f32 v14, s7, v13 :: v_dual_add_f32 v13, v5, v15
	s_delay_alu instid0(VALU_DEP_1)
	v_add_f32_e32 v14, v16, v14
	global_store_b64 v[3:4], v[13:14], off
.LBB190_5:
	s_or_b32 exec_lo, exec_lo, s1
	v_add_nc_u32_e32 v4, 16, v2
	s_delay_alu instid0(VALU_DEP_1) | instskip(NEXT) | instid1(VALU_DEP_1)
	v_cmp_le_i32_e64 s0, v4, v7
	s_and_b32 s1, vcc_lo, s0
	s_delay_alu instid0(SALU_CYCLE_1)
	s_and_saveexec_b32 s0, s1
	s_cbranch_execz .LBB190_7
; %bb.6:
	v_ashrrev_i32_e32 v5, 31, v4
	s_delay_alu instid0(VALU_DEP_1) | instskip(NEXT) | instid1(VALU_DEP_1)
	v_lshlrev_b64 v[13:14], 3, v[4:5]
	v_add_co_u32 v5, vcc_lo, v6, v13
	s_delay_alu instid0(VALU_DEP_2) | instskip(SKIP_4) | instid1(VALU_DEP_2)
	v_add_co_ci_u32_e32 v6, vcc_lo, v12, v14, vcc_lo
	global_load_b64 v[12:13], v[5:6], off
	s_waitcnt vmcnt(0)
	v_dual_mul_f32 v3, s9, v11 :: v_dual_mul_f32 v14, s7, v13
	v_mul_f32_e32 v13, s6, v13
	v_fma_f32 v3, v10, s8, -v3
	v_mul_f32_e32 v11, s8, v11
	s_delay_alu instid0(VALU_DEP_3) | instskip(NEXT) | instid1(VALU_DEP_2)
	v_fmac_f32_e32 v13, s7, v12
	v_fmac_f32_e32 v11, s9, v10
	v_fma_f32 v10, v12, s6, -v14
	s_delay_alu instid0(VALU_DEP_2) | instskip(NEXT) | instid1(VALU_DEP_2)
	v_add_f32_e32 v11, v11, v13
	v_add_f32_e32 v10, v3, v10
	global_store_b64 v[5:6], v[10:11], off
.LBB190_7:
	s_or_b32 exec_lo, exec_lo, s0
	v_add_nc_u32_e32 v5, 16, v7
	s_delay_alu instid0(VALU_DEP_1) | instskip(SKIP_2) | instid1(VALU_DEP_1)
	v_mad_i64_i32 v[6:7], null, v5, s3, 0
	v_cmp_gt_i32_e32 vcc_lo, s2, v5
	v_cmp_le_i32_e64 s0, v2, v5
	s_and_b32 s0, vcc_lo, s0
	s_delay_alu instid0(VALU_DEP_3) | instskip(NEXT) | instid1(VALU_DEP_1)
	v_lshlrev_b64 v[6:7], 3, v[6:7]
	v_add_co_u32 v6, s1, s4, v6
	s_delay_alu instid0(VALU_DEP_1)
	v_add_co_ci_u32_e64 v7, s1, s5, v7, s1
	s_and_saveexec_b32 s1, s0
	s_cbranch_execz .LBB190_9
; %bb.8:
	v_ashrrev_i32_e32 v3, 31, v2
	s_delay_alu instid0(VALU_DEP_1) | instskip(NEXT) | instid1(VALU_DEP_1)
	v_lshlrev_b64 v[2:3], 3, v[2:3]
	v_add_co_u32 v2, s0, v6, v2
	s_delay_alu instid0(VALU_DEP_1) | instskip(SKIP_4) | instid1(VALU_DEP_2)
	v_add_co_ci_u32_e64 v3, s0, v7, v3, s0
	global_load_b64 v[10:11], v[2:3], off
	s_waitcnt vmcnt(0)
	v_dual_mul_f32 v12, s9, v9 :: v_dual_mul_f32 v13, s7, v11
	v_mul_f32_e32 v11, s6, v11
	v_fma_f32 v12, v8, s8, -v12
	v_mul_f32_e32 v9, s8, v9
	s_delay_alu instid0(VALU_DEP_3) | instskip(NEXT) | instid1(VALU_DEP_2)
	v_fmac_f32_e32 v11, s7, v10
	v_fmac_f32_e32 v9, s9, v8
	v_fma_f32 v8, v10, s6, -v13
	s_delay_alu instid0(VALU_DEP_1)
	v_dual_add_f32 v9, v9, v11 :: v_dual_add_f32 v8, v12, v8
	global_store_b64 v[2:3], v[8:9], off
.LBB190_9:
	s_or_b32 exec_lo, exec_lo, s1
	v_cmp_le_i32_e64 s0, v4, v5
	s_delay_alu instid0(VALU_DEP_1) | instskip(NEXT) | instid1(SALU_CYCLE_1)
	s_and_b32 s0, vcc_lo, s0
	s_and_saveexec_b32 s1, s0
	s_cbranch_execz .LBB190_11
; %bb.10:
	v_ashrrev_i32_e32 v5, 31, v4
	s_delay_alu instid0(VALU_DEP_1) | instskip(NEXT) | instid1(VALU_DEP_1)
	v_lshlrev_b64 v[2:3], 3, v[4:5]
	v_add_co_u32 v2, vcc_lo, v6, v2
	s_delay_alu instid0(VALU_DEP_2)
	v_add_co_ci_u32_e32 v3, vcc_lo, v7, v3, vcc_lo
	v_mul_f32_e32 v6, s9, v1
	v_mul_f32_e32 v1, s8, v1
	global_load_b64 v[4:5], v[2:3], off
	v_fmac_f32_e32 v1, s9, v0
	v_fma_f32 v6, v0, s8, -v6
	s_waitcnt vmcnt(0)
	v_mul_f32_e32 v7, s7, v5
	v_mul_f32_e32 v5, s6, v5
	s_delay_alu instid0(VALU_DEP_2) | instskip(NEXT) | instid1(VALU_DEP_2)
	v_fma_f32 v0, v4, s6, -v7
	v_fmac_f32_e32 v5, s7, v4
	s_delay_alu instid0(VALU_DEP_1)
	v_dual_add_f32 v0, v6, v0 :: v_dual_add_f32 v1, v1, v5
	global_store_b64 v[2:3], v[0:1], off
.LBB190_11:
	s_nop 0
	s_sendmsg sendmsg(MSG_DEALLOC_VGPRS)
	s_endpgm
	.section	.rodata,"a",@progbits
	.p2align	6, 0x0
	.amdhsa_kernel _ZL37rocblas_syrkx_herkx_restricted_kernelIi19rocblas_complex_numIfELi16ELi32ELi8ELb0ELb0ELc67ELc85EKS1_S1_EviT_T0_PT8_S3_lS6_S3_lS4_PT9_S3_li
		.amdhsa_group_segment_fixed_size 4096
		.amdhsa_private_segment_fixed_size 0
		.amdhsa_kernarg_size 100
		.amdhsa_user_sgpr_count 13
		.amdhsa_user_sgpr_dispatch_ptr 0
		.amdhsa_user_sgpr_queue_ptr 0
		.amdhsa_user_sgpr_kernarg_segment_ptr 1
		.amdhsa_user_sgpr_dispatch_id 0
		.amdhsa_user_sgpr_private_segment_size 0
		.amdhsa_wavefront_size32 1
		.amdhsa_uses_dynamic_stack 0
		.amdhsa_enable_private_segment 0
		.amdhsa_system_sgpr_workgroup_id_x 1
		.amdhsa_system_sgpr_workgroup_id_y 1
		.amdhsa_system_sgpr_workgroup_id_z 1
		.amdhsa_system_sgpr_workgroup_info 0
		.amdhsa_system_vgpr_workitem_id 1
		.amdhsa_next_free_vgpr 91
		.amdhsa_next_free_sgpr 25
		.amdhsa_reserve_vcc 1
		.amdhsa_float_round_mode_32 0
		.amdhsa_float_round_mode_16_64 0
		.amdhsa_float_denorm_mode_32 3
		.amdhsa_float_denorm_mode_16_64 3
		.amdhsa_dx10_clamp 1
		.amdhsa_ieee_mode 1
		.amdhsa_fp16_overflow 0
		.amdhsa_workgroup_processor_mode 1
		.amdhsa_memory_ordered 1
		.amdhsa_forward_progress 0
		.amdhsa_shared_vgpr_count 0
		.amdhsa_exception_fp_ieee_invalid_op 0
		.amdhsa_exception_fp_denorm_src 0
		.amdhsa_exception_fp_ieee_div_zero 0
		.amdhsa_exception_fp_ieee_overflow 0
		.amdhsa_exception_fp_ieee_underflow 0
		.amdhsa_exception_fp_ieee_inexact 0
		.amdhsa_exception_int_div_zero 0
	.end_amdhsa_kernel
	.section	.text._ZL37rocblas_syrkx_herkx_restricted_kernelIi19rocblas_complex_numIfELi16ELi32ELi8ELb0ELb0ELc67ELc85EKS1_S1_EviT_T0_PT8_S3_lS6_S3_lS4_PT9_S3_li,"axG",@progbits,_ZL37rocblas_syrkx_herkx_restricted_kernelIi19rocblas_complex_numIfELi16ELi32ELi8ELb0ELb0ELc67ELc85EKS1_S1_EviT_T0_PT8_S3_lS6_S3_lS4_PT9_S3_li,comdat
.Lfunc_end190:
	.size	_ZL37rocblas_syrkx_herkx_restricted_kernelIi19rocblas_complex_numIfELi16ELi32ELi8ELb0ELb0ELc67ELc85EKS1_S1_EviT_T0_PT8_S3_lS6_S3_lS4_PT9_S3_li, .Lfunc_end190-_ZL37rocblas_syrkx_herkx_restricted_kernelIi19rocblas_complex_numIfELi16ELi32ELi8ELb0ELb0ELc67ELc85EKS1_S1_EviT_T0_PT8_S3_lS6_S3_lS4_PT9_S3_li
                                        ; -- End function
	.section	.AMDGPU.csdata,"",@progbits
; Kernel info:
; codeLenInByte = 2320
; NumSgprs: 27
; NumVgprs: 91
; ScratchSize: 0
; MemoryBound: 0
; FloatMode: 240
; IeeeMode: 1
; LDSByteSize: 4096 bytes/workgroup (compile time only)
; SGPRBlocks: 3
; VGPRBlocks: 11
; NumSGPRsForWavesPerEU: 27
; NumVGPRsForWavesPerEU: 91
; Occupancy: 16
; WaveLimiterHint : 0
; COMPUTE_PGM_RSRC2:SCRATCH_EN: 0
; COMPUTE_PGM_RSRC2:USER_SGPR: 13
; COMPUTE_PGM_RSRC2:TRAP_HANDLER: 0
; COMPUTE_PGM_RSRC2:TGID_X_EN: 1
; COMPUTE_PGM_RSRC2:TGID_Y_EN: 1
; COMPUTE_PGM_RSRC2:TGID_Z_EN: 1
; COMPUTE_PGM_RSRC2:TIDIG_COMP_CNT: 1
	.section	.text._ZL37rocblas_syrkx_herkx_restricted_kernelIi19rocblas_complex_numIfELi16ELi32ELi8ELb0ELb0ELc78ELc85EKS1_S1_EviT_T0_PT8_S3_lS6_S3_lS4_PT9_S3_li,"axG",@progbits,_ZL37rocblas_syrkx_herkx_restricted_kernelIi19rocblas_complex_numIfELi16ELi32ELi8ELb0ELb0ELc78ELc85EKS1_S1_EviT_T0_PT8_S3_lS6_S3_lS4_PT9_S3_li,comdat
	.globl	_ZL37rocblas_syrkx_herkx_restricted_kernelIi19rocblas_complex_numIfELi16ELi32ELi8ELb0ELb0ELc78ELc85EKS1_S1_EviT_T0_PT8_S3_lS6_S3_lS4_PT9_S3_li ; -- Begin function _ZL37rocblas_syrkx_herkx_restricted_kernelIi19rocblas_complex_numIfELi16ELi32ELi8ELb0ELb0ELc78ELc85EKS1_S1_EviT_T0_PT8_S3_lS6_S3_lS4_PT9_S3_li
	.p2align	8
	.type	_ZL37rocblas_syrkx_herkx_restricted_kernelIi19rocblas_complex_numIfELi16ELi32ELi8ELb0ELb0ELc78ELc85EKS1_S1_EviT_T0_PT8_S3_lS6_S3_lS4_PT9_S3_li,@function
_ZL37rocblas_syrkx_herkx_restricted_kernelIi19rocblas_complex_numIfELi16ELi32ELi8ELb0ELb0ELc78ELc85EKS1_S1_EviT_T0_PT8_S3_lS6_S3_lS4_PT9_S3_li: ; @_ZL37rocblas_syrkx_herkx_restricted_kernelIi19rocblas_complex_numIfELi16ELi32ELi8ELb0ELb0ELc78ELc85EKS1_S1_EviT_T0_PT8_S3_lS6_S3_lS4_PT9_S3_li
; %bb.0:
	s_clause 0x3
	s_load_b64 s[2:3], s[0:1], 0x0
	s_load_b128 s[8:11], s[0:1], 0x8
	s_load_b128 s[4:7], s[0:1], 0x38
	s_load_b64 s[20:21], s[0:1], 0x48
	v_dual_mov_b32 v17, 0 :: v_dual_and_b32 v6, 0x3ff, v0
	v_bfe_u32 v7, v0, 10, 10
	v_dual_mov_b32 v16, 0 :: v_dual_mov_b32 v11, 0
	v_dual_mov_b32 v10, 0 :: v_dual_mov_b32 v9, 0
	;; [unrolled: 1-line block ×3, first 2 shown]
	v_mov_b32_e32 v4, 0
	s_lshl_b32 s12, s13, 5
	s_lshl_b32 s13, s14, 5
	s_mov_b32 s14, 0
	s_waitcnt lgkmcnt(0)
	s_cmp_lt_i32 s3, 1
	s_cbranch_scc1 .LBB191_3
; %bb.1:
	s_clause 0x1
	s_load_b32 s22, s[0:1], 0x30
	s_load_b32 s24, s[0:1], 0x18
	v_lshl_add_u32 v0, v7, 4, v6
	v_and_b32_e32 v8, 7, v6
	s_load_b128 s[16:19], s[0:1], 0x20
	s_mul_i32 s5, s5, s15
	v_lshlrev_b32_e32 v14, 3, v6
	v_lshrrev_b32_e32 v1, 3, v0
	v_and_b32_e32 v2, 31, v0
	v_lshlrev_b32_e32 v3, 3, v8
	v_lshrrev_b32_e32 v9, 5, v0
	s_delay_alu instid0(VALU_DEP_4) | instskip(NEXT) | instid1(VALU_DEP_4)
	v_dual_mov_b32 v11, 0 :: v_dual_add_nc_u32 v0, s13, v1
	v_dual_mov_b32 v17, 0 :: v_dual_lshlrev_b32 v4, 3, v2
	s_delay_alu instid0(VALU_DEP_4) | instskip(SKIP_1) | instid1(VALU_DEP_4)
	v_lshl_or_b32 v3, v1, 6, v3
	v_add_nc_u32_e32 v2, s12, v2
	v_ashrrev_i32_e32 v1, 31, v0
	s_delay_alu instid0(VALU_DEP_4)
	v_lshl_or_b32 v12, v9, 8, v4
	v_lshl_add_u32 v15, v7, 6, 0x800
	v_add_nc_u32_e32 v13, 0x800, v3
	v_ashrrev_i32_e32 v3, 31, v2
	s_waitcnt lgkmcnt(0)
	v_mad_i64_i32 v[4:5], null, s22, v8, v[0:1]
	v_mov_b32_e32 v8, 0
	s_mul_i32 s17, s17, s15
	v_mad_i64_i32 v[0:1], null, s24, v9, v[2:3]
	s_mul_hi_u32 s26, s16, s15
	s_mul_i32 s16, s16, s15
	s_add_i32 s17, s26, s17
	s_ashr_i32 s25, s24, 31
	s_lshl_b64 s[16:17], s[16:17], 3
	s_ashr_i32 s23, s22, 31
	s_delay_alu instid0(VALU_DEP_1)
	v_lshlrev_b64 v[0:1], 3, v[0:1]
	s_add_u32 s10, s10, s16
	s_addc_u32 s11, s11, s17
	s_mul_hi_u32 s16, s4, s15
	s_mul_i32 s4, s4, s15
	s_add_i32 s5, s16, s5
	v_add_co_u32 v2, vcc_lo, s10, v0
	v_add_co_ci_u32_e32 v3, vcc_lo, s11, v1, vcc_lo
	v_lshlrev_b64 v[0:1], 3, v[4:5]
	s_lshl_b64 s[10:11], s[4:5], 3
	s_lshl_b64 s[4:5], s[24:25], 6
	s_add_u32 s10, s18, s10
	s_addc_u32 s11, s19, s11
	v_mov_b32_e32 v9, 0
	v_add_co_u32 v4, vcc_lo, s10, v0
	v_add_co_ci_u32_e32 v5, vcc_lo, s11, v1, vcc_lo
	v_add_co_u32 v0, vcc_lo, v2, 4
	v_add_co_ci_u32_e32 v1, vcc_lo, 0, v3, vcc_lo
	s_delay_alu instid0(VALU_DEP_4) | instskip(NEXT) | instid1(VALU_DEP_4)
	v_add_co_u32 v2, vcc_lo, v4, 4
	v_add_co_ci_u32_e32 v3, vcc_lo, 0, v5, vcc_lo
	v_dual_mov_b32 v5, 0 :: v_dual_mov_b32 v4, 0
	v_mov_b32_e32 v10, 0
	v_mov_b32_e32 v16, 0
	s_lshl_b64 s[10:11], s[22:23], 6
.LBB191_2:                              ; =>This Inner Loop Header: Depth=1
	global_load_b64 v[18:19], v[0:1], off offset:-4
	global_load_b64 v[20:21], v[2:3], off offset:-4
	v_add_co_u32 v0, vcc_lo, v0, s4
	v_add_co_ci_u32_e32 v1, vcc_lo, s5, v1, vcc_lo
	v_add_co_u32 v2, vcc_lo, v2, s10
	v_add_co_ci_u32_e32 v3, vcc_lo, s11, v3, vcc_lo
	s_add_i32 s14, s14, 8
	s_waitcnt vmcnt(1)
	ds_store_b64 v12, v[18:19]
	s_waitcnt vmcnt(0)
	ds_store_b64 v13, v[20:21]
	s_waitcnt lgkmcnt(0)
	s_barrier
	buffer_gl0_inv
	ds_load_2addr_b64 v[18:21], v14 offset1:16
	ds_load_b128 v[22:25], v15
	ds_load_b128 v[26:29], v15 offset:1024
	ds_load_b128 v[30:33], v15 offset:16
	ds_load_2addr_b64 v[34:37], v14 offset0:32 offset1:48
	ds_load_b128 v[38:41], v15 offset:32
	ds_load_b128 v[42:45], v15 offset:48
	ds_load_2addr_b64 v[46:49], v14 offset0:64 offset1:80
	ds_load_b128 v[50:53], v15 offset:1040
	ds_load_2addr_b64 v[54:57], v14 offset0:96 offset1:112
	ds_load_2addr_b64 v[58:61], v14 offset0:128 offset1:144
	;; [unrolled: 1-line block ×4, first 2 shown]
	ds_load_b128 v[70:73], v15 offset:1056
	ds_load_b128 v[74:77], v15 offset:1072
	ds_load_2addr_b64 v[78:81], v14 offset0:224 offset1:240
	s_cmp_ge_i32 s14, s3
	s_waitcnt lgkmcnt(0)
	s_barrier
	buffer_gl0_inv
	v_dual_mul_f32 v82, v23, v19 :: v_dual_mul_f32 v85, v22, v21
	v_dual_mul_f32 v83, v22, v19 :: v_dual_mul_f32 v84, v23, v21
	v_mul_f32_e32 v86, v27, v19
	v_dual_mul_f32 v19, v26, v19 :: v_dual_mul_f32 v90, v25, v37
	v_dual_mul_f32 v87, v27, v21 :: v_dual_mul_f32 v88, v25, v35
	v_mul_f32_e32 v21, v26, v21
	v_mul_f32_e32 v89, v24, v35
	;; [unrolled: 1-line block ×3, first 2 shown]
	v_fma_f32 v82, v22, v18, -v82
	v_fmac_f32_e32 v83, v23, v18
	v_fma_f32 v22, v22, v20, -v84
	v_dual_fmac_f32 v85, v23, v20 :: v_dual_mul_f32 v84, v30, v47
	v_fma_f32 v23, v26, v18, -v86
	v_fmac_f32_e32 v19, v27, v18
	v_fma_f32 v18, v26, v20, -v87
	v_dual_mul_f32 v26, v28, v35 :: v_dual_fmac_f32 v21, v27, v20
	v_mul_f32_e32 v20, v29, v35
	v_mul_f32_e32 v27, v29, v37
	v_dual_mul_f32 v35, v28, v37 :: v_dual_fmac_f32 v84, v31, v46
	v_fma_f32 v37, v24, v34, -v88
	v_fma_f32 v24, v24, v36, -v90
	v_dual_fmac_f32 v91, v25, v36 :: v_dual_mul_f32 v90, v32, v57
	v_dual_mul_f32 v86, v31, v49 :: v_dual_fmac_f32 v89, v25, v34
	v_dual_mul_f32 v25, v31, v47 :: v_dual_mul_f32 v88, v33, v57
	v_fma_f32 v20, v28, v34, -v20
	v_fmac_f32_e32 v26, v29, v34
	v_fma_f32 v27, v28, v36, -v27
	v_dual_fmac_f32 v35, v29, v36 :: v_dual_mul_f32 v28, v51, v47
	v_dual_mul_f32 v29, v50, v47 :: v_dual_mul_f32 v34, v51, v49
	v_mul_f32_e32 v36, v50, v49
	v_mul_f32_e32 v87, v30, v49
	;; [unrolled: 1-line block ×3, first 2 shown]
	v_dual_mul_f32 v49, v32, v55 :: v_dual_fmac_f32 v90, v33, v56
	v_fma_f32 v25, v30, v46, -v25
	v_fma_f32 v30, v30, v48, -v86
	;; [unrolled: 1-line block ×3, first 2 shown]
	v_fmac_f32_e32 v36, v51, v48
	v_fmac_f32_e32 v87, v31, v48
	v_fma_f32 v31, v50, v48, -v34
	v_mul_f32_e32 v34, v53, v55
	v_mul_f32_e32 v48, v53, v57
	v_dual_mul_f32 v50, v52, v57 :: v_dual_fmac_f32 v29, v51, v46
	v_mul_f32_e32 v46, v52, v55
	v_fma_f32 v47, v32, v54, -v47
	v_fmac_f32_e32 v49, v33, v54
	v_fma_f32 v32, v32, v56, -v88
	s_delay_alu instid0(VALU_DEP_4)
	v_dual_mul_f32 v33, v39, v59 :: v_dual_fmac_f32 v46, v53, v54
	v_mul_f32_e32 v51, v38, v59
	v_mul_f32_e32 v55, v39, v61
	v_fma_f32 v34, v52, v54, -v34
	v_fma_f32 v48, v52, v56, -v48
	v_fmac_f32_e32 v50, v53, v56
	v_mul_f32_e32 v52, v71, v59
	v_dual_mul_f32 v53, v70, v59 :: v_dual_mul_f32 v86, v41, v65
	v_mul_f32_e32 v54, v71, v61
	v_dual_mul_f32 v56, v70, v61 :: v_dual_mul_f32 v59, v41, v63
	v_mul_f32_e32 v57, v38, v61
	v_mul_f32_e32 v61, v40, v63
	v_dual_mul_f32 v88, v40, v65 :: v_dual_fmac_f32 v51, v39, v58
	v_fma_f32 v33, v38, v58, -v33
	v_fmac_f32_e32 v53, v71, v58
	v_fmac_f32_e32 v56, v71, v60
	s_delay_alu instid0(VALU_DEP_4)
	v_fmac_f32_e32 v88, v41, v64
	v_fmac_f32_e32 v57, v39, v60
	v_fma_f32 v39, v70, v58, -v52
	v_fma_f32 v52, v70, v60, -v54
	v_mul_f32_e32 v54, v73, v63
	v_fma_f32 v38, v38, v60, -v55
	v_mul_f32_e32 v60, v72, v65
	v_dual_mul_f32 v55, v72, v63 :: v_dual_mul_f32 v70, v42, v69
	v_mul_f32_e32 v58, v73, v65
	v_fma_f32 v59, v40, v62, -v59
	v_fmac_f32_e32 v61, v41, v62
	v_fma_f32 v40, v40, v64, -v86
	v_dual_mul_f32 v41, v43, v67 :: v_dual_fmac_f32 v60, v73, v64
	v_dual_mul_f32 v63, v42, v67 :: v_dual_mul_f32 v86, v44, v81
	v_mul_f32_e32 v65, v43, v69
	v_fma_f32 v54, v72, v62, -v54
	v_fmac_f32_e32 v55, v73, v62
	v_fma_f32 v58, v72, v64, -v58
	v_mul_f32_e32 v72, v44, v79
	v_mul_f32_e32 v62, v75, v67
	v_dual_mul_f32 v64, v74, v67 :: v_dual_mul_f32 v67, v75, v69
	v_dual_mul_f32 v69, v74, v69 :: v_dual_fmac_f32 v70, v43, v68
	s_delay_alu instid0(VALU_DEP_2)
	v_dual_mul_f32 v71, v45, v79 :: v_dual_fmac_f32 v64, v75, v66
	v_dual_mul_f32 v73, v45, v81 :: v_dual_add_f32 v16, v16, v82
	v_fma_f32 v41, v42, v66, -v41
	v_fmac_f32_e32 v63, v43, v66
	v_fma_f32 v42, v42, v68, -v65
	v_fma_f32 v43, v74, v66, -v62
	v_dual_mul_f32 v65, v77, v79 :: v_dual_add_f32 v10, v10, v22
	v_mul_f32_e32 v66, v76, v79
	v_fma_f32 v62, v74, v68, -v67
	v_dual_mul_f32 v67, v77, v81 :: v_dual_add_f32 v8, v8, v23
	v_dual_fmac_f32 v86, v45, v80 :: v_dual_add_f32 v11, v11, v85
	v_dual_add_f32 v17, v17, v83 :: v_dual_add_f32 v4, v4, v18
	v_dual_add_f32 v9, v9, v19 :: v_dual_add_f32 v16, v16, v37
	;; [unrolled: 1-line block ×3, first 2 shown]
	v_dual_fmac_f32 v69, v75, v68 :: v_dual_fmac_f32 v72, v45, v78
	v_mul_f32_e32 v68, v76, v81
	v_dual_fmac_f32 v66, v77, v78 :: v_dual_add_f32 v11, v11, v91
	v_dual_add_f32 v17, v17, v89 :: v_dual_add_f32 v8, v8, v20
	v_dual_add_f32 v9, v9, v26 :: v_dual_add_f32 v4, v4, v27
	;; [unrolled: 1-line block ×3, first 2 shown]
	s_delay_alu instid0(VALU_DEP_4) | instskip(NEXT) | instid1(VALU_DEP_4)
	v_dual_fmac_f32 v68, v77, v80 :: v_dual_add_f32 v11, v11, v87
	v_dual_add_f32 v17, v17, v84 :: v_dual_add_f32 v10, v10, v30
	s_delay_alu instid0(VALU_DEP_4) | instskip(NEXT) | instid1(VALU_DEP_4)
	v_dual_add_f32 v8, v8, v28 :: v_dual_add_f32 v9, v9, v29
	v_dual_add_f32 v4, v4, v31 :: v_dual_add_f32 v5, v5, v36
	s_delay_alu instid0(VALU_DEP_3) | instskip(NEXT) | instid1(VALU_DEP_4)
	v_dual_add_f32 v16, v16, v47 :: v_dual_add_f32 v17, v17, v49
	v_dual_add_f32 v10, v10, v32 :: v_dual_add_f32 v11, v11, v90
	s_delay_alu instid0(VALU_DEP_4) | instskip(NEXT) | instid1(VALU_DEP_4)
	v_add_f32_e32 v8, v8, v34
	v_dual_add_f32 v9, v9, v46 :: v_dual_add_f32 v4, v4, v48
	s_delay_alu instid0(VALU_DEP_4) | instskip(NEXT) | instid1(VALU_DEP_4)
	v_dual_add_f32 v5, v5, v50 :: v_dual_add_f32 v16, v16, v33
	v_dual_add_f32 v17, v17, v51 :: v_dual_add_f32 v10, v10, v38
	s_delay_alu instid0(VALU_DEP_4) | instskip(NEXT) | instid1(VALU_DEP_4)
	v_dual_add_f32 v11, v11, v57 :: v_dual_add_f32 v8, v8, v39
	v_dual_add_f32 v9, v9, v53 :: v_dual_add_f32 v4, v4, v52
	s_delay_alu instid0(VALU_DEP_3) | instskip(SKIP_1) | instid1(VALU_DEP_3)
	v_add_f32_e32 v17, v17, v61
	v_dual_add_f32 v5, v5, v56 :: v_dual_add_f32 v16, v16, v59
	v_dual_add_f32 v10, v10, v40 :: v_dual_add_f32 v9, v9, v55
	;; [unrolled: 1-line block ×3, first 2 shown]
	s_delay_alu instid0(VALU_DEP_3)
	v_dual_add_f32 v4, v4, v58 :: v_dual_add_f32 v5, v5, v60
	v_fma_f32 v71, v44, v78, -v71
	v_fma_f32 v44, v44, v80, -v73
	;; [unrolled: 1-line block ×4, first 2 shown]
	v_dual_add_f32 v16, v16, v41 :: v_dual_add_f32 v17, v17, v63
	v_dual_add_f32 v10, v10, v42 :: v_dual_add_f32 v9, v9, v64
	;; [unrolled: 1-line block ×4, first 2 shown]
	s_delay_alu instid0(VALU_DEP_4) | instskip(NEXT) | instid1(VALU_DEP_3)
	v_dual_add_f32 v16, v16, v71 :: v_dual_add_f32 v17, v17, v72
	v_dual_add_f32 v10, v10, v44 :: v_dual_add_f32 v11, v11, v86
	s_delay_alu instid0(VALU_DEP_4) | instskip(NEXT) | instid1(VALU_DEP_4)
	v_dual_add_f32 v8, v8, v45 :: v_dual_add_f32 v9, v9, v66
	v_dual_add_f32 v4, v4, v65 :: v_dual_add_f32 v5, v5, v68
	s_cbranch_scc0 .LBB191_2
.LBB191_3:
	s_clause 0x1
	s_load_b32 s3, s[0:1], 0x50
	s_load_b64 s[0:1], s[0:1], 0x58
	v_add_nc_u32_e32 v7, s13, v7
	v_add_nc_u32_e32 v0, s12, v6
	s_delay_alu instid0(VALU_DEP_2)
	v_cmp_gt_i32_e32 vcc_lo, s2, v7
	s_waitcnt lgkmcnt(0)
	v_mad_i64_i32 v[1:2], null, v7, s3, 0
	s_mul_i32 s1, s15, s1
	s_mul_hi_u32 s4, s15, s0
	s_mul_i32 s0, s15, s0
	s_add_i32 s1, s4, s1
	s_delay_alu instid0(SALU_CYCLE_1) | instskip(NEXT) | instid1(VALU_DEP_1)
	s_lshl_b64 s[4:5], s[0:1], 3
	v_lshlrev_b64 v[1:2], 3, v[1:2]
	s_add_u32 s4, s20, s4
	v_cmp_le_i32_e64 s0, v0, v7
	s_addc_u32 s5, s21, s5
	s_delay_alu instid0(VALU_DEP_2) | instskip(NEXT) | instid1(VALU_DEP_1)
	v_add_co_u32 v6, s1, s4, v1
	v_add_co_ci_u32_e64 v12, s1, s5, v2, s1
	s_delay_alu instid0(VALU_DEP_3) | instskip(NEXT) | instid1(SALU_CYCLE_1)
	s_and_b32 s0, vcc_lo, s0
	s_and_saveexec_b32 s1, s0
	s_cbranch_execz .LBB191_5
; %bb.4:
	v_ashrrev_i32_e32 v1, 31, v0
	v_mul_f32_e32 v15, s8, v17
	s_delay_alu instid0(VALU_DEP_2) | instskip(NEXT) | instid1(VALU_DEP_2)
	v_lshlrev_b64 v[1:2], 3, v[0:1]
	v_fmac_f32_e32 v15, s9, v16
	s_delay_alu instid0(VALU_DEP_2) | instskip(NEXT) | instid1(VALU_DEP_1)
	v_add_co_u32 v1, s0, v6, v1
	v_add_co_ci_u32_e64 v2, s0, v12, v2, s0
	global_load_b64 v[13:14], v[1:2], off
	v_mul_f32_e32 v3, s9, v17
	s_waitcnt vmcnt(0)
	v_mul_f32_e32 v17, s7, v14
	v_mul_f32_e32 v14, s6, v14
	s_delay_alu instid0(VALU_DEP_3) | instskip(NEXT) | instid1(VALU_DEP_2)
	v_fma_f32 v3, v16, s8, -v3
	v_fmac_f32_e32 v14, s7, v13
	s_delay_alu instid0(VALU_DEP_4) | instskip(NEXT) | instid1(VALU_DEP_2)
	v_fma_f32 v16, v13, s6, -v17
	v_add_f32_e32 v14, v15, v14
	s_delay_alu instid0(VALU_DEP_2)
	v_add_f32_e32 v13, v3, v16
	global_store_b64 v[1:2], v[13:14], off
.LBB191_5:
	s_or_b32 exec_lo, exec_lo, s1
	v_add_nc_u32_e32 v2, 16, v0
	s_delay_alu instid0(VALU_DEP_1) | instskip(NEXT) | instid1(VALU_DEP_1)
	v_cmp_le_i32_e64 s0, v2, v7
	s_and_b32 s1, vcc_lo, s0
	s_delay_alu instid0(SALU_CYCLE_1)
	s_and_saveexec_b32 s0, s1
	s_cbranch_execz .LBB191_7
; %bb.6:
	v_ashrrev_i32_e32 v3, 31, v2
	s_delay_alu instid0(VALU_DEP_1) | instskip(NEXT) | instid1(VALU_DEP_1)
	v_lshlrev_b64 v[13:14], 3, v[2:3]
	v_add_co_u32 v13, vcc_lo, v6, v13
	s_delay_alu instid0(VALU_DEP_2) | instskip(SKIP_3) | instid1(VALU_DEP_1)
	v_add_co_ci_u32_e32 v14, vcc_lo, v12, v14, vcc_lo
	global_load_b64 v[15:16], v[13:14], off
	s_waitcnt vmcnt(0)
	v_dual_mul_f32 v1, s9, v11 :: v_dual_mul_f32 v6, s7, v16
	v_fma_f32 v1, v10, s8, -v1
	s_delay_alu instid0(VALU_DEP_2) | instskip(SKIP_2) | instid1(VALU_DEP_2)
	v_fma_f32 v6, v15, s6, -v6
	v_mul_f32_e32 v3, s8, v11
	v_mul_f32_e32 v11, s6, v16
	v_fmac_f32_e32 v3, s9, v10
	s_delay_alu instid0(VALU_DEP_2) | instskip(NEXT) | instid1(VALU_DEP_1)
	v_dual_add_f32 v10, v1, v6 :: v_dual_fmac_f32 v11, s7, v15
	v_add_f32_e32 v11, v3, v11
	global_store_b64 v[13:14], v[10:11], off
.LBB191_7:
	s_or_b32 exec_lo, exec_lo, s0
	v_add_nc_u32_e32 v3, 16, v7
	s_delay_alu instid0(VALU_DEP_1) | instskip(SKIP_2) | instid1(VALU_DEP_1)
	v_mad_i64_i32 v[6:7], null, v3, s3, 0
	v_cmp_gt_i32_e32 vcc_lo, s2, v3
	v_cmp_le_i32_e64 s0, v0, v3
	s_and_b32 s0, vcc_lo, s0
	s_delay_alu instid0(VALU_DEP_3) | instskip(NEXT) | instid1(VALU_DEP_1)
	v_lshlrev_b64 v[6:7], 3, v[6:7]
	v_add_co_u32 v6, s1, s4, v6
	s_delay_alu instid0(VALU_DEP_1)
	v_add_co_ci_u32_e64 v7, s1, s5, v7, s1
	s_and_saveexec_b32 s1, s0
	s_cbranch_execz .LBB191_9
; %bb.8:
	v_ashrrev_i32_e32 v1, 31, v0
	s_delay_alu instid0(VALU_DEP_1) | instskip(NEXT) | instid1(VALU_DEP_1)
	v_lshlrev_b64 v[0:1], 3, v[0:1]
	v_add_co_u32 v0, s0, v6, v0
	s_delay_alu instid0(VALU_DEP_1) | instskip(SKIP_4) | instid1(VALU_DEP_2)
	v_add_co_ci_u32_e64 v1, s0, v7, v1, s0
	global_load_b64 v[10:11], v[0:1], off
	s_waitcnt vmcnt(0)
	v_dual_mul_f32 v12, s9, v9 :: v_dual_mul_f32 v13, s7, v11
	v_mul_f32_e32 v11, s6, v11
	v_fma_f32 v12, v8, s8, -v12
	v_mul_f32_e32 v9, s8, v9
	s_delay_alu instid0(VALU_DEP_3) | instskip(NEXT) | instid1(VALU_DEP_2)
	v_fmac_f32_e32 v11, s7, v10
	v_fmac_f32_e32 v9, s9, v8
	v_fma_f32 v8, v10, s6, -v13
	s_delay_alu instid0(VALU_DEP_1)
	v_dual_add_f32 v9, v9, v11 :: v_dual_add_f32 v8, v12, v8
	global_store_b64 v[0:1], v[8:9], off
.LBB191_9:
	s_or_b32 exec_lo, exec_lo, s1
	v_cmp_le_i32_e64 s0, v2, v3
	s_delay_alu instid0(VALU_DEP_1) | instskip(NEXT) | instid1(SALU_CYCLE_1)
	s_and_b32 s0, vcc_lo, s0
	s_and_saveexec_b32 s1, s0
	s_cbranch_execz .LBB191_11
; %bb.10:
	v_ashrrev_i32_e32 v3, 31, v2
	s_delay_alu instid0(VALU_DEP_1) | instskip(NEXT) | instid1(VALU_DEP_1)
	v_lshlrev_b64 v[0:1], 3, v[2:3]
	v_add_co_u32 v0, vcc_lo, v6, v0
	s_delay_alu instid0(VALU_DEP_2) | instskip(SKIP_4) | instid1(VALU_DEP_2)
	v_add_co_ci_u32_e32 v1, vcc_lo, v7, v1, vcc_lo
	global_load_b64 v[2:3], v[0:1], off
	s_waitcnt vmcnt(0)
	v_dual_mul_f32 v6, s9, v5 :: v_dual_mul_f32 v7, s7, v3
	v_mul_f32_e32 v3, s6, v3
	v_fma_f32 v6, v4, s8, -v6
	v_mul_f32_e32 v5, s8, v5
	s_delay_alu instid0(VALU_DEP_3) | instskip(NEXT) | instid1(VALU_DEP_2)
	v_fmac_f32_e32 v3, s7, v2
	v_fmac_f32_e32 v5, s9, v4
	v_fma_f32 v4, v2, s6, -v7
	s_delay_alu instid0(VALU_DEP_1)
	v_dual_add_f32 v3, v5, v3 :: v_dual_add_f32 v2, v6, v4
	global_store_b64 v[0:1], v[2:3], off
.LBB191_11:
	s_nop 0
	s_sendmsg sendmsg(MSG_DEALLOC_VGPRS)
	s_endpgm
	.section	.rodata,"a",@progbits
	.p2align	6, 0x0
	.amdhsa_kernel _ZL37rocblas_syrkx_herkx_restricted_kernelIi19rocblas_complex_numIfELi16ELi32ELi8ELb0ELb0ELc78ELc85EKS1_S1_EviT_T0_PT8_S3_lS6_S3_lS4_PT9_S3_li
		.amdhsa_group_segment_fixed_size 4096
		.amdhsa_private_segment_fixed_size 0
		.amdhsa_kernarg_size 100
		.amdhsa_user_sgpr_count 13
		.amdhsa_user_sgpr_dispatch_ptr 0
		.amdhsa_user_sgpr_queue_ptr 0
		.amdhsa_user_sgpr_kernarg_segment_ptr 1
		.amdhsa_user_sgpr_dispatch_id 0
		.amdhsa_user_sgpr_private_segment_size 0
		.amdhsa_wavefront_size32 1
		.amdhsa_uses_dynamic_stack 0
		.amdhsa_enable_private_segment 0
		.amdhsa_system_sgpr_workgroup_id_x 1
		.amdhsa_system_sgpr_workgroup_id_y 1
		.amdhsa_system_sgpr_workgroup_id_z 1
		.amdhsa_system_sgpr_workgroup_info 0
		.amdhsa_system_vgpr_workitem_id 1
		.amdhsa_next_free_vgpr 92
		.amdhsa_next_free_sgpr 27
		.amdhsa_reserve_vcc 1
		.amdhsa_float_round_mode_32 0
		.amdhsa_float_round_mode_16_64 0
		.amdhsa_float_denorm_mode_32 3
		.amdhsa_float_denorm_mode_16_64 3
		.amdhsa_dx10_clamp 1
		.amdhsa_ieee_mode 1
		.amdhsa_fp16_overflow 0
		.amdhsa_workgroup_processor_mode 1
		.amdhsa_memory_ordered 1
		.amdhsa_forward_progress 0
		.amdhsa_shared_vgpr_count 0
		.amdhsa_exception_fp_ieee_invalid_op 0
		.amdhsa_exception_fp_denorm_src 0
		.amdhsa_exception_fp_ieee_div_zero 0
		.amdhsa_exception_fp_ieee_overflow 0
		.amdhsa_exception_fp_ieee_underflow 0
		.amdhsa_exception_fp_ieee_inexact 0
		.amdhsa_exception_int_div_zero 0
	.end_amdhsa_kernel
	.section	.text._ZL37rocblas_syrkx_herkx_restricted_kernelIi19rocblas_complex_numIfELi16ELi32ELi8ELb0ELb0ELc78ELc85EKS1_S1_EviT_T0_PT8_S3_lS6_S3_lS4_PT9_S3_li,"axG",@progbits,_ZL37rocblas_syrkx_herkx_restricted_kernelIi19rocblas_complex_numIfELi16ELi32ELi8ELb0ELb0ELc78ELc85EKS1_S1_EviT_T0_PT8_S3_lS6_S3_lS4_PT9_S3_li,comdat
.Lfunc_end191:
	.size	_ZL37rocblas_syrkx_herkx_restricted_kernelIi19rocblas_complex_numIfELi16ELi32ELi8ELb0ELb0ELc78ELc85EKS1_S1_EviT_T0_PT8_S3_lS6_S3_lS4_PT9_S3_li, .Lfunc_end191-_ZL37rocblas_syrkx_herkx_restricted_kernelIi19rocblas_complex_numIfELi16ELi32ELi8ELb0ELb0ELc78ELc85EKS1_S1_EviT_T0_PT8_S3_lS6_S3_lS4_PT9_S3_li
                                        ; -- End function
	.section	.AMDGPU.csdata,"",@progbits
; Kernel info:
; codeLenInByte = 2344
; NumSgprs: 29
; NumVgprs: 92
; ScratchSize: 0
; MemoryBound: 0
; FloatMode: 240
; IeeeMode: 1
; LDSByteSize: 4096 bytes/workgroup (compile time only)
; SGPRBlocks: 3
; VGPRBlocks: 11
; NumSGPRsForWavesPerEU: 29
; NumVGPRsForWavesPerEU: 92
; Occupancy: 16
; WaveLimiterHint : 0
; COMPUTE_PGM_RSRC2:SCRATCH_EN: 0
; COMPUTE_PGM_RSRC2:USER_SGPR: 13
; COMPUTE_PGM_RSRC2:TRAP_HANDLER: 0
; COMPUTE_PGM_RSRC2:TGID_X_EN: 1
; COMPUTE_PGM_RSRC2:TGID_Y_EN: 1
; COMPUTE_PGM_RSRC2:TGID_Z_EN: 1
; COMPUTE_PGM_RSRC2:TIDIG_COMP_CNT: 1
	.section	.text._ZL41rocblas_syrkx_herkx_small_restrict_kernelIi19rocblas_complex_numIfELi16ELb1ELb0ELc84ELc76EKS1_S1_EviT_T0_PT6_S3_lS6_S3_lS4_PT7_S3_li,"axG",@progbits,_ZL41rocblas_syrkx_herkx_small_restrict_kernelIi19rocblas_complex_numIfELi16ELb1ELb0ELc84ELc76EKS1_S1_EviT_T0_PT6_S3_lS6_S3_lS4_PT7_S3_li,comdat
	.globl	_ZL41rocblas_syrkx_herkx_small_restrict_kernelIi19rocblas_complex_numIfELi16ELb1ELb0ELc84ELc76EKS1_S1_EviT_T0_PT6_S3_lS6_S3_lS4_PT7_S3_li ; -- Begin function _ZL41rocblas_syrkx_herkx_small_restrict_kernelIi19rocblas_complex_numIfELi16ELb1ELb0ELc84ELc76EKS1_S1_EviT_T0_PT6_S3_lS6_S3_lS4_PT7_S3_li
	.p2align	8
	.type	_ZL41rocblas_syrkx_herkx_small_restrict_kernelIi19rocblas_complex_numIfELi16ELb1ELb0ELc84ELc76EKS1_S1_EviT_T0_PT6_S3_lS6_S3_lS4_PT7_S3_li,@function
_ZL41rocblas_syrkx_herkx_small_restrict_kernelIi19rocblas_complex_numIfELi16ELb1ELb0ELc84ELc76EKS1_S1_EviT_T0_PT6_S3_lS6_S3_lS4_PT7_S3_li: ; @_ZL41rocblas_syrkx_herkx_small_restrict_kernelIi19rocblas_complex_numIfELi16ELb1ELb0ELc84ELc76EKS1_S1_EviT_T0_PT6_S3_lS6_S3_lS4_PT7_S3_li
; %bb.0:
	s_clause 0x1
	s_load_b32 s2, s[0:1], 0x4
	s_load_b128 s[4:7], s[0:1], 0x8
	v_dual_mov_b32 v11, 0 :: v_dual_and_b32 v2, 0x3ff, v0
	v_bfe_u32 v1, v0, 10, 10
	v_mov_b32_e32 v10, 0
	s_mov_b32 s3, 0
	s_delay_alu instid0(VALU_DEP_3) | instskip(NEXT) | instid1(VALU_DEP_3)
	v_lshl_add_u32 v0, s13, 4, v2
	v_lshl_add_u32 v5, s14, 4, v1
	s_waitcnt lgkmcnt(0)
	s_cmp_lt_i32 s2, 1
	s_cbranch_scc1 .LBB192_3
; %bb.1:
	s_clause 0x3
	s_load_b32 s14, s[0:1], 0x30
	s_load_b64 s[12:13], s[0:1], 0x38
	s_load_b32 s16, s[0:1], 0x18
	s_load_b128 s[8:11], s[0:1], 0x20
	v_lshlrev_b32_e32 v3, 7, v1
	v_dual_mov_b32 v11, 0 :: v_dual_lshlrev_b32 v6, 3, v2
	v_lshlrev_b32_e32 v10, 3, v1
	s_delay_alu instid0(VALU_DEP_3) | instskip(NEXT) | instid1(VALU_DEP_3)
	v_add_nc_u32_e32 v7, 0x800, v3
	v_add_nc_u32_e32 v8, v6, v3
	s_delay_alu instid0(VALU_DEP_2)
	v_add_nc_u32_e32 v9, v7, v6
	s_waitcnt lgkmcnt(0)
	v_mad_i64_i32 v[1:2], null, s14, v5, 0
	v_mad_i64_i32 v[3:4], null, s16, v0, 0
	s_mul_i32 s13, s13, s15
	s_mul_hi_u32 s14, s12, s15
	s_mul_i32 s12, s12, s15
	s_add_i32 s13, s14, s13
	s_delay_alu instid0(VALU_DEP_2)
	v_lshlrev_b64 v[1:2], 3, v[1:2]
	s_mul_i32 s9, s9, s15
	s_mul_hi_u32 s16, s8, s15
	v_lshlrev_b64 v[3:4], 3, v[3:4]
	s_lshl_b64 s[12:13], s[12:13], 3
	s_mul_i32 s8, s8, s15
	s_add_i32 s9, s16, s9
	v_add_co_u32 v1, vcc_lo, v1, s12
	s_lshl_b64 s[8:9], s[8:9], 3
	v_add_co_ci_u32_e32 v2, vcc_lo, s13, v2, vcc_lo
	v_add_co_u32 v3, vcc_lo, v3, s8
	v_add_co_ci_u32_e32 v4, vcc_lo, s9, v4, vcc_lo
	v_add_co_u32 v1, vcc_lo, v1, v6
	s_delay_alu instid0(VALU_DEP_4) | instskip(NEXT) | instid1(VALU_DEP_4)
	v_add_co_ci_u32_e32 v2, vcc_lo, 0, v2, vcc_lo
	v_add_co_u32 v3, vcc_lo, v3, v10
	s_delay_alu instid0(VALU_DEP_4) | instskip(NEXT) | instid1(VALU_DEP_4)
	;; [unrolled: 3-line block ×3, first 2 shown]
	v_add_co_ci_u32_e32 v2, vcc_lo, s11, v2, vcc_lo
	v_add_co_u32 v3, vcc_lo, s6, v3
	s_delay_alu instid0(VALU_DEP_4)
	v_add_co_ci_u32_e32 v4, vcc_lo, s7, v4, vcc_lo
	v_mov_b32_e32 v10, 0
.LBB192_2:                              ; =>This Inner Loop Header: Depth=1
	global_load_b64 v[12:13], v[3:4], off
	global_load_b64 v[14:15], v[1:2], off
	v_add_co_u32 v1, vcc_lo, 0x80, v1
	v_add_co_ci_u32_e32 v2, vcc_lo, 0, v2, vcc_lo
	v_add_co_u32 v3, vcc_lo, 0x80, v3
	v_add_co_ci_u32_e32 v4, vcc_lo, 0, v4, vcc_lo
	s_add_i32 s3, s3, 16
	s_waitcnt vmcnt(1)
	ds_store_b64 v8, v[12:13]
	s_waitcnt vmcnt(0)
	ds_store_b64 v9, v[14:15]
	s_waitcnt lgkmcnt(0)
	s_barrier
	buffer_gl0_inv
	ds_load_2addr_b64 v[12:15], v6 offset1:16
	ds_load_b128 v[16:19], v7
	ds_load_b128 v[20:23], v7 offset:16
	ds_load_2addr_b64 v[24:27], v6 offset0:32 offset1:48
	ds_load_2addr_b64 v[28:31], v6 offset0:64 offset1:80
	ds_load_b128 v[32:35], v7 offset:32
	ds_load_b128 v[36:39], v7 offset:48
	ds_load_2addr_b64 v[40:43], v6 offset0:96 offset1:112
	ds_load_2addr_b64 v[44:47], v6 offset0:128 offset1:144
	;; [unrolled: 1-line block ×3, first 2 shown]
	ds_load_b128 v[52:55], v7 offset:64
	ds_load_b128 v[56:59], v7 offset:80
	ds_load_2addr_b64 v[60:63], v6 offset0:192 offset1:208
	ds_load_2addr_b64 v[64:67], v6 offset0:224 offset1:240
	ds_load_b128 v[68:71], v7 offset:96
	ds_load_b128 v[72:75], v7 offset:112
	s_cmp_lt_i32 s3, s2
	s_waitcnt lgkmcnt(0)
	s_barrier
	buffer_gl0_inv
	v_dual_mul_f32 v76, v17, v13 :: v_dual_mul_f32 v77, v19, v15
	v_mul_f32_e32 v13, v16, v13
	v_dual_mul_f32 v15, v18, v15 :: v_dual_mul_f32 v78, v21, v25
	v_mul_f32_e32 v25, v20, v25
	v_dual_mul_f32 v79, v23, v27 :: v_dual_mul_f32 v80, v33, v29
	v_fma_f32 v16, v16, v12, -v76
	v_mul_f32_e32 v29, v32, v29
	s_delay_alu instid0(VALU_DEP_4) | instskip(NEXT) | instid1(VALU_DEP_4)
	v_fmac_f32_e32 v25, v21, v24
	v_fma_f32 v21, v22, v26, -v79
	v_fmac_f32_e32 v13, v17, v12
	v_fma_f32 v12, v18, v14, -v77
	v_add_f32_e32 v10, v10, v16
	v_dual_mul_f32 v27, v22, v27 :: v_dual_mul_f32 v82, v37, v41
	v_mul_f32_e32 v41, v36, v41
	v_fma_f32 v20, v20, v24, -v78
	s_delay_alu instid0(VALU_DEP_4) | instskip(SKIP_2) | instid1(VALU_DEP_3)
	v_dual_add_f32 v10, v10, v12 :: v_dual_fmac_f32 v15, v19, v14
	v_dual_mul_f32 v81, v35, v31 :: v_dual_mul_f32 v84, v53, v45
	v_dual_mul_f32 v83, v39, v43 :: v_dual_mul_f32 v16, v72, v65
	v_add_f32_e32 v10, v10, v20
	v_fma_f32 v20, v32, v28, -v80
	v_mul_f32_e32 v14, v55, v47
	v_mul_f32_e32 v17, v54, v47
	v_dual_mul_f32 v31, v34, v31 :: v_dual_mul_f32 v18, v57, v49
	v_add_f32_e32 v10, v10, v21
	v_mul_f32_e32 v19, v56, v49
	v_fma_f32 v21, v34, v30, -v81
	v_mul_f32_e32 v49, v58, v51
	v_fma_f32 v14, v54, v46, -v14
	v_dual_add_f32 v10, v10, v20 :: v_dual_mul_f32 v47, v59, v51
	v_fma_f32 v20, v36, v40, -v82
	v_fma_f32 v18, v56, v48, -v18
	v_mul_f32_e32 v22, v71, v63
	s_delay_alu instid0(VALU_DEP_4) | instskip(SKIP_3) | instid1(VALU_DEP_4)
	v_add_f32_e32 v10, v10, v21
	v_mul_f32_e32 v51, v69, v61
	v_fma_f32 v21, v38, v42, -v83
	v_dual_mul_f32 v45, v52, v45 :: v_dual_mul_f32 v12, v75, v67
	v_add_f32_e32 v10, v10, v20
	v_fma_f32 v20, v52, v44, -v84
	v_fmac_f32_e32 v31, v35, v30
	v_dual_mul_f32 v43, v38, v43 :: v_dual_fmac_f32 v16, v73, v64
	s_delay_alu instid0(VALU_DEP_4) | instskip(SKIP_3) | instid1(VALU_DEP_4)
	v_add_f32_e32 v10, v10, v21
	v_mul_f32_e32 v61, v68, v61
	v_fma_f32 v12, v74, v66, -v12
	v_fmac_f32_e32 v41, v37, v40
	v_dual_fmac_f32 v43, v39, v42 :: v_dual_add_f32 v10, v10, v20
	v_add_f32_e32 v11, v11, v13
	v_fmac_f32_e32 v45, v53, v44
	v_fmac_f32_e32 v17, v55, v46
	s_delay_alu instid0(VALU_DEP_4) | instskip(SKIP_3) | instid1(VALU_DEP_4)
	v_dual_fmac_f32 v19, v57, v48 :: v_dual_add_f32 v10, v10, v14
	v_mul_f32_e32 v13, v73, v65
	v_fma_f32 v14, v58, v50, -v47
	v_fmac_f32_e32 v49, v59, v50
	v_dual_fmac_f32 v61, v69, v60 :: v_dual_add_f32 v10, v10, v18
	v_add_f32_e32 v11, v11, v15
	v_fma_f32 v13, v72, v64, -v13
	v_fmac_f32_e32 v29, v33, v28
	v_mul_f32_e32 v15, v74, v67
	v_add_f32_e32 v10, v10, v14
	v_fmac_f32_e32 v27, v23, v26
	v_fma_f32 v14, v70, v62, -v22
	v_add_f32_e32 v11, v11, v25
	v_mul_f32_e32 v23, v70, v63
	v_fmac_f32_e32 v15, v75, v66
	s_delay_alu instid0(VALU_DEP_3) | instskip(NEXT) | instid1(VALU_DEP_3)
	v_add_f32_e32 v11, v11, v27
	v_fmac_f32_e32 v23, v71, v62
	s_delay_alu instid0(VALU_DEP_2) | instskip(NEXT) | instid1(VALU_DEP_1)
	v_add_f32_e32 v11, v11, v29
	v_add_f32_e32 v11, v11, v31
	s_delay_alu instid0(VALU_DEP_1) | instskip(NEXT) | instid1(VALU_DEP_1)
	v_add_f32_e32 v11, v11, v41
	v_add_f32_e32 v11, v11, v43
	s_delay_alu instid0(VALU_DEP_1) | instskip(NEXT) | instid1(VALU_DEP_1)
	v_add_f32_e32 v11, v11, v45
	v_add_f32_e32 v11, v11, v17
	v_fma_f32 v17, v68, v60, -v51
	s_delay_alu instid0(VALU_DEP_1) | instskip(NEXT) | instid1(VALU_DEP_1)
	v_dual_add_f32 v11, v11, v19 :: v_dual_add_f32 v10, v10, v17
	v_dual_add_f32 v11, v11, v49 :: v_dual_add_f32 v10, v10, v14
	s_delay_alu instid0(VALU_DEP_1) | instskip(NEXT) | instid1(VALU_DEP_1)
	v_add_f32_e32 v11, v11, v61
	v_dual_add_f32 v10, v10, v13 :: v_dual_add_f32 v11, v11, v23
	s_delay_alu instid0(VALU_DEP_1) | instskip(NEXT) | instid1(VALU_DEP_2)
	v_add_f32_e32 v10, v10, v12
	v_add_f32_e32 v11, v11, v16
	s_delay_alu instid0(VALU_DEP_1)
	v_add_f32_e32 v11, v11, v15
	s_cbranch_scc1 .LBB192_2
.LBB192_3:
	s_mov_b32 s2, exec_lo
	v_cmpx_le_i32_e64 v5, v0
	s_cbranch_execz .LBB192_5
; %bb.4:
	s_clause 0x2
	s_load_b32 s6, s[0:1], 0x50
	s_load_b64 s[2:3], s[0:1], 0x58
	s_load_b64 s[0:1], s[0:1], 0x48
	v_ashrrev_i32_e32 v1, 31, v0
	s_delay_alu instid0(VALU_DEP_1)
	v_lshlrev_b64 v[0:1], 3, v[0:1]
	s_waitcnt lgkmcnt(0)
	v_mad_i64_i32 v[2:3], null, s6, v5, 0
	v_mul_f32_e32 v5, s4, v11
	v_mul_f32_e32 v4, s5, v11
	s_mul_i32 s3, s15, s3
	s_delay_alu instid0(VALU_DEP_2) | instskip(NEXT) | instid1(VALU_DEP_2)
	v_fmac_f32_e32 v5, s5, v10
	v_fma_f32 v4, v10, s4, -v4
	s_mul_hi_u32 s4, s15, s2
	s_mul_i32 s2, s15, s2
	s_add_i32 s3, s4, s3
	v_lshlrev_b64 v[2:3], 3, v[2:3]
	s_lshl_b64 s[2:3], s[2:3], 3
	s_delay_alu instid0(SALU_CYCLE_1) | instskip(SKIP_1) | instid1(VALU_DEP_1)
	s_add_u32 s0, s0, s2
	s_addc_u32 s1, s1, s3
	v_add_co_u32 v2, vcc_lo, s0, v2
	s_delay_alu instid0(VALU_DEP_2) | instskip(NEXT) | instid1(VALU_DEP_2)
	v_add_co_ci_u32_e32 v3, vcc_lo, s1, v3, vcc_lo
	v_add_co_u32 v0, vcc_lo, v2, v0
	s_delay_alu instid0(VALU_DEP_2)
	v_add_co_ci_u32_e32 v1, vcc_lo, v3, v1, vcc_lo
	global_store_b64 v[0:1], v[4:5], off
.LBB192_5:
	s_nop 0
	s_sendmsg sendmsg(MSG_DEALLOC_VGPRS)
	s_endpgm
	.section	.rodata,"a",@progbits
	.p2align	6, 0x0
	.amdhsa_kernel _ZL41rocblas_syrkx_herkx_small_restrict_kernelIi19rocblas_complex_numIfELi16ELb1ELb0ELc84ELc76EKS1_S1_EviT_T0_PT6_S3_lS6_S3_lS4_PT7_S3_li
		.amdhsa_group_segment_fixed_size 4096
		.amdhsa_private_segment_fixed_size 0
		.amdhsa_kernarg_size 100
		.amdhsa_user_sgpr_count 13
		.amdhsa_user_sgpr_dispatch_ptr 0
		.amdhsa_user_sgpr_queue_ptr 0
		.amdhsa_user_sgpr_kernarg_segment_ptr 1
		.amdhsa_user_sgpr_dispatch_id 0
		.amdhsa_user_sgpr_private_segment_size 0
		.amdhsa_wavefront_size32 1
		.amdhsa_uses_dynamic_stack 0
		.amdhsa_enable_private_segment 0
		.amdhsa_system_sgpr_workgroup_id_x 1
		.amdhsa_system_sgpr_workgroup_id_y 1
		.amdhsa_system_sgpr_workgroup_id_z 1
		.amdhsa_system_sgpr_workgroup_info 0
		.amdhsa_system_vgpr_workitem_id 1
		.amdhsa_next_free_vgpr 85
		.amdhsa_next_free_sgpr 17
		.amdhsa_reserve_vcc 1
		.amdhsa_float_round_mode_32 0
		.amdhsa_float_round_mode_16_64 0
		.amdhsa_float_denorm_mode_32 3
		.amdhsa_float_denorm_mode_16_64 3
		.amdhsa_dx10_clamp 1
		.amdhsa_ieee_mode 1
		.amdhsa_fp16_overflow 0
		.amdhsa_workgroup_processor_mode 1
		.amdhsa_memory_ordered 1
		.amdhsa_forward_progress 0
		.amdhsa_shared_vgpr_count 0
		.amdhsa_exception_fp_ieee_invalid_op 0
		.amdhsa_exception_fp_denorm_src 0
		.amdhsa_exception_fp_ieee_div_zero 0
		.amdhsa_exception_fp_ieee_overflow 0
		.amdhsa_exception_fp_ieee_underflow 0
		.amdhsa_exception_fp_ieee_inexact 0
		.amdhsa_exception_int_div_zero 0
	.end_amdhsa_kernel
	.section	.text._ZL41rocblas_syrkx_herkx_small_restrict_kernelIi19rocblas_complex_numIfELi16ELb1ELb0ELc84ELc76EKS1_S1_EviT_T0_PT6_S3_lS6_S3_lS4_PT7_S3_li,"axG",@progbits,_ZL41rocblas_syrkx_herkx_small_restrict_kernelIi19rocblas_complex_numIfELi16ELb1ELb0ELc84ELc76EKS1_S1_EviT_T0_PT6_S3_lS6_S3_lS4_PT7_S3_li,comdat
.Lfunc_end192:
	.size	_ZL41rocblas_syrkx_herkx_small_restrict_kernelIi19rocblas_complex_numIfELi16ELb1ELb0ELc84ELc76EKS1_S1_EviT_T0_PT6_S3_lS6_S3_lS4_PT7_S3_li, .Lfunc_end192-_ZL41rocblas_syrkx_herkx_small_restrict_kernelIi19rocblas_complex_numIfELi16ELb1ELb0ELc84ELc76EKS1_S1_EviT_T0_PT6_S3_lS6_S3_lS4_PT7_S3_li
                                        ; -- End function
	.section	.AMDGPU.csdata,"",@progbits
; Kernel info:
; codeLenInByte = 1260
; NumSgprs: 19
; NumVgprs: 85
; ScratchSize: 0
; MemoryBound: 0
; FloatMode: 240
; IeeeMode: 1
; LDSByteSize: 4096 bytes/workgroup (compile time only)
; SGPRBlocks: 2
; VGPRBlocks: 10
; NumSGPRsForWavesPerEU: 19
; NumVGPRsForWavesPerEU: 85
; Occupancy: 16
; WaveLimiterHint : 0
; COMPUTE_PGM_RSRC2:SCRATCH_EN: 0
; COMPUTE_PGM_RSRC2:USER_SGPR: 13
; COMPUTE_PGM_RSRC2:TRAP_HANDLER: 0
; COMPUTE_PGM_RSRC2:TGID_X_EN: 1
; COMPUTE_PGM_RSRC2:TGID_Y_EN: 1
; COMPUTE_PGM_RSRC2:TGID_Z_EN: 1
; COMPUTE_PGM_RSRC2:TIDIG_COMP_CNT: 1
	.section	.text._ZL41rocblas_syrkx_herkx_small_restrict_kernelIi19rocblas_complex_numIfELi16ELb1ELb0ELc67ELc76EKS1_S1_EviT_T0_PT6_S3_lS6_S3_lS4_PT7_S3_li,"axG",@progbits,_ZL41rocblas_syrkx_herkx_small_restrict_kernelIi19rocblas_complex_numIfELi16ELb1ELb0ELc67ELc76EKS1_S1_EviT_T0_PT6_S3_lS6_S3_lS4_PT7_S3_li,comdat
	.globl	_ZL41rocblas_syrkx_herkx_small_restrict_kernelIi19rocblas_complex_numIfELi16ELb1ELb0ELc67ELc76EKS1_S1_EviT_T0_PT6_S3_lS6_S3_lS4_PT7_S3_li ; -- Begin function _ZL41rocblas_syrkx_herkx_small_restrict_kernelIi19rocblas_complex_numIfELi16ELb1ELb0ELc67ELc76EKS1_S1_EviT_T0_PT6_S3_lS6_S3_lS4_PT7_S3_li
	.p2align	8
	.type	_ZL41rocblas_syrkx_herkx_small_restrict_kernelIi19rocblas_complex_numIfELi16ELb1ELb0ELc67ELc76EKS1_S1_EviT_T0_PT6_S3_lS6_S3_lS4_PT7_S3_li,@function
_ZL41rocblas_syrkx_herkx_small_restrict_kernelIi19rocblas_complex_numIfELi16ELb1ELb0ELc67ELc76EKS1_S1_EviT_T0_PT6_S3_lS6_S3_lS4_PT7_S3_li: ; @_ZL41rocblas_syrkx_herkx_small_restrict_kernelIi19rocblas_complex_numIfELi16ELb1ELb0ELc67ELc76EKS1_S1_EviT_T0_PT6_S3_lS6_S3_lS4_PT7_S3_li
; %bb.0:
	s_clause 0x1
	s_load_b32 s2, s[0:1], 0x4
	s_load_b128 s[4:7], s[0:1], 0x8
	v_dual_mov_b32 v11, 0 :: v_dual_and_b32 v2, 0x3ff, v0
	v_bfe_u32 v1, v0, 10, 10
	v_mov_b32_e32 v10, 0
	s_mov_b32 s3, 0
	s_delay_alu instid0(VALU_DEP_3) | instskip(NEXT) | instid1(VALU_DEP_3)
	v_lshl_add_u32 v0, s13, 4, v2
	v_lshl_add_u32 v5, s14, 4, v1
	s_waitcnt lgkmcnt(0)
	s_cmp_lt_i32 s2, 1
	s_cbranch_scc1 .LBB193_3
; %bb.1:
	s_clause 0x3
	s_load_b32 s14, s[0:1], 0x30
	s_load_b32 s16, s[0:1], 0x18
	s_load_b64 s[12:13], s[0:1], 0x38
	s_load_b128 s[8:11], s[0:1], 0x20
	v_lshlrev_b32_e32 v3, 7, v1
	v_dual_mov_b32 v11, 0 :: v_dual_lshlrev_b32 v6, 3, v2
	v_lshlrev_b32_e32 v10, 3, v1
	s_delay_alu instid0(VALU_DEP_3) | instskip(NEXT) | instid1(VALU_DEP_3)
	v_add_nc_u32_e32 v7, 0x800, v3
	v_add_nc_u32_e32 v8, v6, v3
	s_delay_alu instid0(VALU_DEP_2)
	v_add_nc_u32_e32 v9, v7, v6
	s_waitcnt lgkmcnt(0)
	v_mad_i64_i32 v[1:2], null, s14, v5, 0
	v_mad_i64_i32 v[3:4], null, s16, v0, 0
	s_mul_i32 s9, s9, s15
	s_mul_hi_u32 s16, s8, s15
	s_mul_i32 s8, s8, s15
	s_add_i32 s9, s16, s9
	s_mul_i32 s13, s13, s15
	s_mul_hi_u32 s14, s12, s15
	s_delay_alu instid0(VALU_DEP_1) | instskip(SKIP_4) | instid1(VALU_DEP_2)
	v_lshlrev_b64 v[3:4], 3, v[3:4]
	v_lshlrev_b64 v[1:2], 3, v[1:2]
	s_lshl_b64 s[8:9], s[8:9], 3
	s_mul_i32 s12, s12, s15
	s_add_i32 s13, s14, s13
	v_add_co_u32 v3, vcc_lo, v3, s8
	s_lshl_b64 s[12:13], s[12:13], 3
	v_add_co_ci_u32_e32 v4, vcc_lo, s9, v4, vcc_lo
	v_add_co_u32 v1, vcc_lo, v1, s12
	v_add_co_ci_u32_e32 v2, vcc_lo, s13, v2, vcc_lo
	v_add_co_u32 v3, vcc_lo, v3, v10
	s_delay_alu instid0(VALU_DEP_4) | instskip(NEXT) | instid1(VALU_DEP_4)
	v_add_co_ci_u32_e32 v4, vcc_lo, 0, v4, vcc_lo
	v_add_co_u32 v1, vcc_lo, v1, v6
	s_delay_alu instid0(VALU_DEP_4) | instskip(NEXT) | instid1(VALU_DEP_4)
	;; [unrolled: 3-line block ×4, first 2 shown]
	v_add_co_ci_u32_e32 v2, vcc_lo, s11, v2, vcc_lo
	v_add_co_u32 v3, vcc_lo, v3, 4
	s_delay_alu instid0(VALU_DEP_4)
	v_add_co_ci_u32_e32 v4, vcc_lo, 0, v4, vcc_lo
	v_mov_b32_e32 v10, 0
.LBB193_2:                              ; =>This Inner Loop Header: Depth=1
	global_load_b64 v[12:13], v[3:4], off offset:-4
	global_load_b64 v[14:15], v[1:2], off
	v_add_co_u32 v1, vcc_lo, 0x80, v1
	v_add_co_ci_u32_e32 v2, vcc_lo, 0, v2, vcc_lo
	v_add_co_u32 v3, vcc_lo, 0x80, v3
	v_add_co_ci_u32_e32 v4, vcc_lo, 0, v4, vcc_lo
	s_add_i32 s3, s3, 16
	s_waitcnt vmcnt(1)
	ds_store_b64 v8, v[12:13]
	s_waitcnt vmcnt(0)
	ds_store_b64 v9, v[14:15]
	s_waitcnt lgkmcnt(0)
	s_barrier
	buffer_gl0_inv
	ds_load_2addr_b64 v[12:15], v6 offset1:16
	ds_load_b128 v[16:19], v7
	ds_load_b128 v[20:23], v7 offset:16
	ds_load_2addr_b64 v[24:27], v6 offset0:32 offset1:48
	ds_load_2addr_b64 v[28:31], v6 offset0:64 offset1:80
	ds_load_b128 v[32:35], v7 offset:32
	ds_load_b128 v[36:39], v7 offset:48
	ds_load_2addr_b64 v[40:43], v6 offset0:96 offset1:112
	ds_load_2addr_b64 v[44:47], v6 offset0:128 offset1:144
	ds_load_2addr_b64 v[48:51], v6 offset0:160 offset1:176
	ds_load_b128 v[52:55], v7 offset:64
	ds_load_b128 v[56:59], v7 offset:80
	ds_load_2addr_b64 v[60:63], v6 offset0:192 offset1:208
	ds_load_2addr_b64 v[64:67], v6 offset0:224 offset1:240
	ds_load_b128 v[68:71], v7 offset:96
	ds_load_b128 v[72:75], v7 offset:112
	s_cmp_lt_i32 s3, s2
	s_waitcnt lgkmcnt(0)
	s_barrier
	buffer_gl0_inv
	v_dual_mul_f32 v76, v17, v13 :: v_dual_mul_f32 v77, v19, v15
	v_mul_f32_e32 v13, v16, v13
	v_dual_mul_f32 v15, v18, v15 :: v_dual_mul_f32 v78, v21, v25
	v_mul_f32_e32 v25, v20, v25
	v_dual_mul_f32 v79, v23, v27 :: v_dual_mul_f32 v80, v33, v29
	v_fma_f32 v16, v16, v12, -v76
	v_mul_f32_e32 v29, v32, v29
	s_delay_alu instid0(VALU_DEP_4) | instskip(NEXT) | instid1(VALU_DEP_4)
	v_fmac_f32_e32 v25, v21, v24
	v_fma_f32 v21, v22, v26, -v79
	v_fmac_f32_e32 v13, v17, v12
	v_fma_f32 v12, v18, v14, -v77
	v_add_f32_e32 v10, v10, v16
	v_dual_mul_f32 v27, v22, v27 :: v_dual_mul_f32 v82, v37, v41
	v_mul_f32_e32 v41, v36, v41
	v_fma_f32 v20, v20, v24, -v78
	s_delay_alu instid0(VALU_DEP_4) | instskip(SKIP_2) | instid1(VALU_DEP_3)
	v_dual_add_f32 v10, v10, v12 :: v_dual_fmac_f32 v15, v19, v14
	v_dual_mul_f32 v81, v35, v31 :: v_dual_mul_f32 v84, v53, v45
	v_dual_mul_f32 v83, v39, v43 :: v_dual_mul_f32 v16, v72, v65
	v_add_f32_e32 v10, v10, v20
	v_fma_f32 v20, v32, v28, -v80
	v_mul_f32_e32 v14, v55, v47
	v_mul_f32_e32 v17, v54, v47
	v_dual_mul_f32 v31, v34, v31 :: v_dual_mul_f32 v18, v57, v49
	v_add_f32_e32 v10, v10, v21
	v_mul_f32_e32 v19, v56, v49
	v_fma_f32 v21, v34, v30, -v81
	v_mul_f32_e32 v49, v58, v51
	v_fma_f32 v14, v54, v46, -v14
	v_dual_add_f32 v10, v10, v20 :: v_dual_mul_f32 v47, v59, v51
	v_fma_f32 v20, v36, v40, -v82
	v_fma_f32 v18, v56, v48, -v18
	v_mul_f32_e32 v22, v71, v63
	s_delay_alu instid0(VALU_DEP_4) | instskip(SKIP_3) | instid1(VALU_DEP_4)
	v_add_f32_e32 v10, v10, v21
	v_mul_f32_e32 v51, v69, v61
	v_fma_f32 v21, v38, v42, -v83
	v_dual_mul_f32 v45, v52, v45 :: v_dual_mul_f32 v12, v75, v67
	v_add_f32_e32 v10, v10, v20
	v_fma_f32 v20, v52, v44, -v84
	v_fmac_f32_e32 v31, v35, v30
	v_dual_mul_f32 v43, v38, v43 :: v_dual_fmac_f32 v16, v73, v64
	s_delay_alu instid0(VALU_DEP_4) | instskip(SKIP_3) | instid1(VALU_DEP_4)
	v_add_f32_e32 v10, v10, v21
	v_mul_f32_e32 v61, v68, v61
	v_fma_f32 v12, v74, v66, -v12
	v_fmac_f32_e32 v41, v37, v40
	v_dual_fmac_f32 v43, v39, v42 :: v_dual_add_f32 v10, v10, v20
	v_add_f32_e32 v11, v11, v13
	v_fmac_f32_e32 v45, v53, v44
	v_fmac_f32_e32 v17, v55, v46
	s_delay_alu instid0(VALU_DEP_4) | instskip(SKIP_3) | instid1(VALU_DEP_4)
	v_dual_fmac_f32 v19, v57, v48 :: v_dual_add_f32 v10, v10, v14
	v_mul_f32_e32 v13, v73, v65
	v_fma_f32 v14, v58, v50, -v47
	v_fmac_f32_e32 v49, v59, v50
	v_dual_fmac_f32 v61, v69, v60 :: v_dual_add_f32 v10, v10, v18
	v_add_f32_e32 v11, v11, v15
	v_fma_f32 v13, v72, v64, -v13
	v_fmac_f32_e32 v29, v33, v28
	v_mul_f32_e32 v15, v74, v67
	v_add_f32_e32 v10, v10, v14
	v_fmac_f32_e32 v27, v23, v26
	v_fma_f32 v14, v70, v62, -v22
	v_add_f32_e32 v11, v11, v25
	v_mul_f32_e32 v23, v70, v63
	v_fmac_f32_e32 v15, v75, v66
	s_delay_alu instid0(VALU_DEP_3) | instskip(NEXT) | instid1(VALU_DEP_3)
	v_add_f32_e32 v11, v11, v27
	v_fmac_f32_e32 v23, v71, v62
	s_delay_alu instid0(VALU_DEP_2) | instskip(NEXT) | instid1(VALU_DEP_1)
	v_add_f32_e32 v11, v11, v29
	v_add_f32_e32 v11, v11, v31
	s_delay_alu instid0(VALU_DEP_1) | instskip(NEXT) | instid1(VALU_DEP_1)
	v_add_f32_e32 v11, v11, v41
	v_add_f32_e32 v11, v11, v43
	s_delay_alu instid0(VALU_DEP_1) | instskip(NEXT) | instid1(VALU_DEP_1)
	v_add_f32_e32 v11, v11, v45
	v_add_f32_e32 v11, v11, v17
	v_fma_f32 v17, v68, v60, -v51
	s_delay_alu instid0(VALU_DEP_1) | instskip(NEXT) | instid1(VALU_DEP_1)
	v_dual_add_f32 v11, v11, v19 :: v_dual_add_f32 v10, v10, v17
	v_dual_add_f32 v11, v11, v49 :: v_dual_add_f32 v10, v10, v14
	s_delay_alu instid0(VALU_DEP_1) | instskip(NEXT) | instid1(VALU_DEP_1)
	v_add_f32_e32 v11, v11, v61
	v_dual_add_f32 v10, v10, v13 :: v_dual_add_f32 v11, v11, v23
	s_delay_alu instid0(VALU_DEP_1) | instskip(NEXT) | instid1(VALU_DEP_2)
	v_add_f32_e32 v10, v10, v12
	v_add_f32_e32 v11, v11, v16
	s_delay_alu instid0(VALU_DEP_1)
	v_add_f32_e32 v11, v11, v15
	s_cbranch_scc1 .LBB193_2
.LBB193_3:
	s_mov_b32 s2, exec_lo
	v_cmpx_le_i32_e64 v5, v0
	s_cbranch_execz .LBB193_5
; %bb.4:
	s_clause 0x2
	s_load_b32 s6, s[0:1], 0x50
	s_load_b64 s[2:3], s[0:1], 0x58
	s_load_b64 s[0:1], s[0:1], 0x48
	v_ashrrev_i32_e32 v1, 31, v0
	s_delay_alu instid0(VALU_DEP_1)
	v_lshlrev_b64 v[0:1], 3, v[0:1]
	s_waitcnt lgkmcnt(0)
	v_mad_i64_i32 v[2:3], null, s6, v5, 0
	v_mul_f32_e32 v5, s4, v11
	v_mul_f32_e32 v4, s5, v11
	s_mul_i32 s3, s15, s3
	s_delay_alu instid0(VALU_DEP_2) | instskip(NEXT) | instid1(VALU_DEP_2)
	v_fmac_f32_e32 v5, s5, v10
	v_fma_f32 v4, v10, s4, -v4
	s_mul_hi_u32 s4, s15, s2
	s_mul_i32 s2, s15, s2
	s_add_i32 s3, s4, s3
	v_lshlrev_b64 v[2:3], 3, v[2:3]
	s_lshl_b64 s[2:3], s[2:3], 3
	s_delay_alu instid0(SALU_CYCLE_1) | instskip(SKIP_1) | instid1(VALU_DEP_1)
	s_add_u32 s0, s0, s2
	s_addc_u32 s1, s1, s3
	v_add_co_u32 v2, vcc_lo, s0, v2
	s_delay_alu instid0(VALU_DEP_2) | instskip(NEXT) | instid1(VALU_DEP_2)
	v_add_co_ci_u32_e32 v3, vcc_lo, s1, v3, vcc_lo
	v_add_co_u32 v0, vcc_lo, v2, v0
	s_delay_alu instid0(VALU_DEP_2)
	v_add_co_ci_u32_e32 v1, vcc_lo, v3, v1, vcc_lo
	global_store_b64 v[0:1], v[4:5], off
.LBB193_5:
	s_nop 0
	s_sendmsg sendmsg(MSG_DEALLOC_VGPRS)
	s_endpgm
	.section	.rodata,"a",@progbits
	.p2align	6, 0x0
	.amdhsa_kernel _ZL41rocblas_syrkx_herkx_small_restrict_kernelIi19rocblas_complex_numIfELi16ELb1ELb0ELc67ELc76EKS1_S1_EviT_T0_PT6_S3_lS6_S3_lS4_PT7_S3_li
		.amdhsa_group_segment_fixed_size 4096
		.amdhsa_private_segment_fixed_size 0
		.amdhsa_kernarg_size 100
		.amdhsa_user_sgpr_count 13
		.amdhsa_user_sgpr_dispatch_ptr 0
		.amdhsa_user_sgpr_queue_ptr 0
		.amdhsa_user_sgpr_kernarg_segment_ptr 1
		.amdhsa_user_sgpr_dispatch_id 0
		.amdhsa_user_sgpr_private_segment_size 0
		.amdhsa_wavefront_size32 1
		.amdhsa_uses_dynamic_stack 0
		.amdhsa_enable_private_segment 0
		.amdhsa_system_sgpr_workgroup_id_x 1
		.amdhsa_system_sgpr_workgroup_id_y 1
		.amdhsa_system_sgpr_workgroup_id_z 1
		.amdhsa_system_sgpr_workgroup_info 0
		.amdhsa_system_vgpr_workitem_id 1
		.amdhsa_next_free_vgpr 85
		.amdhsa_next_free_sgpr 17
		.amdhsa_reserve_vcc 1
		.amdhsa_float_round_mode_32 0
		.amdhsa_float_round_mode_16_64 0
		.amdhsa_float_denorm_mode_32 3
		.amdhsa_float_denorm_mode_16_64 3
		.amdhsa_dx10_clamp 1
		.amdhsa_ieee_mode 1
		.amdhsa_fp16_overflow 0
		.amdhsa_workgroup_processor_mode 1
		.amdhsa_memory_ordered 1
		.amdhsa_forward_progress 0
		.amdhsa_shared_vgpr_count 0
		.amdhsa_exception_fp_ieee_invalid_op 0
		.amdhsa_exception_fp_denorm_src 0
		.amdhsa_exception_fp_ieee_div_zero 0
		.amdhsa_exception_fp_ieee_overflow 0
		.amdhsa_exception_fp_ieee_underflow 0
		.amdhsa_exception_fp_ieee_inexact 0
		.amdhsa_exception_int_div_zero 0
	.end_amdhsa_kernel
	.section	.text._ZL41rocblas_syrkx_herkx_small_restrict_kernelIi19rocblas_complex_numIfELi16ELb1ELb0ELc67ELc76EKS1_S1_EviT_T0_PT6_S3_lS6_S3_lS4_PT7_S3_li,"axG",@progbits,_ZL41rocblas_syrkx_herkx_small_restrict_kernelIi19rocblas_complex_numIfELi16ELb1ELb0ELc67ELc76EKS1_S1_EviT_T0_PT6_S3_lS6_S3_lS4_PT7_S3_li,comdat
.Lfunc_end193:
	.size	_ZL41rocblas_syrkx_herkx_small_restrict_kernelIi19rocblas_complex_numIfELi16ELb1ELb0ELc67ELc76EKS1_S1_EviT_T0_PT6_S3_lS6_S3_lS4_PT7_S3_li, .Lfunc_end193-_ZL41rocblas_syrkx_herkx_small_restrict_kernelIi19rocblas_complex_numIfELi16ELb1ELb0ELc67ELc76EKS1_S1_EviT_T0_PT6_S3_lS6_S3_lS4_PT7_S3_li
                                        ; -- End function
	.section	.AMDGPU.csdata,"",@progbits
; Kernel info:
; codeLenInByte = 1276
; NumSgprs: 19
; NumVgprs: 85
; ScratchSize: 0
; MemoryBound: 0
; FloatMode: 240
; IeeeMode: 1
; LDSByteSize: 4096 bytes/workgroup (compile time only)
; SGPRBlocks: 2
; VGPRBlocks: 10
; NumSGPRsForWavesPerEU: 19
; NumVGPRsForWavesPerEU: 85
; Occupancy: 16
; WaveLimiterHint : 0
; COMPUTE_PGM_RSRC2:SCRATCH_EN: 0
; COMPUTE_PGM_RSRC2:USER_SGPR: 13
; COMPUTE_PGM_RSRC2:TRAP_HANDLER: 0
; COMPUTE_PGM_RSRC2:TGID_X_EN: 1
; COMPUTE_PGM_RSRC2:TGID_Y_EN: 1
; COMPUTE_PGM_RSRC2:TGID_Z_EN: 1
; COMPUTE_PGM_RSRC2:TIDIG_COMP_CNT: 1
	.section	.text._ZL41rocblas_syrkx_herkx_small_restrict_kernelIi19rocblas_complex_numIfELi16ELb1ELb0ELc78ELc76EKS1_S1_EviT_T0_PT6_S3_lS6_S3_lS4_PT7_S3_li,"axG",@progbits,_ZL41rocblas_syrkx_herkx_small_restrict_kernelIi19rocblas_complex_numIfELi16ELb1ELb0ELc78ELc76EKS1_S1_EviT_T0_PT6_S3_lS6_S3_lS4_PT7_S3_li,comdat
	.globl	_ZL41rocblas_syrkx_herkx_small_restrict_kernelIi19rocblas_complex_numIfELi16ELb1ELb0ELc78ELc76EKS1_S1_EviT_T0_PT6_S3_lS6_S3_lS4_PT7_S3_li ; -- Begin function _ZL41rocblas_syrkx_herkx_small_restrict_kernelIi19rocblas_complex_numIfELi16ELb1ELb0ELc78ELc76EKS1_S1_EviT_T0_PT6_S3_lS6_S3_lS4_PT7_S3_li
	.p2align	8
	.type	_ZL41rocblas_syrkx_herkx_small_restrict_kernelIi19rocblas_complex_numIfELi16ELb1ELb0ELc78ELc76EKS1_S1_EviT_T0_PT6_S3_lS6_S3_lS4_PT7_S3_li,@function
_ZL41rocblas_syrkx_herkx_small_restrict_kernelIi19rocblas_complex_numIfELi16ELb1ELb0ELc78ELc76EKS1_S1_EviT_T0_PT6_S3_lS6_S3_lS4_PT7_S3_li: ; @_ZL41rocblas_syrkx_herkx_small_restrict_kernelIi19rocblas_complex_numIfELi16ELb1ELb0ELc78ELc76EKS1_S1_EviT_T0_PT6_S3_lS6_S3_lS4_PT7_S3_li
; %bb.0:
	s_clause 0x1
	s_load_b32 s12, s[0:1], 0x4
	s_load_b128 s[4:7], s[0:1], 0x8
	v_dual_mov_b32 v12, 0 :: v_dual_and_b32 v5, 0x3ff, v0
	v_bfe_u32 v4, v0, 10, 10
	v_mov_b32_e32 v11, 0
	s_delay_alu instid0(VALU_DEP_3) | instskip(SKIP_1) | instid1(VALU_DEP_3)
	v_lshl_add_u32 v0, s13, 4, v5
	s_mov_b32 s13, 0
	v_lshl_add_u32 v2, s14, 4, v4
	s_delay_alu instid0(VALU_DEP_2)
	v_ashrrev_i32_e32 v1, 31, v0
	s_waitcnt lgkmcnt(0)
	s_cmp_lt_i32 s12, 1
	s_cbranch_scc1 .LBB194_3
; %bb.1:
	s_clause 0x3
	s_load_b32 s2, s[0:1], 0x30
	s_load_b64 s[16:17], s[0:1], 0x38
	s_load_b128 s[8:11], s[0:1], 0x20
	s_load_b32 s18, s[0:1], 0x18
	v_lshlrev_b32_e32 v6, 7, v4
	v_lshlrev_b32_e32 v7, 3, v5
	v_ashrrev_i32_e32 v3, 31, v2
	v_lshlrev_b64 v[11:12], 3, v[0:1]
	s_delay_alu instid0(VALU_DEP_4) | instskip(NEXT) | instid1(VALU_DEP_4)
	v_add_nc_u32_e32 v8, 0x800, v6
	v_add_nc_u32_e32 v9, v7, v6
	s_delay_alu instid0(VALU_DEP_4)
	v_lshlrev_b64 v[13:14], 3, v[2:3]
	s_waitcnt lgkmcnt(0)
	v_mad_i64_i32 v[15:16], null, s2, v5, 0
	s_mul_i32 s14, s17, s15
	s_mul_hi_u32 s17, s16, s15
	v_mad_i64_i32 v[5:6], null, s18, v4, 0
	s_mul_i32 s16, s16, s15
	s_add_i32 s17, s17, s14
	s_delay_alu instid0(VALU_DEP_2)
	v_lshlrev_b64 v[3:4], 3, v[15:16]
	s_lshl_b64 s[16:17], s[16:17], 3
	s_mul_i32 s9, s9, s15
	s_mul_hi_u32 s19, s8, s15
	s_mul_i32 s8, s8, s15
	s_add_i32 s9, s19, s9
	v_add_co_u32 v15, vcc_lo, s16, v3
	v_add_co_ci_u32_e32 v16, vcc_lo, s17, v4, vcc_lo
	v_lshlrev_b64 v[3:4], 3, v[5:6]
	s_delay_alu instid0(VALU_DEP_3) | instskip(SKIP_1) | instid1(VALU_DEP_3)
	v_add_co_u32 v5, vcc_lo, v15, v13
	s_lshl_b64 s[8:9], s[8:9], 3
	v_add_co_ci_u32_e32 v6, vcc_lo, v16, v14, vcc_lo
	s_delay_alu instid0(VALU_DEP_3) | instskip(NEXT) | instid1(VALU_DEP_4)
	v_add_co_u32 v3, vcc_lo, s8, v3
	v_add_co_ci_u32_e32 v4, vcc_lo, s9, v4, vcc_lo
	v_add_co_u32 v5, vcc_lo, v5, s10
	s_delay_alu instid0(VALU_DEP_4) | instskip(NEXT) | instid1(VALU_DEP_4)
	v_add_co_ci_u32_e32 v6, vcc_lo, s11, v6, vcc_lo
	v_add_co_u32 v11, vcc_lo, v3, v11
	s_delay_alu instid0(VALU_DEP_4) | instskip(NEXT) | instid1(VALU_DEP_4)
	;; [unrolled: 3-line block ×3, first 2 shown]
	v_add_co_ci_u32_e32 v4, vcc_lo, 0, v6, vcc_lo
	v_add_co_u32 v5, vcc_lo, s6, v11
	s_delay_alu instid0(VALU_DEP_4)
	v_add_co_ci_u32_e32 v6, vcc_lo, s7, v12, vcc_lo
	v_mov_b32_e32 v12, 0
	v_dual_mov_b32 v11, 0 :: v_dual_add_nc_u32 v10, v8, v7
	s_ashr_i32 s3, s2, 31
	s_ashr_i32 s19, s18, 31
	s_lshl_b64 s[2:3], s[2:3], 7
	s_lshl_b64 s[6:7], s[18:19], 7
.LBB194_2:                              ; =>This Inner Loop Header: Depth=1
	global_load_b64 v[13:14], v[5:6], off
	global_load_b64 v[15:16], v[3:4], off offset:-4
	v_add_co_u32 v3, vcc_lo, v3, s2
	v_add_co_ci_u32_e32 v4, vcc_lo, s3, v4, vcc_lo
	v_add_co_u32 v5, vcc_lo, v5, s6
	v_add_co_ci_u32_e32 v6, vcc_lo, s7, v6, vcc_lo
	s_add_i32 s13, s13, 16
	s_waitcnt vmcnt(1)
	ds_store_b64 v9, v[13:14]
	s_waitcnt vmcnt(0)
	ds_store_b64 v10, v[15:16]
	s_waitcnt lgkmcnt(0)
	s_barrier
	buffer_gl0_inv
	ds_load_2addr_b64 v[13:16], v7 offset1:16
	ds_load_b128 v[17:20], v8
	ds_load_b128 v[21:24], v8 offset:16
	ds_load_2addr_b64 v[25:28], v7 offset0:32 offset1:48
	ds_load_2addr_b64 v[29:32], v7 offset0:64 offset1:80
	ds_load_b128 v[33:36], v8 offset:32
	ds_load_b128 v[37:40], v8 offset:48
	ds_load_2addr_b64 v[41:44], v7 offset0:96 offset1:112
	ds_load_2addr_b64 v[45:48], v7 offset0:128 offset1:144
	;; [unrolled: 1-line block ×3, first 2 shown]
	ds_load_b128 v[53:56], v8 offset:64
	ds_load_b128 v[57:60], v8 offset:80
	ds_load_2addr_b64 v[61:64], v7 offset0:192 offset1:208
	ds_load_2addr_b64 v[65:68], v7 offset0:224 offset1:240
	ds_load_b128 v[69:72], v8 offset:96
	ds_load_b128 v[73:76], v8 offset:112
	s_cmp_lt_i32 s13, s12
	s_waitcnt lgkmcnt(0)
	s_barrier
	buffer_gl0_inv
	v_dual_mul_f32 v77, v18, v14 :: v_dual_mul_f32 v78, v20, v16
	v_mul_f32_e32 v14, v17, v14
	v_dual_mul_f32 v16, v19, v16 :: v_dual_mul_f32 v79, v22, v26
	v_mul_f32_e32 v26, v21, v26
	v_dual_mul_f32 v80, v24, v28 :: v_dual_mul_f32 v81, v34, v30
	v_fma_f32 v17, v17, v13, -v77
	v_mul_f32_e32 v30, v33, v30
	s_delay_alu instid0(VALU_DEP_4) | instskip(NEXT) | instid1(VALU_DEP_4)
	v_fmac_f32_e32 v26, v22, v25
	v_fma_f32 v22, v23, v27, -v80
	v_fmac_f32_e32 v14, v18, v13
	v_fma_f32 v13, v19, v15, -v78
	v_add_f32_e32 v11, v11, v17
	v_dual_mul_f32 v28, v23, v28 :: v_dual_mul_f32 v83, v38, v42
	v_mul_f32_e32 v42, v37, v42
	v_fma_f32 v21, v21, v25, -v79
	s_delay_alu instid0(VALU_DEP_4) | instskip(SKIP_2) | instid1(VALU_DEP_3)
	v_dual_add_f32 v11, v11, v13 :: v_dual_fmac_f32 v16, v20, v15
	v_dual_mul_f32 v82, v36, v32 :: v_dual_mul_f32 v85, v54, v46
	v_dual_mul_f32 v84, v40, v44 :: v_dual_mul_f32 v17, v73, v66
	v_add_f32_e32 v11, v11, v21
	v_fma_f32 v21, v33, v29, -v81
	v_mul_f32_e32 v15, v56, v48
	v_mul_f32_e32 v18, v55, v48
	v_dual_mul_f32 v32, v35, v32 :: v_dual_mul_f32 v19, v58, v50
	v_add_f32_e32 v11, v11, v22
	v_mul_f32_e32 v20, v57, v50
	v_fma_f32 v22, v35, v31, -v82
	v_mul_f32_e32 v50, v59, v52
	v_fma_f32 v15, v55, v47, -v15
	v_dual_add_f32 v11, v11, v21 :: v_dual_mul_f32 v48, v60, v52
	v_fma_f32 v21, v37, v41, -v83
	v_fma_f32 v19, v57, v49, -v19
	v_mul_f32_e32 v23, v72, v64
	s_delay_alu instid0(VALU_DEP_4) | instskip(SKIP_3) | instid1(VALU_DEP_4)
	v_add_f32_e32 v11, v11, v22
	v_mul_f32_e32 v52, v70, v62
	v_fma_f32 v22, v39, v43, -v84
	v_dual_mul_f32 v46, v53, v46 :: v_dual_mul_f32 v13, v76, v68
	v_add_f32_e32 v11, v11, v21
	v_fma_f32 v21, v53, v45, -v85
	v_fmac_f32_e32 v32, v36, v31
	v_dual_mul_f32 v44, v39, v44 :: v_dual_fmac_f32 v17, v74, v65
	s_delay_alu instid0(VALU_DEP_4) | instskip(SKIP_3) | instid1(VALU_DEP_4)
	v_add_f32_e32 v11, v11, v22
	v_mul_f32_e32 v62, v69, v62
	v_fma_f32 v13, v75, v67, -v13
	v_fmac_f32_e32 v42, v38, v41
	v_dual_fmac_f32 v44, v40, v43 :: v_dual_add_f32 v11, v11, v21
	v_add_f32_e32 v12, v12, v14
	v_fmac_f32_e32 v46, v54, v45
	v_fmac_f32_e32 v18, v56, v47
	s_delay_alu instid0(VALU_DEP_4) | instskip(SKIP_3) | instid1(VALU_DEP_4)
	v_dual_fmac_f32 v20, v58, v49 :: v_dual_add_f32 v11, v11, v15
	v_mul_f32_e32 v14, v74, v66
	v_fma_f32 v15, v59, v51, -v48
	v_fmac_f32_e32 v50, v60, v51
	v_dual_fmac_f32 v62, v70, v61 :: v_dual_add_f32 v11, v11, v19
	v_add_f32_e32 v12, v12, v16
	v_fma_f32 v14, v73, v65, -v14
	v_fmac_f32_e32 v30, v34, v29
	v_mul_f32_e32 v16, v75, v68
	v_add_f32_e32 v11, v11, v15
	v_fmac_f32_e32 v28, v24, v27
	v_fma_f32 v15, v71, v63, -v23
	v_add_f32_e32 v12, v12, v26
	v_mul_f32_e32 v24, v71, v64
	v_fmac_f32_e32 v16, v76, v67
	s_delay_alu instid0(VALU_DEP_3) | instskip(NEXT) | instid1(VALU_DEP_3)
	v_add_f32_e32 v12, v12, v28
	v_fmac_f32_e32 v24, v72, v63
	s_delay_alu instid0(VALU_DEP_2) | instskip(NEXT) | instid1(VALU_DEP_1)
	v_add_f32_e32 v12, v12, v30
	v_add_f32_e32 v12, v12, v32
	s_delay_alu instid0(VALU_DEP_1) | instskip(NEXT) | instid1(VALU_DEP_1)
	v_add_f32_e32 v12, v12, v42
	v_add_f32_e32 v12, v12, v44
	s_delay_alu instid0(VALU_DEP_1) | instskip(NEXT) | instid1(VALU_DEP_1)
	v_add_f32_e32 v12, v12, v46
	v_add_f32_e32 v12, v12, v18
	v_fma_f32 v18, v69, v61, -v52
	s_delay_alu instid0(VALU_DEP_1) | instskip(NEXT) | instid1(VALU_DEP_1)
	v_dual_add_f32 v12, v12, v20 :: v_dual_add_f32 v11, v11, v18
	v_dual_add_f32 v12, v12, v50 :: v_dual_add_f32 v11, v11, v15
	s_delay_alu instid0(VALU_DEP_1) | instskip(NEXT) | instid1(VALU_DEP_1)
	v_add_f32_e32 v12, v12, v62
	v_dual_add_f32 v11, v11, v14 :: v_dual_add_f32 v12, v12, v24
	s_delay_alu instid0(VALU_DEP_1) | instskip(NEXT) | instid1(VALU_DEP_2)
	v_add_f32_e32 v11, v11, v13
	v_add_f32_e32 v12, v12, v17
	s_delay_alu instid0(VALU_DEP_1)
	v_add_f32_e32 v12, v12, v16
	s_cbranch_scc1 .LBB194_2
.LBB194_3:
	s_mov_b32 s2, exec_lo
	v_cmpx_le_i32_e64 v2, v0
	s_cbranch_execz .LBB194_5
; %bb.4:
	s_clause 0x2
	s_load_b32 s6, s[0:1], 0x50
	s_load_b64 s[2:3], s[0:1], 0x58
	s_load_b64 s[0:1], s[0:1], 0x48
	v_lshlrev_b64 v[5:6], 3, v[0:1]
	s_waitcnt lgkmcnt(0)
	v_mad_i64_i32 v[3:4], null, s6, v2, 0
	s_mul_i32 s3, s15, s3
	s_mul_hi_u32 s6, s15, s2
	s_mul_i32 s2, s15, s2
	s_add_i32 s3, s6, s3
	v_mul_f32_e32 v2, s4, v12
	s_lshl_b64 s[2:3], s[2:3], 3
	s_delay_alu instid0(VALU_DEP_2) | instskip(SKIP_3) | instid1(VALU_DEP_2)
	v_lshlrev_b64 v[3:4], 3, v[3:4]
	s_add_u32 s0, s0, s2
	s_addc_u32 s1, s1, s3
	v_dual_mul_f32 v7, s5, v12 :: v_dual_fmac_f32 v2, s5, v11
	v_add_co_u32 v0, vcc_lo, s0, v3
	s_delay_alu instid0(VALU_DEP_3) | instskip(NEXT) | instid1(VALU_DEP_3)
	v_add_co_ci_u32_e32 v4, vcc_lo, s1, v4, vcc_lo
	v_fma_f32 v1, v11, s4, -v7
	s_delay_alu instid0(VALU_DEP_3) | instskip(NEXT) | instid1(VALU_DEP_3)
	v_add_co_u32 v3, vcc_lo, v0, v5
	v_add_co_ci_u32_e32 v4, vcc_lo, v4, v6, vcc_lo
	global_store_b64 v[3:4], v[1:2], off
.LBB194_5:
	s_nop 0
	s_sendmsg sendmsg(MSG_DEALLOC_VGPRS)
	s_endpgm
	.section	.rodata,"a",@progbits
	.p2align	6, 0x0
	.amdhsa_kernel _ZL41rocblas_syrkx_herkx_small_restrict_kernelIi19rocblas_complex_numIfELi16ELb1ELb0ELc78ELc76EKS1_S1_EviT_T0_PT6_S3_lS6_S3_lS4_PT7_S3_li
		.amdhsa_group_segment_fixed_size 4096
		.amdhsa_private_segment_fixed_size 0
		.amdhsa_kernarg_size 100
		.amdhsa_user_sgpr_count 13
		.amdhsa_user_sgpr_dispatch_ptr 0
		.amdhsa_user_sgpr_queue_ptr 0
		.amdhsa_user_sgpr_kernarg_segment_ptr 1
		.amdhsa_user_sgpr_dispatch_id 0
		.amdhsa_user_sgpr_private_segment_size 0
		.amdhsa_wavefront_size32 1
		.amdhsa_uses_dynamic_stack 0
		.amdhsa_enable_private_segment 0
		.amdhsa_system_sgpr_workgroup_id_x 1
		.amdhsa_system_sgpr_workgroup_id_y 1
		.amdhsa_system_sgpr_workgroup_id_z 1
		.amdhsa_system_sgpr_workgroup_info 0
		.amdhsa_system_vgpr_workitem_id 1
		.amdhsa_next_free_vgpr 86
		.amdhsa_next_free_sgpr 20
		.amdhsa_reserve_vcc 1
		.amdhsa_float_round_mode_32 0
		.amdhsa_float_round_mode_16_64 0
		.amdhsa_float_denorm_mode_32 3
		.amdhsa_float_denorm_mode_16_64 3
		.amdhsa_dx10_clamp 1
		.amdhsa_ieee_mode 1
		.amdhsa_fp16_overflow 0
		.amdhsa_workgroup_processor_mode 1
		.amdhsa_memory_ordered 1
		.amdhsa_forward_progress 0
		.amdhsa_shared_vgpr_count 0
		.amdhsa_exception_fp_ieee_invalid_op 0
		.amdhsa_exception_fp_denorm_src 0
		.amdhsa_exception_fp_ieee_div_zero 0
		.amdhsa_exception_fp_ieee_overflow 0
		.amdhsa_exception_fp_ieee_underflow 0
		.amdhsa_exception_fp_ieee_inexact 0
		.amdhsa_exception_int_div_zero 0
	.end_amdhsa_kernel
	.section	.text._ZL41rocblas_syrkx_herkx_small_restrict_kernelIi19rocblas_complex_numIfELi16ELb1ELb0ELc78ELc76EKS1_S1_EviT_T0_PT6_S3_lS6_S3_lS4_PT7_S3_li,"axG",@progbits,_ZL41rocblas_syrkx_herkx_small_restrict_kernelIi19rocblas_complex_numIfELi16ELb1ELb0ELc78ELc76EKS1_S1_EviT_T0_PT6_S3_lS6_S3_lS4_PT7_S3_li,comdat
.Lfunc_end194:
	.size	_ZL41rocblas_syrkx_herkx_small_restrict_kernelIi19rocblas_complex_numIfELi16ELb1ELb0ELc78ELc76EKS1_S1_EviT_T0_PT6_S3_lS6_S3_lS4_PT7_S3_li, .Lfunc_end194-_ZL41rocblas_syrkx_herkx_small_restrict_kernelIi19rocblas_complex_numIfELi16ELb1ELb0ELc78ELc76EKS1_S1_EviT_T0_PT6_S3_lS6_S3_lS4_PT7_S3_li
                                        ; -- End function
	.section	.AMDGPU.csdata,"",@progbits
; Kernel info:
; codeLenInByte = 1300
; NumSgprs: 22
; NumVgprs: 86
; ScratchSize: 0
; MemoryBound: 0
; FloatMode: 240
; IeeeMode: 1
; LDSByteSize: 4096 bytes/workgroup (compile time only)
; SGPRBlocks: 2
; VGPRBlocks: 10
; NumSGPRsForWavesPerEU: 22
; NumVGPRsForWavesPerEU: 86
; Occupancy: 16
; WaveLimiterHint : 0
; COMPUTE_PGM_RSRC2:SCRATCH_EN: 0
; COMPUTE_PGM_RSRC2:USER_SGPR: 13
; COMPUTE_PGM_RSRC2:TRAP_HANDLER: 0
; COMPUTE_PGM_RSRC2:TGID_X_EN: 1
; COMPUTE_PGM_RSRC2:TGID_Y_EN: 1
; COMPUTE_PGM_RSRC2:TGID_Z_EN: 1
; COMPUTE_PGM_RSRC2:TIDIG_COMP_CNT: 1
	.section	.text._ZL41rocblas_syrkx_herkx_small_restrict_kernelIi19rocblas_complex_numIfELi16ELb1ELb0ELc84ELc85EKS1_S1_EviT_T0_PT6_S3_lS6_S3_lS4_PT7_S3_li,"axG",@progbits,_ZL41rocblas_syrkx_herkx_small_restrict_kernelIi19rocblas_complex_numIfELi16ELb1ELb0ELc84ELc85EKS1_S1_EviT_T0_PT6_S3_lS6_S3_lS4_PT7_S3_li,comdat
	.globl	_ZL41rocblas_syrkx_herkx_small_restrict_kernelIi19rocblas_complex_numIfELi16ELb1ELb0ELc84ELc85EKS1_S1_EviT_T0_PT6_S3_lS6_S3_lS4_PT7_S3_li ; -- Begin function _ZL41rocblas_syrkx_herkx_small_restrict_kernelIi19rocblas_complex_numIfELi16ELb1ELb0ELc84ELc85EKS1_S1_EviT_T0_PT6_S3_lS6_S3_lS4_PT7_S3_li
	.p2align	8
	.type	_ZL41rocblas_syrkx_herkx_small_restrict_kernelIi19rocblas_complex_numIfELi16ELb1ELb0ELc84ELc85EKS1_S1_EviT_T0_PT6_S3_lS6_S3_lS4_PT7_S3_li,@function
_ZL41rocblas_syrkx_herkx_small_restrict_kernelIi19rocblas_complex_numIfELi16ELb1ELb0ELc84ELc85EKS1_S1_EviT_T0_PT6_S3_lS6_S3_lS4_PT7_S3_li: ; @_ZL41rocblas_syrkx_herkx_small_restrict_kernelIi19rocblas_complex_numIfELi16ELb1ELb0ELc84ELc85EKS1_S1_EviT_T0_PT6_S3_lS6_S3_lS4_PT7_S3_li
; %bb.0:
	s_clause 0x1
	s_load_b32 s2, s[0:1], 0x4
	s_load_b128 s[4:7], s[0:1], 0x8
	v_dual_mov_b32 v11, 0 :: v_dual_and_b32 v2, 0x3ff, v0
	v_bfe_u32 v1, v0, 10, 10
	v_mov_b32_e32 v10, 0
	s_mov_b32 s3, 0
	s_delay_alu instid0(VALU_DEP_3) | instskip(NEXT) | instid1(VALU_DEP_3)
	v_lshl_add_u32 v0, s13, 4, v2
	v_lshl_add_u32 v5, s14, 4, v1
	s_waitcnt lgkmcnt(0)
	s_cmp_lt_i32 s2, 1
	s_cbranch_scc1 .LBB195_3
; %bb.1:
	s_clause 0x3
	s_load_b32 s14, s[0:1], 0x30
	s_load_b64 s[12:13], s[0:1], 0x38
	s_load_b32 s16, s[0:1], 0x18
	s_load_b128 s[8:11], s[0:1], 0x20
	v_lshlrev_b32_e32 v3, 7, v1
	v_dual_mov_b32 v11, 0 :: v_dual_lshlrev_b32 v6, 3, v2
	v_lshlrev_b32_e32 v10, 3, v1
	s_delay_alu instid0(VALU_DEP_3) | instskip(NEXT) | instid1(VALU_DEP_3)
	v_add_nc_u32_e32 v7, 0x800, v3
	v_add_nc_u32_e32 v8, v6, v3
	s_delay_alu instid0(VALU_DEP_2)
	v_add_nc_u32_e32 v9, v7, v6
	s_waitcnt lgkmcnt(0)
	v_mad_i64_i32 v[1:2], null, s14, v5, 0
	v_mad_i64_i32 v[3:4], null, s16, v0, 0
	s_mul_i32 s13, s13, s15
	s_mul_hi_u32 s14, s12, s15
	s_mul_i32 s12, s12, s15
	s_add_i32 s13, s14, s13
	s_delay_alu instid0(VALU_DEP_2)
	v_lshlrev_b64 v[1:2], 3, v[1:2]
	s_mul_i32 s9, s9, s15
	s_mul_hi_u32 s16, s8, s15
	v_lshlrev_b64 v[3:4], 3, v[3:4]
	s_lshl_b64 s[12:13], s[12:13], 3
	s_mul_i32 s8, s8, s15
	s_add_i32 s9, s16, s9
	v_add_co_u32 v1, vcc_lo, v1, s12
	s_lshl_b64 s[8:9], s[8:9], 3
	v_add_co_ci_u32_e32 v2, vcc_lo, s13, v2, vcc_lo
	v_add_co_u32 v3, vcc_lo, v3, s8
	v_add_co_ci_u32_e32 v4, vcc_lo, s9, v4, vcc_lo
	v_add_co_u32 v1, vcc_lo, v1, v6
	s_delay_alu instid0(VALU_DEP_4) | instskip(NEXT) | instid1(VALU_DEP_4)
	v_add_co_ci_u32_e32 v2, vcc_lo, 0, v2, vcc_lo
	v_add_co_u32 v3, vcc_lo, v3, v10
	s_delay_alu instid0(VALU_DEP_4) | instskip(NEXT) | instid1(VALU_DEP_4)
	;; [unrolled: 3-line block ×3, first 2 shown]
	v_add_co_ci_u32_e32 v2, vcc_lo, s11, v2, vcc_lo
	v_add_co_u32 v3, vcc_lo, s6, v3
	s_delay_alu instid0(VALU_DEP_4)
	v_add_co_ci_u32_e32 v4, vcc_lo, s7, v4, vcc_lo
	v_mov_b32_e32 v10, 0
.LBB195_2:                              ; =>This Inner Loop Header: Depth=1
	global_load_b64 v[12:13], v[3:4], off
	global_load_b64 v[14:15], v[1:2], off
	v_add_co_u32 v1, vcc_lo, 0x80, v1
	v_add_co_ci_u32_e32 v2, vcc_lo, 0, v2, vcc_lo
	v_add_co_u32 v3, vcc_lo, 0x80, v3
	v_add_co_ci_u32_e32 v4, vcc_lo, 0, v4, vcc_lo
	s_add_i32 s3, s3, 16
	s_waitcnt vmcnt(1)
	ds_store_b64 v8, v[12:13]
	s_waitcnt vmcnt(0)
	ds_store_b64 v9, v[14:15]
	s_waitcnt lgkmcnt(0)
	s_barrier
	buffer_gl0_inv
	ds_load_2addr_b64 v[12:15], v6 offset1:16
	ds_load_b128 v[16:19], v7
	ds_load_b128 v[20:23], v7 offset:16
	ds_load_2addr_b64 v[24:27], v6 offset0:32 offset1:48
	ds_load_2addr_b64 v[28:31], v6 offset0:64 offset1:80
	ds_load_b128 v[32:35], v7 offset:32
	ds_load_b128 v[36:39], v7 offset:48
	ds_load_2addr_b64 v[40:43], v6 offset0:96 offset1:112
	ds_load_2addr_b64 v[44:47], v6 offset0:128 offset1:144
	;; [unrolled: 1-line block ×3, first 2 shown]
	ds_load_b128 v[52:55], v7 offset:64
	ds_load_b128 v[56:59], v7 offset:80
	ds_load_2addr_b64 v[60:63], v6 offset0:192 offset1:208
	ds_load_2addr_b64 v[64:67], v6 offset0:224 offset1:240
	ds_load_b128 v[68:71], v7 offset:96
	ds_load_b128 v[72:75], v7 offset:112
	s_cmp_lt_i32 s3, s2
	s_waitcnt lgkmcnt(0)
	s_barrier
	buffer_gl0_inv
	v_dual_mul_f32 v76, v17, v13 :: v_dual_mul_f32 v77, v19, v15
	v_mul_f32_e32 v13, v16, v13
	v_dual_mul_f32 v15, v18, v15 :: v_dual_mul_f32 v78, v21, v25
	v_mul_f32_e32 v25, v20, v25
	v_dual_mul_f32 v79, v23, v27 :: v_dual_mul_f32 v80, v33, v29
	v_fma_f32 v16, v16, v12, -v76
	v_mul_f32_e32 v29, v32, v29
	s_delay_alu instid0(VALU_DEP_4) | instskip(NEXT) | instid1(VALU_DEP_4)
	v_fmac_f32_e32 v25, v21, v24
	v_fma_f32 v21, v22, v26, -v79
	v_fmac_f32_e32 v13, v17, v12
	v_fma_f32 v12, v18, v14, -v77
	v_add_f32_e32 v10, v10, v16
	v_dual_mul_f32 v27, v22, v27 :: v_dual_mul_f32 v82, v37, v41
	v_mul_f32_e32 v41, v36, v41
	v_fma_f32 v20, v20, v24, -v78
	s_delay_alu instid0(VALU_DEP_4) | instskip(SKIP_2) | instid1(VALU_DEP_3)
	v_dual_add_f32 v10, v10, v12 :: v_dual_fmac_f32 v15, v19, v14
	v_dual_mul_f32 v81, v35, v31 :: v_dual_mul_f32 v84, v53, v45
	v_dual_mul_f32 v83, v39, v43 :: v_dual_mul_f32 v16, v72, v65
	v_add_f32_e32 v10, v10, v20
	v_fma_f32 v20, v32, v28, -v80
	v_mul_f32_e32 v14, v55, v47
	v_mul_f32_e32 v17, v54, v47
	v_dual_mul_f32 v31, v34, v31 :: v_dual_mul_f32 v18, v57, v49
	v_add_f32_e32 v10, v10, v21
	v_mul_f32_e32 v19, v56, v49
	v_fma_f32 v21, v34, v30, -v81
	v_mul_f32_e32 v49, v58, v51
	v_fma_f32 v14, v54, v46, -v14
	v_dual_add_f32 v10, v10, v20 :: v_dual_mul_f32 v47, v59, v51
	v_fma_f32 v20, v36, v40, -v82
	v_fma_f32 v18, v56, v48, -v18
	v_mul_f32_e32 v22, v71, v63
	s_delay_alu instid0(VALU_DEP_4) | instskip(SKIP_3) | instid1(VALU_DEP_4)
	v_add_f32_e32 v10, v10, v21
	v_mul_f32_e32 v51, v69, v61
	v_fma_f32 v21, v38, v42, -v83
	v_dual_mul_f32 v45, v52, v45 :: v_dual_mul_f32 v12, v75, v67
	v_add_f32_e32 v10, v10, v20
	v_fma_f32 v20, v52, v44, -v84
	v_fmac_f32_e32 v31, v35, v30
	v_dual_mul_f32 v43, v38, v43 :: v_dual_fmac_f32 v16, v73, v64
	s_delay_alu instid0(VALU_DEP_4) | instskip(SKIP_3) | instid1(VALU_DEP_4)
	v_add_f32_e32 v10, v10, v21
	v_mul_f32_e32 v61, v68, v61
	v_fma_f32 v12, v74, v66, -v12
	v_fmac_f32_e32 v41, v37, v40
	v_dual_fmac_f32 v43, v39, v42 :: v_dual_add_f32 v10, v10, v20
	v_add_f32_e32 v11, v11, v13
	v_fmac_f32_e32 v45, v53, v44
	v_fmac_f32_e32 v17, v55, v46
	s_delay_alu instid0(VALU_DEP_4) | instskip(SKIP_3) | instid1(VALU_DEP_4)
	v_dual_fmac_f32 v19, v57, v48 :: v_dual_add_f32 v10, v10, v14
	v_mul_f32_e32 v13, v73, v65
	v_fma_f32 v14, v58, v50, -v47
	v_fmac_f32_e32 v49, v59, v50
	v_dual_fmac_f32 v61, v69, v60 :: v_dual_add_f32 v10, v10, v18
	v_add_f32_e32 v11, v11, v15
	v_fma_f32 v13, v72, v64, -v13
	v_fmac_f32_e32 v29, v33, v28
	v_mul_f32_e32 v15, v74, v67
	v_add_f32_e32 v10, v10, v14
	v_fmac_f32_e32 v27, v23, v26
	v_fma_f32 v14, v70, v62, -v22
	v_add_f32_e32 v11, v11, v25
	v_mul_f32_e32 v23, v70, v63
	v_fmac_f32_e32 v15, v75, v66
	s_delay_alu instid0(VALU_DEP_3) | instskip(NEXT) | instid1(VALU_DEP_3)
	v_add_f32_e32 v11, v11, v27
	v_fmac_f32_e32 v23, v71, v62
	s_delay_alu instid0(VALU_DEP_2) | instskip(NEXT) | instid1(VALU_DEP_1)
	v_add_f32_e32 v11, v11, v29
	v_add_f32_e32 v11, v11, v31
	s_delay_alu instid0(VALU_DEP_1) | instskip(NEXT) | instid1(VALU_DEP_1)
	v_add_f32_e32 v11, v11, v41
	v_add_f32_e32 v11, v11, v43
	s_delay_alu instid0(VALU_DEP_1) | instskip(NEXT) | instid1(VALU_DEP_1)
	v_add_f32_e32 v11, v11, v45
	v_add_f32_e32 v11, v11, v17
	v_fma_f32 v17, v68, v60, -v51
	s_delay_alu instid0(VALU_DEP_1) | instskip(NEXT) | instid1(VALU_DEP_1)
	v_dual_add_f32 v11, v11, v19 :: v_dual_add_f32 v10, v10, v17
	v_dual_add_f32 v11, v11, v49 :: v_dual_add_f32 v10, v10, v14
	s_delay_alu instid0(VALU_DEP_1) | instskip(NEXT) | instid1(VALU_DEP_1)
	v_add_f32_e32 v11, v11, v61
	v_dual_add_f32 v10, v10, v13 :: v_dual_add_f32 v11, v11, v23
	s_delay_alu instid0(VALU_DEP_1) | instskip(NEXT) | instid1(VALU_DEP_2)
	v_add_f32_e32 v10, v10, v12
	v_add_f32_e32 v11, v11, v16
	s_delay_alu instid0(VALU_DEP_1)
	v_add_f32_e32 v11, v11, v15
	s_cbranch_scc1 .LBB195_2
.LBB195_3:
	s_mov_b32 s2, exec_lo
	v_cmpx_le_i32_e64 v0, v5
	s_cbranch_execz .LBB195_5
; %bb.4:
	s_clause 0x2
	s_load_b32 s6, s[0:1], 0x50
	s_load_b64 s[2:3], s[0:1], 0x58
	s_load_b64 s[0:1], s[0:1], 0x48
	v_ashrrev_i32_e32 v1, 31, v0
	s_delay_alu instid0(VALU_DEP_1)
	v_lshlrev_b64 v[0:1], 3, v[0:1]
	s_waitcnt lgkmcnt(0)
	v_mad_i64_i32 v[2:3], null, s6, v5, 0
	v_mul_f32_e32 v5, s4, v11
	v_mul_f32_e32 v4, s5, v11
	s_mul_i32 s3, s15, s3
	s_delay_alu instid0(VALU_DEP_2) | instskip(NEXT) | instid1(VALU_DEP_2)
	v_fmac_f32_e32 v5, s5, v10
	v_fma_f32 v4, v10, s4, -v4
	s_mul_hi_u32 s4, s15, s2
	s_mul_i32 s2, s15, s2
	s_add_i32 s3, s4, s3
	v_lshlrev_b64 v[2:3], 3, v[2:3]
	s_lshl_b64 s[2:3], s[2:3], 3
	s_delay_alu instid0(SALU_CYCLE_1) | instskip(SKIP_1) | instid1(VALU_DEP_1)
	s_add_u32 s0, s0, s2
	s_addc_u32 s1, s1, s3
	v_add_co_u32 v2, vcc_lo, s0, v2
	s_delay_alu instid0(VALU_DEP_2) | instskip(NEXT) | instid1(VALU_DEP_2)
	v_add_co_ci_u32_e32 v3, vcc_lo, s1, v3, vcc_lo
	v_add_co_u32 v0, vcc_lo, v2, v0
	s_delay_alu instid0(VALU_DEP_2)
	v_add_co_ci_u32_e32 v1, vcc_lo, v3, v1, vcc_lo
	global_store_b64 v[0:1], v[4:5], off
.LBB195_5:
	s_nop 0
	s_sendmsg sendmsg(MSG_DEALLOC_VGPRS)
	s_endpgm
	.section	.rodata,"a",@progbits
	.p2align	6, 0x0
	.amdhsa_kernel _ZL41rocblas_syrkx_herkx_small_restrict_kernelIi19rocblas_complex_numIfELi16ELb1ELb0ELc84ELc85EKS1_S1_EviT_T0_PT6_S3_lS6_S3_lS4_PT7_S3_li
		.amdhsa_group_segment_fixed_size 4096
		.amdhsa_private_segment_fixed_size 0
		.amdhsa_kernarg_size 100
		.amdhsa_user_sgpr_count 13
		.amdhsa_user_sgpr_dispatch_ptr 0
		.amdhsa_user_sgpr_queue_ptr 0
		.amdhsa_user_sgpr_kernarg_segment_ptr 1
		.amdhsa_user_sgpr_dispatch_id 0
		.amdhsa_user_sgpr_private_segment_size 0
		.amdhsa_wavefront_size32 1
		.amdhsa_uses_dynamic_stack 0
		.amdhsa_enable_private_segment 0
		.amdhsa_system_sgpr_workgroup_id_x 1
		.amdhsa_system_sgpr_workgroup_id_y 1
		.amdhsa_system_sgpr_workgroup_id_z 1
		.amdhsa_system_sgpr_workgroup_info 0
		.amdhsa_system_vgpr_workitem_id 1
		.amdhsa_next_free_vgpr 85
		.amdhsa_next_free_sgpr 17
		.amdhsa_reserve_vcc 1
		.amdhsa_float_round_mode_32 0
		.amdhsa_float_round_mode_16_64 0
		.amdhsa_float_denorm_mode_32 3
		.amdhsa_float_denorm_mode_16_64 3
		.amdhsa_dx10_clamp 1
		.amdhsa_ieee_mode 1
		.amdhsa_fp16_overflow 0
		.amdhsa_workgroup_processor_mode 1
		.amdhsa_memory_ordered 1
		.amdhsa_forward_progress 0
		.amdhsa_shared_vgpr_count 0
		.amdhsa_exception_fp_ieee_invalid_op 0
		.amdhsa_exception_fp_denorm_src 0
		.amdhsa_exception_fp_ieee_div_zero 0
		.amdhsa_exception_fp_ieee_overflow 0
		.amdhsa_exception_fp_ieee_underflow 0
		.amdhsa_exception_fp_ieee_inexact 0
		.amdhsa_exception_int_div_zero 0
	.end_amdhsa_kernel
	.section	.text._ZL41rocblas_syrkx_herkx_small_restrict_kernelIi19rocblas_complex_numIfELi16ELb1ELb0ELc84ELc85EKS1_S1_EviT_T0_PT6_S3_lS6_S3_lS4_PT7_S3_li,"axG",@progbits,_ZL41rocblas_syrkx_herkx_small_restrict_kernelIi19rocblas_complex_numIfELi16ELb1ELb0ELc84ELc85EKS1_S1_EviT_T0_PT6_S3_lS6_S3_lS4_PT7_S3_li,comdat
.Lfunc_end195:
	.size	_ZL41rocblas_syrkx_herkx_small_restrict_kernelIi19rocblas_complex_numIfELi16ELb1ELb0ELc84ELc85EKS1_S1_EviT_T0_PT6_S3_lS6_S3_lS4_PT7_S3_li, .Lfunc_end195-_ZL41rocblas_syrkx_herkx_small_restrict_kernelIi19rocblas_complex_numIfELi16ELb1ELb0ELc84ELc85EKS1_S1_EviT_T0_PT6_S3_lS6_S3_lS4_PT7_S3_li
                                        ; -- End function
	.section	.AMDGPU.csdata,"",@progbits
; Kernel info:
; codeLenInByte = 1260
; NumSgprs: 19
; NumVgprs: 85
; ScratchSize: 0
; MemoryBound: 0
; FloatMode: 240
; IeeeMode: 1
; LDSByteSize: 4096 bytes/workgroup (compile time only)
; SGPRBlocks: 2
; VGPRBlocks: 10
; NumSGPRsForWavesPerEU: 19
; NumVGPRsForWavesPerEU: 85
; Occupancy: 16
; WaveLimiterHint : 0
; COMPUTE_PGM_RSRC2:SCRATCH_EN: 0
; COMPUTE_PGM_RSRC2:USER_SGPR: 13
; COMPUTE_PGM_RSRC2:TRAP_HANDLER: 0
; COMPUTE_PGM_RSRC2:TGID_X_EN: 1
; COMPUTE_PGM_RSRC2:TGID_Y_EN: 1
; COMPUTE_PGM_RSRC2:TGID_Z_EN: 1
; COMPUTE_PGM_RSRC2:TIDIG_COMP_CNT: 1
	.section	.text._ZL41rocblas_syrkx_herkx_small_restrict_kernelIi19rocblas_complex_numIfELi16ELb1ELb0ELc67ELc85EKS1_S1_EviT_T0_PT6_S3_lS6_S3_lS4_PT7_S3_li,"axG",@progbits,_ZL41rocblas_syrkx_herkx_small_restrict_kernelIi19rocblas_complex_numIfELi16ELb1ELb0ELc67ELc85EKS1_S1_EviT_T0_PT6_S3_lS6_S3_lS4_PT7_S3_li,comdat
	.globl	_ZL41rocblas_syrkx_herkx_small_restrict_kernelIi19rocblas_complex_numIfELi16ELb1ELb0ELc67ELc85EKS1_S1_EviT_T0_PT6_S3_lS6_S3_lS4_PT7_S3_li ; -- Begin function _ZL41rocblas_syrkx_herkx_small_restrict_kernelIi19rocblas_complex_numIfELi16ELb1ELb0ELc67ELc85EKS1_S1_EviT_T0_PT6_S3_lS6_S3_lS4_PT7_S3_li
	.p2align	8
	.type	_ZL41rocblas_syrkx_herkx_small_restrict_kernelIi19rocblas_complex_numIfELi16ELb1ELb0ELc67ELc85EKS1_S1_EviT_T0_PT6_S3_lS6_S3_lS4_PT7_S3_li,@function
_ZL41rocblas_syrkx_herkx_small_restrict_kernelIi19rocblas_complex_numIfELi16ELb1ELb0ELc67ELc85EKS1_S1_EviT_T0_PT6_S3_lS6_S3_lS4_PT7_S3_li: ; @_ZL41rocblas_syrkx_herkx_small_restrict_kernelIi19rocblas_complex_numIfELi16ELb1ELb0ELc67ELc85EKS1_S1_EviT_T0_PT6_S3_lS6_S3_lS4_PT7_S3_li
; %bb.0:
	s_clause 0x1
	s_load_b32 s2, s[0:1], 0x4
	s_load_b128 s[4:7], s[0:1], 0x8
	v_dual_mov_b32 v11, 0 :: v_dual_and_b32 v2, 0x3ff, v0
	v_bfe_u32 v1, v0, 10, 10
	v_mov_b32_e32 v10, 0
	s_mov_b32 s3, 0
	s_delay_alu instid0(VALU_DEP_3) | instskip(NEXT) | instid1(VALU_DEP_3)
	v_lshl_add_u32 v0, s13, 4, v2
	v_lshl_add_u32 v5, s14, 4, v1
	s_waitcnt lgkmcnt(0)
	s_cmp_lt_i32 s2, 1
	s_cbranch_scc1 .LBB196_3
; %bb.1:
	s_clause 0x3
	s_load_b32 s14, s[0:1], 0x30
	s_load_b32 s16, s[0:1], 0x18
	s_load_b64 s[12:13], s[0:1], 0x38
	s_load_b128 s[8:11], s[0:1], 0x20
	v_lshlrev_b32_e32 v3, 7, v1
	v_dual_mov_b32 v11, 0 :: v_dual_lshlrev_b32 v6, 3, v2
	v_lshlrev_b32_e32 v10, 3, v1
	s_delay_alu instid0(VALU_DEP_3) | instskip(NEXT) | instid1(VALU_DEP_3)
	v_add_nc_u32_e32 v7, 0x800, v3
	v_add_nc_u32_e32 v8, v6, v3
	s_delay_alu instid0(VALU_DEP_2)
	v_add_nc_u32_e32 v9, v7, v6
	s_waitcnt lgkmcnt(0)
	v_mad_i64_i32 v[1:2], null, s14, v5, 0
	v_mad_i64_i32 v[3:4], null, s16, v0, 0
	s_mul_i32 s9, s9, s15
	s_mul_hi_u32 s16, s8, s15
	s_mul_i32 s8, s8, s15
	s_add_i32 s9, s16, s9
	s_mul_i32 s13, s13, s15
	s_mul_hi_u32 s14, s12, s15
	s_delay_alu instid0(VALU_DEP_1) | instskip(SKIP_4) | instid1(VALU_DEP_2)
	v_lshlrev_b64 v[3:4], 3, v[3:4]
	v_lshlrev_b64 v[1:2], 3, v[1:2]
	s_lshl_b64 s[8:9], s[8:9], 3
	s_mul_i32 s12, s12, s15
	s_add_i32 s13, s14, s13
	v_add_co_u32 v3, vcc_lo, v3, s8
	s_lshl_b64 s[12:13], s[12:13], 3
	v_add_co_ci_u32_e32 v4, vcc_lo, s9, v4, vcc_lo
	v_add_co_u32 v1, vcc_lo, v1, s12
	v_add_co_ci_u32_e32 v2, vcc_lo, s13, v2, vcc_lo
	v_add_co_u32 v3, vcc_lo, v3, v10
	s_delay_alu instid0(VALU_DEP_4) | instskip(NEXT) | instid1(VALU_DEP_4)
	v_add_co_ci_u32_e32 v4, vcc_lo, 0, v4, vcc_lo
	v_add_co_u32 v1, vcc_lo, v1, v6
	s_delay_alu instid0(VALU_DEP_4) | instskip(NEXT) | instid1(VALU_DEP_4)
	;; [unrolled: 3-line block ×4, first 2 shown]
	v_add_co_ci_u32_e32 v2, vcc_lo, s11, v2, vcc_lo
	v_add_co_u32 v3, vcc_lo, v3, 4
	s_delay_alu instid0(VALU_DEP_4)
	v_add_co_ci_u32_e32 v4, vcc_lo, 0, v4, vcc_lo
	v_mov_b32_e32 v10, 0
.LBB196_2:                              ; =>This Inner Loop Header: Depth=1
	global_load_b64 v[12:13], v[3:4], off offset:-4
	global_load_b64 v[14:15], v[1:2], off
	v_add_co_u32 v1, vcc_lo, 0x80, v1
	v_add_co_ci_u32_e32 v2, vcc_lo, 0, v2, vcc_lo
	v_add_co_u32 v3, vcc_lo, 0x80, v3
	v_add_co_ci_u32_e32 v4, vcc_lo, 0, v4, vcc_lo
	s_add_i32 s3, s3, 16
	s_waitcnt vmcnt(1)
	ds_store_b64 v8, v[12:13]
	s_waitcnt vmcnt(0)
	ds_store_b64 v9, v[14:15]
	s_waitcnt lgkmcnt(0)
	s_barrier
	buffer_gl0_inv
	ds_load_2addr_b64 v[12:15], v6 offset1:16
	ds_load_b128 v[16:19], v7
	ds_load_b128 v[20:23], v7 offset:16
	ds_load_2addr_b64 v[24:27], v6 offset0:32 offset1:48
	ds_load_2addr_b64 v[28:31], v6 offset0:64 offset1:80
	ds_load_b128 v[32:35], v7 offset:32
	ds_load_b128 v[36:39], v7 offset:48
	ds_load_2addr_b64 v[40:43], v6 offset0:96 offset1:112
	ds_load_2addr_b64 v[44:47], v6 offset0:128 offset1:144
	;; [unrolled: 1-line block ×3, first 2 shown]
	ds_load_b128 v[52:55], v7 offset:64
	ds_load_b128 v[56:59], v7 offset:80
	ds_load_2addr_b64 v[60:63], v6 offset0:192 offset1:208
	ds_load_2addr_b64 v[64:67], v6 offset0:224 offset1:240
	ds_load_b128 v[68:71], v7 offset:96
	ds_load_b128 v[72:75], v7 offset:112
	s_cmp_lt_i32 s3, s2
	s_waitcnt lgkmcnt(0)
	s_barrier
	buffer_gl0_inv
	v_dual_mul_f32 v76, v17, v13 :: v_dual_mul_f32 v77, v19, v15
	v_mul_f32_e32 v13, v16, v13
	v_dual_mul_f32 v15, v18, v15 :: v_dual_mul_f32 v78, v21, v25
	v_mul_f32_e32 v25, v20, v25
	v_dual_mul_f32 v79, v23, v27 :: v_dual_mul_f32 v80, v33, v29
	v_fma_f32 v16, v16, v12, -v76
	v_mul_f32_e32 v29, v32, v29
	s_delay_alu instid0(VALU_DEP_4) | instskip(NEXT) | instid1(VALU_DEP_4)
	v_fmac_f32_e32 v25, v21, v24
	v_fma_f32 v21, v22, v26, -v79
	v_fmac_f32_e32 v13, v17, v12
	v_fma_f32 v12, v18, v14, -v77
	v_add_f32_e32 v10, v10, v16
	v_dual_mul_f32 v27, v22, v27 :: v_dual_mul_f32 v82, v37, v41
	v_mul_f32_e32 v41, v36, v41
	v_fma_f32 v20, v20, v24, -v78
	s_delay_alu instid0(VALU_DEP_4) | instskip(SKIP_2) | instid1(VALU_DEP_3)
	v_dual_add_f32 v10, v10, v12 :: v_dual_fmac_f32 v15, v19, v14
	v_dual_mul_f32 v81, v35, v31 :: v_dual_mul_f32 v84, v53, v45
	v_dual_mul_f32 v83, v39, v43 :: v_dual_mul_f32 v16, v72, v65
	v_add_f32_e32 v10, v10, v20
	v_fma_f32 v20, v32, v28, -v80
	v_mul_f32_e32 v14, v55, v47
	v_mul_f32_e32 v17, v54, v47
	v_dual_mul_f32 v31, v34, v31 :: v_dual_mul_f32 v18, v57, v49
	v_add_f32_e32 v10, v10, v21
	v_mul_f32_e32 v19, v56, v49
	v_fma_f32 v21, v34, v30, -v81
	v_mul_f32_e32 v49, v58, v51
	v_fma_f32 v14, v54, v46, -v14
	v_dual_add_f32 v10, v10, v20 :: v_dual_mul_f32 v47, v59, v51
	v_fma_f32 v20, v36, v40, -v82
	v_fma_f32 v18, v56, v48, -v18
	v_mul_f32_e32 v22, v71, v63
	s_delay_alu instid0(VALU_DEP_4) | instskip(SKIP_3) | instid1(VALU_DEP_4)
	v_add_f32_e32 v10, v10, v21
	v_mul_f32_e32 v51, v69, v61
	v_fma_f32 v21, v38, v42, -v83
	v_dual_mul_f32 v45, v52, v45 :: v_dual_mul_f32 v12, v75, v67
	v_add_f32_e32 v10, v10, v20
	v_fma_f32 v20, v52, v44, -v84
	v_fmac_f32_e32 v31, v35, v30
	v_dual_mul_f32 v43, v38, v43 :: v_dual_fmac_f32 v16, v73, v64
	s_delay_alu instid0(VALU_DEP_4) | instskip(SKIP_3) | instid1(VALU_DEP_4)
	v_add_f32_e32 v10, v10, v21
	v_mul_f32_e32 v61, v68, v61
	v_fma_f32 v12, v74, v66, -v12
	v_fmac_f32_e32 v41, v37, v40
	v_dual_fmac_f32 v43, v39, v42 :: v_dual_add_f32 v10, v10, v20
	v_add_f32_e32 v11, v11, v13
	v_fmac_f32_e32 v45, v53, v44
	v_fmac_f32_e32 v17, v55, v46
	s_delay_alu instid0(VALU_DEP_4) | instskip(SKIP_3) | instid1(VALU_DEP_4)
	v_dual_fmac_f32 v19, v57, v48 :: v_dual_add_f32 v10, v10, v14
	v_mul_f32_e32 v13, v73, v65
	v_fma_f32 v14, v58, v50, -v47
	v_fmac_f32_e32 v49, v59, v50
	v_dual_fmac_f32 v61, v69, v60 :: v_dual_add_f32 v10, v10, v18
	v_add_f32_e32 v11, v11, v15
	v_fma_f32 v13, v72, v64, -v13
	v_fmac_f32_e32 v29, v33, v28
	v_mul_f32_e32 v15, v74, v67
	v_add_f32_e32 v10, v10, v14
	v_fmac_f32_e32 v27, v23, v26
	v_fma_f32 v14, v70, v62, -v22
	v_add_f32_e32 v11, v11, v25
	v_mul_f32_e32 v23, v70, v63
	v_fmac_f32_e32 v15, v75, v66
	s_delay_alu instid0(VALU_DEP_3) | instskip(NEXT) | instid1(VALU_DEP_3)
	v_add_f32_e32 v11, v11, v27
	v_fmac_f32_e32 v23, v71, v62
	s_delay_alu instid0(VALU_DEP_2) | instskip(NEXT) | instid1(VALU_DEP_1)
	v_add_f32_e32 v11, v11, v29
	v_add_f32_e32 v11, v11, v31
	s_delay_alu instid0(VALU_DEP_1) | instskip(NEXT) | instid1(VALU_DEP_1)
	v_add_f32_e32 v11, v11, v41
	v_add_f32_e32 v11, v11, v43
	s_delay_alu instid0(VALU_DEP_1) | instskip(NEXT) | instid1(VALU_DEP_1)
	v_add_f32_e32 v11, v11, v45
	v_add_f32_e32 v11, v11, v17
	v_fma_f32 v17, v68, v60, -v51
	s_delay_alu instid0(VALU_DEP_1) | instskip(NEXT) | instid1(VALU_DEP_1)
	v_dual_add_f32 v11, v11, v19 :: v_dual_add_f32 v10, v10, v17
	v_dual_add_f32 v11, v11, v49 :: v_dual_add_f32 v10, v10, v14
	s_delay_alu instid0(VALU_DEP_1) | instskip(NEXT) | instid1(VALU_DEP_1)
	v_add_f32_e32 v11, v11, v61
	v_dual_add_f32 v10, v10, v13 :: v_dual_add_f32 v11, v11, v23
	s_delay_alu instid0(VALU_DEP_1) | instskip(NEXT) | instid1(VALU_DEP_2)
	v_add_f32_e32 v10, v10, v12
	v_add_f32_e32 v11, v11, v16
	s_delay_alu instid0(VALU_DEP_1)
	v_add_f32_e32 v11, v11, v15
	s_cbranch_scc1 .LBB196_2
.LBB196_3:
	s_mov_b32 s2, exec_lo
	v_cmpx_le_i32_e64 v0, v5
	s_cbranch_execz .LBB196_5
; %bb.4:
	s_clause 0x2
	s_load_b32 s6, s[0:1], 0x50
	s_load_b64 s[2:3], s[0:1], 0x58
	s_load_b64 s[0:1], s[0:1], 0x48
	v_ashrrev_i32_e32 v1, 31, v0
	s_delay_alu instid0(VALU_DEP_1)
	v_lshlrev_b64 v[0:1], 3, v[0:1]
	s_waitcnt lgkmcnt(0)
	v_mad_i64_i32 v[2:3], null, s6, v5, 0
	v_mul_f32_e32 v5, s4, v11
	v_mul_f32_e32 v4, s5, v11
	s_mul_i32 s3, s15, s3
	s_delay_alu instid0(VALU_DEP_2) | instskip(NEXT) | instid1(VALU_DEP_2)
	v_fmac_f32_e32 v5, s5, v10
	v_fma_f32 v4, v10, s4, -v4
	s_mul_hi_u32 s4, s15, s2
	s_mul_i32 s2, s15, s2
	s_add_i32 s3, s4, s3
	v_lshlrev_b64 v[2:3], 3, v[2:3]
	s_lshl_b64 s[2:3], s[2:3], 3
	s_delay_alu instid0(SALU_CYCLE_1) | instskip(SKIP_1) | instid1(VALU_DEP_1)
	s_add_u32 s0, s0, s2
	s_addc_u32 s1, s1, s3
	v_add_co_u32 v2, vcc_lo, s0, v2
	s_delay_alu instid0(VALU_DEP_2) | instskip(NEXT) | instid1(VALU_DEP_2)
	v_add_co_ci_u32_e32 v3, vcc_lo, s1, v3, vcc_lo
	v_add_co_u32 v0, vcc_lo, v2, v0
	s_delay_alu instid0(VALU_DEP_2)
	v_add_co_ci_u32_e32 v1, vcc_lo, v3, v1, vcc_lo
	global_store_b64 v[0:1], v[4:5], off
.LBB196_5:
	s_nop 0
	s_sendmsg sendmsg(MSG_DEALLOC_VGPRS)
	s_endpgm
	.section	.rodata,"a",@progbits
	.p2align	6, 0x0
	.amdhsa_kernel _ZL41rocblas_syrkx_herkx_small_restrict_kernelIi19rocblas_complex_numIfELi16ELb1ELb0ELc67ELc85EKS1_S1_EviT_T0_PT6_S3_lS6_S3_lS4_PT7_S3_li
		.amdhsa_group_segment_fixed_size 4096
		.amdhsa_private_segment_fixed_size 0
		.amdhsa_kernarg_size 100
		.amdhsa_user_sgpr_count 13
		.amdhsa_user_sgpr_dispatch_ptr 0
		.amdhsa_user_sgpr_queue_ptr 0
		.amdhsa_user_sgpr_kernarg_segment_ptr 1
		.amdhsa_user_sgpr_dispatch_id 0
		.amdhsa_user_sgpr_private_segment_size 0
		.amdhsa_wavefront_size32 1
		.amdhsa_uses_dynamic_stack 0
		.amdhsa_enable_private_segment 0
		.amdhsa_system_sgpr_workgroup_id_x 1
		.amdhsa_system_sgpr_workgroup_id_y 1
		.amdhsa_system_sgpr_workgroup_id_z 1
		.amdhsa_system_sgpr_workgroup_info 0
		.amdhsa_system_vgpr_workitem_id 1
		.amdhsa_next_free_vgpr 85
		.amdhsa_next_free_sgpr 17
		.amdhsa_reserve_vcc 1
		.amdhsa_float_round_mode_32 0
		.amdhsa_float_round_mode_16_64 0
		.amdhsa_float_denorm_mode_32 3
		.amdhsa_float_denorm_mode_16_64 3
		.amdhsa_dx10_clamp 1
		.amdhsa_ieee_mode 1
		.amdhsa_fp16_overflow 0
		.amdhsa_workgroup_processor_mode 1
		.amdhsa_memory_ordered 1
		.amdhsa_forward_progress 0
		.amdhsa_shared_vgpr_count 0
		.amdhsa_exception_fp_ieee_invalid_op 0
		.amdhsa_exception_fp_denorm_src 0
		.amdhsa_exception_fp_ieee_div_zero 0
		.amdhsa_exception_fp_ieee_overflow 0
		.amdhsa_exception_fp_ieee_underflow 0
		.amdhsa_exception_fp_ieee_inexact 0
		.amdhsa_exception_int_div_zero 0
	.end_amdhsa_kernel
	.section	.text._ZL41rocblas_syrkx_herkx_small_restrict_kernelIi19rocblas_complex_numIfELi16ELb1ELb0ELc67ELc85EKS1_S1_EviT_T0_PT6_S3_lS6_S3_lS4_PT7_S3_li,"axG",@progbits,_ZL41rocblas_syrkx_herkx_small_restrict_kernelIi19rocblas_complex_numIfELi16ELb1ELb0ELc67ELc85EKS1_S1_EviT_T0_PT6_S3_lS6_S3_lS4_PT7_S3_li,comdat
.Lfunc_end196:
	.size	_ZL41rocblas_syrkx_herkx_small_restrict_kernelIi19rocblas_complex_numIfELi16ELb1ELb0ELc67ELc85EKS1_S1_EviT_T0_PT6_S3_lS6_S3_lS4_PT7_S3_li, .Lfunc_end196-_ZL41rocblas_syrkx_herkx_small_restrict_kernelIi19rocblas_complex_numIfELi16ELb1ELb0ELc67ELc85EKS1_S1_EviT_T0_PT6_S3_lS6_S3_lS4_PT7_S3_li
                                        ; -- End function
	.section	.AMDGPU.csdata,"",@progbits
; Kernel info:
; codeLenInByte = 1276
; NumSgprs: 19
; NumVgprs: 85
; ScratchSize: 0
; MemoryBound: 0
; FloatMode: 240
; IeeeMode: 1
; LDSByteSize: 4096 bytes/workgroup (compile time only)
; SGPRBlocks: 2
; VGPRBlocks: 10
; NumSGPRsForWavesPerEU: 19
; NumVGPRsForWavesPerEU: 85
; Occupancy: 16
; WaveLimiterHint : 0
; COMPUTE_PGM_RSRC2:SCRATCH_EN: 0
; COMPUTE_PGM_RSRC2:USER_SGPR: 13
; COMPUTE_PGM_RSRC2:TRAP_HANDLER: 0
; COMPUTE_PGM_RSRC2:TGID_X_EN: 1
; COMPUTE_PGM_RSRC2:TGID_Y_EN: 1
; COMPUTE_PGM_RSRC2:TGID_Z_EN: 1
; COMPUTE_PGM_RSRC2:TIDIG_COMP_CNT: 1
	.section	.text._ZL41rocblas_syrkx_herkx_small_restrict_kernelIi19rocblas_complex_numIfELi16ELb1ELb0ELc78ELc85EKS1_S1_EviT_T0_PT6_S3_lS6_S3_lS4_PT7_S3_li,"axG",@progbits,_ZL41rocblas_syrkx_herkx_small_restrict_kernelIi19rocblas_complex_numIfELi16ELb1ELb0ELc78ELc85EKS1_S1_EviT_T0_PT6_S3_lS6_S3_lS4_PT7_S3_li,comdat
	.globl	_ZL41rocblas_syrkx_herkx_small_restrict_kernelIi19rocblas_complex_numIfELi16ELb1ELb0ELc78ELc85EKS1_S1_EviT_T0_PT6_S3_lS6_S3_lS4_PT7_S3_li ; -- Begin function _ZL41rocblas_syrkx_herkx_small_restrict_kernelIi19rocblas_complex_numIfELi16ELb1ELb0ELc78ELc85EKS1_S1_EviT_T0_PT6_S3_lS6_S3_lS4_PT7_S3_li
	.p2align	8
	.type	_ZL41rocblas_syrkx_herkx_small_restrict_kernelIi19rocblas_complex_numIfELi16ELb1ELb0ELc78ELc85EKS1_S1_EviT_T0_PT6_S3_lS6_S3_lS4_PT7_S3_li,@function
_ZL41rocblas_syrkx_herkx_small_restrict_kernelIi19rocblas_complex_numIfELi16ELb1ELb0ELc78ELc85EKS1_S1_EviT_T0_PT6_S3_lS6_S3_lS4_PT7_S3_li: ; @_ZL41rocblas_syrkx_herkx_small_restrict_kernelIi19rocblas_complex_numIfELi16ELb1ELb0ELc78ELc85EKS1_S1_EviT_T0_PT6_S3_lS6_S3_lS4_PT7_S3_li
; %bb.0:
	s_clause 0x1
	s_load_b32 s12, s[0:1], 0x4
	s_load_b128 s[4:7], s[0:1], 0x8
	v_dual_mov_b32 v12, 0 :: v_dual_and_b32 v5, 0x3ff, v0
	v_bfe_u32 v4, v0, 10, 10
	v_mov_b32_e32 v11, 0
	s_delay_alu instid0(VALU_DEP_3) | instskip(SKIP_1) | instid1(VALU_DEP_3)
	v_lshl_add_u32 v0, s13, 4, v5
	s_mov_b32 s13, 0
	v_lshl_add_u32 v2, s14, 4, v4
	s_delay_alu instid0(VALU_DEP_2)
	v_ashrrev_i32_e32 v1, 31, v0
	s_waitcnt lgkmcnt(0)
	s_cmp_lt_i32 s12, 1
	s_cbranch_scc1 .LBB197_3
; %bb.1:
	s_clause 0x3
	s_load_b32 s2, s[0:1], 0x30
	s_load_b64 s[16:17], s[0:1], 0x38
	s_load_b128 s[8:11], s[0:1], 0x20
	s_load_b32 s18, s[0:1], 0x18
	v_lshlrev_b32_e32 v6, 7, v4
	v_lshlrev_b32_e32 v7, 3, v5
	v_ashrrev_i32_e32 v3, 31, v2
	v_lshlrev_b64 v[11:12], 3, v[0:1]
	s_delay_alu instid0(VALU_DEP_4) | instskip(NEXT) | instid1(VALU_DEP_4)
	v_add_nc_u32_e32 v8, 0x800, v6
	v_add_nc_u32_e32 v9, v7, v6
	s_delay_alu instid0(VALU_DEP_4)
	v_lshlrev_b64 v[13:14], 3, v[2:3]
	s_waitcnt lgkmcnt(0)
	v_mad_i64_i32 v[15:16], null, s2, v5, 0
	s_mul_i32 s14, s17, s15
	s_mul_hi_u32 s17, s16, s15
	v_mad_i64_i32 v[5:6], null, s18, v4, 0
	s_mul_i32 s16, s16, s15
	s_add_i32 s17, s17, s14
	s_delay_alu instid0(VALU_DEP_2)
	v_lshlrev_b64 v[3:4], 3, v[15:16]
	s_lshl_b64 s[16:17], s[16:17], 3
	s_mul_i32 s9, s9, s15
	s_mul_hi_u32 s19, s8, s15
	s_mul_i32 s8, s8, s15
	s_add_i32 s9, s19, s9
	v_add_co_u32 v15, vcc_lo, s16, v3
	v_add_co_ci_u32_e32 v16, vcc_lo, s17, v4, vcc_lo
	v_lshlrev_b64 v[3:4], 3, v[5:6]
	s_delay_alu instid0(VALU_DEP_3) | instskip(SKIP_1) | instid1(VALU_DEP_3)
	v_add_co_u32 v5, vcc_lo, v15, v13
	s_lshl_b64 s[8:9], s[8:9], 3
	v_add_co_ci_u32_e32 v6, vcc_lo, v16, v14, vcc_lo
	s_delay_alu instid0(VALU_DEP_3) | instskip(NEXT) | instid1(VALU_DEP_4)
	v_add_co_u32 v3, vcc_lo, s8, v3
	v_add_co_ci_u32_e32 v4, vcc_lo, s9, v4, vcc_lo
	v_add_co_u32 v5, vcc_lo, v5, s10
	s_delay_alu instid0(VALU_DEP_4) | instskip(NEXT) | instid1(VALU_DEP_4)
	v_add_co_ci_u32_e32 v6, vcc_lo, s11, v6, vcc_lo
	v_add_co_u32 v11, vcc_lo, v3, v11
	s_delay_alu instid0(VALU_DEP_4) | instskip(NEXT) | instid1(VALU_DEP_4)
	;; [unrolled: 3-line block ×3, first 2 shown]
	v_add_co_ci_u32_e32 v4, vcc_lo, 0, v6, vcc_lo
	v_add_co_u32 v5, vcc_lo, s6, v11
	s_delay_alu instid0(VALU_DEP_4)
	v_add_co_ci_u32_e32 v6, vcc_lo, s7, v12, vcc_lo
	v_mov_b32_e32 v12, 0
	v_dual_mov_b32 v11, 0 :: v_dual_add_nc_u32 v10, v8, v7
	s_ashr_i32 s3, s2, 31
	s_ashr_i32 s19, s18, 31
	s_lshl_b64 s[2:3], s[2:3], 7
	s_lshl_b64 s[6:7], s[18:19], 7
.LBB197_2:                              ; =>This Inner Loop Header: Depth=1
	global_load_b64 v[13:14], v[5:6], off
	global_load_b64 v[15:16], v[3:4], off offset:-4
	v_add_co_u32 v3, vcc_lo, v3, s2
	v_add_co_ci_u32_e32 v4, vcc_lo, s3, v4, vcc_lo
	v_add_co_u32 v5, vcc_lo, v5, s6
	v_add_co_ci_u32_e32 v6, vcc_lo, s7, v6, vcc_lo
	s_add_i32 s13, s13, 16
	s_waitcnt vmcnt(1)
	ds_store_b64 v9, v[13:14]
	s_waitcnt vmcnt(0)
	ds_store_b64 v10, v[15:16]
	s_waitcnt lgkmcnt(0)
	s_barrier
	buffer_gl0_inv
	ds_load_2addr_b64 v[13:16], v7 offset1:16
	ds_load_b128 v[17:20], v8
	ds_load_b128 v[21:24], v8 offset:16
	ds_load_2addr_b64 v[25:28], v7 offset0:32 offset1:48
	ds_load_2addr_b64 v[29:32], v7 offset0:64 offset1:80
	ds_load_b128 v[33:36], v8 offset:32
	ds_load_b128 v[37:40], v8 offset:48
	ds_load_2addr_b64 v[41:44], v7 offset0:96 offset1:112
	ds_load_2addr_b64 v[45:48], v7 offset0:128 offset1:144
	ds_load_2addr_b64 v[49:52], v7 offset0:160 offset1:176
	ds_load_b128 v[53:56], v8 offset:64
	ds_load_b128 v[57:60], v8 offset:80
	ds_load_2addr_b64 v[61:64], v7 offset0:192 offset1:208
	ds_load_2addr_b64 v[65:68], v7 offset0:224 offset1:240
	ds_load_b128 v[69:72], v8 offset:96
	ds_load_b128 v[73:76], v8 offset:112
	s_cmp_lt_i32 s13, s12
	s_waitcnt lgkmcnt(0)
	s_barrier
	buffer_gl0_inv
	v_dual_mul_f32 v77, v18, v14 :: v_dual_mul_f32 v78, v20, v16
	v_mul_f32_e32 v14, v17, v14
	v_dual_mul_f32 v16, v19, v16 :: v_dual_mul_f32 v79, v22, v26
	v_mul_f32_e32 v26, v21, v26
	v_dual_mul_f32 v80, v24, v28 :: v_dual_mul_f32 v81, v34, v30
	v_fma_f32 v17, v17, v13, -v77
	v_mul_f32_e32 v30, v33, v30
	s_delay_alu instid0(VALU_DEP_4) | instskip(NEXT) | instid1(VALU_DEP_4)
	v_fmac_f32_e32 v26, v22, v25
	v_fma_f32 v22, v23, v27, -v80
	v_fmac_f32_e32 v14, v18, v13
	v_fma_f32 v13, v19, v15, -v78
	v_add_f32_e32 v11, v11, v17
	v_dual_mul_f32 v28, v23, v28 :: v_dual_mul_f32 v83, v38, v42
	v_mul_f32_e32 v42, v37, v42
	v_fma_f32 v21, v21, v25, -v79
	s_delay_alu instid0(VALU_DEP_4) | instskip(SKIP_2) | instid1(VALU_DEP_3)
	v_dual_add_f32 v11, v11, v13 :: v_dual_fmac_f32 v16, v20, v15
	v_dual_mul_f32 v82, v36, v32 :: v_dual_mul_f32 v85, v54, v46
	v_dual_mul_f32 v84, v40, v44 :: v_dual_mul_f32 v17, v73, v66
	v_add_f32_e32 v11, v11, v21
	v_fma_f32 v21, v33, v29, -v81
	v_mul_f32_e32 v15, v56, v48
	v_mul_f32_e32 v18, v55, v48
	v_dual_mul_f32 v32, v35, v32 :: v_dual_mul_f32 v19, v58, v50
	v_add_f32_e32 v11, v11, v22
	v_mul_f32_e32 v20, v57, v50
	v_fma_f32 v22, v35, v31, -v82
	v_mul_f32_e32 v50, v59, v52
	v_fma_f32 v15, v55, v47, -v15
	v_dual_add_f32 v11, v11, v21 :: v_dual_mul_f32 v48, v60, v52
	v_fma_f32 v21, v37, v41, -v83
	v_fma_f32 v19, v57, v49, -v19
	v_mul_f32_e32 v23, v72, v64
	s_delay_alu instid0(VALU_DEP_4) | instskip(SKIP_3) | instid1(VALU_DEP_4)
	v_add_f32_e32 v11, v11, v22
	v_mul_f32_e32 v52, v70, v62
	v_fma_f32 v22, v39, v43, -v84
	v_dual_mul_f32 v46, v53, v46 :: v_dual_mul_f32 v13, v76, v68
	v_add_f32_e32 v11, v11, v21
	v_fma_f32 v21, v53, v45, -v85
	v_fmac_f32_e32 v32, v36, v31
	v_dual_mul_f32 v44, v39, v44 :: v_dual_fmac_f32 v17, v74, v65
	s_delay_alu instid0(VALU_DEP_4) | instskip(SKIP_3) | instid1(VALU_DEP_4)
	v_add_f32_e32 v11, v11, v22
	v_mul_f32_e32 v62, v69, v62
	v_fma_f32 v13, v75, v67, -v13
	v_fmac_f32_e32 v42, v38, v41
	v_dual_fmac_f32 v44, v40, v43 :: v_dual_add_f32 v11, v11, v21
	v_add_f32_e32 v12, v12, v14
	v_fmac_f32_e32 v46, v54, v45
	v_fmac_f32_e32 v18, v56, v47
	s_delay_alu instid0(VALU_DEP_4) | instskip(SKIP_3) | instid1(VALU_DEP_4)
	v_dual_fmac_f32 v20, v58, v49 :: v_dual_add_f32 v11, v11, v15
	v_mul_f32_e32 v14, v74, v66
	v_fma_f32 v15, v59, v51, -v48
	v_fmac_f32_e32 v50, v60, v51
	v_dual_fmac_f32 v62, v70, v61 :: v_dual_add_f32 v11, v11, v19
	v_add_f32_e32 v12, v12, v16
	v_fma_f32 v14, v73, v65, -v14
	v_fmac_f32_e32 v30, v34, v29
	v_mul_f32_e32 v16, v75, v68
	v_add_f32_e32 v11, v11, v15
	v_fmac_f32_e32 v28, v24, v27
	v_fma_f32 v15, v71, v63, -v23
	v_add_f32_e32 v12, v12, v26
	v_mul_f32_e32 v24, v71, v64
	v_fmac_f32_e32 v16, v76, v67
	s_delay_alu instid0(VALU_DEP_3) | instskip(NEXT) | instid1(VALU_DEP_3)
	v_add_f32_e32 v12, v12, v28
	v_fmac_f32_e32 v24, v72, v63
	s_delay_alu instid0(VALU_DEP_2) | instskip(NEXT) | instid1(VALU_DEP_1)
	v_add_f32_e32 v12, v12, v30
	v_add_f32_e32 v12, v12, v32
	s_delay_alu instid0(VALU_DEP_1) | instskip(NEXT) | instid1(VALU_DEP_1)
	v_add_f32_e32 v12, v12, v42
	v_add_f32_e32 v12, v12, v44
	s_delay_alu instid0(VALU_DEP_1) | instskip(NEXT) | instid1(VALU_DEP_1)
	v_add_f32_e32 v12, v12, v46
	v_add_f32_e32 v12, v12, v18
	v_fma_f32 v18, v69, v61, -v52
	s_delay_alu instid0(VALU_DEP_1) | instskip(NEXT) | instid1(VALU_DEP_1)
	v_dual_add_f32 v12, v12, v20 :: v_dual_add_f32 v11, v11, v18
	v_dual_add_f32 v12, v12, v50 :: v_dual_add_f32 v11, v11, v15
	s_delay_alu instid0(VALU_DEP_1) | instskip(NEXT) | instid1(VALU_DEP_1)
	v_add_f32_e32 v12, v12, v62
	v_dual_add_f32 v11, v11, v14 :: v_dual_add_f32 v12, v12, v24
	s_delay_alu instid0(VALU_DEP_1) | instskip(NEXT) | instid1(VALU_DEP_2)
	v_add_f32_e32 v11, v11, v13
	v_add_f32_e32 v12, v12, v17
	s_delay_alu instid0(VALU_DEP_1)
	v_add_f32_e32 v12, v12, v16
	s_cbranch_scc1 .LBB197_2
.LBB197_3:
	s_mov_b32 s2, exec_lo
	v_cmpx_le_i32_e64 v0, v2
	s_cbranch_execz .LBB197_5
; %bb.4:
	s_clause 0x2
	s_load_b32 s6, s[0:1], 0x50
	s_load_b64 s[2:3], s[0:1], 0x58
	s_load_b64 s[0:1], s[0:1], 0x48
	v_lshlrev_b64 v[5:6], 3, v[0:1]
	s_waitcnt lgkmcnt(0)
	v_mad_i64_i32 v[3:4], null, s6, v2, 0
	s_mul_i32 s3, s15, s3
	s_mul_hi_u32 s6, s15, s2
	s_mul_i32 s2, s15, s2
	s_add_i32 s3, s6, s3
	v_mul_f32_e32 v2, s4, v12
	s_lshl_b64 s[2:3], s[2:3], 3
	s_delay_alu instid0(VALU_DEP_2) | instskip(SKIP_3) | instid1(VALU_DEP_2)
	v_lshlrev_b64 v[3:4], 3, v[3:4]
	s_add_u32 s0, s0, s2
	s_addc_u32 s1, s1, s3
	v_dual_mul_f32 v7, s5, v12 :: v_dual_fmac_f32 v2, s5, v11
	v_add_co_u32 v0, vcc_lo, s0, v3
	s_delay_alu instid0(VALU_DEP_3) | instskip(NEXT) | instid1(VALU_DEP_3)
	v_add_co_ci_u32_e32 v4, vcc_lo, s1, v4, vcc_lo
	v_fma_f32 v1, v11, s4, -v7
	s_delay_alu instid0(VALU_DEP_3) | instskip(NEXT) | instid1(VALU_DEP_3)
	v_add_co_u32 v3, vcc_lo, v0, v5
	v_add_co_ci_u32_e32 v4, vcc_lo, v4, v6, vcc_lo
	global_store_b64 v[3:4], v[1:2], off
.LBB197_5:
	s_nop 0
	s_sendmsg sendmsg(MSG_DEALLOC_VGPRS)
	s_endpgm
	.section	.rodata,"a",@progbits
	.p2align	6, 0x0
	.amdhsa_kernel _ZL41rocblas_syrkx_herkx_small_restrict_kernelIi19rocblas_complex_numIfELi16ELb1ELb0ELc78ELc85EKS1_S1_EviT_T0_PT6_S3_lS6_S3_lS4_PT7_S3_li
		.amdhsa_group_segment_fixed_size 4096
		.amdhsa_private_segment_fixed_size 0
		.amdhsa_kernarg_size 100
		.amdhsa_user_sgpr_count 13
		.amdhsa_user_sgpr_dispatch_ptr 0
		.amdhsa_user_sgpr_queue_ptr 0
		.amdhsa_user_sgpr_kernarg_segment_ptr 1
		.amdhsa_user_sgpr_dispatch_id 0
		.amdhsa_user_sgpr_private_segment_size 0
		.amdhsa_wavefront_size32 1
		.amdhsa_uses_dynamic_stack 0
		.amdhsa_enable_private_segment 0
		.amdhsa_system_sgpr_workgroup_id_x 1
		.amdhsa_system_sgpr_workgroup_id_y 1
		.amdhsa_system_sgpr_workgroup_id_z 1
		.amdhsa_system_sgpr_workgroup_info 0
		.amdhsa_system_vgpr_workitem_id 1
		.amdhsa_next_free_vgpr 86
		.amdhsa_next_free_sgpr 20
		.amdhsa_reserve_vcc 1
		.amdhsa_float_round_mode_32 0
		.amdhsa_float_round_mode_16_64 0
		.amdhsa_float_denorm_mode_32 3
		.amdhsa_float_denorm_mode_16_64 3
		.amdhsa_dx10_clamp 1
		.amdhsa_ieee_mode 1
		.amdhsa_fp16_overflow 0
		.amdhsa_workgroup_processor_mode 1
		.amdhsa_memory_ordered 1
		.amdhsa_forward_progress 0
		.amdhsa_shared_vgpr_count 0
		.amdhsa_exception_fp_ieee_invalid_op 0
		.amdhsa_exception_fp_denorm_src 0
		.amdhsa_exception_fp_ieee_div_zero 0
		.amdhsa_exception_fp_ieee_overflow 0
		.amdhsa_exception_fp_ieee_underflow 0
		.amdhsa_exception_fp_ieee_inexact 0
		.amdhsa_exception_int_div_zero 0
	.end_amdhsa_kernel
	.section	.text._ZL41rocblas_syrkx_herkx_small_restrict_kernelIi19rocblas_complex_numIfELi16ELb1ELb0ELc78ELc85EKS1_S1_EviT_T0_PT6_S3_lS6_S3_lS4_PT7_S3_li,"axG",@progbits,_ZL41rocblas_syrkx_herkx_small_restrict_kernelIi19rocblas_complex_numIfELi16ELb1ELb0ELc78ELc85EKS1_S1_EviT_T0_PT6_S3_lS6_S3_lS4_PT7_S3_li,comdat
.Lfunc_end197:
	.size	_ZL41rocblas_syrkx_herkx_small_restrict_kernelIi19rocblas_complex_numIfELi16ELb1ELb0ELc78ELc85EKS1_S1_EviT_T0_PT6_S3_lS6_S3_lS4_PT7_S3_li, .Lfunc_end197-_ZL41rocblas_syrkx_herkx_small_restrict_kernelIi19rocblas_complex_numIfELi16ELb1ELb0ELc78ELc85EKS1_S1_EviT_T0_PT6_S3_lS6_S3_lS4_PT7_S3_li
                                        ; -- End function
	.section	.AMDGPU.csdata,"",@progbits
; Kernel info:
; codeLenInByte = 1300
; NumSgprs: 22
; NumVgprs: 86
; ScratchSize: 0
; MemoryBound: 0
; FloatMode: 240
; IeeeMode: 1
; LDSByteSize: 4096 bytes/workgroup (compile time only)
; SGPRBlocks: 2
; VGPRBlocks: 10
; NumSGPRsForWavesPerEU: 22
; NumVGPRsForWavesPerEU: 86
; Occupancy: 16
; WaveLimiterHint : 0
; COMPUTE_PGM_RSRC2:SCRATCH_EN: 0
; COMPUTE_PGM_RSRC2:USER_SGPR: 13
; COMPUTE_PGM_RSRC2:TRAP_HANDLER: 0
; COMPUTE_PGM_RSRC2:TGID_X_EN: 1
; COMPUTE_PGM_RSRC2:TGID_Y_EN: 1
; COMPUTE_PGM_RSRC2:TGID_Z_EN: 1
; COMPUTE_PGM_RSRC2:TIDIG_COMP_CNT: 1
	.section	.text._ZL41rocblas_syrkx_herkx_small_restrict_kernelIi19rocblas_complex_numIfELi16ELb0ELb0ELc84ELc76EKS1_S1_EviT_T0_PT6_S3_lS6_S3_lS4_PT7_S3_li,"axG",@progbits,_ZL41rocblas_syrkx_herkx_small_restrict_kernelIi19rocblas_complex_numIfELi16ELb0ELb0ELc84ELc76EKS1_S1_EviT_T0_PT6_S3_lS6_S3_lS4_PT7_S3_li,comdat
	.globl	_ZL41rocblas_syrkx_herkx_small_restrict_kernelIi19rocblas_complex_numIfELi16ELb0ELb0ELc84ELc76EKS1_S1_EviT_T0_PT6_S3_lS6_S3_lS4_PT7_S3_li ; -- Begin function _ZL41rocblas_syrkx_herkx_small_restrict_kernelIi19rocblas_complex_numIfELi16ELb0ELb0ELc84ELc76EKS1_S1_EviT_T0_PT6_S3_lS6_S3_lS4_PT7_S3_li
	.p2align	8
	.type	_ZL41rocblas_syrkx_herkx_small_restrict_kernelIi19rocblas_complex_numIfELi16ELb0ELb0ELc84ELc76EKS1_S1_EviT_T0_PT6_S3_lS6_S3_lS4_PT7_S3_li,@function
_ZL41rocblas_syrkx_herkx_small_restrict_kernelIi19rocblas_complex_numIfELi16ELb0ELb0ELc84ELc76EKS1_S1_EviT_T0_PT6_S3_lS6_S3_lS4_PT7_S3_li: ; @_ZL41rocblas_syrkx_herkx_small_restrict_kernelIi19rocblas_complex_numIfELi16ELb0ELb0ELc84ELc76EKS1_S1_EviT_T0_PT6_S3_lS6_S3_lS4_PT7_S3_li
; %bb.0:
	s_clause 0x3
	s_load_b32 s12, s[0:1], 0x4
	s_load_b128 s[8:11], s[0:1], 0x8
	s_load_b128 s[4:7], s[0:1], 0x38
	s_load_b64 s[2:3], s[0:1], 0x48
	v_dual_mov_b32 v11, 0 :: v_dual_and_b32 v2, 0x3ff, v0
	v_bfe_u32 v1, v0, 10, 10
	v_mov_b32_e32 v10, 0
	s_delay_alu instid0(VALU_DEP_3) | instskip(SKIP_1) | instid1(VALU_DEP_3)
	v_lshl_add_u32 v0, s13, 4, v2
	s_mov_b32 s13, 0
	v_lshl_add_u32 v5, s14, 4, v1
	s_waitcnt lgkmcnt(0)
	s_cmp_lt_i32 s12, 1
	s_cbranch_scc1 .LBB198_3
; %bb.1:
	s_clause 0x2
	s_load_b32 s14, s[0:1], 0x30
	s_load_b32 s20, s[0:1], 0x18
	s_load_b128 s[16:19], s[0:1], 0x20
	v_lshlrev_b32_e32 v3, 7, v1
	v_dual_mov_b32 v11, 0 :: v_dual_lshlrev_b32 v6, 3, v2
	v_lshlrev_b32_e32 v10, 3, v1
	s_mul_i32 s5, s5, s15
	s_delay_alu instid0(VALU_DEP_3) | instskip(NEXT) | instid1(VALU_DEP_3)
	v_add_nc_u32_e32 v8, 0x800, v3
	v_add_nc_u32_e32 v7, v6, v3
	s_mul_hi_u32 s21, s4, s15
	s_mul_i32 s4, s4, s15
	s_add_i32 s5, s21, s5
	v_add_nc_u32_e32 v9, v8, v6
	s_lshl_b64 s[4:5], s[4:5], 3
	s_waitcnt lgkmcnt(0)
	v_mad_i64_i32 v[1:2], null, s14, v5, 0
	v_mad_i64_i32 v[3:4], null, s20, v0, 0
	s_mul_i32 s14, s17, s15
	s_mul_hi_u32 s17, s16, s15
	s_mul_i32 s16, s16, s15
	s_add_i32 s17, s17, s14
	s_delay_alu instid0(VALU_DEP_2) | instskip(SKIP_1) | instid1(VALU_DEP_2)
	v_lshlrev_b64 v[1:2], 3, v[1:2]
	s_lshl_b64 s[16:17], s[16:17], 3
	v_lshlrev_b64 v[3:4], 3, v[3:4]
	s_delay_alu instid0(VALU_DEP_2) | instskip(NEXT) | instid1(VALU_DEP_3)
	v_add_co_u32 v1, vcc_lo, v1, s4
	v_add_co_ci_u32_e32 v2, vcc_lo, s5, v2, vcc_lo
	s_delay_alu instid0(VALU_DEP_3) | instskip(NEXT) | instid1(VALU_DEP_4)
	v_add_co_u32 v3, vcc_lo, v3, s16
	v_add_co_ci_u32_e32 v4, vcc_lo, s17, v4, vcc_lo
	s_delay_alu instid0(VALU_DEP_4) | instskip(NEXT) | instid1(VALU_DEP_4)
	v_add_co_u32 v1, vcc_lo, v1, v6
	v_add_co_ci_u32_e32 v2, vcc_lo, 0, v2, vcc_lo
	s_delay_alu instid0(VALU_DEP_4) | instskip(NEXT) | instid1(VALU_DEP_4)
	;; [unrolled: 3-line block ×4, first 2 shown]
	v_add_co_u32 v3, vcc_lo, s10, v3
	v_add_co_ci_u32_e32 v4, vcc_lo, s11, v4, vcc_lo
	v_mov_b32_e32 v10, 0
.LBB198_2:                              ; =>This Inner Loop Header: Depth=1
	global_load_b64 v[12:13], v[3:4], off
	global_load_b64 v[14:15], v[1:2], off
	v_add_co_u32 v1, vcc_lo, 0x80, v1
	v_add_co_ci_u32_e32 v2, vcc_lo, 0, v2, vcc_lo
	v_add_co_u32 v3, vcc_lo, 0x80, v3
	v_add_co_ci_u32_e32 v4, vcc_lo, 0, v4, vcc_lo
	s_add_i32 s13, s13, 16
	s_waitcnt vmcnt(1)
	ds_store_b64 v7, v[12:13]
	s_waitcnt vmcnt(0)
	ds_store_b64 v9, v[14:15]
	s_waitcnt lgkmcnt(0)
	s_barrier
	buffer_gl0_inv
	ds_load_2addr_b64 v[12:15], v6 offset1:16
	ds_load_b128 v[16:19], v8
	ds_load_b128 v[20:23], v8 offset:16
	ds_load_2addr_b64 v[24:27], v6 offset0:32 offset1:48
	ds_load_2addr_b64 v[28:31], v6 offset0:64 offset1:80
	ds_load_b128 v[32:35], v8 offset:32
	ds_load_b128 v[36:39], v8 offset:48
	ds_load_2addr_b64 v[40:43], v6 offset0:96 offset1:112
	ds_load_2addr_b64 v[44:47], v6 offset0:128 offset1:144
	ds_load_2addr_b64 v[48:51], v6 offset0:160 offset1:176
	ds_load_b128 v[52:55], v8 offset:64
	ds_load_b128 v[56:59], v8 offset:80
	ds_load_2addr_b64 v[60:63], v6 offset0:192 offset1:208
	ds_load_2addr_b64 v[64:67], v6 offset0:224 offset1:240
	ds_load_b128 v[68:71], v8 offset:96
	ds_load_b128 v[72:75], v8 offset:112
	s_cmp_lt_i32 s13, s12
	s_waitcnt lgkmcnt(0)
	s_barrier
	buffer_gl0_inv
	v_dual_mul_f32 v76, v17, v13 :: v_dual_mul_f32 v77, v19, v15
	v_mul_f32_e32 v13, v16, v13
	v_dual_mul_f32 v15, v18, v15 :: v_dual_mul_f32 v78, v21, v25
	v_mul_f32_e32 v25, v20, v25
	s_delay_alu instid0(VALU_DEP_4) | instskip(SKIP_1) | instid1(VALU_DEP_4)
	v_fma_f32 v16, v16, v12, -v76
	v_dual_mul_f32 v79, v23, v27 :: v_dual_mul_f32 v80, v33, v29
	v_fmac_f32_e32 v15, v19, v14
	s_delay_alu instid0(VALU_DEP_4) | instskip(SKIP_4) | instid1(VALU_DEP_4)
	v_fmac_f32_e32 v25, v21, v24
	v_fmac_f32_e32 v13, v17, v12
	v_mul_f32_e32 v83, v39, v43
	v_dual_mul_f32 v27, v22, v27 :: v_dual_mul_f32 v82, v37, v41
	v_mul_f32_e32 v43, v38, v43
	v_add_f32_e32 v10, v10, v13
	v_mul_f32_e32 v29, v32, v29
	v_dual_add_f32 v11, v11, v16 :: v_dual_mul_f32 v16, v72, v65
	v_mul_f32_e32 v17, v54, v47
	s_delay_alu instid0(VALU_DEP_4) | instskip(SKIP_1) | instid1(VALU_DEP_3)
	v_add_f32_e32 v10, v10, v15
	v_dual_mul_f32 v81, v35, v31 :: v_dual_mul_f32 v84, v53, v45
	v_dual_fmac_f32 v16, v73, v64 :: v_dual_fmac_f32 v17, v55, v46
	s_delay_alu instid0(VALU_DEP_3) | instskip(SKIP_3) | instid1(VALU_DEP_4)
	v_dual_fmac_f32 v27, v23, v26 :: v_dual_add_f32 v10, v10, v25
	v_mul_f32_e32 v31, v34, v31
	v_mul_f32_e32 v45, v52, v45
	v_fmac_f32_e32 v29, v33, v28
	v_dual_mul_f32 v41, v36, v41 :: v_dual_add_f32 v10, v10, v27
	v_fma_f32 v12, v18, v14, -v77
	v_dual_mul_f32 v18, v57, v49 :: v_dual_fmac_f32 v31, v35, v30
	v_mul_f32_e32 v14, v55, v47
	s_delay_alu instid0(VALU_DEP_4) | instskip(SKIP_3) | instid1(VALU_DEP_4)
	v_add_f32_e32 v10, v10, v29
	v_mul_f32_e32 v19, v56, v49
	v_add_f32_e32 v11, v11, v12
	v_dual_mul_f32 v12, v75, v67 :: v_dual_fmac_f32 v41, v37, v40
	v_add_f32_e32 v10, v10, v31
	v_mul_f32_e32 v47, v59, v51
	v_fmac_f32_e32 v43, v39, v42
	v_mul_f32_e32 v49, v58, v51
	s_delay_alu instid0(VALU_DEP_4) | instskip(SKIP_2) | instid1(VALU_DEP_4)
	v_dual_fmac_f32 v45, v53, v44 :: v_dual_add_f32 v10, v10, v41
	v_mul_f32_e32 v51, v69, v61
	v_fmac_f32_e32 v19, v57, v48
	v_fmac_f32_e32 v49, v59, v50
	v_mul_f32_e32 v23, v70, v63
	v_add_f32_e32 v10, v10, v43
	v_fma_f32 v20, v20, v24, -v78
	v_mul_f32_e32 v15, v74, v67
	v_fma_f32 v21, v22, v26, -v79
	s_delay_alu instid0(VALU_DEP_4) | instskip(SKIP_1) | instid1(VALU_DEP_4)
	v_dual_fmac_f32 v23, v71, v62 :: v_dual_add_f32 v10, v10, v45
	v_fma_f32 v14, v54, v46, -v14
	v_fmac_f32_e32 v15, v75, v66
	v_fma_f32 v18, v56, v48, -v18
	v_mul_f32_e32 v22, v71, v63
	v_add_f32_e32 v10, v10, v17
	v_mul_f32_e32 v61, v68, v61
	v_fma_f32 v17, v68, v60, -v51
	v_fma_f32 v12, v74, v66, -v12
	s_delay_alu instid0(VALU_DEP_3) | instskip(NEXT) | instid1(VALU_DEP_1)
	v_dual_add_f32 v10, v10, v19 :: v_dual_fmac_f32 v61, v69, v60
	v_add_f32_e32 v10, v10, v49
	s_delay_alu instid0(VALU_DEP_1) | instskip(NEXT) | instid1(VALU_DEP_1)
	v_add_f32_e32 v10, v10, v61
	v_dual_mul_f32 v13, v73, v65 :: v_dual_add_f32 v10, v10, v23
	s_delay_alu instid0(VALU_DEP_1) | instskip(NEXT) | instid1(VALU_DEP_2)
	v_fma_f32 v13, v72, v64, -v13
	v_add_f32_e32 v10, v10, v16
	v_add_f32_e32 v11, v11, v20
	v_fma_f32 v20, v32, v28, -v80
	s_delay_alu instid0(VALU_DEP_2) | instskip(SKIP_1) | instid1(VALU_DEP_2)
	v_dual_add_f32 v10, v10, v15 :: v_dual_add_f32 v11, v11, v21
	v_fma_f32 v21, v34, v30, -v81
	v_add_f32_e32 v11, v11, v20
	v_fma_f32 v20, v36, v40, -v82
	s_delay_alu instid0(VALU_DEP_2) | instskip(SKIP_1) | instid1(VALU_DEP_2)
	v_add_f32_e32 v11, v11, v21
	v_fma_f32 v21, v38, v42, -v83
	v_add_f32_e32 v11, v11, v20
	v_fma_f32 v20, v52, v44, -v84
	s_delay_alu instid0(VALU_DEP_2) | instskip(NEXT) | instid1(VALU_DEP_1)
	v_add_f32_e32 v11, v11, v21
	v_add_f32_e32 v11, v11, v20
	s_delay_alu instid0(VALU_DEP_1) | instskip(SKIP_1) | instid1(VALU_DEP_2)
	v_add_f32_e32 v11, v11, v14
	v_fma_f32 v14, v58, v50, -v47
	v_add_f32_e32 v11, v11, v18
	s_delay_alu instid0(VALU_DEP_1) | instskip(SKIP_1) | instid1(VALU_DEP_2)
	v_add_f32_e32 v11, v11, v14
	v_fma_f32 v14, v70, v62, -v22
	v_add_f32_e32 v11, v11, v17
	s_delay_alu instid0(VALU_DEP_1) | instskip(NEXT) | instid1(VALU_DEP_1)
	v_add_f32_e32 v11, v11, v14
	v_add_f32_e32 v11, v11, v13
	s_delay_alu instid0(VALU_DEP_1)
	v_add_f32_e32 v11, v11, v12
	s_cbranch_scc1 .LBB198_2
.LBB198_3:
	s_mov_b32 s4, exec_lo
	v_cmpx_le_i32_e64 v5, v0
	s_cbranch_execz .LBB198_5
; %bb.4:
	s_clause 0x1
	s_load_b32 s4, s[0:1], 0x50
	s_load_b64 s[0:1], s[0:1], 0x58
	v_ashrrev_i32_e32 v1, 31, v0
	s_delay_alu instid0(VALU_DEP_1)
	v_lshlrev_b64 v[0:1], 3, v[0:1]
	s_waitcnt lgkmcnt(0)
	v_mad_i64_i32 v[2:3], null, s4, v5, 0
	s_mul_i32 s1, s15, s1
	s_mul_hi_u32 s4, s15, s0
	s_mul_i32 s0, s15, s0
	s_add_i32 s1, s4, s1
	s_delay_alu instid0(SALU_CYCLE_1) | instskip(NEXT) | instid1(VALU_DEP_1)
	s_lshl_b64 s[0:1], s[0:1], 3
	v_lshlrev_b64 v[2:3], 3, v[2:3]
	s_add_u32 s0, s2, s0
	s_addc_u32 s1, s3, s1
	s_delay_alu instid0(VALU_DEP_1) | instskip(NEXT) | instid1(VALU_DEP_2)
	v_add_co_u32 v2, vcc_lo, s0, v2
	v_add_co_ci_u32_e32 v3, vcc_lo, s1, v3, vcc_lo
	s_delay_alu instid0(VALU_DEP_2) | instskip(NEXT) | instid1(VALU_DEP_2)
	v_add_co_u32 v0, vcc_lo, v2, v0
	v_add_co_ci_u32_e32 v1, vcc_lo, v3, v1, vcc_lo
	global_load_b64 v[2:3], v[0:1], off
	v_mul_f32_e32 v4, s9, v10
	s_waitcnt vmcnt(0)
	v_dual_mul_f32 v5, s8, v10 :: v_dual_mul_f32 v6, s7, v3
	v_mul_f32_e32 v3, s6, v3
	s_delay_alu instid0(VALU_DEP_3) | instskip(NEXT) | instid1(VALU_DEP_3)
	v_fma_f32 v4, v11, s8, -v4
	v_fma_f32 v6, v2, s6, -v6
	s_delay_alu instid0(VALU_DEP_4) | instskip(NEXT) | instid1(VALU_DEP_4)
	v_fmac_f32_e32 v5, s9, v11
	v_fmac_f32_e32 v3, s7, v2
	s_delay_alu instid0(VALU_DEP_1)
	v_dual_add_f32 v2, v4, v6 :: v_dual_add_f32 v3, v5, v3
	global_store_b64 v[0:1], v[2:3], off
.LBB198_5:
	s_nop 0
	s_sendmsg sendmsg(MSG_DEALLOC_VGPRS)
	s_endpgm
	.section	.rodata,"a",@progbits
	.p2align	6, 0x0
	.amdhsa_kernel _ZL41rocblas_syrkx_herkx_small_restrict_kernelIi19rocblas_complex_numIfELi16ELb0ELb0ELc84ELc76EKS1_S1_EviT_T0_PT6_S3_lS6_S3_lS4_PT7_S3_li
		.amdhsa_group_segment_fixed_size 4096
		.amdhsa_private_segment_fixed_size 0
		.amdhsa_kernarg_size 100
		.amdhsa_user_sgpr_count 13
		.amdhsa_user_sgpr_dispatch_ptr 0
		.amdhsa_user_sgpr_queue_ptr 0
		.amdhsa_user_sgpr_kernarg_segment_ptr 1
		.amdhsa_user_sgpr_dispatch_id 0
		.amdhsa_user_sgpr_private_segment_size 0
		.amdhsa_wavefront_size32 1
		.amdhsa_uses_dynamic_stack 0
		.amdhsa_enable_private_segment 0
		.amdhsa_system_sgpr_workgroup_id_x 1
		.amdhsa_system_sgpr_workgroup_id_y 1
		.amdhsa_system_sgpr_workgroup_id_z 1
		.amdhsa_system_sgpr_workgroup_info 0
		.amdhsa_system_vgpr_workitem_id 1
		.amdhsa_next_free_vgpr 85
		.amdhsa_next_free_sgpr 22
		.amdhsa_reserve_vcc 1
		.amdhsa_float_round_mode_32 0
		.amdhsa_float_round_mode_16_64 0
		.amdhsa_float_denorm_mode_32 3
		.amdhsa_float_denorm_mode_16_64 3
		.amdhsa_dx10_clamp 1
		.amdhsa_ieee_mode 1
		.amdhsa_fp16_overflow 0
		.amdhsa_workgroup_processor_mode 1
		.amdhsa_memory_ordered 1
		.amdhsa_forward_progress 0
		.amdhsa_shared_vgpr_count 0
		.amdhsa_exception_fp_ieee_invalid_op 0
		.amdhsa_exception_fp_denorm_src 0
		.amdhsa_exception_fp_ieee_div_zero 0
		.amdhsa_exception_fp_ieee_overflow 0
		.amdhsa_exception_fp_ieee_underflow 0
		.amdhsa_exception_fp_ieee_inexact 0
		.amdhsa_exception_int_div_zero 0
	.end_amdhsa_kernel
	.section	.text._ZL41rocblas_syrkx_herkx_small_restrict_kernelIi19rocblas_complex_numIfELi16ELb0ELb0ELc84ELc76EKS1_S1_EviT_T0_PT6_S3_lS6_S3_lS4_PT7_S3_li,"axG",@progbits,_ZL41rocblas_syrkx_herkx_small_restrict_kernelIi19rocblas_complex_numIfELi16ELb0ELb0ELc84ELc76EKS1_S1_EviT_T0_PT6_S3_lS6_S3_lS4_PT7_S3_li,comdat
.Lfunc_end198:
	.size	_ZL41rocblas_syrkx_herkx_small_restrict_kernelIi19rocblas_complex_numIfELi16ELb0ELb0ELc84ELc76EKS1_S1_EviT_T0_PT6_S3_lS6_S3_lS4_PT7_S3_li, .Lfunc_end198-_ZL41rocblas_syrkx_herkx_small_restrict_kernelIi19rocblas_complex_numIfELi16ELb0ELb0ELc84ELc76EKS1_S1_EviT_T0_PT6_S3_lS6_S3_lS4_PT7_S3_li
                                        ; -- End function
	.section	.AMDGPU.csdata,"",@progbits
; Kernel info:
; codeLenInByte = 1328
; NumSgprs: 24
; NumVgprs: 85
; ScratchSize: 0
; MemoryBound: 0
; FloatMode: 240
; IeeeMode: 1
; LDSByteSize: 4096 bytes/workgroup (compile time only)
; SGPRBlocks: 2
; VGPRBlocks: 10
; NumSGPRsForWavesPerEU: 24
; NumVGPRsForWavesPerEU: 85
; Occupancy: 16
; WaveLimiterHint : 0
; COMPUTE_PGM_RSRC2:SCRATCH_EN: 0
; COMPUTE_PGM_RSRC2:USER_SGPR: 13
; COMPUTE_PGM_RSRC2:TRAP_HANDLER: 0
; COMPUTE_PGM_RSRC2:TGID_X_EN: 1
; COMPUTE_PGM_RSRC2:TGID_Y_EN: 1
; COMPUTE_PGM_RSRC2:TGID_Z_EN: 1
; COMPUTE_PGM_RSRC2:TIDIG_COMP_CNT: 1
	.section	.text._ZL41rocblas_syrkx_herkx_small_restrict_kernelIi19rocblas_complex_numIfELi16ELb0ELb0ELc67ELc76EKS1_S1_EviT_T0_PT6_S3_lS6_S3_lS4_PT7_S3_li,"axG",@progbits,_ZL41rocblas_syrkx_herkx_small_restrict_kernelIi19rocblas_complex_numIfELi16ELb0ELb0ELc67ELc76EKS1_S1_EviT_T0_PT6_S3_lS6_S3_lS4_PT7_S3_li,comdat
	.globl	_ZL41rocblas_syrkx_herkx_small_restrict_kernelIi19rocblas_complex_numIfELi16ELb0ELb0ELc67ELc76EKS1_S1_EviT_T0_PT6_S3_lS6_S3_lS4_PT7_S3_li ; -- Begin function _ZL41rocblas_syrkx_herkx_small_restrict_kernelIi19rocblas_complex_numIfELi16ELb0ELb0ELc67ELc76EKS1_S1_EviT_T0_PT6_S3_lS6_S3_lS4_PT7_S3_li
	.p2align	8
	.type	_ZL41rocblas_syrkx_herkx_small_restrict_kernelIi19rocblas_complex_numIfELi16ELb0ELb0ELc67ELc76EKS1_S1_EviT_T0_PT6_S3_lS6_S3_lS4_PT7_S3_li,@function
_ZL41rocblas_syrkx_herkx_small_restrict_kernelIi19rocblas_complex_numIfELi16ELb0ELb0ELc67ELc76EKS1_S1_EviT_T0_PT6_S3_lS6_S3_lS4_PT7_S3_li: ; @_ZL41rocblas_syrkx_herkx_small_restrict_kernelIi19rocblas_complex_numIfELi16ELb0ELb0ELc67ELc76EKS1_S1_EviT_T0_PT6_S3_lS6_S3_lS4_PT7_S3_li
; %bb.0:
	s_clause 0x3
	s_load_b32 s12, s[0:1], 0x4
	s_load_b128 s[8:11], s[0:1], 0x8
	s_load_b128 s[4:7], s[0:1], 0x38
	s_load_b64 s[2:3], s[0:1], 0x48
	v_dual_mov_b32 v11, 0 :: v_dual_and_b32 v2, 0x3ff, v0
	v_bfe_u32 v1, v0, 10, 10
	v_mov_b32_e32 v10, 0
	s_delay_alu instid0(VALU_DEP_3) | instskip(SKIP_1) | instid1(VALU_DEP_3)
	v_lshl_add_u32 v0, s13, 4, v2
	s_mov_b32 s13, 0
	v_lshl_add_u32 v5, s14, 4, v1
	s_waitcnt lgkmcnt(0)
	s_cmp_lt_i32 s12, 1
	s_cbranch_scc1 .LBB199_3
; %bb.1:
	s_clause 0x2
	s_load_b32 s14, s[0:1], 0x18
	s_load_b32 s20, s[0:1], 0x30
	s_load_b128 s[16:19], s[0:1], 0x20
	v_lshlrev_b32_e32 v3, 7, v1
	v_lshlrev_b32_e32 v6, 3, v2
	;; [unrolled: 1-line block ×3, first 2 shown]
	s_mul_i32 s5, s5, s15
	s_mul_hi_u32 s21, s4, s15
	v_add_nc_u32_e32 v8, 0x800, v3
	v_add_nc_u32_e32 v7, v6, v3
	s_mul_i32 s4, s4, s15
	s_add_i32 s5, s21, s5
	s_delay_alu instid0(SALU_CYCLE_1)
	s_lshl_b64 s[4:5], s[4:5], 3
	s_waitcnt lgkmcnt(0)
	v_mad_i64_i32 v[1:2], null, s14, v0, 0
	v_mad_i64_i32 v[3:4], null, s20, v5, 0
	s_mul_i32 s14, s17, s15
	s_mul_hi_u32 s17, s16, s15
	s_mul_i32 s16, s16, s15
	s_add_i32 s17, s17, s14
	s_delay_alu instid0(VALU_DEP_2) | instskip(SKIP_1) | instid1(VALU_DEP_2)
	v_lshlrev_b64 v[1:2], 3, v[1:2]
	s_lshl_b64 s[16:17], s[16:17], 3
	v_lshlrev_b64 v[3:4], 3, v[3:4]
	s_delay_alu instid0(VALU_DEP_2) | instskip(NEXT) | instid1(VALU_DEP_3)
	v_add_co_u32 v1, vcc_lo, v1, s16
	v_add_co_ci_u32_e32 v2, vcc_lo, s17, v2, vcc_lo
	s_delay_alu instid0(VALU_DEP_3) | instskip(NEXT) | instid1(VALU_DEP_4)
	v_add_co_u32 v3, vcc_lo, v3, s4
	v_add_co_ci_u32_e32 v4, vcc_lo, s5, v4, vcc_lo
	s_delay_alu instid0(VALU_DEP_4) | instskip(NEXT) | instid1(VALU_DEP_4)
	v_add_co_u32 v1, vcc_lo, v1, v10
	v_add_co_ci_u32_e32 v2, vcc_lo, 0, v2, vcc_lo
	s_delay_alu instid0(VALU_DEP_4) | instskip(NEXT) | instid1(VALU_DEP_4)
	;; [unrolled: 3-line block ×5, first 2 shown]
	v_add_co_u32 v3, vcc_lo, v10, 4
	v_add_co_ci_u32_e32 v4, vcc_lo, 0, v11, vcc_lo
	v_mov_b32_e32 v11, 0
	v_dual_mov_b32 v10, 0 :: v_dual_add_nc_u32 v9, v8, v6
.LBB199_2:                              ; =>This Inner Loop Header: Depth=1
	global_load_b64 v[12:13], v[3:4], off offset:-4
	global_load_b64 v[14:15], v[1:2], off
	v_add_co_u32 v1, vcc_lo, 0x80, v1
	v_add_co_ci_u32_e32 v2, vcc_lo, 0, v2, vcc_lo
	v_add_co_u32 v3, vcc_lo, 0x80, v3
	v_add_co_ci_u32_e32 v4, vcc_lo, 0, v4, vcc_lo
	s_add_i32 s13, s13, 16
	s_waitcnt vmcnt(1)
	ds_store_b64 v7, v[12:13]
	s_waitcnt vmcnt(0)
	ds_store_b64 v9, v[14:15]
	s_waitcnt lgkmcnt(0)
	s_barrier
	buffer_gl0_inv
	ds_load_2addr_b64 v[12:15], v6 offset1:16
	ds_load_b128 v[16:19], v8
	ds_load_b128 v[20:23], v8 offset:16
	ds_load_2addr_b64 v[24:27], v6 offset0:32 offset1:48
	ds_load_2addr_b64 v[28:31], v6 offset0:64 offset1:80
	ds_load_b128 v[32:35], v8 offset:32
	ds_load_b128 v[36:39], v8 offset:48
	ds_load_2addr_b64 v[40:43], v6 offset0:96 offset1:112
	ds_load_2addr_b64 v[44:47], v6 offset0:128 offset1:144
	ds_load_2addr_b64 v[48:51], v6 offset0:160 offset1:176
	ds_load_b128 v[52:55], v8 offset:64
	ds_load_b128 v[56:59], v8 offset:80
	ds_load_2addr_b64 v[60:63], v6 offset0:192 offset1:208
	ds_load_2addr_b64 v[64:67], v6 offset0:224 offset1:240
	ds_load_b128 v[68:71], v8 offset:96
	ds_load_b128 v[72:75], v8 offset:112
	s_cmp_lt_i32 s13, s12
	s_waitcnt lgkmcnt(0)
	s_barrier
	buffer_gl0_inv
	v_dual_mul_f32 v76, v17, v13 :: v_dual_mul_f32 v77, v19, v15
	v_mul_f32_e32 v13, v16, v13
	v_dual_mul_f32 v15, v18, v15 :: v_dual_mul_f32 v78, v21, v25
	v_mul_f32_e32 v25, v20, v25
	s_delay_alu instid0(VALU_DEP_4) | instskip(SKIP_1) | instid1(VALU_DEP_4)
	v_fma_f32 v16, v16, v12, -v76
	v_dual_mul_f32 v79, v23, v27 :: v_dual_mul_f32 v80, v33, v29
	v_fmac_f32_e32 v15, v19, v14
	s_delay_alu instid0(VALU_DEP_4) | instskip(SKIP_4) | instid1(VALU_DEP_4)
	v_fmac_f32_e32 v25, v21, v24
	v_fmac_f32_e32 v13, v17, v12
	v_mul_f32_e32 v83, v39, v43
	v_dual_mul_f32 v27, v22, v27 :: v_dual_mul_f32 v82, v37, v41
	v_mul_f32_e32 v43, v38, v43
	v_add_f32_e32 v10, v10, v13
	v_mul_f32_e32 v29, v32, v29
	v_dual_add_f32 v11, v11, v16 :: v_dual_mul_f32 v16, v72, v65
	v_mul_f32_e32 v17, v54, v47
	s_delay_alu instid0(VALU_DEP_4) | instskip(SKIP_1) | instid1(VALU_DEP_3)
	v_add_f32_e32 v10, v10, v15
	v_dual_mul_f32 v81, v35, v31 :: v_dual_mul_f32 v84, v53, v45
	v_dual_fmac_f32 v16, v73, v64 :: v_dual_fmac_f32 v17, v55, v46
	s_delay_alu instid0(VALU_DEP_3) | instskip(SKIP_3) | instid1(VALU_DEP_4)
	v_dual_fmac_f32 v27, v23, v26 :: v_dual_add_f32 v10, v10, v25
	v_mul_f32_e32 v31, v34, v31
	v_mul_f32_e32 v45, v52, v45
	v_fmac_f32_e32 v29, v33, v28
	v_dual_mul_f32 v41, v36, v41 :: v_dual_add_f32 v10, v10, v27
	v_fma_f32 v12, v18, v14, -v77
	v_dual_mul_f32 v18, v57, v49 :: v_dual_fmac_f32 v31, v35, v30
	v_mul_f32_e32 v14, v55, v47
	s_delay_alu instid0(VALU_DEP_4) | instskip(SKIP_3) | instid1(VALU_DEP_4)
	v_add_f32_e32 v10, v10, v29
	v_mul_f32_e32 v19, v56, v49
	v_add_f32_e32 v11, v11, v12
	v_dual_mul_f32 v12, v75, v67 :: v_dual_fmac_f32 v41, v37, v40
	v_add_f32_e32 v10, v10, v31
	v_mul_f32_e32 v47, v59, v51
	v_fmac_f32_e32 v43, v39, v42
	v_mul_f32_e32 v49, v58, v51
	s_delay_alu instid0(VALU_DEP_4) | instskip(SKIP_2) | instid1(VALU_DEP_4)
	v_dual_fmac_f32 v45, v53, v44 :: v_dual_add_f32 v10, v10, v41
	v_mul_f32_e32 v51, v69, v61
	v_fmac_f32_e32 v19, v57, v48
	v_fmac_f32_e32 v49, v59, v50
	v_mul_f32_e32 v23, v70, v63
	v_add_f32_e32 v10, v10, v43
	v_fma_f32 v20, v20, v24, -v78
	v_mul_f32_e32 v15, v74, v67
	v_fma_f32 v21, v22, v26, -v79
	s_delay_alu instid0(VALU_DEP_4) | instskip(SKIP_1) | instid1(VALU_DEP_4)
	v_dual_fmac_f32 v23, v71, v62 :: v_dual_add_f32 v10, v10, v45
	v_fma_f32 v14, v54, v46, -v14
	v_fmac_f32_e32 v15, v75, v66
	v_fma_f32 v18, v56, v48, -v18
	v_mul_f32_e32 v22, v71, v63
	v_add_f32_e32 v10, v10, v17
	v_mul_f32_e32 v61, v68, v61
	v_fma_f32 v17, v68, v60, -v51
	v_fma_f32 v12, v74, v66, -v12
	s_delay_alu instid0(VALU_DEP_3) | instskip(NEXT) | instid1(VALU_DEP_1)
	v_dual_add_f32 v10, v10, v19 :: v_dual_fmac_f32 v61, v69, v60
	v_add_f32_e32 v10, v10, v49
	s_delay_alu instid0(VALU_DEP_1) | instskip(NEXT) | instid1(VALU_DEP_1)
	v_add_f32_e32 v10, v10, v61
	v_dual_mul_f32 v13, v73, v65 :: v_dual_add_f32 v10, v10, v23
	s_delay_alu instid0(VALU_DEP_1) | instskip(NEXT) | instid1(VALU_DEP_2)
	v_fma_f32 v13, v72, v64, -v13
	v_add_f32_e32 v10, v10, v16
	v_add_f32_e32 v11, v11, v20
	v_fma_f32 v20, v32, v28, -v80
	s_delay_alu instid0(VALU_DEP_2) | instskip(SKIP_1) | instid1(VALU_DEP_2)
	v_dual_add_f32 v10, v10, v15 :: v_dual_add_f32 v11, v11, v21
	v_fma_f32 v21, v34, v30, -v81
	v_add_f32_e32 v11, v11, v20
	v_fma_f32 v20, v36, v40, -v82
	s_delay_alu instid0(VALU_DEP_2) | instskip(SKIP_1) | instid1(VALU_DEP_2)
	v_add_f32_e32 v11, v11, v21
	v_fma_f32 v21, v38, v42, -v83
	v_add_f32_e32 v11, v11, v20
	v_fma_f32 v20, v52, v44, -v84
	s_delay_alu instid0(VALU_DEP_2) | instskip(NEXT) | instid1(VALU_DEP_1)
	v_add_f32_e32 v11, v11, v21
	v_add_f32_e32 v11, v11, v20
	s_delay_alu instid0(VALU_DEP_1) | instskip(SKIP_1) | instid1(VALU_DEP_2)
	v_add_f32_e32 v11, v11, v14
	v_fma_f32 v14, v58, v50, -v47
	v_add_f32_e32 v11, v11, v18
	s_delay_alu instid0(VALU_DEP_1) | instskip(SKIP_1) | instid1(VALU_DEP_2)
	v_add_f32_e32 v11, v11, v14
	v_fma_f32 v14, v70, v62, -v22
	v_add_f32_e32 v11, v11, v17
	s_delay_alu instid0(VALU_DEP_1) | instskip(NEXT) | instid1(VALU_DEP_1)
	v_add_f32_e32 v11, v11, v14
	v_add_f32_e32 v11, v11, v13
	s_delay_alu instid0(VALU_DEP_1)
	v_add_f32_e32 v11, v11, v12
	s_cbranch_scc1 .LBB199_2
.LBB199_3:
	s_mov_b32 s4, exec_lo
	v_cmpx_le_i32_e64 v5, v0
	s_cbranch_execz .LBB199_5
; %bb.4:
	s_clause 0x1
	s_load_b32 s4, s[0:1], 0x50
	s_load_b64 s[0:1], s[0:1], 0x58
	v_ashrrev_i32_e32 v1, 31, v0
	s_delay_alu instid0(VALU_DEP_1)
	v_lshlrev_b64 v[0:1], 3, v[0:1]
	s_waitcnt lgkmcnt(0)
	v_mad_i64_i32 v[2:3], null, s4, v5, 0
	s_mul_i32 s1, s15, s1
	s_mul_hi_u32 s4, s15, s0
	s_mul_i32 s0, s15, s0
	s_add_i32 s1, s4, s1
	s_delay_alu instid0(SALU_CYCLE_1) | instskip(NEXT) | instid1(VALU_DEP_1)
	s_lshl_b64 s[0:1], s[0:1], 3
	v_lshlrev_b64 v[2:3], 3, v[2:3]
	s_add_u32 s0, s2, s0
	s_addc_u32 s1, s3, s1
	s_delay_alu instid0(VALU_DEP_1) | instskip(NEXT) | instid1(VALU_DEP_2)
	v_add_co_u32 v2, vcc_lo, s0, v2
	v_add_co_ci_u32_e32 v3, vcc_lo, s1, v3, vcc_lo
	s_delay_alu instid0(VALU_DEP_2) | instskip(NEXT) | instid1(VALU_DEP_2)
	v_add_co_u32 v0, vcc_lo, v2, v0
	v_add_co_ci_u32_e32 v1, vcc_lo, v3, v1, vcc_lo
	global_load_b64 v[2:3], v[0:1], off
	v_mul_f32_e32 v4, s9, v10
	s_waitcnt vmcnt(0)
	v_dual_mul_f32 v5, s8, v10 :: v_dual_mul_f32 v6, s7, v3
	v_mul_f32_e32 v3, s6, v3
	s_delay_alu instid0(VALU_DEP_3) | instskip(NEXT) | instid1(VALU_DEP_3)
	v_fma_f32 v4, v11, s8, -v4
	v_fma_f32 v6, v2, s6, -v6
	s_delay_alu instid0(VALU_DEP_4) | instskip(NEXT) | instid1(VALU_DEP_4)
	v_fmac_f32_e32 v5, s9, v11
	v_fmac_f32_e32 v3, s7, v2
	s_delay_alu instid0(VALU_DEP_1)
	v_dual_add_f32 v2, v4, v6 :: v_dual_add_f32 v3, v5, v3
	global_store_b64 v[0:1], v[2:3], off
.LBB199_5:
	s_nop 0
	s_sendmsg sendmsg(MSG_DEALLOC_VGPRS)
	s_endpgm
	.section	.rodata,"a",@progbits
	.p2align	6, 0x0
	.amdhsa_kernel _ZL41rocblas_syrkx_herkx_small_restrict_kernelIi19rocblas_complex_numIfELi16ELb0ELb0ELc67ELc76EKS1_S1_EviT_T0_PT6_S3_lS6_S3_lS4_PT7_S3_li
		.amdhsa_group_segment_fixed_size 4096
		.amdhsa_private_segment_fixed_size 0
		.amdhsa_kernarg_size 100
		.amdhsa_user_sgpr_count 13
		.amdhsa_user_sgpr_dispatch_ptr 0
		.amdhsa_user_sgpr_queue_ptr 0
		.amdhsa_user_sgpr_kernarg_segment_ptr 1
		.amdhsa_user_sgpr_dispatch_id 0
		.amdhsa_user_sgpr_private_segment_size 0
		.amdhsa_wavefront_size32 1
		.amdhsa_uses_dynamic_stack 0
		.amdhsa_enable_private_segment 0
		.amdhsa_system_sgpr_workgroup_id_x 1
		.amdhsa_system_sgpr_workgroup_id_y 1
		.amdhsa_system_sgpr_workgroup_id_z 1
		.amdhsa_system_sgpr_workgroup_info 0
		.amdhsa_system_vgpr_workitem_id 1
		.amdhsa_next_free_vgpr 85
		.amdhsa_next_free_sgpr 22
		.amdhsa_reserve_vcc 1
		.amdhsa_float_round_mode_32 0
		.amdhsa_float_round_mode_16_64 0
		.amdhsa_float_denorm_mode_32 3
		.amdhsa_float_denorm_mode_16_64 3
		.amdhsa_dx10_clamp 1
		.amdhsa_ieee_mode 1
		.amdhsa_fp16_overflow 0
		.amdhsa_workgroup_processor_mode 1
		.amdhsa_memory_ordered 1
		.amdhsa_forward_progress 0
		.amdhsa_shared_vgpr_count 0
		.amdhsa_exception_fp_ieee_invalid_op 0
		.amdhsa_exception_fp_denorm_src 0
		.amdhsa_exception_fp_ieee_div_zero 0
		.amdhsa_exception_fp_ieee_overflow 0
		.amdhsa_exception_fp_ieee_underflow 0
		.amdhsa_exception_fp_ieee_inexact 0
		.amdhsa_exception_int_div_zero 0
	.end_amdhsa_kernel
	.section	.text._ZL41rocblas_syrkx_herkx_small_restrict_kernelIi19rocblas_complex_numIfELi16ELb0ELb0ELc67ELc76EKS1_S1_EviT_T0_PT6_S3_lS6_S3_lS4_PT7_S3_li,"axG",@progbits,_ZL41rocblas_syrkx_herkx_small_restrict_kernelIi19rocblas_complex_numIfELi16ELb0ELb0ELc67ELc76EKS1_S1_EviT_T0_PT6_S3_lS6_S3_lS4_PT7_S3_li,comdat
.Lfunc_end199:
	.size	_ZL41rocblas_syrkx_herkx_small_restrict_kernelIi19rocblas_complex_numIfELi16ELb0ELb0ELc67ELc76EKS1_S1_EviT_T0_PT6_S3_lS6_S3_lS4_PT7_S3_li, .Lfunc_end199-_ZL41rocblas_syrkx_herkx_small_restrict_kernelIi19rocblas_complex_numIfELi16ELb0ELb0ELc67ELc76EKS1_S1_EviT_T0_PT6_S3_lS6_S3_lS4_PT7_S3_li
                                        ; -- End function
	.section	.AMDGPU.csdata,"",@progbits
; Kernel info:
; codeLenInByte = 1344
; NumSgprs: 24
; NumVgprs: 85
; ScratchSize: 0
; MemoryBound: 0
; FloatMode: 240
; IeeeMode: 1
; LDSByteSize: 4096 bytes/workgroup (compile time only)
; SGPRBlocks: 2
; VGPRBlocks: 10
; NumSGPRsForWavesPerEU: 24
; NumVGPRsForWavesPerEU: 85
; Occupancy: 16
; WaveLimiterHint : 0
; COMPUTE_PGM_RSRC2:SCRATCH_EN: 0
; COMPUTE_PGM_RSRC2:USER_SGPR: 13
; COMPUTE_PGM_RSRC2:TRAP_HANDLER: 0
; COMPUTE_PGM_RSRC2:TGID_X_EN: 1
; COMPUTE_PGM_RSRC2:TGID_Y_EN: 1
; COMPUTE_PGM_RSRC2:TGID_Z_EN: 1
; COMPUTE_PGM_RSRC2:TIDIG_COMP_CNT: 1
	.section	.text._ZL41rocblas_syrkx_herkx_small_restrict_kernelIi19rocblas_complex_numIfELi16ELb0ELb0ELc78ELc76EKS1_S1_EviT_T0_PT6_S3_lS6_S3_lS4_PT7_S3_li,"axG",@progbits,_ZL41rocblas_syrkx_herkx_small_restrict_kernelIi19rocblas_complex_numIfELi16ELb0ELb0ELc78ELc76EKS1_S1_EviT_T0_PT6_S3_lS6_S3_lS4_PT7_S3_li,comdat
	.globl	_ZL41rocblas_syrkx_herkx_small_restrict_kernelIi19rocblas_complex_numIfELi16ELb0ELb0ELc78ELc76EKS1_S1_EviT_T0_PT6_S3_lS6_S3_lS4_PT7_S3_li ; -- Begin function _ZL41rocblas_syrkx_herkx_small_restrict_kernelIi19rocblas_complex_numIfELi16ELb0ELb0ELc78ELc76EKS1_S1_EviT_T0_PT6_S3_lS6_S3_lS4_PT7_S3_li
	.p2align	8
	.type	_ZL41rocblas_syrkx_herkx_small_restrict_kernelIi19rocblas_complex_numIfELi16ELb0ELb0ELc78ELc76EKS1_S1_EviT_T0_PT6_S3_lS6_S3_lS4_PT7_S3_li,@function
_ZL41rocblas_syrkx_herkx_small_restrict_kernelIi19rocblas_complex_numIfELi16ELb0ELb0ELc78ELc76EKS1_S1_EviT_T0_PT6_S3_lS6_S3_lS4_PT7_S3_li: ; @_ZL41rocblas_syrkx_herkx_small_restrict_kernelIi19rocblas_complex_numIfELi16ELb0ELb0ELc78ELc76EKS1_S1_EviT_T0_PT6_S3_lS6_S3_lS4_PT7_S3_li
; %bb.0:
	s_clause 0x3
	s_load_b32 s12, s[0:1], 0x4
	s_load_b128 s[8:11], s[0:1], 0x8
	s_load_b128 s[4:7], s[0:1], 0x38
	s_load_b64 s[2:3], s[0:1], 0x48
	v_dual_mov_b32 v12, 0 :: v_dual_and_b32 v5, 0x3ff, v0
	v_bfe_u32 v4, v0, 10, 10
	v_mov_b32_e32 v11, 0
	s_delay_alu instid0(VALU_DEP_3) | instskip(SKIP_1) | instid1(VALU_DEP_3)
	v_lshl_add_u32 v0, s13, 4, v5
	s_mov_b32 s13, 0
	v_lshl_add_u32 v2, s14, 4, v4
	s_delay_alu instid0(VALU_DEP_2)
	v_ashrrev_i32_e32 v1, 31, v0
	s_waitcnt lgkmcnt(0)
	s_cmp_lt_i32 s12, 1
	s_cbranch_scc1 .LBB200_3
; %bb.1:
	s_clause 0x2
	s_load_b32 s20, s[0:1], 0x30
	s_load_b128 s[16:19], s[0:1], 0x20
	s_load_b32 s22, s[0:1], 0x18
	v_lshlrev_b32_e32 v6, 7, v4
	v_lshlrev_b32_e32 v7, 3, v5
	v_ashrrev_i32_e32 v3, 31, v2
	s_mul_i32 s5, s5, s15
	s_mul_hi_u32 s14, s4, s15
	s_mul_i32 s4, s4, s15
	s_add_i32 s5, s14, s5
	v_add_nc_u32_e32 v8, 0x800, v6
	s_lshl_b64 s[4:5], s[4:5], 3
	v_add_nc_u32_e32 v9, v7, v6
	v_lshlrev_b64 v[11:12], 3, v[0:1]
	s_waitcnt lgkmcnt(0)
	v_mad_i64_i32 v[13:14], null, s20, v5, 0
	v_mad_i64_i32 v[15:16], null, s22, v4, 0
	v_lshlrev_b64 v[5:6], 3, v[2:3]
	s_mul_i32 s14, s17, s15
	s_mul_hi_u32 s17, s16, s15
	s_mul_i32 s16, s16, s15
	s_delay_alu instid0(VALU_DEP_3) | instskip(SKIP_1) | instid1(VALU_DEP_3)
	v_lshlrev_b64 v[13:14], 3, v[13:14]
	s_add_i32 s17, s17, s14
	v_lshlrev_b64 v[3:4], 3, v[15:16]
	s_lshl_b64 s[16:17], s[16:17], 3
	s_ashr_i32 s21, s20, 31
	s_ashr_i32 s23, s22, 31
	v_add_co_u32 v13, vcc_lo, s4, v13
	v_add_co_ci_u32_e32 v14, vcc_lo, s5, v14, vcc_lo
	s_lshl_b64 s[4:5], s[20:21], 7
	s_delay_alu instid0(VALU_DEP_2) | instskip(NEXT) | instid1(VALU_DEP_2)
	v_add_co_u32 v5, vcc_lo, v13, v5
	v_add_co_ci_u32_e32 v6, vcc_lo, v14, v6, vcc_lo
	v_add_co_u32 v3, vcc_lo, s16, v3
	v_add_co_ci_u32_e32 v4, vcc_lo, s17, v4, vcc_lo
	s_delay_alu instid0(VALU_DEP_4) | instskip(NEXT) | instid1(VALU_DEP_4)
	v_add_co_u32 v5, vcc_lo, v5, s18
	v_add_co_ci_u32_e32 v6, vcc_lo, s19, v6, vcc_lo
	s_delay_alu instid0(VALU_DEP_4) | instskip(NEXT) | instid1(VALU_DEP_4)
	;; [unrolled: 3-line block ×4, first 2 shown]
	v_add_co_u32 v5, vcc_lo, s10, v11
	v_add_co_ci_u32_e32 v6, vcc_lo, s11, v12, vcc_lo
	v_mov_b32_e32 v12, 0
	v_dual_mov_b32 v11, 0 :: v_dual_add_nc_u32 v10, v8, v7
	s_lshl_b64 s[10:11], s[22:23], 7
.LBB200_2:                              ; =>This Inner Loop Header: Depth=1
	global_load_b64 v[13:14], v[5:6], off
	global_load_b64 v[15:16], v[3:4], off offset:-4
	v_add_co_u32 v3, vcc_lo, v3, s4
	v_add_co_ci_u32_e32 v4, vcc_lo, s5, v4, vcc_lo
	v_add_co_u32 v5, vcc_lo, v5, s10
	v_add_co_ci_u32_e32 v6, vcc_lo, s11, v6, vcc_lo
	s_add_i32 s13, s13, 16
	s_waitcnt vmcnt(1)
	ds_store_b64 v9, v[13:14]
	s_waitcnt vmcnt(0)
	ds_store_b64 v10, v[15:16]
	s_waitcnt lgkmcnt(0)
	s_barrier
	buffer_gl0_inv
	ds_load_2addr_b64 v[13:16], v7 offset1:16
	ds_load_b128 v[17:20], v8
	ds_load_b128 v[21:24], v8 offset:16
	ds_load_2addr_b64 v[25:28], v7 offset0:32 offset1:48
	ds_load_2addr_b64 v[29:32], v7 offset0:64 offset1:80
	ds_load_b128 v[33:36], v8 offset:32
	ds_load_b128 v[37:40], v8 offset:48
	ds_load_2addr_b64 v[41:44], v7 offset0:96 offset1:112
	ds_load_2addr_b64 v[45:48], v7 offset0:128 offset1:144
	;; [unrolled: 1-line block ×3, first 2 shown]
	ds_load_b128 v[53:56], v8 offset:64
	ds_load_b128 v[57:60], v8 offset:80
	ds_load_2addr_b64 v[61:64], v7 offset0:192 offset1:208
	ds_load_2addr_b64 v[65:68], v7 offset0:224 offset1:240
	ds_load_b128 v[69:72], v8 offset:96
	ds_load_b128 v[73:76], v8 offset:112
	s_cmp_lt_i32 s13, s12
	s_waitcnt lgkmcnt(0)
	s_barrier
	buffer_gl0_inv
	v_dual_mul_f32 v77, v18, v14 :: v_dual_mul_f32 v78, v20, v16
	v_mul_f32_e32 v14, v17, v14
	v_dual_mul_f32 v16, v19, v16 :: v_dual_mul_f32 v79, v22, v26
	v_mul_f32_e32 v26, v21, v26
	s_delay_alu instid0(VALU_DEP_4) | instskip(SKIP_1) | instid1(VALU_DEP_4)
	v_fma_f32 v17, v17, v13, -v77
	v_dual_mul_f32 v80, v24, v28 :: v_dual_mul_f32 v81, v34, v30
	v_fmac_f32_e32 v16, v20, v15
	s_delay_alu instid0(VALU_DEP_4) | instskip(SKIP_4) | instid1(VALU_DEP_4)
	v_fmac_f32_e32 v26, v22, v25
	v_fmac_f32_e32 v14, v18, v13
	v_mul_f32_e32 v84, v40, v44
	v_dual_mul_f32 v28, v23, v28 :: v_dual_mul_f32 v83, v38, v42
	v_mul_f32_e32 v44, v39, v44
	v_add_f32_e32 v11, v11, v14
	v_mul_f32_e32 v30, v33, v30
	v_dual_add_f32 v12, v12, v17 :: v_dual_mul_f32 v17, v73, v66
	v_mul_f32_e32 v18, v55, v48
	s_delay_alu instid0(VALU_DEP_4) | instskip(SKIP_1) | instid1(VALU_DEP_3)
	v_add_f32_e32 v11, v11, v16
	v_dual_mul_f32 v82, v36, v32 :: v_dual_mul_f32 v85, v54, v46
	v_dual_fmac_f32 v17, v74, v65 :: v_dual_fmac_f32 v18, v56, v47
	s_delay_alu instid0(VALU_DEP_3) | instskip(SKIP_3) | instid1(VALU_DEP_4)
	v_dual_fmac_f32 v28, v24, v27 :: v_dual_add_f32 v11, v11, v26
	v_mul_f32_e32 v32, v35, v32
	v_mul_f32_e32 v46, v53, v46
	v_fmac_f32_e32 v30, v34, v29
	v_dual_mul_f32 v42, v37, v42 :: v_dual_add_f32 v11, v11, v28
	v_fma_f32 v13, v19, v15, -v78
	v_dual_mul_f32 v19, v58, v50 :: v_dual_fmac_f32 v32, v36, v31
	v_mul_f32_e32 v15, v56, v48
	s_delay_alu instid0(VALU_DEP_4) | instskip(SKIP_3) | instid1(VALU_DEP_4)
	v_add_f32_e32 v11, v11, v30
	v_mul_f32_e32 v20, v57, v50
	v_add_f32_e32 v12, v12, v13
	v_dual_mul_f32 v13, v76, v68 :: v_dual_fmac_f32 v42, v38, v41
	v_add_f32_e32 v11, v11, v32
	v_mul_f32_e32 v48, v60, v52
	v_fmac_f32_e32 v44, v40, v43
	v_mul_f32_e32 v50, v59, v52
	s_delay_alu instid0(VALU_DEP_4) | instskip(SKIP_2) | instid1(VALU_DEP_4)
	v_dual_fmac_f32 v46, v54, v45 :: v_dual_add_f32 v11, v11, v42
	v_mul_f32_e32 v52, v70, v62
	v_fmac_f32_e32 v20, v58, v49
	v_fmac_f32_e32 v50, v60, v51
	v_mul_f32_e32 v24, v71, v64
	v_add_f32_e32 v11, v11, v44
	v_fma_f32 v21, v21, v25, -v79
	v_mul_f32_e32 v16, v75, v68
	v_fma_f32 v22, v23, v27, -v80
	s_delay_alu instid0(VALU_DEP_4) | instskip(SKIP_1) | instid1(VALU_DEP_4)
	v_dual_fmac_f32 v24, v72, v63 :: v_dual_add_f32 v11, v11, v46
	v_fma_f32 v15, v55, v47, -v15
	v_fmac_f32_e32 v16, v76, v67
	v_fma_f32 v19, v57, v49, -v19
	v_mul_f32_e32 v23, v72, v64
	v_add_f32_e32 v11, v11, v18
	v_mul_f32_e32 v62, v69, v62
	v_fma_f32 v18, v69, v61, -v52
	v_fma_f32 v13, v75, v67, -v13
	s_delay_alu instid0(VALU_DEP_3) | instskip(NEXT) | instid1(VALU_DEP_1)
	v_dual_add_f32 v11, v11, v20 :: v_dual_fmac_f32 v62, v70, v61
	v_add_f32_e32 v11, v11, v50
	s_delay_alu instid0(VALU_DEP_1) | instskip(NEXT) | instid1(VALU_DEP_1)
	v_add_f32_e32 v11, v11, v62
	v_dual_mul_f32 v14, v74, v66 :: v_dual_add_f32 v11, v11, v24
	s_delay_alu instid0(VALU_DEP_1) | instskip(NEXT) | instid1(VALU_DEP_2)
	v_fma_f32 v14, v73, v65, -v14
	v_add_f32_e32 v11, v11, v17
	v_add_f32_e32 v12, v12, v21
	v_fma_f32 v21, v33, v29, -v81
	s_delay_alu instid0(VALU_DEP_2) | instskip(SKIP_1) | instid1(VALU_DEP_2)
	v_dual_add_f32 v11, v11, v16 :: v_dual_add_f32 v12, v12, v22
	v_fma_f32 v22, v35, v31, -v82
	v_add_f32_e32 v12, v12, v21
	v_fma_f32 v21, v37, v41, -v83
	s_delay_alu instid0(VALU_DEP_2) | instskip(SKIP_1) | instid1(VALU_DEP_2)
	v_add_f32_e32 v12, v12, v22
	v_fma_f32 v22, v39, v43, -v84
	v_add_f32_e32 v12, v12, v21
	v_fma_f32 v21, v53, v45, -v85
	s_delay_alu instid0(VALU_DEP_2) | instskip(NEXT) | instid1(VALU_DEP_1)
	v_add_f32_e32 v12, v12, v22
	v_add_f32_e32 v12, v12, v21
	s_delay_alu instid0(VALU_DEP_1) | instskip(SKIP_1) | instid1(VALU_DEP_2)
	v_add_f32_e32 v12, v12, v15
	v_fma_f32 v15, v59, v51, -v48
	v_add_f32_e32 v12, v12, v19
	s_delay_alu instid0(VALU_DEP_1) | instskip(SKIP_1) | instid1(VALU_DEP_2)
	v_add_f32_e32 v12, v12, v15
	v_fma_f32 v15, v71, v63, -v23
	v_add_f32_e32 v12, v12, v18
	s_delay_alu instid0(VALU_DEP_1) | instskip(NEXT) | instid1(VALU_DEP_1)
	v_add_f32_e32 v12, v12, v15
	v_add_f32_e32 v12, v12, v14
	s_delay_alu instid0(VALU_DEP_1)
	v_add_f32_e32 v12, v12, v13
	s_cbranch_scc1 .LBB200_2
.LBB200_3:
	s_mov_b32 s4, exec_lo
	v_cmpx_le_i32_e64 v2, v0
	s_cbranch_execz .LBB200_5
; %bb.4:
	s_clause 0x1
	s_load_b32 s4, s[0:1], 0x50
	s_load_b64 s[0:1], s[0:1], 0x58
	v_lshlrev_b64 v[0:1], 3, v[0:1]
	s_waitcnt lgkmcnt(0)
	v_mad_i64_i32 v[3:4], null, s4, v2, 0
	s_mul_i32 s1, s15, s1
	s_mul_hi_u32 s4, s15, s0
	s_mul_i32 s0, s15, s0
	s_add_i32 s1, s4, s1
	s_delay_alu instid0(SALU_CYCLE_1) | instskip(NEXT) | instid1(VALU_DEP_1)
	s_lshl_b64 s[0:1], s[0:1], 3
	v_lshlrev_b64 v[2:3], 3, v[3:4]
	s_add_u32 s0, s2, s0
	s_addc_u32 s1, s3, s1
	s_delay_alu instid0(VALU_DEP_1) | instskip(NEXT) | instid1(VALU_DEP_2)
	v_add_co_u32 v2, vcc_lo, s0, v2
	v_add_co_ci_u32_e32 v3, vcc_lo, s1, v3, vcc_lo
	s_delay_alu instid0(VALU_DEP_2) | instskip(NEXT) | instid1(VALU_DEP_2)
	v_add_co_u32 v0, vcc_lo, v2, v0
	v_add_co_ci_u32_e32 v1, vcc_lo, v3, v1, vcc_lo
	global_load_b64 v[2:3], v[0:1], off
	s_waitcnt vmcnt(0)
	v_mul_f32_e32 v6, s7, v3
	v_mul_f32_e32 v3, s6, v3
	s_delay_alu instid0(VALU_DEP_1) | instskip(NEXT) | instid1(VALU_DEP_3)
	v_fmac_f32_e32 v3, s7, v2
	v_fma_f32 v6, v2, s6, -v6
	v_mul_f32_e32 v5, s8, v11
	s_delay_alu instid0(VALU_DEP_1) | instskip(NEXT) | instid1(VALU_DEP_1)
	v_dual_mul_f32 v4, s9, v11 :: v_dual_fmac_f32 v5, s9, v12
	v_fma_f32 v4, v12, s8, -v4
	s_delay_alu instid0(VALU_DEP_1)
	v_dual_add_f32 v3, v5, v3 :: v_dual_add_f32 v2, v4, v6
	global_store_b64 v[0:1], v[2:3], off
.LBB200_5:
	s_nop 0
	s_sendmsg sendmsg(MSG_DEALLOC_VGPRS)
	s_endpgm
	.section	.rodata,"a",@progbits
	.p2align	6, 0x0
	.amdhsa_kernel _ZL41rocblas_syrkx_herkx_small_restrict_kernelIi19rocblas_complex_numIfELi16ELb0ELb0ELc78ELc76EKS1_S1_EviT_T0_PT6_S3_lS6_S3_lS4_PT7_S3_li
		.amdhsa_group_segment_fixed_size 4096
		.amdhsa_private_segment_fixed_size 0
		.amdhsa_kernarg_size 100
		.amdhsa_user_sgpr_count 13
		.amdhsa_user_sgpr_dispatch_ptr 0
		.amdhsa_user_sgpr_queue_ptr 0
		.amdhsa_user_sgpr_kernarg_segment_ptr 1
		.amdhsa_user_sgpr_dispatch_id 0
		.amdhsa_user_sgpr_private_segment_size 0
		.amdhsa_wavefront_size32 1
		.amdhsa_uses_dynamic_stack 0
		.amdhsa_enable_private_segment 0
		.amdhsa_system_sgpr_workgroup_id_x 1
		.amdhsa_system_sgpr_workgroup_id_y 1
		.amdhsa_system_sgpr_workgroup_id_z 1
		.amdhsa_system_sgpr_workgroup_info 0
		.amdhsa_system_vgpr_workitem_id 1
		.amdhsa_next_free_vgpr 86
		.amdhsa_next_free_sgpr 24
		.amdhsa_reserve_vcc 1
		.amdhsa_float_round_mode_32 0
		.amdhsa_float_round_mode_16_64 0
		.amdhsa_float_denorm_mode_32 3
		.amdhsa_float_denorm_mode_16_64 3
		.amdhsa_dx10_clamp 1
		.amdhsa_ieee_mode 1
		.amdhsa_fp16_overflow 0
		.amdhsa_workgroup_processor_mode 1
		.amdhsa_memory_ordered 1
		.amdhsa_forward_progress 0
		.amdhsa_shared_vgpr_count 0
		.amdhsa_exception_fp_ieee_invalid_op 0
		.amdhsa_exception_fp_denorm_src 0
		.amdhsa_exception_fp_ieee_div_zero 0
		.amdhsa_exception_fp_ieee_overflow 0
		.amdhsa_exception_fp_ieee_underflow 0
		.amdhsa_exception_fp_ieee_inexact 0
		.amdhsa_exception_int_div_zero 0
	.end_amdhsa_kernel
	.section	.text._ZL41rocblas_syrkx_herkx_small_restrict_kernelIi19rocblas_complex_numIfELi16ELb0ELb0ELc78ELc76EKS1_S1_EviT_T0_PT6_S3_lS6_S3_lS4_PT7_S3_li,"axG",@progbits,_ZL41rocblas_syrkx_herkx_small_restrict_kernelIi19rocblas_complex_numIfELi16ELb0ELb0ELc78ELc76EKS1_S1_EviT_T0_PT6_S3_lS6_S3_lS4_PT7_S3_li,comdat
.Lfunc_end200:
	.size	_ZL41rocblas_syrkx_herkx_small_restrict_kernelIi19rocblas_complex_numIfELi16ELb0ELb0ELc78ELc76EKS1_S1_EviT_T0_PT6_S3_lS6_S3_lS4_PT7_S3_li, .Lfunc_end200-_ZL41rocblas_syrkx_herkx_small_restrict_kernelIi19rocblas_complex_numIfELi16ELb0ELb0ELc78ELc76EKS1_S1_EviT_T0_PT6_S3_lS6_S3_lS4_PT7_S3_li
                                        ; -- End function
	.section	.AMDGPU.csdata,"",@progbits
; Kernel info:
; codeLenInByte = 1356
; NumSgprs: 26
; NumVgprs: 86
; ScratchSize: 0
; MemoryBound: 0
; FloatMode: 240
; IeeeMode: 1
; LDSByteSize: 4096 bytes/workgroup (compile time only)
; SGPRBlocks: 3
; VGPRBlocks: 10
; NumSGPRsForWavesPerEU: 26
; NumVGPRsForWavesPerEU: 86
; Occupancy: 16
; WaveLimiterHint : 0
; COMPUTE_PGM_RSRC2:SCRATCH_EN: 0
; COMPUTE_PGM_RSRC2:USER_SGPR: 13
; COMPUTE_PGM_RSRC2:TRAP_HANDLER: 0
; COMPUTE_PGM_RSRC2:TGID_X_EN: 1
; COMPUTE_PGM_RSRC2:TGID_Y_EN: 1
; COMPUTE_PGM_RSRC2:TGID_Z_EN: 1
; COMPUTE_PGM_RSRC2:TIDIG_COMP_CNT: 1
	.section	.text._ZL41rocblas_syrkx_herkx_small_restrict_kernelIi19rocblas_complex_numIfELi16ELb0ELb0ELc84ELc85EKS1_S1_EviT_T0_PT6_S3_lS6_S3_lS4_PT7_S3_li,"axG",@progbits,_ZL41rocblas_syrkx_herkx_small_restrict_kernelIi19rocblas_complex_numIfELi16ELb0ELb0ELc84ELc85EKS1_S1_EviT_T0_PT6_S3_lS6_S3_lS4_PT7_S3_li,comdat
	.globl	_ZL41rocblas_syrkx_herkx_small_restrict_kernelIi19rocblas_complex_numIfELi16ELb0ELb0ELc84ELc85EKS1_S1_EviT_T0_PT6_S3_lS6_S3_lS4_PT7_S3_li ; -- Begin function _ZL41rocblas_syrkx_herkx_small_restrict_kernelIi19rocblas_complex_numIfELi16ELb0ELb0ELc84ELc85EKS1_S1_EviT_T0_PT6_S3_lS6_S3_lS4_PT7_S3_li
	.p2align	8
	.type	_ZL41rocblas_syrkx_herkx_small_restrict_kernelIi19rocblas_complex_numIfELi16ELb0ELb0ELc84ELc85EKS1_S1_EviT_T0_PT6_S3_lS6_S3_lS4_PT7_S3_li,@function
_ZL41rocblas_syrkx_herkx_small_restrict_kernelIi19rocblas_complex_numIfELi16ELb0ELb0ELc84ELc85EKS1_S1_EviT_T0_PT6_S3_lS6_S3_lS4_PT7_S3_li: ; @_ZL41rocblas_syrkx_herkx_small_restrict_kernelIi19rocblas_complex_numIfELi16ELb0ELb0ELc84ELc85EKS1_S1_EviT_T0_PT6_S3_lS6_S3_lS4_PT7_S3_li
; %bb.0:
	s_clause 0x3
	s_load_b32 s12, s[0:1], 0x4
	s_load_b128 s[8:11], s[0:1], 0x8
	s_load_b128 s[4:7], s[0:1], 0x38
	s_load_b64 s[2:3], s[0:1], 0x48
	v_dual_mov_b32 v11, 0 :: v_dual_and_b32 v2, 0x3ff, v0
	v_bfe_u32 v1, v0, 10, 10
	v_mov_b32_e32 v10, 0
	s_delay_alu instid0(VALU_DEP_3) | instskip(SKIP_1) | instid1(VALU_DEP_3)
	v_lshl_add_u32 v0, s13, 4, v2
	s_mov_b32 s13, 0
	v_lshl_add_u32 v5, s14, 4, v1
	s_waitcnt lgkmcnt(0)
	s_cmp_lt_i32 s12, 1
	s_cbranch_scc1 .LBB201_3
; %bb.1:
	s_clause 0x2
	s_load_b32 s14, s[0:1], 0x30
	s_load_b32 s20, s[0:1], 0x18
	s_load_b128 s[16:19], s[0:1], 0x20
	v_lshlrev_b32_e32 v3, 7, v1
	v_dual_mov_b32 v11, 0 :: v_dual_lshlrev_b32 v6, 3, v2
	v_lshlrev_b32_e32 v10, 3, v1
	s_mul_i32 s5, s5, s15
	s_delay_alu instid0(VALU_DEP_3) | instskip(NEXT) | instid1(VALU_DEP_3)
	v_add_nc_u32_e32 v8, 0x800, v3
	v_add_nc_u32_e32 v7, v6, v3
	s_mul_hi_u32 s21, s4, s15
	s_mul_i32 s4, s4, s15
	s_add_i32 s5, s21, s5
	v_add_nc_u32_e32 v9, v8, v6
	s_lshl_b64 s[4:5], s[4:5], 3
	s_waitcnt lgkmcnt(0)
	v_mad_i64_i32 v[1:2], null, s14, v5, 0
	v_mad_i64_i32 v[3:4], null, s20, v0, 0
	s_mul_i32 s14, s17, s15
	s_mul_hi_u32 s17, s16, s15
	s_mul_i32 s16, s16, s15
	s_add_i32 s17, s17, s14
	s_delay_alu instid0(VALU_DEP_2) | instskip(SKIP_1) | instid1(VALU_DEP_2)
	v_lshlrev_b64 v[1:2], 3, v[1:2]
	s_lshl_b64 s[16:17], s[16:17], 3
	v_lshlrev_b64 v[3:4], 3, v[3:4]
	s_delay_alu instid0(VALU_DEP_2) | instskip(NEXT) | instid1(VALU_DEP_3)
	v_add_co_u32 v1, vcc_lo, v1, s4
	v_add_co_ci_u32_e32 v2, vcc_lo, s5, v2, vcc_lo
	s_delay_alu instid0(VALU_DEP_3) | instskip(NEXT) | instid1(VALU_DEP_4)
	v_add_co_u32 v3, vcc_lo, v3, s16
	v_add_co_ci_u32_e32 v4, vcc_lo, s17, v4, vcc_lo
	s_delay_alu instid0(VALU_DEP_4) | instskip(NEXT) | instid1(VALU_DEP_4)
	v_add_co_u32 v1, vcc_lo, v1, v6
	v_add_co_ci_u32_e32 v2, vcc_lo, 0, v2, vcc_lo
	s_delay_alu instid0(VALU_DEP_4) | instskip(NEXT) | instid1(VALU_DEP_4)
	;; [unrolled: 3-line block ×4, first 2 shown]
	v_add_co_u32 v3, vcc_lo, s10, v3
	v_add_co_ci_u32_e32 v4, vcc_lo, s11, v4, vcc_lo
	v_mov_b32_e32 v10, 0
.LBB201_2:                              ; =>This Inner Loop Header: Depth=1
	global_load_b64 v[12:13], v[3:4], off
	global_load_b64 v[14:15], v[1:2], off
	v_add_co_u32 v1, vcc_lo, 0x80, v1
	v_add_co_ci_u32_e32 v2, vcc_lo, 0, v2, vcc_lo
	v_add_co_u32 v3, vcc_lo, 0x80, v3
	v_add_co_ci_u32_e32 v4, vcc_lo, 0, v4, vcc_lo
	s_add_i32 s13, s13, 16
	s_waitcnt vmcnt(1)
	ds_store_b64 v7, v[12:13]
	s_waitcnt vmcnt(0)
	ds_store_b64 v9, v[14:15]
	s_waitcnt lgkmcnt(0)
	s_barrier
	buffer_gl0_inv
	ds_load_2addr_b64 v[12:15], v6 offset1:16
	ds_load_b128 v[16:19], v8
	ds_load_b128 v[20:23], v8 offset:16
	ds_load_2addr_b64 v[24:27], v6 offset0:32 offset1:48
	ds_load_2addr_b64 v[28:31], v6 offset0:64 offset1:80
	ds_load_b128 v[32:35], v8 offset:32
	ds_load_b128 v[36:39], v8 offset:48
	ds_load_2addr_b64 v[40:43], v6 offset0:96 offset1:112
	ds_load_2addr_b64 v[44:47], v6 offset0:128 offset1:144
	;; [unrolled: 1-line block ×3, first 2 shown]
	ds_load_b128 v[52:55], v8 offset:64
	ds_load_b128 v[56:59], v8 offset:80
	ds_load_2addr_b64 v[60:63], v6 offset0:192 offset1:208
	ds_load_2addr_b64 v[64:67], v6 offset0:224 offset1:240
	ds_load_b128 v[68:71], v8 offset:96
	ds_load_b128 v[72:75], v8 offset:112
	s_cmp_lt_i32 s13, s12
	s_waitcnt lgkmcnt(0)
	s_barrier
	buffer_gl0_inv
	v_dual_mul_f32 v76, v17, v13 :: v_dual_mul_f32 v77, v19, v15
	v_mul_f32_e32 v13, v16, v13
	v_dual_mul_f32 v15, v18, v15 :: v_dual_mul_f32 v78, v21, v25
	v_mul_f32_e32 v25, v20, v25
	s_delay_alu instid0(VALU_DEP_4) | instskip(SKIP_1) | instid1(VALU_DEP_4)
	v_fma_f32 v16, v16, v12, -v76
	v_dual_mul_f32 v79, v23, v27 :: v_dual_mul_f32 v80, v33, v29
	v_fmac_f32_e32 v15, v19, v14
	s_delay_alu instid0(VALU_DEP_4) | instskip(SKIP_4) | instid1(VALU_DEP_4)
	v_fmac_f32_e32 v25, v21, v24
	v_fmac_f32_e32 v13, v17, v12
	v_mul_f32_e32 v83, v39, v43
	v_dual_mul_f32 v27, v22, v27 :: v_dual_mul_f32 v82, v37, v41
	v_mul_f32_e32 v43, v38, v43
	v_add_f32_e32 v10, v10, v13
	v_mul_f32_e32 v29, v32, v29
	v_dual_add_f32 v11, v11, v16 :: v_dual_mul_f32 v16, v72, v65
	v_mul_f32_e32 v17, v54, v47
	s_delay_alu instid0(VALU_DEP_4) | instskip(SKIP_1) | instid1(VALU_DEP_3)
	v_add_f32_e32 v10, v10, v15
	v_dual_mul_f32 v81, v35, v31 :: v_dual_mul_f32 v84, v53, v45
	v_dual_fmac_f32 v16, v73, v64 :: v_dual_fmac_f32 v17, v55, v46
	s_delay_alu instid0(VALU_DEP_3) | instskip(SKIP_3) | instid1(VALU_DEP_4)
	v_dual_fmac_f32 v27, v23, v26 :: v_dual_add_f32 v10, v10, v25
	v_mul_f32_e32 v31, v34, v31
	v_mul_f32_e32 v45, v52, v45
	v_fmac_f32_e32 v29, v33, v28
	v_dual_mul_f32 v41, v36, v41 :: v_dual_add_f32 v10, v10, v27
	v_fma_f32 v12, v18, v14, -v77
	v_dual_mul_f32 v18, v57, v49 :: v_dual_fmac_f32 v31, v35, v30
	v_mul_f32_e32 v14, v55, v47
	s_delay_alu instid0(VALU_DEP_4) | instskip(SKIP_3) | instid1(VALU_DEP_4)
	v_add_f32_e32 v10, v10, v29
	v_mul_f32_e32 v19, v56, v49
	v_add_f32_e32 v11, v11, v12
	v_dual_mul_f32 v12, v75, v67 :: v_dual_fmac_f32 v41, v37, v40
	v_add_f32_e32 v10, v10, v31
	v_mul_f32_e32 v47, v59, v51
	v_fmac_f32_e32 v43, v39, v42
	v_mul_f32_e32 v49, v58, v51
	s_delay_alu instid0(VALU_DEP_4) | instskip(SKIP_2) | instid1(VALU_DEP_4)
	v_dual_fmac_f32 v45, v53, v44 :: v_dual_add_f32 v10, v10, v41
	v_mul_f32_e32 v51, v69, v61
	v_fmac_f32_e32 v19, v57, v48
	v_fmac_f32_e32 v49, v59, v50
	v_mul_f32_e32 v23, v70, v63
	v_add_f32_e32 v10, v10, v43
	v_fma_f32 v20, v20, v24, -v78
	v_mul_f32_e32 v15, v74, v67
	v_fma_f32 v21, v22, v26, -v79
	s_delay_alu instid0(VALU_DEP_4) | instskip(SKIP_1) | instid1(VALU_DEP_4)
	v_dual_fmac_f32 v23, v71, v62 :: v_dual_add_f32 v10, v10, v45
	v_fma_f32 v14, v54, v46, -v14
	v_fmac_f32_e32 v15, v75, v66
	v_fma_f32 v18, v56, v48, -v18
	v_mul_f32_e32 v22, v71, v63
	v_add_f32_e32 v10, v10, v17
	v_mul_f32_e32 v61, v68, v61
	v_fma_f32 v17, v68, v60, -v51
	v_fma_f32 v12, v74, v66, -v12
	s_delay_alu instid0(VALU_DEP_3) | instskip(NEXT) | instid1(VALU_DEP_1)
	v_dual_add_f32 v10, v10, v19 :: v_dual_fmac_f32 v61, v69, v60
	v_add_f32_e32 v10, v10, v49
	s_delay_alu instid0(VALU_DEP_1) | instskip(NEXT) | instid1(VALU_DEP_1)
	v_add_f32_e32 v10, v10, v61
	v_dual_mul_f32 v13, v73, v65 :: v_dual_add_f32 v10, v10, v23
	s_delay_alu instid0(VALU_DEP_1) | instskip(NEXT) | instid1(VALU_DEP_2)
	v_fma_f32 v13, v72, v64, -v13
	v_add_f32_e32 v10, v10, v16
	v_add_f32_e32 v11, v11, v20
	v_fma_f32 v20, v32, v28, -v80
	s_delay_alu instid0(VALU_DEP_2) | instskip(SKIP_1) | instid1(VALU_DEP_2)
	v_dual_add_f32 v10, v10, v15 :: v_dual_add_f32 v11, v11, v21
	v_fma_f32 v21, v34, v30, -v81
	v_add_f32_e32 v11, v11, v20
	v_fma_f32 v20, v36, v40, -v82
	s_delay_alu instid0(VALU_DEP_2) | instskip(SKIP_1) | instid1(VALU_DEP_2)
	v_add_f32_e32 v11, v11, v21
	v_fma_f32 v21, v38, v42, -v83
	v_add_f32_e32 v11, v11, v20
	v_fma_f32 v20, v52, v44, -v84
	s_delay_alu instid0(VALU_DEP_2) | instskip(NEXT) | instid1(VALU_DEP_1)
	v_add_f32_e32 v11, v11, v21
	v_add_f32_e32 v11, v11, v20
	s_delay_alu instid0(VALU_DEP_1) | instskip(SKIP_1) | instid1(VALU_DEP_2)
	v_add_f32_e32 v11, v11, v14
	v_fma_f32 v14, v58, v50, -v47
	v_add_f32_e32 v11, v11, v18
	s_delay_alu instid0(VALU_DEP_1) | instskip(SKIP_1) | instid1(VALU_DEP_2)
	v_add_f32_e32 v11, v11, v14
	v_fma_f32 v14, v70, v62, -v22
	v_add_f32_e32 v11, v11, v17
	s_delay_alu instid0(VALU_DEP_1) | instskip(NEXT) | instid1(VALU_DEP_1)
	v_add_f32_e32 v11, v11, v14
	v_add_f32_e32 v11, v11, v13
	s_delay_alu instid0(VALU_DEP_1)
	v_add_f32_e32 v11, v11, v12
	s_cbranch_scc1 .LBB201_2
.LBB201_3:
	s_mov_b32 s4, exec_lo
	v_cmpx_le_i32_e64 v0, v5
	s_cbranch_execz .LBB201_5
; %bb.4:
	s_clause 0x1
	s_load_b32 s4, s[0:1], 0x50
	s_load_b64 s[0:1], s[0:1], 0x58
	v_ashrrev_i32_e32 v1, 31, v0
	s_delay_alu instid0(VALU_DEP_1)
	v_lshlrev_b64 v[0:1], 3, v[0:1]
	s_waitcnt lgkmcnt(0)
	v_mad_i64_i32 v[2:3], null, s4, v5, 0
	s_mul_i32 s1, s15, s1
	s_mul_hi_u32 s4, s15, s0
	s_mul_i32 s0, s15, s0
	s_add_i32 s1, s4, s1
	s_delay_alu instid0(SALU_CYCLE_1) | instskip(NEXT) | instid1(VALU_DEP_1)
	s_lshl_b64 s[0:1], s[0:1], 3
	v_lshlrev_b64 v[2:3], 3, v[2:3]
	s_add_u32 s0, s2, s0
	s_addc_u32 s1, s3, s1
	s_delay_alu instid0(VALU_DEP_1) | instskip(NEXT) | instid1(VALU_DEP_2)
	v_add_co_u32 v2, vcc_lo, s0, v2
	v_add_co_ci_u32_e32 v3, vcc_lo, s1, v3, vcc_lo
	s_delay_alu instid0(VALU_DEP_2) | instskip(NEXT) | instid1(VALU_DEP_2)
	v_add_co_u32 v0, vcc_lo, v2, v0
	v_add_co_ci_u32_e32 v1, vcc_lo, v3, v1, vcc_lo
	global_load_b64 v[2:3], v[0:1], off
	v_mul_f32_e32 v4, s9, v10
	s_waitcnt vmcnt(0)
	v_dual_mul_f32 v5, s8, v10 :: v_dual_mul_f32 v6, s7, v3
	v_mul_f32_e32 v3, s6, v3
	s_delay_alu instid0(VALU_DEP_3) | instskip(NEXT) | instid1(VALU_DEP_3)
	v_fma_f32 v4, v11, s8, -v4
	v_fma_f32 v6, v2, s6, -v6
	s_delay_alu instid0(VALU_DEP_4) | instskip(NEXT) | instid1(VALU_DEP_4)
	v_fmac_f32_e32 v5, s9, v11
	v_fmac_f32_e32 v3, s7, v2
	s_delay_alu instid0(VALU_DEP_1)
	v_dual_add_f32 v2, v4, v6 :: v_dual_add_f32 v3, v5, v3
	global_store_b64 v[0:1], v[2:3], off
.LBB201_5:
	s_nop 0
	s_sendmsg sendmsg(MSG_DEALLOC_VGPRS)
	s_endpgm
	.section	.rodata,"a",@progbits
	.p2align	6, 0x0
	.amdhsa_kernel _ZL41rocblas_syrkx_herkx_small_restrict_kernelIi19rocblas_complex_numIfELi16ELb0ELb0ELc84ELc85EKS1_S1_EviT_T0_PT6_S3_lS6_S3_lS4_PT7_S3_li
		.amdhsa_group_segment_fixed_size 4096
		.amdhsa_private_segment_fixed_size 0
		.amdhsa_kernarg_size 100
		.amdhsa_user_sgpr_count 13
		.amdhsa_user_sgpr_dispatch_ptr 0
		.amdhsa_user_sgpr_queue_ptr 0
		.amdhsa_user_sgpr_kernarg_segment_ptr 1
		.amdhsa_user_sgpr_dispatch_id 0
		.amdhsa_user_sgpr_private_segment_size 0
		.amdhsa_wavefront_size32 1
		.amdhsa_uses_dynamic_stack 0
		.amdhsa_enable_private_segment 0
		.amdhsa_system_sgpr_workgroup_id_x 1
		.amdhsa_system_sgpr_workgroup_id_y 1
		.amdhsa_system_sgpr_workgroup_id_z 1
		.amdhsa_system_sgpr_workgroup_info 0
		.amdhsa_system_vgpr_workitem_id 1
		.amdhsa_next_free_vgpr 85
		.amdhsa_next_free_sgpr 22
		.amdhsa_reserve_vcc 1
		.amdhsa_float_round_mode_32 0
		.amdhsa_float_round_mode_16_64 0
		.amdhsa_float_denorm_mode_32 3
		.amdhsa_float_denorm_mode_16_64 3
		.amdhsa_dx10_clamp 1
		.amdhsa_ieee_mode 1
		.amdhsa_fp16_overflow 0
		.amdhsa_workgroup_processor_mode 1
		.amdhsa_memory_ordered 1
		.amdhsa_forward_progress 0
		.amdhsa_shared_vgpr_count 0
		.amdhsa_exception_fp_ieee_invalid_op 0
		.amdhsa_exception_fp_denorm_src 0
		.amdhsa_exception_fp_ieee_div_zero 0
		.amdhsa_exception_fp_ieee_overflow 0
		.amdhsa_exception_fp_ieee_underflow 0
		.amdhsa_exception_fp_ieee_inexact 0
		.amdhsa_exception_int_div_zero 0
	.end_amdhsa_kernel
	.section	.text._ZL41rocblas_syrkx_herkx_small_restrict_kernelIi19rocblas_complex_numIfELi16ELb0ELb0ELc84ELc85EKS1_S1_EviT_T0_PT6_S3_lS6_S3_lS4_PT7_S3_li,"axG",@progbits,_ZL41rocblas_syrkx_herkx_small_restrict_kernelIi19rocblas_complex_numIfELi16ELb0ELb0ELc84ELc85EKS1_S1_EviT_T0_PT6_S3_lS6_S3_lS4_PT7_S3_li,comdat
.Lfunc_end201:
	.size	_ZL41rocblas_syrkx_herkx_small_restrict_kernelIi19rocblas_complex_numIfELi16ELb0ELb0ELc84ELc85EKS1_S1_EviT_T0_PT6_S3_lS6_S3_lS4_PT7_S3_li, .Lfunc_end201-_ZL41rocblas_syrkx_herkx_small_restrict_kernelIi19rocblas_complex_numIfELi16ELb0ELb0ELc84ELc85EKS1_S1_EviT_T0_PT6_S3_lS6_S3_lS4_PT7_S3_li
                                        ; -- End function
	.section	.AMDGPU.csdata,"",@progbits
; Kernel info:
; codeLenInByte = 1328
; NumSgprs: 24
; NumVgprs: 85
; ScratchSize: 0
; MemoryBound: 0
; FloatMode: 240
; IeeeMode: 1
; LDSByteSize: 4096 bytes/workgroup (compile time only)
; SGPRBlocks: 2
; VGPRBlocks: 10
; NumSGPRsForWavesPerEU: 24
; NumVGPRsForWavesPerEU: 85
; Occupancy: 16
; WaveLimiterHint : 0
; COMPUTE_PGM_RSRC2:SCRATCH_EN: 0
; COMPUTE_PGM_RSRC2:USER_SGPR: 13
; COMPUTE_PGM_RSRC2:TRAP_HANDLER: 0
; COMPUTE_PGM_RSRC2:TGID_X_EN: 1
; COMPUTE_PGM_RSRC2:TGID_Y_EN: 1
; COMPUTE_PGM_RSRC2:TGID_Z_EN: 1
; COMPUTE_PGM_RSRC2:TIDIG_COMP_CNT: 1
	.section	.text._ZL41rocblas_syrkx_herkx_small_restrict_kernelIi19rocblas_complex_numIfELi16ELb0ELb0ELc67ELc85EKS1_S1_EviT_T0_PT6_S3_lS6_S3_lS4_PT7_S3_li,"axG",@progbits,_ZL41rocblas_syrkx_herkx_small_restrict_kernelIi19rocblas_complex_numIfELi16ELb0ELb0ELc67ELc85EKS1_S1_EviT_T0_PT6_S3_lS6_S3_lS4_PT7_S3_li,comdat
	.globl	_ZL41rocblas_syrkx_herkx_small_restrict_kernelIi19rocblas_complex_numIfELi16ELb0ELb0ELc67ELc85EKS1_S1_EviT_T0_PT6_S3_lS6_S3_lS4_PT7_S3_li ; -- Begin function _ZL41rocblas_syrkx_herkx_small_restrict_kernelIi19rocblas_complex_numIfELi16ELb0ELb0ELc67ELc85EKS1_S1_EviT_T0_PT6_S3_lS6_S3_lS4_PT7_S3_li
	.p2align	8
	.type	_ZL41rocblas_syrkx_herkx_small_restrict_kernelIi19rocblas_complex_numIfELi16ELb0ELb0ELc67ELc85EKS1_S1_EviT_T0_PT6_S3_lS6_S3_lS4_PT7_S3_li,@function
_ZL41rocblas_syrkx_herkx_small_restrict_kernelIi19rocblas_complex_numIfELi16ELb0ELb0ELc67ELc85EKS1_S1_EviT_T0_PT6_S3_lS6_S3_lS4_PT7_S3_li: ; @_ZL41rocblas_syrkx_herkx_small_restrict_kernelIi19rocblas_complex_numIfELi16ELb0ELb0ELc67ELc85EKS1_S1_EviT_T0_PT6_S3_lS6_S3_lS4_PT7_S3_li
; %bb.0:
	s_clause 0x3
	s_load_b32 s12, s[0:1], 0x4
	s_load_b128 s[8:11], s[0:1], 0x8
	s_load_b128 s[4:7], s[0:1], 0x38
	s_load_b64 s[2:3], s[0:1], 0x48
	v_dual_mov_b32 v11, 0 :: v_dual_and_b32 v2, 0x3ff, v0
	v_bfe_u32 v1, v0, 10, 10
	v_mov_b32_e32 v10, 0
	s_delay_alu instid0(VALU_DEP_3) | instskip(SKIP_1) | instid1(VALU_DEP_3)
	v_lshl_add_u32 v0, s13, 4, v2
	s_mov_b32 s13, 0
	v_lshl_add_u32 v5, s14, 4, v1
	s_waitcnt lgkmcnt(0)
	s_cmp_lt_i32 s12, 1
	s_cbranch_scc1 .LBB202_3
; %bb.1:
	s_clause 0x2
	s_load_b32 s14, s[0:1], 0x18
	s_load_b32 s20, s[0:1], 0x30
	s_load_b128 s[16:19], s[0:1], 0x20
	v_lshlrev_b32_e32 v3, 7, v1
	v_lshlrev_b32_e32 v6, 3, v2
	;; [unrolled: 1-line block ×3, first 2 shown]
	s_mul_i32 s5, s5, s15
	s_mul_hi_u32 s21, s4, s15
	v_add_nc_u32_e32 v8, 0x800, v3
	v_add_nc_u32_e32 v7, v6, v3
	s_mul_i32 s4, s4, s15
	s_add_i32 s5, s21, s5
	s_delay_alu instid0(SALU_CYCLE_1)
	s_lshl_b64 s[4:5], s[4:5], 3
	s_waitcnt lgkmcnt(0)
	v_mad_i64_i32 v[1:2], null, s14, v0, 0
	v_mad_i64_i32 v[3:4], null, s20, v5, 0
	s_mul_i32 s14, s17, s15
	s_mul_hi_u32 s17, s16, s15
	s_mul_i32 s16, s16, s15
	s_add_i32 s17, s17, s14
	s_delay_alu instid0(VALU_DEP_2) | instskip(SKIP_1) | instid1(VALU_DEP_2)
	v_lshlrev_b64 v[1:2], 3, v[1:2]
	s_lshl_b64 s[16:17], s[16:17], 3
	v_lshlrev_b64 v[3:4], 3, v[3:4]
	s_delay_alu instid0(VALU_DEP_2) | instskip(NEXT) | instid1(VALU_DEP_3)
	v_add_co_u32 v1, vcc_lo, v1, s16
	v_add_co_ci_u32_e32 v2, vcc_lo, s17, v2, vcc_lo
	s_delay_alu instid0(VALU_DEP_3) | instskip(NEXT) | instid1(VALU_DEP_4)
	v_add_co_u32 v3, vcc_lo, v3, s4
	v_add_co_ci_u32_e32 v4, vcc_lo, s5, v4, vcc_lo
	s_delay_alu instid0(VALU_DEP_4) | instskip(NEXT) | instid1(VALU_DEP_4)
	v_add_co_u32 v1, vcc_lo, v1, v10
	v_add_co_ci_u32_e32 v2, vcc_lo, 0, v2, vcc_lo
	s_delay_alu instid0(VALU_DEP_4) | instskip(NEXT) | instid1(VALU_DEP_4)
	;; [unrolled: 3-line block ×5, first 2 shown]
	v_add_co_u32 v3, vcc_lo, v10, 4
	v_add_co_ci_u32_e32 v4, vcc_lo, 0, v11, vcc_lo
	v_mov_b32_e32 v11, 0
	v_dual_mov_b32 v10, 0 :: v_dual_add_nc_u32 v9, v8, v6
.LBB202_2:                              ; =>This Inner Loop Header: Depth=1
	global_load_b64 v[12:13], v[3:4], off offset:-4
	global_load_b64 v[14:15], v[1:2], off
	v_add_co_u32 v1, vcc_lo, 0x80, v1
	v_add_co_ci_u32_e32 v2, vcc_lo, 0, v2, vcc_lo
	v_add_co_u32 v3, vcc_lo, 0x80, v3
	v_add_co_ci_u32_e32 v4, vcc_lo, 0, v4, vcc_lo
	s_add_i32 s13, s13, 16
	s_waitcnt vmcnt(1)
	ds_store_b64 v7, v[12:13]
	s_waitcnt vmcnt(0)
	ds_store_b64 v9, v[14:15]
	s_waitcnt lgkmcnt(0)
	s_barrier
	buffer_gl0_inv
	ds_load_2addr_b64 v[12:15], v6 offset1:16
	ds_load_b128 v[16:19], v8
	ds_load_b128 v[20:23], v8 offset:16
	ds_load_2addr_b64 v[24:27], v6 offset0:32 offset1:48
	ds_load_2addr_b64 v[28:31], v6 offset0:64 offset1:80
	ds_load_b128 v[32:35], v8 offset:32
	ds_load_b128 v[36:39], v8 offset:48
	ds_load_2addr_b64 v[40:43], v6 offset0:96 offset1:112
	ds_load_2addr_b64 v[44:47], v6 offset0:128 offset1:144
	;; [unrolled: 1-line block ×3, first 2 shown]
	ds_load_b128 v[52:55], v8 offset:64
	ds_load_b128 v[56:59], v8 offset:80
	ds_load_2addr_b64 v[60:63], v6 offset0:192 offset1:208
	ds_load_2addr_b64 v[64:67], v6 offset0:224 offset1:240
	ds_load_b128 v[68:71], v8 offset:96
	ds_load_b128 v[72:75], v8 offset:112
	s_cmp_lt_i32 s13, s12
	s_waitcnt lgkmcnt(0)
	s_barrier
	buffer_gl0_inv
	v_dual_mul_f32 v76, v17, v13 :: v_dual_mul_f32 v77, v19, v15
	v_mul_f32_e32 v13, v16, v13
	v_dual_mul_f32 v15, v18, v15 :: v_dual_mul_f32 v78, v21, v25
	v_mul_f32_e32 v25, v20, v25
	s_delay_alu instid0(VALU_DEP_4) | instskip(SKIP_1) | instid1(VALU_DEP_4)
	v_fma_f32 v16, v16, v12, -v76
	v_dual_mul_f32 v79, v23, v27 :: v_dual_mul_f32 v80, v33, v29
	v_fmac_f32_e32 v15, v19, v14
	s_delay_alu instid0(VALU_DEP_4) | instskip(SKIP_4) | instid1(VALU_DEP_4)
	v_fmac_f32_e32 v25, v21, v24
	v_fmac_f32_e32 v13, v17, v12
	v_mul_f32_e32 v83, v39, v43
	v_dual_mul_f32 v27, v22, v27 :: v_dual_mul_f32 v82, v37, v41
	v_mul_f32_e32 v43, v38, v43
	v_add_f32_e32 v10, v10, v13
	v_mul_f32_e32 v29, v32, v29
	v_dual_add_f32 v11, v11, v16 :: v_dual_mul_f32 v16, v72, v65
	v_mul_f32_e32 v17, v54, v47
	s_delay_alu instid0(VALU_DEP_4) | instskip(SKIP_1) | instid1(VALU_DEP_3)
	v_add_f32_e32 v10, v10, v15
	v_dual_mul_f32 v81, v35, v31 :: v_dual_mul_f32 v84, v53, v45
	v_dual_fmac_f32 v16, v73, v64 :: v_dual_fmac_f32 v17, v55, v46
	s_delay_alu instid0(VALU_DEP_3) | instskip(SKIP_3) | instid1(VALU_DEP_4)
	v_dual_fmac_f32 v27, v23, v26 :: v_dual_add_f32 v10, v10, v25
	v_mul_f32_e32 v31, v34, v31
	v_mul_f32_e32 v45, v52, v45
	v_fmac_f32_e32 v29, v33, v28
	v_dual_mul_f32 v41, v36, v41 :: v_dual_add_f32 v10, v10, v27
	v_fma_f32 v12, v18, v14, -v77
	v_dual_mul_f32 v18, v57, v49 :: v_dual_fmac_f32 v31, v35, v30
	v_mul_f32_e32 v14, v55, v47
	s_delay_alu instid0(VALU_DEP_4) | instskip(SKIP_3) | instid1(VALU_DEP_4)
	v_add_f32_e32 v10, v10, v29
	v_mul_f32_e32 v19, v56, v49
	v_add_f32_e32 v11, v11, v12
	v_dual_mul_f32 v12, v75, v67 :: v_dual_fmac_f32 v41, v37, v40
	v_add_f32_e32 v10, v10, v31
	v_mul_f32_e32 v47, v59, v51
	v_fmac_f32_e32 v43, v39, v42
	v_mul_f32_e32 v49, v58, v51
	s_delay_alu instid0(VALU_DEP_4) | instskip(SKIP_2) | instid1(VALU_DEP_4)
	v_dual_fmac_f32 v45, v53, v44 :: v_dual_add_f32 v10, v10, v41
	v_mul_f32_e32 v51, v69, v61
	v_fmac_f32_e32 v19, v57, v48
	v_fmac_f32_e32 v49, v59, v50
	v_mul_f32_e32 v23, v70, v63
	v_add_f32_e32 v10, v10, v43
	v_fma_f32 v20, v20, v24, -v78
	v_mul_f32_e32 v15, v74, v67
	v_fma_f32 v21, v22, v26, -v79
	s_delay_alu instid0(VALU_DEP_4) | instskip(SKIP_1) | instid1(VALU_DEP_4)
	v_dual_fmac_f32 v23, v71, v62 :: v_dual_add_f32 v10, v10, v45
	v_fma_f32 v14, v54, v46, -v14
	v_fmac_f32_e32 v15, v75, v66
	v_fma_f32 v18, v56, v48, -v18
	v_mul_f32_e32 v22, v71, v63
	v_add_f32_e32 v10, v10, v17
	v_mul_f32_e32 v61, v68, v61
	v_fma_f32 v17, v68, v60, -v51
	v_fma_f32 v12, v74, v66, -v12
	s_delay_alu instid0(VALU_DEP_3) | instskip(NEXT) | instid1(VALU_DEP_1)
	v_dual_add_f32 v10, v10, v19 :: v_dual_fmac_f32 v61, v69, v60
	v_add_f32_e32 v10, v10, v49
	s_delay_alu instid0(VALU_DEP_1) | instskip(NEXT) | instid1(VALU_DEP_1)
	v_add_f32_e32 v10, v10, v61
	v_dual_mul_f32 v13, v73, v65 :: v_dual_add_f32 v10, v10, v23
	s_delay_alu instid0(VALU_DEP_1) | instskip(NEXT) | instid1(VALU_DEP_2)
	v_fma_f32 v13, v72, v64, -v13
	v_add_f32_e32 v10, v10, v16
	v_add_f32_e32 v11, v11, v20
	v_fma_f32 v20, v32, v28, -v80
	s_delay_alu instid0(VALU_DEP_2) | instskip(SKIP_1) | instid1(VALU_DEP_2)
	v_dual_add_f32 v10, v10, v15 :: v_dual_add_f32 v11, v11, v21
	v_fma_f32 v21, v34, v30, -v81
	v_add_f32_e32 v11, v11, v20
	v_fma_f32 v20, v36, v40, -v82
	s_delay_alu instid0(VALU_DEP_2) | instskip(SKIP_1) | instid1(VALU_DEP_2)
	v_add_f32_e32 v11, v11, v21
	v_fma_f32 v21, v38, v42, -v83
	v_add_f32_e32 v11, v11, v20
	v_fma_f32 v20, v52, v44, -v84
	s_delay_alu instid0(VALU_DEP_2) | instskip(NEXT) | instid1(VALU_DEP_1)
	v_add_f32_e32 v11, v11, v21
	v_add_f32_e32 v11, v11, v20
	s_delay_alu instid0(VALU_DEP_1) | instskip(SKIP_1) | instid1(VALU_DEP_2)
	v_add_f32_e32 v11, v11, v14
	v_fma_f32 v14, v58, v50, -v47
	v_add_f32_e32 v11, v11, v18
	s_delay_alu instid0(VALU_DEP_1) | instskip(SKIP_1) | instid1(VALU_DEP_2)
	v_add_f32_e32 v11, v11, v14
	v_fma_f32 v14, v70, v62, -v22
	v_add_f32_e32 v11, v11, v17
	s_delay_alu instid0(VALU_DEP_1) | instskip(NEXT) | instid1(VALU_DEP_1)
	v_add_f32_e32 v11, v11, v14
	v_add_f32_e32 v11, v11, v13
	s_delay_alu instid0(VALU_DEP_1)
	v_add_f32_e32 v11, v11, v12
	s_cbranch_scc1 .LBB202_2
.LBB202_3:
	s_mov_b32 s4, exec_lo
	v_cmpx_le_i32_e64 v0, v5
	s_cbranch_execz .LBB202_5
; %bb.4:
	s_clause 0x1
	s_load_b32 s4, s[0:1], 0x50
	s_load_b64 s[0:1], s[0:1], 0x58
	v_ashrrev_i32_e32 v1, 31, v0
	s_delay_alu instid0(VALU_DEP_1)
	v_lshlrev_b64 v[0:1], 3, v[0:1]
	s_waitcnt lgkmcnt(0)
	v_mad_i64_i32 v[2:3], null, s4, v5, 0
	s_mul_i32 s1, s15, s1
	s_mul_hi_u32 s4, s15, s0
	s_mul_i32 s0, s15, s0
	s_add_i32 s1, s4, s1
	s_delay_alu instid0(SALU_CYCLE_1) | instskip(NEXT) | instid1(VALU_DEP_1)
	s_lshl_b64 s[0:1], s[0:1], 3
	v_lshlrev_b64 v[2:3], 3, v[2:3]
	s_add_u32 s0, s2, s0
	s_addc_u32 s1, s3, s1
	s_delay_alu instid0(VALU_DEP_1) | instskip(NEXT) | instid1(VALU_DEP_2)
	v_add_co_u32 v2, vcc_lo, s0, v2
	v_add_co_ci_u32_e32 v3, vcc_lo, s1, v3, vcc_lo
	s_delay_alu instid0(VALU_DEP_2) | instskip(NEXT) | instid1(VALU_DEP_2)
	v_add_co_u32 v0, vcc_lo, v2, v0
	v_add_co_ci_u32_e32 v1, vcc_lo, v3, v1, vcc_lo
	global_load_b64 v[2:3], v[0:1], off
	v_mul_f32_e32 v4, s9, v10
	s_waitcnt vmcnt(0)
	v_dual_mul_f32 v5, s8, v10 :: v_dual_mul_f32 v6, s7, v3
	v_mul_f32_e32 v3, s6, v3
	s_delay_alu instid0(VALU_DEP_3) | instskip(NEXT) | instid1(VALU_DEP_3)
	v_fma_f32 v4, v11, s8, -v4
	v_fma_f32 v6, v2, s6, -v6
	s_delay_alu instid0(VALU_DEP_4) | instskip(NEXT) | instid1(VALU_DEP_4)
	v_fmac_f32_e32 v5, s9, v11
	v_fmac_f32_e32 v3, s7, v2
	s_delay_alu instid0(VALU_DEP_1)
	v_dual_add_f32 v2, v4, v6 :: v_dual_add_f32 v3, v5, v3
	global_store_b64 v[0:1], v[2:3], off
.LBB202_5:
	s_nop 0
	s_sendmsg sendmsg(MSG_DEALLOC_VGPRS)
	s_endpgm
	.section	.rodata,"a",@progbits
	.p2align	6, 0x0
	.amdhsa_kernel _ZL41rocblas_syrkx_herkx_small_restrict_kernelIi19rocblas_complex_numIfELi16ELb0ELb0ELc67ELc85EKS1_S1_EviT_T0_PT6_S3_lS6_S3_lS4_PT7_S3_li
		.amdhsa_group_segment_fixed_size 4096
		.amdhsa_private_segment_fixed_size 0
		.amdhsa_kernarg_size 100
		.amdhsa_user_sgpr_count 13
		.amdhsa_user_sgpr_dispatch_ptr 0
		.amdhsa_user_sgpr_queue_ptr 0
		.amdhsa_user_sgpr_kernarg_segment_ptr 1
		.amdhsa_user_sgpr_dispatch_id 0
		.amdhsa_user_sgpr_private_segment_size 0
		.amdhsa_wavefront_size32 1
		.amdhsa_uses_dynamic_stack 0
		.amdhsa_enable_private_segment 0
		.amdhsa_system_sgpr_workgroup_id_x 1
		.amdhsa_system_sgpr_workgroup_id_y 1
		.amdhsa_system_sgpr_workgroup_id_z 1
		.amdhsa_system_sgpr_workgroup_info 0
		.amdhsa_system_vgpr_workitem_id 1
		.amdhsa_next_free_vgpr 85
		.amdhsa_next_free_sgpr 22
		.amdhsa_reserve_vcc 1
		.amdhsa_float_round_mode_32 0
		.amdhsa_float_round_mode_16_64 0
		.amdhsa_float_denorm_mode_32 3
		.amdhsa_float_denorm_mode_16_64 3
		.amdhsa_dx10_clamp 1
		.amdhsa_ieee_mode 1
		.amdhsa_fp16_overflow 0
		.amdhsa_workgroup_processor_mode 1
		.amdhsa_memory_ordered 1
		.amdhsa_forward_progress 0
		.amdhsa_shared_vgpr_count 0
		.amdhsa_exception_fp_ieee_invalid_op 0
		.amdhsa_exception_fp_denorm_src 0
		.amdhsa_exception_fp_ieee_div_zero 0
		.amdhsa_exception_fp_ieee_overflow 0
		.amdhsa_exception_fp_ieee_underflow 0
		.amdhsa_exception_fp_ieee_inexact 0
		.amdhsa_exception_int_div_zero 0
	.end_amdhsa_kernel
	.section	.text._ZL41rocblas_syrkx_herkx_small_restrict_kernelIi19rocblas_complex_numIfELi16ELb0ELb0ELc67ELc85EKS1_S1_EviT_T0_PT6_S3_lS6_S3_lS4_PT7_S3_li,"axG",@progbits,_ZL41rocblas_syrkx_herkx_small_restrict_kernelIi19rocblas_complex_numIfELi16ELb0ELb0ELc67ELc85EKS1_S1_EviT_T0_PT6_S3_lS6_S3_lS4_PT7_S3_li,comdat
.Lfunc_end202:
	.size	_ZL41rocblas_syrkx_herkx_small_restrict_kernelIi19rocblas_complex_numIfELi16ELb0ELb0ELc67ELc85EKS1_S1_EviT_T0_PT6_S3_lS6_S3_lS4_PT7_S3_li, .Lfunc_end202-_ZL41rocblas_syrkx_herkx_small_restrict_kernelIi19rocblas_complex_numIfELi16ELb0ELb0ELc67ELc85EKS1_S1_EviT_T0_PT6_S3_lS6_S3_lS4_PT7_S3_li
                                        ; -- End function
	.section	.AMDGPU.csdata,"",@progbits
; Kernel info:
; codeLenInByte = 1344
; NumSgprs: 24
; NumVgprs: 85
; ScratchSize: 0
; MemoryBound: 0
; FloatMode: 240
; IeeeMode: 1
; LDSByteSize: 4096 bytes/workgroup (compile time only)
; SGPRBlocks: 2
; VGPRBlocks: 10
; NumSGPRsForWavesPerEU: 24
; NumVGPRsForWavesPerEU: 85
; Occupancy: 16
; WaveLimiterHint : 0
; COMPUTE_PGM_RSRC2:SCRATCH_EN: 0
; COMPUTE_PGM_RSRC2:USER_SGPR: 13
; COMPUTE_PGM_RSRC2:TRAP_HANDLER: 0
; COMPUTE_PGM_RSRC2:TGID_X_EN: 1
; COMPUTE_PGM_RSRC2:TGID_Y_EN: 1
; COMPUTE_PGM_RSRC2:TGID_Z_EN: 1
; COMPUTE_PGM_RSRC2:TIDIG_COMP_CNT: 1
	.section	.text._ZL41rocblas_syrkx_herkx_small_restrict_kernelIi19rocblas_complex_numIfELi16ELb0ELb0ELc78ELc85EKS1_S1_EviT_T0_PT6_S3_lS6_S3_lS4_PT7_S3_li,"axG",@progbits,_ZL41rocblas_syrkx_herkx_small_restrict_kernelIi19rocblas_complex_numIfELi16ELb0ELb0ELc78ELc85EKS1_S1_EviT_T0_PT6_S3_lS6_S3_lS4_PT7_S3_li,comdat
	.globl	_ZL41rocblas_syrkx_herkx_small_restrict_kernelIi19rocblas_complex_numIfELi16ELb0ELb0ELc78ELc85EKS1_S1_EviT_T0_PT6_S3_lS6_S3_lS4_PT7_S3_li ; -- Begin function _ZL41rocblas_syrkx_herkx_small_restrict_kernelIi19rocblas_complex_numIfELi16ELb0ELb0ELc78ELc85EKS1_S1_EviT_T0_PT6_S3_lS6_S3_lS4_PT7_S3_li
	.p2align	8
	.type	_ZL41rocblas_syrkx_herkx_small_restrict_kernelIi19rocblas_complex_numIfELi16ELb0ELb0ELc78ELc85EKS1_S1_EviT_T0_PT6_S3_lS6_S3_lS4_PT7_S3_li,@function
_ZL41rocblas_syrkx_herkx_small_restrict_kernelIi19rocblas_complex_numIfELi16ELb0ELb0ELc78ELc85EKS1_S1_EviT_T0_PT6_S3_lS6_S3_lS4_PT7_S3_li: ; @_ZL41rocblas_syrkx_herkx_small_restrict_kernelIi19rocblas_complex_numIfELi16ELb0ELb0ELc78ELc85EKS1_S1_EviT_T0_PT6_S3_lS6_S3_lS4_PT7_S3_li
; %bb.0:
	s_clause 0x3
	s_load_b32 s12, s[0:1], 0x4
	s_load_b128 s[8:11], s[0:1], 0x8
	s_load_b128 s[4:7], s[0:1], 0x38
	s_load_b64 s[2:3], s[0:1], 0x48
	v_dual_mov_b32 v12, 0 :: v_dual_and_b32 v5, 0x3ff, v0
	v_bfe_u32 v4, v0, 10, 10
	v_mov_b32_e32 v11, 0
	s_delay_alu instid0(VALU_DEP_3) | instskip(SKIP_1) | instid1(VALU_DEP_3)
	v_lshl_add_u32 v0, s13, 4, v5
	s_mov_b32 s13, 0
	v_lshl_add_u32 v2, s14, 4, v4
	s_delay_alu instid0(VALU_DEP_2)
	v_ashrrev_i32_e32 v1, 31, v0
	s_waitcnt lgkmcnt(0)
	s_cmp_lt_i32 s12, 1
	s_cbranch_scc1 .LBB203_3
; %bb.1:
	s_clause 0x2
	s_load_b32 s20, s[0:1], 0x30
	s_load_b128 s[16:19], s[0:1], 0x20
	s_load_b32 s22, s[0:1], 0x18
	v_lshlrev_b32_e32 v6, 7, v4
	v_lshlrev_b32_e32 v7, 3, v5
	v_ashrrev_i32_e32 v3, 31, v2
	s_mul_i32 s5, s5, s15
	s_mul_hi_u32 s14, s4, s15
	s_mul_i32 s4, s4, s15
	s_add_i32 s5, s14, s5
	v_add_nc_u32_e32 v8, 0x800, v6
	s_lshl_b64 s[4:5], s[4:5], 3
	v_add_nc_u32_e32 v9, v7, v6
	v_lshlrev_b64 v[11:12], 3, v[0:1]
	s_waitcnt lgkmcnt(0)
	v_mad_i64_i32 v[13:14], null, s20, v5, 0
	v_mad_i64_i32 v[15:16], null, s22, v4, 0
	v_lshlrev_b64 v[5:6], 3, v[2:3]
	s_mul_i32 s14, s17, s15
	s_mul_hi_u32 s17, s16, s15
	s_mul_i32 s16, s16, s15
	s_delay_alu instid0(VALU_DEP_3) | instskip(SKIP_1) | instid1(VALU_DEP_3)
	v_lshlrev_b64 v[13:14], 3, v[13:14]
	s_add_i32 s17, s17, s14
	v_lshlrev_b64 v[3:4], 3, v[15:16]
	s_lshl_b64 s[16:17], s[16:17], 3
	s_ashr_i32 s21, s20, 31
	s_ashr_i32 s23, s22, 31
	v_add_co_u32 v13, vcc_lo, s4, v13
	v_add_co_ci_u32_e32 v14, vcc_lo, s5, v14, vcc_lo
	s_lshl_b64 s[4:5], s[20:21], 7
	s_delay_alu instid0(VALU_DEP_2) | instskip(NEXT) | instid1(VALU_DEP_2)
	v_add_co_u32 v5, vcc_lo, v13, v5
	v_add_co_ci_u32_e32 v6, vcc_lo, v14, v6, vcc_lo
	v_add_co_u32 v3, vcc_lo, s16, v3
	v_add_co_ci_u32_e32 v4, vcc_lo, s17, v4, vcc_lo
	s_delay_alu instid0(VALU_DEP_4) | instskip(NEXT) | instid1(VALU_DEP_4)
	v_add_co_u32 v5, vcc_lo, v5, s18
	v_add_co_ci_u32_e32 v6, vcc_lo, s19, v6, vcc_lo
	s_delay_alu instid0(VALU_DEP_4) | instskip(NEXT) | instid1(VALU_DEP_4)
	;; [unrolled: 3-line block ×4, first 2 shown]
	v_add_co_u32 v5, vcc_lo, s10, v11
	v_add_co_ci_u32_e32 v6, vcc_lo, s11, v12, vcc_lo
	v_mov_b32_e32 v12, 0
	v_dual_mov_b32 v11, 0 :: v_dual_add_nc_u32 v10, v8, v7
	s_lshl_b64 s[10:11], s[22:23], 7
.LBB203_2:                              ; =>This Inner Loop Header: Depth=1
	global_load_b64 v[13:14], v[5:6], off
	global_load_b64 v[15:16], v[3:4], off offset:-4
	v_add_co_u32 v3, vcc_lo, v3, s4
	v_add_co_ci_u32_e32 v4, vcc_lo, s5, v4, vcc_lo
	v_add_co_u32 v5, vcc_lo, v5, s10
	v_add_co_ci_u32_e32 v6, vcc_lo, s11, v6, vcc_lo
	s_add_i32 s13, s13, 16
	s_waitcnt vmcnt(1)
	ds_store_b64 v9, v[13:14]
	s_waitcnt vmcnt(0)
	ds_store_b64 v10, v[15:16]
	s_waitcnt lgkmcnt(0)
	s_barrier
	buffer_gl0_inv
	ds_load_2addr_b64 v[13:16], v7 offset1:16
	ds_load_b128 v[17:20], v8
	ds_load_b128 v[21:24], v8 offset:16
	ds_load_2addr_b64 v[25:28], v7 offset0:32 offset1:48
	ds_load_2addr_b64 v[29:32], v7 offset0:64 offset1:80
	ds_load_b128 v[33:36], v8 offset:32
	ds_load_b128 v[37:40], v8 offset:48
	ds_load_2addr_b64 v[41:44], v7 offset0:96 offset1:112
	ds_load_2addr_b64 v[45:48], v7 offset0:128 offset1:144
	ds_load_2addr_b64 v[49:52], v7 offset0:160 offset1:176
	ds_load_b128 v[53:56], v8 offset:64
	ds_load_b128 v[57:60], v8 offset:80
	ds_load_2addr_b64 v[61:64], v7 offset0:192 offset1:208
	ds_load_2addr_b64 v[65:68], v7 offset0:224 offset1:240
	ds_load_b128 v[69:72], v8 offset:96
	ds_load_b128 v[73:76], v8 offset:112
	s_cmp_lt_i32 s13, s12
	s_waitcnt lgkmcnt(0)
	s_barrier
	buffer_gl0_inv
	v_dual_mul_f32 v77, v18, v14 :: v_dual_mul_f32 v78, v20, v16
	v_mul_f32_e32 v14, v17, v14
	v_dual_mul_f32 v16, v19, v16 :: v_dual_mul_f32 v79, v22, v26
	v_mul_f32_e32 v26, v21, v26
	s_delay_alu instid0(VALU_DEP_4) | instskip(SKIP_1) | instid1(VALU_DEP_4)
	v_fma_f32 v17, v17, v13, -v77
	v_dual_mul_f32 v80, v24, v28 :: v_dual_mul_f32 v81, v34, v30
	v_fmac_f32_e32 v16, v20, v15
	s_delay_alu instid0(VALU_DEP_4) | instskip(SKIP_4) | instid1(VALU_DEP_4)
	v_fmac_f32_e32 v26, v22, v25
	v_fmac_f32_e32 v14, v18, v13
	v_mul_f32_e32 v84, v40, v44
	v_dual_mul_f32 v28, v23, v28 :: v_dual_mul_f32 v83, v38, v42
	v_mul_f32_e32 v44, v39, v44
	v_add_f32_e32 v11, v11, v14
	v_mul_f32_e32 v30, v33, v30
	v_dual_add_f32 v12, v12, v17 :: v_dual_mul_f32 v17, v73, v66
	v_mul_f32_e32 v18, v55, v48
	s_delay_alu instid0(VALU_DEP_4) | instskip(SKIP_1) | instid1(VALU_DEP_3)
	v_add_f32_e32 v11, v11, v16
	v_dual_mul_f32 v82, v36, v32 :: v_dual_mul_f32 v85, v54, v46
	v_dual_fmac_f32 v17, v74, v65 :: v_dual_fmac_f32 v18, v56, v47
	s_delay_alu instid0(VALU_DEP_3) | instskip(SKIP_3) | instid1(VALU_DEP_4)
	v_dual_fmac_f32 v28, v24, v27 :: v_dual_add_f32 v11, v11, v26
	v_mul_f32_e32 v32, v35, v32
	v_mul_f32_e32 v46, v53, v46
	v_fmac_f32_e32 v30, v34, v29
	v_dual_mul_f32 v42, v37, v42 :: v_dual_add_f32 v11, v11, v28
	v_fma_f32 v13, v19, v15, -v78
	v_dual_mul_f32 v19, v58, v50 :: v_dual_fmac_f32 v32, v36, v31
	v_mul_f32_e32 v15, v56, v48
	s_delay_alu instid0(VALU_DEP_4) | instskip(SKIP_3) | instid1(VALU_DEP_4)
	v_add_f32_e32 v11, v11, v30
	v_mul_f32_e32 v20, v57, v50
	v_add_f32_e32 v12, v12, v13
	v_dual_mul_f32 v13, v76, v68 :: v_dual_fmac_f32 v42, v38, v41
	v_add_f32_e32 v11, v11, v32
	v_mul_f32_e32 v48, v60, v52
	v_fmac_f32_e32 v44, v40, v43
	v_mul_f32_e32 v50, v59, v52
	s_delay_alu instid0(VALU_DEP_4) | instskip(SKIP_2) | instid1(VALU_DEP_4)
	v_dual_fmac_f32 v46, v54, v45 :: v_dual_add_f32 v11, v11, v42
	v_mul_f32_e32 v52, v70, v62
	v_fmac_f32_e32 v20, v58, v49
	v_fmac_f32_e32 v50, v60, v51
	v_mul_f32_e32 v24, v71, v64
	v_add_f32_e32 v11, v11, v44
	v_fma_f32 v21, v21, v25, -v79
	v_mul_f32_e32 v16, v75, v68
	v_fma_f32 v22, v23, v27, -v80
	s_delay_alu instid0(VALU_DEP_4) | instskip(SKIP_1) | instid1(VALU_DEP_4)
	v_dual_fmac_f32 v24, v72, v63 :: v_dual_add_f32 v11, v11, v46
	v_fma_f32 v15, v55, v47, -v15
	v_fmac_f32_e32 v16, v76, v67
	v_fma_f32 v19, v57, v49, -v19
	v_mul_f32_e32 v23, v72, v64
	v_add_f32_e32 v11, v11, v18
	v_mul_f32_e32 v62, v69, v62
	v_fma_f32 v18, v69, v61, -v52
	v_fma_f32 v13, v75, v67, -v13
	s_delay_alu instid0(VALU_DEP_3) | instskip(NEXT) | instid1(VALU_DEP_1)
	v_dual_add_f32 v11, v11, v20 :: v_dual_fmac_f32 v62, v70, v61
	v_add_f32_e32 v11, v11, v50
	s_delay_alu instid0(VALU_DEP_1) | instskip(NEXT) | instid1(VALU_DEP_1)
	v_add_f32_e32 v11, v11, v62
	v_dual_mul_f32 v14, v74, v66 :: v_dual_add_f32 v11, v11, v24
	s_delay_alu instid0(VALU_DEP_1) | instskip(NEXT) | instid1(VALU_DEP_2)
	v_fma_f32 v14, v73, v65, -v14
	v_add_f32_e32 v11, v11, v17
	v_add_f32_e32 v12, v12, v21
	v_fma_f32 v21, v33, v29, -v81
	s_delay_alu instid0(VALU_DEP_2) | instskip(SKIP_1) | instid1(VALU_DEP_2)
	v_dual_add_f32 v11, v11, v16 :: v_dual_add_f32 v12, v12, v22
	v_fma_f32 v22, v35, v31, -v82
	v_add_f32_e32 v12, v12, v21
	v_fma_f32 v21, v37, v41, -v83
	s_delay_alu instid0(VALU_DEP_2) | instskip(SKIP_1) | instid1(VALU_DEP_2)
	v_add_f32_e32 v12, v12, v22
	v_fma_f32 v22, v39, v43, -v84
	v_add_f32_e32 v12, v12, v21
	v_fma_f32 v21, v53, v45, -v85
	s_delay_alu instid0(VALU_DEP_2) | instskip(NEXT) | instid1(VALU_DEP_1)
	v_add_f32_e32 v12, v12, v22
	v_add_f32_e32 v12, v12, v21
	s_delay_alu instid0(VALU_DEP_1) | instskip(SKIP_1) | instid1(VALU_DEP_2)
	v_add_f32_e32 v12, v12, v15
	v_fma_f32 v15, v59, v51, -v48
	v_add_f32_e32 v12, v12, v19
	s_delay_alu instid0(VALU_DEP_1) | instskip(SKIP_1) | instid1(VALU_DEP_2)
	v_add_f32_e32 v12, v12, v15
	v_fma_f32 v15, v71, v63, -v23
	v_add_f32_e32 v12, v12, v18
	s_delay_alu instid0(VALU_DEP_1) | instskip(NEXT) | instid1(VALU_DEP_1)
	v_add_f32_e32 v12, v12, v15
	v_add_f32_e32 v12, v12, v14
	s_delay_alu instid0(VALU_DEP_1)
	v_add_f32_e32 v12, v12, v13
	s_cbranch_scc1 .LBB203_2
.LBB203_3:
	s_mov_b32 s4, exec_lo
	v_cmpx_le_i32_e64 v0, v2
	s_cbranch_execz .LBB203_5
; %bb.4:
	s_clause 0x1
	s_load_b32 s4, s[0:1], 0x50
	s_load_b64 s[0:1], s[0:1], 0x58
	v_lshlrev_b64 v[0:1], 3, v[0:1]
	s_waitcnt lgkmcnt(0)
	v_mad_i64_i32 v[3:4], null, s4, v2, 0
	s_mul_i32 s1, s15, s1
	s_mul_hi_u32 s4, s15, s0
	s_mul_i32 s0, s15, s0
	s_add_i32 s1, s4, s1
	s_delay_alu instid0(SALU_CYCLE_1) | instskip(NEXT) | instid1(VALU_DEP_1)
	s_lshl_b64 s[0:1], s[0:1], 3
	v_lshlrev_b64 v[2:3], 3, v[3:4]
	s_add_u32 s0, s2, s0
	s_addc_u32 s1, s3, s1
	s_delay_alu instid0(VALU_DEP_1) | instskip(NEXT) | instid1(VALU_DEP_2)
	v_add_co_u32 v2, vcc_lo, s0, v2
	v_add_co_ci_u32_e32 v3, vcc_lo, s1, v3, vcc_lo
	s_delay_alu instid0(VALU_DEP_2) | instskip(NEXT) | instid1(VALU_DEP_2)
	v_add_co_u32 v0, vcc_lo, v2, v0
	v_add_co_ci_u32_e32 v1, vcc_lo, v3, v1, vcc_lo
	global_load_b64 v[2:3], v[0:1], off
	s_waitcnt vmcnt(0)
	v_mul_f32_e32 v6, s7, v3
	v_mul_f32_e32 v3, s6, v3
	s_delay_alu instid0(VALU_DEP_1) | instskip(NEXT) | instid1(VALU_DEP_3)
	v_fmac_f32_e32 v3, s7, v2
	v_fma_f32 v6, v2, s6, -v6
	v_mul_f32_e32 v5, s8, v11
	s_delay_alu instid0(VALU_DEP_1) | instskip(NEXT) | instid1(VALU_DEP_1)
	v_dual_mul_f32 v4, s9, v11 :: v_dual_fmac_f32 v5, s9, v12
	v_fma_f32 v4, v12, s8, -v4
	s_delay_alu instid0(VALU_DEP_1)
	v_dual_add_f32 v3, v5, v3 :: v_dual_add_f32 v2, v4, v6
	global_store_b64 v[0:1], v[2:3], off
.LBB203_5:
	s_nop 0
	s_sendmsg sendmsg(MSG_DEALLOC_VGPRS)
	s_endpgm
	.section	.rodata,"a",@progbits
	.p2align	6, 0x0
	.amdhsa_kernel _ZL41rocblas_syrkx_herkx_small_restrict_kernelIi19rocblas_complex_numIfELi16ELb0ELb0ELc78ELc85EKS1_S1_EviT_T0_PT6_S3_lS6_S3_lS4_PT7_S3_li
		.amdhsa_group_segment_fixed_size 4096
		.amdhsa_private_segment_fixed_size 0
		.amdhsa_kernarg_size 100
		.amdhsa_user_sgpr_count 13
		.amdhsa_user_sgpr_dispatch_ptr 0
		.amdhsa_user_sgpr_queue_ptr 0
		.amdhsa_user_sgpr_kernarg_segment_ptr 1
		.amdhsa_user_sgpr_dispatch_id 0
		.amdhsa_user_sgpr_private_segment_size 0
		.amdhsa_wavefront_size32 1
		.amdhsa_uses_dynamic_stack 0
		.amdhsa_enable_private_segment 0
		.amdhsa_system_sgpr_workgroup_id_x 1
		.amdhsa_system_sgpr_workgroup_id_y 1
		.amdhsa_system_sgpr_workgroup_id_z 1
		.amdhsa_system_sgpr_workgroup_info 0
		.amdhsa_system_vgpr_workitem_id 1
		.amdhsa_next_free_vgpr 86
		.amdhsa_next_free_sgpr 24
		.amdhsa_reserve_vcc 1
		.amdhsa_float_round_mode_32 0
		.amdhsa_float_round_mode_16_64 0
		.amdhsa_float_denorm_mode_32 3
		.amdhsa_float_denorm_mode_16_64 3
		.amdhsa_dx10_clamp 1
		.amdhsa_ieee_mode 1
		.amdhsa_fp16_overflow 0
		.amdhsa_workgroup_processor_mode 1
		.amdhsa_memory_ordered 1
		.amdhsa_forward_progress 0
		.amdhsa_shared_vgpr_count 0
		.amdhsa_exception_fp_ieee_invalid_op 0
		.amdhsa_exception_fp_denorm_src 0
		.amdhsa_exception_fp_ieee_div_zero 0
		.amdhsa_exception_fp_ieee_overflow 0
		.amdhsa_exception_fp_ieee_underflow 0
		.amdhsa_exception_fp_ieee_inexact 0
		.amdhsa_exception_int_div_zero 0
	.end_amdhsa_kernel
	.section	.text._ZL41rocblas_syrkx_herkx_small_restrict_kernelIi19rocblas_complex_numIfELi16ELb0ELb0ELc78ELc85EKS1_S1_EviT_T0_PT6_S3_lS6_S3_lS4_PT7_S3_li,"axG",@progbits,_ZL41rocblas_syrkx_herkx_small_restrict_kernelIi19rocblas_complex_numIfELi16ELb0ELb0ELc78ELc85EKS1_S1_EviT_T0_PT6_S3_lS6_S3_lS4_PT7_S3_li,comdat
.Lfunc_end203:
	.size	_ZL41rocblas_syrkx_herkx_small_restrict_kernelIi19rocblas_complex_numIfELi16ELb0ELb0ELc78ELc85EKS1_S1_EviT_T0_PT6_S3_lS6_S3_lS4_PT7_S3_li, .Lfunc_end203-_ZL41rocblas_syrkx_herkx_small_restrict_kernelIi19rocblas_complex_numIfELi16ELb0ELb0ELc78ELc85EKS1_S1_EviT_T0_PT6_S3_lS6_S3_lS4_PT7_S3_li
                                        ; -- End function
	.section	.AMDGPU.csdata,"",@progbits
; Kernel info:
; codeLenInByte = 1356
; NumSgprs: 26
; NumVgprs: 86
; ScratchSize: 0
; MemoryBound: 0
; FloatMode: 240
; IeeeMode: 1
; LDSByteSize: 4096 bytes/workgroup (compile time only)
; SGPRBlocks: 3
; VGPRBlocks: 10
; NumSGPRsForWavesPerEU: 26
; NumVGPRsForWavesPerEU: 86
; Occupancy: 16
; WaveLimiterHint : 0
; COMPUTE_PGM_RSRC2:SCRATCH_EN: 0
; COMPUTE_PGM_RSRC2:USER_SGPR: 13
; COMPUTE_PGM_RSRC2:TRAP_HANDLER: 0
; COMPUTE_PGM_RSRC2:TGID_X_EN: 1
; COMPUTE_PGM_RSRC2:TGID_Y_EN: 1
; COMPUTE_PGM_RSRC2:TGID_Z_EN: 1
; COMPUTE_PGM_RSRC2:TIDIG_COMP_CNT: 1
	.section	.text._ZL32rocblas_syrkx_herkx_small_kernelIi19rocblas_complex_numIfELi16ELb1ELb0ELc84ELc76EKS1_S1_EviT_T0_PT6_S3_lS6_S3_lS4_PT7_S3_li,"axG",@progbits,_ZL32rocblas_syrkx_herkx_small_kernelIi19rocblas_complex_numIfELi16ELb1ELb0ELc84ELc76EKS1_S1_EviT_T0_PT6_S3_lS6_S3_lS4_PT7_S3_li,comdat
	.globl	_ZL32rocblas_syrkx_herkx_small_kernelIi19rocblas_complex_numIfELi16ELb1ELb0ELc84ELc76EKS1_S1_EviT_T0_PT6_S3_lS6_S3_lS4_PT7_S3_li ; -- Begin function _ZL32rocblas_syrkx_herkx_small_kernelIi19rocblas_complex_numIfELi16ELb1ELb0ELc84ELc76EKS1_S1_EviT_T0_PT6_S3_lS6_S3_lS4_PT7_S3_li
	.p2align	8
	.type	_ZL32rocblas_syrkx_herkx_small_kernelIi19rocblas_complex_numIfELi16ELb1ELb0ELc84ELc76EKS1_S1_EviT_T0_PT6_S3_lS6_S3_lS4_PT7_S3_li,@function
_ZL32rocblas_syrkx_herkx_small_kernelIi19rocblas_complex_numIfELi16ELb1ELb0ELc84ELc76EKS1_S1_EviT_T0_PT6_S3_lS6_S3_lS4_PT7_S3_li: ; @_ZL32rocblas_syrkx_herkx_small_kernelIi19rocblas_complex_numIfELi16ELb1ELb0ELc84ELc76EKS1_S1_EviT_T0_PT6_S3_lS6_S3_lS4_PT7_S3_li
; %bb.0:
	s_clause 0x1
	s_load_b64 s[16:17], s[0:1], 0x0
	s_load_b128 s[4:7], s[0:1], 0x8
	v_dual_mov_b32 v15, 0 :: v_dual_and_b32 v8, 0x3ff, v0
	v_bfe_u32 v9, v0, 10, 10
	v_mov_b32_e32 v14, 0
	s_mov_b32 s12, 0
	s_delay_alu instid0(VALU_DEP_3) | instskip(NEXT) | instid1(VALU_DEP_3)
	v_lshl_add_u32 v0, s13, 4, v8
	v_lshl_add_u32 v7, s14, 4, v9
	s_waitcnt lgkmcnt(0)
	s_delay_alu instid0(VALU_DEP_2)
	v_cmp_gt_i32_e32 vcc_lo, s16, v0
	s_cmp_lt_i32 s17, 1
	s_cbranch_scc1 .LBB204_11
; %bb.1:
	s_clause 0x3
	s_load_b32 s3, s[0:1], 0x30
	s_load_b64 s[18:19], s[0:1], 0x38
	s_load_b32 s13, s[0:1], 0x18
	s_load_b128 s[8:11], s[0:1], 0x20
	v_dual_mov_b32 v14, 0 :: v_dual_lshlrev_b32 v1, 7, v9
	v_lshlrev_b32_e32 v10, 3, v8
	v_lshlrev_b32_e32 v5, 3, v9
	v_cmp_gt_i32_e64 s2, s16, v7
	s_delay_alu instid0(VALU_DEP_4) | instskip(NEXT) | instid1(VALU_DEP_4)
	v_add_nc_u32_e32 v11, 0x800, v1
	v_dual_mov_b32 v15, 0 :: v_dual_add_nc_u32 v12, v10, v1
	s_delay_alu instid0(VALU_DEP_3)
	s_xor_b32 s2, s2, -1
	s_waitcnt lgkmcnt(0)
	v_mad_i64_i32 v[1:2], null, s3, v7, 0
	v_mad_i64_i32 v[3:4], null, s13, v0, 0
	s_mul_i32 s3, s19, s15
	s_mul_hi_u32 s14, s18, s15
	s_mul_i32 s18, s18, s15
	s_add_i32 s19, s14, s3
	s_delay_alu instid0(VALU_DEP_2)
	v_lshlrev_b64 v[1:2], 3, v[1:2]
	s_mul_i32 s9, s9, s15
	s_mul_hi_u32 s13, s8, s15
	v_lshlrev_b64 v[3:4], 3, v[3:4]
	s_lshl_b64 s[18:19], s[18:19], 3
	s_mul_i32 s8, s8, s15
	s_add_i32 s9, s13, s9
	v_add_co_u32 v1, s3, v1, s18
	s_lshl_b64 s[8:9], s[8:9], 3
	v_add_co_ci_u32_e64 v2, s3, s19, v2, s3
	v_add_co_u32 v3, s3, v3, s8
	s_delay_alu instid0(VALU_DEP_1) | instskip(SKIP_1) | instid1(VALU_DEP_1)
	v_add_co_ci_u32_e64 v4, s3, s9, v4, s3
	v_add_co_u32 v1, s3, v1, v10
	v_add_co_ci_u32_e64 v2, s3, 0, v2, s3
	s_delay_alu instid0(VALU_DEP_4) | instskip(NEXT) | instid1(VALU_DEP_1)
	v_add_co_u32 v3, s3, v3, v5
	v_add_co_ci_u32_e64 v4, s3, 0, v4, s3
	s_delay_alu instid0(VALU_DEP_4) | instskip(NEXT) | instid1(VALU_DEP_1)
	;; [unrolled: 3-line block ×3, first 2 shown]
	v_add_co_u32 v3, s3, s6, v3
	v_add_co_ci_u32_e64 v4, s3, s7, v4, s3
	v_mov_b32_e32 v5, 0
	v_add_nc_u32_e32 v13, v11, v10
	s_xor_b32 s3, vcc_lo, -1
	s_branch .LBB204_3
.LBB204_2:                              ;   in Loop: Header=BB204_3 Depth=1
	s_or_b32 exec_lo, exec_lo, s6
	s_waitcnt lgkmcnt(0)
	s_barrier
	buffer_gl0_inv
	ds_load_2addr_b64 v[16:19], v10 offset1:16
	ds_load_b128 v[20:23], v11
	ds_load_b128 v[24:27], v11 offset:16
	ds_load_2addr_b64 v[28:31], v10 offset0:32 offset1:48
	ds_load_2addr_b64 v[32:35], v10 offset0:64 offset1:80
	ds_load_b128 v[36:39], v11 offset:32
	ds_load_b128 v[40:43], v11 offset:48
	ds_load_2addr_b64 v[44:47], v10 offset0:96 offset1:112
	ds_load_2addr_b64 v[48:51], v10 offset0:128 offset1:144
	;; [unrolled: 1-line block ×3, first 2 shown]
	ds_load_b128 v[56:59], v11 offset:64
	ds_load_b128 v[60:63], v11 offset:80
	v_add_co_u32 v1, vcc_lo, 0x80, v1
	v_add_co_ci_u32_e32 v2, vcc_lo, 0, v2, vcc_lo
	v_add_co_u32 v3, vcc_lo, 0x80, v3
	v_add_co_ci_u32_e32 v4, vcc_lo, 0, v4, vcc_lo
	s_add_i32 s12, s12, 16
	s_waitcnt lgkmcnt(10)
	v_mul_f32_e32 v6, v21, v17
	v_dual_mul_f32 v17, v20, v17 :: v_dual_mul_f32 v64, v23, v19
	v_mul_f32_e32 v19, v22, v19
	s_waitcnt lgkmcnt(8)
	v_dual_mul_f32 v65, v25, v29 :: v_dual_mul_f32 v66, v27, v31
	v_fma_f32 v6, v20, v16, -v6
	s_waitcnt lgkmcnt(6)
	v_mul_f32_e32 v67, v37, v33
	v_mul_f32_e32 v33, v36, v33
	v_dual_mul_f32 v29, v24, v29 :: v_dual_mul_f32 v20, v39, v35
	v_dual_add_f32 v6, v14, v6 :: v_dual_fmac_f32 v17, v21, v16
	v_fma_f32 v21, v22, v18, -v64
	s_waitcnt lgkmcnt(4)
	v_dual_fmac_f32 v19, v23, v18 :: v_dual_mul_f32 v18, v40, v45
	v_mul_f32_e32 v16, v38, v35
	v_fma_f32 v20, v38, v34, -v20
	v_add_f32_e32 v6, v6, v21
	v_dual_mul_f32 v31, v26, v31 :: v_dual_add_f32 v14, v15, v17
	v_fma_f32 v17, v24, v28, -v65
	v_mul_f32_e32 v15, v41, v45
	v_fmac_f32_e32 v29, v25, v28
	v_fma_f32 v21, v36, v32, -v67
	v_add_f32_e32 v14, v14, v19
	v_add_f32_e32 v6, v6, v17
	v_fma_f32 v19, v26, v30, -v66
	v_fmac_f32_e32 v31, v27, v30
	s_delay_alu instid0(VALU_DEP_4) | instskip(SKIP_1) | instid1(VALU_DEP_4)
	v_dual_fmac_f32 v33, v37, v32 :: v_dual_add_f32 v14, v14, v29
	v_fmac_f32_e32 v16, v39, v34
	v_add_f32_e32 v6, v6, v19
	v_mul_f32_e32 v17, v43, v47
	v_mul_f32_e32 v19, v42, v47
	v_add_f32_e32 v14, v14, v31
	v_fma_f32 v15, v40, v44, -v15
	v_add_f32_e32 v6, v6, v21
	s_waitcnt lgkmcnt(1)
	v_mul_f32_e32 v21, v57, v49
	v_dual_fmac_f32 v18, v41, v44 :: v_dual_mul_f32 v25, v58, v51
	v_dual_add_f32 v14, v14, v33 :: v_dual_fmac_f32 v19, v43, v46
	v_add_f32_e32 v6, v6, v20
	v_fma_f32 v20, v42, v46, -v17
	s_delay_alu instid0(VALU_DEP_3)
	v_dual_fmac_f32 v25, v59, v50 :: v_dual_add_f32 v14, v14, v16
	s_waitcnt lgkmcnt(0)
	v_mul_f32_e32 v33, v63, v55
	v_add_f32_e32 v6, v6, v15
	v_fma_f32 v21, v56, v48, -v21
	v_mul_f32_e32 v34, v62, v55
	v_add_f32_e32 v18, v14, v18
	v_mul_f32_e32 v22, v56, v49
	v_add_f32_e32 v6, v6, v20
	ds_load_2addr_b64 v[14:17], v10 offset0:192 offset1:208
	v_dual_fmac_f32 v34, v63, v54 :: v_dual_add_f32 v23, v18, v19
	s_cmp_ge_i32 s12, s17
	v_add_f32_e32 v6, v6, v21
	ds_load_b128 v[18:21], v11 offset:96
	v_fmac_f32_e32 v22, v57, v48
	s_delay_alu instid0(VALU_DEP_1) | instskip(NEXT) | instid1(VALU_DEP_1)
	v_add_f32_e32 v22, v23, v22
	v_dual_mul_f32 v24, v59, v51 :: v_dual_add_f32 v31, v22, v25
	s_delay_alu instid0(VALU_DEP_1) | instskip(SKIP_1) | instid1(VALU_DEP_2)
	v_fma_f32 v23, v58, v50, -v24
	v_mul_f32_e32 v24, v61, v53
	v_add_f32_e32 v6, v6, v23
	s_delay_alu instid0(VALU_DEP_2)
	v_fma_f32 v32, v60, v52, -v24
	ds_load_2addr_b64 v[22:25], v10 offset0:224 offset1:240
	ds_load_b128 v[26:29], v11 offset:112
	v_mul_f32_e32 v30, v60, v53
	s_waitcnt lgkmcnt(0)
	s_barrier
	v_add_f32_e32 v6, v6, v32
	v_mul_f32_e32 v32, v19, v15
	v_dual_fmac_f32 v30, v61, v52 :: v_dual_mul_f32 v15, v18, v15
	buffer_gl0_inv
	v_fma_f32 v18, v18, v14, -v32
	v_add_f32_e32 v30, v31, v30
	v_fma_f32 v31, v62, v54, -v33
	v_dual_fmac_f32 v15, v19, v14 :: v_dual_mul_f32 v14, v21, v17
	s_delay_alu instid0(VALU_DEP_3) | instskip(NEXT) | instid1(VALU_DEP_3)
	v_dual_mul_f32 v17, v20, v17 :: v_dual_add_f32 v30, v30, v34
	v_add_f32_e32 v6, v6, v31
	s_delay_alu instid0(VALU_DEP_3) | instskip(NEXT) | instid1(VALU_DEP_3)
	v_fma_f32 v14, v20, v16, -v14
	v_fmac_f32_e32 v17, v21, v16
	s_delay_alu instid0(VALU_DEP_4) | instskip(NEXT) | instid1(VALU_DEP_4)
	v_add_f32_e32 v15, v30, v15
	v_add_f32_e32 v6, v6, v18
	v_mul_f32_e32 v16, v27, v23
	v_mul_f32_e32 v18, v26, v23
	s_delay_alu instid0(VALU_DEP_3) | instskip(SKIP_1) | instid1(VALU_DEP_4)
	v_add_f32_e32 v6, v6, v14
	v_add_f32_e32 v14, v15, v17
	v_fma_f32 v15, v26, v22, -v16
	s_delay_alu instid0(VALU_DEP_4) | instskip(SKIP_1) | instid1(VALU_DEP_3)
	v_fmac_f32_e32 v18, v27, v22
	v_mul_f32_e32 v16, v29, v25
	v_dual_mul_f32 v17, v28, v25 :: v_dual_add_f32 v6, v6, v15
	s_delay_alu instid0(VALU_DEP_3) | instskip(NEXT) | instid1(VALU_DEP_3)
	v_add_f32_e32 v15, v14, v18
	v_fma_f32 v14, v28, v24, -v16
	s_delay_alu instid0(VALU_DEP_1) | instskip(NEXT) | instid1(VALU_DEP_1)
	v_dual_fmac_f32 v17, v29, v24 :: v_dual_add_f32 v14, v6, v14
	v_add_f32_e32 v15, v15, v17
	s_cbranch_scc1 .LBB204_11
.LBB204_3:                              ; =>This Inner Loop Header: Depth=1
	v_add_nc_u32_e32 v6, s12, v9
	s_delay_alu instid0(VALU_DEP_1) | instskip(SKIP_1) | instid1(SALU_CYCLE_1)
	v_cmp_le_i32_e32 vcc_lo, s17, v6
	s_or_b32 s6, s3, vcc_lo
	s_and_saveexec_b32 s7, s6
	s_delay_alu instid0(SALU_CYCLE_1)
	s_xor_b32 s6, exec_lo, s7
	s_cbranch_execz .LBB204_5
; %bb.4:                                ;   in Loop: Header=BB204_3 Depth=1
	v_mov_b32_e32 v6, v5
	ds_store_b64 v12, v[5:6]
.LBB204_5:                              ;   in Loop: Header=BB204_3 Depth=1
	s_and_not1_saveexec_b32 s6, s6
	s_cbranch_execz .LBB204_7
; %bb.6:                                ;   in Loop: Header=BB204_3 Depth=1
	global_load_b64 v[16:17], v[3:4], off
	s_waitcnt vmcnt(0)
	ds_store_b64 v12, v[16:17]
.LBB204_7:                              ;   in Loop: Header=BB204_3 Depth=1
	s_or_b32 exec_lo, exec_lo, s6
	v_add_nc_u32_e32 v6, s12, v8
	s_delay_alu instid0(VALU_DEP_1) | instskip(SKIP_1) | instid1(SALU_CYCLE_1)
	v_cmp_le_i32_e32 vcc_lo, s17, v6
	s_or_b32 s6, s2, vcc_lo
	s_and_saveexec_b32 s7, s6
	s_delay_alu instid0(SALU_CYCLE_1)
	s_xor_b32 s6, exec_lo, s7
	s_cbranch_execz .LBB204_9
; %bb.8:                                ;   in Loop: Header=BB204_3 Depth=1
	v_mov_b32_e32 v6, v5
	ds_store_b64 v13, v[5:6]
.LBB204_9:                              ;   in Loop: Header=BB204_3 Depth=1
	s_and_not1_saveexec_b32 s6, s6
	s_cbranch_execz .LBB204_2
; %bb.10:                               ;   in Loop: Header=BB204_3 Depth=1
	global_load_b64 v[16:17], v[1:2], off
	s_waitcnt vmcnt(0)
	ds_store_b64 v13, v[16:17]
	s_branch .LBB204_2
.LBB204_11:
	v_cmp_le_i32_e32 vcc_lo, v7, v0
	v_cmp_gt_i32_e64 s2, s16, v0
	s_delay_alu instid0(VALU_DEP_1) | instskip(NEXT) | instid1(SALU_CYCLE_1)
	s_and_b32 s2, vcc_lo, s2
	s_and_saveexec_b32 s3, s2
	s_cbranch_execz .LBB204_13
; %bb.12:
	s_clause 0x2
	s_load_b32 s6, s[0:1], 0x50
	s_load_b64 s[2:3], s[0:1], 0x58
	s_load_b64 s[0:1], s[0:1], 0x48
	v_mul_f32_e32 v5, s4, v15
	v_mul_f32_e32 v4, s5, v15
	v_ashrrev_i32_e32 v1, 31, v0
	s_delay_alu instid0(VALU_DEP_3) | instskip(NEXT) | instid1(VALU_DEP_3)
	v_fmac_f32_e32 v5, s5, v14
	v_fma_f32 v4, v14, s4, -v4
	s_delay_alu instid0(VALU_DEP_3)
	v_lshlrev_b64 v[0:1], 3, v[0:1]
	s_waitcnt lgkmcnt(0)
	v_mad_i64_i32 v[2:3], null, s6, v7, 0
	s_mul_i32 s3, s15, s3
	s_mul_hi_u32 s4, s15, s2
	s_mul_i32 s2, s15, s2
	s_add_i32 s3, s4, s3
	s_delay_alu instid0(SALU_CYCLE_1) | instskip(NEXT) | instid1(VALU_DEP_1)
	s_lshl_b64 s[2:3], s[2:3], 3
	v_lshlrev_b64 v[2:3], 3, v[2:3]
	s_add_u32 s0, s0, s2
	s_addc_u32 s1, s1, s3
	s_delay_alu instid0(VALU_DEP_1) | instskip(NEXT) | instid1(VALU_DEP_2)
	v_add_co_u32 v2, vcc_lo, s0, v2
	v_add_co_ci_u32_e32 v3, vcc_lo, s1, v3, vcc_lo
	s_delay_alu instid0(VALU_DEP_2) | instskip(NEXT) | instid1(VALU_DEP_2)
	v_add_co_u32 v0, vcc_lo, v2, v0
	v_add_co_ci_u32_e32 v1, vcc_lo, v3, v1, vcc_lo
	global_store_b64 v[0:1], v[4:5], off
.LBB204_13:
	s_nop 0
	s_sendmsg sendmsg(MSG_DEALLOC_VGPRS)
	s_endpgm
	.section	.rodata,"a",@progbits
	.p2align	6, 0x0
	.amdhsa_kernel _ZL32rocblas_syrkx_herkx_small_kernelIi19rocblas_complex_numIfELi16ELb1ELb0ELc84ELc76EKS1_S1_EviT_T0_PT6_S3_lS6_S3_lS4_PT7_S3_li
		.amdhsa_group_segment_fixed_size 4096
		.amdhsa_private_segment_fixed_size 0
		.amdhsa_kernarg_size 100
		.amdhsa_user_sgpr_count 13
		.amdhsa_user_sgpr_dispatch_ptr 0
		.amdhsa_user_sgpr_queue_ptr 0
		.amdhsa_user_sgpr_kernarg_segment_ptr 1
		.amdhsa_user_sgpr_dispatch_id 0
		.amdhsa_user_sgpr_private_segment_size 0
		.amdhsa_wavefront_size32 1
		.amdhsa_uses_dynamic_stack 0
		.amdhsa_enable_private_segment 0
		.amdhsa_system_sgpr_workgroup_id_x 1
		.amdhsa_system_sgpr_workgroup_id_y 1
		.amdhsa_system_sgpr_workgroup_id_z 1
		.amdhsa_system_sgpr_workgroup_info 0
		.amdhsa_system_vgpr_workitem_id 1
		.amdhsa_next_free_vgpr 68
		.amdhsa_next_free_sgpr 20
		.amdhsa_reserve_vcc 1
		.amdhsa_float_round_mode_32 0
		.amdhsa_float_round_mode_16_64 0
		.amdhsa_float_denorm_mode_32 3
		.amdhsa_float_denorm_mode_16_64 3
		.amdhsa_dx10_clamp 1
		.amdhsa_ieee_mode 1
		.amdhsa_fp16_overflow 0
		.amdhsa_workgroup_processor_mode 1
		.amdhsa_memory_ordered 1
		.amdhsa_forward_progress 0
		.amdhsa_shared_vgpr_count 0
		.amdhsa_exception_fp_ieee_invalid_op 0
		.amdhsa_exception_fp_denorm_src 0
		.amdhsa_exception_fp_ieee_div_zero 0
		.amdhsa_exception_fp_ieee_overflow 0
		.amdhsa_exception_fp_ieee_underflow 0
		.amdhsa_exception_fp_ieee_inexact 0
		.amdhsa_exception_int_div_zero 0
	.end_amdhsa_kernel
	.section	.text._ZL32rocblas_syrkx_herkx_small_kernelIi19rocblas_complex_numIfELi16ELb1ELb0ELc84ELc76EKS1_S1_EviT_T0_PT6_S3_lS6_S3_lS4_PT7_S3_li,"axG",@progbits,_ZL32rocblas_syrkx_herkx_small_kernelIi19rocblas_complex_numIfELi16ELb1ELb0ELc84ELc76EKS1_S1_EviT_T0_PT6_S3_lS6_S3_lS4_PT7_S3_li,comdat
.Lfunc_end204:
	.size	_ZL32rocblas_syrkx_herkx_small_kernelIi19rocblas_complex_numIfELi16ELb1ELb0ELc84ELc76EKS1_S1_EviT_T0_PT6_S3_lS6_S3_lS4_PT7_S3_li, .Lfunc_end204-_ZL32rocblas_syrkx_herkx_small_kernelIi19rocblas_complex_numIfELi16ELb1ELb0ELc84ELc76EKS1_S1_EviT_T0_PT6_S3_lS6_S3_lS4_PT7_S3_li
                                        ; -- End function
	.section	.AMDGPU.csdata,"",@progbits
; Kernel info:
; codeLenInByte = 1464
; NumSgprs: 22
; NumVgprs: 68
; ScratchSize: 0
; MemoryBound: 1
; FloatMode: 240
; IeeeMode: 1
; LDSByteSize: 4096 bytes/workgroup (compile time only)
; SGPRBlocks: 2
; VGPRBlocks: 8
; NumSGPRsForWavesPerEU: 22
; NumVGPRsForWavesPerEU: 68
; Occupancy: 16
; WaveLimiterHint : 0
; COMPUTE_PGM_RSRC2:SCRATCH_EN: 0
; COMPUTE_PGM_RSRC2:USER_SGPR: 13
; COMPUTE_PGM_RSRC2:TRAP_HANDLER: 0
; COMPUTE_PGM_RSRC2:TGID_X_EN: 1
; COMPUTE_PGM_RSRC2:TGID_Y_EN: 1
; COMPUTE_PGM_RSRC2:TGID_Z_EN: 1
; COMPUTE_PGM_RSRC2:TIDIG_COMP_CNT: 1
	.section	.text._ZL32rocblas_syrkx_herkx_small_kernelIi19rocblas_complex_numIfELi16ELb1ELb0ELc67ELc76EKS1_S1_EviT_T0_PT6_S3_lS6_S3_lS4_PT7_S3_li,"axG",@progbits,_ZL32rocblas_syrkx_herkx_small_kernelIi19rocblas_complex_numIfELi16ELb1ELb0ELc67ELc76EKS1_S1_EviT_T0_PT6_S3_lS6_S3_lS4_PT7_S3_li,comdat
	.globl	_ZL32rocblas_syrkx_herkx_small_kernelIi19rocblas_complex_numIfELi16ELb1ELb0ELc67ELc76EKS1_S1_EviT_T0_PT6_S3_lS6_S3_lS4_PT7_S3_li ; -- Begin function _ZL32rocblas_syrkx_herkx_small_kernelIi19rocblas_complex_numIfELi16ELb1ELb0ELc67ELc76EKS1_S1_EviT_T0_PT6_S3_lS6_S3_lS4_PT7_S3_li
	.p2align	8
	.type	_ZL32rocblas_syrkx_herkx_small_kernelIi19rocblas_complex_numIfELi16ELb1ELb0ELc67ELc76EKS1_S1_EviT_T0_PT6_S3_lS6_S3_lS4_PT7_S3_li,@function
_ZL32rocblas_syrkx_herkx_small_kernelIi19rocblas_complex_numIfELi16ELb1ELb0ELc67ELc76EKS1_S1_EviT_T0_PT6_S3_lS6_S3_lS4_PT7_S3_li: ; @_ZL32rocblas_syrkx_herkx_small_kernelIi19rocblas_complex_numIfELi16ELb1ELb0ELc67ELc76EKS1_S1_EviT_T0_PT6_S3_lS6_S3_lS4_PT7_S3_li
; %bb.0:
	s_clause 0x1
	s_load_b64 s[16:17], s[0:1], 0x0
	s_load_b128 s[4:7], s[0:1], 0x8
	v_dual_mov_b32 v16, 0 :: v_dual_and_b32 v9, 0x3ff, v0
	v_bfe_u32 v10, v0, 10, 10
	v_mov_b32_e32 v15, 0
	s_mov_b32 s12, 0
	s_delay_alu instid0(VALU_DEP_3) | instskip(NEXT) | instid1(VALU_DEP_3)
	v_lshl_add_u32 v0, s13, 4, v9
	v_lshl_add_u32 v8, s14, 4, v10
	s_waitcnt lgkmcnt(0)
	s_delay_alu instid0(VALU_DEP_2)
	v_cmp_gt_i32_e32 vcc_lo, s16, v0
	s_cmp_lt_i32 s17, 1
	s_cbranch_scc1 .LBB205_9
; %bb.1:
	s_clause 0x3
	s_load_b32 s3, s[0:1], 0x30
	s_load_b32 s13, s[0:1], 0x18
	s_load_b64 s[18:19], s[0:1], 0x38
	s_load_b128 s[8:11], s[0:1], 0x20
	v_dual_mov_b32 v16, 0 :: v_dual_lshlrev_b32 v1, 7, v10
	v_lshlrev_b32_e32 v11, 3, v9
	v_lshlrev_b32_e32 v5, 3, v10
	v_cmp_gt_i32_e64 s2, s16, v8
	s_delay_alu instid0(VALU_DEP_4) | instskip(NEXT) | instid1(VALU_DEP_4)
	v_dual_mov_b32 v15, 0 :: v_dual_add_nc_u32 v12, 0x800, v1
	v_add_nc_u32_e32 v13, v11, v1
	s_waitcnt lgkmcnt(0)
	v_mad_i64_i32 v[1:2], null, s3, v8, 0
	v_mad_i64_i32 v[3:4], null, s13, v0, 0
	s_mul_i32 s9, s9, s15
	s_mul_hi_u32 s14, s8, s15
	s_mul_i32 s8, s8, s15
	s_add_i32 s9, s14, s9
	s_mul_i32 s3, s19, s15
	s_mul_hi_u32 s13, s18, s15
	s_delay_alu instid0(VALU_DEP_1) | instskip(SKIP_4) | instid1(VALU_DEP_2)
	v_lshlrev_b64 v[3:4], 3, v[3:4]
	v_lshlrev_b64 v[1:2], 3, v[1:2]
	s_lshl_b64 s[8:9], s[8:9], 3
	s_mul_i32 s18, s18, s15
	s_add_i32 s19, s13, s3
	v_add_co_u32 v3, s3, v3, s8
	s_lshl_b64 s[18:19], s[18:19], 3
	v_add_co_ci_u32_e64 v4, s3, s9, v4, s3
	v_add_co_u32 v1, s3, v1, s18
	s_delay_alu instid0(VALU_DEP_1) | instskip(SKIP_4) | instid1(VALU_DEP_1)
	v_add_co_ci_u32_e64 v2, s3, s19, v2, s3
	v_add_co_u32 v3, s3, v3, v5
	v_mov_b32_e32 v5, 0
	v_add_co_ci_u32_e64 v4, s3, 0, v4, s3
	v_add_co_u32 v1, s3, v1, v11
	v_add_co_ci_u32_e64 v2, s3, 0, v2, s3
	v_add_co_u32 v3, s3, v3, s6
	s_delay_alu instid0(VALU_DEP_1) | instskip(NEXT) | instid1(VALU_DEP_4)
	v_add_co_ci_u32_e64 v4, s3, s7, v4, s3
	v_add_co_u32 v1, s3, s10, v1
	s_delay_alu instid0(VALU_DEP_1) | instskip(NEXT) | instid1(VALU_DEP_4)
	v_add_co_ci_u32_e64 v2, s3, s11, v2, s3
	v_add_co_u32 v3, s3, v3, 4
	v_add_nc_u32_e32 v14, v12, v11
	v_add_co_ci_u32_e64 v4, s3, 0, v4, s3
	s_xor_b32 s3, s2, -1
	s_branch .LBB205_3
.LBB205_2:                              ;   in Loop: Header=BB205_3 Depth=1
	s_or_b32 exec_lo, exec_lo, s2
	s_waitcnt lgkmcnt(0)
	s_barrier
	buffer_gl0_inv
	ds_load_2addr_b64 v[17:20], v11 offset1:16
	ds_load_b128 v[21:24], v12
	ds_load_b128 v[25:28], v12 offset:16
	ds_load_2addr_b64 v[29:32], v11 offset0:32 offset1:48
	ds_load_2addr_b64 v[33:36], v11 offset0:64 offset1:80
	ds_load_b128 v[37:40], v12 offset:32
	ds_load_b128 v[41:44], v12 offset:48
	ds_load_2addr_b64 v[45:48], v11 offset0:96 offset1:112
	ds_load_2addr_b64 v[49:52], v11 offset0:128 offset1:144
	;; [unrolled: 1-line block ×3, first 2 shown]
	ds_load_b128 v[57:60], v12 offset:64
	ds_load_b128 v[61:64], v12 offset:80
	v_add_co_u32 v1, s2, 0x80, v1
	s_delay_alu instid0(VALU_DEP_1) | instskip(SKIP_1) | instid1(VALU_DEP_1)
	v_add_co_ci_u32_e64 v2, s2, 0, v2, s2
	v_add_co_u32 v3, s2, 0x80, v3
	v_add_co_ci_u32_e64 v4, s2, 0, v4, s2
	s_add_i32 s12, s12, 16
	s_waitcnt lgkmcnt(10)
	v_mul_f32_e32 v6, v22, v18
	v_dual_mul_f32 v7, v21, v18 :: v_dual_mul_f32 v18, v24, v20
	s_waitcnt lgkmcnt(8)
	v_dual_mul_f32 v20, v23, v20 :: v_dual_mul_f32 v65, v26, v30
	s_delay_alu instid0(VALU_DEP_2) | instskip(SKIP_3) | instid1(VALU_DEP_3)
	v_dual_mul_f32 v30, v25, v30 :: v_dual_fmac_f32 v7, v22, v17
	v_fma_f32 v6, v21, v17, -v6
	s_waitcnt lgkmcnt(6)
	v_dual_mul_f32 v66, v28, v32 :: v_dual_mul_f32 v67, v38, v34
	v_dual_mul_f32 v32, v27, v32 :: v_dual_add_f32 v7, v16, v7
	v_dual_mul_f32 v34, v37, v34 :: v_dual_mul_f32 v17, v39, v36
	v_fma_f32 v18, v23, v19, -v18
	v_add_f32_e32 v6, v15, v6
	s_waitcnt lgkmcnt(4)
	v_dual_fmac_f32 v20, v24, v19 :: v_dual_mul_f32 v15, v42, v46
	v_fma_f32 v16, v25, v29, -v65
	v_fmac_f32_e32 v34, v38, v33
	v_fmac_f32_e32 v32, v28, v31
	s_delay_alu instid0(VALU_DEP_4) | instskip(SKIP_3) | instid1(VALU_DEP_4)
	v_dual_fmac_f32 v30, v26, v29 :: v_dual_add_f32 v7, v7, v20
	v_dual_fmac_f32 v17, v40, v35 :: v_dual_add_f32 v6, v6, v18
	v_fma_f32 v19, v27, v31, -v66
	v_mul_f32_e32 v18, v41, v46
	v_add_f32_e32 v7, v7, v30
	v_mul_f32_e32 v21, v40, v36
	v_add_f32_e32 v6, v6, v16
	v_fma_f32 v20, v37, v33, -v67
	s_waitcnt lgkmcnt(1)
	v_mul_f32_e32 v23, v57, v50
	v_add_f32_e32 v7, v7, v32
	v_fma_f32 v21, v39, v35, -v21
	v_dual_add_f32 v6, v6, v19 :: v_dual_mul_f32 v19, v43, v48
	s_delay_alu instid0(VALU_DEP_4) | instskip(SKIP_2) | instid1(VALU_DEP_4)
	v_dual_fmac_f32 v23, v58, v49 :: v_dual_mul_f32 v24, v60, v52
	v_fmac_f32_e32 v18, v42, v45
	v_fma_f32 v15, v41, v45, -v15
	v_fmac_f32_e32 v19, v44, v47
	v_dual_add_f32 v7, v7, v34 :: v_dual_mul_f32 v16, v44, v48
	v_mul_f32_e32 v25, v59, v52
	s_waitcnt lgkmcnt(0)
	v_mul_f32_e32 v31, v61, v54
	s_cmp_ge_i32 s12, s17
	v_dual_add_f32 v7, v7, v17 :: v_dual_add_f32 v6, v6, v20
	v_fmac_f32_e32 v25, v60, v51
	s_delay_alu instid0(VALU_DEP_3) | instskip(NEXT) | instid1(VALU_DEP_3)
	v_dual_fmac_f32 v31, v62, v53 :: v_dual_mul_f32 v34, v63, v56
	v_dual_add_f32 v7, v7, v18 :: v_dual_add_f32 v6, v6, v21
	v_mul_f32_e32 v20, v58, v50
	v_fma_f32 v21, v43, v47, -v16
	v_mul_f32_e32 v33, v64, v56
	s_delay_alu instid0(VALU_DEP_4)
	v_add_f32_e32 v7, v7, v19
	v_add_f32_e32 v6, v6, v15
	v_fma_f32 v20, v57, v49, -v20
	ds_load_2addr_b64 v[15:18], v11 offset0:192 offset1:208
	v_dual_add_f32 v7, v7, v23 :: v_dual_add_f32 v6, v6, v21
	v_fma_f32 v23, v59, v51, -v24
	s_delay_alu instid0(VALU_DEP_2) | instskip(NEXT) | instid1(VALU_DEP_3)
	v_dual_mul_f32 v24, v62, v54 :: v_dual_add_f32 v7, v7, v25
	v_add_f32_e32 v6, v6, v20
	ds_load_b128 v[19:22], v12 offset:96
	v_fma_f32 v32, v61, v53, -v24
	v_fmac_f32_e32 v34, v64, v55
	v_add_f32_e32 v7, v7, v31
	v_add_f32_e32 v6, v6, v23
	ds_load_2addr_b64 v[23:26], v11 offset0:224 offset1:240
	ds_load_b128 v[27:30], v12 offset:112
	v_fma_f32 v31, v63, v55, -v33
	s_waitcnt lgkmcnt(0)
	v_dual_add_f32 v7, v7, v34 :: v_dual_add_f32 v6, v6, v32
	s_barrier
	buffer_gl0_inv
	v_mul_f32_e32 v32, v20, v16
	v_mul_f32_e32 v16, v19, v16
	s_delay_alu instid0(VALU_DEP_2) | instskip(NEXT) | instid1(VALU_DEP_2)
	v_fma_f32 v19, v19, v15, -v32
	v_dual_fmac_f32 v16, v20, v15 :: v_dual_mul_f32 v15, v22, v18
	s_delay_alu instid0(VALU_DEP_1) | instskip(NEXT) | instid1(VALU_DEP_2)
	v_dual_mul_f32 v18, v21, v18 :: v_dual_add_f32 v7, v7, v16
	v_fma_f32 v15, v21, v17, -v15
	s_delay_alu instid0(VALU_DEP_2) | instskip(SKIP_2) | instid1(VALU_DEP_3)
	v_fmac_f32_e32 v18, v22, v17
	v_mul_f32_e32 v16, v28, v24
	v_mul_f32_e32 v17, v27, v24
	v_dual_add_f32 v7, v7, v18 :: v_dual_add_f32 v6, v6, v31
	s_delay_alu instid0(VALU_DEP_2) | instskip(NEXT) | instid1(VALU_DEP_1)
	v_dual_fmac_f32 v17, v28, v23 :: v_dual_mul_f32 v18, v29, v26
	v_dual_add_f32 v6, v6, v19 :: v_dual_add_f32 v7, v7, v17
	s_delay_alu instid0(VALU_DEP_2) | instskip(NEXT) | instid1(VALU_DEP_2)
	v_fmac_f32_e32 v18, v30, v25
	v_add_f32_e32 v6, v6, v15
	v_fma_f32 v15, v27, v23, -v16
	v_mul_f32_e32 v16, v30, v26
	s_delay_alu instid0(VALU_DEP_2) | instskip(NEXT) | instid1(VALU_DEP_2)
	v_add_f32_e32 v6, v6, v15
	v_fma_f32 v15, v29, v25, -v16
	s_delay_alu instid0(VALU_DEP_1)
	v_dual_add_f32 v16, v7, v18 :: v_dual_add_f32 v15, v6, v15
	s_cbranch_scc1 .LBB205_9
.LBB205_3:                              ; =>This Inner Loop Header: Depth=1
	v_dual_mov_b32 v7, 0 :: v_dual_add_nc_u32 v6, s12, v10
	s_delay_alu instid0(VALU_DEP_1) | instskip(SKIP_1) | instid1(VALU_DEP_2)
	v_cmp_gt_i32_e64 s2, s17, v6
	v_mov_b32_e32 v6, 0
	s_and_b32 s6, vcc_lo, s2
	s_delay_alu instid0(SALU_CYCLE_1)
	s_and_saveexec_b32 s2, s6
	s_cbranch_execz .LBB205_5
; %bb.4:                                ;   in Loop: Header=BB205_3 Depth=1
	global_load_b64 v[6:7], v[3:4], off offset:-4
.LBB205_5:                              ;   in Loop: Header=BB205_3 Depth=1
	s_or_b32 exec_lo, exec_lo, s2
	v_add_nc_u32_e32 v17, s12, v9
	s_waitcnt vmcnt(0)
	ds_store_b64 v13, v[6:7]
	v_cmp_le_i32_e64 s2, s17, v17
	s_delay_alu instid0(VALU_DEP_1) | instskip(NEXT) | instid1(SALU_CYCLE_1)
	s_or_b32 s2, s3, s2
	s_and_saveexec_b32 s6, s2
	s_delay_alu instid0(SALU_CYCLE_1)
	s_xor_b32 s2, exec_lo, s6
	s_cbranch_execz .LBB205_7
; %bb.6:                                ;   in Loop: Header=BB205_3 Depth=1
	v_mov_b32_e32 v6, v5
	ds_store_b64 v14, v[5:6]
.LBB205_7:                              ;   in Loop: Header=BB205_3 Depth=1
	s_and_not1_saveexec_b32 s2, s2
	s_cbranch_execz .LBB205_2
; %bb.8:                                ;   in Loop: Header=BB205_3 Depth=1
	global_load_b64 v[6:7], v[1:2], off
	s_waitcnt vmcnt(0)
	ds_store_b64 v14, v[6:7]
	s_branch .LBB205_2
.LBB205_9:
	v_cmp_le_i32_e32 vcc_lo, v8, v0
	v_cmp_gt_i32_e64 s2, s16, v0
	s_delay_alu instid0(VALU_DEP_1) | instskip(NEXT) | instid1(SALU_CYCLE_1)
	s_and_b32 s2, vcc_lo, s2
	s_and_saveexec_b32 s3, s2
	s_cbranch_execz .LBB205_11
; %bb.10:
	s_clause 0x2
	s_load_b32 s6, s[0:1], 0x50
	s_load_b64 s[2:3], s[0:1], 0x58
	s_load_b64 s[0:1], s[0:1], 0x48
	v_mul_f32_e32 v5, s4, v16
	v_mul_f32_e32 v4, s5, v16
	v_ashrrev_i32_e32 v1, 31, v0
	s_delay_alu instid0(VALU_DEP_3) | instskip(NEXT) | instid1(VALU_DEP_3)
	v_fmac_f32_e32 v5, s5, v15
	v_fma_f32 v4, v15, s4, -v4
	s_delay_alu instid0(VALU_DEP_3)
	v_lshlrev_b64 v[0:1], 3, v[0:1]
	s_waitcnt lgkmcnt(0)
	v_mad_i64_i32 v[2:3], null, s6, v8, 0
	s_mul_i32 s3, s15, s3
	s_mul_hi_u32 s4, s15, s2
	s_mul_i32 s2, s15, s2
	s_add_i32 s3, s4, s3
	s_delay_alu instid0(SALU_CYCLE_1) | instskip(NEXT) | instid1(VALU_DEP_1)
	s_lshl_b64 s[2:3], s[2:3], 3
	v_lshlrev_b64 v[2:3], 3, v[2:3]
	s_add_u32 s0, s0, s2
	s_addc_u32 s1, s1, s3
	s_delay_alu instid0(VALU_DEP_1) | instskip(NEXT) | instid1(VALU_DEP_2)
	v_add_co_u32 v2, vcc_lo, s0, v2
	v_add_co_ci_u32_e32 v3, vcc_lo, s1, v3, vcc_lo
	s_delay_alu instid0(VALU_DEP_2) | instskip(NEXT) | instid1(VALU_DEP_2)
	v_add_co_u32 v0, vcc_lo, v2, v0
	v_add_co_ci_u32_e32 v1, vcc_lo, v3, v1, vcc_lo
	global_store_b64 v[0:1], v[4:5], off
.LBB205_11:
	s_nop 0
	s_sendmsg sendmsg(MSG_DEALLOC_VGPRS)
	s_endpgm
	.section	.rodata,"a",@progbits
	.p2align	6, 0x0
	.amdhsa_kernel _ZL32rocblas_syrkx_herkx_small_kernelIi19rocblas_complex_numIfELi16ELb1ELb0ELc67ELc76EKS1_S1_EviT_T0_PT6_S3_lS6_S3_lS4_PT7_S3_li
		.amdhsa_group_segment_fixed_size 4096
		.amdhsa_private_segment_fixed_size 0
		.amdhsa_kernarg_size 100
		.amdhsa_user_sgpr_count 13
		.amdhsa_user_sgpr_dispatch_ptr 0
		.amdhsa_user_sgpr_queue_ptr 0
		.amdhsa_user_sgpr_kernarg_segment_ptr 1
		.amdhsa_user_sgpr_dispatch_id 0
		.amdhsa_user_sgpr_private_segment_size 0
		.amdhsa_wavefront_size32 1
		.amdhsa_uses_dynamic_stack 0
		.amdhsa_enable_private_segment 0
		.amdhsa_system_sgpr_workgroup_id_x 1
		.amdhsa_system_sgpr_workgroup_id_y 1
		.amdhsa_system_sgpr_workgroup_id_z 1
		.amdhsa_system_sgpr_workgroup_info 0
		.amdhsa_system_vgpr_workitem_id 1
		.amdhsa_next_free_vgpr 68
		.amdhsa_next_free_sgpr 20
		.amdhsa_reserve_vcc 1
		.amdhsa_float_round_mode_32 0
		.amdhsa_float_round_mode_16_64 0
		.amdhsa_float_denorm_mode_32 3
		.amdhsa_float_denorm_mode_16_64 3
		.amdhsa_dx10_clamp 1
		.amdhsa_ieee_mode 1
		.amdhsa_fp16_overflow 0
		.amdhsa_workgroup_processor_mode 1
		.amdhsa_memory_ordered 1
		.amdhsa_forward_progress 0
		.amdhsa_shared_vgpr_count 0
		.amdhsa_exception_fp_ieee_invalid_op 0
		.amdhsa_exception_fp_denorm_src 0
		.amdhsa_exception_fp_ieee_div_zero 0
		.amdhsa_exception_fp_ieee_overflow 0
		.amdhsa_exception_fp_ieee_underflow 0
		.amdhsa_exception_fp_ieee_inexact 0
		.amdhsa_exception_int_div_zero 0
	.end_amdhsa_kernel
	.section	.text._ZL32rocblas_syrkx_herkx_small_kernelIi19rocblas_complex_numIfELi16ELb1ELb0ELc67ELc76EKS1_S1_EviT_T0_PT6_S3_lS6_S3_lS4_PT7_S3_li,"axG",@progbits,_ZL32rocblas_syrkx_herkx_small_kernelIi19rocblas_complex_numIfELi16ELb1ELb0ELc67ELc76EKS1_S1_EviT_T0_PT6_S3_lS6_S3_lS4_PT7_S3_li,comdat
.Lfunc_end205:
	.size	_ZL32rocblas_syrkx_herkx_small_kernelIi19rocblas_complex_numIfELi16ELb1ELb0ELc67ELc76EKS1_S1_EviT_T0_PT6_S3_lS6_S3_lS4_PT7_S3_li, .Lfunc_end205-_ZL32rocblas_syrkx_herkx_small_kernelIi19rocblas_complex_numIfELi16ELb1ELb0ELc67ELc76EKS1_S1_EviT_T0_PT6_S3_lS6_S3_lS4_PT7_S3_li
                                        ; -- End function
	.section	.AMDGPU.csdata,"",@progbits
; Kernel info:
; codeLenInByte = 1476
; NumSgprs: 22
; NumVgprs: 68
; ScratchSize: 0
; MemoryBound: 1
; FloatMode: 240
; IeeeMode: 1
; LDSByteSize: 4096 bytes/workgroup (compile time only)
; SGPRBlocks: 2
; VGPRBlocks: 8
; NumSGPRsForWavesPerEU: 22
; NumVGPRsForWavesPerEU: 68
; Occupancy: 16
; WaveLimiterHint : 0
; COMPUTE_PGM_RSRC2:SCRATCH_EN: 0
; COMPUTE_PGM_RSRC2:USER_SGPR: 13
; COMPUTE_PGM_RSRC2:TRAP_HANDLER: 0
; COMPUTE_PGM_RSRC2:TGID_X_EN: 1
; COMPUTE_PGM_RSRC2:TGID_Y_EN: 1
; COMPUTE_PGM_RSRC2:TGID_Z_EN: 1
; COMPUTE_PGM_RSRC2:TIDIG_COMP_CNT: 1
	.section	.text._ZL32rocblas_syrkx_herkx_small_kernelIi19rocblas_complex_numIfELi16ELb1ELb0ELc78ELc76EKS1_S1_EviT_T0_PT6_S3_lS6_S3_lS4_PT7_S3_li,"axG",@progbits,_ZL32rocblas_syrkx_herkx_small_kernelIi19rocblas_complex_numIfELi16ELb1ELb0ELc78ELc76EKS1_S1_EviT_T0_PT6_S3_lS6_S3_lS4_PT7_S3_li,comdat
	.globl	_ZL32rocblas_syrkx_herkx_small_kernelIi19rocblas_complex_numIfELi16ELb1ELb0ELc78ELc76EKS1_S1_EviT_T0_PT6_S3_lS6_S3_lS4_PT7_S3_li ; -- Begin function _ZL32rocblas_syrkx_herkx_small_kernelIi19rocblas_complex_numIfELi16ELb1ELb0ELc78ELc76EKS1_S1_EviT_T0_PT6_S3_lS6_S3_lS4_PT7_S3_li
	.p2align	8
	.type	_ZL32rocblas_syrkx_herkx_small_kernelIi19rocblas_complex_numIfELi16ELb1ELb0ELc78ELc76EKS1_S1_EviT_T0_PT6_S3_lS6_S3_lS4_PT7_S3_li,@function
_ZL32rocblas_syrkx_herkx_small_kernelIi19rocblas_complex_numIfELi16ELb1ELb0ELc78ELc76EKS1_S1_EviT_T0_PT6_S3_lS6_S3_lS4_PT7_S3_li: ; @_ZL32rocblas_syrkx_herkx_small_kernelIi19rocblas_complex_numIfELi16ELb1ELb0ELc78ELc76EKS1_S1_EviT_T0_PT6_S3_lS6_S3_lS4_PT7_S3_li
; %bb.0:
	s_clause 0x1
	s_load_b64 s[16:17], s[0:1], 0x0
	s_load_b128 s[4:7], s[0:1], 0x8
	v_dual_mov_b32 v17, 0 :: v_dual_and_b32 v10, 0x3ff, v0
	v_bfe_u32 v11, v0, 10, 10
	v_mov_b32_e32 v16, 0
	s_delay_alu instid0(VALU_DEP_3) | instskip(NEXT) | instid1(VALU_DEP_3)
	v_lshl_add_u32 v0, s13, 4, v10
	v_lshl_add_u32 v2, s14, 4, v11
	s_mov_b32 s14, 0
	s_delay_alu instid0(VALU_DEP_2)
	v_ashrrev_i32_e32 v1, 31, v0
	s_waitcnt lgkmcnt(0)
	v_cmp_gt_i32_e64 s2, s16, v0
	s_cmp_lt_i32 s17, 1
	s_cbranch_scc1 .LBB206_9
; %bb.1:
	s_clause 0x3
	s_load_b32 s12, s[0:1], 0x18
	s_load_b32 s18, s[0:1], 0x30
	s_load_b64 s[20:21], s[0:1], 0x38
	s_load_b128 s[8:11], s[0:1], 0x20
	v_lshlrev_b32_e32 v6, 7, v11
	v_lshlrev_b32_e32 v12, 3, v10
	v_ashrrev_i32_e32 v3, 31, v2
	v_lshlrev_b64 v[4:5], 3, v[0:1]
	v_cmp_gt_i32_e32 vcc_lo, s16, v2
	v_add_nc_u32_e32 v13, 0x800, v6
	v_add_nc_u32_e32 v14, v12, v6
	v_lshlrev_b64 v[6:7], 3, v[2:3]
	s_waitcnt lgkmcnt(0)
	v_mad_i64_i32 v[16:17], null, s12, v11, 0
	v_mad_i64_i32 v[8:9], null, s18, v10, 0
	s_mul_i32 s3, s21, s15
	s_mul_hi_u32 s21, s20, s15
	s_mul_i32 s20, s20, s15
	s_add_i32 s21, s21, s3
	s_mul_i32 s9, s9, s15
	s_lshl_b64 s[20:21], s[20:21], 3
	s_delay_alu instid0(VALU_DEP_1)
	v_lshlrev_b64 v[8:9], 3, v[8:9]
	s_mul_hi_u32 s22, s8, s15
	s_mul_i32 s8, s8, s15
	s_add_i32 s9, s22, s9
	s_ashr_i32 s13, s12, 31
	s_lshl_b64 s[8:9], s[8:9], 3
	v_add_co_u32 v3, s3, s20, v8
	s_delay_alu instid0(VALU_DEP_1) | instskip(SKIP_2) | instid1(VALU_DEP_4)
	v_add_co_ci_u32_e64 v18, s3, s21, v9, s3
	v_lshlrev_b64 v[8:9], 3, v[16:17]
	v_mov_b32_e32 v16, 0
	v_add_co_u32 v3, s3, v3, v6
	s_delay_alu instid0(VALU_DEP_1) | instskip(NEXT) | instid1(VALU_DEP_4)
	v_add_co_ci_u32_e64 v6, s3, v18, v7, s3
	v_add_co_u32 v7, s3, s8, v8
	s_delay_alu instid0(VALU_DEP_1) | instskip(NEXT) | instid1(VALU_DEP_4)
	v_add_co_ci_u32_e64 v8, s3, s9, v9, s3
	;; [unrolled: 3-line block ×5, first 2 shown]
	v_add_co_u32 v5, s3, s6, v7
	s_delay_alu instid0(VALU_DEP_1)
	v_add_co_ci_u32_e64 v6, s3, s7, v8, s3
	v_mov_b32_e32 v7, 0
	v_mov_b32_e32 v17, 0
	v_add_nc_u32_e32 v15, v13, v12
	s_ashr_i32 s19, s18, 31
	s_lshl_b64 s[8:9], s[12:13], 7
	s_lshl_b64 s[6:7], s[18:19], 7
	s_xor_b32 s3, s2, -1
	s_branch .LBB206_3
.LBB206_2:                              ;   in Loop: Header=BB206_3 Depth=1
	s_or_b32 exec_lo, exec_lo, s2
	s_waitcnt vmcnt(0)
	ds_store_b64 v15, v[8:9]
	s_waitcnt lgkmcnt(0)
	s_barrier
	buffer_gl0_inv
	ds_load_2addr_b64 v[18:21], v12 offset1:16
	ds_load_b128 v[22:25], v13
	ds_load_b128 v[26:29], v13 offset:16
	ds_load_2addr_b64 v[30:33], v12 offset0:32 offset1:48
	ds_load_2addr_b64 v[34:37], v12 offset0:64 offset1:80
	ds_load_b128 v[38:41], v13 offset:32
	ds_load_b128 v[42:45], v13 offset:48
	ds_load_2addr_b64 v[46:49], v12 offset0:96 offset1:112
	ds_load_2addr_b64 v[50:53], v12 offset0:128 offset1:144
	;; [unrolled: 1-line block ×3, first 2 shown]
	ds_load_b128 v[58:61], v13 offset:64
	ds_load_b128 v[62:65], v13 offset:80
	v_add_co_u32 v3, s2, v3, s6
	s_delay_alu instid0(VALU_DEP_1) | instskip(SKIP_1) | instid1(VALU_DEP_1)
	v_add_co_ci_u32_e64 v4, s2, s7, v4, s2
	v_add_co_u32 v5, s2, v5, s8
	v_add_co_ci_u32_e64 v6, s2, s9, v6, s2
	s_add_i32 s14, s14, 16
	s_waitcnt lgkmcnt(10)
	v_mul_f32_e32 v8, v23, v19
	v_mul_f32_e32 v9, v22, v19
	;; [unrolled: 1-line block ×3, first 2 shown]
	s_waitcnt lgkmcnt(8)
	v_dual_mul_f32 v21, v24, v21 :: v_dual_mul_f32 v66, v27, v31
	v_fma_f32 v8, v22, v18, -v8
	s_waitcnt lgkmcnt(6)
	v_dual_mul_f32 v67, v29, v33 :: v_dual_mul_f32 v68, v39, v35
	v_dual_mul_f32 v33, v28, v33 :: v_dual_mul_f32 v22, v38, v35
	s_delay_alu instid0(VALU_DEP_3)
	v_dual_add_f32 v8, v16, v8 :: v_dual_fmac_f32 v9, v23, v18
	v_fma_f32 v18, v24, v20, -v19
	v_mul_f32_e32 v35, v41, v37
	v_fma_f32 v19, v28, v32, -v67
	v_dual_mul_f32 v31, v26, v31 :: v_dual_mul_f32 v16, v40, v37
	v_add_f32_e32 v9, v17, v9
	v_fma_f32 v17, v26, v30, -v66
	v_dual_add_f32 v8, v8, v18 :: v_dual_fmac_f32 v21, v25, v20
	s_waitcnt lgkmcnt(4)
	v_mul_f32_e32 v18, v43, v47
	v_fma_f32 v20, v38, v34, -v68
	v_fmac_f32_e32 v22, v39, v34
	v_dual_add_f32 v8, v8, v17 :: v_dual_mul_f32 v17, v42, v47
	s_delay_alu instid0(VALU_DEP_4)
	v_fma_f32 v18, v42, v46, -v18
	v_fmac_f32_e32 v16, v41, v36
	s_waitcnt lgkmcnt(1)
	v_mul_f32_e32 v24, v58, v51
	v_dual_add_f32 v8, v8, v19 :: v_dual_fmac_f32 v31, v27, v30
	v_add_f32_e32 v9, v9, v21
	v_fma_f32 v21, v40, v36, -v35
	s_delay_alu instid0(VALU_DEP_3) | instskip(SKIP_3) | instid1(VALU_DEP_3)
	v_dual_mul_f32 v19, v45, v49 :: v_dual_add_f32 v8, v8, v20
	v_dual_fmac_f32 v33, v29, v32 :: v_dual_mul_f32 v20, v44, v49
	v_fmac_f32_e32 v17, v43, v46
	s_cmp_ge_i32 s14, s17
	v_dual_add_f32 v8, v8, v21 :: v_dual_add_f32 v9, v9, v31
	v_dual_mul_f32 v21, v59, v51 :: v_dual_mul_f32 v26, v60, v53
	v_fmac_f32_e32 v20, v45, v48
	s_delay_alu instid0(VALU_DEP_3) | instskip(SKIP_1) | instid1(VALU_DEP_4)
	v_dual_add_f32 v8, v8, v18 :: v_dual_add_f32 v9, v9, v33
	v_fmac_f32_e32 v24, v59, v50
	v_fmac_f32_e32 v26, v61, v52
	s_waitcnt lgkmcnt(0)
	s_delay_alu instid0(VALU_DEP_3) | instskip(NEXT) | instid1(VALU_DEP_1)
	v_dual_mul_f32 v32, v62, v55 :: v_dual_add_f32 v9, v9, v22
	v_dual_fmac_f32 v32, v63, v54 :: v_dual_add_f32 v9, v9, v16
	v_fma_f32 v16, v44, v48, -v19
	s_delay_alu instid0(VALU_DEP_2) | instskip(SKIP_1) | instid1(VALU_DEP_3)
	v_add_f32_e32 v9, v9, v17
	v_fma_f32 v17, v58, v50, -v21
	v_add_f32_e32 v8, v8, v16
	s_delay_alu instid0(VALU_DEP_1)
	v_dual_add_f32 v9, v9, v20 :: v_dual_add_f32 v8, v8, v17
	v_mul_f32_e32 v25, v61, v53
	ds_load_2addr_b64 v[16:19], v12 offset0:192 offset1:208
	ds_load_b128 v[20:23], v13 offset:96
	v_add_f32_e32 v9, v9, v24
	v_mul_f32_e32 v34, v65, v57
	v_mul_f32_e32 v35, v64, v57
	v_fma_f32 v24, v60, v52, -v25
	s_delay_alu instid0(VALU_DEP_1) | instskip(NEXT) | instid1(VALU_DEP_1)
	v_dual_mul_f32 v25, v63, v55 :: v_dual_add_f32 v8, v8, v24
	v_fma_f32 v33, v62, v54, -v25
	v_add_f32_e32 v9, v9, v26
	ds_load_2addr_b64 v[24:27], v12 offset0:224 offset1:240
	ds_load_b128 v[28:31], v13 offset:112
	s_waitcnt lgkmcnt(0)
	s_barrier
	v_dual_add_f32 v8, v8, v33 :: v_dual_add_f32 v9, v9, v32
	buffer_gl0_inv
	v_mul_f32_e32 v33, v21, v17
	v_mul_f32_e32 v17, v20, v17
	s_delay_alu instid0(VALU_DEP_2) | instskip(NEXT) | instid1(VALU_DEP_2)
	v_fma_f32 v20, v20, v16, -v33
	v_dual_fmac_f32 v17, v21, v16 :: v_dual_mul_f32 v16, v23, v19
	v_fmac_f32_e32 v35, v65, v56
	v_mul_f32_e32 v19, v22, v19
	v_fma_f32 v32, v64, v56, -v34
	s_delay_alu instid0(VALU_DEP_4) | instskip(NEXT) | instid1(VALU_DEP_2)
	v_fma_f32 v16, v22, v18, -v16
	v_dual_fmac_f32 v19, v23, v18 :: v_dual_add_f32 v8, v8, v32
	v_dual_mul_f32 v18, v28, v25 :: v_dual_add_f32 v9, v9, v35
	s_delay_alu instid0(VALU_DEP_2) | instskip(NEXT) | instid1(VALU_DEP_2)
	v_add_f32_e32 v8, v8, v20
	v_fmac_f32_e32 v18, v29, v24
	s_delay_alu instid0(VALU_DEP_3) | instskip(NEXT) | instid1(VALU_DEP_3)
	v_add_f32_e32 v9, v9, v17
	v_dual_mul_f32 v17, v29, v25 :: v_dual_add_f32 v8, v8, v16
	s_delay_alu instid0(VALU_DEP_1) | instskip(NEXT) | instid1(VALU_DEP_1)
	v_fma_f32 v16, v28, v24, -v17
	v_dual_mul_f32 v17, v31, v27 :: v_dual_add_f32 v8, v8, v16
	s_delay_alu instid0(VALU_DEP_4) | instskip(SKIP_1) | instid1(VALU_DEP_3)
	v_add_f32_e32 v9, v9, v19
	v_mul_f32_e32 v19, v30, v27
	v_fma_f32 v16, v30, v26, -v17
	s_delay_alu instid0(VALU_DEP_3) | instskip(NEXT) | instid1(VALU_DEP_2)
	v_add_f32_e32 v9, v9, v18
	v_dual_fmac_f32 v19, v31, v26 :: v_dual_add_f32 v16, v8, v16
	s_delay_alu instid0(VALU_DEP_1)
	v_add_f32_e32 v17, v9, v19
	s_cbranch_scc1 .LBB206_9
.LBB206_3:                              ; =>This Inner Loop Header: Depth=1
	v_add_nc_u32_e32 v8, s14, v11
	s_delay_alu instid0(VALU_DEP_1) | instskip(NEXT) | instid1(VALU_DEP_1)
	v_cmp_le_i32_e64 s2, s17, v8
	s_or_b32 s2, s3, s2
	s_delay_alu instid0(SALU_CYCLE_1) | instskip(NEXT) | instid1(SALU_CYCLE_1)
	s_and_saveexec_b32 s10, s2
	s_xor_b32 s2, exec_lo, s10
	s_cbranch_execz .LBB206_5
; %bb.4:                                ;   in Loop: Header=BB206_3 Depth=1
	v_mov_b32_e32 v8, v7
	ds_store_b64 v14, v[7:8]
.LBB206_5:                              ;   in Loop: Header=BB206_3 Depth=1
	s_and_not1_saveexec_b32 s2, s2
	s_cbranch_execz .LBB206_7
; %bb.6:                                ;   in Loop: Header=BB206_3 Depth=1
	global_load_b64 v[8:9], v[5:6], off
	s_waitcnt vmcnt(0)
	ds_store_b64 v14, v[8:9]
.LBB206_7:                              ;   in Loop: Header=BB206_3 Depth=1
	s_or_b32 exec_lo, exec_lo, s2
	v_dual_mov_b32 v9, 0 :: v_dual_add_nc_u32 v8, s14, v10
	s_delay_alu instid0(VALU_DEP_1) | instskip(SKIP_1) | instid1(VALU_DEP_2)
	v_cmp_gt_i32_e64 s2, s17, v8
	v_mov_b32_e32 v8, 0
	s_and_b32 s10, vcc_lo, s2
	s_delay_alu instid0(SALU_CYCLE_1)
	s_and_saveexec_b32 s2, s10
	s_cbranch_execz .LBB206_2
; %bb.8:                                ;   in Loop: Header=BB206_3 Depth=1
	global_load_b64 v[8:9], v[3:4], off offset:-4
	s_branch .LBB206_2
.LBB206_9:
	v_cmp_le_i32_e32 vcc_lo, v2, v0
	v_cmp_gt_i32_e64 s2, s16, v0
	s_delay_alu instid0(VALU_DEP_1) | instskip(NEXT) | instid1(SALU_CYCLE_1)
	s_and_b32 s2, vcc_lo, s2
	s_and_saveexec_b32 s3, s2
	s_cbranch_execz .LBB206_11
; %bb.10:
	s_clause 0x2
	s_load_b32 s6, s[0:1], 0x50
	s_load_b64 s[2:3], s[0:1], 0x58
	s_load_b64 s[0:1], s[0:1], 0x48
	v_lshlrev_b64 v[5:6], 3, v[0:1]
	s_waitcnt lgkmcnt(0)
	v_mad_i64_i32 v[3:4], null, s6, v2, 0
	s_mul_i32 s3, s15, s3
	s_mul_hi_u32 s6, s15, s2
	s_mul_i32 s2, s15, s2
	s_add_i32 s3, s6, s3
	v_mul_f32_e32 v2, s4, v17
	s_lshl_b64 s[2:3], s[2:3], 3
	s_delay_alu instid0(VALU_DEP_2) | instskip(SKIP_3) | instid1(VALU_DEP_2)
	v_lshlrev_b64 v[3:4], 3, v[3:4]
	s_add_u32 s0, s0, s2
	s_addc_u32 s1, s1, s3
	v_dual_mul_f32 v7, s5, v17 :: v_dual_fmac_f32 v2, s5, v16
	v_add_co_u32 v0, vcc_lo, s0, v3
	s_delay_alu instid0(VALU_DEP_3) | instskip(NEXT) | instid1(VALU_DEP_3)
	v_add_co_ci_u32_e32 v4, vcc_lo, s1, v4, vcc_lo
	v_fma_f32 v1, v16, s4, -v7
	s_delay_alu instid0(VALU_DEP_3) | instskip(NEXT) | instid1(VALU_DEP_3)
	v_add_co_u32 v3, vcc_lo, v0, v5
	v_add_co_ci_u32_e32 v4, vcc_lo, v4, v6, vcc_lo
	global_store_b64 v[3:4], v[1:2], off
.LBB206_11:
	s_nop 0
	s_sendmsg sendmsg(MSG_DEALLOC_VGPRS)
	s_endpgm
	.section	.rodata,"a",@progbits
	.p2align	6, 0x0
	.amdhsa_kernel _ZL32rocblas_syrkx_herkx_small_kernelIi19rocblas_complex_numIfELi16ELb1ELb0ELc78ELc76EKS1_S1_EviT_T0_PT6_S3_lS6_S3_lS4_PT7_S3_li
		.amdhsa_group_segment_fixed_size 4096
		.amdhsa_private_segment_fixed_size 0
		.amdhsa_kernarg_size 100
		.amdhsa_user_sgpr_count 13
		.amdhsa_user_sgpr_dispatch_ptr 0
		.amdhsa_user_sgpr_queue_ptr 0
		.amdhsa_user_sgpr_kernarg_segment_ptr 1
		.amdhsa_user_sgpr_dispatch_id 0
		.amdhsa_user_sgpr_private_segment_size 0
		.amdhsa_wavefront_size32 1
		.amdhsa_uses_dynamic_stack 0
		.amdhsa_enable_private_segment 0
		.amdhsa_system_sgpr_workgroup_id_x 1
		.amdhsa_system_sgpr_workgroup_id_y 1
		.amdhsa_system_sgpr_workgroup_id_z 1
		.amdhsa_system_sgpr_workgroup_info 0
		.amdhsa_system_vgpr_workitem_id 1
		.amdhsa_next_free_vgpr 69
		.amdhsa_next_free_sgpr 23
		.amdhsa_reserve_vcc 1
		.amdhsa_float_round_mode_32 0
		.amdhsa_float_round_mode_16_64 0
		.amdhsa_float_denorm_mode_32 3
		.amdhsa_float_denorm_mode_16_64 3
		.amdhsa_dx10_clamp 1
		.amdhsa_ieee_mode 1
		.amdhsa_fp16_overflow 0
		.amdhsa_workgroup_processor_mode 1
		.amdhsa_memory_ordered 1
		.amdhsa_forward_progress 0
		.amdhsa_shared_vgpr_count 0
		.amdhsa_exception_fp_ieee_invalid_op 0
		.amdhsa_exception_fp_denorm_src 0
		.amdhsa_exception_fp_ieee_div_zero 0
		.amdhsa_exception_fp_ieee_overflow 0
		.amdhsa_exception_fp_ieee_underflow 0
		.amdhsa_exception_fp_ieee_inexact 0
		.amdhsa_exception_int_div_zero 0
	.end_amdhsa_kernel
	.section	.text._ZL32rocblas_syrkx_herkx_small_kernelIi19rocblas_complex_numIfELi16ELb1ELb0ELc78ELc76EKS1_S1_EviT_T0_PT6_S3_lS6_S3_lS4_PT7_S3_li,"axG",@progbits,_ZL32rocblas_syrkx_herkx_small_kernelIi19rocblas_complex_numIfELi16ELb1ELb0ELc78ELc76EKS1_S1_EviT_T0_PT6_S3_lS6_S3_lS4_PT7_S3_li,comdat
.Lfunc_end206:
	.size	_ZL32rocblas_syrkx_herkx_small_kernelIi19rocblas_complex_numIfELi16ELb1ELb0ELc78ELc76EKS1_S1_EviT_T0_PT6_S3_lS6_S3_lS4_PT7_S3_li, .Lfunc_end206-_ZL32rocblas_syrkx_herkx_small_kernelIi19rocblas_complex_numIfELi16ELb1ELb0ELc78ELc76EKS1_S1_EviT_T0_PT6_S3_lS6_S3_lS4_PT7_S3_li
                                        ; -- End function
	.section	.AMDGPU.csdata,"",@progbits
; Kernel info:
; codeLenInByte = 1516
; NumSgprs: 25
; NumVgprs: 69
; ScratchSize: 0
; MemoryBound: 1
; FloatMode: 240
; IeeeMode: 1
; LDSByteSize: 4096 bytes/workgroup (compile time only)
; SGPRBlocks: 3
; VGPRBlocks: 8
; NumSGPRsForWavesPerEU: 25
; NumVGPRsForWavesPerEU: 69
; Occupancy: 16
; WaveLimiterHint : 0
; COMPUTE_PGM_RSRC2:SCRATCH_EN: 0
; COMPUTE_PGM_RSRC2:USER_SGPR: 13
; COMPUTE_PGM_RSRC2:TRAP_HANDLER: 0
; COMPUTE_PGM_RSRC2:TGID_X_EN: 1
; COMPUTE_PGM_RSRC2:TGID_Y_EN: 1
; COMPUTE_PGM_RSRC2:TGID_Z_EN: 1
; COMPUTE_PGM_RSRC2:TIDIG_COMP_CNT: 1
	.section	.text._ZL32rocblas_syrkx_herkx_small_kernelIi19rocblas_complex_numIfELi16ELb1ELb0ELc84ELc85EKS1_S1_EviT_T0_PT6_S3_lS6_S3_lS4_PT7_S3_li,"axG",@progbits,_ZL32rocblas_syrkx_herkx_small_kernelIi19rocblas_complex_numIfELi16ELb1ELb0ELc84ELc85EKS1_S1_EviT_T0_PT6_S3_lS6_S3_lS4_PT7_S3_li,comdat
	.globl	_ZL32rocblas_syrkx_herkx_small_kernelIi19rocblas_complex_numIfELi16ELb1ELb0ELc84ELc85EKS1_S1_EviT_T0_PT6_S3_lS6_S3_lS4_PT7_S3_li ; -- Begin function _ZL32rocblas_syrkx_herkx_small_kernelIi19rocblas_complex_numIfELi16ELb1ELb0ELc84ELc85EKS1_S1_EviT_T0_PT6_S3_lS6_S3_lS4_PT7_S3_li
	.p2align	8
	.type	_ZL32rocblas_syrkx_herkx_small_kernelIi19rocblas_complex_numIfELi16ELb1ELb0ELc84ELc85EKS1_S1_EviT_T0_PT6_S3_lS6_S3_lS4_PT7_S3_li,@function
_ZL32rocblas_syrkx_herkx_small_kernelIi19rocblas_complex_numIfELi16ELb1ELb0ELc84ELc85EKS1_S1_EviT_T0_PT6_S3_lS6_S3_lS4_PT7_S3_li: ; @_ZL32rocblas_syrkx_herkx_small_kernelIi19rocblas_complex_numIfELi16ELb1ELb0ELc84ELc85EKS1_S1_EviT_T0_PT6_S3_lS6_S3_lS4_PT7_S3_li
; %bb.0:
	s_clause 0x1
	s_load_b64 s[16:17], s[0:1], 0x0
	s_load_b128 s[4:7], s[0:1], 0x8
	v_bfe_u32 v8, v0, 10, 10
	v_dual_mov_b32 v14, 0 :: v_dual_and_b32 v9, 0x3ff, v0
	v_mov_b32_e32 v15, 0
	s_mov_b32 s12, 0
	s_delay_alu instid0(VALU_DEP_3) | instskip(NEXT) | instid1(VALU_DEP_3)
	v_lshl_add_u32 v7, s14, 4, v8
	v_lshl_add_u32 v0, s13, 4, v9
	s_waitcnt lgkmcnt(0)
	s_delay_alu instid0(VALU_DEP_2)
	v_cmp_gt_i32_e32 vcc_lo, s16, v7
	s_cmp_lt_i32 s17, 1
	s_cbranch_scc1 .LBB207_11
; %bb.1:
	s_clause 0x3
	s_load_b32 s3, s[0:1], 0x30
	s_load_b64 s[18:19], s[0:1], 0x38
	s_load_b32 s13, s[0:1], 0x18
	s_load_b128 s[8:11], s[0:1], 0x20
	v_dual_mov_b32 v14, 0 :: v_dual_lshlrev_b32 v1, 7, v8
	v_lshlrev_b32_e32 v10, 3, v9
	v_lshlrev_b32_e32 v5, 3, v8
	v_cmp_gt_i32_e64 s2, s16, v0
	s_delay_alu instid0(VALU_DEP_4) | instskip(NEXT) | instid1(VALU_DEP_4)
	v_add_nc_u32_e32 v11, 0x800, v1
	v_dual_mov_b32 v15, 0 :: v_dual_add_nc_u32 v12, v10, v1
	s_delay_alu instid0(VALU_DEP_3)
	s_xor_b32 s2, s2, -1
	s_waitcnt lgkmcnt(0)
	v_mad_i64_i32 v[1:2], null, s3, v7, 0
	v_mad_i64_i32 v[3:4], null, s13, v0, 0
	s_mul_i32 s3, s19, s15
	s_mul_hi_u32 s14, s18, s15
	s_mul_i32 s18, s18, s15
	s_add_i32 s19, s14, s3
	s_delay_alu instid0(VALU_DEP_2)
	v_lshlrev_b64 v[1:2], 3, v[1:2]
	s_mul_i32 s9, s9, s15
	s_mul_hi_u32 s13, s8, s15
	v_lshlrev_b64 v[3:4], 3, v[3:4]
	s_lshl_b64 s[18:19], s[18:19], 3
	s_mul_i32 s8, s8, s15
	s_add_i32 s9, s13, s9
	v_add_co_u32 v1, s3, v1, s18
	s_lshl_b64 s[8:9], s[8:9], 3
	v_add_co_ci_u32_e64 v2, s3, s19, v2, s3
	v_add_co_u32 v3, s3, v3, s8
	s_delay_alu instid0(VALU_DEP_1) | instskip(SKIP_1) | instid1(VALU_DEP_1)
	v_add_co_ci_u32_e64 v4, s3, s9, v4, s3
	v_add_co_u32 v1, s3, v1, v10
	v_add_co_ci_u32_e64 v2, s3, 0, v2, s3
	s_delay_alu instid0(VALU_DEP_4) | instskip(NEXT) | instid1(VALU_DEP_1)
	v_add_co_u32 v3, s3, v3, v5
	v_add_co_ci_u32_e64 v4, s3, 0, v4, s3
	s_delay_alu instid0(VALU_DEP_4) | instskip(NEXT) | instid1(VALU_DEP_1)
	;; [unrolled: 3-line block ×3, first 2 shown]
	v_add_co_u32 v3, s3, s6, v3
	v_add_co_ci_u32_e64 v4, s3, s7, v4, s3
	v_mov_b32_e32 v5, 0
	v_add_nc_u32_e32 v13, v11, v10
	s_xor_b32 s3, vcc_lo, -1
	s_branch .LBB207_3
.LBB207_2:                              ;   in Loop: Header=BB207_3 Depth=1
	s_or_b32 exec_lo, exec_lo, s6
	s_waitcnt lgkmcnt(0)
	s_barrier
	buffer_gl0_inv
	ds_load_2addr_b64 v[16:19], v10 offset1:16
	ds_load_b128 v[20:23], v11
	ds_load_b128 v[24:27], v11 offset:16
	ds_load_2addr_b64 v[28:31], v10 offset0:32 offset1:48
	ds_load_2addr_b64 v[32:35], v10 offset0:64 offset1:80
	ds_load_b128 v[36:39], v11 offset:32
	ds_load_b128 v[40:43], v11 offset:48
	ds_load_2addr_b64 v[44:47], v10 offset0:96 offset1:112
	ds_load_2addr_b64 v[48:51], v10 offset0:128 offset1:144
	ds_load_2addr_b64 v[52:55], v10 offset0:160 offset1:176
	ds_load_b128 v[56:59], v11 offset:64
	ds_load_b128 v[60:63], v11 offset:80
	v_add_co_u32 v1, vcc_lo, 0x80, v1
	v_add_co_ci_u32_e32 v2, vcc_lo, 0, v2, vcc_lo
	v_add_co_u32 v3, vcc_lo, 0x80, v3
	v_add_co_ci_u32_e32 v4, vcc_lo, 0, v4, vcc_lo
	s_add_i32 s12, s12, 16
	s_waitcnt lgkmcnt(10)
	v_mul_f32_e32 v6, v21, v17
	v_dual_mul_f32 v17, v20, v17 :: v_dual_mul_f32 v64, v23, v19
	v_mul_f32_e32 v19, v22, v19
	s_waitcnt lgkmcnt(8)
	v_dual_mul_f32 v65, v25, v29 :: v_dual_mul_f32 v66, v27, v31
	v_fma_f32 v6, v20, v16, -v6
	s_waitcnt lgkmcnt(6)
	v_mul_f32_e32 v67, v37, v33
	v_mul_f32_e32 v33, v36, v33
	v_dual_mul_f32 v29, v24, v29 :: v_dual_mul_f32 v20, v39, v35
	v_dual_add_f32 v6, v14, v6 :: v_dual_fmac_f32 v17, v21, v16
	v_fma_f32 v21, v22, v18, -v64
	s_waitcnt lgkmcnt(4)
	v_dual_fmac_f32 v19, v23, v18 :: v_dual_mul_f32 v18, v40, v45
	v_mul_f32_e32 v16, v38, v35
	v_fma_f32 v20, v38, v34, -v20
	v_add_f32_e32 v6, v6, v21
	v_dual_mul_f32 v31, v26, v31 :: v_dual_add_f32 v14, v15, v17
	v_fma_f32 v17, v24, v28, -v65
	v_mul_f32_e32 v15, v41, v45
	v_fmac_f32_e32 v29, v25, v28
	v_fma_f32 v21, v36, v32, -v67
	v_add_f32_e32 v14, v14, v19
	v_add_f32_e32 v6, v6, v17
	v_fma_f32 v19, v26, v30, -v66
	v_fmac_f32_e32 v31, v27, v30
	s_delay_alu instid0(VALU_DEP_4) | instskip(SKIP_1) | instid1(VALU_DEP_4)
	v_dual_fmac_f32 v33, v37, v32 :: v_dual_add_f32 v14, v14, v29
	v_fmac_f32_e32 v16, v39, v34
	v_add_f32_e32 v6, v6, v19
	v_mul_f32_e32 v17, v43, v47
	v_mul_f32_e32 v19, v42, v47
	v_add_f32_e32 v14, v14, v31
	v_fma_f32 v15, v40, v44, -v15
	v_add_f32_e32 v6, v6, v21
	s_waitcnt lgkmcnt(1)
	v_mul_f32_e32 v21, v57, v49
	v_dual_fmac_f32 v18, v41, v44 :: v_dual_mul_f32 v25, v58, v51
	v_dual_add_f32 v14, v14, v33 :: v_dual_fmac_f32 v19, v43, v46
	v_add_f32_e32 v6, v6, v20
	v_fma_f32 v20, v42, v46, -v17
	s_delay_alu instid0(VALU_DEP_3)
	v_dual_fmac_f32 v25, v59, v50 :: v_dual_add_f32 v14, v14, v16
	s_waitcnt lgkmcnt(0)
	v_mul_f32_e32 v33, v63, v55
	v_add_f32_e32 v6, v6, v15
	v_fma_f32 v21, v56, v48, -v21
	v_mul_f32_e32 v34, v62, v55
	v_add_f32_e32 v18, v14, v18
	v_mul_f32_e32 v22, v56, v49
	v_add_f32_e32 v6, v6, v20
	ds_load_2addr_b64 v[14:17], v10 offset0:192 offset1:208
	v_dual_fmac_f32 v34, v63, v54 :: v_dual_add_f32 v23, v18, v19
	s_cmp_ge_i32 s12, s17
	v_add_f32_e32 v6, v6, v21
	ds_load_b128 v[18:21], v11 offset:96
	v_fmac_f32_e32 v22, v57, v48
	s_delay_alu instid0(VALU_DEP_1) | instskip(NEXT) | instid1(VALU_DEP_1)
	v_add_f32_e32 v22, v23, v22
	v_dual_mul_f32 v24, v59, v51 :: v_dual_add_f32 v31, v22, v25
	s_delay_alu instid0(VALU_DEP_1) | instskip(SKIP_1) | instid1(VALU_DEP_2)
	v_fma_f32 v23, v58, v50, -v24
	v_mul_f32_e32 v24, v61, v53
	v_add_f32_e32 v6, v6, v23
	s_delay_alu instid0(VALU_DEP_2)
	v_fma_f32 v32, v60, v52, -v24
	ds_load_2addr_b64 v[22:25], v10 offset0:224 offset1:240
	ds_load_b128 v[26:29], v11 offset:112
	v_mul_f32_e32 v30, v60, v53
	s_waitcnt lgkmcnt(0)
	s_barrier
	v_add_f32_e32 v6, v6, v32
	v_mul_f32_e32 v32, v19, v15
	v_dual_fmac_f32 v30, v61, v52 :: v_dual_mul_f32 v15, v18, v15
	buffer_gl0_inv
	v_fma_f32 v18, v18, v14, -v32
	v_add_f32_e32 v30, v31, v30
	v_fma_f32 v31, v62, v54, -v33
	v_dual_fmac_f32 v15, v19, v14 :: v_dual_mul_f32 v14, v21, v17
	s_delay_alu instid0(VALU_DEP_3) | instskip(NEXT) | instid1(VALU_DEP_3)
	v_dual_mul_f32 v17, v20, v17 :: v_dual_add_f32 v30, v30, v34
	v_add_f32_e32 v6, v6, v31
	s_delay_alu instid0(VALU_DEP_3) | instskip(NEXT) | instid1(VALU_DEP_3)
	v_fma_f32 v14, v20, v16, -v14
	v_fmac_f32_e32 v17, v21, v16
	s_delay_alu instid0(VALU_DEP_4) | instskip(NEXT) | instid1(VALU_DEP_4)
	v_add_f32_e32 v15, v30, v15
	v_add_f32_e32 v6, v6, v18
	v_mul_f32_e32 v16, v27, v23
	v_mul_f32_e32 v18, v26, v23
	s_delay_alu instid0(VALU_DEP_3) | instskip(SKIP_1) | instid1(VALU_DEP_4)
	v_add_f32_e32 v6, v6, v14
	v_add_f32_e32 v14, v15, v17
	v_fma_f32 v15, v26, v22, -v16
	s_delay_alu instid0(VALU_DEP_4) | instskip(SKIP_1) | instid1(VALU_DEP_3)
	v_fmac_f32_e32 v18, v27, v22
	v_mul_f32_e32 v16, v29, v25
	v_dual_mul_f32 v17, v28, v25 :: v_dual_add_f32 v6, v6, v15
	s_delay_alu instid0(VALU_DEP_3) | instskip(NEXT) | instid1(VALU_DEP_3)
	v_add_f32_e32 v15, v14, v18
	v_fma_f32 v14, v28, v24, -v16
	s_delay_alu instid0(VALU_DEP_1) | instskip(NEXT) | instid1(VALU_DEP_1)
	v_dual_fmac_f32 v17, v29, v24 :: v_dual_add_f32 v14, v6, v14
	v_add_f32_e32 v15, v15, v17
	s_cbranch_scc1 .LBB207_11
.LBB207_3:                              ; =>This Inner Loop Header: Depth=1
	v_add_nc_u32_e32 v6, s12, v8
	s_delay_alu instid0(VALU_DEP_1) | instskip(SKIP_1) | instid1(SALU_CYCLE_1)
	v_cmp_le_i32_e32 vcc_lo, s17, v6
	s_or_b32 s6, s2, vcc_lo
	s_and_saveexec_b32 s7, s6
	s_delay_alu instid0(SALU_CYCLE_1)
	s_xor_b32 s6, exec_lo, s7
	s_cbranch_execz .LBB207_5
; %bb.4:                                ;   in Loop: Header=BB207_3 Depth=1
	v_mov_b32_e32 v6, v5
	ds_store_b64 v12, v[5:6]
.LBB207_5:                              ;   in Loop: Header=BB207_3 Depth=1
	s_and_not1_saveexec_b32 s6, s6
	s_cbranch_execz .LBB207_7
; %bb.6:                                ;   in Loop: Header=BB207_3 Depth=1
	global_load_b64 v[16:17], v[3:4], off
	s_waitcnt vmcnt(0)
	ds_store_b64 v12, v[16:17]
.LBB207_7:                              ;   in Loop: Header=BB207_3 Depth=1
	s_or_b32 exec_lo, exec_lo, s6
	v_add_nc_u32_e32 v6, s12, v9
	s_delay_alu instid0(VALU_DEP_1) | instskip(SKIP_1) | instid1(SALU_CYCLE_1)
	v_cmp_le_i32_e32 vcc_lo, s17, v6
	s_or_b32 s6, s3, vcc_lo
	s_and_saveexec_b32 s7, s6
	s_delay_alu instid0(SALU_CYCLE_1)
	s_xor_b32 s6, exec_lo, s7
	s_cbranch_execz .LBB207_9
; %bb.8:                                ;   in Loop: Header=BB207_3 Depth=1
	v_mov_b32_e32 v6, v5
	ds_store_b64 v13, v[5:6]
.LBB207_9:                              ;   in Loop: Header=BB207_3 Depth=1
	s_and_not1_saveexec_b32 s6, s6
	s_cbranch_execz .LBB207_2
; %bb.10:                               ;   in Loop: Header=BB207_3 Depth=1
	global_load_b64 v[16:17], v[1:2], off
	s_waitcnt vmcnt(0)
	ds_store_b64 v13, v[16:17]
	s_branch .LBB207_2
.LBB207_11:
	v_cmp_le_i32_e32 vcc_lo, v0, v7
	v_cmp_gt_i32_e64 s2, s16, v7
	s_delay_alu instid0(VALU_DEP_1) | instskip(NEXT) | instid1(SALU_CYCLE_1)
	s_and_b32 s2, vcc_lo, s2
	s_and_saveexec_b32 s3, s2
	s_cbranch_execz .LBB207_13
; %bb.12:
	s_clause 0x2
	s_load_b32 s6, s[0:1], 0x50
	s_load_b64 s[2:3], s[0:1], 0x58
	s_load_b64 s[0:1], s[0:1], 0x48
	v_mul_f32_e32 v5, s4, v15
	v_mul_f32_e32 v4, s5, v15
	v_ashrrev_i32_e32 v1, 31, v0
	s_delay_alu instid0(VALU_DEP_3) | instskip(NEXT) | instid1(VALU_DEP_3)
	v_fmac_f32_e32 v5, s5, v14
	v_fma_f32 v4, v14, s4, -v4
	s_delay_alu instid0(VALU_DEP_3)
	v_lshlrev_b64 v[0:1], 3, v[0:1]
	s_waitcnt lgkmcnt(0)
	v_mad_i64_i32 v[2:3], null, s6, v7, 0
	s_mul_i32 s3, s15, s3
	s_mul_hi_u32 s4, s15, s2
	s_mul_i32 s2, s15, s2
	s_add_i32 s3, s4, s3
	s_delay_alu instid0(SALU_CYCLE_1) | instskip(NEXT) | instid1(VALU_DEP_1)
	s_lshl_b64 s[2:3], s[2:3], 3
	v_lshlrev_b64 v[2:3], 3, v[2:3]
	s_add_u32 s0, s0, s2
	s_addc_u32 s1, s1, s3
	s_delay_alu instid0(VALU_DEP_1) | instskip(NEXT) | instid1(VALU_DEP_2)
	v_add_co_u32 v2, vcc_lo, s0, v2
	v_add_co_ci_u32_e32 v3, vcc_lo, s1, v3, vcc_lo
	s_delay_alu instid0(VALU_DEP_2) | instskip(NEXT) | instid1(VALU_DEP_2)
	v_add_co_u32 v0, vcc_lo, v2, v0
	v_add_co_ci_u32_e32 v1, vcc_lo, v3, v1, vcc_lo
	global_store_b64 v[0:1], v[4:5], off
.LBB207_13:
	s_nop 0
	s_sendmsg sendmsg(MSG_DEALLOC_VGPRS)
	s_endpgm
	.section	.rodata,"a",@progbits
	.p2align	6, 0x0
	.amdhsa_kernel _ZL32rocblas_syrkx_herkx_small_kernelIi19rocblas_complex_numIfELi16ELb1ELb0ELc84ELc85EKS1_S1_EviT_T0_PT6_S3_lS6_S3_lS4_PT7_S3_li
		.amdhsa_group_segment_fixed_size 4096
		.amdhsa_private_segment_fixed_size 0
		.amdhsa_kernarg_size 100
		.amdhsa_user_sgpr_count 13
		.amdhsa_user_sgpr_dispatch_ptr 0
		.amdhsa_user_sgpr_queue_ptr 0
		.amdhsa_user_sgpr_kernarg_segment_ptr 1
		.amdhsa_user_sgpr_dispatch_id 0
		.amdhsa_user_sgpr_private_segment_size 0
		.amdhsa_wavefront_size32 1
		.amdhsa_uses_dynamic_stack 0
		.amdhsa_enable_private_segment 0
		.amdhsa_system_sgpr_workgroup_id_x 1
		.amdhsa_system_sgpr_workgroup_id_y 1
		.amdhsa_system_sgpr_workgroup_id_z 1
		.amdhsa_system_sgpr_workgroup_info 0
		.amdhsa_system_vgpr_workitem_id 1
		.amdhsa_next_free_vgpr 68
		.amdhsa_next_free_sgpr 20
		.amdhsa_reserve_vcc 1
		.amdhsa_float_round_mode_32 0
		.amdhsa_float_round_mode_16_64 0
		.amdhsa_float_denorm_mode_32 3
		.amdhsa_float_denorm_mode_16_64 3
		.amdhsa_dx10_clamp 1
		.amdhsa_ieee_mode 1
		.amdhsa_fp16_overflow 0
		.amdhsa_workgroup_processor_mode 1
		.amdhsa_memory_ordered 1
		.amdhsa_forward_progress 0
		.amdhsa_shared_vgpr_count 0
		.amdhsa_exception_fp_ieee_invalid_op 0
		.amdhsa_exception_fp_denorm_src 0
		.amdhsa_exception_fp_ieee_div_zero 0
		.amdhsa_exception_fp_ieee_overflow 0
		.amdhsa_exception_fp_ieee_underflow 0
		.amdhsa_exception_fp_ieee_inexact 0
		.amdhsa_exception_int_div_zero 0
	.end_amdhsa_kernel
	.section	.text._ZL32rocblas_syrkx_herkx_small_kernelIi19rocblas_complex_numIfELi16ELb1ELb0ELc84ELc85EKS1_S1_EviT_T0_PT6_S3_lS6_S3_lS4_PT7_S3_li,"axG",@progbits,_ZL32rocblas_syrkx_herkx_small_kernelIi19rocblas_complex_numIfELi16ELb1ELb0ELc84ELc85EKS1_S1_EviT_T0_PT6_S3_lS6_S3_lS4_PT7_S3_li,comdat
.Lfunc_end207:
	.size	_ZL32rocblas_syrkx_herkx_small_kernelIi19rocblas_complex_numIfELi16ELb1ELb0ELc84ELc85EKS1_S1_EviT_T0_PT6_S3_lS6_S3_lS4_PT7_S3_li, .Lfunc_end207-_ZL32rocblas_syrkx_herkx_small_kernelIi19rocblas_complex_numIfELi16ELb1ELb0ELc84ELc85EKS1_S1_EviT_T0_PT6_S3_lS6_S3_lS4_PT7_S3_li
                                        ; -- End function
	.section	.AMDGPU.csdata,"",@progbits
; Kernel info:
; codeLenInByte = 1464
; NumSgprs: 22
; NumVgprs: 68
; ScratchSize: 0
; MemoryBound: 1
; FloatMode: 240
; IeeeMode: 1
; LDSByteSize: 4096 bytes/workgroup (compile time only)
; SGPRBlocks: 2
; VGPRBlocks: 8
; NumSGPRsForWavesPerEU: 22
; NumVGPRsForWavesPerEU: 68
; Occupancy: 16
; WaveLimiterHint : 0
; COMPUTE_PGM_RSRC2:SCRATCH_EN: 0
; COMPUTE_PGM_RSRC2:USER_SGPR: 13
; COMPUTE_PGM_RSRC2:TRAP_HANDLER: 0
; COMPUTE_PGM_RSRC2:TGID_X_EN: 1
; COMPUTE_PGM_RSRC2:TGID_Y_EN: 1
; COMPUTE_PGM_RSRC2:TGID_Z_EN: 1
; COMPUTE_PGM_RSRC2:TIDIG_COMP_CNT: 1
	.section	.text._ZL32rocblas_syrkx_herkx_small_kernelIi19rocblas_complex_numIfELi16ELb1ELb0ELc67ELc85EKS1_S1_EviT_T0_PT6_S3_lS6_S3_lS4_PT7_S3_li,"axG",@progbits,_ZL32rocblas_syrkx_herkx_small_kernelIi19rocblas_complex_numIfELi16ELb1ELb0ELc67ELc85EKS1_S1_EviT_T0_PT6_S3_lS6_S3_lS4_PT7_S3_li,comdat
	.globl	_ZL32rocblas_syrkx_herkx_small_kernelIi19rocblas_complex_numIfELi16ELb1ELb0ELc67ELc85EKS1_S1_EviT_T0_PT6_S3_lS6_S3_lS4_PT7_S3_li ; -- Begin function _ZL32rocblas_syrkx_herkx_small_kernelIi19rocblas_complex_numIfELi16ELb1ELb0ELc67ELc85EKS1_S1_EviT_T0_PT6_S3_lS6_S3_lS4_PT7_S3_li
	.p2align	8
	.type	_ZL32rocblas_syrkx_herkx_small_kernelIi19rocblas_complex_numIfELi16ELb1ELb0ELc67ELc85EKS1_S1_EviT_T0_PT6_S3_lS6_S3_lS4_PT7_S3_li,@function
_ZL32rocblas_syrkx_herkx_small_kernelIi19rocblas_complex_numIfELi16ELb1ELb0ELc67ELc85EKS1_S1_EviT_T0_PT6_S3_lS6_S3_lS4_PT7_S3_li: ; @_ZL32rocblas_syrkx_herkx_small_kernelIi19rocblas_complex_numIfELi16ELb1ELb0ELc67ELc85EKS1_S1_EviT_T0_PT6_S3_lS6_S3_lS4_PT7_S3_li
; %bb.0:
	s_clause 0x1
	s_load_b64 s[16:17], s[0:1], 0x0
	s_load_b128 s[4:7], s[0:1], 0x8
	v_bfe_u32 v9, v0, 10, 10
	v_dual_mov_b32 v15, 0 :: v_dual_and_b32 v10, 0x3ff, v0
	v_mov_b32_e32 v16, 0
	s_mov_b32 s12, 0
	s_delay_alu instid0(VALU_DEP_3) | instskip(NEXT) | instid1(VALU_DEP_3)
	v_lshl_add_u32 v8, s14, 4, v9
	v_lshl_add_u32 v0, s13, 4, v10
	s_waitcnt lgkmcnt(0)
	s_delay_alu instid0(VALU_DEP_2)
	v_cmp_gt_i32_e64 s2, s16, v8
	s_cmp_lt_i32 s17, 1
	s_cbranch_scc1 .LBB208_9
; %bb.1:
	s_clause 0x3
	s_load_b32 s3, s[0:1], 0x30
	s_load_b32 s13, s[0:1], 0x18
	s_load_b64 s[18:19], s[0:1], 0x38
	s_load_b128 s[8:11], s[0:1], 0x20
	v_dual_mov_b32 v16, 0 :: v_dual_lshlrev_b32 v1, 7, v9
	v_lshlrev_b32_e32 v11, 3, v10
	v_lshlrev_b32_e32 v5, 3, v9
	v_cmp_gt_i32_e32 vcc_lo, s16, v0
	s_delay_alu instid0(VALU_DEP_4) | instskip(NEXT) | instid1(VALU_DEP_4)
	v_dual_mov_b32 v15, 0 :: v_dual_add_nc_u32 v12, 0x800, v1
	v_add_nc_u32_e32 v13, v11, v1
	s_waitcnt lgkmcnt(0)
	v_mad_i64_i32 v[1:2], null, s3, v8, 0
	v_mad_i64_i32 v[3:4], null, s13, v0, 0
	s_mul_i32 s9, s9, s15
	s_mul_hi_u32 s14, s8, s15
	s_mul_i32 s8, s8, s15
	s_add_i32 s9, s14, s9
	s_mul_i32 s3, s19, s15
	s_mul_hi_u32 s13, s18, s15
	s_delay_alu instid0(VALU_DEP_1) | instskip(SKIP_4) | instid1(VALU_DEP_2)
	v_lshlrev_b64 v[3:4], 3, v[3:4]
	v_lshlrev_b64 v[1:2], 3, v[1:2]
	s_lshl_b64 s[8:9], s[8:9], 3
	s_mul_i32 s18, s18, s15
	s_add_i32 s19, s13, s3
	v_add_co_u32 v3, s3, v3, s8
	s_lshl_b64 s[18:19], s[18:19], 3
	v_add_co_ci_u32_e64 v4, s3, s9, v4, s3
	v_add_co_u32 v1, s3, v1, s18
	s_delay_alu instid0(VALU_DEP_1) | instskip(SKIP_4) | instid1(VALU_DEP_1)
	v_add_co_ci_u32_e64 v2, s3, s19, v2, s3
	v_add_co_u32 v3, s3, v3, v5
	v_mov_b32_e32 v5, 0
	v_add_co_ci_u32_e64 v4, s3, 0, v4, s3
	v_add_co_u32 v1, s3, v1, v11
	v_add_co_ci_u32_e64 v2, s3, 0, v2, s3
	v_add_co_u32 v3, s3, v3, s6
	s_delay_alu instid0(VALU_DEP_1) | instskip(NEXT) | instid1(VALU_DEP_4)
	v_add_co_ci_u32_e64 v4, s3, s7, v4, s3
	v_add_co_u32 v1, s3, s10, v1
	s_delay_alu instid0(VALU_DEP_1) | instskip(NEXT) | instid1(VALU_DEP_4)
	v_add_co_ci_u32_e64 v2, s3, s11, v2, s3
	v_add_co_u32 v3, s3, v3, 4
	v_add_nc_u32_e32 v14, v12, v11
	v_add_co_ci_u32_e64 v4, s3, 0, v4, s3
	s_xor_b32 s3, s2, -1
	s_branch .LBB208_3
.LBB208_2:                              ;   in Loop: Header=BB208_3 Depth=1
	s_or_b32 exec_lo, exec_lo, s2
	s_waitcnt lgkmcnt(0)
	s_barrier
	buffer_gl0_inv
	ds_load_2addr_b64 v[17:20], v11 offset1:16
	ds_load_b128 v[21:24], v12
	ds_load_b128 v[25:28], v12 offset:16
	ds_load_2addr_b64 v[29:32], v11 offset0:32 offset1:48
	ds_load_2addr_b64 v[33:36], v11 offset0:64 offset1:80
	ds_load_b128 v[37:40], v12 offset:32
	ds_load_b128 v[41:44], v12 offset:48
	ds_load_2addr_b64 v[45:48], v11 offset0:96 offset1:112
	ds_load_2addr_b64 v[49:52], v11 offset0:128 offset1:144
	;; [unrolled: 1-line block ×3, first 2 shown]
	ds_load_b128 v[57:60], v12 offset:64
	ds_load_b128 v[61:64], v12 offset:80
	v_add_co_u32 v1, s2, 0x80, v1
	s_delay_alu instid0(VALU_DEP_1) | instskip(SKIP_1) | instid1(VALU_DEP_1)
	v_add_co_ci_u32_e64 v2, s2, 0, v2, s2
	v_add_co_u32 v3, s2, 0x80, v3
	v_add_co_ci_u32_e64 v4, s2, 0, v4, s2
	s_add_i32 s12, s12, 16
	s_waitcnt lgkmcnt(10)
	v_mul_f32_e32 v6, v22, v18
	v_dual_mul_f32 v7, v21, v18 :: v_dual_mul_f32 v18, v24, v20
	s_waitcnt lgkmcnt(8)
	v_dual_mul_f32 v20, v23, v20 :: v_dual_mul_f32 v65, v26, v30
	s_delay_alu instid0(VALU_DEP_2) | instskip(SKIP_3) | instid1(VALU_DEP_3)
	v_dual_mul_f32 v30, v25, v30 :: v_dual_fmac_f32 v7, v22, v17
	v_fma_f32 v6, v21, v17, -v6
	s_waitcnt lgkmcnt(6)
	v_dual_mul_f32 v66, v28, v32 :: v_dual_mul_f32 v67, v38, v34
	v_dual_mul_f32 v32, v27, v32 :: v_dual_add_f32 v7, v16, v7
	v_dual_mul_f32 v34, v37, v34 :: v_dual_mul_f32 v17, v39, v36
	v_fma_f32 v18, v23, v19, -v18
	v_add_f32_e32 v6, v15, v6
	s_waitcnt lgkmcnt(4)
	v_dual_fmac_f32 v20, v24, v19 :: v_dual_mul_f32 v15, v42, v46
	v_fma_f32 v16, v25, v29, -v65
	v_fmac_f32_e32 v34, v38, v33
	v_fmac_f32_e32 v32, v28, v31
	s_delay_alu instid0(VALU_DEP_4) | instskip(SKIP_3) | instid1(VALU_DEP_4)
	v_dual_fmac_f32 v30, v26, v29 :: v_dual_add_f32 v7, v7, v20
	v_dual_fmac_f32 v17, v40, v35 :: v_dual_add_f32 v6, v6, v18
	v_fma_f32 v19, v27, v31, -v66
	v_mul_f32_e32 v18, v41, v46
	v_add_f32_e32 v7, v7, v30
	v_mul_f32_e32 v21, v40, v36
	v_add_f32_e32 v6, v6, v16
	v_fma_f32 v20, v37, v33, -v67
	s_waitcnt lgkmcnt(1)
	v_mul_f32_e32 v23, v57, v50
	v_add_f32_e32 v7, v7, v32
	v_fma_f32 v21, v39, v35, -v21
	v_dual_add_f32 v6, v6, v19 :: v_dual_mul_f32 v19, v43, v48
	s_delay_alu instid0(VALU_DEP_4) | instskip(SKIP_2) | instid1(VALU_DEP_4)
	v_dual_fmac_f32 v23, v58, v49 :: v_dual_mul_f32 v24, v60, v52
	v_fmac_f32_e32 v18, v42, v45
	v_fma_f32 v15, v41, v45, -v15
	v_fmac_f32_e32 v19, v44, v47
	v_dual_add_f32 v7, v7, v34 :: v_dual_mul_f32 v16, v44, v48
	v_mul_f32_e32 v25, v59, v52
	s_waitcnt lgkmcnt(0)
	v_mul_f32_e32 v31, v61, v54
	s_cmp_ge_i32 s12, s17
	v_dual_add_f32 v7, v7, v17 :: v_dual_add_f32 v6, v6, v20
	v_fmac_f32_e32 v25, v60, v51
	s_delay_alu instid0(VALU_DEP_3) | instskip(NEXT) | instid1(VALU_DEP_3)
	v_dual_fmac_f32 v31, v62, v53 :: v_dual_mul_f32 v34, v63, v56
	v_dual_add_f32 v7, v7, v18 :: v_dual_add_f32 v6, v6, v21
	v_mul_f32_e32 v20, v58, v50
	v_fma_f32 v21, v43, v47, -v16
	v_mul_f32_e32 v33, v64, v56
	s_delay_alu instid0(VALU_DEP_4)
	v_add_f32_e32 v7, v7, v19
	v_add_f32_e32 v6, v6, v15
	v_fma_f32 v20, v57, v49, -v20
	ds_load_2addr_b64 v[15:18], v11 offset0:192 offset1:208
	v_dual_add_f32 v7, v7, v23 :: v_dual_add_f32 v6, v6, v21
	v_fma_f32 v23, v59, v51, -v24
	s_delay_alu instid0(VALU_DEP_2) | instskip(NEXT) | instid1(VALU_DEP_3)
	v_dual_mul_f32 v24, v62, v54 :: v_dual_add_f32 v7, v7, v25
	v_add_f32_e32 v6, v6, v20
	ds_load_b128 v[19:22], v12 offset:96
	v_fma_f32 v32, v61, v53, -v24
	v_fmac_f32_e32 v34, v64, v55
	v_add_f32_e32 v7, v7, v31
	v_add_f32_e32 v6, v6, v23
	ds_load_2addr_b64 v[23:26], v11 offset0:224 offset1:240
	ds_load_b128 v[27:30], v12 offset:112
	v_fma_f32 v31, v63, v55, -v33
	s_waitcnt lgkmcnt(0)
	v_dual_add_f32 v7, v7, v34 :: v_dual_add_f32 v6, v6, v32
	s_barrier
	buffer_gl0_inv
	v_mul_f32_e32 v32, v20, v16
	v_mul_f32_e32 v16, v19, v16
	s_delay_alu instid0(VALU_DEP_2) | instskip(NEXT) | instid1(VALU_DEP_2)
	v_fma_f32 v19, v19, v15, -v32
	v_dual_fmac_f32 v16, v20, v15 :: v_dual_mul_f32 v15, v22, v18
	s_delay_alu instid0(VALU_DEP_1) | instskip(NEXT) | instid1(VALU_DEP_2)
	v_dual_mul_f32 v18, v21, v18 :: v_dual_add_f32 v7, v7, v16
	v_fma_f32 v15, v21, v17, -v15
	s_delay_alu instid0(VALU_DEP_2) | instskip(SKIP_2) | instid1(VALU_DEP_3)
	v_fmac_f32_e32 v18, v22, v17
	v_mul_f32_e32 v16, v28, v24
	v_mul_f32_e32 v17, v27, v24
	v_dual_add_f32 v7, v7, v18 :: v_dual_add_f32 v6, v6, v31
	s_delay_alu instid0(VALU_DEP_2) | instskip(NEXT) | instid1(VALU_DEP_1)
	v_dual_fmac_f32 v17, v28, v23 :: v_dual_mul_f32 v18, v29, v26
	v_dual_add_f32 v6, v6, v19 :: v_dual_add_f32 v7, v7, v17
	s_delay_alu instid0(VALU_DEP_2) | instskip(NEXT) | instid1(VALU_DEP_2)
	v_fmac_f32_e32 v18, v30, v25
	v_add_f32_e32 v6, v6, v15
	v_fma_f32 v15, v27, v23, -v16
	v_mul_f32_e32 v16, v30, v26
	s_delay_alu instid0(VALU_DEP_2) | instskip(NEXT) | instid1(VALU_DEP_2)
	v_add_f32_e32 v6, v6, v15
	v_fma_f32 v15, v29, v25, -v16
	s_delay_alu instid0(VALU_DEP_1)
	v_dual_add_f32 v16, v7, v18 :: v_dual_add_f32 v15, v6, v15
	s_cbranch_scc1 .LBB208_9
.LBB208_3:                              ; =>This Inner Loop Header: Depth=1
	v_dual_mov_b32 v7, 0 :: v_dual_add_nc_u32 v6, s12, v9
	s_delay_alu instid0(VALU_DEP_1) | instskip(SKIP_1) | instid1(VALU_DEP_2)
	v_cmp_gt_i32_e64 s2, s17, v6
	v_mov_b32_e32 v6, 0
	s_and_b32 s6, vcc_lo, s2
	s_delay_alu instid0(SALU_CYCLE_1)
	s_and_saveexec_b32 s2, s6
	s_cbranch_execz .LBB208_5
; %bb.4:                                ;   in Loop: Header=BB208_3 Depth=1
	global_load_b64 v[6:7], v[3:4], off offset:-4
.LBB208_5:                              ;   in Loop: Header=BB208_3 Depth=1
	s_or_b32 exec_lo, exec_lo, s2
	v_add_nc_u32_e32 v17, s12, v10
	s_waitcnt vmcnt(0)
	ds_store_b64 v13, v[6:7]
	v_cmp_le_i32_e64 s2, s17, v17
	s_delay_alu instid0(VALU_DEP_1) | instskip(NEXT) | instid1(SALU_CYCLE_1)
	s_or_b32 s2, s3, s2
	s_and_saveexec_b32 s6, s2
	s_delay_alu instid0(SALU_CYCLE_1)
	s_xor_b32 s2, exec_lo, s6
	s_cbranch_execz .LBB208_7
; %bb.6:                                ;   in Loop: Header=BB208_3 Depth=1
	v_mov_b32_e32 v6, v5
	ds_store_b64 v14, v[5:6]
.LBB208_7:                              ;   in Loop: Header=BB208_3 Depth=1
	s_and_not1_saveexec_b32 s2, s2
	s_cbranch_execz .LBB208_2
; %bb.8:                                ;   in Loop: Header=BB208_3 Depth=1
	global_load_b64 v[6:7], v[1:2], off
	s_waitcnt vmcnt(0)
	ds_store_b64 v14, v[6:7]
	s_branch .LBB208_2
.LBB208_9:
	v_cmp_le_i32_e32 vcc_lo, v0, v8
	v_cmp_gt_i32_e64 s2, s16, v8
	s_delay_alu instid0(VALU_DEP_1) | instskip(NEXT) | instid1(SALU_CYCLE_1)
	s_and_b32 s2, vcc_lo, s2
	s_and_saveexec_b32 s3, s2
	s_cbranch_execz .LBB208_11
; %bb.10:
	s_clause 0x2
	s_load_b32 s6, s[0:1], 0x50
	s_load_b64 s[2:3], s[0:1], 0x58
	s_load_b64 s[0:1], s[0:1], 0x48
	v_mul_f32_e32 v5, s4, v16
	v_mul_f32_e32 v4, s5, v16
	v_ashrrev_i32_e32 v1, 31, v0
	s_delay_alu instid0(VALU_DEP_3) | instskip(NEXT) | instid1(VALU_DEP_3)
	v_fmac_f32_e32 v5, s5, v15
	v_fma_f32 v4, v15, s4, -v4
	s_delay_alu instid0(VALU_DEP_3)
	v_lshlrev_b64 v[0:1], 3, v[0:1]
	s_waitcnt lgkmcnt(0)
	v_mad_i64_i32 v[2:3], null, s6, v8, 0
	s_mul_i32 s3, s15, s3
	s_mul_hi_u32 s4, s15, s2
	s_mul_i32 s2, s15, s2
	s_add_i32 s3, s4, s3
	s_delay_alu instid0(SALU_CYCLE_1) | instskip(NEXT) | instid1(VALU_DEP_1)
	s_lshl_b64 s[2:3], s[2:3], 3
	v_lshlrev_b64 v[2:3], 3, v[2:3]
	s_add_u32 s0, s0, s2
	s_addc_u32 s1, s1, s3
	s_delay_alu instid0(VALU_DEP_1) | instskip(NEXT) | instid1(VALU_DEP_2)
	v_add_co_u32 v2, vcc_lo, s0, v2
	v_add_co_ci_u32_e32 v3, vcc_lo, s1, v3, vcc_lo
	s_delay_alu instid0(VALU_DEP_2) | instskip(NEXT) | instid1(VALU_DEP_2)
	v_add_co_u32 v0, vcc_lo, v2, v0
	v_add_co_ci_u32_e32 v1, vcc_lo, v3, v1, vcc_lo
	global_store_b64 v[0:1], v[4:5], off
.LBB208_11:
	s_nop 0
	s_sendmsg sendmsg(MSG_DEALLOC_VGPRS)
	s_endpgm
	.section	.rodata,"a",@progbits
	.p2align	6, 0x0
	.amdhsa_kernel _ZL32rocblas_syrkx_herkx_small_kernelIi19rocblas_complex_numIfELi16ELb1ELb0ELc67ELc85EKS1_S1_EviT_T0_PT6_S3_lS6_S3_lS4_PT7_S3_li
		.amdhsa_group_segment_fixed_size 4096
		.amdhsa_private_segment_fixed_size 0
		.amdhsa_kernarg_size 100
		.amdhsa_user_sgpr_count 13
		.amdhsa_user_sgpr_dispatch_ptr 0
		.amdhsa_user_sgpr_queue_ptr 0
		.amdhsa_user_sgpr_kernarg_segment_ptr 1
		.amdhsa_user_sgpr_dispatch_id 0
		.amdhsa_user_sgpr_private_segment_size 0
		.amdhsa_wavefront_size32 1
		.amdhsa_uses_dynamic_stack 0
		.amdhsa_enable_private_segment 0
		.amdhsa_system_sgpr_workgroup_id_x 1
		.amdhsa_system_sgpr_workgroup_id_y 1
		.amdhsa_system_sgpr_workgroup_id_z 1
		.amdhsa_system_sgpr_workgroup_info 0
		.amdhsa_system_vgpr_workitem_id 1
		.amdhsa_next_free_vgpr 68
		.amdhsa_next_free_sgpr 20
		.amdhsa_reserve_vcc 1
		.amdhsa_float_round_mode_32 0
		.amdhsa_float_round_mode_16_64 0
		.amdhsa_float_denorm_mode_32 3
		.amdhsa_float_denorm_mode_16_64 3
		.amdhsa_dx10_clamp 1
		.amdhsa_ieee_mode 1
		.amdhsa_fp16_overflow 0
		.amdhsa_workgroup_processor_mode 1
		.amdhsa_memory_ordered 1
		.amdhsa_forward_progress 0
		.amdhsa_shared_vgpr_count 0
		.amdhsa_exception_fp_ieee_invalid_op 0
		.amdhsa_exception_fp_denorm_src 0
		.amdhsa_exception_fp_ieee_div_zero 0
		.amdhsa_exception_fp_ieee_overflow 0
		.amdhsa_exception_fp_ieee_underflow 0
		.amdhsa_exception_fp_ieee_inexact 0
		.amdhsa_exception_int_div_zero 0
	.end_amdhsa_kernel
	.section	.text._ZL32rocblas_syrkx_herkx_small_kernelIi19rocblas_complex_numIfELi16ELb1ELb0ELc67ELc85EKS1_S1_EviT_T0_PT6_S3_lS6_S3_lS4_PT7_S3_li,"axG",@progbits,_ZL32rocblas_syrkx_herkx_small_kernelIi19rocblas_complex_numIfELi16ELb1ELb0ELc67ELc85EKS1_S1_EviT_T0_PT6_S3_lS6_S3_lS4_PT7_S3_li,comdat
.Lfunc_end208:
	.size	_ZL32rocblas_syrkx_herkx_small_kernelIi19rocblas_complex_numIfELi16ELb1ELb0ELc67ELc85EKS1_S1_EviT_T0_PT6_S3_lS6_S3_lS4_PT7_S3_li, .Lfunc_end208-_ZL32rocblas_syrkx_herkx_small_kernelIi19rocblas_complex_numIfELi16ELb1ELb0ELc67ELc85EKS1_S1_EviT_T0_PT6_S3_lS6_S3_lS4_PT7_S3_li
                                        ; -- End function
	.section	.AMDGPU.csdata,"",@progbits
; Kernel info:
; codeLenInByte = 1476
; NumSgprs: 22
; NumVgprs: 68
; ScratchSize: 0
; MemoryBound: 1
; FloatMode: 240
; IeeeMode: 1
; LDSByteSize: 4096 bytes/workgroup (compile time only)
; SGPRBlocks: 2
; VGPRBlocks: 8
; NumSGPRsForWavesPerEU: 22
; NumVGPRsForWavesPerEU: 68
; Occupancy: 16
; WaveLimiterHint : 0
; COMPUTE_PGM_RSRC2:SCRATCH_EN: 0
; COMPUTE_PGM_RSRC2:USER_SGPR: 13
; COMPUTE_PGM_RSRC2:TRAP_HANDLER: 0
; COMPUTE_PGM_RSRC2:TGID_X_EN: 1
; COMPUTE_PGM_RSRC2:TGID_Y_EN: 1
; COMPUTE_PGM_RSRC2:TGID_Z_EN: 1
; COMPUTE_PGM_RSRC2:TIDIG_COMP_CNT: 1
	.section	.text._ZL32rocblas_syrkx_herkx_small_kernelIi19rocblas_complex_numIfELi16ELb1ELb0ELc78ELc85EKS1_S1_EviT_T0_PT6_S3_lS6_S3_lS4_PT7_S3_li,"axG",@progbits,_ZL32rocblas_syrkx_herkx_small_kernelIi19rocblas_complex_numIfELi16ELb1ELb0ELc78ELc85EKS1_S1_EviT_T0_PT6_S3_lS6_S3_lS4_PT7_S3_li,comdat
	.globl	_ZL32rocblas_syrkx_herkx_small_kernelIi19rocblas_complex_numIfELi16ELb1ELb0ELc78ELc85EKS1_S1_EviT_T0_PT6_S3_lS6_S3_lS4_PT7_S3_li ; -- Begin function _ZL32rocblas_syrkx_herkx_small_kernelIi19rocblas_complex_numIfELi16ELb1ELb0ELc78ELc85EKS1_S1_EviT_T0_PT6_S3_lS6_S3_lS4_PT7_S3_li
	.p2align	8
	.type	_ZL32rocblas_syrkx_herkx_small_kernelIi19rocblas_complex_numIfELi16ELb1ELb0ELc78ELc85EKS1_S1_EviT_T0_PT6_S3_lS6_S3_lS4_PT7_S3_li,@function
_ZL32rocblas_syrkx_herkx_small_kernelIi19rocblas_complex_numIfELi16ELb1ELb0ELc78ELc85EKS1_S1_EviT_T0_PT6_S3_lS6_S3_lS4_PT7_S3_li: ; @_ZL32rocblas_syrkx_herkx_small_kernelIi19rocblas_complex_numIfELi16ELb1ELb0ELc78ELc85EKS1_S1_EviT_T0_PT6_S3_lS6_S3_lS4_PT7_S3_li
; %bb.0:
	s_clause 0x1
	s_load_b64 s[16:17], s[0:1], 0x0
	s_load_b128 s[4:7], s[0:1], 0x8
	v_dual_mov_b32 v17, 0 :: v_dual_and_b32 v10, 0x3ff, v0
	v_bfe_u32 v11, v0, 10, 10
	v_mov_b32_e32 v16, 0
	s_delay_alu instid0(VALU_DEP_3) | instskip(NEXT) | instid1(VALU_DEP_3)
	v_lshl_add_u32 v0, s13, 4, v10
	v_lshl_add_u32 v2, s14, 4, v11
	s_mov_b32 s14, 0
	s_delay_alu instid0(VALU_DEP_2) | instskip(SKIP_1) | instid1(VALU_DEP_2)
	v_ashrrev_i32_e32 v1, 31, v0
	s_waitcnt lgkmcnt(0)
	v_cmp_gt_i32_e32 vcc_lo, s16, v2
	s_cmp_lt_i32 s17, 1
	s_cbranch_scc1 .LBB209_9
; %bb.1:
	s_clause 0x3
	s_load_b32 s12, s[0:1], 0x18
	s_load_b32 s18, s[0:1], 0x30
	s_load_b64 s[20:21], s[0:1], 0x38
	s_load_b128 s[8:11], s[0:1], 0x20
	v_lshlrev_b32_e32 v6, 7, v11
	v_lshlrev_b32_e32 v12, 3, v10
	v_ashrrev_i32_e32 v3, 31, v2
	v_lshlrev_b64 v[4:5], 3, v[0:1]
	v_cmp_gt_i32_e64 s2, s16, v0
	v_add_nc_u32_e32 v13, 0x800, v6
	v_add_nc_u32_e32 v14, v12, v6
	v_lshlrev_b64 v[6:7], 3, v[2:3]
	s_waitcnt lgkmcnt(0)
	v_mad_i64_i32 v[16:17], null, s12, v11, 0
	v_mad_i64_i32 v[8:9], null, s18, v10, 0
	s_mul_i32 s3, s21, s15
	s_mul_hi_u32 s21, s20, s15
	s_mul_i32 s20, s20, s15
	s_add_i32 s21, s21, s3
	s_mul_i32 s9, s9, s15
	s_lshl_b64 s[20:21], s[20:21], 3
	s_delay_alu instid0(VALU_DEP_1)
	v_lshlrev_b64 v[8:9], 3, v[8:9]
	s_mul_hi_u32 s22, s8, s15
	s_mul_i32 s8, s8, s15
	s_add_i32 s9, s22, s9
	s_ashr_i32 s13, s12, 31
	s_lshl_b64 s[8:9], s[8:9], 3
	v_add_co_u32 v3, s3, s20, v8
	s_delay_alu instid0(VALU_DEP_1) | instskip(SKIP_2) | instid1(VALU_DEP_4)
	v_add_co_ci_u32_e64 v18, s3, s21, v9, s3
	v_lshlrev_b64 v[8:9], 3, v[16:17]
	v_mov_b32_e32 v16, 0
	v_add_co_u32 v3, s3, v3, v6
	s_delay_alu instid0(VALU_DEP_1) | instskip(NEXT) | instid1(VALU_DEP_4)
	v_add_co_ci_u32_e64 v6, s3, v18, v7, s3
	v_add_co_u32 v7, s3, s8, v8
	s_delay_alu instid0(VALU_DEP_1) | instskip(NEXT) | instid1(VALU_DEP_4)
	v_add_co_ci_u32_e64 v8, s3, s9, v9, s3
	;; [unrolled: 3-line block ×5, first 2 shown]
	v_add_co_u32 v5, s3, s6, v7
	s_delay_alu instid0(VALU_DEP_1)
	v_add_co_ci_u32_e64 v6, s3, s7, v8, s3
	v_mov_b32_e32 v7, 0
	v_mov_b32_e32 v17, 0
	v_add_nc_u32_e32 v15, v13, v12
	s_ashr_i32 s19, s18, 31
	s_lshl_b64 s[8:9], s[12:13], 7
	s_lshl_b64 s[6:7], s[18:19], 7
	s_xor_b32 s3, s2, -1
	s_branch .LBB209_3
.LBB209_2:                              ;   in Loop: Header=BB209_3 Depth=1
	s_or_b32 exec_lo, exec_lo, s2
	s_waitcnt vmcnt(0)
	ds_store_b64 v15, v[8:9]
	s_waitcnt lgkmcnt(0)
	s_barrier
	buffer_gl0_inv
	ds_load_2addr_b64 v[18:21], v12 offset1:16
	ds_load_b128 v[22:25], v13
	ds_load_b128 v[26:29], v13 offset:16
	ds_load_2addr_b64 v[30:33], v12 offset0:32 offset1:48
	ds_load_2addr_b64 v[34:37], v12 offset0:64 offset1:80
	ds_load_b128 v[38:41], v13 offset:32
	ds_load_b128 v[42:45], v13 offset:48
	ds_load_2addr_b64 v[46:49], v12 offset0:96 offset1:112
	ds_load_2addr_b64 v[50:53], v12 offset0:128 offset1:144
	;; [unrolled: 1-line block ×3, first 2 shown]
	ds_load_b128 v[58:61], v13 offset:64
	ds_load_b128 v[62:65], v13 offset:80
	v_add_co_u32 v3, s2, v3, s6
	s_delay_alu instid0(VALU_DEP_1) | instskip(SKIP_1) | instid1(VALU_DEP_1)
	v_add_co_ci_u32_e64 v4, s2, s7, v4, s2
	v_add_co_u32 v5, s2, v5, s8
	v_add_co_ci_u32_e64 v6, s2, s9, v6, s2
	s_add_i32 s14, s14, 16
	s_waitcnt lgkmcnt(10)
	v_mul_f32_e32 v8, v23, v19
	v_mul_f32_e32 v9, v22, v19
	;; [unrolled: 1-line block ×3, first 2 shown]
	s_waitcnt lgkmcnt(8)
	v_dual_mul_f32 v21, v24, v21 :: v_dual_mul_f32 v66, v27, v31
	v_fma_f32 v8, v22, v18, -v8
	s_waitcnt lgkmcnt(6)
	v_dual_mul_f32 v67, v29, v33 :: v_dual_mul_f32 v68, v39, v35
	v_dual_mul_f32 v33, v28, v33 :: v_dual_mul_f32 v22, v38, v35
	s_delay_alu instid0(VALU_DEP_3)
	v_dual_add_f32 v8, v16, v8 :: v_dual_fmac_f32 v9, v23, v18
	v_fma_f32 v18, v24, v20, -v19
	v_mul_f32_e32 v35, v41, v37
	v_fma_f32 v19, v28, v32, -v67
	v_dual_mul_f32 v31, v26, v31 :: v_dual_mul_f32 v16, v40, v37
	v_add_f32_e32 v9, v17, v9
	v_fma_f32 v17, v26, v30, -v66
	v_dual_add_f32 v8, v8, v18 :: v_dual_fmac_f32 v21, v25, v20
	s_waitcnt lgkmcnt(4)
	v_mul_f32_e32 v18, v43, v47
	v_fma_f32 v20, v38, v34, -v68
	v_fmac_f32_e32 v22, v39, v34
	v_dual_add_f32 v8, v8, v17 :: v_dual_mul_f32 v17, v42, v47
	s_delay_alu instid0(VALU_DEP_4)
	v_fma_f32 v18, v42, v46, -v18
	v_fmac_f32_e32 v16, v41, v36
	s_waitcnt lgkmcnt(1)
	v_mul_f32_e32 v24, v58, v51
	v_dual_add_f32 v8, v8, v19 :: v_dual_fmac_f32 v31, v27, v30
	v_add_f32_e32 v9, v9, v21
	v_fma_f32 v21, v40, v36, -v35
	s_delay_alu instid0(VALU_DEP_3) | instskip(SKIP_3) | instid1(VALU_DEP_3)
	v_dual_mul_f32 v19, v45, v49 :: v_dual_add_f32 v8, v8, v20
	v_dual_fmac_f32 v33, v29, v32 :: v_dual_mul_f32 v20, v44, v49
	v_fmac_f32_e32 v17, v43, v46
	s_cmp_ge_i32 s14, s17
	v_dual_add_f32 v8, v8, v21 :: v_dual_add_f32 v9, v9, v31
	v_dual_mul_f32 v21, v59, v51 :: v_dual_mul_f32 v26, v60, v53
	v_fmac_f32_e32 v20, v45, v48
	s_delay_alu instid0(VALU_DEP_3) | instskip(SKIP_1) | instid1(VALU_DEP_4)
	v_dual_add_f32 v8, v8, v18 :: v_dual_add_f32 v9, v9, v33
	v_fmac_f32_e32 v24, v59, v50
	v_fmac_f32_e32 v26, v61, v52
	s_waitcnt lgkmcnt(0)
	s_delay_alu instid0(VALU_DEP_3) | instskip(NEXT) | instid1(VALU_DEP_1)
	v_dual_mul_f32 v32, v62, v55 :: v_dual_add_f32 v9, v9, v22
	v_dual_fmac_f32 v32, v63, v54 :: v_dual_add_f32 v9, v9, v16
	v_fma_f32 v16, v44, v48, -v19
	s_delay_alu instid0(VALU_DEP_2) | instskip(SKIP_1) | instid1(VALU_DEP_3)
	v_add_f32_e32 v9, v9, v17
	v_fma_f32 v17, v58, v50, -v21
	v_add_f32_e32 v8, v8, v16
	s_delay_alu instid0(VALU_DEP_1)
	v_dual_add_f32 v9, v9, v20 :: v_dual_add_f32 v8, v8, v17
	v_mul_f32_e32 v25, v61, v53
	ds_load_2addr_b64 v[16:19], v12 offset0:192 offset1:208
	ds_load_b128 v[20:23], v13 offset:96
	v_add_f32_e32 v9, v9, v24
	v_mul_f32_e32 v34, v65, v57
	v_mul_f32_e32 v35, v64, v57
	v_fma_f32 v24, v60, v52, -v25
	s_delay_alu instid0(VALU_DEP_1) | instskip(NEXT) | instid1(VALU_DEP_1)
	v_dual_mul_f32 v25, v63, v55 :: v_dual_add_f32 v8, v8, v24
	v_fma_f32 v33, v62, v54, -v25
	v_add_f32_e32 v9, v9, v26
	ds_load_2addr_b64 v[24:27], v12 offset0:224 offset1:240
	ds_load_b128 v[28:31], v13 offset:112
	s_waitcnt lgkmcnt(0)
	s_barrier
	v_dual_add_f32 v8, v8, v33 :: v_dual_add_f32 v9, v9, v32
	buffer_gl0_inv
	v_mul_f32_e32 v33, v21, v17
	v_mul_f32_e32 v17, v20, v17
	s_delay_alu instid0(VALU_DEP_2) | instskip(NEXT) | instid1(VALU_DEP_2)
	v_fma_f32 v20, v20, v16, -v33
	v_dual_fmac_f32 v17, v21, v16 :: v_dual_mul_f32 v16, v23, v19
	v_fmac_f32_e32 v35, v65, v56
	v_mul_f32_e32 v19, v22, v19
	v_fma_f32 v32, v64, v56, -v34
	s_delay_alu instid0(VALU_DEP_4) | instskip(NEXT) | instid1(VALU_DEP_2)
	v_fma_f32 v16, v22, v18, -v16
	v_dual_fmac_f32 v19, v23, v18 :: v_dual_add_f32 v8, v8, v32
	v_dual_mul_f32 v18, v28, v25 :: v_dual_add_f32 v9, v9, v35
	s_delay_alu instid0(VALU_DEP_2) | instskip(NEXT) | instid1(VALU_DEP_2)
	v_add_f32_e32 v8, v8, v20
	v_fmac_f32_e32 v18, v29, v24
	s_delay_alu instid0(VALU_DEP_3) | instskip(NEXT) | instid1(VALU_DEP_3)
	v_add_f32_e32 v9, v9, v17
	v_dual_mul_f32 v17, v29, v25 :: v_dual_add_f32 v8, v8, v16
	s_delay_alu instid0(VALU_DEP_1) | instskip(NEXT) | instid1(VALU_DEP_1)
	v_fma_f32 v16, v28, v24, -v17
	v_dual_mul_f32 v17, v31, v27 :: v_dual_add_f32 v8, v8, v16
	s_delay_alu instid0(VALU_DEP_4) | instskip(SKIP_1) | instid1(VALU_DEP_3)
	v_add_f32_e32 v9, v9, v19
	v_mul_f32_e32 v19, v30, v27
	v_fma_f32 v16, v30, v26, -v17
	s_delay_alu instid0(VALU_DEP_3) | instskip(NEXT) | instid1(VALU_DEP_2)
	v_add_f32_e32 v9, v9, v18
	v_dual_fmac_f32 v19, v31, v26 :: v_dual_add_f32 v16, v8, v16
	s_delay_alu instid0(VALU_DEP_1)
	v_add_f32_e32 v17, v9, v19
	s_cbranch_scc1 .LBB209_9
.LBB209_3:                              ; =>This Inner Loop Header: Depth=1
	v_add_nc_u32_e32 v8, s14, v11
	s_delay_alu instid0(VALU_DEP_1) | instskip(NEXT) | instid1(VALU_DEP_1)
	v_cmp_le_i32_e64 s2, s17, v8
	s_or_b32 s2, s3, s2
	s_delay_alu instid0(SALU_CYCLE_1) | instskip(NEXT) | instid1(SALU_CYCLE_1)
	s_and_saveexec_b32 s10, s2
	s_xor_b32 s2, exec_lo, s10
	s_cbranch_execz .LBB209_5
; %bb.4:                                ;   in Loop: Header=BB209_3 Depth=1
	v_mov_b32_e32 v8, v7
	ds_store_b64 v14, v[7:8]
.LBB209_5:                              ;   in Loop: Header=BB209_3 Depth=1
	s_and_not1_saveexec_b32 s2, s2
	s_cbranch_execz .LBB209_7
; %bb.6:                                ;   in Loop: Header=BB209_3 Depth=1
	global_load_b64 v[8:9], v[5:6], off
	s_waitcnt vmcnt(0)
	ds_store_b64 v14, v[8:9]
.LBB209_7:                              ;   in Loop: Header=BB209_3 Depth=1
	s_or_b32 exec_lo, exec_lo, s2
	v_dual_mov_b32 v9, 0 :: v_dual_add_nc_u32 v8, s14, v10
	s_delay_alu instid0(VALU_DEP_1) | instskip(SKIP_1) | instid1(VALU_DEP_2)
	v_cmp_gt_i32_e64 s2, s17, v8
	v_mov_b32_e32 v8, 0
	s_and_b32 s10, vcc_lo, s2
	s_delay_alu instid0(SALU_CYCLE_1)
	s_and_saveexec_b32 s2, s10
	s_cbranch_execz .LBB209_2
; %bb.8:                                ;   in Loop: Header=BB209_3 Depth=1
	global_load_b64 v[8:9], v[3:4], off offset:-4
	s_branch .LBB209_2
.LBB209_9:
	v_cmp_le_i32_e32 vcc_lo, v0, v2
	v_cmp_gt_i32_e64 s2, s16, v2
	s_delay_alu instid0(VALU_DEP_1) | instskip(NEXT) | instid1(SALU_CYCLE_1)
	s_and_b32 s2, vcc_lo, s2
	s_and_saveexec_b32 s3, s2
	s_cbranch_execz .LBB209_11
; %bb.10:
	s_clause 0x2
	s_load_b32 s6, s[0:1], 0x50
	s_load_b64 s[2:3], s[0:1], 0x58
	s_load_b64 s[0:1], s[0:1], 0x48
	v_lshlrev_b64 v[5:6], 3, v[0:1]
	s_waitcnt lgkmcnt(0)
	v_mad_i64_i32 v[3:4], null, s6, v2, 0
	s_mul_i32 s3, s15, s3
	s_mul_hi_u32 s6, s15, s2
	s_mul_i32 s2, s15, s2
	s_add_i32 s3, s6, s3
	v_mul_f32_e32 v2, s4, v17
	s_lshl_b64 s[2:3], s[2:3], 3
	s_delay_alu instid0(VALU_DEP_2) | instskip(SKIP_3) | instid1(VALU_DEP_2)
	v_lshlrev_b64 v[3:4], 3, v[3:4]
	s_add_u32 s0, s0, s2
	s_addc_u32 s1, s1, s3
	v_dual_mul_f32 v7, s5, v17 :: v_dual_fmac_f32 v2, s5, v16
	v_add_co_u32 v0, vcc_lo, s0, v3
	s_delay_alu instid0(VALU_DEP_3) | instskip(NEXT) | instid1(VALU_DEP_3)
	v_add_co_ci_u32_e32 v4, vcc_lo, s1, v4, vcc_lo
	v_fma_f32 v1, v16, s4, -v7
	s_delay_alu instid0(VALU_DEP_3) | instskip(NEXT) | instid1(VALU_DEP_3)
	v_add_co_u32 v3, vcc_lo, v0, v5
	v_add_co_ci_u32_e32 v4, vcc_lo, v4, v6, vcc_lo
	global_store_b64 v[3:4], v[1:2], off
.LBB209_11:
	s_nop 0
	s_sendmsg sendmsg(MSG_DEALLOC_VGPRS)
	s_endpgm
	.section	.rodata,"a",@progbits
	.p2align	6, 0x0
	.amdhsa_kernel _ZL32rocblas_syrkx_herkx_small_kernelIi19rocblas_complex_numIfELi16ELb1ELb0ELc78ELc85EKS1_S1_EviT_T0_PT6_S3_lS6_S3_lS4_PT7_S3_li
		.amdhsa_group_segment_fixed_size 4096
		.amdhsa_private_segment_fixed_size 0
		.amdhsa_kernarg_size 100
		.amdhsa_user_sgpr_count 13
		.amdhsa_user_sgpr_dispatch_ptr 0
		.amdhsa_user_sgpr_queue_ptr 0
		.amdhsa_user_sgpr_kernarg_segment_ptr 1
		.amdhsa_user_sgpr_dispatch_id 0
		.amdhsa_user_sgpr_private_segment_size 0
		.amdhsa_wavefront_size32 1
		.amdhsa_uses_dynamic_stack 0
		.amdhsa_enable_private_segment 0
		.amdhsa_system_sgpr_workgroup_id_x 1
		.amdhsa_system_sgpr_workgroup_id_y 1
		.amdhsa_system_sgpr_workgroup_id_z 1
		.amdhsa_system_sgpr_workgroup_info 0
		.amdhsa_system_vgpr_workitem_id 1
		.amdhsa_next_free_vgpr 69
		.amdhsa_next_free_sgpr 23
		.amdhsa_reserve_vcc 1
		.amdhsa_float_round_mode_32 0
		.amdhsa_float_round_mode_16_64 0
		.amdhsa_float_denorm_mode_32 3
		.amdhsa_float_denorm_mode_16_64 3
		.amdhsa_dx10_clamp 1
		.amdhsa_ieee_mode 1
		.amdhsa_fp16_overflow 0
		.amdhsa_workgroup_processor_mode 1
		.amdhsa_memory_ordered 1
		.amdhsa_forward_progress 0
		.amdhsa_shared_vgpr_count 0
		.amdhsa_exception_fp_ieee_invalid_op 0
		.amdhsa_exception_fp_denorm_src 0
		.amdhsa_exception_fp_ieee_div_zero 0
		.amdhsa_exception_fp_ieee_overflow 0
		.amdhsa_exception_fp_ieee_underflow 0
		.amdhsa_exception_fp_ieee_inexact 0
		.amdhsa_exception_int_div_zero 0
	.end_amdhsa_kernel
	.section	.text._ZL32rocblas_syrkx_herkx_small_kernelIi19rocblas_complex_numIfELi16ELb1ELb0ELc78ELc85EKS1_S1_EviT_T0_PT6_S3_lS6_S3_lS4_PT7_S3_li,"axG",@progbits,_ZL32rocblas_syrkx_herkx_small_kernelIi19rocblas_complex_numIfELi16ELb1ELb0ELc78ELc85EKS1_S1_EviT_T0_PT6_S3_lS6_S3_lS4_PT7_S3_li,comdat
.Lfunc_end209:
	.size	_ZL32rocblas_syrkx_herkx_small_kernelIi19rocblas_complex_numIfELi16ELb1ELb0ELc78ELc85EKS1_S1_EviT_T0_PT6_S3_lS6_S3_lS4_PT7_S3_li, .Lfunc_end209-_ZL32rocblas_syrkx_herkx_small_kernelIi19rocblas_complex_numIfELi16ELb1ELb0ELc78ELc85EKS1_S1_EviT_T0_PT6_S3_lS6_S3_lS4_PT7_S3_li
                                        ; -- End function
	.section	.AMDGPU.csdata,"",@progbits
; Kernel info:
; codeLenInByte = 1516
; NumSgprs: 25
; NumVgprs: 69
; ScratchSize: 0
; MemoryBound: 1
; FloatMode: 240
; IeeeMode: 1
; LDSByteSize: 4096 bytes/workgroup (compile time only)
; SGPRBlocks: 3
; VGPRBlocks: 8
; NumSGPRsForWavesPerEU: 25
; NumVGPRsForWavesPerEU: 69
; Occupancy: 16
; WaveLimiterHint : 0
; COMPUTE_PGM_RSRC2:SCRATCH_EN: 0
; COMPUTE_PGM_RSRC2:USER_SGPR: 13
; COMPUTE_PGM_RSRC2:TRAP_HANDLER: 0
; COMPUTE_PGM_RSRC2:TGID_X_EN: 1
; COMPUTE_PGM_RSRC2:TGID_Y_EN: 1
; COMPUTE_PGM_RSRC2:TGID_Z_EN: 1
; COMPUTE_PGM_RSRC2:TIDIG_COMP_CNT: 1
	.section	.text._ZL32rocblas_syrkx_herkx_small_kernelIi19rocblas_complex_numIfELi16ELb0ELb0ELc84ELc76EKS1_S1_EviT_T0_PT6_S3_lS6_S3_lS4_PT7_S3_li,"axG",@progbits,_ZL32rocblas_syrkx_herkx_small_kernelIi19rocblas_complex_numIfELi16ELb0ELb0ELc84ELc76EKS1_S1_EviT_T0_PT6_S3_lS6_S3_lS4_PT7_S3_li,comdat
	.globl	_ZL32rocblas_syrkx_herkx_small_kernelIi19rocblas_complex_numIfELi16ELb0ELb0ELc84ELc76EKS1_S1_EviT_T0_PT6_S3_lS6_S3_lS4_PT7_S3_li ; -- Begin function _ZL32rocblas_syrkx_herkx_small_kernelIi19rocblas_complex_numIfELi16ELb0ELb0ELc84ELc76EKS1_S1_EviT_T0_PT6_S3_lS6_S3_lS4_PT7_S3_li
	.p2align	8
	.type	_ZL32rocblas_syrkx_herkx_small_kernelIi19rocblas_complex_numIfELi16ELb0ELb0ELc84ELc76EKS1_S1_EviT_T0_PT6_S3_lS6_S3_lS4_PT7_S3_li,@function
_ZL32rocblas_syrkx_herkx_small_kernelIi19rocblas_complex_numIfELi16ELb0ELb0ELc84ELc76EKS1_S1_EviT_T0_PT6_S3_lS6_S3_lS4_PT7_S3_li: ; @_ZL32rocblas_syrkx_herkx_small_kernelIi19rocblas_complex_numIfELi16ELb0ELb0ELc84ELc76EKS1_S1_EviT_T0_PT6_S3_lS6_S3_lS4_PT7_S3_li
; %bb.0:
	s_clause 0x3
	s_load_b64 s[22:23], s[0:1], 0x0
	s_load_b128 s[8:11], s[0:1], 0x8
	s_load_b128 s[4:7], s[0:1], 0x38
	s_load_b64 s[20:21], s[0:1], 0x48
	v_dual_mov_b32 v15, 0 :: v_dual_and_b32 v8, 0x3ff, v0
	v_bfe_u32 v9, v0, 10, 10
	v_mov_b32_e32 v14, 0
	s_mov_b32 s12, 0
	s_delay_alu instid0(VALU_DEP_3) | instskip(NEXT) | instid1(VALU_DEP_3)
	v_lshl_add_u32 v0, s13, 4, v8
	v_lshl_add_u32 v7, s14, 4, v9
	s_waitcnt lgkmcnt(0)
	s_delay_alu instid0(VALU_DEP_2)
	v_cmp_gt_i32_e32 vcc_lo, s22, v0
	s_cmp_lt_i32 s23, 1
	s_cbranch_scc1 .LBB210_11
; %bb.1:
	s_clause 0x2
	s_load_b32 s3, s[0:1], 0x30
	s_load_b32 s13, s[0:1], 0x18
	s_load_b128 s[16:19], s[0:1], 0x20
	v_dual_mov_b32 v14, 0 :: v_dual_lshlrev_b32 v3, 7, v9
	v_lshlrev_b32_e32 v10, 3, v8
	s_mul_i32 s5, s5, s15
	s_mul_hi_u32 s14, s4, s15
	s_delay_alu instid0(VALU_DEP_2) | instskip(NEXT) | instid1(VALU_DEP_2)
	v_dual_mov_b32 v15, 0 :: v_dual_add_nc_u32 v12, 0x800, v3
	v_add_nc_u32_e32 v11, v10, v3
	s_mul_i32 s4, s4, s15
	s_add_i32 s5, s14, s5
	v_lshlrev_b32_e32 v5, 3, v9
	s_lshl_b64 s[4:5], s[4:5], 3
	v_cmp_gt_i32_e64 s2, s22, v7
	s_delay_alu instid0(VALU_DEP_1)
	s_xor_b32 s2, s2, -1
	s_waitcnt lgkmcnt(0)
	v_mad_i64_i32 v[1:2], null, s3, v7, 0
	v_mad_i64_i32 v[3:4], null, s13, v0, 0
	s_mul_i32 s3, s17, s15
	s_mul_hi_u32 s13, s16, s15
	s_mul_i32 s16, s16, s15
	s_add_i32 s17, s13, s3
	s_delay_alu instid0(VALU_DEP_2) | instskip(SKIP_1) | instid1(VALU_DEP_2)
	v_lshlrev_b64 v[1:2], 3, v[1:2]
	s_lshl_b64 s[16:17], s[16:17], 3
	v_lshlrev_b64 v[3:4], 3, v[3:4]
	s_delay_alu instid0(VALU_DEP_2) | instskip(NEXT) | instid1(VALU_DEP_1)
	v_add_co_u32 v1, s3, v1, s4
	v_add_co_ci_u32_e64 v2, s3, s5, v2, s3
	s_delay_alu instid0(VALU_DEP_3) | instskip(NEXT) | instid1(VALU_DEP_1)
	v_add_co_u32 v3, s3, v3, s16
	v_add_co_ci_u32_e64 v4, s3, s17, v4, s3
	s_delay_alu instid0(VALU_DEP_4) | instskip(NEXT) | instid1(VALU_DEP_1)
	v_add_co_u32 v1, s3, v1, v10
	v_add_co_ci_u32_e64 v2, s3, 0, v2, s3
	s_delay_alu instid0(VALU_DEP_4) | instskip(NEXT) | instid1(VALU_DEP_1)
	;; [unrolled: 3-line block ×4, first 2 shown]
	v_add_co_u32 v3, s3, s10, v3
	v_add_co_ci_u32_e64 v4, s3, s11, v4, s3
	v_mov_b32_e32 v5, 0
	v_add_nc_u32_e32 v13, v12, v10
	s_xor_b32 s3, vcc_lo, -1
	s_branch .LBB210_3
.LBB210_2:                              ;   in Loop: Header=BB210_3 Depth=1
	s_or_b32 exec_lo, exec_lo, s4
	s_waitcnt lgkmcnt(0)
	s_barrier
	buffer_gl0_inv
	ds_load_2addr_b64 v[16:19], v10 offset1:16
	ds_load_b128 v[20:23], v12
	ds_load_b128 v[24:27], v12 offset:16
	ds_load_2addr_b64 v[28:31], v10 offset0:32 offset1:48
	ds_load_2addr_b64 v[32:35], v10 offset0:64 offset1:80
	ds_load_b128 v[36:39], v12 offset:32
	ds_load_b128 v[40:43], v12 offset:48
	ds_load_2addr_b64 v[44:47], v10 offset0:96 offset1:112
	ds_load_2addr_b64 v[48:51], v10 offset0:128 offset1:144
	ds_load_2addr_b64 v[52:55], v10 offset0:160 offset1:176
	ds_load_b128 v[56:59], v12 offset:64
	ds_load_b128 v[60:63], v12 offset:80
	v_add_co_u32 v1, vcc_lo, 0x80, v1
	v_add_co_ci_u32_e32 v2, vcc_lo, 0, v2, vcc_lo
	v_add_co_u32 v3, vcc_lo, 0x80, v3
	v_add_co_ci_u32_e32 v4, vcc_lo, 0, v4, vcc_lo
	s_add_i32 s12, s12, 16
	s_waitcnt lgkmcnt(10)
	v_mul_f32_e32 v6, v21, v17
	v_dual_mul_f32 v17, v20, v17 :: v_dual_mul_f32 v64, v23, v19
	v_mul_f32_e32 v19, v22, v19
	s_waitcnt lgkmcnt(8)
	v_dual_mul_f32 v65, v25, v29 :: v_dual_mul_f32 v66, v27, v31
	v_fma_f32 v6, v20, v16, -v6
	v_mul_f32_e32 v31, v26, v31
	s_waitcnt lgkmcnt(6)
	v_dual_mul_f32 v29, v24, v29 :: v_dual_mul_f32 v20, v39, v35
	s_delay_alu instid0(VALU_DEP_3) | instskip(SKIP_2) | instid1(VALU_DEP_4)
	v_dual_mul_f32 v67, v37, v33 :: v_dual_add_f32 v6, v15, v6
	v_fmac_f32_e32 v17, v21, v16
	v_fma_f32 v21, v22, v18, -v64
	v_dual_fmac_f32 v29, v25, v28 :: v_dual_mul_f32 v16, v38, v35
	v_fma_f32 v20, v38, v34, -v20
	s_delay_alu instid0(VALU_DEP_3)
	v_dual_fmac_f32 v31, v27, v30 :: v_dual_add_f32 v6, v6, v21
	v_dual_fmac_f32 v19, v23, v18 :: v_dual_add_f32 v14, v14, v17
	v_fma_f32 v17, v24, v28, -v65
	v_mul_f32_e32 v33, v36, v33
	s_waitcnt lgkmcnt(4)
	v_mul_f32_e32 v18, v40, v45
	v_fma_f32 v21, v36, v32, -v67
	v_add_f32_e32 v14, v14, v19
	v_fma_f32 v19, v26, v30, -v66
	v_add_f32_e32 v6, v6, v17
	v_mul_f32_e32 v15, v41, v45
	s_delay_alu instid0(VALU_DEP_4) | instskip(NEXT) | instid1(VALU_DEP_3)
	v_dual_mul_f32 v17, v43, v47 :: v_dual_add_f32 v14, v14, v29
	v_dual_fmac_f32 v33, v37, v32 :: v_dual_add_f32 v6, v6, v19
	v_dual_mul_f32 v19, v42, v47 :: v_dual_fmac_f32 v16, v39, v34
	s_delay_alu instid0(VALU_DEP_3) | instskip(SKIP_1) | instid1(VALU_DEP_3)
	v_add_f32_e32 v14, v14, v31
	v_fma_f32 v15, v40, v44, -v15
	v_dual_add_f32 v6, v6, v21 :: v_dual_fmac_f32 v19, v43, v46
	s_waitcnt lgkmcnt(1)
	v_mul_f32_e32 v21, v57, v49
	v_dual_fmac_f32 v18, v41, v44 :: v_dual_mul_f32 v25, v58, v51
	v_add_f32_e32 v14, v14, v33
	v_add_f32_e32 v6, v6, v20
	v_fma_f32 v20, v42, v46, -v17
	v_fma_f32 v21, v56, v48, -v21
	s_delay_alu instid0(VALU_DEP_4)
	v_dual_fmac_f32 v25, v59, v50 :: v_dual_add_f32 v14, v14, v16
	s_waitcnt lgkmcnt(0)
	v_mul_f32_e32 v33, v63, v55
	v_add_f32_e32 v6, v6, v15
	v_mul_f32_e32 v34, v62, v55
	s_cmp_ge_i32 s12, s23
	v_add_f32_e32 v18, v14, v18
	v_mul_f32_e32 v22, v56, v49
	v_add_f32_e32 v6, v6, v20
	ds_load_2addr_b64 v[14:17], v10 offset0:192 offset1:208
	v_dual_fmac_f32 v34, v63, v54 :: v_dual_add_f32 v23, v18, v19
	v_add_f32_e32 v6, v6, v21
	ds_load_b128 v[18:21], v12 offset:96
	v_fmac_f32_e32 v22, v57, v48
	s_delay_alu instid0(VALU_DEP_1) | instskip(NEXT) | instid1(VALU_DEP_1)
	v_add_f32_e32 v22, v23, v22
	v_dual_mul_f32 v24, v59, v51 :: v_dual_add_f32 v31, v22, v25
	s_delay_alu instid0(VALU_DEP_1) | instskip(SKIP_1) | instid1(VALU_DEP_2)
	v_fma_f32 v23, v58, v50, -v24
	v_mul_f32_e32 v24, v61, v53
	v_add_f32_e32 v6, v6, v23
	s_delay_alu instid0(VALU_DEP_2)
	v_fma_f32 v32, v60, v52, -v24
	ds_load_2addr_b64 v[22:25], v10 offset0:224 offset1:240
	ds_load_b128 v[26:29], v12 offset:112
	v_mul_f32_e32 v30, v60, v53
	s_waitcnt lgkmcnt(0)
	s_barrier
	v_add_f32_e32 v6, v6, v32
	v_mul_f32_e32 v32, v19, v15
	v_dual_fmac_f32 v30, v61, v52 :: v_dual_mul_f32 v15, v18, v15
	buffer_gl0_inv
	v_fma_f32 v18, v18, v14, -v32
	v_add_f32_e32 v30, v31, v30
	v_fma_f32 v31, v62, v54, -v33
	v_dual_fmac_f32 v15, v19, v14 :: v_dual_mul_f32 v14, v21, v17
	s_delay_alu instid0(VALU_DEP_3) | instskip(NEXT) | instid1(VALU_DEP_3)
	v_dual_mul_f32 v17, v20, v17 :: v_dual_add_f32 v30, v30, v34
	v_add_f32_e32 v6, v6, v31
	s_delay_alu instid0(VALU_DEP_3) | instskip(NEXT) | instid1(VALU_DEP_3)
	v_fma_f32 v14, v20, v16, -v14
	v_fmac_f32_e32 v17, v21, v16
	s_delay_alu instid0(VALU_DEP_4) | instskip(NEXT) | instid1(VALU_DEP_4)
	v_add_f32_e32 v15, v30, v15
	v_add_f32_e32 v6, v6, v18
	v_mul_f32_e32 v16, v27, v23
	v_mul_f32_e32 v18, v26, v23
	s_delay_alu instid0(VALU_DEP_3) | instskip(SKIP_1) | instid1(VALU_DEP_4)
	v_add_f32_e32 v6, v6, v14
	v_add_f32_e32 v14, v15, v17
	v_fma_f32 v15, v26, v22, -v16
	s_delay_alu instid0(VALU_DEP_4) | instskip(SKIP_1) | instid1(VALU_DEP_3)
	v_fmac_f32_e32 v18, v27, v22
	v_mul_f32_e32 v16, v29, v25
	v_dual_mul_f32 v17, v28, v25 :: v_dual_add_f32 v6, v6, v15
	s_delay_alu instid0(VALU_DEP_3) | instskip(NEXT) | instid1(VALU_DEP_3)
	v_add_f32_e32 v14, v14, v18
	v_fma_f32 v15, v28, v24, -v16
	s_delay_alu instid0(VALU_DEP_3) | instskip(NEXT) | instid1(VALU_DEP_2)
	v_fmac_f32_e32 v17, v29, v24
	v_add_f32_e32 v15, v6, v15
	s_delay_alu instid0(VALU_DEP_2)
	v_add_f32_e32 v14, v14, v17
	s_cbranch_scc1 .LBB210_11
.LBB210_3:                              ; =>This Inner Loop Header: Depth=1
	v_add_nc_u32_e32 v6, s12, v9
	s_delay_alu instid0(VALU_DEP_1) | instskip(SKIP_1) | instid1(SALU_CYCLE_1)
	v_cmp_le_i32_e32 vcc_lo, s23, v6
	s_or_b32 s4, s3, vcc_lo
	s_and_saveexec_b32 s5, s4
	s_delay_alu instid0(SALU_CYCLE_1)
	s_xor_b32 s4, exec_lo, s5
	s_cbranch_execz .LBB210_5
; %bb.4:                                ;   in Loop: Header=BB210_3 Depth=1
	v_mov_b32_e32 v6, v5
	ds_store_b64 v11, v[5:6]
.LBB210_5:                              ;   in Loop: Header=BB210_3 Depth=1
	s_and_not1_saveexec_b32 s4, s4
	s_cbranch_execz .LBB210_7
; %bb.6:                                ;   in Loop: Header=BB210_3 Depth=1
	global_load_b64 v[16:17], v[3:4], off
	s_waitcnt vmcnt(0)
	ds_store_b64 v11, v[16:17]
.LBB210_7:                              ;   in Loop: Header=BB210_3 Depth=1
	s_or_b32 exec_lo, exec_lo, s4
	v_add_nc_u32_e32 v6, s12, v8
	s_delay_alu instid0(VALU_DEP_1) | instskip(SKIP_1) | instid1(SALU_CYCLE_1)
	v_cmp_le_i32_e32 vcc_lo, s23, v6
	s_or_b32 s4, s2, vcc_lo
	s_and_saveexec_b32 s5, s4
	s_delay_alu instid0(SALU_CYCLE_1)
	s_xor_b32 s4, exec_lo, s5
	s_cbranch_execz .LBB210_9
; %bb.8:                                ;   in Loop: Header=BB210_3 Depth=1
	v_mov_b32_e32 v6, v5
	ds_store_b64 v13, v[5:6]
.LBB210_9:                              ;   in Loop: Header=BB210_3 Depth=1
	s_and_not1_saveexec_b32 s4, s4
	s_cbranch_execz .LBB210_2
; %bb.10:                               ;   in Loop: Header=BB210_3 Depth=1
	global_load_b64 v[16:17], v[1:2], off
	s_waitcnt vmcnt(0)
	ds_store_b64 v13, v[16:17]
	s_branch .LBB210_2
.LBB210_11:
	v_cmp_le_i32_e32 vcc_lo, v7, v0
	v_cmp_gt_i32_e64 s2, s22, v0
	s_delay_alu instid0(VALU_DEP_1) | instskip(NEXT) | instid1(SALU_CYCLE_1)
	s_and_b32 s2, vcc_lo, s2
	s_and_saveexec_b32 s3, s2
	s_cbranch_execz .LBB210_13
; %bb.12:
	s_clause 0x1
	s_load_b32 s2, s[0:1], 0x50
	s_load_b64 s[0:1], s[0:1], 0x58
	v_ashrrev_i32_e32 v1, 31, v0
	s_delay_alu instid0(VALU_DEP_1)
	v_lshlrev_b64 v[0:1], 3, v[0:1]
	s_waitcnt lgkmcnt(0)
	v_mad_i64_i32 v[2:3], null, s2, v7, 0
	s_mul_i32 s1, s15, s1
	s_mul_hi_u32 s2, s15, s0
	s_mul_i32 s0, s15, s0
	s_add_i32 s1, s2, s1
	s_delay_alu instid0(SALU_CYCLE_1) | instskip(NEXT) | instid1(VALU_DEP_1)
	s_lshl_b64 s[0:1], s[0:1], 3
	v_lshlrev_b64 v[2:3], 3, v[2:3]
	s_add_u32 s0, s20, s0
	s_addc_u32 s1, s21, s1
	s_delay_alu instid0(VALU_DEP_1) | instskip(NEXT) | instid1(VALU_DEP_2)
	v_add_co_u32 v2, vcc_lo, s0, v2
	v_add_co_ci_u32_e32 v3, vcc_lo, s1, v3, vcc_lo
	s_delay_alu instid0(VALU_DEP_2) | instskip(NEXT) | instid1(VALU_DEP_2)
	v_add_co_u32 v0, vcc_lo, v2, v0
	v_add_co_ci_u32_e32 v1, vcc_lo, v3, v1, vcc_lo
	global_load_b64 v[2:3], v[0:1], off
	v_mul_f32_e32 v4, s9, v14
	s_waitcnt vmcnt(0)
	v_dual_mul_f32 v5, s8, v14 :: v_dual_mul_f32 v6, s7, v3
	v_mul_f32_e32 v3, s6, v3
	s_delay_alu instid0(VALU_DEP_3) | instskip(NEXT) | instid1(VALU_DEP_3)
	v_fma_f32 v4, v15, s8, -v4
	v_fma_f32 v6, v2, s6, -v6
	s_delay_alu instid0(VALU_DEP_4) | instskip(NEXT) | instid1(VALU_DEP_4)
	v_fmac_f32_e32 v5, s9, v15
	v_fmac_f32_e32 v3, s7, v2
	s_delay_alu instid0(VALU_DEP_1)
	v_dual_add_f32 v2, v4, v6 :: v_dual_add_f32 v3, v5, v3
	global_store_b64 v[0:1], v[2:3], off
.LBB210_13:
	s_nop 0
	s_sendmsg sendmsg(MSG_DEALLOC_VGPRS)
	s_endpgm
	.section	.rodata,"a",@progbits
	.p2align	6, 0x0
	.amdhsa_kernel _ZL32rocblas_syrkx_herkx_small_kernelIi19rocblas_complex_numIfELi16ELb0ELb0ELc84ELc76EKS1_S1_EviT_T0_PT6_S3_lS6_S3_lS4_PT7_S3_li
		.amdhsa_group_segment_fixed_size 4096
		.amdhsa_private_segment_fixed_size 0
		.amdhsa_kernarg_size 100
		.amdhsa_user_sgpr_count 13
		.amdhsa_user_sgpr_dispatch_ptr 0
		.amdhsa_user_sgpr_queue_ptr 0
		.amdhsa_user_sgpr_kernarg_segment_ptr 1
		.amdhsa_user_sgpr_dispatch_id 0
		.amdhsa_user_sgpr_private_segment_size 0
		.amdhsa_wavefront_size32 1
		.amdhsa_uses_dynamic_stack 0
		.amdhsa_enable_private_segment 0
		.amdhsa_system_sgpr_workgroup_id_x 1
		.amdhsa_system_sgpr_workgroup_id_y 1
		.amdhsa_system_sgpr_workgroup_id_z 1
		.amdhsa_system_sgpr_workgroup_info 0
		.amdhsa_system_vgpr_workitem_id 1
		.amdhsa_next_free_vgpr 68
		.amdhsa_next_free_sgpr 24
		.amdhsa_reserve_vcc 1
		.amdhsa_float_round_mode_32 0
		.amdhsa_float_round_mode_16_64 0
		.amdhsa_float_denorm_mode_32 3
		.amdhsa_float_denorm_mode_16_64 3
		.amdhsa_dx10_clamp 1
		.amdhsa_ieee_mode 1
		.amdhsa_fp16_overflow 0
		.amdhsa_workgroup_processor_mode 1
		.amdhsa_memory_ordered 1
		.amdhsa_forward_progress 0
		.amdhsa_shared_vgpr_count 0
		.amdhsa_exception_fp_ieee_invalid_op 0
		.amdhsa_exception_fp_denorm_src 0
		.amdhsa_exception_fp_ieee_div_zero 0
		.amdhsa_exception_fp_ieee_overflow 0
		.amdhsa_exception_fp_ieee_underflow 0
		.amdhsa_exception_fp_ieee_inexact 0
		.amdhsa_exception_int_div_zero 0
	.end_amdhsa_kernel
	.section	.text._ZL32rocblas_syrkx_herkx_small_kernelIi19rocblas_complex_numIfELi16ELb0ELb0ELc84ELc76EKS1_S1_EviT_T0_PT6_S3_lS6_S3_lS4_PT7_S3_li,"axG",@progbits,_ZL32rocblas_syrkx_herkx_small_kernelIi19rocblas_complex_numIfELi16ELb0ELb0ELc84ELc76EKS1_S1_EviT_T0_PT6_S3_lS6_S3_lS4_PT7_S3_li,comdat
.Lfunc_end210:
	.size	_ZL32rocblas_syrkx_herkx_small_kernelIi19rocblas_complex_numIfELi16ELb0ELb0ELc84ELc76EKS1_S1_EviT_T0_PT6_S3_lS6_S3_lS4_PT7_S3_li, .Lfunc_end210-_ZL32rocblas_syrkx_herkx_small_kernelIi19rocblas_complex_numIfELi16ELb0ELb0ELc84ELc76EKS1_S1_EviT_T0_PT6_S3_lS6_S3_lS4_PT7_S3_li
                                        ; -- End function
	.section	.AMDGPU.csdata,"",@progbits
; Kernel info:
; codeLenInByte = 1536
; NumSgprs: 26
; NumVgprs: 68
; ScratchSize: 0
; MemoryBound: 1
; FloatMode: 240
; IeeeMode: 1
; LDSByteSize: 4096 bytes/workgroup (compile time only)
; SGPRBlocks: 3
; VGPRBlocks: 8
; NumSGPRsForWavesPerEU: 26
; NumVGPRsForWavesPerEU: 68
; Occupancy: 16
; WaveLimiterHint : 0
; COMPUTE_PGM_RSRC2:SCRATCH_EN: 0
; COMPUTE_PGM_RSRC2:USER_SGPR: 13
; COMPUTE_PGM_RSRC2:TRAP_HANDLER: 0
; COMPUTE_PGM_RSRC2:TGID_X_EN: 1
; COMPUTE_PGM_RSRC2:TGID_Y_EN: 1
; COMPUTE_PGM_RSRC2:TGID_Z_EN: 1
; COMPUTE_PGM_RSRC2:TIDIG_COMP_CNT: 1
	.section	.text._ZL32rocblas_syrkx_herkx_small_kernelIi19rocblas_complex_numIfELi16ELb0ELb0ELc67ELc76EKS1_S1_EviT_T0_PT6_S3_lS6_S3_lS4_PT7_S3_li,"axG",@progbits,_ZL32rocblas_syrkx_herkx_small_kernelIi19rocblas_complex_numIfELi16ELb0ELb0ELc67ELc76EKS1_S1_EviT_T0_PT6_S3_lS6_S3_lS4_PT7_S3_li,comdat
	.globl	_ZL32rocblas_syrkx_herkx_small_kernelIi19rocblas_complex_numIfELi16ELb0ELb0ELc67ELc76EKS1_S1_EviT_T0_PT6_S3_lS6_S3_lS4_PT7_S3_li ; -- Begin function _ZL32rocblas_syrkx_herkx_small_kernelIi19rocblas_complex_numIfELi16ELb0ELb0ELc67ELc76EKS1_S1_EviT_T0_PT6_S3_lS6_S3_lS4_PT7_S3_li
	.p2align	8
	.type	_ZL32rocblas_syrkx_herkx_small_kernelIi19rocblas_complex_numIfELi16ELb0ELb0ELc67ELc76EKS1_S1_EviT_T0_PT6_S3_lS6_S3_lS4_PT7_S3_li,@function
_ZL32rocblas_syrkx_herkx_small_kernelIi19rocblas_complex_numIfELi16ELb0ELb0ELc67ELc76EKS1_S1_EviT_T0_PT6_S3_lS6_S3_lS4_PT7_S3_li: ; @_ZL32rocblas_syrkx_herkx_small_kernelIi19rocblas_complex_numIfELi16ELb0ELb0ELc67ELc76EKS1_S1_EviT_T0_PT6_S3_lS6_S3_lS4_PT7_S3_li
; %bb.0:
	s_clause 0x3
	s_load_b64 s[22:23], s[0:1], 0x0
	s_load_b128 s[8:11], s[0:1], 0x8
	s_load_b128 s[4:7], s[0:1], 0x38
	s_load_b64 s[20:21], s[0:1], 0x48
	v_dual_mov_b32 v16, 0 :: v_dual_and_b32 v9, 0x3ff, v0
	v_bfe_u32 v10, v0, 10, 10
	v_mov_b32_e32 v15, 0
	s_mov_b32 s12, 0
	s_delay_alu instid0(VALU_DEP_3) | instskip(NEXT) | instid1(VALU_DEP_3)
	v_lshl_add_u32 v0, s13, 4, v9
	v_lshl_add_u32 v8, s14, 4, v10
	s_waitcnt lgkmcnt(0)
	s_delay_alu instid0(VALU_DEP_2)
	v_cmp_gt_i32_e32 vcc_lo, s22, v0
	s_cmp_lt_i32 s23, 1
	s_cbranch_scc1 .LBB211_9
; %bb.1:
	s_clause 0x2
	s_load_b32 s3, s[0:1], 0x18
	s_load_b32 s13, s[0:1], 0x30
	s_load_b128 s[16:19], s[0:1], 0x20
	v_dual_mov_b32 v16, 0 :: v_dual_lshlrev_b32 v3, 7, v10
	v_lshlrev_b32_e32 v11, 3, v9
	s_mul_i32 s5, s5, s15
	s_mul_hi_u32 s14, s4, s15
	s_delay_alu instid0(VALU_DEP_2)
	v_add_nc_u32_e32 v13, 0x800, v3
	s_mul_i32 s4, s4, s15
	v_add_nc_u32_e32 v12, v11, v3
	s_add_i32 s5, s14, s5
	v_lshlrev_b32_e32 v5, 3, v10
	s_lshl_b64 s[4:5], s[4:5], 3
	v_cmp_gt_i32_e64 s2, s22, v8
	v_dual_mov_b32 v15, 0 :: v_dual_add_nc_u32 v14, v13, v11
	s_waitcnt lgkmcnt(0)
	v_mad_i64_i32 v[1:2], null, s3, v0, 0
	v_mad_i64_i32 v[3:4], null, s13, v8, 0
	s_mul_i32 s3, s17, s15
	s_mul_hi_u32 s13, s16, s15
	s_mul_i32 s16, s16, s15
	s_add_i32 s17, s13, s3
	s_delay_alu instid0(VALU_DEP_2) | instskip(SKIP_1) | instid1(VALU_DEP_2)
	v_lshlrev_b64 v[1:2], 3, v[1:2]
	s_lshl_b64 s[16:17], s[16:17], 3
	v_lshlrev_b64 v[3:4], 3, v[3:4]
	s_delay_alu instid0(VALU_DEP_2) | instskip(NEXT) | instid1(VALU_DEP_1)
	v_add_co_u32 v1, s3, v1, s16
	v_add_co_ci_u32_e64 v2, s3, s17, v2, s3
	s_delay_alu instid0(VALU_DEP_3) | instskip(NEXT) | instid1(VALU_DEP_1)
	v_add_co_u32 v3, s3, v3, s4
	v_add_co_ci_u32_e64 v4, s3, s5, v4, s3
	s_delay_alu instid0(VALU_DEP_4) | instskip(NEXT) | instid1(VALU_DEP_1)
	v_add_co_u32 v1, s3, v1, v5
	v_add_co_ci_u32_e64 v2, s3, 0, v2, s3
	s_delay_alu instid0(VALU_DEP_4) | instskip(NEXT) | instid1(VALU_DEP_1)
	;; [unrolled: 3-line block ×5, first 2 shown]
	v_add_co_u32 v3, s3, v5, 4
	v_add_co_ci_u32_e64 v4, s3, 0, v6, s3
	v_mov_b32_e32 v5, 0
	s_xor_b32 s3, s2, -1
	s_branch .LBB211_3
.LBB211_2:                              ;   in Loop: Header=BB211_3 Depth=1
	s_or_b32 exec_lo, exec_lo, s2
	s_waitcnt lgkmcnt(0)
	s_barrier
	buffer_gl0_inv
	ds_load_2addr_b64 v[17:20], v11 offset1:16
	ds_load_b128 v[21:24], v13
	ds_load_b128 v[25:28], v13 offset:16
	ds_load_2addr_b64 v[29:32], v11 offset0:32 offset1:48
	ds_load_2addr_b64 v[33:36], v11 offset0:64 offset1:80
	ds_load_b128 v[37:40], v13 offset:32
	ds_load_b128 v[41:44], v13 offset:48
	ds_load_2addr_b64 v[45:48], v11 offset0:96 offset1:112
	ds_load_2addr_b64 v[49:52], v11 offset0:128 offset1:144
	;; [unrolled: 1-line block ×3, first 2 shown]
	ds_load_b128 v[57:60], v13 offset:64
	ds_load_b128 v[61:64], v13 offset:80
	v_add_co_u32 v1, s2, 0x80, v1
	s_delay_alu instid0(VALU_DEP_1) | instskip(SKIP_1) | instid1(VALU_DEP_1)
	v_add_co_ci_u32_e64 v2, s2, 0, v2, s2
	v_add_co_u32 v3, s2, 0x80, v3
	v_add_co_ci_u32_e64 v4, s2, 0, v4, s2
	s_add_i32 s12, s12, 16
	s_waitcnt lgkmcnt(10)
	v_mul_f32_e32 v6, v22, v18
	v_dual_mul_f32 v7, v21, v18 :: v_dual_mul_f32 v18, v24, v20
	s_waitcnt lgkmcnt(8)
	v_dual_mul_f32 v20, v23, v20 :: v_dual_mul_f32 v65, v26, v30
	s_delay_alu instid0(VALU_DEP_2)
	v_dual_mul_f32 v30, v25, v30 :: v_dual_fmac_f32 v7, v22, v17
	s_waitcnt lgkmcnt(6)
	v_dual_mul_f32 v66, v28, v32 :: v_dual_mul_f32 v67, v38, v34
	v_mul_f32_e32 v32, v27, v32
	v_mul_f32_e32 v34, v37, v34
	v_fma_f32 v6, v21, v17, -v6
	v_mul_f32_e32 v17, v39, v36
	v_fma_f32 v18, v23, v19, -v18
	v_add_f32_e32 v7, v15, v7
	s_waitcnt lgkmcnt(4)
	v_mul_f32_e32 v15, v42, v46
	v_add_f32_e32 v6, v16, v6
	v_fmac_f32_e32 v34, v38, v33
	v_fmac_f32_e32 v32, v28, v31
	;; [unrolled: 1-line block ×4, first 2 shown]
	v_fma_f32 v16, v25, v29, -v65
	v_add_f32_e32 v6, v6, v18
	v_fma_f32 v19, v27, v31, -v66
	s_delay_alu instid0(VALU_DEP_4) | instskip(NEXT) | instid1(VALU_DEP_3)
	v_dual_mul_f32 v18, v41, v46 :: v_dual_add_f32 v7, v7, v20
	v_dual_fmac_f32 v17, v40, v35 :: v_dual_add_f32 v6, v6, v16
	v_mul_f32_e32 v21, v40, v36
	v_fma_f32 v20, v37, v33, -v67
	s_delay_alu instid0(VALU_DEP_4)
	v_add_f32_e32 v7, v7, v30
	s_waitcnt lgkmcnt(1)
	v_dual_mul_f32 v23, v57, v50 :: v_dual_add_f32 v6, v6, v19
	v_mul_f32_e32 v19, v43, v48
	v_fma_f32 v21, v39, v35, -v21
	v_add_f32_e32 v7, v7, v32
	s_delay_alu instid0(VALU_DEP_4) | instskip(NEXT) | instid1(VALU_DEP_4)
	v_dual_fmac_f32 v23, v58, v49 :: v_dual_mul_f32 v24, v60, v52
	v_dual_fmac_f32 v19, v44, v47 :: v_dual_fmac_f32 v18, v42, v45
	s_delay_alu instid0(VALU_DEP_3)
	v_dual_add_f32 v7, v7, v34 :: v_dual_mul_f32 v16, v44, v48
	v_fma_f32 v15, v41, v45, -v15
	v_mul_f32_e32 v25, v59, v52
	s_waitcnt lgkmcnt(0)
	v_mul_f32_e32 v31, v61, v54
	v_dual_add_f32 v7, v7, v17 :: v_dual_add_f32 v6, v6, v20
	s_delay_alu instid0(VALU_DEP_3) | instskip(NEXT) | instid1(VALU_DEP_3)
	v_dual_mul_f32 v34, v63, v56 :: v_dual_fmac_f32 v25, v60, v51
	v_fmac_f32_e32 v31, v62, v53
	s_delay_alu instid0(VALU_DEP_3) | instskip(SKIP_3) | instid1(VALU_DEP_4)
	v_dual_add_f32 v7, v7, v18 :: v_dual_add_f32 v6, v6, v21
	v_mul_f32_e32 v20, v58, v50
	v_fma_f32 v21, v43, v47, -v16
	v_mul_f32_e32 v33, v64, v56
	v_add_f32_e32 v7, v7, v19
	v_add_f32_e32 v6, v6, v15
	v_fma_f32 v20, v57, v49, -v20
	ds_load_2addr_b64 v[15:18], v11 offset0:192 offset1:208
	s_cmp_ge_i32 s12, s23
	v_dual_add_f32 v7, v7, v23 :: v_dual_add_f32 v6, v6, v21
	v_fma_f32 v23, v59, v51, -v24
	s_delay_alu instid0(VALU_DEP_2) | instskip(NEXT) | instid1(VALU_DEP_3)
	v_dual_mul_f32 v24, v62, v54 :: v_dual_add_f32 v7, v7, v25
	v_add_f32_e32 v6, v6, v20
	ds_load_b128 v[19:22], v13 offset:96
	v_fma_f32 v32, v61, v53, -v24
	v_fmac_f32_e32 v34, v64, v55
	v_add_f32_e32 v7, v7, v31
	v_add_f32_e32 v6, v6, v23
	ds_load_2addr_b64 v[23:26], v11 offset0:224 offset1:240
	ds_load_b128 v[27:30], v13 offset:112
	v_fma_f32 v31, v63, v55, -v33
	s_waitcnt lgkmcnt(0)
	v_dual_add_f32 v7, v7, v34 :: v_dual_add_f32 v6, v6, v32
	s_barrier
	buffer_gl0_inv
	v_mul_f32_e32 v32, v20, v16
	v_mul_f32_e32 v16, v19, v16
	s_delay_alu instid0(VALU_DEP_2) | instskip(NEXT) | instid1(VALU_DEP_2)
	v_fma_f32 v19, v19, v15, -v32
	v_dual_fmac_f32 v16, v20, v15 :: v_dual_mul_f32 v15, v22, v18
	s_delay_alu instid0(VALU_DEP_1) | instskip(NEXT) | instid1(VALU_DEP_2)
	v_dual_mul_f32 v18, v21, v18 :: v_dual_add_f32 v7, v7, v16
	v_fma_f32 v15, v21, v17, -v15
	s_delay_alu instid0(VALU_DEP_2) | instskip(NEXT) | instid1(VALU_DEP_1)
	v_dual_fmac_f32 v18, v22, v17 :: v_dual_mul_f32 v17, v27, v24
	v_dual_mul_f32 v16, v28, v24 :: v_dual_add_f32 v7, v7, v18
	v_add_f32_e32 v6, v6, v31
	s_delay_alu instid0(VALU_DEP_3) | instskip(NEXT) | instid1(VALU_DEP_1)
	v_dual_fmac_f32 v17, v28, v23 :: v_dual_mul_f32 v18, v29, v26
	v_add_f32_e32 v7, v7, v17
	s_delay_alu instid0(VALU_DEP_2) | instskip(NEXT) | instid1(VALU_DEP_4)
	v_fmac_f32_e32 v18, v30, v25
	v_add_f32_e32 v6, v6, v19
	s_delay_alu instid0(VALU_DEP_1) | instskip(SKIP_2) | instid1(VALU_DEP_2)
	v_add_f32_e32 v6, v6, v15
	v_fma_f32 v15, v27, v23, -v16
	v_mul_f32_e32 v16, v30, v26
	v_add_f32_e32 v6, v6, v15
	s_delay_alu instid0(VALU_DEP_2) | instskip(NEXT) | instid1(VALU_DEP_1)
	v_fma_f32 v15, v29, v25, -v16
	v_dual_add_f32 v16, v6, v15 :: v_dual_add_f32 v15, v7, v18
	s_cbranch_scc1 .LBB211_9
.LBB211_3:                              ; =>This Inner Loop Header: Depth=1
	v_dual_mov_b32 v7, 0 :: v_dual_add_nc_u32 v6, s12, v10
	s_delay_alu instid0(VALU_DEP_1) | instskip(SKIP_1) | instid1(VALU_DEP_2)
	v_cmp_gt_i32_e64 s2, s23, v6
	v_mov_b32_e32 v6, 0
	s_and_b32 s4, vcc_lo, s2
	s_delay_alu instid0(SALU_CYCLE_1)
	s_and_saveexec_b32 s2, s4
	s_cbranch_execz .LBB211_5
; %bb.4:                                ;   in Loop: Header=BB211_3 Depth=1
	global_load_b64 v[6:7], v[3:4], off offset:-4
.LBB211_5:                              ;   in Loop: Header=BB211_3 Depth=1
	s_or_b32 exec_lo, exec_lo, s2
	v_add_nc_u32_e32 v17, s12, v9
	s_waitcnt vmcnt(0)
	ds_store_b64 v12, v[6:7]
	v_cmp_le_i32_e64 s2, s23, v17
	s_delay_alu instid0(VALU_DEP_1) | instskip(NEXT) | instid1(SALU_CYCLE_1)
	s_or_b32 s2, s3, s2
	s_and_saveexec_b32 s4, s2
	s_delay_alu instid0(SALU_CYCLE_1)
	s_xor_b32 s2, exec_lo, s4
	s_cbranch_execz .LBB211_7
; %bb.6:                                ;   in Loop: Header=BB211_3 Depth=1
	v_mov_b32_e32 v6, v5
	ds_store_b64 v14, v[5:6]
.LBB211_7:                              ;   in Loop: Header=BB211_3 Depth=1
	s_and_not1_saveexec_b32 s2, s2
	s_cbranch_execz .LBB211_2
; %bb.8:                                ;   in Loop: Header=BB211_3 Depth=1
	global_load_b64 v[6:7], v[1:2], off
	s_waitcnt vmcnt(0)
	ds_store_b64 v14, v[6:7]
	s_branch .LBB211_2
.LBB211_9:
	v_cmp_le_i32_e32 vcc_lo, v8, v0
	v_cmp_gt_i32_e64 s2, s22, v0
	s_delay_alu instid0(VALU_DEP_1) | instskip(NEXT) | instid1(SALU_CYCLE_1)
	s_and_b32 s2, vcc_lo, s2
	s_and_saveexec_b32 s3, s2
	s_cbranch_execz .LBB211_11
; %bb.10:
	s_clause 0x1
	s_load_b32 s2, s[0:1], 0x50
	s_load_b64 s[0:1], s[0:1], 0x58
	v_ashrrev_i32_e32 v1, 31, v0
	s_delay_alu instid0(VALU_DEP_1)
	v_lshlrev_b64 v[0:1], 3, v[0:1]
	s_waitcnt lgkmcnt(0)
	v_mad_i64_i32 v[2:3], null, s2, v8, 0
	s_mul_i32 s1, s15, s1
	s_mul_hi_u32 s2, s15, s0
	s_mul_i32 s0, s15, s0
	s_add_i32 s1, s2, s1
	s_delay_alu instid0(SALU_CYCLE_1) | instskip(NEXT) | instid1(VALU_DEP_1)
	s_lshl_b64 s[0:1], s[0:1], 3
	v_lshlrev_b64 v[2:3], 3, v[2:3]
	s_add_u32 s0, s20, s0
	s_addc_u32 s1, s21, s1
	s_delay_alu instid0(VALU_DEP_1) | instskip(NEXT) | instid1(VALU_DEP_2)
	v_add_co_u32 v2, vcc_lo, s0, v2
	v_add_co_ci_u32_e32 v3, vcc_lo, s1, v3, vcc_lo
	s_delay_alu instid0(VALU_DEP_2) | instskip(NEXT) | instid1(VALU_DEP_2)
	v_add_co_u32 v0, vcc_lo, v2, v0
	v_add_co_ci_u32_e32 v1, vcc_lo, v3, v1, vcc_lo
	global_load_b64 v[2:3], v[0:1], off
	s_waitcnt vmcnt(0)
	v_mul_f32_e32 v6, s7, v3
	v_mul_f32_e32 v3, s6, v3
	s_delay_alu instid0(VALU_DEP_1) | instskip(NEXT) | instid1(VALU_DEP_3)
	v_fmac_f32_e32 v3, s7, v2
	v_fma_f32 v6, v2, s6, -v6
	v_mul_f32_e32 v5, s8, v15
	s_delay_alu instid0(VALU_DEP_1) | instskip(NEXT) | instid1(VALU_DEP_1)
	v_dual_mul_f32 v4, s9, v15 :: v_dual_fmac_f32 v5, s9, v16
	v_fma_f32 v4, v16, s8, -v4
	s_delay_alu instid0(VALU_DEP_1)
	v_dual_add_f32 v3, v5, v3 :: v_dual_add_f32 v2, v4, v6
	global_store_b64 v[0:1], v[2:3], off
.LBB211_11:
	s_nop 0
	s_sendmsg sendmsg(MSG_DEALLOC_VGPRS)
	s_endpgm
	.section	.rodata,"a",@progbits
	.p2align	6, 0x0
	.amdhsa_kernel _ZL32rocblas_syrkx_herkx_small_kernelIi19rocblas_complex_numIfELi16ELb0ELb0ELc67ELc76EKS1_S1_EviT_T0_PT6_S3_lS6_S3_lS4_PT7_S3_li
		.amdhsa_group_segment_fixed_size 4096
		.amdhsa_private_segment_fixed_size 0
		.amdhsa_kernarg_size 100
		.amdhsa_user_sgpr_count 13
		.amdhsa_user_sgpr_dispatch_ptr 0
		.amdhsa_user_sgpr_queue_ptr 0
		.amdhsa_user_sgpr_kernarg_segment_ptr 1
		.amdhsa_user_sgpr_dispatch_id 0
		.amdhsa_user_sgpr_private_segment_size 0
		.amdhsa_wavefront_size32 1
		.amdhsa_uses_dynamic_stack 0
		.amdhsa_enable_private_segment 0
		.amdhsa_system_sgpr_workgroup_id_x 1
		.amdhsa_system_sgpr_workgroup_id_y 1
		.amdhsa_system_sgpr_workgroup_id_z 1
		.amdhsa_system_sgpr_workgroup_info 0
		.amdhsa_system_vgpr_workitem_id 1
		.amdhsa_next_free_vgpr 68
		.amdhsa_next_free_sgpr 24
		.amdhsa_reserve_vcc 1
		.amdhsa_float_round_mode_32 0
		.amdhsa_float_round_mode_16_64 0
		.amdhsa_float_denorm_mode_32 3
		.amdhsa_float_denorm_mode_16_64 3
		.amdhsa_dx10_clamp 1
		.amdhsa_ieee_mode 1
		.amdhsa_fp16_overflow 0
		.amdhsa_workgroup_processor_mode 1
		.amdhsa_memory_ordered 1
		.amdhsa_forward_progress 0
		.amdhsa_shared_vgpr_count 0
		.amdhsa_exception_fp_ieee_invalid_op 0
		.amdhsa_exception_fp_denorm_src 0
		.amdhsa_exception_fp_ieee_div_zero 0
		.amdhsa_exception_fp_ieee_overflow 0
		.amdhsa_exception_fp_ieee_underflow 0
		.amdhsa_exception_fp_ieee_inexact 0
		.amdhsa_exception_int_div_zero 0
	.end_amdhsa_kernel
	.section	.text._ZL32rocblas_syrkx_herkx_small_kernelIi19rocblas_complex_numIfELi16ELb0ELb0ELc67ELc76EKS1_S1_EviT_T0_PT6_S3_lS6_S3_lS4_PT7_S3_li,"axG",@progbits,_ZL32rocblas_syrkx_herkx_small_kernelIi19rocblas_complex_numIfELi16ELb0ELb0ELc67ELc76EKS1_S1_EviT_T0_PT6_S3_lS6_S3_lS4_PT7_S3_li,comdat
.Lfunc_end211:
	.size	_ZL32rocblas_syrkx_herkx_small_kernelIi19rocblas_complex_numIfELi16ELb0ELb0ELc67ELc76EKS1_S1_EviT_T0_PT6_S3_lS6_S3_lS4_PT7_S3_li, .Lfunc_end211-_ZL32rocblas_syrkx_herkx_small_kernelIi19rocblas_complex_numIfELi16ELb0ELb0ELc67ELc76EKS1_S1_EviT_T0_PT6_S3_lS6_S3_lS4_PT7_S3_li
                                        ; -- End function
	.section	.AMDGPU.csdata,"",@progbits
; Kernel info:
; codeLenInByte = 1548
; NumSgprs: 26
; NumVgprs: 68
; ScratchSize: 0
; MemoryBound: 1
; FloatMode: 240
; IeeeMode: 1
; LDSByteSize: 4096 bytes/workgroup (compile time only)
; SGPRBlocks: 3
; VGPRBlocks: 8
; NumSGPRsForWavesPerEU: 26
; NumVGPRsForWavesPerEU: 68
; Occupancy: 16
; WaveLimiterHint : 0
; COMPUTE_PGM_RSRC2:SCRATCH_EN: 0
; COMPUTE_PGM_RSRC2:USER_SGPR: 13
; COMPUTE_PGM_RSRC2:TRAP_HANDLER: 0
; COMPUTE_PGM_RSRC2:TGID_X_EN: 1
; COMPUTE_PGM_RSRC2:TGID_Y_EN: 1
; COMPUTE_PGM_RSRC2:TGID_Z_EN: 1
; COMPUTE_PGM_RSRC2:TIDIG_COMP_CNT: 1
	.section	.text._ZL32rocblas_syrkx_herkx_small_kernelIi19rocblas_complex_numIfELi16ELb0ELb0ELc78ELc76EKS1_S1_EviT_T0_PT6_S3_lS6_S3_lS4_PT7_S3_li,"axG",@progbits,_ZL32rocblas_syrkx_herkx_small_kernelIi19rocblas_complex_numIfELi16ELb0ELb0ELc78ELc76EKS1_S1_EviT_T0_PT6_S3_lS6_S3_lS4_PT7_S3_li,comdat
	.globl	_ZL32rocblas_syrkx_herkx_small_kernelIi19rocblas_complex_numIfELi16ELb0ELb0ELc78ELc76EKS1_S1_EviT_T0_PT6_S3_lS6_S3_lS4_PT7_S3_li ; -- Begin function _ZL32rocblas_syrkx_herkx_small_kernelIi19rocblas_complex_numIfELi16ELb0ELb0ELc78ELc76EKS1_S1_EviT_T0_PT6_S3_lS6_S3_lS4_PT7_S3_li
	.p2align	8
	.type	_ZL32rocblas_syrkx_herkx_small_kernelIi19rocblas_complex_numIfELi16ELb0ELb0ELc78ELc76EKS1_S1_EviT_T0_PT6_S3_lS6_S3_lS4_PT7_S3_li,@function
_ZL32rocblas_syrkx_herkx_small_kernelIi19rocblas_complex_numIfELi16ELb0ELb0ELc78ELc76EKS1_S1_EviT_T0_PT6_S3_lS6_S3_lS4_PT7_S3_li: ; @_ZL32rocblas_syrkx_herkx_small_kernelIi19rocblas_complex_numIfELi16ELb0ELb0ELc78ELc76EKS1_S1_EviT_T0_PT6_S3_lS6_S3_lS4_PT7_S3_li
; %bb.0:
	s_clause 0x3
	s_load_b64 s[22:23], s[0:1], 0x0
	s_load_b128 s[8:11], s[0:1], 0x8
	s_load_b128 s[4:7], s[0:1], 0x38
	s_load_b64 s[20:21], s[0:1], 0x48
	v_dual_mov_b32 v17, 0 :: v_dual_and_b32 v10, 0x3ff, v0
	v_bfe_u32 v11, v0, 10, 10
	v_mov_b32_e32 v16, 0
	s_mov_b32 s12, 0
	s_delay_alu instid0(VALU_DEP_3) | instskip(NEXT) | instid1(VALU_DEP_3)
	v_lshl_add_u32 v0, s13, 4, v10
	v_lshl_add_u32 v2, s14, 4, v11
	s_delay_alu instid0(VALU_DEP_2)
	v_ashrrev_i32_e32 v1, 31, v0
	s_waitcnt lgkmcnt(0)
	v_cmp_gt_i32_e64 s2, s22, v0
	s_cmp_lt_i32 s23, 1
	s_cbranch_scc1 .LBB212_9
; %bb.1:
	s_clause 0x2
	s_load_b32 s24, s[0:1], 0x30
	s_load_b32 s26, s[0:1], 0x18
	s_load_b128 s[16:19], s[0:1], 0x20
	v_lshlrev_b32_e32 v8, 7, v11
	v_lshlrev_b32_e32 v12, 3, v10
	v_ashrrev_i32_e32 v3, 31, v2
	s_mul_i32 s3, s5, s15
	s_mul_hi_u32 s5, s4, s15
	s_mul_i32 s4, s4, s15
	s_add_i32 s5, s5, s3
	v_add_nc_u32_e32 v13, 0x800, v8
	s_lshl_b64 s[4:5], s[4:5], 3
	v_add_nc_u32_e32 v14, v12, v8
	v_lshlrev_b64 v[8:9], 3, v[2:3]
	v_lshlrev_b64 v[4:5], 3, v[0:1]
	v_cmp_gt_i32_e32 vcc_lo, s22, v2
	s_waitcnt lgkmcnt(0)
	v_mad_i64_i32 v[6:7], null, s24, v10, 0
	v_mad_i64_i32 v[16:17], null, s26, v11, 0
	s_mul_i32 s3, s17, s15
	s_mul_hi_u32 s13, s16, s15
	s_mul_i32 s16, s16, s15
	s_add_i32 s17, s13, s3
	s_delay_alu instid0(VALU_DEP_2) | instskip(SKIP_3) | instid1(VALU_DEP_1)
	v_lshlrev_b64 v[6:7], 3, v[6:7]
	s_lshl_b64 s[16:17], s[16:17], 3
	s_ashr_i32 s27, s26, 31
	s_ashr_i32 s25, s24, 31
	v_add_co_u32 v3, s3, s4, v6
	s_delay_alu instid0(VALU_DEP_1) | instskip(SKIP_2) | instid1(VALU_DEP_4)
	v_add_co_ci_u32_e64 v18, s3, s5, v7, s3
	v_lshlrev_b64 v[6:7], 3, v[16:17]
	v_mov_b32_e32 v16, 0
	v_add_co_u32 v3, s3, v3, v8
	s_delay_alu instid0(VALU_DEP_1) | instskip(NEXT) | instid1(VALU_DEP_4)
	v_add_co_ci_u32_e64 v8, s3, v18, v9, s3
	v_add_co_u32 v6, s3, s16, v6
	s_delay_alu instid0(VALU_DEP_1) | instskip(NEXT) | instid1(VALU_DEP_4)
	v_add_co_ci_u32_e64 v7, s3, s17, v7, s3
	v_add_co_u32 v3, s3, v3, s18
	s_delay_alu instid0(VALU_DEP_1) | instskip(NEXT) | instid1(VALU_DEP_4)
	v_add_co_ci_u32_e64 v8, s3, s19, v8, s3
	v_add_co_u32 v6, s3, v6, v4
	s_delay_alu instid0(VALU_DEP_1) | instskip(NEXT) | instid1(VALU_DEP_4)
	v_add_co_ci_u32_e64 v7, s3, v7, v5, s3
	v_add_co_u32 v3, s3, v3, 4
	s_delay_alu instid0(VALU_DEP_1) | instskip(NEXT) | instid1(VALU_DEP_4)
	v_add_co_ci_u32_e64 v4, s3, 0, v8, s3
	v_add_co_u32 v5, s3, s10, v6
	s_delay_alu instid0(VALU_DEP_1)
	v_add_co_ci_u32_e64 v6, s3, s11, v7, s3
	v_mov_b32_e32 v7, 0
	v_mov_b32_e32 v17, 0
	v_add_nc_u32_e32 v15, v13, v12
	s_lshl_b64 s[4:5], s[24:25], 7
	s_lshl_b64 s[10:11], s[26:27], 7
	s_xor_b32 s3, s2, -1
	s_branch .LBB212_3
.LBB212_2:                              ;   in Loop: Header=BB212_3 Depth=1
	s_or_b32 exec_lo, exec_lo, s2
	s_waitcnt vmcnt(0)
	ds_store_b64 v15, v[8:9]
	s_waitcnt lgkmcnt(0)
	s_barrier
	buffer_gl0_inv
	ds_load_2addr_b64 v[18:21], v12 offset1:16
	ds_load_b128 v[22:25], v13
	ds_load_b128 v[26:29], v13 offset:16
	ds_load_2addr_b64 v[30:33], v12 offset0:32 offset1:48
	ds_load_2addr_b64 v[34:37], v12 offset0:64 offset1:80
	ds_load_b128 v[38:41], v13 offset:32
	ds_load_b128 v[42:45], v13 offset:48
	ds_load_2addr_b64 v[46:49], v12 offset0:96 offset1:112
	ds_load_2addr_b64 v[50:53], v12 offset0:128 offset1:144
	;; [unrolled: 1-line block ×3, first 2 shown]
	ds_load_b128 v[58:61], v13 offset:64
	ds_load_b128 v[62:65], v13 offset:80
	v_add_co_u32 v3, s2, v3, s4
	s_delay_alu instid0(VALU_DEP_1) | instskip(SKIP_1) | instid1(VALU_DEP_1)
	v_add_co_ci_u32_e64 v4, s2, s5, v4, s2
	v_add_co_u32 v5, s2, v5, s10
	v_add_co_ci_u32_e64 v6, s2, s11, v6, s2
	s_add_i32 s12, s12, 16
	s_waitcnt lgkmcnt(10)
	v_mul_f32_e32 v8, v23, v19
	v_mul_f32_e32 v9, v22, v19
	;; [unrolled: 1-line block ×3, first 2 shown]
	s_waitcnt lgkmcnt(8)
	v_dual_mul_f32 v21, v24, v21 :: v_dual_mul_f32 v66, v27, v31
	v_fma_f32 v8, v22, v18, -v8
	s_waitcnt lgkmcnt(6)
	v_dual_mul_f32 v67, v29, v33 :: v_dual_mul_f32 v68, v39, v35
	v_dual_mul_f32 v33, v28, v33 :: v_dual_mul_f32 v22, v38, v35
	s_delay_alu instid0(VALU_DEP_3)
	v_dual_add_f32 v8, v17, v8 :: v_dual_fmac_f32 v9, v23, v18
	v_fma_f32 v18, v24, v20, -v19
	v_mul_f32_e32 v31, v26, v31
	v_fma_f32 v19, v28, v32, -v67
	v_mul_f32_e32 v35, v41, v37
	v_dual_add_f32 v9, v16, v9 :: v_dual_fmac_f32 v22, v39, v34
	v_fma_f32 v16, v26, v30, -v66
	v_add_f32_e32 v8, v8, v18
	s_waitcnt lgkmcnt(4)
	v_dual_mul_f32 v17, v40, v37 :: v_dual_mul_f32 v18, v43, v47
	s_waitcnt lgkmcnt(0)
	v_dual_fmac_f32 v33, v29, v32 :: v_dual_mul_f32 v32, v62, v55
	v_add_f32_e32 v8, v8, v16
	v_dual_fmac_f32 v21, v25, v20 :: v_dual_mul_f32 v16, v42, v47
	v_fma_f32 v20, v38, v34, -v68
	v_fma_f32 v18, v42, v46, -v18
	s_delay_alu instid0(VALU_DEP_4) | instskip(NEXT) | instid1(VALU_DEP_4)
	v_dual_add_f32 v8, v8, v19 :: v_dual_fmac_f32 v31, v27, v30
	v_dual_add_f32 v9, v9, v21 :: v_dual_fmac_f32 v16, v43, v46
	v_fma_f32 v21, v40, v36, -v35
	s_delay_alu instid0(VALU_DEP_3) | instskip(NEXT) | instid1(VALU_DEP_3)
	v_add_f32_e32 v8, v8, v20
	v_dual_mul_f32 v20, v44, v49 :: v_dual_add_f32 v9, v9, v31
	v_dual_mul_f32 v24, v58, v51 :: v_dual_fmac_f32 v17, v41, v36
	s_delay_alu instid0(VALU_DEP_3) | instskip(SKIP_1) | instid1(VALU_DEP_3)
	v_add_f32_e32 v8, v8, v21
	v_mul_f32_e32 v19, v45, v49
	v_dual_add_f32 v9, v9, v33 :: v_dual_fmac_f32 v24, v59, v50
	v_dual_mul_f32 v21, v59, v51 :: v_dual_fmac_f32 v20, v45, v48
	s_delay_alu instid0(VALU_DEP_4) | instskip(NEXT) | instid1(VALU_DEP_3)
	v_add_f32_e32 v8, v8, v18
	v_add_f32_e32 v9, v9, v22
	v_mul_f32_e32 v25, v61, v53
	v_mul_f32_e32 v26, v60, v53
	s_cmp_ge_i32 s12, s23
	s_delay_alu instid0(VALU_DEP_3) | instskip(SKIP_1) | instid1(VALU_DEP_3)
	v_dual_fmac_f32 v32, v63, v54 :: v_dual_add_f32 v9, v9, v17
	v_fma_f32 v17, v44, v48, -v19
	v_fmac_f32_e32 v26, v61, v52
	s_delay_alu instid0(VALU_DEP_3) | instskip(SKIP_1) | instid1(VALU_DEP_2)
	v_add_f32_e32 v9, v9, v16
	v_fma_f32 v16, v58, v50, -v21
	v_dual_add_f32 v8, v8, v17 :: v_dual_add_f32 v9, v9, v20
	s_delay_alu instid0(VALU_DEP_1)
	v_add_f32_e32 v8, v8, v16
	ds_load_2addr_b64 v[16:19], v12 offset0:192 offset1:208
	ds_load_b128 v[20:23], v13 offset:96
	v_mul_f32_e32 v34, v65, v57
	v_add_f32_e32 v9, v9, v24
	v_fma_f32 v24, v60, v52, -v25
	v_mul_f32_e32 v25, v63, v55
	v_mul_f32_e32 v35, v64, v57
	s_delay_alu instid0(VALU_DEP_3) | instskip(NEXT) | instid1(VALU_DEP_3)
	v_add_f32_e32 v8, v8, v24
	v_fma_f32 v33, v62, v54, -v25
	s_delay_alu instid0(VALU_DEP_1)
	v_dual_add_f32 v8, v8, v33 :: v_dual_add_f32 v9, v9, v26
	ds_load_2addr_b64 v[24:27], v12 offset0:224 offset1:240
	ds_load_b128 v[28:31], v13 offset:112
	s_waitcnt lgkmcnt(0)
	s_barrier
	buffer_gl0_inv
	v_mul_f32_e32 v33, v21, v17
	v_mul_f32_e32 v17, v20, v17
	v_add_f32_e32 v9, v9, v32
	s_delay_alu instid0(VALU_DEP_3) | instskip(NEXT) | instid1(VALU_DEP_3)
	v_fma_f32 v20, v20, v16, -v33
	v_dual_fmac_f32 v17, v21, v16 :: v_dual_mul_f32 v16, v23, v19
	v_fmac_f32_e32 v35, v65, v56
	v_mul_f32_e32 v19, v22, v19
	v_fma_f32 v32, v64, v56, -v34
	s_delay_alu instid0(VALU_DEP_4) | instskip(NEXT) | instid1(VALU_DEP_2)
	v_fma_f32 v16, v22, v18, -v16
	v_dual_fmac_f32 v19, v23, v18 :: v_dual_add_f32 v8, v8, v32
	v_dual_mul_f32 v18, v28, v25 :: v_dual_add_f32 v9, v9, v35
	s_delay_alu instid0(VALU_DEP_2) | instskip(NEXT) | instid1(VALU_DEP_2)
	v_add_f32_e32 v8, v8, v20
	v_fmac_f32_e32 v18, v29, v24
	s_delay_alu instid0(VALU_DEP_3) | instskip(NEXT) | instid1(VALU_DEP_3)
	v_add_f32_e32 v9, v9, v17
	v_dual_mul_f32 v17, v29, v25 :: v_dual_add_f32 v8, v8, v16
	s_delay_alu instid0(VALU_DEP_1) | instskip(NEXT) | instid1(VALU_DEP_1)
	v_fma_f32 v16, v28, v24, -v17
	v_dual_mul_f32 v17, v31, v27 :: v_dual_add_f32 v8, v8, v16
	s_delay_alu instid0(VALU_DEP_4) | instskip(SKIP_1) | instid1(VALU_DEP_3)
	v_add_f32_e32 v9, v9, v19
	v_mul_f32_e32 v19, v30, v27
	v_fma_f32 v16, v30, v26, -v17
	s_delay_alu instid0(VALU_DEP_3) | instskip(NEXT) | instid1(VALU_DEP_3)
	v_add_f32_e32 v9, v9, v18
	v_fmac_f32_e32 v19, v31, v26
	s_delay_alu instid0(VALU_DEP_1)
	v_dual_add_f32 v17, v8, v16 :: v_dual_add_f32 v16, v9, v19
	s_cbranch_scc1 .LBB212_9
.LBB212_3:                              ; =>This Inner Loop Header: Depth=1
	v_add_nc_u32_e32 v8, s12, v11
	s_delay_alu instid0(VALU_DEP_1) | instskip(NEXT) | instid1(VALU_DEP_1)
	v_cmp_le_i32_e64 s2, s23, v8
	s_or_b32 s2, s3, s2
	s_delay_alu instid0(SALU_CYCLE_1) | instskip(NEXT) | instid1(SALU_CYCLE_1)
	s_and_saveexec_b32 s13, s2
	s_xor_b32 s2, exec_lo, s13
	s_cbranch_execz .LBB212_5
; %bb.4:                                ;   in Loop: Header=BB212_3 Depth=1
	v_mov_b32_e32 v8, v7
	ds_store_b64 v14, v[7:8]
.LBB212_5:                              ;   in Loop: Header=BB212_3 Depth=1
	s_and_not1_saveexec_b32 s2, s2
	s_cbranch_execz .LBB212_7
; %bb.6:                                ;   in Loop: Header=BB212_3 Depth=1
	global_load_b64 v[8:9], v[5:6], off
	s_waitcnt vmcnt(0)
	ds_store_b64 v14, v[8:9]
.LBB212_7:                              ;   in Loop: Header=BB212_3 Depth=1
	s_or_b32 exec_lo, exec_lo, s2
	v_dual_mov_b32 v9, 0 :: v_dual_add_nc_u32 v8, s12, v10
	s_delay_alu instid0(VALU_DEP_1) | instskip(SKIP_1) | instid1(VALU_DEP_2)
	v_cmp_gt_i32_e64 s2, s23, v8
	v_mov_b32_e32 v8, 0
	s_and_b32 s13, vcc_lo, s2
	s_delay_alu instid0(SALU_CYCLE_1)
	s_and_saveexec_b32 s2, s13
	s_cbranch_execz .LBB212_2
; %bb.8:                                ;   in Loop: Header=BB212_3 Depth=1
	global_load_b64 v[8:9], v[3:4], off offset:-4
	s_branch .LBB212_2
.LBB212_9:
	v_cmp_le_i32_e32 vcc_lo, v2, v0
	v_cmp_gt_i32_e64 s2, s22, v0
	s_delay_alu instid0(VALU_DEP_1) | instskip(NEXT) | instid1(SALU_CYCLE_1)
	s_and_b32 s2, vcc_lo, s2
	s_and_saveexec_b32 s3, s2
	s_cbranch_execz .LBB212_11
; %bb.10:
	s_clause 0x1
	s_load_b32 s2, s[0:1], 0x50
	s_load_b64 s[0:1], s[0:1], 0x58
	v_lshlrev_b64 v[0:1], 3, v[0:1]
	s_waitcnt lgkmcnt(0)
	v_mad_i64_i32 v[3:4], null, s2, v2, 0
	s_mul_i32 s1, s15, s1
	s_mul_hi_u32 s2, s15, s0
	s_mul_i32 s0, s15, s0
	s_add_i32 s1, s2, s1
	s_delay_alu instid0(SALU_CYCLE_1) | instskip(NEXT) | instid1(VALU_DEP_1)
	s_lshl_b64 s[0:1], s[0:1], 3
	v_lshlrev_b64 v[2:3], 3, v[3:4]
	s_add_u32 s0, s20, s0
	s_addc_u32 s1, s21, s1
	s_delay_alu instid0(VALU_DEP_1) | instskip(NEXT) | instid1(VALU_DEP_2)
	v_add_co_u32 v2, vcc_lo, s0, v2
	v_add_co_ci_u32_e32 v3, vcc_lo, s1, v3, vcc_lo
	s_delay_alu instid0(VALU_DEP_2) | instskip(NEXT) | instid1(VALU_DEP_2)
	v_add_co_u32 v0, vcc_lo, v2, v0
	v_add_co_ci_u32_e32 v1, vcc_lo, v3, v1, vcc_lo
	global_load_b64 v[2:3], v[0:1], off
	v_mul_f32_e32 v4, s9, v16
	s_waitcnt vmcnt(0)
	v_dual_mul_f32 v5, s8, v16 :: v_dual_mul_f32 v6, s7, v3
	v_mul_f32_e32 v3, s6, v3
	s_delay_alu instid0(VALU_DEP_3) | instskip(NEXT) | instid1(VALU_DEP_3)
	v_fma_f32 v4, v17, s8, -v4
	v_fma_f32 v6, v2, s6, -v6
	s_delay_alu instid0(VALU_DEP_4) | instskip(NEXT) | instid1(VALU_DEP_4)
	v_fmac_f32_e32 v5, s9, v17
	v_fmac_f32_e32 v3, s7, v2
	s_delay_alu instid0(VALU_DEP_1)
	v_dual_add_f32 v2, v4, v6 :: v_dual_add_f32 v3, v5, v3
	global_store_b64 v[0:1], v[2:3], off
.LBB212_11:
	s_nop 0
	s_sendmsg sendmsg(MSG_DEALLOC_VGPRS)
	s_endpgm
	.section	.rodata,"a",@progbits
	.p2align	6, 0x0
	.amdhsa_kernel _ZL32rocblas_syrkx_herkx_small_kernelIi19rocblas_complex_numIfELi16ELb0ELb0ELc78ELc76EKS1_S1_EviT_T0_PT6_S3_lS6_S3_lS4_PT7_S3_li
		.amdhsa_group_segment_fixed_size 4096
		.amdhsa_private_segment_fixed_size 0
		.amdhsa_kernarg_size 100
		.amdhsa_user_sgpr_count 13
		.amdhsa_user_sgpr_dispatch_ptr 0
		.amdhsa_user_sgpr_queue_ptr 0
		.amdhsa_user_sgpr_kernarg_segment_ptr 1
		.amdhsa_user_sgpr_dispatch_id 0
		.amdhsa_user_sgpr_private_segment_size 0
		.amdhsa_wavefront_size32 1
		.amdhsa_uses_dynamic_stack 0
		.amdhsa_enable_private_segment 0
		.amdhsa_system_sgpr_workgroup_id_x 1
		.amdhsa_system_sgpr_workgroup_id_y 1
		.amdhsa_system_sgpr_workgroup_id_z 1
		.amdhsa_system_sgpr_workgroup_info 0
		.amdhsa_system_vgpr_workitem_id 1
		.amdhsa_next_free_vgpr 69
		.amdhsa_next_free_sgpr 28
		.amdhsa_reserve_vcc 1
		.amdhsa_float_round_mode_32 0
		.amdhsa_float_round_mode_16_64 0
		.amdhsa_float_denorm_mode_32 3
		.amdhsa_float_denorm_mode_16_64 3
		.amdhsa_dx10_clamp 1
		.amdhsa_ieee_mode 1
		.amdhsa_fp16_overflow 0
		.amdhsa_workgroup_processor_mode 1
		.amdhsa_memory_ordered 1
		.amdhsa_forward_progress 0
		.amdhsa_shared_vgpr_count 0
		.amdhsa_exception_fp_ieee_invalid_op 0
		.amdhsa_exception_fp_denorm_src 0
		.amdhsa_exception_fp_ieee_div_zero 0
		.amdhsa_exception_fp_ieee_overflow 0
		.amdhsa_exception_fp_ieee_underflow 0
		.amdhsa_exception_fp_ieee_inexact 0
		.amdhsa_exception_int_div_zero 0
	.end_amdhsa_kernel
	.section	.text._ZL32rocblas_syrkx_herkx_small_kernelIi19rocblas_complex_numIfELi16ELb0ELb0ELc78ELc76EKS1_S1_EviT_T0_PT6_S3_lS6_S3_lS4_PT7_S3_li,"axG",@progbits,_ZL32rocblas_syrkx_herkx_small_kernelIi19rocblas_complex_numIfELi16ELb0ELb0ELc78ELc76EKS1_S1_EviT_T0_PT6_S3_lS6_S3_lS4_PT7_S3_li,comdat
.Lfunc_end212:
	.size	_ZL32rocblas_syrkx_herkx_small_kernelIi19rocblas_complex_numIfELi16ELb0ELb0ELc78ELc76EKS1_S1_EviT_T0_PT6_S3_lS6_S3_lS4_PT7_S3_li, .Lfunc_end212-_ZL32rocblas_syrkx_herkx_small_kernelIi19rocblas_complex_numIfELi16ELb0ELb0ELc78ELc76EKS1_S1_EviT_T0_PT6_S3_lS6_S3_lS4_PT7_S3_li
                                        ; -- End function
	.section	.AMDGPU.csdata,"",@progbits
; Kernel info:
; codeLenInByte = 1572
; NumSgprs: 30
; NumVgprs: 69
; ScratchSize: 0
; MemoryBound: 1
; FloatMode: 240
; IeeeMode: 1
; LDSByteSize: 4096 bytes/workgroup (compile time only)
; SGPRBlocks: 3
; VGPRBlocks: 8
; NumSGPRsForWavesPerEU: 30
; NumVGPRsForWavesPerEU: 69
; Occupancy: 16
; WaveLimiterHint : 0
; COMPUTE_PGM_RSRC2:SCRATCH_EN: 0
; COMPUTE_PGM_RSRC2:USER_SGPR: 13
; COMPUTE_PGM_RSRC2:TRAP_HANDLER: 0
; COMPUTE_PGM_RSRC2:TGID_X_EN: 1
; COMPUTE_PGM_RSRC2:TGID_Y_EN: 1
; COMPUTE_PGM_RSRC2:TGID_Z_EN: 1
; COMPUTE_PGM_RSRC2:TIDIG_COMP_CNT: 1
	.section	.text._ZL32rocblas_syrkx_herkx_small_kernelIi19rocblas_complex_numIfELi16ELb0ELb0ELc84ELc85EKS1_S1_EviT_T0_PT6_S3_lS6_S3_lS4_PT7_S3_li,"axG",@progbits,_ZL32rocblas_syrkx_herkx_small_kernelIi19rocblas_complex_numIfELi16ELb0ELb0ELc84ELc85EKS1_S1_EviT_T0_PT6_S3_lS6_S3_lS4_PT7_S3_li,comdat
	.globl	_ZL32rocblas_syrkx_herkx_small_kernelIi19rocblas_complex_numIfELi16ELb0ELb0ELc84ELc85EKS1_S1_EviT_T0_PT6_S3_lS6_S3_lS4_PT7_S3_li ; -- Begin function _ZL32rocblas_syrkx_herkx_small_kernelIi19rocblas_complex_numIfELi16ELb0ELb0ELc84ELc85EKS1_S1_EviT_T0_PT6_S3_lS6_S3_lS4_PT7_S3_li
	.p2align	8
	.type	_ZL32rocblas_syrkx_herkx_small_kernelIi19rocblas_complex_numIfELi16ELb0ELb0ELc84ELc85EKS1_S1_EviT_T0_PT6_S3_lS6_S3_lS4_PT7_S3_li,@function
_ZL32rocblas_syrkx_herkx_small_kernelIi19rocblas_complex_numIfELi16ELb0ELb0ELc84ELc85EKS1_S1_EviT_T0_PT6_S3_lS6_S3_lS4_PT7_S3_li: ; @_ZL32rocblas_syrkx_herkx_small_kernelIi19rocblas_complex_numIfELi16ELb0ELb0ELc84ELc85EKS1_S1_EviT_T0_PT6_S3_lS6_S3_lS4_PT7_S3_li
; %bb.0:
	s_clause 0x3
	s_load_b64 s[22:23], s[0:1], 0x0
	s_load_b128 s[8:11], s[0:1], 0x8
	s_load_b128 s[4:7], s[0:1], 0x38
	s_load_b64 s[20:21], s[0:1], 0x48
	v_bfe_u32 v8, v0, 10, 10
	v_dual_mov_b32 v14, 0 :: v_dual_and_b32 v9, 0x3ff, v0
	v_mov_b32_e32 v15, 0
	s_mov_b32 s12, 0
	s_delay_alu instid0(VALU_DEP_3) | instskip(NEXT) | instid1(VALU_DEP_3)
	v_lshl_add_u32 v7, s14, 4, v8
	v_lshl_add_u32 v0, s13, 4, v9
	s_waitcnt lgkmcnt(0)
	s_delay_alu instid0(VALU_DEP_2)
	v_cmp_gt_i32_e32 vcc_lo, s22, v7
	s_cmp_lt_i32 s23, 1
	s_cbranch_scc1 .LBB213_11
; %bb.1:
	s_clause 0x2
	s_load_b32 s3, s[0:1], 0x30
	s_load_b32 s13, s[0:1], 0x18
	s_load_b128 s[16:19], s[0:1], 0x20
	v_dual_mov_b32 v14, 0 :: v_dual_lshlrev_b32 v3, 7, v8
	v_lshlrev_b32_e32 v10, 3, v9
	s_mul_i32 s5, s5, s15
	s_mul_hi_u32 s14, s4, s15
	s_delay_alu instid0(VALU_DEP_2) | instskip(NEXT) | instid1(VALU_DEP_2)
	v_dual_mov_b32 v15, 0 :: v_dual_add_nc_u32 v12, 0x800, v3
	v_add_nc_u32_e32 v11, v10, v3
	s_mul_i32 s4, s4, s15
	s_add_i32 s5, s14, s5
	v_lshlrev_b32_e32 v5, 3, v8
	s_lshl_b64 s[4:5], s[4:5], 3
	v_cmp_gt_i32_e64 s2, s22, v0
	s_delay_alu instid0(VALU_DEP_1)
	s_xor_b32 s2, s2, -1
	s_waitcnt lgkmcnt(0)
	v_mad_i64_i32 v[1:2], null, s3, v7, 0
	v_mad_i64_i32 v[3:4], null, s13, v0, 0
	s_mul_i32 s3, s17, s15
	s_mul_hi_u32 s13, s16, s15
	s_mul_i32 s16, s16, s15
	s_add_i32 s17, s13, s3
	s_delay_alu instid0(VALU_DEP_2) | instskip(SKIP_1) | instid1(VALU_DEP_2)
	v_lshlrev_b64 v[1:2], 3, v[1:2]
	s_lshl_b64 s[16:17], s[16:17], 3
	v_lshlrev_b64 v[3:4], 3, v[3:4]
	s_delay_alu instid0(VALU_DEP_2) | instskip(NEXT) | instid1(VALU_DEP_1)
	v_add_co_u32 v1, s3, v1, s4
	v_add_co_ci_u32_e64 v2, s3, s5, v2, s3
	s_delay_alu instid0(VALU_DEP_3) | instskip(NEXT) | instid1(VALU_DEP_1)
	v_add_co_u32 v3, s3, v3, s16
	v_add_co_ci_u32_e64 v4, s3, s17, v4, s3
	s_delay_alu instid0(VALU_DEP_4) | instskip(NEXT) | instid1(VALU_DEP_1)
	v_add_co_u32 v1, s3, v1, v10
	v_add_co_ci_u32_e64 v2, s3, 0, v2, s3
	s_delay_alu instid0(VALU_DEP_4) | instskip(NEXT) | instid1(VALU_DEP_1)
	;; [unrolled: 3-line block ×4, first 2 shown]
	v_add_co_u32 v3, s3, s10, v3
	v_add_co_ci_u32_e64 v4, s3, s11, v4, s3
	v_mov_b32_e32 v5, 0
	v_add_nc_u32_e32 v13, v12, v10
	s_xor_b32 s3, vcc_lo, -1
	s_branch .LBB213_3
.LBB213_2:                              ;   in Loop: Header=BB213_3 Depth=1
	s_or_b32 exec_lo, exec_lo, s4
	s_waitcnt lgkmcnt(0)
	s_barrier
	buffer_gl0_inv
	ds_load_2addr_b64 v[16:19], v10 offset1:16
	ds_load_b128 v[20:23], v12
	ds_load_b128 v[24:27], v12 offset:16
	ds_load_2addr_b64 v[28:31], v10 offset0:32 offset1:48
	ds_load_2addr_b64 v[32:35], v10 offset0:64 offset1:80
	ds_load_b128 v[36:39], v12 offset:32
	ds_load_b128 v[40:43], v12 offset:48
	ds_load_2addr_b64 v[44:47], v10 offset0:96 offset1:112
	ds_load_2addr_b64 v[48:51], v10 offset0:128 offset1:144
	;; [unrolled: 1-line block ×3, first 2 shown]
	ds_load_b128 v[56:59], v12 offset:64
	ds_load_b128 v[60:63], v12 offset:80
	v_add_co_u32 v1, vcc_lo, 0x80, v1
	v_add_co_ci_u32_e32 v2, vcc_lo, 0, v2, vcc_lo
	v_add_co_u32 v3, vcc_lo, 0x80, v3
	v_add_co_ci_u32_e32 v4, vcc_lo, 0, v4, vcc_lo
	s_add_i32 s12, s12, 16
	s_waitcnt lgkmcnt(10)
	v_mul_f32_e32 v6, v21, v17
	v_dual_mul_f32 v17, v20, v17 :: v_dual_mul_f32 v64, v23, v19
	v_mul_f32_e32 v19, v22, v19
	s_waitcnt lgkmcnt(8)
	v_dual_mul_f32 v65, v25, v29 :: v_dual_mul_f32 v66, v27, v31
	v_fma_f32 v6, v20, v16, -v6
	v_mul_f32_e32 v31, v26, v31
	s_waitcnt lgkmcnt(6)
	v_dual_mul_f32 v29, v24, v29 :: v_dual_mul_f32 v20, v39, v35
	s_delay_alu instid0(VALU_DEP_3) | instskip(SKIP_2) | instid1(VALU_DEP_4)
	v_dual_mul_f32 v67, v37, v33 :: v_dual_add_f32 v6, v15, v6
	v_fmac_f32_e32 v17, v21, v16
	v_fma_f32 v21, v22, v18, -v64
	v_dual_fmac_f32 v29, v25, v28 :: v_dual_mul_f32 v16, v38, v35
	v_fma_f32 v20, v38, v34, -v20
	s_delay_alu instid0(VALU_DEP_3)
	v_dual_fmac_f32 v31, v27, v30 :: v_dual_add_f32 v6, v6, v21
	v_dual_fmac_f32 v19, v23, v18 :: v_dual_add_f32 v14, v14, v17
	v_fma_f32 v17, v24, v28, -v65
	v_mul_f32_e32 v33, v36, v33
	s_waitcnt lgkmcnt(4)
	v_mul_f32_e32 v18, v40, v45
	v_fma_f32 v21, v36, v32, -v67
	v_add_f32_e32 v14, v14, v19
	v_fma_f32 v19, v26, v30, -v66
	v_add_f32_e32 v6, v6, v17
	v_mul_f32_e32 v15, v41, v45
	s_delay_alu instid0(VALU_DEP_4) | instskip(NEXT) | instid1(VALU_DEP_3)
	v_dual_mul_f32 v17, v43, v47 :: v_dual_add_f32 v14, v14, v29
	v_dual_fmac_f32 v33, v37, v32 :: v_dual_add_f32 v6, v6, v19
	v_dual_mul_f32 v19, v42, v47 :: v_dual_fmac_f32 v16, v39, v34
	s_delay_alu instid0(VALU_DEP_3) | instskip(SKIP_1) | instid1(VALU_DEP_3)
	v_add_f32_e32 v14, v14, v31
	v_fma_f32 v15, v40, v44, -v15
	v_dual_add_f32 v6, v6, v21 :: v_dual_fmac_f32 v19, v43, v46
	s_waitcnt lgkmcnt(1)
	v_mul_f32_e32 v21, v57, v49
	v_dual_fmac_f32 v18, v41, v44 :: v_dual_mul_f32 v25, v58, v51
	v_add_f32_e32 v14, v14, v33
	v_add_f32_e32 v6, v6, v20
	v_fma_f32 v20, v42, v46, -v17
	v_fma_f32 v21, v56, v48, -v21
	s_delay_alu instid0(VALU_DEP_4)
	v_dual_fmac_f32 v25, v59, v50 :: v_dual_add_f32 v14, v14, v16
	s_waitcnt lgkmcnt(0)
	v_mul_f32_e32 v33, v63, v55
	v_add_f32_e32 v6, v6, v15
	v_mul_f32_e32 v34, v62, v55
	s_cmp_ge_i32 s12, s23
	v_add_f32_e32 v18, v14, v18
	v_mul_f32_e32 v22, v56, v49
	v_add_f32_e32 v6, v6, v20
	ds_load_2addr_b64 v[14:17], v10 offset0:192 offset1:208
	v_dual_fmac_f32 v34, v63, v54 :: v_dual_add_f32 v23, v18, v19
	v_add_f32_e32 v6, v6, v21
	ds_load_b128 v[18:21], v12 offset:96
	v_fmac_f32_e32 v22, v57, v48
	s_delay_alu instid0(VALU_DEP_1) | instskip(NEXT) | instid1(VALU_DEP_1)
	v_add_f32_e32 v22, v23, v22
	v_dual_mul_f32 v24, v59, v51 :: v_dual_add_f32 v31, v22, v25
	s_delay_alu instid0(VALU_DEP_1) | instskip(SKIP_1) | instid1(VALU_DEP_2)
	v_fma_f32 v23, v58, v50, -v24
	v_mul_f32_e32 v24, v61, v53
	v_add_f32_e32 v6, v6, v23
	s_delay_alu instid0(VALU_DEP_2)
	v_fma_f32 v32, v60, v52, -v24
	ds_load_2addr_b64 v[22:25], v10 offset0:224 offset1:240
	ds_load_b128 v[26:29], v12 offset:112
	v_mul_f32_e32 v30, v60, v53
	s_waitcnt lgkmcnt(0)
	s_barrier
	v_add_f32_e32 v6, v6, v32
	v_mul_f32_e32 v32, v19, v15
	v_dual_fmac_f32 v30, v61, v52 :: v_dual_mul_f32 v15, v18, v15
	buffer_gl0_inv
	v_fma_f32 v18, v18, v14, -v32
	v_add_f32_e32 v30, v31, v30
	v_fma_f32 v31, v62, v54, -v33
	v_dual_fmac_f32 v15, v19, v14 :: v_dual_mul_f32 v14, v21, v17
	s_delay_alu instid0(VALU_DEP_3) | instskip(NEXT) | instid1(VALU_DEP_3)
	v_dual_mul_f32 v17, v20, v17 :: v_dual_add_f32 v30, v30, v34
	v_add_f32_e32 v6, v6, v31
	s_delay_alu instid0(VALU_DEP_3) | instskip(NEXT) | instid1(VALU_DEP_3)
	v_fma_f32 v14, v20, v16, -v14
	v_fmac_f32_e32 v17, v21, v16
	s_delay_alu instid0(VALU_DEP_4) | instskip(NEXT) | instid1(VALU_DEP_4)
	v_add_f32_e32 v15, v30, v15
	v_add_f32_e32 v6, v6, v18
	v_mul_f32_e32 v16, v27, v23
	v_mul_f32_e32 v18, v26, v23
	s_delay_alu instid0(VALU_DEP_3) | instskip(SKIP_1) | instid1(VALU_DEP_4)
	v_add_f32_e32 v6, v6, v14
	v_add_f32_e32 v14, v15, v17
	v_fma_f32 v15, v26, v22, -v16
	s_delay_alu instid0(VALU_DEP_4) | instskip(SKIP_1) | instid1(VALU_DEP_3)
	v_fmac_f32_e32 v18, v27, v22
	v_mul_f32_e32 v16, v29, v25
	v_dual_mul_f32 v17, v28, v25 :: v_dual_add_f32 v6, v6, v15
	s_delay_alu instid0(VALU_DEP_3) | instskip(NEXT) | instid1(VALU_DEP_3)
	v_add_f32_e32 v14, v14, v18
	v_fma_f32 v15, v28, v24, -v16
	s_delay_alu instid0(VALU_DEP_3) | instskip(NEXT) | instid1(VALU_DEP_2)
	v_fmac_f32_e32 v17, v29, v24
	v_add_f32_e32 v15, v6, v15
	s_delay_alu instid0(VALU_DEP_2)
	v_add_f32_e32 v14, v14, v17
	s_cbranch_scc1 .LBB213_11
.LBB213_3:                              ; =>This Inner Loop Header: Depth=1
	v_add_nc_u32_e32 v6, s12, v8
	s_delay_alu instid0(VALU_DEP_1) | instskip(SKIP_1) | instid1(SALU_CYCLE_1)
	v_cmp_le_i32_e32 vcc_lo, s23, v6
	s_or_b32 s4, s2, vcc_lo
	s_and_saveexec_b32 s5, s4
	s_delay_alu instid0(SALU_CYCLE_1)
	s_xor_b32 s4, exec_lo, s5
	s_cbranch_execz .LBB213_5
; %bb.4:                                ;   in Loop: Header=BB213_3 Depth=1
	v_mov_b32_e32 v6, v5
	ds_store_b64 v11, v[5:6]
.LBB213_5:                              ;   in Loop: Header=BB213_3 Depth=1
	s_and_not1_saveexec_b32 s4, s4
	s_cbranch_execz .LBB213_7
; %bb.6:                                ;   in Loop: Header=BB213_3 Depth=1
	global_load_b64 v[16:17], v[3:4], off
	s_waitcnt vmcnt(0)
	ds_store_b64 v11, v[16:17]
.LBB213_7:                              ;   in Loop: Header=BB213_3 Depth=1
	s_or_b32 exec_lo, exec_lo, s4
	v_add_nc_u32_e32 v6, s12, v9
	s_delay_alu instid0(VALU_DEP_1) | instskip(SKIP_1) | instid1(SALU_CYCLE_1)
	v_cmp_le_i32_e32 vcc_lo, s23, v6
	s_or_b32 s4, s3, vcc_lo
	s_and_saveexec_b32 s5, s4
	s_delay_alu instid0(SALU_CYCLE_1)
	s_xor_b32 s4, exec_lo, s5
	s_cbranch_execz .LBB213_9
; %bb.8:                                ;   in Loop: Header=BB213_3 Depth=1
	v_mov_b32_e32 v6, v5
	ds_store_b64 v13, v[5:6]
.LBB213_9:                              ;   in Loop: Header=BB213_3 Depth=1
	s_and_not1_saveexec_b32 s4, s4
	s_cbranch_execz .LBB213_2
; %bb.10:                               ;   in Loop: Header=BB213_3 Depth=1
	global_load_b64 v[16:17], v[1:2], off
	s_waitcnt vmcnt(0)
	ds_store_b64 v13, v[16:17]
	s_branch .LBB213_2
.LBB213_11:
	v_cmp_le_i32_e32 vcc_lo, v0, v7
	v_cmp_gt_i32_e64 s2, s22, v7
	s_delay_alu instid0(VALU_DEP_1) | instskip(NEXT) | instid1(SALU_CYCLE_1)
	s_and_b32 s2, vcc_lo, s2
	s_and_saveexec_b32 s3, s2
	s_cbranch_execz .LBB213_13
; %bb.12:
	s_clause 0x1
	s_load_b32 s2, s[0:1], 0x50
	s_load_b64 s[0:1], s[0:1], 0x58
	v_ashrrev_i32_e32 v1, 31, v0
	s_delay_alu instid0(VALU_DEP_1)
	v_lshlrev_b64 v[0:1], 3, v[0:1]
	s_waitcnt lgkmcnt(0)
	v_mad_i64_i32 v[2:3], null, s2, v7, 0
	s_mul_i32 s1, s15, s1
	s_mul_hi_u32 s2, s15, s0
	s_mul_i32 s0, s15, s0
	s_add_i32 s1, s2, s1
	s_delay_alu instid0(SALU_CYCLE_1) | instskip(NEXT) | instid1(VALU_DEP_1)
	s_lshl_b64 s[0:1], s[0:1], 3
	v_lshlrev_b64 v[2:3], 3, v[2:3]
	s_add_u32 s0, s20, s0
	s_addc_u32 s1, s21, s1
	s_delay_alu instid0(VALU_DEP_1) | instskip(NEXT) | instid1(VALU_DEP_2)
	v_add_co_u32 v2, vcc_lo, s0, v2
	v_add_co_ci_u32_e32 v3, vcc_lo, s1, v3, vcc_lo
	s_delay_alu instid0(VALU_DEP_2) | instskip(NEXT) | instid1(VALU_DEP_2)
	v_add_co_u32 v0, vcc_lo, v2, v0
	v_add_co_ci_u32_e32 v1, vcc_lo, v3, v1, vcc_lo
	global_load_b64 v[2:3], v[0:1], off
	v_mul_f32_e32 v4, s9, v14
	s_waitcnt vmcnt(0)
	v_dual_mul_f32 v5, s8, v14 :: v_dual_mul_f32 v6, s7, v3
	v_mul_f32_e32 v3, s6, v3
	s_delay_alu instid0(VALU_DEP_3) | instskip(NEXT) | instid1(VALU_DEP_3)
	v_fma_f32 v4, v15, s8, -v4
	v_fma_f32 v6, v2, s6, -v6
	s_delay_alu instid0(VALU_DEP_4) | instskip(NEXT) | instid1(VALU_DEP_4)
	v_fmac_f32_e32 v5, s9, v15
	v_fmac_f32_e32 v3, s7, v2
	s_delay_alu instid0(VALU_DEP_1)
	v_dual_add_f32 v2, v4, v6 :: v_dual_add_f32 v3, v5, v3
	global_store_b64 v[0:1], v[2:3], off
.LBB213_13:
	s_nop 0
	s_sendmsg sendmsg(MSG_DEALLOC_VGPRS)
	s_endpgm
	.section	.rodata,"a",@progbits
	.p2align	6, 0x0
	.amdhsa_kernel _ZL32rocblas_syrkx_herkx_small_kernelIi19rocblas_complex_numIfELi16ELb0ELb0ELc84ELc85EKS1_S1_EviT_T0_PT6_S3_lS6_S3_lS4_PT7_S3_li
		.amdhsa_group_segment_fixed_size 4096
		.amdhsa_private_segment_fixed_size 0
		.amdhsa_kernarg_size 100
		.amdhsa_user_sgpr_count 13
		.amdhsa_user_sgpr_dispatch_ptr 0
		.amdhsa_user_sgpr_queue_ptr 0
		.amdhsa_user_sgpr_kernarg_segment_ptr 1
		.amdhsa_user_sgpr_dispatch_id 0
		.amdhsa_user_sgpr_private_segment_size 0
		.amdhsa_wavefront_size32 1
		.amdhsa_uses_dynamic_stack 0
		.amdhsa_enable_private_segment 0
		.amdhsa_system_sgpr_workgroup_id_x 1
		.amdhsa_system_sgpr_workgroup_id_y 1
		.amdhsa_system_sgpr_workgroup_id_z 1
		.amdhsa_system_sgpr_workgroup_info 0
		.amdhsa_system_vgpr_workitem_id 1
		.amdhsa_next_free_vgpr 68
		.amdhsa_next_free_sgpr 24
		.amdhsa_reserve_vcc 1
		.amdhsa_float_round_mode_32 0
		.amdhsa_float_round_mode_16_64 0
		.amdhsa_float_denorm_mode_32 3
		.amdhsa_float_denorm_mode_16_64 3
		.amdhsa_dx10_clamp 1
		.amdhsa_ieee_mode 1
		.amdhsa_fp16_overflow 0
		.amdhsa_workgroup_processor_mode 1
		.amdhsa_memory_ordered 1
		.amdhsa_forward_progress 0
		.amdhsa_shared_vgpr_count 0
		.amdhsa_exception_fp_ieee_invalid_op 0
		.amdhsa_exception_fp_denorm_src 0
		.amdhsa_exception_fp_ieee_div_zero 0
		.amdhsa_exception_fp_ieee_overflow 0
		.amdhsa_exception_fp_ieee_underflow 0
		.amdhsa_exception_fp_ieee_inexact 0
		.amdhsa_exception_int_div_zero 0
	.end_amdhsa_kernel
	.section	.text._ZL32rocblas_syrkx_herkx_small_kernelIi19rocblas_complex_numIfELi16ELb0ELb0ELc84ELc85EKS1_S1_EviT_T0_PT6_S3_lS6_S3_lS4_PT7_S3_li,"axG",@progbits,_ZL32rocblas_syrkx_herkx_small_kernelIi19rocblas_complex_numIfELi16ELb0ELb0ELc84ELc85EKS1_S1_EviT_T0_PT6_S3_lS6_S3_lS4_PT7_S3_li,comdat
.Lfunc_end213:
	.size	_ZL32rocblas_syrkx_herkx_small_kernelIi19rocblas_complex_numIfELi16ELb0ELb0ELc84ELc85EKS1_S1_EviT_T0_PT6_S3_lS6_S3_lS4_PT7_S3_li, .Lfunc_end213-_ZL32rocblas_syrkx_herkx_small_kernelIi19rocblas_complex_numIfELi16ELb0ELb0ELc84ELc85EKS1_S1_EviT_T0_PT6_S3_lS6_S3_lS4_PT7_S3_li
                                        ; -- End function
	.section	.AMDGPU.csdata,"",@progbits
; Kernel info:
; codeLenInByte = 1536
; NumSgprs: 26
; NumVgprs: 68
; ScratchSize: 0
; MemoryBound: 1
; FloatMode: 240
; IeeeMode: 1
; LDSByteSize: 4096 bytes/workgroup (compile time only)
; SGPRBlocks: 3
; VGPRBlocks: 8
; NumSGPRsForWavesPerEU: 26
; NumVGPRsForWavesPerEU: 68
; Occupancy: 16
; WaveLimiterHint : 0
; COMPUTE_PGM_RSRC2:SCRATCH_EN: 0
; COMPUTE_PGM_RSRC2:USER_SGPR: 13
; COMPUTE_PGM_RSRC2:TRAP_HANDLER: 0
; COMPUTE_PGM_RSRC2:TGID_X_EN: 1
; COMPUTE_PGM_RSRC2:TGID_Y_EN: 1
; COMPUTE_PGM_RSRC2:TGID_Z_EN: 1
; COMPUTE_PGM_RSRC2:TIDIG_COMP_CNT: 1
	.section	.text._ZL32rocblas_syrkx_herkx_small_kernelIi19rocblas_complex_numIfELi16ELb0ELb0ELc67ELc85EKS1_S1_EviT_T0_PT6_S3_lS6_S3_lS4_PT7_S3_li,"axG",@progbits,_ZL32rocblas_syrkx_herkx_small_kernelIi19rocblas_complex_numIfELi16ELb0ELb0ELc67ELc85EKS1_S1_EviT_T0_PT6_S3_lS6_S3_lS4_PT7_S3_li,comdat
	.globl	_ZL32rocblas_syrkx_herkx_small_kernelIi19rocblas_complex_numIfELi16ELb0ELb0ELc67ELc85EKS1_S1_EviT_T0_PT6_S3_lS6_S3_lS4_PT7_S3_li ; -- Begin function _ZL32rocblas_syrkx_herkx_small_kernelIi19rocblas_complex_numIfELi16ELb0ELb0ELc67ELc85EKS1_S1_EviT_T0_PT6_S3_lS6_S3_lS4_PT7_S3_li
	.p2align	8
	.type	_ZL32rocblas_syrkx_herkx_small_kernelIi19rocblas_complex_numIfELi16ELb0ELb0ELc67ELc85EKS1_S1_EviT_T0_PT6_S3_lS6_S3_lS4_PT7_S3_li,@function
_ZL32rocblas_syrkx_herkx_small_kernelIi19rocblas_complex_numIfELi16ELb0ELb0ELc67ELc85EKS1_S1_EviT_T0_PT6_S3_lS6_S3_lS4_PT7_S3_li: ; @_ZL32rocblas_syrkx_herkx_small_kernelIi19rocblas_complex_numIfELi16ELb0ELb0ELc67ELc85EKS1_S1_EviT_T0_PT6_S3_lS6_S3_lS4_PT7_S3_li
; %bb.0:
	s_clause 0x3
	s_load_b64 s[22:23], s[0:1], 0x0
	s_load_b128 s[8:11], s[0:1], 0x8
	s_load_b128 s[4:7], s[0:1], 0x38
	s_load_b64 s[20:21], s[0:1], 0x48
	v_bfe_u32 v9, v0, 10, 10
	v_dual_mov_b32 v15, 0 :: v_dual_and_b32 v10, 0x3ff, v0
	v_mov_b32_e32 v16, 0
	s_mov_b32 s12, 0
	s_delay_alu instid0(VALU_DEP_3) | instskip(NEXT) | instid1(VALU_DEP_3)
	v_lshl_add_u32 v8, s14, 4, v9
	v_lshl_add_u32 v0, s13, 4, v10
	s_waitcnt lgkmcnt(0)
	s_delay_alu instid0(VALU_DEP_2)
	v_cmp_gt_i32_e64 s2, s22, v8
	s_cmp_lt_i32 s23, 1
	s_cbranch_scc1 .LBB214_9
; %bb.1:
	s_clause 0x2
	s_load_b32 s3, s[0:1], 0x18
	s_load_b32 s13, s[0:1], 0x30
	s_load_b128 s[16:19], s[0:1], 0x20
	v_dual_mov_b32 v16, 0 :: v_dual_lshlrev_b32 v3, 7, v9
	v_lshlrev_b32_e32 v11, 3, v10
	s_mul_i32 s5, s5, s15
	s_mul_hi_u32 s14, s4, s15
	s_delay_alu instid0(VALU_DEP_2)
	v_add_nc_u32_e32 v13, 0x800, v3
	s_mul_i32 s4, s4, s15
	v_add_nc_u32_e32 v12, v11, v3
	s_add_i32 s5, s14, s5
	v_lshlrev_b32_e32 v5, 3, v9
	s_lshl_b64 s[4:5], s[4:5], 3
	v_cmp_gt_i32_e32 vcc_lo, s22, v0
	v_dual_mov_b32 v15, 0 :: v_dual_add_nc_u32 v14, v13, v11
	s_waitcnt lgkmcnt(0)
	v_mad_i64_i32 v[1:2], null, s3, v0, 0
	v_mad_i64_i32 v[3:4], null, s13, v8, 0
	s_mul_i32 s3, s17, s15
	s_mul_hi_u32 s13, s16, s15
	s_mul_i32 s16, s16, s15
	s_add_i32 s17, s13, s3
	s_delay_alu instid0(VALU_DEP_2) | instskip(SKIP_1) | instid1(VALU_DEP_2)
	v_lshlrev_b64 v[1:2], 3, v[1:2]
	s_lshl_b64 s[16:17], s[16:17], 3
	v_lshlrev_b64 v[3:4], 3, v[3:4]
	s_delay_alu instid0(VALU_DEP_2) | instskip(NEXT) | instid1(VALU_DEP_1)
	v_add_co_u32 v1, s3, v1, s16
	v_add_co_ci_u32_e64 v2, s3, s17, v2, s3
	s_delay_alu instid0(VALU_DEP_3) | instskip(NEXT) | instid1(VALU_DEP_1)
	v_add_co_u32 v3, s3, v3, s4
	v_add_co_ci_u32_e64 v4, s3, s5, v4, s3
	s_delay_alu instid0(VALU_DEP_4) | instskip(NEXT) | instid1(VALU_DEP_1)
	v_add_co_u32 v1, s3, v1, v5
	v_add_co_ci_u32_e64 v2, s3, 0, v2, s3
	s_delay_alu instid0(VALU_DEP_4) | instskip(NEXT) | instid1(VALU_DEP_1)
	;; [unrolled: 3-line block ×5, first 2 shown]
	v_add_co_u32 v3, s3, v5, 4
	v_add_co_ci_u32_e64 v4, s3, 0, v6, s3
	v_mov_b32_e32 v5, 0
	s_xor_b32 s3, s2, -1
	s_branch .LBB214_3
.LBB214_2:                              ;   in Loop: Header=BB214_3 Depth=1
	s_or_b32 exec_lo, exec_lo, s2
	s_waitcnt lgkmcnt(0)
	s_barrier
	buffer_gl0_inv
	ds_load_2addr_b64 v[17:20], v11 offset1:16
	ds_load_b128 v[21:24], v13
	ds_load_b128 v[25:28], v13 offset:16
	ds_load_2addr_b64 v[29:32], v11 offset0:32 offset1:48
	ds_load_2addr_b64 v[33:36], v11 offset0:64 offset1:80
	ds_load_b128 v[37:40], v13 offset:32
	ds_load_b128 v[41:44], v13 offset:48
	ds_load_2addr_b64 v[45:48], v11 offset0:96 offset1:112
	ds_load_2addr_b64 v[49:52], v11 offset0:128 offset1:144
	;; [unrolled: 1-line block ×3, first 2 shown]
	ds_load_b128 v[57:60], v13 offset:64
	ds_load_b128 v[61:64], v13 offset:80
	v_add_co_u32 v1, s2, 0x80, v1
	s_delay_alu instid0(VALU_DEP_1) | instskip(SKIP_1) | instid1(VALU_DEP_1)
	v_add_co_ci_u32_e64 v2, s2, 0, v2, s2
	v_add_co_u32 v3, s2, 0x80, v3
	v_add_co_ci_u32_e64 v4, s2, 0, v4, s2
	s_add_i32 s12, s12, 16
	s_waitcnt lgkmcnt(10)
	v_mul_f32_e32 v6, v22, v18
	v_dual_mul_f32 v7, v21, v18 :: v_dual_mul_f32 v18, v24, v20
	s_waitcnt lgkmcnt(8)
	v_dual_mul_f32 v20, v23, v20 :: v_dual_mul_f32 v65, v26, v30
	s_delay_alu instid0(VALU_DEP_2)
	v_dual_mul_f32 v30, v25, v30 :: v_dual_fmac_f32 v7, v22, v17
	s_waitcnt lgkmcnt(6)
	v_dual_mul_f32 v66, v28, v32 :: v_dual_mul_f32 v67, v38, v34
	v_mul_f32_e32 v32, v27, v32
	v_mul_f32_e32 v34, v37, v34
	v_fma_f32 v6, v21, v17, -v6
	v_mul_f32_e32 v17, v39, v36
	v_fma_f32 v18, v23, v19, -v18
	v_add_f32_e32 v7, v15, v7
	s_waitcnt lgkmcnt(4)
	v_mul_f32_e32 v15, v42, v46
	v_add_f32_e32 v6, v16, v6
	v_fmac_f32_e32 v34, v38, v33
	v_fmac_f32_e32 v32, v28, v31
	;; [unrolled: 1-line block ×4, first 2 shown]
	v_fma_f32 v16, v25, v29, -v65
	v_add_f32_e32 v6, v6, v18
	v_fma_f32 v19, v27, v31, -v66
	s_delay_alu instid0(VALU_DEP_4) | instskip(NEXT) | instid1(VALU_DEP_3)
	v_dual_mul_f32 v18, v41, v46 :: v_dual_add_f32 v7, v7, v20
	v_dual_fmac_f32 v17, v40, v35 :: v_dual_add_f32 v6, v6, v16
	v_mul_f32_e32 v21, v40, v36
	v_fma_f32 v20, v37, v33, -v67
	s_delay_alu instid0(VALU_DEP_4)
	v_add_f32_e32 v7, v7, v30
	s_waitcnt lgkmcnt(1)
	v_dual_mul_f32 v23, v57, v50 :: v_dual_add_f32 v6, v6, v19
	v_mul_f32_e32 v19, v43, v48
	v_fma_f32 v21, v39, v35, -v21
	v_add_f32_e32 v7, v7, v32
	s_delay_alu instid0(VALU_DEP_4) | instskip(NEXT) | instid1(VALU_DEP_4)
	v_dual_fmac_f32 v23, v58, v49 :: v_dual_mul_f32 v24, v60, v52
	v_dual_fmac_f32 v19, v44, v47 :: v_dual_fmac_f32 v18, v42, v45
	s_delay_alu instid0(VALU_DEP_3)
	v_dual_add_f32 v7, v7, v34 :: v_dual_mul_f32 v16, v44, v48
	v_fma_f32 v15, v41, v45, -v15
	v_mul_f32_e32 v25, v59, v52
	s_waitcnt lgkmcnt(0)
	v_mul_f32_e32 v31, v61, v54
	v_dual_add_f32 v7, v7, v17 :: v_dual_add_f32 v6, v6, v20
	s_delay_alu instid0(VALU_DEP_3) | instskip(NEXT) | instid1(VALU_DEP_3)
	v_dual_mul_f32 v34, v63, v56 :: v_dual_fmac_f32 v25, v60, v51
	v_fmac_f32_e32 v31, v62, v53
	s_delay_alu instid0(VALU_DEP_3) | instskip(SKIP_3) | instid1(VALU_DEP_4)
	v_dual_add_f32 v7, v7, v18 :: v_dual_add_f32 v6, v6, v21
	v_mul_f32_e32 v20, v58, v50
	v_fma_f32 v21, v43, v47, -v16
	v_mul_f32_e32 v33, v64, v56
	v_add_f32_e32 v7, v7, v19
	v_add_f32_e32 v6, v6, v15
	v_fma_f32 v20, v57, v49, -v20
	ds_load_2addr_b64 v[15:18], v11 offset0:192 offset1:208
	s_cmp_ge_i32 s12, s23
	v_dual_add_f32 v7, v7, v23 :: v_dual_add_f32 v6, v6, v21
	v_fma_f32 v23, v59, v51, -v24
	s_delay_alu instid0(VALU_DEP_2) | instskip(NEXT) | instid1(VALU_DEP_3)
	v_dual_mul_f32 v24, v62, v54 :: v_dual_add_f32 v7, v7, v25
	v_add_f32_e32 v6, v6, v20
	ds_load_b128 v[19:22], v13 offset:96
	v_fma_f32 v32, v61, v53, -v24
	v_fmac_f32_e32 v34, v64, v55
	v_add_f32_e32 v7, v7, v31
	v_add_f32_e32 v6, v6, v23
	ds_load_2addr_b64 v[23:26], v11 offset0:224 offset1:240
	ds_load_b128 v[27:30], v13 offset:112
	v_fma_f32 v31, v63, v55, -v33
	s_waitcnt lgkmcnt(0)
	v_dual_add_f32 v7, v7, v34 :: v_dual_add_f32 v6, v6, v32
	s_barrier
	buffer_gl0_inv
	v_mul_f32_e32 v32, v20, v16
	v_mul_f32_e32 v16, v19, v16
	s_delay_alu instid0(VALU_DEP_2) | instskip(NEXT) | instid1(VALU_DEP_2)
	v_fma_f32 v19, v19, v15, -v32
	v_dual_fmac_f32 v16, v20, v15 :: v_dual_mul_f32 v15, v22, v18
	s_delay_alu instid0(VALU_DEP_1) | instskip(NEXT) | instid1(VALU_DEP_2)
	v_dual_mul_f32 v18, v21, v18 :: v_dual_add_f32 v7, v7, v16
	v_fma_f32 v15, v21, v17, -v15
	s_delay_alu instid0(VALU_DEP_2) | instskip(NEXT) | instid1(VALU_DEP_1)
	v_dual_fmac_f32 v18, v22, v17 :: v_dual_mul_f32 v17, v27, v24
	v_dual_mul_f32 v16, v28, v24 :: v_dual_add_f32 v7, v7, v18
	v_add_f32_e32 v6, v6, v31
	s_delay_alu instid0(VALU_DEP_3) | instskip(NEXT) | instid1(VALU_DEP_1)
	v_dual_fmac_f32 v17, v28, v23 :: v_dual_mul_f32 v18, v29, v26
	v_add_f32_e32 v7, v7, v17
	s_delay_alu instid0(VALU_DEP_2) | instskip(NEXT) | instid1(VALU_DEP_4)
	v_fmac_f32_e32 v18, v30, v25
	v_add_f32_e32 v6, v6, v19
	s_delay_alu instid0(VALU_DEP_1) | instskip(SKIP_2) | instid1(VALU_DEP_2)
	v_add_f32_e32 v6, v6, v15
	v_fma_f32 v15, v27, v23, -v16
	v_mul_f32_e32 v16, v30, v26
	v_add_f32_e32 v6, v6, v15
	s_delay_alu instid0(VALU_DEP_2) | instskip(NEXT) | instid1(VALU_DEP_1)
	v_fma_f32 v15, v29, v25, -v16
	v_dual_add_f32 v16, v6, v15 :: v_dual_add_f32 v15, v7, v18
	s_cbranch_scc1 .LBB214_9
.LBB214_3:                              ; =>This Inner Loop Header: Depth=1
	v_dual_mov_b32 v7, 0 :: v_dual_add_nc_u32 v6, s12, v9
	s_delay_alu instid0(VALU_DEP_1) | instskip(SKIP_1) | instid1(VALU_DEP_2)
	v_cmp_gt_i32_e64 s2, s23, v6
	v_mov_b32_e32 v6, 0
	s_and_b32 s4, vcc_lo, s2
	s_delay_alu instid0(SALU_CYCLE_1)
	s_and_saveexec_b32 s2, s4
	s_cbranch_execz .LBB214_5
; %bb.4:                                ;   in Loop: Header=BB214_3 Depth=1
	global_load_b64 v[6:7], v[3:4], off offset:-4
.LBB214_5:                              ;   in Loop: Header=BB214_3 Depth=1
	s_or_b32 exec_lo, exec_lo, s2
	v_add_nc_u32_e32 v17, s12, v10
	s_waitcnt vmcnt(0)
	ds_store_b64 v12, v[6:7]
	v_cmp_le_i32_e64 s2, s23, v17
	s_delay_alu instid0(VALU_DEP_1) | instskip(NEXT) | instid1(SALU_CYCLE_1)
	s_or_b32 s2, s3, s2
	s_and_saveexec_b32 s4, s2
	s_delay_alu instid0(SALU_CYCLE_1)
	s_xor_b32 s2, exec_lo, s4
	s_cbranch_execz .LBB214_7
; %bb.6:                                ;   in Loop: Header=BB214_3 Depth=1
	v_mov_b32_e32 v6, v5
	ds_store_b64 v14, v[5:6]
.LBB214_7:                              ;   in Loop: Header=BB214_3 Depth=1
	s_and_not1_saveexec_b32 s2, s2
	s_cbranch_execz .LBB214_2
; %bb.8:                                ;   in Loop: Header=BB214_3 Depth=1
	global_load_b64 v[6:7], v[1:2], off
	s_waitcnt vmcnt(0)
	ds_store_b64 v14, v[6:7]
	s_branch .LBB214_2
.LBB214_9:
	v_cmp_le_i32_e32 vcc_lo, v0, v8
	v_cmp_gt_i32_e64 s2, s22, v8
	s_delay_alu instid0(VALU_DEP_1) | instskip(NEXT) | instid1(SALU_CYCLE_1)
	s_and_b32 s2, vcc_lo, s2
	s_and_saveexec_b32 s3, s2
	s_cbranch_execz .LBB214_11
; %bb.10:
	s_clause 0x1
	s_load_b32 s2, s[0:1], 0x50
	s_load_b64 s[0:1], s[0:1], 0x58
	v_ashrrev_i32_e32 v1, 31, v0
	s_delay_alu instid0(VALU_DEP_1)
	v_lshlrev_b64 v[0:1], 3, v[0:1]
	s_waitcnt lgkmcnt(0)
	v_mad_i64_i32 v[2:3], null, s2, v8, 0
	s_mul_i32 s1, s15, s1
	s_mul_hi_u32 s2, s15, s0
	s_mul_i32 s0, s15, s0
	s_add_i32 s1, s2, s1
	s_delay_alu instid0(SALU_CYCLE_1) | instskip(NEXT) | instid1(VALU_DEP_1)
	s_lshl_b64 s[0:1], s[0:1], 3
	v_lshlrev_b64 v[2:3], 3, v[2:3]
	s_add_u32 s0, s20, s0
	s_addc_u32 s1, s21, s1
	s_delay_alu instid0(VALU_DEP_1) | instskip(NEXT) | instid1(VALU_DEP_2)
	v_add_co_u32 v2, vcc_lo, s0, v2
	v_add_co_ci_u32_e32 v3, vcc_lo, s1, v3, vcc_lo
	s_delay_alu instid0(VALU_DEP_2) | instskip(NEXT) | instid1(VALU_DEP_2)
	v_add_co_u32 v0, vcc_lo, v2, v0
	v_add_co_ci_u32_e32 v1, vcc_lo, v3, v1, vcc_lo
	global_load_b64 v[2:3], v[0:1], off
	s_waitcnt vmcnt(0)
	v_mul_f32_e32 v6, s7, v3
	v_mul_f32_e32 v3, s6, v3
	s_delay_alu instid0(VALU_DEP_1) | instskip(NEXT) | instid1(VALU_DEP_3)
	v_fmac_f32_e32 v3, s7, v2
	v_fma_f32 v6, v2, s6, -v6
	v_mul_f32_e32 v5, s8, v15
	s_delay_alu instid0(VALU_DEP_1) | instskip(NEXT) | instid1(VALU_DEP_1)
	v_dual_mul_f32 v4, s9, v15 :: v_dual_fmac_f32 v5, s9, v16
	v_fma_f32 v4, v16, s8, -v4
	s_delay_alu instid0(VALU_DEP_1)
	v_dual_add_f32 v3, v5, v3 :: v_dual_add_f32 v2, v4, v6
	global_store_b64 v[0:1], v[2:3], off
.LBB214_11:
	s_nop 0
	s_sendmsg sendmsg(MSG_DEALLOC_VGPRS)
	s_endpgm
	.section	.rodata,"a",@progbits
	.p2align	6, 0x0
	.amdhsa_kernel _ZL32rocblas_syrkx_herkx_small_kernelIi19rocblas_complex_numIfELi16ELb0ELb0ELc67ELc85EKS1_S1_EviT_T0_PT6_S3_lS6_S3_lS4_PT7_S3_li
		.amdhsa_group_segment_fixed_size 4096
		.amdhsa_private_segment_fixed_size 0
		.amdhsa_kernarg_size 100
		.amdhsa_user_sgpr_count 13
		.amdhsa_user_sgpr_dispatch_ptr 0
		.amdhsa_user_sgpr_queue_ptr 0
		.amdhsa_user_sgpr_kernarg_segment_ptr 1
		.amdhsa_user_sgpr_dispatch_id 0
		.amdhsa_user_sgpr_private_segment_size 0
		.amdhsa_wavefront_size32 1
		.amdhsa_uses_dynamic_stack 0
		.amdhsa_enable_private_segment 0
		.amdhsa_system_sgpr_workgroup_id_x 1
		.amdhsa_system_sgpr_workgroup_id_y 1
		.amdhsa_system_sgpr_workgroup_id_z 1
		.amdhsa_system_sgpr_workgroup_info 0
		.amdhsa_system_vgpr_workitem_id 1
		.amdhsa_next_free_vgpr 68
		.amdhsa_next_free_sgpr 24
		.amdhsa_reserve_vcc 1
		.amdhsa_float_round_mode_32 0
		.amdhsa_float_round_mode_16_64 0
		.amdhsa_float_denorm_mode_32 3
		.amdhsa_float_denorm_mode_16_64 3
		.amdhsa_dx10_clamp 1
		.amdhsa_ieee_mode 1
		.amdhsa_fp16_overflow 0
		.amdhsa_workgroup_processor_mode 1
		.amdhsa_memory_ordered 1
		.amdhsa_forward_progress 0
		.amdhsa_shared_vgpr_count 0
		.amdhsa_exception_fp_ieee_invalid_op 0
		.amdhsa_exception_fp_denorm_src 0
		.amdhsa_exception_fp_ieee_div_zero 0
		.amdhsa_exception_fp_ieee_overflow 0
		.amdhsa_exception_fp_ieee_underflow 0
		.amdhsa_exception_fp_ieee_inexact 0
		.amdhsa_exception_int_div_zero 0
	.end_amdhsa_kernel
	.section	.text._ZL32rocblas_syrkx_herkx_small_kernelIi19rocblas_complex_numIfELi16ELb0ELb0ELc67ELc85EKS1_S1_EviT_T0_PT6_S3_lS6_S3_lS4_PT7_S3_li,"axG",@progbits,_ZL32rocblas_syrkx_herkx_small_kernelIi19rocblas_complex_numIfELi16ELb0ELb0ELc67ELc85EKS1_S1_EviT_T0_PT6_S3_lS6_S3_lS4_PT7_S3_li,comdat
.Lfunc_end214:
	.size	_ZL32rocblas_syrkx_herkx_small_kernelIi19rocblas_complex_numIfELi16ELb0ELb0ELc67ELc85EKS1_S1_EviT_T0_PT6_S3_lS6_S3_lS4_PT7_S3_li, .Lfunc_end214-_ZL32rocblas_syrkx_herkx_small_kernelIi19rocblas_complex_numIfELi16ELb0ELb0ELc67ELc85EKS1_S1_EviT_T0_PT6_S3_lS6_S3_lS4_PT7_S3_li
                                        ; -- End function
	.section	.AMDGPU.csdata,"",@progbits
; Kernel info:
; codeLenInByte = 1548
; NumSgprs: 26
; NumVgprs: 68
; ScratchSize: 0
; MemoryBound: 1
; FloatMode: 240
; IeeeMode: 1
; LDSByteSize: 4096 bytes/workgroup (compile time only)
; SGPRBlocks: 3
; VGPRBlocks: 8
; NumSGPRsForWavesPerEU: 26
; NumVGPRsForWavesPerEU: 68
; Occupancy: 16
; WaveLimiterHint : 0
; COMPUTE_PGM_RSRC2:SCRATCH_EN: 0
; COMPUTE_PGM_RSRC2:USER_SGPR: 13
; COMPUTE_PGM_RSRC2:TRAP_HANDLER: 0
; COMPUTE_PGM_RSRC2:TGID_X_EN: 1
; COMPUTE_PGM_RSRC2:TGID_Y_EN: 1
; COMPUTE_PGM_RSRC2:TGID_Z_EN: 1
; COMPUTE_PGM_RSRC2:TIDIG_COMP_CNT: 1
	.section	.text._ZL32rocblas_syrkx_herkx_small_kernelIi19rocblas_complex_numIfELi16ELb0ELb0ELc78ELc85EKS1_S1_EviT_T0_PT6_S3_lS6_S3_lS4_PT7_S3_li,"axG",@progbits,_ZL32rocblas_syrkx_herkx_small_kernelIi19rocblas_complex_numIfELi16ELb0ELb0ELc78ELc85EKS1_S1_EviT_T0_PT6_S3_lS6_S3_lS4_PT7_S3_li,comdat
	.globl	_ZL32rocblas_syrkx_herkx_small_kernelIi19rocblas_complex_numIfELi16ELb0ELb0ELc78ELc85EKS1_S1_EviT_T0_PT6_S3_lS6_S3_lS4_PT7_S3_li ; -- Begin function _ZL32rocblas_syrkx_herkx_small_kernelIi19rocblas_complex_numIfELi16ELb0ELb0ELc78ELc85EKS1_S1_EviT_T0_PT6_S3_lS6_S3_lS4_PT7_S3_li
	.p2align	8
	.type	_ZL32rocblas_syrkx_herkx_small_kernelIi19rocblas_complex_numIfELi16ELb0ELb0ELc78ELc85EKS1_S1_EviT_T0_PT6_S3_lS6_S3_lS4_PT7_S3_li,@function
_ZL32rocblas_syrkx_herkx_small_kernelIi19rocblas_complex_numIfELi16ELb0ELb0ELc78ELc85EKS1_S1_EviT_T0_PT6_S3_lS6_S3_lS4_PT7_S3_li: ; @_ZL32rocblas_syrkx_herkx_small_kernelIi19rocblas_complex_numIfELi16ELb0ELb0ELc78ELc85EKS1_S1_EviT_T0_PT6_S3_lS6_S3_lS4_PT7_S3_li
; %bb.0:
	s_clause 0x3
	s_load_b64 s[22:23], s[0:1], 0x0
	s_load_b128 s[8:11], s[0:1], 0x8
	s_load_b128 s[4:7], s[0:1], 0x38
	s_load_b64 s[20:21], s[0:1], 0x48
	v_dual_mov_b32 v17, 0 :: v_dual_and_b32 v10, 0x3ff, v0
	v_bfe_u32 v11, v0, 10, 10
	v_mov_b32_e32 v16, 0
	s_mov_b32 s12, 0
	s_delay_alu instid0(VALU_DEP_3) | instskip(NEXT) | instid1(VALU_DEP_3)
	v_lshl_add_u32 v0, s13, 4, v10
	v_lshl_add_u32 v2, s14, 4, v11
	s_delay_alu instid0(VALU_DEP_2) | instskip(SKIP_1) | instid1(VALU_DEP_2)
	v_ashrrev_i32_e32 v1, 31, v0
	s_waitcnt lgkmcnt(0)
	v_cmp_gt_i32_e32 vcc_lo, s22, v2
	s_cmp_lt_i32 s23, 1
	s_cbranch_scc1 .LBB215_9
; %bb.1:
	s_clause 0x2
	s_load_b32 s24, s[0:1], 0x30
	s_load_b32 s26, s[0:1], 0x18
	s_load_b128 s[16:19], s[0:1], 0x20
	v_lshlrev_b32_e32 v8, 7, v11
	v_lshlrev_b32_e32 v12, 3, v10
	v_ashrrev_i32_e32 v3, 31, v2
	s_mul_i32 s3, s5, s15
	s_mul_hi_u32 s5, s4, s15
	s_mul_i32 s4, s4, s15
	s_add_i32 s5, s5, s3
	v_add_nc_u32_e32 v13, 0x800, v8
	s_lshl_b64 s[4:5], s[4:5], 3
	v_add_nc_u32_e32 v14, v12, v8
	v_lshlrev_b64 v[8:9], 3, v[2:3]
	v_lshlrev_b64 v[4:5], 3, v[0:1]
	v_cmp_gt_i32_e64 s2, s22, v0
	s_waitcnt lgkmcnt(0)
	v_mad_i64_i32 v[6:7], null, s24, v10, 0
	v_mad_i64_i32 v[16:17], null, s26, v11, 0
	s_mul_i32 s3, s17, s15
	s_mul_hi_u32 s13, s16, s15
	s_mul_i32 s16, s16, s15
	s_add_i32 s17, s13, s3
	s_delay_alu instid0(VALU_DEP_2) | instskip(SKIP_3) | instid1(VALU_DEP_1)
	v_lshlrev_b64 v[6:7], 3, v[6:7]
	s_lshl_b64 s[16:17], s[16:17], 3
	s_ashr_i32 s27, s26, 31
	s_ashr_i32 s25, s24, 31
	v_add_co_u32 v3, s3, s4, v6
	s_delay_alu instid0(VALU_DEP_1) | instskip(SKIP_2) | instid1(VALU_DEP_4)
	v_add_co_ci_u32_e64 v18, s3, s5, v7, s3
	v_lshlrev_b64 v[6:7], 3, v[16:17]
	v_mov_b32_e32 v16, 0
	v_add_co_u32 v3, s3, v3, v8
	s_delay_alu instid0(VALU_DEP_1) | instskip(NEXT) | instid1(VALU_DEP_4)
	v_add_co_ci_u32_e64 v8, s3, v18, v9, s3
	v_add_co_u32 v6, s3, s16, v6
	s_delay_alu instid0(VALU_DEP_1) | instskip(NEXT) | instid1(VALU_DEP_4)
	v_add_co_ci_u32_e64 v7, s3, s17, v7, s3
	;; [unrolled: 3-line block ×5, first 2 shown]
	v_add_co_u32 v5, s3, s10, v6
	s_delay_alu instid0(VALU_DEP_1)
	v_add_co_ci_u32_e64 v6, s3, s11, v7, s3
	v_mov_b32_e32 v7, 0
	v_mov_b32_e32 v17, 0
	v_add_nc_u32_e32 v15, v13, v12
	s_lshl_b64 s[4:5], s[24:25], 7
	s_lshl_b64 s[10:11], s[26:27], 7
	s_xor_b32 s3, s2, -1
	s_branch .LBB215_3
.LBB215_2:                              ;   in Loop: Header=BB215_3 Depth=1
	s_or_b32 exec_lo, exec_lo, s2
	s_waitcnt vmcnt(0)
	ds_store_b64 v15, v[8:9]
	s_waitcnt lgkmcnt(0)
	s_barrier
	buffer_gl0_inv
	ds_load_2addr_b64 v[18:21], v12 offset1:16
	ds_load_b128 v[22:25], v13
	ds_load_b128 v[26:29], v13 offset:16
	ds_load_2addr_b64 v[30:33], v12 offset0:32 offset1:48
	ds_load_2addr_b64 v[34:37], v12 offset0:64 offset1:80
	ds_load_b128 v[38:41], v13 offset:32
	ds_load_b128 v[42:45], v13 offset:48
	ds_load_2addr_b64 v[46:49], v12 offset0:96 offset1:112
	ds_load_2addr_b64 v[50:53], v12 offset0:128 offset1:144
	;; [unrolled: 1-line block ×3, first 2 shown]
	ds_load_b128 v[58:61], v13 offset:64
	ds_load_b128 v[62:65], v13 offset:80
	v_add_co_u32 v3, s2, v3, s4
	s_delay_alu instid0(VALU_DEP_1) | instskip(SKIP_1) | instid1(VALU_DEP_1)
	v_add_co_ci_u32_e64 v4, s2, s5, v4, s2
	v_add_co_u32 v5, s2, v5, s10
	v_add_co_ci_u32_e64 v6, s2, s11, v6, s2
	s_add_i32 s12, s12, 16
	s_waitcnt lgkmcnt(10)
	v_mul_f32_e32 v8, v23, v19
	v_mul_f32_e32 v9, v22, v19
	;; [unrolled: 1-line block ×3, first 2 shown]
	s_waitcnt lgkmcnt(8)
	v_dual_mul_f32 v21, v24, v21 :: v_dual_mul_f32 v66, v27, v31
	v_fma_f32 v8, v22, v18, -v8
	s_waitcnt lgkmcnt(6)
	v_dual_mul_f32 v67, v29, v33 :: v_dual_mul_f32 v68, v39, v35
	v_dual_mul_f32 v33, v28, v33 :: v_dual_mul_f32 v22, v38, v35
	s_delay_alu instid0(VALU_DEP_3)
	v_dual_add_f32 v8, v17, v8 :: v_dual_fmac_f32 v9, v23, v18
	v_fma_f32 v18, v24, v20, -v19
	v_mul_f32_e32 v31, v26, v31
	v_fma_f32 v19, v28, v32, -v67
	v_mul_f32_e32 v35, v41, v37
	v_dual_add_f32 v9, v16, v9 :: v_dual_fmac_f32 v22, v39, v34
	v_fma_f32 v16, v26, v30, -v66
	v_add_f32_e32 v8, v8, v18
	s_waitcnt lgkmcnt(4)
	v_dual_mul_f32 v17, v40, v37 :: v_dual_mul_f32 v18, v43, v47
	s_waitcnt lgkmcnt(0)
	v_dual_fmac_f32 v33, v29, v32 :: v_dual_mul_f32 v32, v62, v55
	v_add_f32_e32 v8, v8, v16
	v_dual_fmac_f32 v21, v25, v20 :: v_dual_mul_f32 v16, v42, v47
	v_fma_f32 v20, v38, v34, -v68
	v_fma_f32 v18, v42, v46, -v18
	s_delay_alu instid0(VALU_DEP_4) | instskip(NEXT) | instid1(VALU_DEP_4)
	v_dual_add_f32 v8, v8, v19 :: v_dual_fmac_f32 v31, v27, v30
	v_dual_add_f32 v9, v9, v21 :: v_dual_fmac_f32 v16, v43, v46
	v_fma_f32 v21, v40, v36, -v35
	s_delay_alu instid0(VALU_DEP_3) | instskip(NEXT) | instid1(VALU_DEP_3)
	v_add_f32_e32 v8, v8, v20
	v_dual_mul_f32 v20, v44, v49 :: v_dual_add_f32 v9, v9, v31
	v_dual_mul_f32 v24, v58, v51 :: v_dual_fmac_f32 v17, v41, v36
	s_delay_alu instid0(VALU_DEP_3) | instskip(SKIP_1) | instid1(VALU_DEP_3)
	v_add_f32_e32 v8, v8, v21
	v_mul_f32_e32 v19, v45, v49
	v_dual_add_f32 v9, v9, v33 :: v_dual_fmac_f32 v24, v59, v50
	v_dual_mul_f32 v21, v59, v51 :: v_dual_fmac_f32 v20, v45, v48
	s_delay_alu instid0(VALU_DEP_4) | instskip(NEXT) | instid1(VALU_DEP_3)
	v_add_f32_e32 v8, v8, v18
	v_add_f32_e32 v9, v9, v22
	v_mul_f32_e32 v25, v61, v53
	v_mul_f32_e32 v26, v60, v53
	s_cmp_ge_i32 s12, s23
	s_delay_alu instid0(VALU_DEP_3) | instskip(SKIP_1) | instid1(VALU_DEP_3)
	v_dual_fmac_f32 v32, v63, v54 :: v_dual_add_f32 v9, v9, v17
	v_fma_f32 v17, v44, v48, -v19
	v_fmac_f32_e32 v26, v61, v52
	s_delay_alu instid0(VALU_DEP_3) | instskip(SKIP_1) | instid1(VALU_DEP_2)
	v_add_f32_e32 v9, v9, v16
	v_fma_f32 v16, v58, v50, -v21
	v_dual_add_f32 v8, v8, v17 :: v_dual_add_f32 v9, v9, v20
	s_delay_alu instid0(VALU_DEP_1)
	v_add_f32_e32 v8, v8, v16
	ds_load_2addr_b64 v[16:19], v12 offset0:192 offset1:208
	ds_load_b128 v[20:23], v13 offset:96
	v_mul_f32_e32 v34, v65, v57
	v_add_f32_e32 v9, v9, v24
	v_fma_f32 v24, v60, v52, -v25
	v_mul_f32_e32 v25, v63, v55
	v_mul_f32_e32 v35, v64, v57
	s_delay_alu instid0(VALU_DEP_3) | instskip(NEXT) | instid1(VALU_DEP_3)
	v_add_f32_e32 v8, v8, v24
	v_fma_f32 v33, v62, v54, -v25
	s_delay_alu instid0(VALU_DEP_1)
	v_dual_add_f32 v8, v8, v33 :: v_dual_add_f32 v9, v9, v26
	ds_load_2addr_b64 v[24:27], v12 offset0:224 offset1:240
	ds_load_b128 v[28:31], v13 offset:112
	s_waitcnt lgkmcnt(0)
	s_barrier
	buffer_gl0_inv
	v_mul_f32_e32 v33, v21, v17
	v_mul_f32_e32 v17, v20, v17
	v_add_f32_e32 v9, v9, v32
	s_delay_alu instid0(VALU_DEP_3) | instskip(NEXT) | instid1(VALU_DEP_3)
	v_fma_f32 v20, v20, v16, -v33
	v_dual_fmac_f32 v17, v21, v16 :: v_dual_mul_f32 v16, v23, v19
	v_fmac_f32_e32 v35, v65, v56
	v_mul_f32_e32 v19, v22, v19
	v_fma_f32 v32, v64, v56, -v34
	s_delay_alu instid0(VALU_DEP_4) | instskip(NEXT) | instid1(VALU_DEP_2)
	v_fma_f32 v16, v22, v18, -v16
	v_dual_fmac_f32 v19, v23, v18 :: v_dual_add_f32 v8, v8, v32
	v_dual_mul_f32 v18, v28, v25 :: v_dual_add_f32 v9, v9, v35
	s_delay_alu instid0(VALU_DEP_2) | instskip(NEXT) | instid1(VALU_DEP_2)
	v_add_f32_e32 v8, v8, v20
	v_fmac_f32_e32 v18, v29, v24
	s_delay_alu instid0(VALU_DEP_3) | instskip(NEXT) | instid1(VALU_DEP_3)
	v_add_f32_e32 v9, v9, v17
	v_dual_mul_f32 v17, v29, v25 :: v_dual_add_f32 v8, v8, v16
	s_delay_alu instid0(VALU_DEP_1) | instskip(NEXT) | instid1(VALU_DEP_1)
	v_fma_f32 v16, v28, v24, -v17
	v_dual_mul_f32 v17, v31, v27 :: v_dual_add_f32 v8, v8, v16
	s_delay_alu instid0(VALU_DEP_4) | instskip(SKIP_1) | instid1(VALU_DEP_3)
	v_add_f32_e32 v9, v9, v19
	v_mul_f32_e32 v19, v30, v27
	v_fma_f32 v16, v30, v26, -v17
	s_delay_alu instid0(VALU_DEP_3) | instskip(NEXT) | instid1(VALU_DEP_3)
	v_add_f32_e32 v9, v9, v18
	v_fmac_f32_e32 v19, v31, v26
	s_delay_alu instid0(VALU_DEP_1)
	v_dual_add_f32 v17, v8, v16 :: v_dual_add_f32 v16, v9, v19
	s_cbranch_scc1 .LBB215_9
.LBB215_3:                              ; =>This Inner Loop Header: Depth=1
	v_add_nc_u32_e32 v8, s12, v11
	s_delay_alu instid0(VALU_DEP_1) | instskip(NEXT) | instid1(VALU_DEP_1)
	v_cmp_le_i32_e64 s2, s23, v8
	s_or_b32 s2, s3, s2
	s_delay_alu instid0(SALU_CYCLE_1) | instskip(NEXT) | instid1(SALU_CYCLE_1)
	s_and_saveexec_b32 s13, s2
	s_xor_b32 s2, exec_lo, s13
	s_cbranch_execz .LBB215_5
; %bb.4:                                ;   in Loop: Header=BB215_3 Depth=1
	v_mov_b32_e32 v8, v7
	ds_store_b64 v14, v[7:8]
.LBB215_5:                              ;   in Loop: Header=BB215_3 Depth=1
	s_and_not1_saveexec_b32 s2, s2
	s_cbranch_execz .LBB215_7
; %bb.6:                                ;   in Loop: Header=BB215_3 Depth=1
	global_load_b64 v[8:9], v[5:6], off
	s_waitcnt vmcnt(0)
	ds_store_b64 v14, v[8:9]
.LBB215_7:                              ;   in Loop: Header=BB215_3 Depth=1
	s_or_b32 exec_lo, exec_lo, s2
	v_dual_mov_b32 v9, 0 :: v_dual_add_nc_u32 v8, s12, v10
	s_delay_alu instid0(VALU_DEP_1) | instskip(SKIP_1) | instid1(VALU_DEP_2)
	v_cmp_gt_i32_e64 s2, s23, v8
	v_mov_b32_e32 v8, 0
	s_and_b32 s13, vcc_lo, s2
	s_delay_alu instid0(SALU_CYCLE_1)
	s_and_saveexec_b32 s2, s13
	s_cbranch_execz .LBB215_2
; %bb.8:                                ;   in Loop: Header=BB215_3 Depth=1
	global_load_b64 v[8:9], v[3:4], off offset:-4
	s_branch .LBB215_2
.LBB215_9:
	v_cmp_le_i32_e32 vcc_lo, v0, v2
	v_cmp_gt_i32_e64 s2, s22, v2
	s_delay_alu instid0(VALU_DEP_1) | instskip(NEXT) | instid1(SALU_CYCLE_1)
	s_and_b32 s2, vcc_lo, s2
	s_and_saveexec_b32 s3, s2
	s_cbranch_execz .LBB215_11
; %bb.10:
	s_clause 0x1
	s_load_b32 s2, s[0:1], 0x50
	s_load_b64 s[0:1], s[0:1], 0x58
	v_lshlrev_b64 v[0:1], 3, v[0:1]
	s_waitcnt lgkmcnt(0)
	v_mad_i64_i32 v[3:4], null, s2, v2, 0
	s_mul_i32 s1, s15, s1
	s_mul_hi_u32 s2, s15, s0
	s_mul_i32 s0, s15, s0
	s_add_i32 s1, s2, s1
	s_delay_alu instid0(SALU_CYCLE_1) | instskip(NEXT) | instid1(VALU_DEP_1)
	s_lshl_b64 s[0:1], s[0:1], 3
	v_lshlrev_b64 v[2:3], 3, v[3:4]
	s_add_u32 s0, s20, s0
	s_addc_u32 s1, s21, s1
	s_delay_alu instid0(VALU_DEP_1) | instskip(NEXT) | instid1(VALU_DEP_2)
	v_add_co_u32 v2, vcc_lo, s0, v2
	v_add_co_ci_u32_e32 v3, vcc_lo, s1, v3, vcc_lo
	s_delay_alu instid0(VALU_DEP_2) | instskip(NEXT) | instid1(VALU_DEP_2)
	v_add_co_u32 v0, vcc_lo, v2, v0
	v_add_co_ci_u32_e32 v1, vcc_lo, v3, v1, vcc_lo
	global_load_b64 v[2:3], v[0:1], off
	v_mul_f32_e32 v4, s9, v16
	s_waitcnt vmcnt(0)
	v_dual_mul_f32 v5, s8, v16 :: v_dual_mul_f32 v6, s7, v3
	v_mul_f32_e32 v3, s6, v3
	s_delay_alu instid0(VALU_DEP_3) | instskip(NEXT) | instid1(VALU_DEP_3)
	v_fma_f32 v4, v17, s8, -v4
	v_fma_f32 v6, v2, s6, -v6
	s_delay_alu instid0(VALU_DEP_4) | instskip(NEXT) | instid1(VALU_DEP_4)
	v_fmac_f32_e32 v5, s9, v17
	v_fmac_f32_e32 v3, s7, v2
	s_delay_alu instid0(VALU_DEP_1)
	v_dual_add_f32 v2, v4, v6 :: v_dual_add_f32 v3, v5, v3
	global_store_b64 v[0:1], v[2:3], off
.LBB215_11:
	s_nop 0
	s_sendmsg sendmsg(MSG_DEALLOC_VGPRS)
	s_endpgm
	.section	.rodata,"a",@progbits
	.p2align	6, 0x0
	.amdhsa_kernel _ZL32rocblas_syrkx_herkx_small_kernelIi19rocblas_complex_numIfELi16ELb0ELb0ELc78ELc85EKS1_S1_EviT_T0_PT6_S3_lS6_S3_lS4_PT7_S3_li
		.amdhsa_group_segment_fixed_size 4096
		.amdhsa_private_segment_fixed_size 0
		.amdhsa_kernarg_size 100
		.amdhsa_user_sgpr_count 13
		.amdhsa_user_sgpr_dispatch_ptr 0
		.amdhsa_user_sgpr_queue_ptr 0
		.amdhsa_user_sgpr_kernarg_segment_ptr 1
		.amdhsa_user_sgpr_dispatch_id 0
		.amdhsa_user_sgpr_private_segment_size 0
		.amdhsa_wavefront_size32 1
		.amdhsa_uses_dynamic_stack 0
		.amdhsa_enable_private_segment 0
		.amdhsa_system_sgpr_workgroup_id_x 1
		.amdhsa_system_sgpr_workgroup_id_y 1
		.amdhsa_system_sgpr_workgroup_id_z 1
		.amdhsa_system_sgpr_workgroup_info 0
		.amdhsa_system_vgpr_workitem_id 1
		.amdhsa_next_free_vgpr 69
		.amdhsa_next_free_sgpr 28
		.amdhsa_reserve_vcc 1
		.amdhsa_float_round_mode_32 0
		.amdhsa_float_round_mode_16_64 0
		.amdhsa_float_denorm_mode_32 3
		.amdhsa_float_denorm_mode_16_64 3
		.amdhsa_dx10_clamp 1
		.amdhsa_ieee_mode 1
		.amdhsa_fp16_overflow 0
		.amdhsa_workgroup_processor_mode 1
		.amdhsa_memory_ordered 1
		.amdhsa_forward_progress 0
		.amdhsa_shared_vgpr_count 0
		.amdhsa_exception_fp_ieee_invalid_op 0
		.amdhsa_exception_fp_denorm_src 0
		.amdhsa_exception_fp_ieee_div_zero 0
		.amdhsa_exception_fp_ieee_overflow 0
		.amdhsa_exception_fp_ieee_underflow 0
		.amdhsa_exception_fp_ieee_inexact 0
		.amdhsa_exception_int_div_zero 0
	.end_amdhsa_kernel
	.section	.text._ZL32rocblas_syrkx_herkx_small_kernelIi19rocblas_complex_numIfELi16ELb0ELb0ELc78ELc85EKS1_S1_EviT_T0_PT6_S3_lS6_S3_lS4_PT7_S3_li,"axG",@progbits,_ZL32rocblas_syrkx_herkx_small_kernelIi19rocblas_complex_numIfELi16ELb0ELb0ELc78ELc85EKS1_S1_EviT_T0_PT6_S3_lS6_S3_lS4_PT7_S3_li,comdat
.Lfunc_end215:
	.size	_ZL32rocblas_syrkx_herkx_small_kernelIi19rocblas_complex_numIfELi16ELb0ELb0ELc78ELc85EKS1_S1_EviT_T0_PT6_S3_lS6_S3_lS4_PT7_S3_li, .Lfunc_end215-_ZL32rocblas_syrkx_herkx_small_kernelIi19rocblas_complex_numIfELi16ELb0ELb0ELc78ELc85EKS1_S1_EviT_T0_PT6_S3_lS6_S3_lS4_PT7_S3_li
                                        ; -- End function
	.section	.AMDGPU.csdata,"",@progbits
; Kernel info:
; codeLenInByte = 1572
; NumSgprs: 30
; NumVgprs: 69
; ScratchSize: 0
; MemoryBound: 1
; FloatMode: 240
; IeeeMode: 1
; LDSByteSize: 4096 bytes/workgroup (compile time only)
; SGPRBlocks: 3
; VGPRBlocks: 8
; NumSGPRsForWavesPerEU: 30
; NumVGPRsForWavesPerEU: 69
; Occupancy: 16
; WaveLimiterHint : 0
; COMPUTE_PGM_RSRC2:SCRATCH_EN: 0
; COMPUTE_PGM_RSRC2:USER_SGPR: 13
; COMPUTE_PGM_RSRC2:TRAP_HANDLER: 0
; COMPUTE_PGM_RSRC2:TGID_X_EN: 1
; COMPUTE_PGM_RSRC2:TGID_Y_EN: 1
; COMPUTE_PGM_RSRC2:TGID_Z_EN: 1
; COMPUTE_PGM_RSRC2:TIDIG_COMP_CNT: 1
	.section	.text._ZL34rocblas_syrkx_herkx_general_kernelIi19rocblas_complex_numIfELi16ELi32ELi8ELb1ELb0ELc84ELc76EKS1_S1_EviT_T0_PT8_S3_lS6_S3_lS4_PT9_S3_li,"axG",@progbits,_ZL34rocblas_syrkx_herkx_general_kernelIi19rocblas_complex_numIfELi16ELi32ELi8ELb1ELb0ELc84ELc76EKS1_S1_EviT_T0_PT8_S3_lS6_S3_lS4_PT9_S3_li,comdat
	.globl	_ZL34rocblas_syrkx_herkx_general_kernelIi19rocblas_complex_numIfELi16ELi32ELi8ELb1ELb0ELc84ELc76EKS1_S1_EviT_T0_PT8_S3_lS6_S3_lS4_PT9_S3_li ; -- Begin function _ZL34rocblas_syrkx_herkx_general_kernelIi19rocblas_complex_numIfELi16ELi32ELi8ELb1ELb0ELc84ELc76EKS1_S1_EviT_T0_PT8_S3_lS6_S3_lS4_PT9_S3_li
	.p2align	8
	.type	_ZL34rocblas_syrkx_herkx_general_kernelIi19rocblas_complex_numIfELi16ELi32ELi8ELb1ELb0ELc84ELc76EKS1_S1_EviT_T0_PT8_S3_lS6_S3_lS4_PT9_S3_li,@function
_ZL34rocblas_syrkx_herkx_general_kernelIi19rocblas_complex_numIfELi16ELi32ELi8ELb1ELb0ELc84ELc76EKS1_S1_EviT_T0_PT8_S3_lS6_S3_lS4_PT9_S3_li: ; @_ZL34rocblas_syrkx_herkx_general_kernelIi19rocblas_complex_numIfELi16ELi32ELi8ELb1ELb0ELc84ELc76EKS1_S1_EviT_T0_PT8_S3_lS6_S3_lS4_PT9_S3_li
; %bb.0:
	s_clause 0x1
	s_load_b64 s[16:17], s[0:1], 0x0
	s_load_b128 s[4:7], s[0:1], 0x8
	v_dual_mov_b32 v21, 0 :: v_dual_and_b32 v6, 0x3ff, v0
	v_bfe_u32 v7, v0, 10, 10
	v_dual_mov_b32 v20, 0 :: v_dual_mov_b32 v19, 0
	v_dual_mov_b32 v18, 0 :: v_dual_mov_b32 v17, 0
	;; [unrolled: 1-line block ×3, first 2 shown]
	v_mov_b32_e32 v14, 0
	s_lshl_b32 s12, s13, 5
	s_lshl_b32 s13, s14, 5
	s_mov_b32 s14, 0
	s_waitcnt lgkmcnt(0)
	s_cmp_lt_i32 s17, 1
	s_cbranch_scc1 .LBB216_11
; %bb.1:
	s_load_b32 s2, s[0:1], 0x18
	v_lshl_add_u32 v0, v7, 4, v6
	s_clause 0x2
	s_load_b128 s[8:11], s[0:1], 0x20
	s_load_b32 s3, s[0:1], 0x30
	s_load_b64 s[18:19], s[0:1], 0x38
	v_dual_mov_b32 v15, 0 :: v_dual_and_b32 v8, 7, v6
	v_dual_mov_b32 v17, 0 :: v_dual_and_b32 v2, 31, v0
	v_lshrrev_b32_e32 v1, 3, v0
	s_delay_alu instid0(VALU_DEP_3) | instskip(SKIP_1) | instid1(VALU_DEP_4)
	v_dual_mov_b32 v19, 0 :: v_dual_lshlrev_b32 v4, 3, v8
	v_lshrrev_b32_e32 v11, 5, v0
	v_dual_mov_b32 v16, 0 :: v_dual_add_nc_u32 v3, s12, v2
	s_delay_alu instid0(VALU_DEP_4) | instskip(NEXT) | instid1(VALU_DEP_4)
	v_add_nc_u32_e32 v5, s13, v1
	v_lshl_or_b32 v13, v1, 6, v4
	v_or_b32_e32 v12, s12, v2
	v_dual_mov_b32 v21, 0 :: v_dual_lshlrev_b32 v2, 3, v2
	v_lshlrev_b32_e32 v9, 3, v6
	v_lshl_add_u32 v10, v7, 6, 0x800
	s_waitcnt lgkmcnt(0)
	v_mad_i64_i32 v[0:1], null, s2, v3, 0
	s_mul_i32 s9, s9, s15
	s_mul_hi_u32 s20, s8, s15
	v_cmp_gt_i32_e32 vcc_lo, s16, v12
	v_lshl_or_b32 v12, v11, 8, v2
	v_mad_i64_i32 v[2:3], null, s3, v5, 0
	s_delay_alu instid0(VALU_DEP_4)
	v_lshlrev_b64 v[0:1], 3, v[0:1]
	s_mul_i32 s8, s8, s15
	s_add_i32 s9, s20, s9
	v_cmp_gt_i32_e64 s2, s16, v5
	s_lshl_b64 s[8:9], s[8:9], 3
	v_dual_mov_b32 v18, 0 :: v_dual_add_nc_u32 v13, 0x800, v13
	v_add_co_u32 v5, s3, v0, s8
	s_delay_alu instid0(VALU_DEP_1)
	v_add_co_ci_u32_e64 v14, s3, s9, v1, s3
	s_mul_i32 s3, s19, s15
	s_mul_hi_u32 s8, s18, s15
	v_lshlrev_b64 v[0:1], 3, v[2:3]
	s_add_i32 s9, s8, s3
	s_mul_i32 s8, s18, s15
	v_lshlrev_b32_e32 v2, 3, v11
	s_lshl_b64 s[8:9], s[8:9], 3
	v_mov_b32_e32 v20, 0
	v_add_co_u32 v0, s3, v0, s8
	s_delay_alu instid0(VALU_DEP_1) | instskip(SKIP_1) | instid1(VALU_DEP_1)
	v_add_co_ci_u32_e64 v1, s3, s9, v1, s3
	v_add_co_u32 v2, s3, v5, v2
	v_add_co_ci_u32_e64 v3, s3, 0, v14, s3
	s_delay_alu instid0(VALU_DEP_4) | instskip(NEXT) | instid1(VALU_DEP_1)
	v_add_co_u32 v4, s3, v0, v4
	v_add_co_ci_u32_e64 v5, s3, 0, v1, s3
	s_delay_alu instid0(VALU_DEP_4) | instskip(NEXT) | instid1(VALU_DEP_1)
	;; [unrolled: 3-line block ×3, first 2 shown]
	v_add_co_u32 v2, s3, s10, v4
	v_add_co_ci_u32_e64 v3, s3, s11, v5, s3
	v_mov_b32_e32 v4, 0
	v_mov_b32_e32 v14, 0
	s_xor_b32 s3, vcc_lo, -1
	s_xor_b32 s2, s2, -1
	s_branch .LBB216_3
.LBB216_2:                              ;   in Loop: Header=BB216_3 Depth=1
	s_or_b32 exec_lo, exec_lo, s6
	s_waitcnt lgkmcnt(0)
	s_barrier
	buffer_gl0_inv
	ds_load_2addr_b64 v[22:25], v9 offset1:16
	ds_load_b128 v[26:29], v10
	ds_load_b128 v[30:33], v10 offset:1024
	ds_load_b128 v[34:37], v10 offset:16
	;; [unrolled: 1-line block ×4, first 2 shown]
	ds_load_2addr_b64 v[46:49], v9 offset0:32 offset1:48
	ds_load_b128 v[50:53], v10 offset:1040
	v_add_co_u32 v0, vcc_lo, v0, 64
	v_add_co_ci_u32_e32 v1, vcc_lo, 0, v1, vcc_lo
	v_add_co_u32 v2, vcc_lo, v2, 64
	v_add_co_ci_u32_e32 v3, vcc_lo, 0, v3, vcc_lo
	s_add_i32 s14, s14, 8
	s_delay_alu instid0(SALU_CYCLE_1)
	s_cmp_ge_i32 s14, s17
	s_waitcnt lgkmcnt(6)
	v_dual_mul_f32 v5, v27, v23 :: v_dual_mul_f32 v56, v26, v25
	v_dual_mul_f32 v54, v26, v23 :: v_dual_mul_f32 v55, v27, v25
	s_waitcnt lgkmcnt(5)
	v_mul_f32_e32 v58, v31, v25
	s_delay_alu instid0(VALU_DEP_3) | instskip(SKIP_3) | instid1(VALU_DEP_4)
	v_fma_f32 v5, v26, v22, -v5
	v_dual_mul_f32 v25, v30, v25 :: v_dual_fmac_f32 v56, v27, v24
	v_fmac_f32_e32 v54, v27, v22
	v_fma_f32 v26, v26, v24, -v55
	v_add_f32_e32 v5, v20, v5
	v_mul_f32_e32 v57, v31, v23
	s_delay_alu instid0(VALU_DEP_4) | instskip(SKIP_2) | instid1(VALU_DEP_4)
	v_dual_mul_f32 v23, v30, v23 :: v_dual_add_f32 v20, v21, v54
	v_fmac_f32_e32 v25, v31, v24
	v_dual_add_f32 v21, v18, v26 :: v_dual_add_f32 v26, v19, v56
	v_fma_f32 v27, v30, v22, -v57
	s_delay_alu instid0(VALU_DEP_4) | instskip(SKIP_3) | instid1(VALU_DEP_2)
	v_fmac_f32_e32 v23, v31, v22
	v_fma_f32 v22, v30, v24, -v58
	s_waitcnt lgkmcnt(1)
	v_mul_f32_e32 v30, v29, v47
	v_dual_add_f32 v27, v16, v27 :: v_dual_add_f32 v14, v14, v22
	v_dual_mul_f32 v22, v28, v47 :: v_dual_add_f32 v15, v15, v25
	v_mul_f32_e32 v25, v28, v49
	s_delay_alu instid0(VALU_DEP_4) | instskip(NEXT) | instid1(VALU_DEP_3)
	v_fma_f32 v24, v28, v46, -v30
	v_fmac_f32_e32 v22, v29, v46
	v_add_f32_e32 v23, v17, v23
	ds_load_2addr_b64 v[16:19], v9 offset0:64 offset1:80
	v_mul_f32_e32 v30, v29, v49
	v_fmac_f32_e32 v25, v29, v48
	v_add_f32_e32 v5, v5, v24
	s_delay_alu instid0(VALU_DEP_2) | instskip(SKIP_1) | instid1(VALU_DEP_1)
	v_add_f32_e32 v25, v26, v25
	v_mul_f32_e32 v26, v32, v49
	v_fmac_f32_e32 v26, v33, v48
	s_waitcnt lgkmcnt(0)
	s_delay_alu instid0(VALU_DEP_1) | instskip(SKIP_1) | instid1(VALU_DEP_2)
	v_dual_add_f32 v26, v15, v26 :: v_dual_mul_f32 v29, v34, v17
	v_mul_f32_e32 v15, v34, v19
	v_fmac_f32_e32 v29, v35, v16
	v_fma_f32 v24, v28, v48, -v30
	v_mul_f32_e32 v28, v33, v47
	v_add_f32_e32 v30, v20, v22
	v_mul_f32_e32 v20, v32, v47
	v_mul_f32_e32 v22, v33, v49
	v_add_f32_e32 v24, v21, v24
	v_fma_f32 v21, v32, v46, -v28
	s_delay_alu instid0(VALU_DEP_4) | instskip(SKIP_1) | instid1(VALU_DEP_3)
	v_dual_add_f32 v29, v30, v29 :: v_dual_fmac_f32 v20, v33, v46
	v_fmac_f32_e32 v15, v35, v18
	v_add_f32_e32 v27, v27, v21
	v_fma_f32 v21, v32, v48, -v22
	v_mul_f32_e32 v22, v35, v17
	v_mul_f32_e32 v32, v35, v19
	v_add_f32_e32 v28, v23, v20
	s_delay_alu instid0(VALU_DEP_4) | instskip(NEXT) | instid1(VALU_DEP_4)
	v_add_f32_e32 v14, v14, v21
	v_fma_f32 v31, v34, v16, -v22
	ds_load_2addr_b64 v[20:23], v9 offset0:96 offset1:112
	v_add_f32_e32 v5, v5, v31
	v_fma_f32 v31, v34, v18, -v32
	s_delay_alu instid0(VALU_DEP_1) | instskip(SKIP_3) | instid1(VALU_DEP_3)
	v_add_f32_e32 v24, v24, v31
	v_mul_f32_e32 v31, v51, v19
	v_mul_f32_e32 v19, v50, v19
	v_add_f32_e32 v32, v25, v15
	v_fma_f32 v15, v50, v18, -v31
	s_delay_alu instid0(VALU_DEP_3)
	v_fmac_f32_e32 v19, v51, v18
	v_mul_f32_e32 v30, v51, v17
	v_mul_f32_e32 v17, v50, v17
	s_waitcnt lgkmcnt(0)
	v_dual_mul_f32 v18, v37, v21 :: v_dual_add_f32 v31, v14, v15
	v_add_f32_e32 v33, v26, v19
	v_fma_f32 v30, v50, v16, -v30
	v_fmac_f32_e32 v17, v51, v16
	s_delay_alu instid0(VALU_DEP_4) | instskip(SKIP_1) | instid1(VALU_DEP_4)
	v_fma_f32 v18, v36, v20, -v18
	v_mul_f32_e32 v25, v36, v21
	v_dual_mul_f32 v19, v36, v23 :: v_dual_add_f32 v30, v27, v30
	s_delay_alu instid0(VALU_DEP_4) | instskip(SKIP_4) | instid1(VALU_DEP_2)
	v_add_f32_e32 v28, v28, v17
	ds_load_2addr_b64 v[14:17], v9 offset0:128 offset1:144
	v_add_f32_e32 v5, v5, v18
	v_mul_f32_e32 v18, v53, v21
	v_fmac_f32_e32 v19, v37, v22
	v_fma_f32 v18, v52, v20, -v18
	v_mul_f32_e32 v27, v37, v23
	s_delay_alu instid0(VALU_DEP_1) | instskip(NEXT) | instid1(VALU_DEP_3)
	v_fma_f32 v26, v36, v22, -v27
	v_add_f32_e32 v36, v30, v18
	s_waitcnt lgkmcnt(0)
	s_delay_alu instid0(VALU_DEP_2) | instskip(SKIP_2) | instid1(VALU_DEP_3)
	v_dual_add_f32 v35, v24, v26 :: v_dual_mul_f32 v46, v38, v15
	v_dual_fmac_f32 v25, v37, v20 :: v_dual_add_f32 v32, v32, v19
	v_mul_f32_e32 v18, v39, v15
	v_fmac_f32_e32 v46, v39, v14
	s_delay_alu instid0(VALU_DEP_3)
	v_add_f32_e32 v34, v29, v25
	v_mul_f32_e32 v29, v53, v23
	v_mul_f32_e32 v23, v52, v23
	ds_load_b128 v[24:27], v10 offset:1056
	v_add_f32_e32 v34, v34, v46
	v_fma_f32 v19, v52, v22, -v29
	v_mul_f32_e32 v21, v52, v21
	v_fmac_f32_e32 v23, v53, v22
	v_mul_f32_e32 v29, v39, v17
	s_delay_alu instid0(VALU_DEP_3) | instskip(NEXT) | instid1(VALU_DEP_3)
	v_dual_add_f32 v22, v31, v19 :: v_dual_fmac_f32 v21, v53, v20
	v_add_f32_e32 v23, v33, v23
	s_delay_alu instid0(VALU_DEP_2) | instskip(SKIP_4) | instid1(VALU_DEP_2)
	v_add_f32_e32 v37, v28, v21
	v_fma_f32 v28, v38, v14, -v18
	ds_load_2addr_b64 v[18:21], v9 offset0:160 offset1:176
	v_mul_f32_e32 v33, v38, v17
	v_fma_f32 v38, v38, v16, -v29
	v_fmac_f32_e32 v33, v39, v16
	s_delay_alu instid0(VALU_DEP_1)
	v_dual_add_f32 v35, v35, v38 :: v_dual_add_f32 v32, v32, v33
	v_add_f32_e32 v5, v5, v28
	ds_load_b128 v[28:31], v10 offset:1072
	s_waitcnt lgkmcnt(2)
	v_mul_f32_e32 v47, v25, v15
	v_mul_f32_e32 v15, v24, v15
	v_mul_f32_e32 v39, v25, v17
	v_mul_f32_e32 v33, v24, v17
	s_delay_alu instid0(VALU_DEP_4) | instskip(NEXT) | instid1(VALU_DEP_4)
	v_fma_f32 v38, v24, v14, -v47
	v_fmac_f32_e32 v15, v25, v14
	s_delay_alu instid0(VALU_DEP_4)
	v_fma_f32 v14, v24, v16, -v39
	s_waitcnt lgkmcnt(1)
	v_mul_f32_e32 v17, v41, v19
	v_dual_fmac_f32 v33, v25, v16 :: v_dual_add_f32 v36, v36, v38
	v_add_f32_e32 v24, v37, v15
	v_add_f32_e32 v22, v22, v14
	s_delay_alu instid0(VALU_DEP_4) | instskip(SKIP_2) | instid1(VALU_DEP_1)
	v_fma_f32 v37, v40, v18, -v17
	ds_load_2addr_b64 v[14:17], v9 offset0:192 offset1:208
	v_dual_mul_f32 v25, v40, v19 :: v_dual_mul_f32 v38, v41, v21
	v_fmac_f32_e32 v25, v41, v18
	s_delay_alu instid0(VALU_DEP_1) | instskip(SKIP_4) | instid1(VALU_DEP_3)
	v_add_f32_e32 v34, v34, v25
	v_add_f32_e32 v33, v23, v33
	v_mul_f32_e32 v23, v40, v21
	v_mul_f32_e32 v25, v27, v19
	;; [unrolled: 1-line block ×3, first 2 shown]
	v_fmac_f32_e32 v23, v41, v20
	s_delay_alu instid0(VALU_DEP_3) | instskip(NEXT) | instid1(VALU_DEP_2)
	v_fma_f32 v25, v26, v18, -v25
	v_dual_fmac_f32 v19, v27, v18 :: v_dual_add_f32 v18, v32, v23
	s_waitcnt lgkmcnt(0)
	v_dual_mul_f32 v32, v43, v15 :: v_dual_add_f32 v5, v5, v37
	v_fma_f32 v37, v40, v20, -v38
	s_delay_alu instid0(VALU_DEP_3) | instskip(NEXT) | instid1(VALU_DEP_3)
	v_add_f32_e32 v19, v24, v19
	v_fma_f32 v32, v42, v14, -v32
	s_delay_alu instid0(VALU_DEP_1) | instskip(NEXT) | instid1(VALU_DEP_4)
	v_add_f32_e32 v5, v5, v32
	v_add_f32_e32 v35, v35, v37
	v_mul_f32_e32 v37, v27, v21
	v_dual_mul_f32 v21, v26, v21 :: v_dual_mul_f32 v32, v29, v15
	s_delay_alu instid0(VALU_DEP_2) | instskip(NEXT) | instid1(VALU_DEP_2)
	v_fma_f32 v23, v26, v20, -v37
	v_dual_add_f32 v26, v36, v25 :: v_dual_fmac_f32 v21, v27, v20
	v_mul_f32_e32 v27, v42, v15
	v_mul_f32_e32 v15, v28, v15
	s_delay_alu instid0(VALU_DEP_4)
	v_add_f32_e32 v20, v22, v23
	ds_load_2addr_b64 v[22:25], v9 offset0:224 offset1:240
	v_fma_f32 v32, v28, v14, -v32
	v_dual_fmac_f32 v27, v43, v14 :: v_dual_mul_f32 v36, v42, v17
	v_fmac_f32_e32 v15, v29, v14
	s_waitcnt lgkmcnt(0)
	s_delay_alu instid0(VALU_DEP_3) | instskip(NEXT) | instid1(VALU_DEP_3)
	v_add_f32_e32 v14, v26, v32
	v_dual_add_f32 v27, v34, v27 :: v_dual_fmac_f32 v36, v43, v16
	s_delay_alu instid0(VALU_DEP_3)
	v_dual_mul_f32 v34, v29, v17 :: v_dual_add_f32 v15, v19, v15
	s_barrier
	buffer_gl0_inv
	v_mul_f32_e32 v26, v45, v23
	v_add_f32_e32 v21, v33, v21
	v_mul_f32_e32 v33, v43, v17
	v_mul_f32_e32 v17, v28, v17
	;; [unrolled: 1-line block ×3, first 2 shown]
	s_delay_alu instid0(VALU_DEP_3) | instskip(NEXT) | instid1(VALU_DEP_3)
	v_fma_f32 v33, v42, v16, -v33
	v_fmac_f32_e32 v17, v29, v16
	s_delay_alu instid0(VALU_DEP_3) | instskip(NEXT) | instid1(VALU_DEP_3)
	v_fmac_f32_e32 v19, v45, v24
	v_add_f32_e32 v33, v35, v33
	v_add_f32_e32 v35, v18, v36
	v_fma_f32 v18, v28, v16, -v34
	v_fma_f32 v16, v44, v22, -v26
	v_mul_f32_e32 v28, v44, v23
	v_dual_add_f32 v26, v21, v17 :: v_dual_mul_f32 v17, v30, v23
	s_delay_alu instid0(VALU_DEP_4) | instskip(NEXT) | instid1(VALU_DEP_4)
	v_dual_add_f32 v29, v20, v18 :: v_dual_mul_f32 v18, v45, v25
	v_add_f32_e32 v20, v5, v16
	v_mul_f32_e32 v16, v31, v23
	v_mul_f32_e32 v23, v31, v25
	;; [unrolled: 1-line block ×3, first 2 shown]
	v_fma_f32 v5, v44, v24, -v18
	v_fmac_f32_e32 v28, v45, v22
	v_fmac_f32_e32 v17, v31, v22
	v_add_f32_e32 v19, v35, v19
	s_delay_alu instid0(VALU_DEP_4)
	v_dual_fmac_f32 v25, v31, v24 :: v_dual_add_f32 v18, v33, v5
	v_fma_f32 v5, v30, v22, -v16
	v_fma_f32 v22, v30, v24, -v23
	v_add_f32_e32 v21, v27, v28
	v_add_f32_e32 v17, v15, v17
	;; [unrolled: 1-line block ×5, first 2 shown]
	s_cbranch_scc1 .LBB216_11
.LBB216_3:                              ; =>This Inner Loop Header: Depth=1
	v_add_nc_u32_e32 v5, s14, v11
	s_delay_alu instid0(VALU_DEP_1) | instskip(SKIP_1) | instid1(SALU_CYCLE_1)
	v_cmp_le_i32_e32 vcc_lo, s17, v5
	s_or_b32 s6, s3, vcc_lo
	s_and_saveexec_b32 s7, s6
	s_delay_alu instid0(SALU_CYCLE_1)
	s_xor_b32 s6, exec_lo, s7
	s_cbranch_execz .LBB216_5
; %bb.4:                                ;   in Loop: Header=BB216_3 Depth=1
	v_mov_b32_e32 v5, v4
	ds_store_b64 v12, v[4:5]
.LBB216_5:                              ;   in Loop: Header=BB216_3 Depth=1
	s_and_not1_saveexec_b32 s6, s6
	s_cbranch_execz .LBB216_7
; %bb.6:                                ;   in Loop: Header=BB216_3 Depth=1
	global_load_b64 v[22:23], v[0:1], off
	s_waitcnt vmcnt(0)
	ds_store_b64 v12, v[22:23]
.LBB216_7:                              ;   in Loop: Header=BB216_3 Depth=1
	s_or_b32 exec_lo, exec_lo, s6
	v_add_nc_u32_e32 v5, s14, v8
	s_delay_alu instid0(VALU_DEP_1) | instskip(SKIP_1) | instid1(SALU_CYCLE_1)
	v_cmp_le_i32_e32 vcc_lo, s17, v5
	s_or_b32 s6, vcc_lo, s2
	s_and_saveexec_b32 s7, s6
	s_delay_alu instid0(SALU_CYCLE_1)
	s_xor_b32 s6, exec_lo, s7
	s_cbranch_execz .LBB216_9
; %bb.8:                                ;   in Loop: Header=BB216_3 Depth=1
	v_mov_b32_e32 v5, v4
	ds_store_b64 v13, v[4:5]
.LBB216_9:                              ;   in Loop: Header=BB216_3 Depth=1
	s_and_not1_saveexec_b32 s6, s6
	s_cbranch_execz .LBB216_2
; %bb.10:                               ;   in Loop: Header=BB216_3 Depth=1
	global_load_b64 v[22:23], v[2:3], off
	s_waitcnt vmcnt(0)
	ds_store_b64 v13, v[22:23]
	s_branch .LBB216_2
.LBB216_11:
	s_clause 0x2
	s_load_b32 s2, s[0:1], 0x50
	s_load_b64 s[6:7], s[0:1], 0x58
	s_load_b64 s[8:9], s[0:1], 0x48
	v_add_nc_u32_e32 v4, s13, v7
	v_add_nc_u32_e32 v0, s12, v6
	s_delay_alu instid0(VALU_DEP_1)
	v_cmp_le_i32_e64 s0, v4, v0
	v_cmp_gt_i32_e32 vcc_lo, s16, v0
	s_waitcnt lgkmcnt(0)
	v_mad_i64_i32 v[1:2], null, v4, s2, 0
	s_mul_i32 s1, s15, s7
	s_mul_hi_u32 s3, s15, s6
	s_mul_i32 s6, s15, s6
	s_add_i32 s7, s3, s1
	s_delay_alu instid0(SALU_CYCLE_1) | instskip(NEXT) | instid1(VALU_DEP_1)
	s_lshl_b64 s[6:7], s[6:7], 3
	v_lshlrev_b64 v[1:2], 3, v[1:2]
	s_add_u32 s3, s8, s6
	s_addc_u32 s6, s9, s7
	s_and_b32 s0, s0, vcc_lo
	s_delay_alu instid0(VALU_DEP_1) | instskip(NEXT) | instid1(VALU_DEP_1)
	v_add_co_u32 v5, s1, s3, v1
	v_add_co_ci_u32_e64 v6, s1, s6, v2, s1
	s_and_saveexec_b32 s1, s0
	s_cbranch_execz .LBB216_13
; %bb.12:
	v_ashrrev_i32_e32 v1, 31, v0
	v_mul_f32_e32 v2, s4, v21
	v_mul_f32_e32 v3, s5, v21
	s_delay_alu instid0(VALU_DEP_3) | instskip(NEXT) | instid1(VALU_DEP_3)
	v_lshlrev_b64 v[7:8], 3, v[0:1]
	v_fmac_f32_e32 v2, s5, v20
	s_delay_alu instid0(VALU_DEP_3) | instskip(NEXT) | instid1(VALU_DEP_3)
	v_fma_f32 v1, v20, s4, -v3
	v_add_co_u32 v7, s0, v5, v7
	s_delay_alu instid0(VALU_DEP_1)
	v_add_co_ci_u32_e64 v8, s0, v6, v8, s0
	global_store_b64 v[7:8], v[1:2], off
.LBB216_13:
	s_or_b32 exec_lo, exec_lo, s1
	v_add_nc_u32_e32 v2, 16, v0
	s_delay_alu instid0(VALU_DEP_1) | instskip(SKIP_1) | instid1(VALU_DEP_1)
	v_cmp_le_i32_e64 s1, v4, v2
	v_cmp_gt_i32_e64 s0, s16, v2
	s_and_b32 s1, s1, s0
	s_delay_alu instid0(SALU_CYCLE_1)
	s_and_saveexec_b32 s7, s1
	s_cbranch_execz .LBB216_15
; %bb.14:
	v_ashrrev_i32_e32 v3, 31, v2
	v_mul_f32_e32 v8, s4, v19
	v_mul_f32_e32 v1, s5, v19
	s_delay_alu instid0(VALU_DEP_3) | instskip(NEXT) | instid1(VALU_DEP_3)
	v_lshlrev_b64 v[9:10], 3, v[2:3]
	v_fmac_f32_e32 v8, s5, v18
	s_delay_alu instid0(VALU_DEP_3) | instskip(NEXT) | instid1(VALU_DEP_3)
	v_fma_f32 v7, v18, s4, -v1
	v_add_co_u32 v5, s1, v5, v9
	s_delay_alu instid0(VALU_DEP_1)
	v_add_co_ci_u32_e64 v6, s1, v6, v10, s1
	global_store_b64 v[5:6], v[7:8], off
.LBB216_15:
	s_or_b32 exec_lo, exec_lo, s7
	v_add_nc_u32_e32 v3, 16, v4
	s_delay_alu instid0(VALU_DEP_1) | instskip(SKIP_1) | instid1(VALU_DEP_2)
	v_mad_i64_i32 v[4:5], null, v3, s2, 0
	v_cmp_le_i32_e64 s1, v3, v0
	v_lshlrev_b64 v[4:5], 3, v[4:5]
	s_delay_alu instid0(VALU_DEP_1) | instskip(NEXT) | instid1(VALU_DEP_1)
	v_add_co_u32 v4, s2, s3, v4
	v_add_co_ci_u32_e64 v5, s2, s6, v5, s2
	s_delay_alu instid0(VALU_DEP_4) | instskip(NEXT) | instid1(SALU_CYCLE_1)
	s_and_b32 s2, s1, vcc_lo
	s_and_saveexec_b32 s1, s2
	s_cbranch_execz .LBB216_17
; %bb.16:
	v_ashrrev_i32_e32 v1, 31, v0
	v_mul_f32_e32 v7, s4, v17
	v_mul_f32_e32 v6, s5, v17
	s_delay_alu instid0(VALU_DEP_3) | instskip(NEXT) | instid1(VALU_DEP_3)
	v_lshlrev_b64 v[0:1], 3, v[0:1]
	v_fmac_f32_e32 v7, s5, v16
	s_delay_alu instid0(VALU_DEP_3) | instskip(NEXT) | instid1(VALU_DEP_3)
	v_fma_f32 v6, v16, s4, -v6
	v_add_co_u32 v0, vcc_lo, v4, v0
	s_delay_alu instid0(VALU_DEP_4)
	v_add_co_ci_u32_e32 v1, vcc_lo, v5, v1, vcc_lo
	global_store_b64 v[0:1], v[6:7], off
.LBB216_17:
	s_or_b32 exec_lo, exec_lo, s1
	v_cmp_le_i32_e32 vcc_lo, v3, v2
	s_and_b32 s0, vcc_lo, s0
	s_delay_alu instid0(SALU_CYCLE_1)
	s_and_saveexec_b32 s1, s0
	s_cbranch_execz .LBB216_19
; %bb.18:
	v_ashrrev_i32_e32 v3, 31, v2
	v_mul_f32_e32 v1, s4, v15
	v_mul_f32_e32 v0, s5, v15
	s_delay_alu instid0(VALU_DEP_3) | instskip(NEXT) | instid1(VALU_DEP_3)
	v_lshlrev_b64 v[2:3], 3, v[2:3]
	v_fmac_f32_e32 v1, s5, v14
	s_delay_alu instid0(VALU_DEP_3) | instskip(NEXT) | instid1(VALU_DEP_3)
	v_fma_f32 v0, v14, s4, -v0
	v_add_co_u32 v2, vcc_lo, v4, v2
	s_delay_alu instid0(VALU_DEP_4)
	v_add_co_ci_u32_e32 v3, vcc_lo, v5, v3, vcc_lo
	global_store_b64 v[2:3], v[0:1], off
.LBB216_19:
	s_nop 0
	s_sendmsg sendmsg(MSG_DEALLOC_VGPRS)
	s_endpgm
	.section	.rodata,"a",@progbits
	.p2align	6, 0x0
	.amdhsa_kernel _ZL34rocblas_syrkx_herkx_general_kernelIi19rocblas_complex_numIfELi16ELi32ELi8ELb1ELb0ELc84ELc76EKS1_S1_EviT_T0_PT8_S3_lS6_S3_lS4_PT9_S3_li
		.amdhsa_group_segment_fixed_size 4096
		.amdhsa_private_segment_fixed_size 0
		.amdhsa_kernarg_size 100
		.amdhsa_user_sgpr_count 13
		.amdhsa_user_sgpr_dispatch_ptr 0
		.amdhsa_user_sgpr_queue_ptr 0
		.amdhsa_user_sgpr_kernarg_segment_ptr 1
		.amdhsa_user_sgpr_dispatch_id 0
		.amdhsa_user_sgpr_private_segment_size 0
		.amdhsa_wavefront_size32 1
		.amdhsa_uses_dynamic_stack 0
		.amdhsa_enable_private_segment 0
		.amdhsa_system_sgpr_workgroup_id_x 1
		.amdhsa_system_sgpr_workgroup_id_y 1
		.amdhsa_system_sgpr_workgroup_id_z 1
		.amdhsa_system_sgpr_workgroup_info 0
		.amdhsa_system_vgpr_workitem_id 1
		.amdhsa_next_free_vgpr 59
		.amdhsa_next_free_sgpr 21
		.amdhsa_reserve_vcc 1
		.amdhsa_float_round_mode_32 0
		.amdhsa_float_round_mode_16_64 0
		.amdhsa_float_denorm_mode_32 3
		.amdhsa_float_denorm_mode_16_64 3
		.amdhsa_dx10_clamp 1
		.amdhsa_ieee_mode 1
		.amdhsa_fp16_overflow 0
		.amdhsa_workgroup_processor_mode 1
		.amdhsa_memory_ordered 1
		.amdhsa_forward_progress 0
		.amdhsa_shared_vgpr_count 0
		.amdhsa_exception_fp_ieee_invalid_op 0
		.amdhsa_exception_fp_denorm_src 0
		.amdhsa_exception_fp_ieee_div_zero 0
		.amdhsa_exception_fp_ieee_overflow 0
		.amdhsa_exception_fp_ieee_underflow 0
		.amdhsa_exception_fp_ieee_inexact 0
		.amdhsa_exception_int_div_zero 0
	.end_amdhsa_kernel
	.section	.text._ZL34rocblas_syrkx_herkx_general_kernelIi19rocblas_complex_numIfELi16ELi32ELi8ELb1ELb0ELc84ELc76EKS1_S1_EviT_T0_PT8_S3_lS6_S3_lS4_PT9_S3_li,"axG",@progbits,_ZL34rocblas_syrkx_herkx_general_kernelIi19rocblas_complex_numIfELi16ELi32ELi8ELb1ELb0ELc84ELc76EKS1_S1_EviT_T0_PT8_S3_lS6_S3_lS4_PT9_S3_li,comdat
.Lfunc_end216:
	.size	_ZL34rocblas_syrkx_herkx_general_kernelIi19rocblas_complex_numIfELi16ELi32ELi8ELb1ELb0ELc84ELc76EKS1_S1_EviT_T0_PT8_S3_lS6_S3_lS4_PT9_S3_li, .Lfunc_end216-_ZL34rocblas_syrkx_herkx_general_kernelIi19rocblas_complex_numIfELi16ELi32ELi8ELb1ELb0ELc84ELc76EKS1_S1_EviT_T0_PT8_S3_lS6_S3_lS4_PT9_S3_li
                                        ; -- End function
	.section	.AMDGPU.csdata,"",@progbits
; Kernel info:
; codeLenInByte = 2452
; NumSgprs: 23
; NumVgprs: 59
; ScratchSize: 0
; MemoryBound: 1
; FloatMode: 240
; IeeeMode: 1
; LDSByteSize: 4096 bytes/workgroup (compile time only)
; SGPRBlocks: 2
; VGPRBlocks: 7
; NumSGPRsForWavesPerEU: 23
; NumVGPRsForWavesPerEU: 59
; Occupancy: 16
; WaveLimiterHint : 0
; COMPUTE_PGM_RSRC2:SCRATCH_EN: 0
; COMPUTE_PGM_RSRC2:USER_SGPR: 13
; COMPUTE_PGM_RSRC2:TRAP_HANDLER: 0
; COMPUTE_PGM_RSRC2:TGID_X_EN: 1
; COMPUTE_PGM_RSRC2:TGID_Y_EN: 1
; COMPUTE_PGM_RSRC2:TGID_Z_EN: 1
; COMPUTE_PGM_RSRC2:TIDIG_COMP_CNT: 1
	.section	.text._ZL34rocblas_syrkx_herkx_general_kernelIi19rocblas_complex_numIfELi16ELi32ELi8ELb1ELb0ELc67ELc76EKS1_S1_EviT_T0_PT8_S3_lS6_S3_lS4_PT9_S3_li,"axG",@progbits,_ZL34rocblas_syrkx_herkx_general_kernelIi19rocblas_complex_numIfELi16ELi32ELi8ELb1ELb0ELc67ELc76EKS1_S1_EviT_T0_PT8_S3_lS6_S3_lS4_PT9_S3_li,comdat
	.globl	_ZL34rocblas_syrkx_herkx_general_kernelIi19rocblas_complex_numIfELi16ELi32ELi8ELb1ELb0ELc67ELc76EKS1_S1_EviT_T0_PT8_S3_lS6_S3_lS4_PT9_S3_li ; -- Begin function _ZL34rocblas_syrkx_herkx_general_kernelIi19rocblas_complex_numIfELi16ELi32ELi8ELb1ELb0ELc67ELc76EKS1_S1_EviT_T0_PT8_S3_lS6_S3_lS4_PT9_S3_li
	.p2align	8
	.type	_ZL34rocblas_syrkx_herkx_general_kernelIi19rocblas_complex_numIfELi16ELi32ELi8ELb1ELb0ELc67ELc76EKS1_S1_EviT_T0_PT8_S3_lS6_S3_lS4_PT9_S3_li,@function
_ZL34rocblas_syrkx_herkx_general_kernelIi19rocblas_complex_numIfELi16ELi32ELi8ELb1ELb0ELc67ELc76EKS1_S1_EviT_T0_PT8_S3_lS6_S3_lS4_PT9_S3_li: ; @_ZL34rocblas_syrkx_herkx_general_kernelIi19rocblas_complex_numIfELi16ELi32ELi8ELb1ELb0ELc67ELc76EKS1_S1_EviT_T0_PT8_S3_lS6_S3_lS4_PT9_S3_li
; %bb.0:
	s_clause 0x1
	s_load_b64 s[16:17], s[0:1], 0x0
	s_load_b128 s[4:7], s[0:1], 0x8
	v_dual_mov_b32 v22, 0 :: v_dual_and_b32 v7, 0x3ff, v0
	v_bfe_u32 v8, v0, 10, 10
	v_dual_mov_b32 v21, 0 :: v_dual_mov_b32 v20, 0
	v_dual_mov_b32 v19, 0 :: v_dual_mov_b32 v18, 0
	;; [unrolled: 1-line block ×3, first 2 shown]
	v_mov_b32_e32 v15, 0
	s_lshl_b32 s12, s13, 5
	s_lshl_b32 s13, s14, 5
	s_mov_b32 s14, 0
	s_waitcnt lgkmcnt(0)
	s_cmp_lt_i32 s17, 1
	s_cbranch_scc1 .LBB217_9
; %bb.1:
	s_load_b32 s2, s[0:1], 0x18
	v_lshl_add_u32 v0, v8, 4, v7
	s_clause 0x2
	s_load_b128 s[8:11], s[0:1], 0x20
	s_load_b32 s3, s[0:1], 0x30
	s_load_b64 s[18:19], s[0:1], 0x38
	v_and_b32_e32 v9, 7, v7
	v_dual_mov_b32 v17, 0 :: v_dual_lshlrev_b32 v10, 3, v7
	v_and_b32_e32 v2, 31, v0
	v_lshrrev_b32_e32 v1, 3, v0
	s_delay_alu instid0(VALU_DEP_4) | instskip(SKIP_1) | instid1(VALU_DEP_4)
	v_dual_mov_b32 v19, 0 :: v_dual_lshlrev_b32 v4, 3, v9
	v_lshrrev_b32_e32 v12, 5, v0
	v_dual_mov_b32 v18, 0 :: v_dual_add_nc_u32 v3, s12, v2
	s_delay_alu instid0(VALU_DEP_4) | instskip(NEXT) | instid1(VALU_DEP_4)
	v_dual_mov_b32 v16, 0 :: v_dual_add_nc_u32 v5, s13, v1
	v_lshl_or_b32 v14, v1, 6, v4
	v_or_b32_e32 v6, s12, v2
	v_dual_mov_b32 v21, 0 :: v_dual_lshlrev_b32 v2, 3, v2
	v_dual_mov_b32 v20, 0 :: v_dual_lshlrev_b32 v15, 3, v12
	s_waitcnt lgkmcnt(0)
	v_mad_i64_i32 v[0:1], null, s2, v3, 0
	s_mul_i32 s9, s9, s15
	s_mul_hi_u32 s20, s8, s15
	v_lshl_or_b32 v13, v12, 8, v2
	v_mad_i64_i32 v[2:3], null, s3, v5, 0
	s_mul_i32 s8, s8, s15
	s_delay_alu instid0(VALU_DEP_3)
	v_lshlrev_b64 v[0:1], 3, v[0:1]
	s_add_i32 s9, s20, s9
	v_cmp_gt_i32_e64 s2, s16, v5
	s_lshl_b64 s[8:9], s[8:9], 3
	v_cmp_gt_i32_e32 vcc_lo, s16, v6
	v_lshl_add_u32 v11, v8, 6, 0x800
	v_add_co_u32 v5, s3, v0, s8
	s_delay_alu instid0(VALU_DEP_1)
	v_add_co_ci_u32_e64 v6, s3, s9, v1, s3
	s_mul_i32 s3, s19, s15
	s_mul_hi_u32 s8, s18, s15
	v_lshlrev_b64 v[0:1], 3, v[2:3]
	s_add_i32 s9, s8, s3
	s_mul_i32 s8, s18, s15
	v_add_co_u32 v2, s3, v5, v15
	s_lshl_b64 s[8:9], s[8:9], 3
	v_add_co_ci_u32_e64 v3, s3, 0, v6, s3
	v_add_co_u32 v0, s3, v0, s8
	s_delay_alu instid0(VALU_DEP_1) | instskip(SKIP_1) | instid1(VALU_DEP_1)
	v_add_co_ci_u32_e64 v1, s3, s9, v1, s3
	v_add_co_u32 v2, s3, v2, s6
	v_add_co_ci_u32_e64 v3, s3, s7, v3, s3
	s_delay_alu instid0(VALU_DEP_4) | instskip(NEXT) | instid1(VALU_DEP_1)
	v_add_co_u32 v4, s3, v0, v4
	v_add_co_ci_u32_e64 v5, s3, 0, v1, s3
	s_delay_alu instid0(VALU_DEP_4) | instskip(NEXT) | instid1(VALU_DEP_1)
	v_add_co_u32 v0, s3, v2, 4
	v_add_co_ci_u32_e64 v1, s3, 0, v3, s3
	s_delay_alu instid0(VALU_DEP_4)
	v_add_co_u32 v2, s3, s10, v4
	v_add_nc_u32_e32 v14, 0x800, v14
	v_add_co_ci_u32_e64 v3, s3, s11, v5, s3
	v_dual_mov_b32 v4, 0 :: v_dual_mov_b32 v15, 0
	v_mov_b32_e32 v22, 0
	s_xor_b32 s3, s2, -1
	s_branch .LBB217_3
.LBB217_2:                              ;   in Loop: Header=BB217_3 Depth=1
	s_or_b32 exec_lo, exec_lo, s2
	s_waitcnt lgkmcnt(0)
	s_barrier
	buffer_gl0_inv
	ds_load_2addr_b64 v[23:26], v10 offset1:16
	ds_load_b128 v[27:30], v11
	ds_load_b128 v[31:34], v11 offset:1024
	ds_load_b128 v[35:38], v11 offset:16
	;; [unrolled: 1-line block ×4, first 2 shown]
	ds_load_2addr_b64 v[47:50], v10 offset0:32 offset1:48
	ds_load_b128 v[51:54], v11 offset:1040
	v_add_co_u32 v0, s2, v0, 64
	s_delay_alu instid0(VALU_DEP_1) | instskip(SKIP_1) | instid1(VALU_DEP_1)
	v_add_co_ci_u32_e64 v1, s2, 0, v1, s2
	v_add_co_u32 v2, s2, v2, 64
	v_add_co_ci_u32_e64 v3, s2, 0, v3, s2
	s_add_i32 s14, s14, 8
	s_delay_alu instid0(SALU_CYCLE_1)
	s_cmp_ge_i32 s14, s17
	s_waitcnt lgkmcnt(6)
	v_dual_mul_f32 v5, v28, v24 :: v_dual_mul_f32 v56, v27, v26
	v_dual_mul_f32 v6, v27, v24 :: v_dual_mul_f32 v55, v28, v26
	s_waitcnt lgkmcnt(5)
	v_mul_f32_e32 v57, v32, v24
	s_delay_alu instid0(VALU_DEP_3)
	v_fma_f32 v5, v27, v23, -v5
	v_fmac_f32_e32 v56, v28, v25
	v_fmac_f32_e32 v6, v28, v23
	v_fma_f32 v27, v27, v25, -v55
	v_mul_f32_e32 v58, v32, v26
	v_mul_f32_e32 v26, v31, v26
	v_fma_f32 v28, v31, v23, -v57
	v_dual_mul_f32 v24, v31, v24 :: v_dual_add_f32 v5, v21, v5
	s_delay_alu instid0(VALU_DEP_3) | instskip(NEXT) | instid1(VALU_DEP_3)
	v_dual_add_f32 v21, v19, v27 :: v_dual_fmac_f32 v26, v32, v25
	v_add_f32_e32 v27, v17, v28
	s_waitcnt lgkmcnt(1)
	v_mul_f32_e32 v28, v30, v48
	v_fmac_f32_e32 v24, v32, v23
	v_fma_f32 v23, v31, v25, -v58
	s_delay_alu instid0(VALU_DEP_3) | instskip(SKIP_1) | instid1(VALU_DEP_3)
	v_fma_f32 v25, v29, v47, -v28
	v_mul_f32_e32 v28, v30, v50
	v_dual_add_f32 v6, v22, v6 :: v_dual_add_f32 v15, v15, v23
	v_mul_f32_e32 v23, v29, v48
	s_delay_alu instid0(VALU_DEP_4) | instskip(NEXT) | instid1(VALU_DEP_4)
	v_dual_add_f32 v5, v5, v25 :: v_dual_add_f32 v22, v20, v56
	v_fma_f32 v25, v29, v49, -v28
	v_add_f32_e32 v24, v18, v24
	ds_load_2addr_b64 v[17:20], v10 offset0:64 offset1:80
	v_fmac_f32_e32 v23, v30, v47
	v_dual_mul_f32 v28, v34, v48 :: v_dual_add_f32 v25, v21, v25
	s_delay_alu instid0(VALU_DEP_2)
	v_dual_add_f32 v6, v6, v23 :: v_dual_mul_f32 v23, v33, v48
	v_add_f32_e32 v16, v16, v26
	v_mul_f32_e32 v26, v29, v50
	v_mul_f32_e32 v29, v33, v50
	v_fma_f32 v21, v33, v47, -v28
	v_fmac_f32_e32 v23, v34, v47
	s_delay_alu instid0(VALU_DEP_3) | instskip(SKIP_1) | instid1(VALU_DEP_4)
	v_fmac_f32_e32 v29, v34, v49
	v_fmac_f32_e32 v26, v30, v49
	v_add_f32_e32 v27, v27, v21
	s_delay_alu instid0(VALU_DEP_2) | instskip(SKIP_2) | instid1(VALU_DEP_1)
	v_dual_add_f32 v29, v16, v29 :: v_dual_add_f32 v26, v22, v26
	s_waitcnt lgkmcnt(0)
	v_mul_f32_e32 v22, v36, v18
	v_fma_f32 v31, v35, v17, -v22
	s_delay_alu instid0(VALU_DEP_1) | instskip(NEXT) | instid1(VALU_DEP_1)
	v_dual_add_f32 v5, v5, v31 :: v_dual_mul_f32 v32, v36, v20
	v_fma_f32 v31, v35, v19, -v32
	s_delay_alu instid0(VALU_DEP_1) | instskip(NEXT) | instid1(VALU_DEP_1)
	v_dual_mul_f32 v28, v34, v50 :: v_dual_add_f32 v25, v25, v31
	v_fma_f32 v21, v33, v49, -v28
	v_add_f32_e32 v28, v24, v23
	v_mul_f32_e32 v16, v35, v20
	v_mul_f32_e32 v31, v52, v20
	v_mul_f32_e32 v20, v51, v20
	v_add_f32_e32 v15, v15, v21
	ds_load_2addr_b64 v[21:24], v10 offset0:96 offset1:112
	v_mul_f32_e32 v30, v35, v18
	v_fmac_f32_e32 v16, v36, v19
	v_fmac_f32_e32 v20, v52, v19
	s_delay_alu instid0(VALU_DEP_3) | instskip(NEXT) | instid1(VALU_DEP_3)
	v_fmac_f32_e32 v30, v36, v17
	v_add_f32_e32 v32, v26, v16
	s_delay_alu instid0(VALU_DEP_3) | instskip(SKIP_1) | instid1(VALU_DEP_4)
	v_add_f32_e32 v29, v29, v20
	v_fma_f32 v16, v51, v19, -v31
	v_add_f32_e32 v6, v6, v30
	s_delay_alu instid0(VALU_DEP_2) | instskip(SKIP_3) | instid1(VALU_DEP_3)
	v_dual_mul_f32 v30, v52, v18 :: v_dual_add_f32 v33, v15, v16
	s_waitcnt lgkmcnt(0)
	v_mul_f32_e32 v35, v54, v24
	v_mul_f32_e32 v20, v37, v24
	v_fma_f32 v30, v51, v17, -v30
	v_mul_f32_e32 v19, v38, v22
	s_delay_alu instid0(VALU_DEP_3) | instskip(NEXT) | instid1(VALU_DEP_2)
	v_fmac_f32_e32 v20, v38, v23
	v_fma_f32 v19, v37, v21, -v19
	s_delay_alu instid0(VALU_DEP_2) | instskip(SKIP_2) | instid1(VALU_DEP_4)
	v_add_f32_e32 v36, v32, v20
	v_fma_f32 v20, v53, v23, -v35
	v_dual_add_f32 v30, v27, v30 :: v_dual_mul_f32 v27, v38, v24
	v_add_f32_e32 v5, v5, v19
	v_dual_mul_f32 v19, v54, v22 :: v_dual_mul_f32 v24, v53, v24
	s_delay_alu instid0(VALU_DEP_3) | instskip(NEXT) | instid1(VALU_DEP_2)
	v_fma_f32 v27, v37, v23, -v27
	v_fma_f32 v19, v53, v21, -v19
	s_delay_alu instid0(VALU_DEP_3) | instskip(SKIP_1) | instid1(VALU_DEP_4)
	v_dual_fmac_f32 v24, v54, v23 :: v_dual_add_f32 v23, v33, v20
	v_mul_f32_e32 v18, v51, v18
	v_add_f32_e32 v34, v25, v27
	v_mul_f32_e32 v26, v37, v22
	v_dual_mul_f32 v22, v53, v22 :: v_dual_add_f32 v35, v30, v19
	v_add_f32_e32 v24, v29, v24
	s_delay_alu instid0(VALU_DEP_2) | instskip(SKIP_1) | instid1(VALU_DEP_1)
	v_fmac_f32_e32 v22, v54, v21
	v_fmac_f32_e32 v18, v52, v17
	v_add_f32_e32 v31, v28, v18
	ds_load_2addr_b64 v[15:18], v10 offset0:128 offset1:144
	v_add_f32_e32 v37, v31, v22
	s_waitcnt lgkmcnt(0)
	v_mul_f32_e32 v19, v40, v16
	v_mul_f32_e32 v31, v40, v18
	;; [unrolled: 1-line block ×3, first 2 shown]
	s_delay_alu instid0(VALU_DEP_3)
	v_fma_f32 v30, v39, v15, -v19
	v_fmac_f32_e32 v26, v38, v21
	ds_load_2addr_b64 v[19:22], v10 offset0:160 offset1:176
	v_mul_f32_e32 v38, v39, v18
	v_fma_f32 v39, v39, v17, -v31
	v_add_f32_e32 v5, v5, v30
	v_add_f32_e32 v6, v6, v26
	ds_load_b128 v[25:28], v11 offset:1056
	ds_load_b128 v[29:32], v11 offset:1072
	v_fmac_f32_e32 v38, v40, v17
	v_fmac_f32_e32 v33, v40, v15
	s_delay_alu instid0(VALU_DEP_2) | instskip(SKIP_3) | instid1(VALU_DEP_2)
	v_add_f32_e32 v36, v36, v38
	s_waitcnt lgkmcnt(1)
	v_dual_mul_f32 v38, v25, v18 :: v_dual_mul_f32 v47, v26, v16
	v_mul_f32_e32 v16, v25, v16
	v_fmac_f32_e32 v38, v26, v17
	s_delay_alu instid0(VALU_DEP_1) | instskip(SKIP_1) | instid1(VALU_DEP_1)
	v_add_f32_e32 v38, v24, v38
	v_mul_f32_e32 v24, v41, v22
	v_fmac_f32_e32 v24, v42, v21
	v_add_f32_e32 v6, v6, v33
	v_add_f32_e32 v33, v34, v39
	v_fma_f32 v34, v25, v15, -v47
	v_mul_f32_e32 v39, v26, v18
	v_mul_f32_e32 v18, v42, v20
	s_delay_alu instid0(VALU_DEP_3) | instskip(NEXT) | instid1(VALU_DEP_2)
	v_add_f32_e32 v34, v35, v34
	v_fma_f32 v35, v41, v19, -v18
	s_delay_alu instid0(VALU_DEP_1) | instskip(SKIP_3) | instid1(VALU_DEP_3)
	v_add_f32_e32 v5, v5, v35
	v_fmac_f32_e32 v16, v26, v15
	v_fma_f32 v15, v25, v17, -v39
	v_mul_f32_e32 v26, v41, v20
	v_add_f32_e32 v25, v37, v16
	s_delay_alu instid0(VALU_DEP_3) | instskip(SKIP_3) | instid1(VALU_DEP_2)
	v_add_f32_e32 v23, v23, v15
	ds_load_2addr_b64 v[15:18], v10 offset0:192 offset1:208
	v_mul_f32_e32 v37, v42, v22
	v_fmac_f32_e32 v26, v42, v19
	v_fma_f32 v35, v41, v21, -v37
	s_delay_alu instid0(VALU_DEP_2) | instskip(SKIP_1) | instid1(VALU_DEP_3)
	v_add_f32_e32 v6, v6, v26
	v_mul_f32_e32 v26, v28, v20
	v_dual_mul_f32 v20, v27, v20 :: v_dual_add_f32 v33, v33, v35
	v_mul_f32_e32 v35, v28, v22
	s_delay_alu instid0(VALU_DEP_3) | instskip(NEXT) | instid1(VALU_DEP_3)
	v_fma_f32 v26, v27, v19, -v26
	v_fmac_f32_e32 v20, v28, v19
	v_dual_add_f32 v19, v36, v24 :: v_dual_mul_f32 v22, v27, v22
	s_delay_alu instid0(VALU_DEP_4) | instskip(NEXT) | instid1(VALU_DEP_3)
	v_fma_f32 v24, v27, v21, -v35
	v_dual_add_f32 v27, v34, v26 :: v_dual_add_f32 v20, v25, v20
	s_waitcnt lgkmcnt(0)
	v_mul_f32_e32 v34, v44, v16
	s_delay_alu instid0(VALU_DEP_3)
	v_dual_fmac_f32 v22, v28, v21 :: v_dual_add_f32 v21, v23, v24
	ds_load_2addr_b64 v[23:26], v10 offset0:224 offset1:240
	v_mul_f32_e32 v28, v43, v16
	v_fma_f32 v34, v43, v15, -v34
	v_mul_f32_e32 v35, v44, v18
	v_mul_f32_e32 v36, v43, v18
	s_waitcnt lgkmcnt(0)
	s_delay_alu instid0(VALU_DEP_3) | instskip(SKIP_3) | instid1(VALU_DEP_4)
	v_dual_fmac_f32 v28, v44, v15 :: v_dual_add_f32 v5, v5, v34
	v_mul_f32_e32 v34, v30, v16
	v_fma_f32 v35, v43, v17, -v35
	v_fmac_f32_e32 v36, v44, v17
	v_add_f32_e32 v6, v6, v28
	v_mul_f32_e32 v16, v29, v16
	v_fma_f32 v28, v29, v15, -v34
	v_dual_mul_f32 v34, v30, v18 :: v_dual_add_f32 v33, v33, v35
	s_delay_alu instid0(VALU_DEP_3) | instskip(NEXT) | instid1(VALU_DEP_3)
	v_dual_add_f32 v35, v19, v36 :: v_dual_fmac_f32 v16, v30, v15
	v_dual_add_f32 v15, v27, v28 :: v_dual_mul_f32 v18, v29, v18
	s_delay_alu instid0(VALU_DEP_3) | instskip(SKIP_3) | instid1(VALU_DEP_4)
	v_fma_f32 v19, v29, v17, -v34
	v_mul_f32_e32 v27, v46, v24
	v_mul_f32_e32 v28, v45, v24
	v_add_f32_e32 v16, v20, v16
	v_dual_fmac_f32 v18, v30, v17 :: v_dual_add_f32 v29, v21, v19
	s_delay_alu instid0(VALU_DEP_4)
	v_fma_f32 v17, v45, v23, -v27
	v_mul_f32_e32 v19, v46, v26
	v_fmac_f32_e32 v28, v46, v23
	v_mul_f32_e32 v20, v45, v26
	s_barrier
	v_add_f32_e32 v21, v5, v17
	v_mul_f32_e32 v17, v32, v26
	v_fma_f32 v5, v45, v25, -v19
	v_fmac_f32_e32 v20, v46, v25
	buffer_gl0_inv
	v_dual_add_f32 v19, v33, v5 :: v_dual_add_f32 v22, v38, v22
	s_delay_alu instid0(VALU_DEP_1) | instskip(SKIP_4) | instid1(VALU_DEP_3)
	v_dual_add_f32 v20, v35, v20 :: v_dual_add_f32 v27, v22, v18
	v_add_f32_e32 v22, v6, v28
	v_mul_f32_e32 v6, v32, v24
	v_mul_f32_e32 v18, v31, v24
	;; [unrolled: 1-line block ×3, first 2 shown]
	v_fma_f32 v5, v31, v23, -v6
	s_delay_alu instid0(VALU_DEP_3) | instskip(SKIP_1) | instid1(VALU_DEP_4)
	v_fmac_f32_e32 v18, v32, v23
	v_fma_f32 v6, v31, v25, -v17
	v_fmac_f32_e32 v24, v32, v25
	s_delay_alu instid0(VALU_DEP_3) | instskip(NEXT) | instid1(VALU_DEP_2)
	v_dual_add_f32 v17, v15, v5 :: v_dual_add_f32 v18, v16, v18
	v_dual_add_f32 v15, v29, v6 :: v_dual_add_f32 v16, v27, v24
	s_cbranch_scc1 .LBB217_9
.LBB217_3:                              ; =>This Inner Loop Header: Depth=1
	v_dual_mov_b32 v6, 0 :: v_dual_add_nc_u32 v5, s14, v12
	s_delay_alu instid0(VALU_DEP_1) | instskip(SKIP_1) | instid1(VALU_DEP_2)
	v_cmp_gt_i32_e64 s2, s17, v5
	v_mov_b32_e32 v5, 0
	s_and_b32 s6, vcc_lo, s2
	s_delay_alu instid0(SALU_CYCLE_1)
	s_and_saveexec_b32 s2, s6
	s_cbranch_execz .LBB217_5
; %bb.4:                                ;   in Loop: Header=BB217_3 Depth=1
	global_load_b64 v[5:6], v[0:1], off offset:-4
.LBB217_5:                              ;   in Loop: Header=BB217_3 Depth=1
	s_or_b32 exec_lo, exec_lo, s2
	v_add_nc_u32_e32 v23, s14, v9
	s_waitcnt vmcnt(0)
	ds_store_b64 v13, v[5:6]
	v_cmp_le_i32_e64 s2, s17, v23
	s_delay_alu instid0(VALU_DEP_1) | instskip(NEXT) | instid1(SALU_CYCLE_1)
	s_or_b32 s2, s2, s3
	s_and_saveexec_b32 s6, s2
	s_delay_alu instid0(SALU_CYCLE_1)
	s_xor_b32 s2, exec_lo, s6
	s_cbranch_execz .LBB217_7
; %bb.6:                                ;   in Loop: Header=BB217_3 Depth=1
	v_mov_b32_e32 v5, v4
	ds_store_b64 v14, v[4:5]
.LBB217_7:                              ;   in Loop: Header=BB217_3 Depth=1
	s_and_not1_saveexec_b32 s2, s2
	s_cbranch_execz .LBB217_2
; %bb.8:                                ;   in Loop: Header=BB217_3 Depth=1
	global_load_b64 v[5:6], v[2:3], off
	s_waitcnt vmcnt(0)
	ds_store_b64 v14, v[5:6]
	s_branch .LBB217_2
.LBB217_9:
	s_clause 0x2
	s_load_b32 s2, s[0:1], 0x50
	s_load_b64 s[6:7], s[0:1], 0x58
	s_load_b64 s[8:9], s[0:1], 0x48
	v_add_nc_u32_e32 v4, s13, v8
	v_add_nc_u32_e32 v0, s12, v7
	s_delay_alu instid0(VALU_DEP_1)
	v_cmp_le_i32_e64 s0, v4, v0
	v_cmp_gt_i32_e32 vcc_lo, s16, v0
	s_waitcnt lgkmcnt(0)
	v_mad_i64_i32 v[1:2], null, v4, s2, 0
	s_mul_i32 s1, s15, s7
	s_mul_hi_u32 s3, s15, s6
	s_mul_i32 s6, s15, s6
	s_add_i32 s7, s3, s1
	s_delay_alu instid0(SALU_CYCLE_1) | instskip(NEXT) | instid1(VALU_DEP_1)
	s_lshl_b64 s[6:7], s[6:7], 3
	v_lshlrev_b64 v[1:2], 3, v[1:2]
	s_add_u32 s3, s8, s6
	s_addc_u32 s6, s9, s7
	s_and_b32 s0, s0, vcc_lo
	s_delay_alu instid0(VALU_DEP_1) | instskip(NEXT) | instid1(VALU_DEP_1)
	v_add_co_u32 v5, s1, s3, v1
	v_add_co_ci_u32_e64 v6, s1, s6, v2, s1
	s_and_saveexec_b32 s1, s0
	s_cbranch_execz .LBB217_11
; %bb.10:
	v_ashrrev_i32_e32 v1, 31, v0
	v_mul_f32_e32 v2, s4, v22
	v_mul_f32_e32 v3, s5, v22
	s_delay_alu instid0(VALU_DEP_3) | instskip(NEXT) | instid1(VALU_DEP_3)
	v_lshlrev_b64 v[7:8], 3, v[0:1]
	v_fmac_f32_e32 v2, s5, v21
	s_delay_alu instid0(VALU_DEP_3) | instskip(NEXT) | instid1(VALU_DEP_3)
	v_fma_f32 v1, v21, s4, -v3
	v_add_co_u32 v7, s0, v5, v7
	s_delay_alu instid0(VALU_DEP_1)
	v_add_co_ci_u32_e64 v8, s0, v6, v8, s0
	global_store_b64 v[7:8], v[1:2], off
.LBB217_11:
	s_or_b32 exec_lo, exec_lo, s1
	v_add_nc_u32_e32 v2, 16, v0
	s_delay_alu instid0(VALU_DEP_1) | instskip(SKIP_1) | instid1(VALU_DEP_1)
	v_cmp_le_i32_e64 s1, v4, v2
	v_cmp_gt_i32_e64 s0, s16, v2
	s_and_b32 s1, s1, s0
	s_delay_alu instid0(SALU_CYCLE_1)
	s_and_saveexec_b32 s7, s1
	s_cbranch_execz .LBB217_13
; %bb.12:
	v_ashrrev_i32_e32 v3, 31, v2
	v_mul_f32_e32 v8, s4, v20
	v_mul_f32_e32 v1, s5, v20
	s_delay_alu instid0(VALU_DEP_3) | instskip(NEXT) | instid1(VALU_DEP_3)
	v_lshlrev_b64 v[9:10], 3, v[2:3]
	v_fmac_f32_e32 v8, s5, v19
	s_delay_alu instid0(VALU_DEP_3) | instskip(NEXT) | instid1(VALU_DEP_3)
	v_fma_f32 v7, v19, s4, -v1
	v_add_co_u32 v5, s1, v5, v9
	s_delay_alu instid0(VALU_DEP_1)
	v_add_co_ci_u32_e64 v6, s1, v6, v10, s1
	global_store_b64 v[5:6], v[7:8], off
.LBB217_13:
	s_or_b32 exec_lo, exec_lo, s7
	v_add_nc_u32_e32 v3, 16, v4
	s_delay_alu instid0(VALU_DEP_1) | instskip(SKIP_1) | instid1(VALU_DEP_2)
	v_mad_i64_i32 v[4:5], null, v3, s2, 0
	v_cmp_le_i32_e64 s1, v3, v0
	v_lshlrev_b64 v[4:5], 3, v[4:5]
	s_delay_alu instid0(VALU_DEP_1) | instskip(NEXT) | instid1(VALU_DEP_1)
	v_add_co_u32 v4, s2, s3, v4
	v_add_co_ci_u32_e64 v5, s2, s6, v5, s2
	s_delay_alu instid0(VALU_DEP_4) | instskip(NEXT) | instid1(SALU_CYCLE_1)
	s_and_b32 s2, s1, vcc_lo
	s_and_saveexec_b32 s1, s2
	s_cbranch_execz .LBB217_15
; %bb.14:
	v_ashrrev_i32_e32 v1, 31, v0
	v_mul_f32_e32 v7, s4, v18
	v_mul_f32_e32 v6, s5, v18
	s_delay_alu instid0(VALU_DEP_3) | instskip(NEXT) | instid1(VALU_DEP_3)
	v_lshlrev_b64 v[0:1], 3, v[0:1]
	v_fmac_f32_e32 v7, s5, v17
	s_delay_alu instid0(VALU_DEP_3) | instskip(NEXT) | instid1(VALU_DEP_3)
	v_fma_f32 v6, v17, s4, -v6
	v_add_co_u32 v0, vcc_lo, v4, v0
	s_delay_alu instid0(VALU_DEP_4)
	v_add_co_ci_u32_e32 v1, vcc_lo, v5, v1, vcc_lo
	global_store_b64 v[0:1], v[6:7], off
.LBB217_15:
	s_or_b32 exec_lo, exec_lo, s1
	v_cmp_le_i32_e32 vcc_lo, v3, v2
	s_and_b32 s0, vcc_lo, s0
	s_delay_alu instid0(SALU_CYCLE_1)
	s_and_saveexec_b32 s1, s0
	s_cbranch_execz .LBB217_17
; %bb.16:
	v_ashrrev_i32_e32 v3, 31, v2
	v_mul_f32_e32 v1, s4, v16
	v_mul_f32_e32 v0, s5, v16
	s_delay_alu instid0(VALU_DEP_3) | instskip(NEXT) | instid1(VALU_DEP_3)
	v_lshlrev_b64 v[2:3], 3, v[2:3]
	v_fmac_f32_e32 v1, s5, v15
	s_delay_alu instid0(VALU_DEP_3) | instskip(NEXT) | instid1(VALU_DEP_3)
	v_fma_f32 v0, v15, s4, -v0
	v_add_co_u32 v2, vcc_lo, v4, v2
	s_delay_alu instid0(VALU_DEP_4)
	v_add_co_ci_u32_e32 v3, vcc_lo, v5, v3, vcc_lo
	global_store_b64 v[2:3], v[0:1], off
.LBB217_17:
	s_nop 0
	s_sendmsg sendmsg(MSG_DEALLOC_VGPRS)
	s_endpgm
	.section	.rodata,"a",@progbits
	.p2align	6, 0x0
	.amdhsa_kernel _ZL34rocblas_syrkx_herkx_general_kernelIi19rocblas_complex_numIfELi16ELi32ELi8ELb1ELb0ELc67ELc76EKS1_S1_EviT_T0_PT8_S3_lS6_S3_lS4_PT9_S3_li
		.amdhsa_group_segment_fixed_size 4096
		.amdhsa_private_segment_fixed_size 0
		.amdhsa_kernarg_size 100
		.amdhsa_user_sgpr_count 13
		.amdhsa_user_sgpr_dispatch_ptr 0
		.amdhsa_user_sgpr_queue_ptr 0
		.amdhsa_user_sgpr_kernarg_segment_ptr 1
		.amdhsa_user_sgpr_dispatch_id 0
		.amdhsa_user_sgpr_private_segment_size 0
		.amdhsa_wavefront_size32 1
		.amdhsa_uses_dynamic_stack 0
		.amdhsa_enable_private_segment 0
		.amdhsa_system_sgpr_workgroup_id_x 1
		.amdhsa_system_sgpr_workgroup_id_y 1
		.amdhsa_system_sgpr_workgroup_id_z 1
		.amdhsa_system_sgpr_workgroup_info 0
		.amdhsa_system_vgpr_workitem_id 1
		.amdhsa_next_free_vgpr 59
		.amdhsa_next_free_sgpr 21
		.amdhsa_reserve_vcc 1
		.amdhsa_float_round_mode_32 0
		.amdhsa_float_round_mode_16_64 0
		.amdhsa_float_denorm_mode_32 3
		.amdhsa_float_denorm_mode_16_64 3
		.amdhsa_dx10_clamp 1
		.amdhsa_ieee_mode 1
		.amdhsa_fp16_overflow 0
		.amdhsa_workgroup_processor_mode 1
		.amdhsa_memory_ordered 1
		.amdhsa_forward_progress 0
		.amdhsa_shared_vgpr_count 0
		.amdhsa_exception_fp_ieee_invalid_op 0
		.amdhsa_exception_fp_denorm_src 0
		.amdhsa_exception_fp_ieee_div_zero 0
		.amdhsa_exception_fp_ieee_overflow 0
		.amdhsa_exception_fp_ieee_underflow 0
		.amdhsa_exception_fp_ieee_inexact 0
		.amdhsa_exception_int_div_zero 0
	.end_amdhsa_kernel
	.section	.text._ZL34rocblas_syrkx_herkx_general_kernelIi19rocblas_complex_numIfELi16ELi32ELi8ELb1ELb0ELc67ELc76EKS1_S1_EviT_T0_PT8_S3_lS6_S3_lS4_PT9_S3_li,"axG",@progbits,_ZL34rocblas_syrkx_herkx_general_kernelIi19rocblas_complex_numIfELi16ELi32ELi8ELb1ELb0ELc67ELc76EKS1_S1_EviT_T0_PT8_S3_lS6_S3_lS4_PT9_S3_li,comdat
.Lfunc_end217:
	.size	_ZL34rocblas_syrkx_herkx_general_kernelIi19rocblas_complex_numIfELi16ELi32ELi8ELb1ELb0ELc67ELc76EKS1_S1_EviT_T0_PT8_S3_lS6_S3_lS4_PT9_S3_li, .Lfunc_end217-_ZL34rocblas_syrkx_herkx_general_kernelIi19rocblas_complex_numIfELi16ELi32ELi8ELb1ELb0ELc67ELc76EKS1_S1_EviT_T0_PT8_S3_lS6_S3_lS4_PT9_S3_li
                                        ; -- End function
	.section	.AMDGPU.csdata,"",@progbits
; Kernel info:
; codeLenInByte = 2468
; NumSgprs: 23
; NumVgprs: 59
; ScratchSize: 0
; MemoryBound: 1
; FloatMode: 240
; IeeeMode: 1
; LDSByteSize: 4096 bytes/workgroup (compile time only)
; SGPRBlocks: 2
; VGPRBlocks: 7
; NumSGPRsForWavesPerEU: 23
; NumVGPRsForWavesPerEU: 59
; Occupancy: 16
; WaveLimiterHint : 0
; COMPUTE_PGM_RSRC2:SCRATCH_EN: 0
; COMPUTE_PGM_RSRC2:USER_SGPR: 13
; COMPUTE_PGM_RSRC2:TRAP_HANDLER: 0
; COMPUTE_PGM_RSRC2:TGID_X_EN: 1
; COMPUTE_PGM_RSRC2:TGID_Y_EN: 1
; COMPUTE_PGM_RSRC2:TGID_Z_EN: 1
; COMPUTE_PGM_RSRC2:TIDIG_COMP_CNT: 1
	.section	.text._ZL34rocblas_syrkx_herkx_general_kernelIi19rocblas_complex_numIfELi16ELi32ELi8ELb1ELb0ELc78ELc76EKS1_S1_EviT_T0_PT8_S3_lS6_S3_lS4_PT9_S3_li,"axG",@progbits,_ZL34rocblas_syrkx_herkx_general_kernelIi19rocblas_complex_numIfELi16ELi32ELi8ELb1ELb0ELc78ELc76EKS1_S1_EviT_T0_PT8_S3_lS6_S3_lS4_PT9_S3_li,comdat
	.globl	_ZL34rocblas_syrkx_herkx_general_kernelIi19rocblas_complex_numIfELi16ELi32ELi8ELb1ELb0ELc78ELc76EKS1_S1_EviT_T0_PT8_S3_lS6_S3_lS4_PT9_S3_li ; -- Begin function _ZL34rocblas_syrkx_herkx_general_kernelIi19rocblas_complex_numIfELi16ELi32ELi8ELb1ELb0ELc78ELc76EKS1_S1_EviT_T0_PT8_S3_lS6_S3_lS4_PT9_S3_li
	.p2align	8
	.type	_ZL34rocblas_syrkx_herkx_general_kernelIi19rocblas_complex_numIfELi16ELi32ELi8ELb1ELb0ELc78ELc76EKS1_S1_EviT_T0_PT8_S3_lS6_S3_lS4_PT9_S3_li,@function
_ZL34rocblas_syrkx_herkx_general_kernelIi19rocblas_complex_numIfELi16ELi32ELi8ELb1ELb0ELc78ELc76EKS1_S1_EviT_T0_PT8_S3_lS6_S3_lS4_PT9_S3_li: ; @_ZL34rocblas_syrkx_herkx_general_kernelIi19rocblas_complex_numIfELi16ELi32ELi8ELb1ELb0ELc78ELc76EKS1_S1_EviT_T0_PT8_S3_lS6_S3_lS4_PT9_S3_li
; %bb.0:
	s_clause 0x1
	s_load_b64 s[16:17], s[0:1], 0x0
	s_load_b128 s[4:7], s[0:1], 0x8
	v_dual_mov_b32 v22, 0 :: v_dual_and_b32 v7, 0x3ff, v0
	v_bfe_u32 v8, v0, 10, 10
	v_dual_mov_b32 v21, 0 :: v_dual_mov_b32 v20, 0
	v_dual_mov_b32 v19, 0 :: v_dual_mov_b32 v18, 0
	v_dual_mov_b32 v17, 0 :: v_dual_mov_b32 v16, 0
	v_mov_b32_e32 v15, 0
	s_lshl_b32 s20, s13, 5
	s_lshl_b32 s14, s14, 5
	s_mov_b32 s21, 0
	s_waitcnt lgkmcnt(0)
	s_cmp_lt_i32 s17, 1
	s_cbranch_scc1 .LBB218_9
; %bb.1:
	s_clause 0x1
	s_load_b32 s12, s[0:1], 0x30
	s_load_b32 s18, s[0:1], 0x18
	v_lshl_add_u32 v0, v8, 4, v7
	s_clause 0x1
	s_load_b128 s[8:11], s[0:1], 0x20
	s_load_b64 s[22:23], s[0:1], 0x38
	v_and_b32_e32 v9, 7, v7
	v_dual_mov_b32 v18, 0 :: v_dual_lshlrev_b32 v13, 3, v7
	v_and_b32_e32 v4, 31, v0
	v_lshrrev_b32_e32 v1, 3, v0
	s_delay_alu instid0(VALU_DEP_4)
	v_lshlrev_b32_e32 v2, 3, v9
	v_lshrrev_b32_e32 v10, 5, v0
	v_mov_b32_e32 v19, 0
	v_or_b32_e32 v3, s20, v4
	v_add_nc_u32_e32 v0, s14, v1
	v_lshl_or_b32 v1, v1, 6, v2
	v_lshlrev_b32_e32 v5, 3, v4
	v_add_nc_u32_e32 v4, s20, v4
	v_cmp_gt_i32_e64 s2, s16, v3
	v_cmp_gt_i32_e32 vcc_lo, s16, v0
	v_dual_mov_b32 v21, 0 :: v_dual_add_nc_u32 v12, 0x800, v1
	s_waitcnt lgkmcnt(0)
	v_mad_i64_i32 v[2:3], null, v10, s18, 0
	v_lshl_or_b32 v11, v10, 8, v5
	s_mul_i32 s3, s9, s15
	s_mul_hi_u32 s9, s8, s15
	v_mad_i64_i32 v[5:6], null, s12, v9, 0
	s_add_i32 s9, s9, s3
	s_delay_alu instid0(VALU_DEP_3)
	v_lshlrev_b64 v[2:3], 3, v[2:3]
	s_mul_i32 s8, s8, s15
	v_ashrrev_i32_e32 v1, 31, v0
	s_lshl_b64 s[8:9], s[8:9], 3
	s_mul_i32 s23, s23, s15
	s_mul_hi_u32 s24, s22, s15
	v_add_co_u32 v15, s3, v2, s8
	s_delay_alu instid0(VALU_DEP_1)
	v_add_co_ci_u32_e64 v16, s3, s9, v3, s3
	v_lshlrev_b64 v[2:3], 3, v[5:6]
	s_add_i32 s9, s24, s23
	s_mul_i32 s8, s22, s15
	v_ashrrev_i32_e32 v5, 31, v4
	s_lshl_b64 s[8:9], s[8:9], 3
	v_lshlrev_b64 v[0:1], 3, v[0:1]
	v_add_co_u32 v6, s3, s8, v2
	s_delay_alu instid0(VALU_DEP_1) | instskip(SKIP_1) | instid1(VALU_DEP_3)
	v_add_co_ci_u32_e64 v17, s3, s9, v3, s3
	v_lshlrev_b64 v[2:3], 3, v[4:5]
	v_add_co_u32 v0, s3, v6, v0
	s_delay_alu instid0(VALU_DEP_1) | instskip(SKIP_1) | instid1(VALU_DEP_4)
	v_add_co_ci_u32_e64 v1, s3, v17, v1, s3
	v_lshl_add_u32 v14, v8, 6, 0x800
	v_add_co_u32 v2, s3, v15, v2
	s_delay_alu instid0(VALU_DEP_1) | instskip(SKIP_1) | instid1(VALU_DEP_1)
	v_add_co_ci_u32_e64 v3, s3, v16, v3, s3
	v_add_co_u32 v4, s3, v0, s10
	v_add_co_ci_u32_e64 v5, s3, s11, v1, s3
	s_delay_alu instid0(VALU_DEP_4) | instskip(NEXT) | instid1(VALU_DEP_1)
	v_add_co_u32 v0, s3, s6, v2
	v_add_co_ci_u32_e64 v1, s3, s7, v3, s3
	s_delay_alu instid0(VALU_DEP_4) | instskip(NEXT) | instid1(VALU_DEP_1)
	v_add_co_u32 v2, s3, v4, 4
	v_add_co_ci_u32_e64 v3, s3, 0, v5, s3
	v_mov_b32_e32 v4, 0
	v_dual_mov_b32 v16, 0 :: v_dual_mov_b32 v15, 0
	v_dual_mov_b32 v17, 0 :: v_dual_mov_b32 v20, 0
	v_mov_b32_e32 v22, 0
	s_ashr_i32 s19, s18, 31
	s_ashr_i32 s13, s12, 31
	s_lshl_b64 s[6:7], s[18:19], 6
	s_lshl_b64 s[8:9], s[12:13], 6
	s_xor_b32 s3, s2, -1
	s_branch .LBB218_3
.LBB218_2:                              ;   in Loop: Header=BB218_3 Depth=1
	s_or_b32 exec_lo, exec_lo, s2
	s_waitcnt vmcnt(0)
	ds_store_b64 v12, v[5:6]
	s_waitcnt lgkmcnt(0)
	s_barrier
	buffer_gl0_inv
	ds_load_2addr_b64 v[23:26], v13 offset1:16
	ds_load_b128 v[27:30], v14
	ds_load_b128 v[31:34], v14 offset:1024
	ds_load_b128 v[35:38], v14 offset:16
	;; [unrolled: 1-line block ×4, first 2 shown]
	ds_load_2addr_b64 v[47:50], v13 offset0:32 offset1:48
	ds_load_b128 v[51:54], v14 offset:1040
	v_add_co_u32 v0, s2, v0, s6
	s_delay_alu instid0(VALU_DEP_1) | instskip(SKIP_1) | instid1(VALU_DEP_1)
	v_add_co_ci_u32_e64 v1, s2, s7, v1, s2
	v_add_co_u32 v2, s2, v2, s8
	v_add_co_ci_u32_e64 v3, s2, s9, v3, s2
	s_add_i32 s21, s21, 8
	s_delay_alu instid0(SALU_CYCLE_1)
	s_cmp_ge_i32 s21, s17
	s_waitcnt lgkmcnt(6)
	v_dual_mul_f32 v5, v28, v24 :: v_dual_mul_f32 v56, v27, v26
	v_dual_mul_f32 v6, v27, v24 :: v_dual_mul_f32 v55, v28, v26
	s_waitcnt lgkmcnt(5)
	v_mul_f32_e32 v57, v32, v24
	s_delay_alu instid0(VALU_DEP_3)
	v_fma_f32 v5, v27, v23, -v5
	v_fmac_f32_e32 v56, v28, v25
	v_fmac_f32_e32 v6, v28, v23
	v_fma_f32 v27, v27, v25, -v55
	v_mul_f32_e32 v58, v32, v26
	v_mul_f32_e32 v26, v31, v26
	v_fma_f32 v28, v31, v23, -v57
	v_dual_mul_f32 v24, v31, v24 :: v_dual_add_f32 v5, v21, v5
	s_delay_alu instid0(VALU_DEP_3) | instskip(NEXT) | instid1(VALU_DEP_3)
	v_dual_add_f32 v21, v19, v27 :: v_dual_fmac_f32 v26, v32, v25
	v_add_f32_e32 v27, v17, v28
	s_waitcnt lgkmcnt(1)
	v_mul_f32_e32 v28, v30, v48
	v_fmac_f32_e32 v24, v32, v23
	v_fma_f32 v23, v31, v25, -v58
	s_delay_alu instid0(VALU_DEP_3) | instskip(SKIP_1) | instid1(VALU_DEP_3)
	v_fma_f32 v25, v29, v47, -v28
	v_mul_f32_e32 v28, v30, v50
	v_dual_add_f32 v6, v22, v6 :: v_dual_add_f32 v15, v15, v23
	v_mul_f32_e32 v23, v29, v48
	s_delay_alu instid0(VALU_DEP_4) | instskip(NEXT) | instid1(VALU_DEP_4)
	v_dual_add_f32 v5, v5, v25 :: v_dual_add_f32 v22, v20, v56
	v_fma_f32 v25, v29, v49, -v28
	v_add_f32_e32 v24, v18, v24
	ds_load_2addr_b64 v[17:20], v13 offset0:64 offset1:80
	v_fmac_f32_e32 v23, v30, v47
	v_dual_mul_f32 v28, v34, v48 :: v_dual_add_f32 v25, v21, v25
	s_delay_alu instid0(VALU_DEP_2)
	v_dual_add_f32 v6, v6, v23 :: v_dual_mul_f32 v23, v33, v48
	v_add_f32_e32 v16, v16, v26
	v_mul_f32_e32 v26, v29, v50
	v_mul_f32_e32 v29, v33, v50
	v_fma_f32 v21, v33, v47, -v28
	v_fmac_f32_e32 v23, v34, v47
	s_delay_alu instid0(VALU_DEP_3) | instskip(SKIP_1) | instid1(VALU_DEP_4)
	v_fmac_f32_e32 v29, v34, v49
	v_fmac_f32_e32 v26, v30, v49
	v_add_f32_e32 v27, v27, v21
	s_delay_alu instid0(VALU_DEP_2) | instskip(SKIP_2) | instid1(VALU_DEP_1)
	v_dual_add_f32 v29, v16, v29 :: v_dual_add_f32 v26, v22, v26
	s_waitcnt lgkmcnt(0)
	v_mul_f32_e32 v22, v36, v18
	v_fma_f32 v31, v35, v17, -v22
	s_delay_alu instid0(VALU_DEP_1) | instskip(NEXT) | instid1(VALU_DEP_1)
	v_dual_add_f32 v5, v5, v31 :: v_dual_mul_f32 v32, v36, v20
	v_fma_f32 v31, v35, v19, -v32
	s_delay_alu instid0(VALU_DEP_1) | instskip(NEXT) | instid1(VALU_DEP_1)
	v_dual_mul_f32 v28, v34, v50 :: v_dual_add_f32 v25, v25, v31
	v_fma_f32 v21, v33, v49, -v28
	v_add_f32_e32 v28, v24, v23
	v_mul_f32_e32 v16, v35, v20
	v_mul_f32_e32 v31, v52, v20
	v_mul_f32_e32 v20, v51, v20
	v_add_f32_e32 v15, v15, v21
	ds_load_2addr_b64 v[21:24], v13 offset0:96 offset1:112
	v_mul_f32_e32 v30, v35, v18
	v_fmac_f32_e32 v16, v36, v19
	v_fmac_f32_e32 v20, v52, v19
	s_delay_alu instid0(VALU_DEP_3) | instskip(NEXT) | instid1(VALU_DEP_3)
	v_fmac_f32_e32 v30, v36, v17
	v_add_f32_e32 v32, v26, v16
	s_delay_alu instid0(VALU_DEP_3) | instskip(SKIP_1) | instid1(VALU_DEP_4)
	v_add_f32_e32 v29, v29, v20
	v_fma_f32 v16, v51, v19, -v31
	v_add_f32_e32 v6, v6, v30
	s_delay_alu instid0(VALU_DEP_2) | instskip(SKIP_3) | instid1(VALU_DEP_3)
	v_dual_mul_f32 v30, v52, v18 :: v_dual_add_f32 v33, v15, v16
	s_waitcnt lgkmcnt(0)
	v_mul_f32_e32 v35, v54, v24
	v_mul_f32_e32 v20, v37, v24
	v_fma_f32 v30, v51, v17, -v30
	v_mul_f32_e32 v19, v38, v22
	s_delay_alu instid0(VALU_DEP_3) | instskip(NEXT) | instid1(VALU_DEP_2)
	v_fmac_f32_e32 v20, v38, v23
	v_fma_f32 v19, v37, v21, -v19
	s_delay_alu instid0(VALU_DEP_2) | instskip(SKIP_2) | instid1(VALU_DEP_4)
	v_add_f32_e32 v36, v32, v20
	v_fma_f32 v20, v53, v23, -v35
	v_dual_add_f32 v30, v27, v30 :: v_dual_mul_f32 v27, v38, v24
	v_add_f32_e32 v5, v5, v19
	v_dual_mul_f32 v19, v54, v22 :: v_dual_mul_f32 v24, v53, v24
	s_delay_alu instid0(VALU_DEP_3) | instskip(NEXT) | instid1(VALU_DEP_2)
	v_fma_f32 v27, v37, v23, -v27
	v_fma_f32 v19, v53, v21, -v19
	s_delay_alu instid0(VALU_DEP_3) | instskip(SKIP_1) | instid1(VALU_DEP_4)
	v_dual_fmac_f32 v24, v54, v23 :: v_dual_add_f32 v23, v33, v20
	v_mul_f32_e32 v18, v51, v18
	v_add_f32_e32 v34, v25, v27
	v_mul_f32_e32 v26, v37, v22
	v_dual_mul_f32 v22, v53, v22 :: v_dual_add_f32 v35, v30, v19
	v_add_f32_e32 v24, v29, v24
	s_delay_alu instid0(VALU_DEP_2) | instskip(SKIP_1) | instid1(VALU_DEP_1)
	v_fmac_f32_e32 v22, v54, v21
	v_fmac_f32_e32 v18, v52, v17
	v_add_f32_e32 v31, v28, v18
	ds_load_2addr_b64 v[15:18], v13 offset0:128 offset1:144
	v_add_f32_e32 v37, v31, v22
	s_waitcnt lgkmcnt(0)
	v_mul_f32_e32 v19, v40, v16
	v_mul_f32_e32 v31, v40, v18
	;; [unrolled: 1-line block ×3, first 2 shown]
	s_delay_alu instid0(VALU_DEP_3)
	v_fma_f32 v30, v39, v15, -v19
	v_fmac_f32_e32 v26, v38, v21
	ds_load_2addr_b64 v[19:22], v13 offset0:160 offset1:176
	v_mul_f32_e32 v38, v39, v18
	v_fma_f32 v39, v39, v17, -v31
	v_add_f32_e32 v5, v5, v30
	v_add_f32_e32 v6, v6, v26
	ds_load_b128 v[25:28], v14 offset:1056
	ds_load_b128 v[29:32], v14 offset:1072
	v_fmac_f32_e32 v38, v40, v17
	v_fmac_f32_e32 v33, v40, v15
	s_delay_alu instid0(VALU_DEP_2) | instskip(SKIP_3) | instid1(VALU_DEP_2)
	v_add_f32_e32 v36, v36, v38
	s_waitcnt lgkmcnt(1)
	v_dual_mul_f32 v38, v25, v18 :: v_dual_mul_f32 v47, v26, v16
	v_mul_f32_e32 v16, v25, v16
	v_fmac_f32_e32 v38, v26, v17
	s_delay_alu instid0(VALU_DEP_1) | instskip(SKIP_1) | instid1(VALU_DEP_1)
	v_add_f32_e32 v38, v24, v38
	v_mul_f32_e32 v24, v41, v22
	v_fmac_f32_e32 v24, v42, v21
	v_add_f32_e32 v6, v6, v33
	v_add_f32_e32 v33, v34, v39
	v_fma_f32 v34, v25, v15, -v47
	v_mul_f32_e32 v39, v26, v18
	v_mul_f32_e32 v18, v42, v20
	s_delay_alu instid0(VALU_DEP_3) | instskip(NEXT) | instid1(VALU_DEP_2)
	v_add_f32_e32 v34, v35, v34
	v_fma_f32 v35, v41, v19, -v18
	s_delay_alu instid0(VALU_DEP_1) | instskip(SKIP_3) | instid1(VALU_DEP_3)
	v_add_f32_e32 v5, v5, v35
	v_fmac_f32_e32 v16, v26, v15
	v_fma_f32 v15, v25, v17, -v39
	v_mul_f32_e32 v26, v41, v20
	v_add_f32_e32 v25, v37, v16
	s_delay_alu instid0(VALU_DEP_3) | instskip(SKIP_3) | instid1(VALU_DEP_2)
	v_add_f32_e32 v23, v23, v15
	ds_load_2addr_b64 v[15:18], v13 offset0:192 offset1:208
	v_mul_f32_e32 v37, v42, v22
	v_fmac_f32_e32 v26, v42, v19
	v_fma_f32 v35, v41, v21, -v37
	s_delay_alu instid0(VALU_DEP_2) | instskip(SKIP_1) | instid1(VALU_DEP_3)
	v_add_f32_e32 v6, v6, v26
	v_mul_f32_e32 v26, v28, v20
	v_dual_mul_f32 v20, v27, v20 :: v_dual_add_f32 v33, v33, v35
	v_mul_f32_e32 v35, v28, v22
	s_delay_alu instid0(VALU_DEP_3) | instskip(NEXT) | instid1(VALU_DEP_3)
	v_fma_f32 v26, v27, v19, -v26
	v_fmac_f32_e32 v20, v28, v19
	v_dual_add_f32 v19, v36, v24 :: v_dual_mul_f32 v22, v27, v22
	s_delay_alu instid0(VALU_DEP_4) | instskip(NEXT) | instid1(VALU_DEP_3)
	v_fma_f32 v24, v27, v21, -v35
	v_dual_add_f32 v27, v34, v26 :: v_dual_add_f32 v20, v25, v20
	s_waitcnt lgkmcnt(0)
	v_mul_f32_e32 v34, v44, v16
	s_delay_alu instid0(VALU_DEP_3)
	v_dual_fmac_f32 v22, v28, v21 :: v_dual_add_f32 v21, v23, v24
	ds_load_2addr_b64 v[23:26], v13 offset0:224 offset1:240
	v_mul_f32_e32 v28, v43, v16
	v_fma_f32 v34, v43, v15, -v34
	v_mul_f32_e32 v35, v44, v18
	v_mul_f32_e32 v36, v43, v18
	s_waitcnt lgkmcnt(0)
	s_delay_alu instid0(VALU_DEP_3) | instskip(SKIP_3) | instid1(VALU_DEP_4)
	v_dual_fmac_f32 v28, v44, v15 :: v_dual_add_f32 v5, v5, v34
	v_mul_f32_e32 v34, v30, v16
	v_fma_f32 v35, v43, v17, -v35
	v_fmac_f32_e32 v36, v44, v17
	v_add_f32_e32 v6, v6, v28
	v_mul_f32_e32 v16, v29, v16
	v_fma_f32 v28, v29, v15, -v34
	v_dual_mul_f32 v34, v30, v18 :: v_dual_add_f32 v33, v33, v35
	s_delay_alu instid0(VALU_DEP_3) | instskip(NEXT) | instid1(VALU_DEP_3)
	v_dual_add_f32 v35, v19, v36 :: v_dual_fmac_f32 v16, v30, v15
	v_dual_add_f32 v15, v27, v28 :: v_dual_mul_f32 v18, v29, v18
	s_delay_alu instid0(VALU_DEP_3) | instskip(SKIP_3) | instid1(VALU_DEP_4)
	v_fma_f32 v19, v29, v17, -v34
	v_mul_f32_e32 v27, v46, v24
	v_mul_f32_e32 v28, v45, v24
	v_add_f32_e32 v16, v20, v16
	v_dual_fmac_f32 v18, v30, v17 :: v_dual_add_f32 v29, v21, v19
	s_delay_alu instid0(VALU_DEP_4)
	v_fma_f32 v17, v45, v23, -v27
	v_mul_f32_e32 v19, v46, v26
	v_fmac_f32_e32 v28, v46, v23
	v_mul_f32_e32 v20, v45, v26
	s_barrier
	v_add_f32_e32 v21, v5, v17
	v_mul_f32_e32 v17, v32, v26
	v_fma_f32 v5, v45, v25, -v19
	v_fmac_f32_e32 v20, v46, v25
	buffer_gl0_inv
	v_dual_add_f32 v19, v33, v5 :: v_dual_add_f32 v22, v38, v22
	s_delay_alu instid0(VALU_DEP_1) | instskip(SKIP_4) | instid1(VALU_DEP_3)
	v_dual_add_f32 v20, v35, v20 :: v_dual_add_f32 v27, v22, v18
	v_add_f32_e32 v22, v6, v28
	v_mul_f32_e32 v6, v32, v24
	v_mul_f32_e32 v18, v31, v24
	;; [unrolled: 1-line block ×3, first 2 shown]
	v_fma_f32 v5, v31, v23, -v6
	s_delay_alu instid0(VALU_DEP_3) | instskip(SKIP_1) | instid1(VALU_DEP_4)
	v_fmac_f32_e32 v18, v32, v23
	v_fma_f32 v6, v31, v25, -v17
	v_fmac_f32_e32 v24, v32, v25
	s_delay_alu instid0(VALU_DEP_3) | instskip(NEXT) | instid1(VALU_DEP_2)
	v_dual_add_f32 v17, v15, v5 :: v_dual_add_f32 v18, v16, v18
	v_dual_add_f32 v15, v29, v6 :: v_dual_add_f32 v16, v27, v24
	s_cbranch_scc1 .LBB218_9
.LBB218_3:                              ; =>This Inner Loop Header: Depth=1
	v_add_nc_u32_e32 v5, s21, v10
	s_delay_alu instid0(VALU_DEP_1) | instskip(NEXT) | instid1(VALU_DEP_1)
	v_cmp_le_i32_e64 s2, s17, v5
	s_or_b32 s2, s3, s2
	s_delay_alu instid0(SALU_CYCLE_1) | instskip(NEXT) | instid1(SALU_CYCLE_1)
	s_and_saveexec_b32 s10, s2
	s_xor_b32 s2, exec_lo, s10
	s_cbranch_execz .LBB218_5
; %bb.4:                                ;   in Loop: Header=BB218_3 Depth=1
	v_mov_b32_e32 v5, v4
	ds_store_b64 v11, v[4:5]
.LBB218_5:                              ;   in Loop: Header=BB218_3 Depth=1
	s_and_not1_saveexec_b32 s2, s2
	s_cbranch_execz .LBB218_7
; %bb.6:                                ;   in Loop: Header=BB218_3 Depth=1
	global_load_b64 v[5:6], v[0:1], off
	s_waitcnt vmcnt(0)
	ds_store_b64 v11, v[5:6]
.LBB218_7:                              ;   in Loop: Header=BB218_3 Depth=1
	s_or_b32 exec_lo, exec_lo, s2
	v_dual_mov_b32 v6, 0 :: v_dual_add_nc_u32 v5, s21, v9
	s_delay_alu instid0(VALU_DEP_1) | instskip(SKIP_1) | instid1(VALU_DEP_2)
	v_cmp_gt_i32_e64 s2, s17, v5
	v_mov_b32_e32 v5, 0
	s_and_b32 s10, s2, vcc_lo
	s_delay_alu instid0(SALU_CYCLE_1)
	s_and_saveexec_b32 s2, s10
	s_cbranch_execz .LBB218_2
; %bb.8:                                ;   in Loop: Header=BB218_3 Depth=1
	global_load_b64 v[5:6], v[2:3], off offset:-4
	s_branch .LBB218_2
.LBB218_9:
	s_clause 0x2
	s_load_b32 s2, s[0:1], 0x50
	s_load_b64 s[6:7], s[0:1], 0x58
	s_load_b64 s[8:9], s[0:1], 0x48
	v_add_nc_u32_e32 v4, s14, v8
	v_add_nc_u32_e32 v0, s20, v7
	s_delay_alu instid0(VALU_DEP_1)
	v_cmp_le_i32_e64 s0, v4, v0
	v_cmp_gt_i32_e32 vcc_lo, s16, v0
	s_waitcnt lgkmcnt(0)
	v_mad_i64_i32 v[1:2], null, v4, s2, 0
	s_mul_i32 s1, s15, s7
	s_mul_hi_u32 s3, s15, s6
	s_mul_i32 s6, s15, s6
	s_add_i32 s7, s3, s1
	s_delay_alu instid0(SALU_CYCLE_1) | instskip(NEXT) | instid1(VALU_DEP_1)
	s_lshl_b64 s[6:7], s[6:7], 3
	v_lshlrev_b64 v[1:2], 3, v[1:2]
	s_add_u32 s3, s8, s6
	s_addc_u32 s6, s9, s7
	s_and_b32 s0, s0, vcc_lo
	s_delay_alu instid0(VALU_DEP_1) | instskip(NEXT) | instid1(VALU_DEP_1)
	v_add_co_u32 v5, s1, s3, v1
	v_add_co_ci_u32_e64 v6, s1, s6, v2, s1
	s_and_saveexec_b32 s1, s0
	s_cbranch_execz .LBB218_11
; %bb.10:
	v_ashrrev_i32_e32 v1, 31, v0
	v_mul_f32_e32 v2, s4, v22
	v_mul_f32_e32 v3, s5, v22
	s_delay_alu instid0(VALU_DEP_3) | instskip(NEXT) | instid1(VALU_DEP_3)
	v_lshlrev_b64 v[7:8], 3, v[0:1]
	v_fmac_f32_e32 v2, s5, v21
	s_delay_alu instid0(VALU_DEP_3) | instskip(NEXT) | instid1(VALU_DEP_3)
	v_fma_f32 v1, v21, s4, -v3
	v_add_co_u32 v7, s0, v5, v7
	s_delay_alu instid0(VALU_DEP_1)
	v_add_co_ci_u32_e64 v8, s0, v6, v8, s0
	global_store_b64 v[7:8], v[1:2], off
.LBB218_11:
	s_or_b32 exec_lo, exec_lo, s1
	v_add_nc_u32_e32 v2, 16, v0
	s_delay_alu instid0(VALU_DEP_1) | instskip(SKIP_1) | instid1(VALU_DEP_1)
	v_cmp_le_i32_e64 s1, v4, v2
	v_cmp_gt_i32_e64 s0, s16, v2
	s_and_b32 s1, s1, s0
	s_delay_alu instid0(SALU_CYCLE_1)
	s_and_saveexec_b32 s7, s1
	s_cbranch_execz .LBB218_13
; %bb.12:
	v_ashrrev_i32_e32 v3, 31, v2
	v_mul_f32_e32 v8, s4, v20
	v_mul_f32_e32 v1, s5, v20
	s_delay_alu instid0(VALU_DEP_3) | instskip(NEXT) | instid1(VALU_DEP_3)
	v_lshlrev_b64 v[9:10], 3, v[2:3]
	v_fmac_f32_e32 v8, s5, v19
	s_delay_alu instid0(VALU_DEP_3) | instskip(NEXT) | instid1(VALU_DEP_3)
	v_fma_f32 v7, v19, s4, -v1
	v_add_co_u32 v5, s1, v5, v9
	s_delay_alu instid0(VALU_DEP_1)
	v_add_co_ci_u32_e64 v6, s1, v6, v10, s1
	global_store_b64 v[5:6], v[7:8], off
.LBB218_13:
	s_or_b32 exec_lo, exec_lo, s7
	v_add_nc_u32_e32 v3, 16, v4
	s_delay_alu instid0(VALU_DEP_1) | instskip(SKIP_1) | instid1(VALU_DEP_2)
	v_mad_i64_i32 v[4:5], null, v3, s2, 0
	v_cmp_le_i32_e64 s1, v3, v0
	v_lshlrev_b64 v[4:5], 3, v[4:5]
	s_delay_alu instid0(VALU_DEP_1) | instskip(NEXT) | instid1(VALU_DEP_1)
	v_add_co_u32 v4, s2, s3, v4
	v_add_co_ci_u32_e64 v5, s2, s6, v5, s2
	s_delay_alu instid0(VALU_DEP_4) | instskip(NEXT) | instid1(SALU_CYCLE_1)
	s_and_b32 s2, s1, vcc_lo
	s_and_saveexec_b32 s1, s2
	s_cbranch_execz .LBB218_15
; %bb.14:
	v_ashrrev_i32_e32 v1, 31, v0
	v_mul_f32_e32 v7, s4, v18
	v_mul_f32_e32 v6, s5, v18
	s_delay_alu instid0(VALU_DEP_3) | instskip(NEXT) | instid1(VALU_DEP_3)
	v_lshlrev_b64 v[0:1], 3, v[0:1]
	v_fmac_f32_e32 v7, s5, v17
	s_delay_alu instid0(VALU_DEP_3) | instskip(NEXT) | instid1(VALU_DEP_3)
	v_fma_f32 v6, v17, s4, -v6
	v_add_co_u32 v0, vcc_lo, v4, v0
	s_delay_alu instid0(VALU_DEP_4)
	v_add_co_ci_u32_e32 v1, vcc_lo, v5, v1, vcc_lo
	global_store_b64 v[0:1], v[6:7], off
.LBB218_15:
	s_or_b32 exec_lo, exec_lo, s1
	v_cmp_le_i32_e32 vcc_lo, v3, v2
	s_and_b32 s0, vcc_lo, s0
	s_delay_alu instid0(SALU_CYCLE_1)
	s_and_saveexec_b32 s1, s0
	s_cbranch_execz .LBB218_17
; %bb.16:
	v_ashrrev_i32_e32 v3, 31, v2
	v_mul_f32_e32 v1, s4, v16
	v_mul_f32_e32 v0, s5, v16
	s_delay_alu instid0(VALU_DEP_3) | instskip(NEXT) | instid1(VALU_DEP_3)
	v_lshlrev_b64 v[2:3], 3, v[2:3]
	v_fmac_f32_e32 v1, s5, v15
	s_delay_alu instid0(VALU_DEP_3) | instskip(NEXT) | instid1(VALU_DEP_3)
	v_fma_f32 v0, v15, s4, -v0
	v_add_co_u32 v2, vcc_lo, v4, v2
	s_delay_alu instid0(VALU_DEP_4)
	v_add_co_ci_u32_e32 v3, vcc_lo, v5, v3, vcc_lo
	global_store_b64 v[2:3], v[0:1], off
.LBB218_17:
	s_nop 0
	s_sendmsg sendmsg(MSG_DEALLOC_VGPRS)
	s_endpgm
	.section	.rodata,"a",@progbits
	.p2align	6, 0x0
	.amdhsa_kernel _ZL34rocblas_syrkx_herkx_general_kernelIi19rocblas_complex_numIfELi16ELi32ELi8ELb1ELb0ELc78ELc76EKS1_S1_EviT_T0_PT8_S3_lS6_S3_lS4_PT9_S3_li
		.amdhsa_group_segment_fixed_size 4096
		.amdhsa_private_segment_fixed_size 0
		.amdhsa_kernarg_size 100
		.amdhsa_user_sgpr_count 13
		.amdhsa_user_sgpr_dispatch_ptr 0
		.amdhsa_user_sgpr_queue_ptr 0
		.amdhsa_user_sgpr_kernarg_segment_ptr 1
		.amdhsa_user_sgpr_dispatch_id 0
		.amdhsa_user_sgpr_private_segment_size 0
		.amdhsa_wavefront_size32 1
		.amdhsa_uses_dynamic_stack 0
		.amdhsa_enable_private_segment 0
		.amdhsa_system_sgpr_workgroup_id_x 1
		.amdhsa_system_sgpr_workgroup_id_y 1
		.amdhsa_system_sgpr_workgroup_id_z 1
		.amdhsa_system_sgpr_workgroup_info 0
		.amdhsa_system_vgpr_workitem_id 1
		.amdhsa_next_free_vgpr 59
		.amdhsa_next_free_sgpr 25
		.amdhsa_reserve_vcc 1
		.amdhsa_float_round_mode_32 0
		.amdhsa_float_round_mode_16_64 0
		.amdhsa_float_denorm_mode_32 3
		.amdhsa_float_denorm_mode_16_64 3
		.amdhsa_dx10_clamp 1
		.amdhsa_ieee_mode 1
		.amdhsa_fp16_overflow 0
		.amdhsa_workgroup_processor_mode 1
		.amdhsa_memory_ordered 1
		.amdhsa_forward_progress 0
		.amdhsa_shared_vgpr_count 0
		.amdhsa_exception_fp_ieee_invalid_op 0
		.amdhsa_exception_fp_denorm_src 0
		.amdhsa_exception_fp_ieee_div_zero 0
		.amdhsa_exception_fp_ieee_overflow 0
		.amdhsa_exception_fp_ieee_underflow 0
		.amdhsa_exception_fp_ieee_inexact 0
		.amdhsa_exception_int_div_zero 0
	.end_amdhsa_kernel
	.section	.text._ZL34rocblas_syrkx_herkx_general_kernelIi19rocblas_complex_numIfELi16ELi32ELi8ELb1ELb0ELc78ELc76EKS1_S1_EviT_T0_PT8_S3_lS6_S3_lS4_PT9_S3_li,"axG",@progbits,_ZL34rocblas_syrkx_herkx_general_kernelIi19rocblas_complex_numIfELi16ELi32ELi8ELb1ELb0ELc78ELc76EKS1_S1_EviT_T0_PT8_S3_lS6_S3_lS4_PT9_S3_li,comdat
.Lfunc_end218:
	.size	_ZL34rocblas_syrkx_herkx_general_kernelIi19rocblas_complex_numIfELi16ELi32ELi8ELb1ELb0ELc78ELc76EKS1_S1_EviT_T0_PT8_S3_lS6_S3_lS4_PT9_S3_li, .Lfunc_end218-_ZL34rocblas_syrkx_herkx_general_kernelIi19rocblas_complex_numIfELi16ELi32ELi8ELb1ELb0ELc78ELc76EKS1_S1_EviT_T0_PT8_S3_lS6_S3_lS4_PT9_S3_li
                                        ; -- End function
	.section	.AMDGPU.csdata,"",@progbits
; Kernel info:
; codeLenInByte = 2508
; NumSgprs: 27
; NumVgprs: 59
; ScratchSize: 0
; MemoryBound: 1
; FloatMode: 240
; IeeeMode: 1
; LDSByteSize: 4096 bytes/workgroup (compile time only)
; SGPRBlocks: 3
; VGPRBlocks: 7
; NumSGPRsForWavesPerEU: 27
; NumVGPRsForWavesPerEU: 59
; Occupancy: 16
; WaveLimiterHint : 0
; COMPUTE_PGM_RSRC2:SCRATCH_EN: 0
; COMPUTE_PGM_RSRC2:USER_SGPR: 13
; COMPUTE_PGM_RSRC2:TRAP_HANDLER: 0
; COMPUTE_PGM_RSRC2:TGID_X_EN: 1
; COMPUTE_PGM_RSRC2:TGID_Y_EN: 1
; COMPUTE_PGM_RSRC2:TGID_Z_EN: 1
; COMPUTE_PGM_RSRC2:TIDIG_COMP_CNT: 1
	.section	.text._ZL34rocblas_syrkx_herkx_general_kernelIi19rocblas_complex_numIfELi16ELi32ELi8ELb1ELb0ELc84ELc85EKS1_S1_EviT_T0_PT8_S3_lS6_S3_lS4_PT9_S3_li,"axG",@progbits,_ZL34rocblas_syrkx_herkx_general_kernelIi19rocblas_complex_numIfELi16ELi32ELi8ELb1ELb0ELc84ELc85EKS1_S1_EviT_T0_PT8_S3_lS6_S3_lS4_PT9_S3_li,comdat
	.globl	_ZL34rocblas_syrkx_herkx_general_kernelIi19rocblas_complex_numIfELi16ELi32ELi8ELb1ELb0ELc84ELc85EKS1_S1_EviT_T0_PT8_S3_lS6_S3_lS4_PT9_S3_li ; -- Begin function _ZL34rocblas_syrkx_herkx_general_kernelIi19rocblas_complex_numIfELi16ELi32ELi8ELb1ELb0ELc84ELc85EKS1_S1_EviT_T0_PT8_S3_lS6_S3_lS4_PT9_S3_li
	.p2align	8
	.type	_ZL34rocblas_syrkx_herkx_general_kernelIi19rocblas_complex_numIfELi16ELi32ELi8ELb1ELb0ELc84ELc85EKS1_S1_EviT_T0_PT8_S3_lS6_S3_lS4_PT9_S3_li,@function
_ZL34rocblas_syrkx_herkx_general_kernelIi19rocblas_complex_numIfELi16ELi32ELi8ELb1ELb0ELc84ELc85EKS1_S1_EviT_T0_PT8_S3_lS6_S3_lS4_PT9_S3_li: ; @_ZL34rocblas_syrkx_herkx_general_kernelIi19rocblas_complex_numIfELi16ELi32ELi8ELb1ELb0ELc84ELc85EKS1_S1_EviT_T0_PT8_S3_lS6_S3_lS4_PT9_S3_li
; %bb.0:
	s_clause 0x1
	s_load_b64 s[16:17], s[0:1], 0x0
	s_load_b128 s[4:7], s[0:1], 0x8
	v_dual_mov_b32 v21, 0 :: v_dual_and_b32 v6, 0x3ff, v0
	v_bfe_u32 v7, v0, 10, 10
	v_dual_mov_b32 v20, 0 :: v_dual_mov_b32 v19, 0
	v_dual_mov_b32 v18, 0 :: v_dual_mov_b32 v17, 0
	;; [unrolled: 1-line block ×3, first 2 shown]
	v_mov_b32_e32 v14, 0
	s_lshl_b32 s12, s13, 5
	s_lshl_b32 s13, s14, 5
	s_mov_b32 s14, 0
	s_waitcnt lgkmcnt(0)
	s_cmp_lt_i32 s17, 1
	s_cbranch_scc1 .LBB219_11
; %bb.1:
	s_load_b32 s2, s[0:1], 0x18
	v_lshl_add_u32 v0, v7, 4, v6
	s_clause 0x2
	s_load_b128 s[8:11], s[0:1], 0x20
	s_load_b32 s3, s[0:1], 0x30
	s_load_b64 s[18:19], s[0:1], 0x38
	v_dual_mov_b32 v15, 0 :: v_dual_and_b32 v8, 7, v6
	v_dual_mov_b32 v17, 0 :: v_dual_and_b32 v2, 31, v0
	v_lshrrev_b32_e32 v1, 3, v0
	s_delay_alu instid0(VALU_DEP_3) | instskip(SKIP_1) | instid1(VALU_DEP_4)
	v_dual_mov_b32 v19, 0 :: v_dual_lshlrev_b32 v4, 3, v8
	v_lshrrev_b32_e32 v11, 5, v0
	v_dual_mov_b32 v16, 0 :: v_dual_add_nc_u32 v3, s12, v2
	s_delay_alu instid0(VALU_DEP_4) | instskip(NEXT) | instid1(VALU_DEP_4)
	v_add_nc_u32_e32 v5, s13, v1
	v_lshl_or_b32 v13, v1, 6, v4
	v_or_b32_e32 v12, s12, v2
	v_dual_mov_b32 v21, 0 :: v_dual_lshlrev_b32 v2, 3, v2
	v_lshlrev_b32_e32 v9, 3, v6
	v_lshl_add_u32 v10, v7, 6, 0x800
	s_waitcnt lgkmcnt(0)
	v_mad_i64_i32 v[0:1], null, s2, v3, 0
	s_mul_i32 s9, s9, s15
	s_mul_hi_u32 s20, s8, s15
	v_cmp_gt_i32_e32 vcc_lo, s16, v12
	v_lshl_or_b32 v12, v11, 8, v2
	v_mad_i64_i32 v[2:3], null, s3, v5, 0
	s_delay_alu instid0(VALU_DEP_4)
	v_lshlrev_b64 v[0:1], 3, v[0:1]
	s_mul_i32 s8, s8, s15
	s_add_i32 s9, s20, s9
	v_cmp_gt_i32_e64 s2, s16, v5
	s_lshl_b64 s[8:9], s[8:9], 3
	v_dual_mov_b32 v18, 0 :: v_dual_add_nc_u32 v13, 0x800, v13
	v_add_co_u32 v5, s3, v0, s8
	s_delay_alu instid0(VALU_DEP_1)
	v_add_co_ci_u32_e64 v14, s3, s9, v1, s3
	s_mul_i32 s3, s19, s15
	s_mul_hi_u32 s8, s18, s15
	v_lshlrev_b64 v[0:1], 3, v[2:3]
	s_add_i32 s9, s8, s3
	s_mul_i32 s8, s18, s15
	v_lshlrev_b32_e32 v2, 3, v11
	s_lshl_b64 s[8:9], s[8:9], 3
	v_mov_b32_e32 v20, 0
	v_add_co_u32 v0, s3, v0, s8
	s_delay_alu instid0(VALU_DEP_1) | instskip(SKIP_1) | instid1(VALU_DEP_1)
	v_add_co_ci_u32_e64 v1, s3, s9, v1, s3
	v_add_co_u32 v2, s3, v5, v2
	v_add_co_ci_u32_e64 v3, s3, 0, v14, s3
	s_delay_alu instid0(VALU_DEP_4) | instskip(NEXT) | instid1(VALU_DEP_1)
	v_add_co_u32 v4, s3, v0, v4
	v_add_co_ci_u32_e64 v5, s3, 0, v1, s3
	s_delay_alu instid0(VALU_DEP_4) | instskip(NEXT) | instid1(VALU_DEP_1)
	;; [unrolled: 3-line block ×3, first 2 shown]
	v_add_co_u32 v2, s3, s10, v4
	v_add_co_ci_u32_e64 v3, s3, s11, v5, s3
	v_mov_b32_e32 v4, 0
	v_mov_b32_e32 v14, 0
	s_xor_b32 s3, vcc_lo, -1
	s_xor_b32 s2, s2, -1
	s_branch .LBB219_3
.LBB219_2:                              ;   in Loop: Header=BB219_3 Depth=1
	s_or_b32 exec_lo, exec_lo, s6
	s_waitcnt lgkmcnt(0)
	s_barrier
	buffer_gl0_inv
	ds_load_2addr_b64 v[22:25], v9 offset1:16
	ds_load_b128 v[26:29], v10
	ds_load_b128 v[30:33], v10 offset:1024
	ds_load_b128 v[34:37], v10 offset:16
	;; [unrolled: 1-line block ×4, first 2 shown]
	ds_load_2addr_b64 v[46:49], v9 offset0:32 offset1:48
	ds_load_b128 v[50:53], v10 offset:1040
	v_add_co_u32 v0, vcc_lo, v0, 64
	v_add_co_ci_u32_e32 v1, vcc_lo, 0, v1, vcc_lo
	v_add_co_u32 v2, vcc_lo, v2, 64
	v_add_co_ci_u32_e32 v3, vcc_lo, 0, v3, vcc_lo
	s_add_i32 s14, s14, 8
	s_delay_alu instid0(SALU_CYCLE_1)
	s_cmp_ge_i32 s14, s17
	s_waitcnt lgkmcnt(6)
	v_dual_mul_f32 v5, v27, v23 :: v_dual_mul_f32 v56, v26, v25
	v_dual_mul_f32 v54, v26, v23 :: v_dual_mul_f32 v55, v27, v25
	s_waitcnt lgkmcnt(5)
	v_mul_f32_e32 v58, v31, v25
	s_delay_alu instid0(VALU_DEP_3) | instskip(SKIP_3) | instid1(VALU_DEP_4)
	v_fma_f32 v5, v26, v22, -v5
	v_dual_mul_f32 v25, v30, v25 :: v_dual_fmac_f32 v56, v27, v24
	v_fmac_f32_e32 v54, v27, v22
	v_fma_f32 v26, v26, v24, -v55
	v_add_f32_e32 v5, v20, v5
	v_mul_f32_e32 v57, v31, v23
	s_delay_alu instid0(VALU_DEP_4) | instskip(SKIP_2) | instid1(VALU_DEP_4)
	v_dual_mul_f32 v23, v30, v23 :: v_dual_add_f32 v20, v21, v54
	v_fmac_f32_e32 v25, v31, v24
	v_dual_add_f32 v21, v18, v26 :: v_dual_add_f32 v26, v19, v56
	v_fma_f32 v27, v30, v22, -v57
	s_delay_alu instid0(VALU_DEP_4) | instskip(SKIP_3) | instid1(VALU_DEP_2)
	v_fmac_f32_e32 v23, v31, v22
	v_fma_f32 v22, v30, v24, -v58
	s_waitcnt lgkmcnt(1)
	v_mul_f32_e32 v30, v29, v47
	v_dual_add_f32 v27, v16, v27 :: v_dual_add_f32 v14, v14, v22
	v_dual_mul_f32 v22, v28, v47 :: v_dual_add_f32 v15, v15, v25
	v_mul_f32_e32 v25, v28, v49
	s_delay_alu instid0(VALU_DEP_4) | instskip(NEXT) | instid1(VALU_DEP_3)
	v_fma_f32 v24, v28, v46, -v30
	v_fmac_f32_e32 v22, v29, v46
	v_add_f32_e32 v23, v17, v23
	ds_load_2addr_b64 v[16:19], v9 offset0:64 offset1:80
	v_mul_f32_e32 v30, v29, v49
	v_fmac_f32_e32 v25, v29, v48
	v_add_f32_e32 v5, v5, v24
	s_delay_alu instid0(VALU_DEP_2) | instskip(SKIP_1) | instid1(VALU_DEP_1)
	v_add_f32_e32 v25, v26, v25
	v_mul_f32_e32 v26, v32, v49
	v_fmac_f32_e32 v26, v33, v48
	s_waitcnt lgkmcnt(0)
	s_delay_alu instid0(VALU_DEP_1) | instskip(SKIP_1) | instid1(VALU_DEP_2)
	v_dual_add_f32 v26, v15, v26 :: v_dual_mul_f32 v29, v34, v17
	v_mul_f32_e32 v15, v34, v19
	v_fmac_f32_e32 v29, v35, v16
	v_fma_f32 v24, v28, v48, -v30
	v_mul_f32_e32 v28, v33, v47
	v_add_f32_e32 v30, v20, v22
	v_mul_f32_e32 v20, v32, v47
	v_mul_f32_e32 v22, v33, v49
	v_add_f32_e32 v24, v21, v24
	v_fma_f32 v21, v32, v46, -v28
	s_delay_alu instid0(VALU_DEP_4) | instskip(SKIP_1) | instid1(VALU_DEP_3)
	v_dual_add_f32 v29, v30, v29 :: v_dual_fmac_f32 v20, v33, v46
	v_fmac_f32_e32 v15, v35, v18
	v_add_f32_e32 v27, v27, v21
	v_fma_f32 v21, v32, v48, -v22
	v_mul_f32_e32 v22, v35, v17
	v_mul_f32_e32 v32, v35, v19
	v_add_f32_e32 v28, v23, v20
	s_delay_alu instid0(VALU_DEP_4) | instskip(NEXT) | instid1(VALU_DEP_4)
	v_add_f32_e32 v14, v14, v21
	v_fma_f32 v31, v34, v16, -v22
	ds_load_2addr_b64 v[20:23], v9 offset0:96 offset1:112
	v_add_f32_e32 v5, v5, v31
	v_fma_f32 v31, v34, v18, -v32
	s_delay_alu instid0(VALU_DEP_1) | instskip(SKIP_3) | instid1(VALU_DEP_3)
	v_add_f32_e32 v24, v24, v31
	v_mul_f32_e32 v31, v51, v19
	v_mul_f32_e32 v19, v50, v19
	v_add_f32_e32 v32, v25, v15
	v_fma_f32 v15, v50, v18, -v31
	s_delay_alu instid0(VALU_DEP_3)
	v_fmac_f32_e32 v19, v51, v18
	v_mul_f32_e32 v30, v51, v17
	v_mul_f32_e32 v17, v50, v17
	s_waitcnt lgkmcnt(0)
	v_dual_mul_f32 v18, v37, v21 :: v_dual_add_f32 v31, v14, v15
	v_add_f32_e32 v33, v26, v19
	v_fma_f32 v30, v50, v16, -v30
	v_fmac_f32_e32 v17, v51, v16
	s_delay_alu instid0(VALU_DEP_4) | instskip(SKIP_1) | instid1(VALU_DEP_4)
	v_fma_f32 v18, v36, v20, -v18
	v_mul_f32_e32 v25, v36, v21
	v_dual_mul_f32 v19, v36, v23 :: v_dual_add_f32 v30, v27, v30
	s_delay_alu instid0(VALU_DEP_4) | instskip(SKIP_4) | instid1(VALU_DEP_2)
	v_add_f32_e32 v28, v28, v17
	ds_load_2addr_b64 v[14:17], v9 offset0:128 offset1:144
	v_add_f32_e32 v5, v5, v18
	v_mul_f32_e32 v18, v53, v21
	v_fmac_f32_e32 v19, v37, v22
	v_fma_f32 v18, v52, v20, -v18
	v_mul_f32_e32 v27, v37, v23
	s_delay_alu instid0(VALU_DEP_1) | instskip(NEXT) | instid1(VALU_DEP_3)
	v_fma_f32 v26, v36, v22, -v27
	v_add_f32_e32 v36, v30, v18
	s_waitcnt lgkmcnt(0)
	s_delay_alu instid0(VALU_DEP_2) | instskip(SKIP_2) | instid1(VALU_DEP_3)
	v_dual_add_f32 v35, v24, v26 :: v_dual_mul_f32 v46, v38, v15
	v_dual_fmac_f32 v25, v37, v20 :: v_dual_add_f32 v32, v32, v19
	v_mul_f32_e32 v18, v39, v15
	v_fmac_f32_e32 v46, v39, v14
	s_delay_alu instid0(VALU_DEP_3)
	v_add_f32_e32 v34, v29, v25
	v_mul_f32_e32 v29, v53, v23
	v_mul_f32_e32 v23, v52, v23
	ds_load_b128 v[24:27], v10 offset:1056
	v_add_f32_e32 v34, v34, v46
	v_fma_f32 v19, v52, v22, -v29
	v_mul_f32_e32 v21, v52, v21
	v_fmac_f32_e32 v23, v53, v22
	v_mul_f32_e32 v29, v39, v17
	s_delay_alu instid0(VALU_DEP_3) | instskip(NEXT) | instid1(VALU_DEP_3)
	v_dual_add_f32 v22, v31, v19 :: v_dual_fmac_f32 v21, v53, v20
	v_add_f32_e32 v23, v33, v23
	s_delay_alu instid0(VALU_DEP_2) | instskip(SKIP_4) | instid1(VALU_DEP_2)
	v_add_f32_e32 v37, v28, v21
	v_fma_f32 v28, v38, v14, -v18
	ds_load_2addr_b64 v[18:21], v9 offset0:160 offset1:176
	v_mul_f32_e32 v33, v38, v17
	v_fma_f32 v38, v38, v16, -v29
	v_fmac_f32_e32 v33, v39, v16
	s_delay_alu instid0(VALU_DEP_1)
	v_dual_add_f32 v35, v35, v38 :: v_dual_add_f32 v32, v32, v33
	v_add_f32_e32 v5, v5, v28
	ds_load_b128 v[28:31], v10 offset:1072
	s_waitcnt lgkmcnt(2)
	v_mul_f32_e32 v47, v25, v15
	v_mul_f32_e32 v15, v24, v15
	v_mul_f32_e32 v39, v25, v17
	v_mul_f32_e32 v33, v24, v17
	s_delay_alu instid0(VALU_DEP_4) | instskip(NEXT) | instid1(VALU_DEP_4)
	v_fma_f32 v38, v24, v14, -v47
	v_fmac_f32_e32 v15, v25, v14
	s_delay_alu instid0(VALU_DEP_4)
	v_fma_f32 v14, v24, v16, -v39
	s_waitcnt lgkmcnt(1)
	v_mul_f32_e32 v17, v41, v19
	v_dual_fmac_f32 v33, v25, v16 :: v_dual_add_f32 v36, v36, v38
	v_add_f32_e32 v24, v37, v15
	v_add_f32_e32 v22, v22, v14
	s_delay_alu instid0(VALU_DEP_4) | instskip(SKIP_2) | instid1(VALU_DEP_1)
	v_fma_f32 v37, v40, v18, -v17
	ds_load_2addr_b64 v[14:17], v9 offset0:192 offset1:208
	v_dual_mul_f32 v25, v40, v19 :: v_dual_mul_f32 v38, v41, v21
	v_fmac_f32_e32 v25, v41, v18
	s_delay_alu instid0(VALU_DEP_1) | instskip(SKIP_4) | instid1(VALU_DEP_3)
	v_add_f32_e32 v34, v34, v25
	v_add_f32_e32 v33, v23, v33
	v_mul_f32_e32 v23, v40, v21
	v_mul_f32_e32 v25, v27, v19
	;; [unrolled: 1-line block ×3, first 2 shown]
	v_fmac_f32_e32 v23, v41, v20
	s_delay_alu instid0(VALU_DEP_3) | instskip(NEXT) | instid1(VALU_DEP_2)
	v_fma_f32 v25, v26, v18, -v25
	v_dual_fmac_f32 v19, v27, v18 :: v_dual_add_f32 v18, v32, v23
	s_waitcnt lgkmcnt(0)
	v_dual_mul_f32 v32, v43, v15 :: v_dual_add_f32 v5, v5, v37
	v_fma_f32 v37, v40, v20, -v38
	s_delay_alu instid0(VALU_DEP_3) | instskip(NEXT) | instid1(VALU_DEP_3)
	v_add_f32_e32 v19, v24, v19
	v_fma_f32 v32, v42, v14, -v32
	s_delay_alu instid0(VALU_DEP_1) | instskip(NEXT) | instid1(VALU_DEP_4)
	v_add_f32_e32 v5, v5, v32
	v_add_f32_e32 v35, v35, v37
	v_mul_f32_e32 v37, v27, v21
	v_dual_mul_f32 v21, v26, v21 :: v_dual_mul_f32 v32, v29, v15
	s_delay_alu instid0(VALU_DEP_2) | instskip(NEXT) | instid1(VALU_DEP_2)
	v_fma_f32 v23, v26, v20, -v37
	v_dual_add_f32 v26, v36, v25 :: v_dual_fmac_f32 v21, v27, v20
	v_mul_f32_e32 v27, v42, v15
	v_mul_f32_e32 v15, v28, v15
	s_delay_alu instid0(VALU_DEP_4)
	v_add_f32_e32 v20, v22, v23
	ds_load_2addr_b64 v[22:25], v9 offset0:224 offset1:240
	v_fma_f32 v32, v28, v14, -v32
	v_dual_fmac_f32 v27, v43, v14 :: v_dual_mul_f32 v36, v42, v17
	v_fmac_f32_e32 v15, v29, v14
	s_waitcnt lgkmcnt(0)
	s_delay_alu instid0(VALU_DEP_3) | instskip(NEXT) | instid1(VALU_DEP_3)
	v_add_f32_e32 v14, v26, v32
	v_dual_add_f32 v27, v34, v27 :: v_dual_fmac_f32 v36, v43, v16
	s_delay_alu instid0(VALU_DEP_3)
	v_dual_mul_f32 v34, v29, v17 :: v_dual_add_f32 v15, v19, v15
	s_barrier
	buffer_gl0_inv
	v_mul_f32_e32 v26, v45, v23
	v_add_f32_e32 v21, v33, v21
	v_mul_f32_e32 v33, v43, v17
	v_mul_f32_e32 v17, v28, v17
	v_mul_f32_e32 v19, v44, v25
	s_delay_alu instid0(VALU_DEP_3) | instskip(NEXT) | instid1(VALU_DEP_3)
	v_fma_f32 v33, v42, v16, -v33
	v_fmac_f32_e32 v17, v29, v16
	s_delay_alu instid0(VALU_DEP_3) | instskip(NEXT) | instid1(VALU_DEP_3)
	v_fmac_f32_e32 v19, v45, v24
	v_add_f32_e32 v33, v35, v33
	v_add_f32_e32 v35, v18, v36
	v_fma_f32 v18, v28, v16, -v34
	v_fma_f32 v16, v44, v22, -v26
	v_mul_f32_e32 v28, v44, v23
	v_dual_add_f32 v26, v21, v17 :: v_dual_mul_f32 v17, v30, v23
	s_delay_alu instid0(VALU_DEP_4) | instskip(NEXT) | instid1(VALU_DEP_4)
	v_dual_add_f32 v29, v20, v18 :: v_dual_mul_f32 v18, v45, v25
	v_add_f32_e32 v20, v5, v16
	v_mul_f32_e32 v16, v31, v23
	v_mul_f32_e32 v23, v31, v25
	;; [unrolled: 1-line block ×3, first 2 shown]
	v_fma_f32 v5, v44, v24, -v18
	v_fmac_f32_e32 v28, v45, v22
	v_fmac_f32_e32 v17, v31, v22
	v_add_f32_e32 v19, v35, v19
	s_delay_alu instid0(VALU_DEP_4)
	v_dual_fmac_f32 v25, v31, v24 :: v_dual_add_f32 v18, v33, v5
	v_fma_f32 v5, v30, v22, -v16
	v_fma_f32 v22, v30, v24, -v23
	v_add_f32_e32 v21, v27, v28
	v_add_f32_e32 v17, v15, v17
	;; [unrolled: 1-line block ×5, first 2 shown]
	s_cbranch_scc1 .LBB219_11
.LBB219_3:                              ; =>This Inner Loop Header: Depth=1
	v_add_nc_u32_e32 v5, s14, v11
	s_delay_alu instid0(VALU_DEP_1) | instskip(SKIP_1) | instid1(SALU_CYCLE_1)
	v_cmp_le_i32_e32 vcc_lo, s17, v5
	s_or_b32 s6, s3, vcc_lo
	s_and_saveexec_b32 s7, s6
	s_delay_alu instid0(SALU_CYCLE_1)
	s_xor_b32 s6, exec_lo, s7
	s_cbranch_execz .LBB219_5
; %bb.4:                                ;   in Loop: Header=BB219_3 Depth=1
	v_mov_b32_e32 v5, v4
	ds_store_b64 v12, v[4:5]
.LBB219_5:                              ;   in Loop: Header=BB219_3 Depth=1
	s_and_not1_saveexec_b32 s6, s6
	s_cbranch_execz .LBB219_7
; %bb.6:                                ;   in Loop: Header=BB219_3 Depth=1
	global_load_b64 v[22:23], v[0:1], off
	s_waitcnt vmcnt(0)
	ds_store_b64 v12, v[22:23]
.LBB219_7:                              ;   in Loop: Header=BB219_3 Depth=1
	s_or_b32 exec_lo, exec_lo, s6
	v_add_nc_u32_e32 v5, s14, v8
	s_delay_alu instid0(VALU_DEP_1) | instskip(SKIP_1) | instid1(SALU_CYCLE_1)
	v_cmp_le_i32_e32 vcc_lo, s17, v5
	s_or_b32 s6, vcc_lo, s2
	s_and_saveexec_b32 s7, s6
	s_delay_alu instid0(SALU_CYCLE_1)
	s_xor_b32 s6, exec_lo, s7
	s_cbranch_execz .LBB219_9
; %bb.8:                                ;   in Loop: Header=BB219_3 Depth=1
	v_mov_b32_e32 v5, v4
	ds_store_b64 v13, v[4:5]
.LBB219_9:                              ;   in Loop: Header=BB219_3 Depth=1
	s_and_not1_saveexec_b32 s6, s6
	s_cbranch_execz .LBB219_2
; %bb.10:                               ;   in Loop: Header=BB219_3 Depth=1
	global_load_b64 v[22:23], v[2:3], off
	s_waitcnt vmcnt(0)
	ds_store_b64 v13, v[22:23]
	s_branch .LBB219_2
.LBB219_11:
	s_clause 0x2
	s_load_b32 s2, s[0:1], 0x50
	s_load_b64 s[6:7], s[0:1], 0x58
	s_load_b64 s[8:9], s[0:1], 0x48
	v_add_nc_u32_e32 v4, s13, v7
	v_add_nc_u32_e32 v0, s12, v6
	s_delay_alu instid0(VALU_DEP_2)
	v_cmp_gt_i32_e32 vcc_lo, s16, v4
	s_waitcnt lgkmcnt(0)
	v_mad_i64_i32 v[1:2], null, v4, s2, 0
	s_mul_i32 s1, s15, s7
	s_mul_hi_u32 s3, s15, s6
	s_mul_i32 s0, s15, s6
	s_add_i32 s1, s3, s1
	s_delay_alu instid0(SALU_CYCLE_1) | instskip(NEXT) | instid1(VALU_DEP_1)
	s_lshl_b64 s[6:7], s[0:1], 3
	v_lshlrev_b64 v[1:2], 3, v[1:2]
	s_add_u32 s3, s8, s6
	v_cmp_le_i32_e64 s0, v0, v4
	s_addc_u32 s6, s9, s7
	s_delay_alu instid0(VALU_DEP_2) | instskip(NEXT) | instid1(VALU_DEP_1)
	v_add_co_u32 v5, s1, s3, v1
	v_add_co_ci_u32_e64 v6, s1, s6, v2, s1
	s_delay_alu instid0(VALU_DEP_3) | instskip(NEXT) | instid1(SALU_CYCLE_1)
	s_and_b32 s0, vcc_lo, s0
	s_and_saveexec_b32 s1, s0
	s_cbranch_execz .LBB219_13
; %bb.12:
	v_ashrrev_i32_e32 v1, 31, v0
	v_mul_f32_e32 v2, s4, v21
	v_mul_f32_e32 v3, s5, v21
	s_delay_alu instid0(VALU_DEP_3) | instskip(NEXT) | instid1(VALU_DEP_3)
	v_lshlrev_b64 v[7:8], 3, v[0:1]
	v_fmac_f32_e32 v2, s5, v20
	s_delay_alu instid0(VALU_DEP_3) | instskip(NEXT) | instid1(VALU_DEP_3)
	v_fma_f32 v1, v20, s4, -v3
	v_add_co_u32 v7, s0, v5, v7
	s_delay_alu instid0(VALU_DEP_1)
	v_add_co_ci_u32_e64 v8, s0, v6, v8, s0
	global_store_b64 v[7:8], v[1:2], off
.LBB219_13:
	s_or_b32 exec_lo, exec_lo, s1
	v_add_nc_u32_e32 v2, 16, v0
	s_delay_alu instid0(VALU_DEP_1) | instskip(NEXT) | instid1(VALU_DEP_1)
	v_cmp_le_i32_e64 s0, v2, v4
	s_and_b32 s1, vcc_lo, s0
	s_delay_alu instid0(SALU_CYCLE_1)
	s_and_saveexec_b32 s0, s1
	s_cbranch_execz .LBB219_15
; %bb.14:
	v_ashrrev_i32_e32 v3, 31, v2
	v_mul_f32_e32 v8, s4, v19
	v_mul_f32_e32 v1, s5, v19
	s_delay_alu instid0(VALU_DEP_3) | instskip(NEXT) | instid1(VALU_DEP_3)
	v_lshlrev_b64 v[9:10], 3, v[2:3]
	v_fmac_f32_e32 v8, s5, v18
	s_delay_alu instid0(VALU_DEP_3) | instskip(NEXT) | instid1(VALU_DEP_3)
	v_fma_f32 v7, v18, s4, -v1
	v_add_co_u32 v5, vcc_lo, v5, v9
	s_delay_alu instid0(VALU_DEP_4)
	v_add_co_ci_u32_e32 v6, vcc_lo, v6, v10, vcc_lo
	global_store_b64 v[5:6], v[7:8], off
.LBB219_15:
	s_or_b32 exec_lo, exec_lo, s0
	v_add_nc_u32_e32 v3, 16, v4
	s_delay_alu instid0(VALU_DEP_1) | instskip(SKIP_2) | instid1(VALU_DEP_1)
	v_mad_i64_i32 v[4:5], null, v3, s2, 0
	v_cmp_gt_i32_e32 vcc_lo, s16, v3
	v_cmp_le_i32_e64 s0, v0, v3
	s_and_b32 s0, vcc_lo, s0
	s_delay_alu instid0(VALU_DEP_3) | instskip(NEXT) | instid1(VALU_DEP_1)
	v_lshlrev_b64 v[4:5], 3, v[4:5]
	v_add_co_u32 v4, s1, s3, v4
	s_delay_alu instid0(VALU_DEP_1)
	v_add_co_ci_u32_e64 v5, s1, s6, v5, s1
	s_and_saveexec_b32 s1, s0
	s_cbranch_execz .LBB219_17
; %bb.16:
	v_ashrrev_i32_e32 v1, 31, v0
	v_mul_f32_e32 v7, s4, v17
	v_mul_f32_e32 v6, s5, v17
	s_delay_alu instid0(VALU_DEP_3) | instskip(NEXT) | instid1(VALU_DEP_3)
	v_lshlrev_b64 v[0:1], 3, v[0:1]
	v_fmac_f32_e32 v7, s5, v16
	s_delay_alu instid0(VALU_DEP_3) | instskip(NEXT) | instid1(VALU_DEP_3)
	v_fma_f32 v6, v16, s4, -v6
	v_add_co_u32 v0, s0, v4, v0
	s_delay_alu instid0(VALU_DEP_1)
	v_add_co_ci_u32_e64 v1, s0, v5, v1, s0
	global_store_b64 v[0:1], v[6:7], off
.LBB219_17:
	s_or_b32 exec_lo, exec_lo, s1
	v_cmp_le_i32_e64 s0, v2, v3
	s_delay_alu instid0(VALU_DEP_1) | instskip(NEXT) | instid1(SALU_CYCLE_1)
	s_and_b32 s0, vcc_lo, s0
	s_and_saveexec_b32 s1, s0
	s_cbranch_execz .LBB219_19
; %bb.18:
	v_ashrrev_i32_e32 v3, 31, v2
	v_mul_f32_e32 v1, s4, v15
	v_mul_f32_e32 v0, s5, v15
	s_delay_alu instid0(VALU_DEP_3) | instskip(NEXT) | instid1(VALU_DEP_3)
	v_lshlrev_b64 v[2:3], 3, v[2:3]
	v_fmac_f32_e32 v1, s5, v14
	s_delay_alu instid0(VALU_DEP_3) | instskip(NEXT) | instid1(VALU_DEP_3)
	v_fma_f32 v0, v14, s4, -v0
	v_add_co_u32 v2, vcc_lo, v4, v2
	s_delay_alu instid0(VALU_DEP_4)
	v_add_co_ci_u32_e32 v3, vcc_lo, v5, v3, vcc_lo
	global_store_b64 v[2:3], v[0:1], off
.LBB219_19:
	s_nop 0
	s_sendmsg sendmsg(MSG_DEALLOC_VGPRS)
	s_endpgm
	.section	.rodata,"a",@progbits
	.p2align	6, 0x0
	.amdhsa_kernel _ZL34rocblas_syrkx_herkx_general_kernelIi19rocblas_complex_numIfELi16ELi32ELi8ELb1ELb0ELc84ELc85EKS1_S1_EviT_T0_PT8_S3_lS6_S3_lS4_PT9_S3_li
		.amdhsa_group_segment_fixed_size 4096
		.amdhsa_private_segment_fixed_size 0
		.amdhsa_kernarg_size 100
		.amdhsa_user_sgpr_count 13
		.amdhsa_user_sgpr_dispatch_ptr 0
		.amdhsa_user_sgpr_queue_ptr 0
		.amdhsa_user_sgpr_kernarg_segment_ptr 1
		.amdhsa_user_sgpr_dispatch_id 0
		.amdhsa_user_sgpr_private_segment_size 0
		.amdhsa_wavefront_size32 1
		.amdhsa_uses_dynamic_stack 0
		.amdhsa_enable_private_segment 0
		.amdhsa_system_sgpr_workgroup_id_x 1
		.amdhsa_system_sgpr_workgroup_id_y 1
		.amdhsa_system_sgpr_workgroup_id_z 1
		.amdhsa_system_sgpr_workgroup_info 0
		.amdhsa_system_vgpr_workitem_id 1
		.amdhsa_next_free_vgpr 59
		.amdhsa_next_free_sgpr 21
		.amdhsa_reserve_vcc 1
		.amdhsa_float_round_mode_32 0
		.amdhsa_float_round_mode_16_64 0
		.amdhsa_float_denorm_mode_32 3
		.amdhsa_float_denorm_mode_16_64 3
		.amdhsa_dx10_clamp 1
		.amdhsa_ieee_mode 1
		.amdhsa_fp16_overflow 0
		.amdhsa_workgroup_processor_mode 1
		.amdhsa_memory_ordered 1
		.amdhsa_forward_progress 0
		.amdhsa_shared_vgpr_count 0
		.amdhsa_exception_fp_ieee_invalid_op 0
		.amdhsa_exception_fp_denorm_src 0
		.amdhsa_exception_fp_ieee_div_zero 0
		.amdhsa_exception_fp_ieee_overflow 0
		.amdhsa_exception_fp_ieee_underflow 0
		.amdhsa_exception_fp_ieee_inexact 0
		.amdhsa_exception_int_div_zero 0
	.end_amdhsa_kernel
	.section	.text._ZL34rocblas_syrkx_herkx_general_kernelIi19rocblas_complex_numIfELi16ELi32ELi8ELb1ELb0ELc84ELc85EKS1_S1_EviT_T0_PT8_S3_lS6_S3_lS4_PT9_S3_li,"axG",@progbits,_ZL34rocblas_syrkx_herkx_general_kernelIi19rocblas_complex_numIfELi16ELi32ELi8ELb1ELb0ELc84ELc85EKS1_S1_EviT_T0_PT8_S3_lS6_S3_lS4_PT9_S3_li,comdat
.Lfunc_end219:
	.size	_ZL34rocblas_syrkx_herkx_general_kernelIi19rocblas_complex_numIfELi16ELi32ELi8ELb1ELb0ELc84ELc85EKS1_S1_EviT_T0_PT8_S3_lS6_S3_lS4_PT9_S3_li, .Lfunc_end219-_ZL34rocblas_syrkx_herkx_general_kernelIi19rocblas_complex_numIfELi16ELi32ELi8ELb1ELb0ELc84ELc85EKS1_S1_EviT_T0_PT8_S3_lS6_S3_lS4_PT9_S3_li
                                        ; -- End function
	.section	.AMDGPU.csdata,"",@progbits
; Kernel info:
; codeLenInByte = 2456
; NumSgprs: 23
; NumVgprs: 59
; ScratchSize: 0
; MemoryBound: 1
; FloatMode: 240
; IeeeMode: 1
; LDSByteSize: 4096 bytes/workgroup (compile time only)
; SGPRBlocks: 2
; VGPRBlocks: 7
; NumSGPRsForWavesPerEU: 23
; NumVGPRsForWavesPerEU: 59
; Occupancy: 16
; WaveLimiterHint : 0
; COMPUTE_PGM_RSRC2:SCRATCH_EN: 0
; COMPUTE_PGM_RSRC2:USER_SGPR: 13
; COMPUTE_PGM_RSRC2:TRAP_HANDLER: 0
; COMPUTE_PGM_RSRC2:TGID_X_EN: 1
; COMPUTE_PGM_RSRC2:TGID_Y_EN: 1
; COMPUTE_PGM_RSRC2:TGID_Z_EN: 1
; COMPUTE_PGM_RSRC2:TIDIG_COMP_CNT: 1
	.section	.text._ZL34rocblas_syrkx_herkx_general_kernelIi19rocblas_complex_numIfELi16ELi32ELi8ELb1ELb0ELc67ELc85EKS1_S1_EviT_T0_PT8_S3_lS6_S3_lS4_PT9_S3_li,"axG",@progbits,_ZL34rocblas_syrkx_herkx_general_kernelIi19rocblas_complex_numIfELi16ELi32ELi8ELb1ELb0ELc67ELc85EKS1_S1_EviT_T0_PT8_S3_lS6_S3_lS4_PT9_S3_li,comdat
	.globl	_ZL34rocblas_syrkx_herkx_general_kernelIi19rocblas_complex_numIfELi16ELi32ELi8ELb1ELb0ELc67ELc85EKS1_S1_EviT_T0_PT8_S3_lS6_S3_lS4_PT9_S3_li ; -- Begin function _ZL34rocblas_syrkx_herkx_general_kernelIi19rocblas_complex_numIfELi16ELi32ELi8ELb1ELb0ELc67ELc85EKS1_S1_EviT_T0_PT8_S3_lS6_S3_lS4_PT9_S3_li
	.p2align	8
	.type	_ZL34rocblas_syrkx_herkx_general_kernelIi19rocblas_complex_numIfELi16ELi32ELi8ELb1ELb0ELc67ELc85EKS1_S1_EviT_T0_PT8_S3_lS6_S3_lS4_PT9_S3_li,@function
_ZL34rocblas_syrkx_herkx_general_kernelIi19rocblas_complex_numIfELi16ELi32ELi8ELb1ELb0ELc67ELc85EKS1_S1_EviT_T0_PT8_S3_lS6_S3_lS4_PT9_S3_li: ; @_ZL34rocblas_syrkx_herkx_general_kernelIi19rocblas_complex_numIfELi16ELi32ELi8ELb1ELb0ELc67ELc85EKS1_S1_EviT_T0_PT8_S3_lS6_S3_lS4_PT9_S3_li
; %bb.0:
	s_clause 0x1
	s_load_b64 s[16:17], s[0:1], 0x0
	s_load_b128 s[4:7], s[0:1], 0x8
	v_dual_mov_b32 v22, 0 :: v_dual_and_b32 v7, 0x3ff, v0
	v_bfe_u32 v8, v0, 10, 10
	v_dual_mov_b32 v21, 0 :: v_dual_mov_b32 v20, 0
	v_dual_mov_b32 v19, 0 :: v_dual_mov_b32 v18, 0
	;; [unrolled: 1-line block ×3, first 2 shown]
	v_mov_b32_e32 v15, 0
	s_lshl_b32 s12, s13, 5
	s_lshl_b32 s13, s14, 5
	s_mov_b32 s14, 0
	s_waitcnt lgkmcnt(0)
	s_cmp_lt_i32 s17, 1
	s_cbranch_scc1 .LBB220_9
; %bb.1:
	s_load_b32 s2, s[0:1], 0x18
	v_lshl_add_u32 v0, v8, 4, v7
	s_clause 0x2
	s_load_b128 s[8:11], s[0:1], 0x20
	s_load_b32 s3, s[0:1], 0x30
	s_load_b64 s[18:19], s[0:1], 0x38
	v_and_b32_e32 v9, 7, v7
	v_dual_mov_b32 v17, 0 :: v_dual_lshlrev_b32 v10, 3, v7
	v_and_b32_e32 v2, 31, v0
	v_lshrrev_b32_e32 v1, 3, v0
	s_delay_alu instid0(VALU_DEP_4) | instskip(SKIP_1) | instid1(VALU_DEP_4)
	v_dual_mov_b32 v19, 0 :: v_dual_lshlrev_b32 v4, 3, v9
	v_lshrrev_b32_e32 v12, 5, v0
	v_dual_mov_b32 v18, 0 :: v_dual_add_nc_u32 v3, s12, v2
	s_delay_alu instid0(VALU_DEP_4) | instskip(NEXT) | instid1(VALU_DEP_4)
	v_dual_mov_b32 v16, 0 :: v_dual_add_nc_u32 v5, s13, v1
	v_lshl_or_b32 v14, v1, 6, v4
	v_or_b32_e32 v6, s12, v2
	v_dual_mov_b32 v21, 0 :: v_dual_lshlrev_b32 v2, 3, v2
	v_dual_mov_b32 v20, 0 :: v_dual_lshlrev_b32 v15, 3, v12
	s_waitcnt lgkmcnt(0)
	v_mad_i64_i32 v[0:1], null, s2, v3, 0
	s_mul_i32 s9, s9, s15
	s_mul_hi_u32 s20, s8, s15
	v_lshl_or_b32 v13, v12, 8, v2
	v_mad_i64_i32 v[2:3], null, s3, v5, 0
	s_mul_i32 s8, s8, s15
	s_delay_alu instid0(VALU_DEP_3)
	v_lshlrev_b64 v[0:1], 3, v[0:1]
	s_add_i32 s9, s20, s9
	v_cmp_gt_i32_e64 s2, s16, v5
	s_lshl_b64 s[8:9], s[8:9], 3
	v_cmp_gt_i32_e32 vcc_lo, s16, v6
	v_lshl_add_u32 v11, v8, 6, 0x800
	v_add_co_u32 v5, s3, v0, s8
	s_delay_alu instid0(VALU_DEP_1)
	v_add_co_ci_u32_e64 v6, s3, s9, v1, s3
	s_mul_i32 s3, s19, s15
	s_mul_hi_u32 s8, s18, s15
	v_lshlrev_b64 v[0:1], 3, v[2:3]
	s_add_i32 s9, s8, s3
	s_mul_i32 s8, s18, s15
	v_add_co_u32 v2, s3, v5, v15
	s_lshl_b64 s[8:9], s[8:9], 3
	v_add_co_ci_u32_e64 v3, s3, 0, v6, s3
	v_add_co_u32 v0, s3, v0, s8
	s_delay_alu instid0(VALU_DEP_1) | instskip(SKIP_1) | instid1(VALU_DEP_1)
	v_add_co_ci_u32_e64 v1, s3, s9, v1, s3
	v_add_co_u32 v2, s3, v2, s6
	v_add_co_ci_u32_e64 v3, s3, s7, v3, s3
	s_delay_alu instid0(VALU_DEP_4) | instskip(NEXT) | instid1(VALU_DEP_1)
	v_add_co_u32 v4, s3, v0, v4
	v_add_co_ci_u32_e64 v5, s3, 0, v1, s3
	s_delay_alu instid0(VALU_DEP_4) | instskip(NEXT) | instid1(VALU_DEP_1)
	v_add_co_u32 v0, s3, v2, 4
	v_add_co_ci_u32_e64 v1, s3, 0, v3, s3
	s_delay_alu instid0(VALU_DEP_4)
	v_add_co_u32 v2, s3, s10, v4
	v_add_nc_u32_e32 v14, 0x800, v14
	v_add_co_ci_u32_e64 v3, s3, s11, v5, s3
	v_dual_mov_b32 v4, 0 :: v_dual_mov_b32 v15, 0
	v_mov_b32_e32 v22, 0
	s_xor_b32 s3, s2, -1
	s_branch .LBB220_3
.LBB220_2:                              ;   in Loop: Header=BB220_3 Depth=1
	s_or_b32 exec_lo, exec_lo, s2
	s_waitcnt lgkmcnt(0)
	s_barrier
	buffer_gl0_inv
	ds_load_2addr_b64 v[23:26], v10 offset1:16
	ds_load_b128 v[27:30], v11
	ds_load_b128 v[31:34], v11 offset:1024
	ds_load_b128 v[35:38], v11 offset:16
	;; [unrolled: 1-line block ×4, first 2 shown]
	ds_load_2addr_b64 v[47:50], v10 offset0:32 offset1:48
	ds_load_b128 v[51:54], v11 offset:1040
	v_add_co_u32 v0, s2, v0, 64
	s_delay_alu instid0(VALU_DEP_1) | instskip(SKIP_1) | instid1(VALU_DEP_1)
	v_add_co_ci_u32_e64 v1, s2, 0, v1, s2
	v_add_co_u32 v2, s2, v2, 64
	v_add_co_ci_u32_e64 v3, s2, 0, v3, s2
	s_add_i32 s14, s14, 8
	s_delay_alu instid0(SALU_CYCLE_1)
	s_cmp_ge_i32 s14, s17
	s_waitcnt lgkmcnt(6)
	v_dual_mul_f32 v5, v28, v24 :: v_dual_mul_f32 v56, v27, v26
	v_dual_mul_f32 v6, v27, v24 :: v_dual_mul_f32 v55, v28, v26
	s_waitcnt lgkmcnt(5)
	v_mul_f32_e32 v57, v32, v24
	s_delay_alu instid0(VALU_DEP_3)
	v_fma_f32 v5, v27, v23, -v5
	v_fmac_f32_e32 v56, v28, v25
	v_fmac_f32_e32 v6, v28, v23
	v_fma_f32 v27, v27, v25, -v55
	v_mul_f32_e32 v58, v32, v26
	v_mul_f32_e32 v26, v31, v26
	v_fma_f32 v28, v31, v23, -v57
	v_dual_mul_f32 v24, v31, v24 :: v_dual_add_f32 v5, v21, v5
	s_delay_alu instid0(VALU_DEP_3) | instskip(NEXT) | instid1(VALU_DEP_3)
	v_dual_add_f32 v21, v19, v27 :: v_dual_fmac_f32 v26, v32, v25
	v_add_f32_e32 v27, v17, v28
	s_waitcnt lgkmcnt(1)
	v_mul_f32_e32 v28, v30, v48
	v_fmac_f32_e32 v24, v32, v23
	v_fma_f32 v23, v31, v25, -v58
	s_delay_alu instid0(VALU_DEP_3) | instskip(SKIP_1) | instid1(VALU_DEP_3)
	v_fma_f32 v25, v29, v47, -v28
	v_mul_f32_e32 v28, v30, v50
	v_dual_add_f32 v6, v22, v6 :: v_dual_add_f32 v15, v15, v23
	v_mul_f32_e32 v23, v29, v48
	s_delay_alu instid0(VALU_DEP_4) | instskip(NEXT) | instid1(VALU_DEP_4)
	v_dual_add_f32 v5, v5, v25 :: v_dual_add_f32 v22, v20, v56
	v_fma_f32 v25, v29, v49, -v28
	v_add_f32_e32 v24, v18, v24
	ds_load_2addr_b64 v[17:20], v10 offset0:64 offset1:80
	v_fmac_f32_e32 v23, v30, v47
	v_dual_mul_f32 v28, v34, v48 :: v_dual_add_f32 v25, v21, v25
	s_delay_alu instid0(VALU_DEP_2)
	v_dual_add_f32 v6, v6, v23 :: v_dual_mul_f32 v23, v33, v48
	v_add_f32_e32 v16, v16, v26
	v_mul_f32_e32 v26, v29, v50
	v_mul_f32_e32 v29, v33, v50
	v_fma_f32 v21, v33, v47, -v28
	v_fmac_f32_e32 v23, v34, v47
	s_delay_alu instid0(VALU_DEP_3) | instskip(SKIP_1) | instid1(VALU_DEP_4)
	v_fmac_f32_e32 v29, v34, v49
	v_fmac_f32_e32 v26, v30, v49
	v_add_f32_e32 v27, v27, v21
	s_delay_alu instid0(VALU_DEP_2) | instskip(SKIP_2) | instid1(VALU_DEP_1)
	v_dual_add_f32 v29, v16, v29 :: v_dual_add_f32 v26, v22, v26
	s_waitcnt lgkmcnt(0)
	v_mul_f32_e32 v22, v36, v18
	v_fma_f32 v31, v35, v17, -v22
	s_delay_alu instid0(VALU_DEP_1) | instskip(NEXT) | instid1(VALU_DEP_1)
	v_dual_add_f32 v5, v5, v31 :: v_dual_mul_f32 v32, v36, v20
	v_fma_f32 v31, v35, v19, -v32
	s_delay_alu instid0(VALU_DEP_1) | instskip(NEXT) | instid1(VALU_DEP_1)
	v_dual_mul_f32 v28, v34, v50 :: v_dual_add_f32 v25, v25, v31
	v_fma_f32 v21, v33, v49, -v28
	v_add_f32_e32 v28, v24, v23
	v_mul_f32_e32 v16, v35, v20
	v_mul_f32_e32 v31, v52, v20
	;; [unrolled: 1-line block ×3, first 2 shown]
	v_add_f32_e32 v15, v15, v21
	ds_load_2addr_b64 v[21:24], v10 offset0:96 offset1:112
	v_mul_f32_e32 v30, v35, v18
	v_fmac_f32_e32 v16, v36, v19
	v_fmac_f32_e32 v20, v52, v19
	s_delay_alu instid0(VALU_DEP_3) | instskip(NEXT) | instid1(VALU_DEP_3)
	v_fmac_f32_e32 v30, v36, v17
	v_add_f32_e32 v32, v26, v16
	s_delay_alu instid0(VALU_DEP_3) | instskip(SKIP_1) | instid1(VALU_DEP_4)
	v_add_f32_e32 v29, v29, v20
	v_fma_f32 v16, v51, v19, -v31
	v_add_f32_e32 v6, v6, v30
	s_delay_alu instid0(VALU_DEP_2) | instskip(SKIP_3) | instid1(VALU_DEP_3)
	v_dual_mul_f32 v30, v52, v18 :: v_dual_add_f32 v33, v15, v16
	s_waitcnt lgkmcnt(0)
	v_mul_f32_e32 v35, v54, v24
	v_mul_f32_e32 v20, v37, v24
	v_fma_f32 v30, v51, v17, -v30
	v_mul_f32_e32 v19, v38, v22
	s_delay_alu instid0(VALU_DEP_3) | instskip(NEXT) | instid1(VALU_DEP_2)
	v_fmac_f32_e32 v20, v38, v23
	v_fma_f32 v19, v37, v21, -v19
	s_delay_alu instid0(VALU_DEP_2) | instskip(SKIP_2) | instid1(VALU_DEP_4)
	v_add_f32_e32 v36, v32, v20
	v_fma_f32 v20, v53, v23, -v35
	v_dual_add_f32 v30, v27, v30 :: v_dual_mul_f32 v27, v38, v24
	v_add_f32_e32 v5, v5, v19
	v_dual_mul_f32 v19, v54, v22 :: v_dual_mul_f32 v24, v53, v24
	s_delay_alu instid0(VALU_DEP_3) | instskip(NEXT) | instid1(VALU_DEP_2)
	v_fma_f32 v27, v37, v23, -v27
	v_fma_f32 v19, v53, v21, -v19
	s_delay_alu instid0(VALU_DEP_3) | instskip(SKIP_1) | instid1(VALU_DEP_4)
	v_dual_fmac_f32 v24, v54, v23 :: v_dual_add_f32 v23, v33, v20
	v_mul_f32_e32 v18, v51, v18
	v_add_f32_e32 v34, v25, v27
	v_mul_f32_e32 v26, v37, v22
	v_dual_mul_f32 v22, v53, v22 :: v_dual_add_f32 v35, v30, v19
	v_add_f32_e32 v24, v29, v24
	s_delay_alu instid0(VALU_DEP_2) | instskip(SKIP_1) | instid1(VALU_DEP_1)
	v_fmac_f32_e32 v22, v54, v21
	v_fmac_f32_e32 v18, v52, v17
	v_add_f32_e32 v31, v28, v18
	ds_load_2addr_b64 v[15:18], v10 offset0:128 offset1:144
	v_add_f32_e32 v37, v31, v22
	s_waitcnt lgkmcnt(0)
	v_mul_f32_e32 v19, v40, v16
	v_mul_f32_e32 v31, v40, v18
	;; [unrolled: 1-line block ×3, first 2 shown]
	s_delay_alu instid0(VALU_DEP_3)
	v_fma_f32 v30, v39, v15, -v19
	v_fmac_f32_e32 v26, v38, v21
	ds_load_2addr_b64 v[19:22], v10 offset0:160 offset1:176
	v_mul_f32_e32 v38, v39, v18
	v_fma_f32 v39, v39, v17, -v31
	v_add_f32_e32 v5, v5, v30
	v_add_f32_e32 v6, v6, v26
	ds_load_b128 v[25:28], v11 offset:1056
	ds_load_b128 v[29:32], v11 offset:1072
	v_fmac_f32_e32 v38, v40, v17
	v_fmac_f32_e32 v33, v40, v15
	s_delay_alu instid0(VALU_DEP_2) | instskip(SKIP_3) | instid1(VALU_DEP_2)
	v_add_f32_e32 v36, v36, v38
	s_waitcnt lgkmcnt(1)
	v_dual_mul_f32 v38, v25, v18 :: v_dual_mul_f32 v47, v26, v16
	v_mul_f32_e32 v16, v25, v16
	v_fmac_f32_e32 v38, v26, v17
	s_delay_alu instid0(VALU_DEP_1) | instskip(SKIP_1) | instid1(VALU_DEP_1)
	v_add_f32_e32 v38, v24, v38
	v_mul_f32_e32 v24, v41, v22
	v_fmac_f32_e32 v24, v42, v21
	v_add_f32_e32 v6, v6, v33
	v_add_f32_e32 v33, v34, v39
	v_fma_f32 v34, v25, v15, -v47
	v_mul_f32_e32 v39, v26, v18
	v_mul_f32_e32 v18, v42, v20
	s_delay_alu instid0(VALU_DEP_3) | instskip(NEXT) | instid1(VALU_DEP_2)
	v_add_f32_e32 v34, v35, v34
	v_fma_f32 v35, v41, v19, -v18
	s_delay_alu instid0(VALU_DEP_1) | instskip(SKIP_3) | instid1(VALU_DEP_3)
	v_add_f32_e32 v5, v5, v35
	v_fmac_f32_e32 v16, v26, v15
	v_fma_f32 v15, v25, v17, -v39
	v_mul_f32_e32 v26, v41, v20
	v_add_f32_e32 v25, v37, v16
	s_delay_alu instid0(VALU_DEP_3) | instskip(SKIP_3) | instid1(VALU_DEP_2)
	v_add_f32_e32 v23, v23, v15
	ds_load_2addr_b64 v[15:18], v10 offset0:192 offset1:208
	v_mul_f32_e32 v37, v42, v22
	v_fmac_f32_e32 v26, v42, v19
	v_fma_f32 v35, v41, v21, -v37
	s_delay_alu instid0(VALU_DEP_2) | instskip(SKIP_1) | instid1(VALU_DEP_3)
	v_add_f32_e32 v6, v6, v26
	v_mul_f32_e32 v26, v28, v20
	v_dual_mul_f32 v20, v27, v20 :: v_dual_add_f32 v33, v33, v35
	v_mul_f32_e32 v35, v28, v22
	s_delay_alu instid0(VALU_DEP_3) | instskip(NEXT) | instid1(VALU_DEP_3)
	v_fma_f32 v26, v27, v19, -v26
	v_fmac_f32_e32 v20, v28, v19
	v_dual_add_f32 v19, v36, v24 :: v_dual_mul_f32 v22, v27, v22
	s_delay_alu instid0(VALU_DEP_4) | instskip(NEXT) | instid1(VALU_DEP_3)
	v_fma_f32 v24, v27, v21, -v35
	v_dual_add_f32 v27, v34, v26 :: v_dual_add_f32 v20, v25, v20
	s_waitcnt lgkmcnt(0)
	v_mul_f32_e32 v34, v44, v16
	s_delay_alu instid0(VALU_DEP_3)
	v_dual_fmac_f32 v22, v28, v21 :: v_dual_add_f32 v21, v23, v24
	ds_load_2addr_b64 v[23:26], v10 offset0:224 offset1:240
	v_mul_f32_e32 v28, v43, v16
	v_fma_f32 v34, v43, v15, -v34
	v_mul_f32_e32 v35, v44, v18
	v_mul_f32_e32 v36, v43, v18
	s_waitcnt lgkmcnt(0)
	s_delay_alu instid0(VALU_DEP_3) | instskip(SKIP_3) | instid1(VALU_DEP_4)
	v_dual_fmac_f32 v28, v44, v15 :: v_dual_add_f32 v5, v5, v34
	v_mul_f32_e32 v34, v30, v16
	v_fma_f32 v35, v43, v17, -v35
	v_fmac_f32_e32 v36, v44, v17
	v_add_f32_e32 v6, v6, v28
	v_mul_f32_e32 v16, v29, v16
	v_fma_f32 v28, v29, v15, -v34
	v_dual_mul_f32 v34, v30, v18 :: v_dual_add_f32 v33, v33, v35
	s_delay_alu instid0(VALU_DEP_3) | instskip(NEXT) | instid1(VALU_DEP_3)
	v_dual_add_f32 v35, v19, v36 :: v_dual_fmac_f32 v16, v30, v15
	v_dual_add_f32 v15, v27, v28 :: v_dual_mul_f32 v18, v29, v18
	s_delay_alu instid0(VALU_DEP_3) | instskip(SKIP_3) | instid1(VALU_DEP_4)
	v_fma_f32 v19, v29, v17, -v34
	v_mul_f32_e32 v27, v46, v24
	v_mul_f32_e32 v28, v45, v24
	v_add_f32_e32 v16, v20, v16
	v_dual_fmac_f32 v18, v30, v17 :: v_dual_add_f32 v29, v21, v19
	s_delay_alu instid0(VALU_DEP_4)
	v_fma_f32 v17, v45, v23, -v27
	v_mul_f32_e32 v19, v46, v26
	v_fmac_f32_e32 v28, v46, v23
	v_mul_f32_e32 v20, v45, v26
	s_barrier
	v_add_f32_e32 v21, v5, v17
	v_mul_f32_e32 v17, v32, v26
	v_fma_f32 v5, v45, v25, -v19
	v_fmac_f32_e32 v20, v46, v25
	buffer_gl0_inv
	v_dual_add_f32 v19, v33, v5 :: v_dual_add_f32 v22, v38, v22
	s_delay_alu instid0(VALU_DEP_1) | instskip(SKIP_4) | instid1(VALU_DEP_3)
	v_dual_add_f32 v20, v35, v20 :: v_dual_add_f32 v27, v22, v18
	v_add_f32_e32 v22, v6, v28
	v_mul_f32_e32 v6, v32, v24
	v_mul_f32_e32 v18, v31, v24
	;; [unrolled: 1-line block ×3, first 2 shown]
	v_fma_f32 v5, v31, v23, -v6
	s_delay_alu instid0(VALU_DEP_3) | instskip(SKIP_1) | instid1(VALU_DEP_4)
	v_fmac_f32_e32 v18, v32, v23
	v_fma_f32 v6, v31, v25, -v17
	v_fmac_f32_e32 v24, v32, v25
	s_delay_alu instid0(VALU_DEP_3) | instskip(NEXT) | instid1(VALU_DEP_2)
	v_dual_add_f32 v17, v15, v5 :: v_dual_add_f32 v18, v16, v18
	v_dual_add_f32 v15, v29, v6 :: v_dual_add_f32 v16, v27, v24
	s_cbranch_scc1 .LBB220_9
.LBB220_3:                              ; =>This Inner Loop Header: Depth=1
	v_dual_mov_b32 v6, 0 :: v_dual_add_nc_u32 v5, s14, v12
	s_delay_alu instid0(VALU_DEP_1) | instskip(SKIP_1) | instid1(VALU_DEP_2)
	v_cmp_gt_i32_e64 s2, s17, v5
	v_mov_b32_e32 v5, 0
	s_and_b32 s6, vcc_lo, s2
	s_delay_alu instid0(SALU_CYCLE_1)
	s_and_saveexec_b32 s2, s6
	s_cbranch_execz .LBB220_5
; %bb.4:                                ;   in Loop: Header=BB220_3 Depth=1
	global_load_b64 v[5:6], v[0:1], off offset:-4
.LBB220_5:                              ;   in Loop: Header=BB220_3 Depth=1
	s_or_b32 exec_lo, exec_lo, s2
	v_add_nc_u32_e32 v23, s14, v9
	s_waitcnt vmcnt(0)
	ds_store_b64 v13, v[5:6]
	v_cmp_le_i32_e64 s2, s17, v23
	s_delay_alu instid0(VALU_DEP_1) | instskip(NEXT) | instid1(SALU_CYCLE_1)
	s_or_b32 s2, s2, s3
	s_and_saveexec_b32 s6, s2
	s_delay_alu instid0(SALU_CYCLE_1)
	s_xor_b32 s2, exec_lo, s6
	s_cbranch_execz .LBB220_7
; %bb.6:                                ;   in Loop: Header=BB220_3 Depth=1
	v_mov_b32_e32 v5, v4
	ds_store_b64 v14, v[4:5]
.LBB220_7:                              ;   in Loop: Header=BB220_3 Depth=1
	s_and_not1_saveexec_b32 s2, s2
	s_cbranch_execz .LBB220_2
; %bb.8:                                ;   in Loop: Header=BB220_3 Depth=1
	global_load_b64 v[5:6], v[2:3], off
	s_waitcnt vmcnt(0)
	ds_store_b64 v14, v[5:6]
	s_branch .LBB220_2
.LBB220_9:
	s_clause 0x2
	s_load_b32 s2, s[0:1], 0x50
	s_load_b64 s[6:7], s[0:1], 0x58
	s_load_b64 s[8:9], s[0:1], 0x48
	v_add_nc_u32_e32 v4, s13, v8
	v_add_nc_u32_e32 v0, s12, v7
	s_delay_alu instid0(VALU_DEP_2)
	v_cmp_gt_i32_e32 vcc_lo, s16, v4
	s_waitcnt lgkmcnt(0)
	v_mad_i64_i32 v[1:2], null, v4, s2, 0
	s_mul_i32 s1, s15, s7
	s_mul_hi_u32 s3, s15, s6
	s_mul_i32 s0, s15, s6
	s_add_i32 s1, s3, s1
	s_delay_alu instid0(SALU_CYCLE_1) | instskip(NEXT) | instid1(VALU_DEP_1)
	s_lshl_b64 s[6:7], s[0:1], 3
	v_lshlrev_b64 v[1:2], 3, v[1:2]
	s_add_u32 s3, s8, s6
	v_cmp_le_i32_e64 s0, v0, v4
	s_addc_u32 s6, s9, s7
	s_delay_alu instid0(VALU_DEP_2) | instskip(NEXT) | instid1(VALU_DEP_1)
	v_add_co_u32 v5, s1, s3, v1
	v_add_co_ci_u32_e64 v6, s1, s6, v2, s1
	s_delay_alu instid0(VALU_DEP_3) | instskip(NEXT) | instid1(SALU_CYCLE_1)
	s_and_b32 s0, vcc_lo, s0
	s_and_saveexec_b32 s1, s0
	s_cbranch_execz .LBB220_11
; %bb.10:
	v_ashrrev_i32_e32 v1, 31, v0
	v_mul_f32_e32 v2, s4, v22
	v_mul_f32_e32 v3, s5, v22
	s_delay_alu instid0(VALU_DEP_3) | instskip(NEXT) | instid1(VALU_DEP_3)
	v_lshlrev_b64 v[7:8], 3, v[0:1]
	v_fmac_f32_e32 v2, s5, v21
	s_delay_alu instid0(VALU_DEP_3) | instskip(NEXT) | instid1(VALU_DEP_3)
	v_fma_f32 v1, v21, s4, -v3
	v_add_co_u32 v7, s0, v5, v7
	s_delay_alu instid0(VALU_DEP_1)
	v_add_co_ci_u32_e64 v8, s0, v6, v8, s0
	global_store_b64 v[7:8], v[1:2], off
.LBB220_11:
	s_or_b32 exec_lo, exec_lo, s1
	v_add_nc_u32_e32 v2, 16, v0
	s_delay_alu instid0(VALU_DEP_1) | instskip(NEXT) | instid1(VALU_DEP_1)
	v_cmp_le_i32_e64 s0, v2, v4
	s_and_b32 s1, vcc_lo, s0
	s_delay_alu instid0(SALU_CYCLE_1)
	s_and_saveexec_b32 s0, s1
	s_cbranch_execz .LBB220_13
; %bb.12:
	v_ashrrev_i32_e32 v3, 31, v2
	v_mul_f32_e32 v8, s4, v20
	v_mul_f32_e32 v1, s5, v20
	s_delay_alu instid0(VALU_DEP_3) | instskip(NEXT) | instid1(VALU_DEP_3)
	v_lshlrev_b64 v[9:10], 3, v[2:3]
	v_fmac_f32_e32 v8, s5, v19
	s_delay_alu instid0(VALU_DEP_3) | instskip(NEXT) | instid1(VALU_DEP_3)
	v_fma_f32 v7, v19, s4, -v1
	v_add_co_u32 v5, vcc_lo, v5, v9
	s_delay_alu instid0(VALU_DEP_4)
	v_add_co_ci_u32_e32 v6, vcc_lo, v6, v10, vcc_lo
	global_store_b64 v[5:6], v[7:8], off
.LBB220_13:
	s_or_b32 exec_lo, exec_lo, s0
	v_add_nc_u32_e32 v3, 16, v4
	s_delay_alu instid0(VALU_DEP_1) | instskip(SKIP_2) | instid1(VALU_DEP_1)
	v_mad_i64_i32 v[4:5], null, v3, s2, 0
	v_cmp_gt_i32_e32 vcc_lo, s16, v3
	v_cmp_le_i32_e64 s0, v0, v3
	s_and_b32 s0, vcc_lo, s0
	s_delay_alu instid0(VALU_DEP_3) | instskip(NEXT) | instid1(VALU_DEP_1)
	v_lshlrev_b64 v[4:5], 3, v[4:5]
	v_add_co_u32 v4, s1, s3, v4
	s_delay_alu instid0(VALU_DEP_1)
	v_add_co_ci_u32_e64 v5, s1, s6, v5, s1
	s_and_saveexec_b32 s1, s0
	s_cbranch_execz .LBB220_15
; %bb.14:
	v_ashrrev_i32_e32 v1, 31, v0
	v_mul_f32_e32 v7, s4, v18
	v_mul_f32_e32 v6, s5, v18
	s_delay_alu instid0(VALU_DEP_3) | instskip(NEXT) | instid1(VALU_DEP_3)
	v_lshlrev_b64 v[0:1], 3, v[0:1]
	v_fmac_f32_e32 v7, s5, v17
	s_delay_alu instid0(VALU_DEP_3) | instskip(NEXT) | instid1(VALU_DEP_3)
	v_fma_f32 v6, v17, s4, -v6
	v_add_co_u32 v0, s0, v4, v0
	s_delay_alu instid0(VALU_DEP_1)
	v_add_co_ci_u32_e64 v1, s0, v5, v1, s0
	global_store_b64 v[0:1], v[6:7], off
.LBB220_15:
	s_or_b32 exec_lo, exec_lo, s1
	v_cmp_le_i32_e64 s0, v2, v3
	s_delay_alu instid0(VALU_DEP_1) | instskip(NEXT) | instid1(SALU_CYCLE_1)
	s_and_b32 s0, vcc_lo, s0
	s_and_saveexec_b32 s1, s0
	s_cbranch_execz .LBB220_17
; %bb.16:
	v_ashrrev_i32_e32 v3, 31, v2
	v_mul_f32_e32 v1, s4, v16
	v_mul_f32_e32 v0, s5, v16
	s_delay_alu instid0(VALU_DEP_3) | instskip(NEXT) | instid1(VALU_DEP_3)
	v_lshlrev_b64 v[2:3], 3, v[2:3]
	v_fmac_f32_e32 v1, s5, v15
	s_delay_alu instid0(VALU_DEP_3) | instskip(NEXT) | instid1(VALU_DEP_3)
	v_fma_f32 v0, v15, s4, -v0
	v_add_co_u32 v2, vcc_lo, v4, v2
	s_delay_alu instid0(VALU_DEP_4)
	v_add_co_ci_u32_e32 v3, vcc_lo, v5, v3, vcc_lo
	global_store_b64 v[2:3], v[0:1], off
.LBB220_17:
	s_nop 0
	s_sendmsg sendmsg(MSG_DEALLOC_VGPRS)
	s_endpgm
	.section	.rodata,"a",@progbits
	.p2align	6, 0x0
	.amdhsa_kernel _ZL34rocblas_syrkx_herkx_general_kernelIi19rocblas_complex_numIfELi16ELi32ELi8ELb1ELb0ELc67ELc85EKS1_S1_EviT_T0_PT8_S3_lS6_S3_lS4_PT9_S3_li
		.amdhsa_group_segment_fixed_size 4096
		.amdhsa_private_segment_fixed_size 0
		.amdhsa_kernarg_size 100
		.amdhsa_user_sgpr_count 13
		.amdhsa_user_sgpr_dispatch_ptr 0
		.amdhsa_user_sgpr_queue_ptr 0
		.amdhsa_user_sgpr_kernarg_segment_ptr 1
		.amdhsa_user_sgpr_dispatch_id 0
		.amdhsa_user_sgpr_private_segment_size 0
		.amdhsa_wavefront_size32 1
		.amdhsa_uses_dynamic_stack 0
		.amdhsa_enable_private_segment 0
		.amdhsa_system_sgpr_workgroup_id_x 1
		.amdhsa_system_sgpr_workgroup_id_y 1
		.amdhsa_system_sgpr_workgroup_id_z 1
		.amdhsa_system_sgpr_workgroup_info 0
		.amdhsa_system_vgpr_workitem_id 1
		.amdhsa_next_free_vgpr 59
		.amdhsa_next_free_sgpr 21
		.amdhsa_reserve_vcc 1
		.amdhsa_float_round_mode_32 0
		.amdhsa_float_round_mode_16_64 0
		.amdhsa_float_denorm_mode_32 3
		.amdhsa_float_denorm_mode_16_64 3
		.amdhsa_dx10_clamp 1
		.amdhsa_ieee_mode 1
		.amdhsa_fp16_overflow 0
		.amdhsa_workgroup_processor_mode 1
		.amdhsa_memory_ordered 1
		.amdhsa_forward_progress 0
		.amdhsa_shared_vgpr_count 0
		.amdhsa_exception_fp_ieee_invalid_op 0
		.amdhsa_exception_fp_denorm_src 0
		.amdhsa_exception_fp_ieee_div_zero 0
		.amdhsa_exception_fp_ieee_overflow 0
		.amdhsa_exception_fp_ieee_underflow 0
		.amdhsa_exception_fp_ieee_inexact 0
		.amdhsa_exception_int_div_zero 0
	.end_amdhsa_kernel
	.section	.text._ZL34rocblas_syrkx_herkx_general_kernelIi19rocblas_complex_numIfELi16ELi32ELi8ELb1ELb0ELc67ELc85EKS1_S1_EviT_T0_PT8_S3_lS6_S3_lS4_PT9_S3_li,"axG",@progbits,_ZL34rocblas_syrkx_herkx_general_kernelIi19rocblas_complex_numIfELi16ELi32ELi8ELb1ELb0ELc67ELc85EKS1_S1_EviT_T0_PT8_S3_lS6_S3_lS4_PT9_S3_li,comdat
.Lfunc_end220:
	.size	_ZL34rocblas_syrkx_herkx_general_kernelIi19rocblas_complex_numIfELi16ELi32ELi8ELb1ELb0ELc67ELc85EKS1_S1_EviT_T0_PT8_S3_lS6_S3_lS4_PT9_S3_li, .Lfunc_end220-_ZL34rocblas_syrkx_herkx_general_kernelIi19rocblas_complex_numIfELi16ELi32ELi8ELb1ELb0ELc67ELc85EKS1_S1_EviT_T0_PT8_S3_lS6_S3_lS4_PT9_S3_li
                                        ; -- End function
	.section	.AMDGPU.csdata,"",@progbits
; Kernel info:
; codeLenInByte = 2472
; NumSgprs: 23
; NumVgprs: 59
; ScratchSize: 0
; MemoryBound: 1
; FloatMode: 240
; IeeeMode: 1
; LDSByteSize: 4096 bytes/workgroup (compile time only)
; SGPRBlocks: 2
; VGPRBlocks: 7
; NumSGPRsForWavesPerEU: 23
; NumVGPRsForWavesPerEU: 59
; Occupancy: 16
; WaveLimiterHint : 0
; COMPUTE_PGM_RSRC2:SCRATCH_EN: 0
; COMPUTE_PGM_RSRC2:USER_SGPR: 13
; COMPUTE_PGM_RSRC2:TRAP_HANDLER: 0
; COMPUTE_PGM_RSRC2:TGID_X_EN: 1
; COMPUTE_PGM_RSRC2:TGID_Y_EN: 1
; COMPUTE_PGM_RSRC2:TGID_Z_EN: 1
; COMPUTE_PGM_RSRC2:TIDIG_COMP_CNT: 1
	.section	.text._ZL34rocblas_syrkx_herkx_general_kernelIi19rocblas_complex_numIfELi16ELi32ELi8ELb1ELb0ELc78ELc85EKS1_S1_EviT_T0_PT8_S3_lS6_S3_lS4_PT9_S3_li,"axG",@progbits,_ZL34rocblas_syrkx_herkx_general_kernelIi19rocblas_complex_numIfELi16ELi32ELi8ELb1ELb0ELc78ELc85EKS1_S1_EviT_T0_PT8_S3_lS6_S3_lS4_PT9_S3_li,comdat
	.globl	_ZL34rocblas_syrkx_herkx_general_kernelIi19rocblas_complex_numIfELi16ELi32ELi8ELb1ELb0ELc78ELc85EKS1_S1_EviT_T0_PT8_S3_lS6_S3_lS4_PT9_S3_li ; -- Begin function _ZL34rocblas_syrkx_herkx_general_kernelIi19rocblas_complex_numIfELi16ELi32ELi8ELb1ELb0ELc78ELc85EKS1_S1_EviT_T0_PT8_S3_lS6_S3_lS4_PT9_S3_li
	.p2align	8
	.type	_ZL34rocblas_syrkx_herkx_general_kernelIi19rocblas_complex_numIfELi16ELi32ELi8ELb1ELb0ELc78ELc85EKS1_S1_EviT_T0_PT8_S3_lS6_S3_lS4_PT9_S3_li,@function
_ZL34rocblas_syrkx_herkx_general_kernelIi19rocblas_complex_numIfELi16ELi32ELi8ELb1ELb0ELc78ELc85EKS1_S1_EviT_T0_PT8_S3_lS6_S3_lS4_PT9_S3_li: ; @_ZL34rocblas_syrkx_herkx_general_kernelIi19rocblas_complex_numIfELi16ELi32ELi8ELb1ELb0ELc78ELc85EKS1_S1_EviT_T0_PT8_S3_lS6_S3_lS4_PT9_S3_li
; %bb.0:
	s_clause 0x1
	s_load_b64 s[16:17], s[0:1], 0x0
	s_load_b128 s[4:7], s[0:1], 0x8
	v_dual_mov_b32 v22, 0 :: v_dual_and_b32 v7, 0x3ff, v0
	v_bfe_u32 v8, v0, 10, 10
	v_dual_mov_b32 v21, 0 :: v_dual_mov_b32 v20, 0
	v_dual_mov_b32 v19, 0 :: v_dual_mov_b32 v18, 0
	;; [unrolled: 1-line block ×3, first 2 shown]
	v_mov_b32_e32 v15, 0
	s_lshl_b32 s20, s13, 5
	s_lshl_b32 s14, s14, 5
	s_mov_b32 s21, 0
	s_waitcnt lgkmcnt(0)
	s_cmp_lt_i32 s17, 1
	s_cbranch_scc1 .LBB221_9
; %bb.1:
	s_clause 0x1
	s_load_b32 s12, s[0:1], 0x30
	s_load_b32 s18, s[0:1], 0x18
	v_lshl_add_u32 v0, v8, 4, v7
	s_clause 0x1
	s_load_b128 s[8:11], s[0:1], 0x20
	s_load_b64 s[22:23], s[0:1], 0x38
	v_and_b32_e32 v9, 7, v7
	v_dual_mov_b32 v18, 0 :: v_dual_lshlrev_b32 v13, 3, v7
	v_and_b32_e32 v4, 31, v0
	v_lshrrev_b32_e32 v1, 3, v0
	s_delay_alu instid0(VALU_DEP_4)
	v_lshlrev_b32_e32 v2, 3, v9
	v_lshrrev_b32_e32 v10, 5, v0
	v_mov_b32_e32 v19, 0
	v_or_b32_e32 v3, s20, v4
	v_add_nc_u32_e32 v0, s14, v1
	v_lshl_or_b32 v1, v1, 6, v2
	v_lshlrev_b32_e32 v5, 3, v4
	v_add_nc_u32_e32 v4, s20, v4
	v_cmp_gt_i32_e64 s2, s16, v3
	v_cmp_gt_i32_e32 vcc_lo, s16, v0
	v_dual_mov_b32 v21, 0 :: v_dual_add_nc_u32 v12, 0x800, v1
	s_waitcnt lgkmcnt(0)
	v_mad_i64_i32 v[2:3], null, v10, s18, 0
	v_lshl_or_b32 v11, v10, 8, v5
	s_mul_i32 s3, s9, s15
	s_mul_hi_u32 s9, s8, s15
	v_mad_i64_i32 v[5:6], null, s12, v9, 0
	s_add_i32 s9, s9, s3
	s_delay_alu instid0(VALU_DEP_3)
	v_lshlrev_b64 v[2:3], 3, v[2:3]
	s_mul_i32 s8, s8, s15
	v_ashrrev_i32_e32 v1, 31, v0
	s_lshl_b64 s[8:9], s[8:9], 3
	s_mul_i32 s23, s23, s15
	s_mul_hi_u32 s24, s22, s15
	v_add_co_u32 v15, s3, v2, s8
	s_delay_alu instid0(VALU_DEP_1)
	v_add_co_ci_u32_e64 v16, s3, s9, v3, s3
	v_lshlrev_b64 v[2:3], 3, v[5:6]
	s_add_i32 s9, s24, s23
	s_mul_i32 s8, s22, s15
	v_ashrrev_i32_e32 v5, 31, v4
	s_lshl_b64 s[8:9], s[8:9], 3
	v_lshlrev_b64 v[0:1], 3, v[0:1]
	v_add_co_u32 v6, s3, s8, v2
	s_delay_alu instid0(VALU_DEP_1) | instskip(SKIP_1) | instid1(VALU_DEP_3)
	v_add_co_ci_u32_e64 v17, s3, s9, v3, s3
	v_lshlrev_b64 v[2:3], 3, v[4:5]
	v_add_co_u32 v0, s3, v6, v0
	s_delay_alu instid0(VALU_DEP_1) | instskip(SKIP_1) | instid1(VALU_DEP_4)
	v_add_co_ci_u32_e64 v1, s3, v17, v1, s3
	v_lshl_add_u32 v14, v8, 6, 0x800
	v_add_co_u32 v2, s3, v15, v2
	s_delay_alu instid0(VALU_DEP_1) | instskip(SKIP_1) | instid1(VALU_DEP_1)
	v_add_co_ci_u32_e64 v3, s3, v16, v3, s3
	v_add_co_u32 v4, s3, v0, s10
	v_add_co_ci_u32_e64 v5, s3, s11, v1, s3
	s_delay_alu instid0(VALU_DEP_4) | instskip(NEXT) | instid1(VALU_DEP_1)
	v_add_co_u32 v0, s3, s6, v2
	v_add_co_ci_u32_e64 v1, s3, s7, v3, s3
	s_delay_alu instid0(VALU_DEP_4) | instskip(NEXT) | instid1(VALU_DEP_1)
	v_add_co_u32 v2, s3, v4, 4
	v_add_co_ci_u32_e64 v3, s3, 0, v5, s3
	v_mov_b32_e32 v4, 0
	v_dual_mov_b32 v16, 0 :: v_dual_mov_b32 v15, 0
	v_dual_mov_b32 v17, 0 :: v_dual_mov_b32 v20, 0
	v_mov_b32_e32 v22, 0
	s_ashr_i32 s19, s18, 31
	s_ashr_i32 s13, s12, 31
	s_lshl_b64 s[6:7], s[18:19], 6
	s_lshl_b64 s[8:9], s[12:13], 6
	s_xor_b32 s3, s2, -1
	s_branch .LBB221_3
.LBB221_2:                              ;   in Loop: Header=BB221_3 Depth=1
	s_or_b32 exec_lo, exec_lo, s2
	s_waitcnt vmcnt(0)
	ds_store_b64 v12, v[5:6]
	s_waitcnt lgkmcnt(0)
	s_barrier
	buffer_gl0_inv
	ds_load_2addr_b64 v[23:26], v13 offset1:16
	ds_load_b128 v[27:30], v14
	ds_load_b128 v[31:34], v14 offset:1024
	ds_load_b128 v[35:38], v14 offset:16
	;; [unrolled: 1-line block ×4, first 2 shown]
	ds_load_2addr_b64 v[47:50], v13 offset0:32 offset1:48
	ds_load_b128 v[51:54], v14 offset:1040
	v_add_co_u32 v0, s2, v0, s6
	s_delay_alu instid0(VALU_DEP_1) | instskip(SKIP_1) | instid1(VALU_DEP_1)
	v_add_co_ci_u32_e64 v1, s2, s7, v1, s2
	v_add_co_u32 v2, s2, v2, s8
	v_add_co_ci_u32_e64 v3, s2, s9, v3, s2
	s_add_i32 s21, s21, 8
	s_delay_alu instid0(SALU_CYCLE_1)
	s_cmp_ge_i32 s21, s17
	s_waitcnt lgkmcnt(6)
	v_dual_mul_f32 v5, v28, v24 :: v_dual_mul_f32 v56, v27, v26
	v_dual_mul_f32 v6, v27, v24 :: v_dual_mul_f32 v55, v28, v26
	s_waitcnt lgkmcnt(5)
	v_mul_f32_e32 v57, v32, v24
	s_delay_alu instid0(VALU_DEP_3)
	v_fma_f32 v5, v27, v23, -v5
	v_fmac_f32_e32 v56, v28, v25
	v_fmac_f32_e32 v6, v28, v23
	v_fma_f32 v27, v27, v25, -v55
	v_mul_f32_e32 v58, v32, v26
	v_mul_f32_e32 v26, v31, v26
	v_fma_f32 v28, v31, v23, -v57
	v_dual_mul_f32 v24, v31, v24 :: v_dual_add_f32 v5, v21, v5
	s_delay_alu instid0(VALU_DEP_3) | instskip(NEXT) | instid1(VALU_DEP_3)
	v_dual_add_f32 v21, v19, v27 :: v_dual_fmac_f32 v26, v32, v25
	v_add_f32_e32 v27, v17, v28
	s_waitcnt lgkmcnt(1)
	v_mul_f32_e32 v28, v30, v48
	v_fmac_f32_e32 v24, v32, v23
	v_fma_f32 v23, v31, v25, -v58
	s_delay_alu instid0(VALU_DEP_3) | instskip(SKIP_1) | instid1(VALU_DEP_3)
	v_fma_f32 v25, v29, v47, -v28
	v_mul_f32_e32 v28, v30, v50
	v_dual_add_f32 v6, v22, v6 :: v_dual_add_f32 v15, v15, v23
	v_mul_f32_e32 v23, v29, v48
	s_delay_alu instid0(VALU_DEP_4) | instskip(NEXT) | instid1(VALU_DEP_4)
	v_dual_add_f32 v5, v5, v25 :: v_dual_add_f32 v22, v20, v56
	v_fma_f32 v25, v29, v49, -v28
	v_add_f32_e32 v24, v18, v24
	ds_load_2addr_b64 v[17:20], v13 offset0:64 offset1:80
	v_fmac_f32_e32 v23, v30, v47
	v_dual_mul_f32 v28, v34, v48 :: v_dual_add_f32 v25, v21, v25
	s_delay_alu instid0(VALU_DEP_2)
	v_dual_add_f32 v6, v6, v23 :: v_dual_mul_f32 v23, v33, v48
	v_add_f32_e32 v16, v16, v26
	v_mul_f32_e32 v26, v29, v50
	v_mul_f32_e32 v29, v33, v50
	v_fma_f32 v21, v33, v47, -v28
	v_fmac_f32_e32 v23, v34, v47
	s_delay_alu instid0(VALU_DEP_3) | instskip(SKIP_1) | instid1(VALU_DEP_4)
	v_fmac_f32_e32 v29, v34, v49
	v_fmac_f32_e32 v26, v30, v49
	v_add_f32_e32 v27, v27, v21
	s_delay_alu instid0(VALU_DEP_2) | instskip(SKIP_2) | instid1(VALU_DEP_1)
	v_dual_add_f32 v29, v16, v29 :: v_dual_add_f32 v26, v22, v26
	s_waitcnt lgkmcnt(0)
	v_mul_f32_e32 v22, v36, v18
	v_fma_f32 v31, v35, v17, -v22
	s_delay_alu instid0(VALU_DEP_1) | instskip(NEXT) | instid1(VALU_DEP_1)
	v_dual_add_f32 v5, v5, v31 :: v_dual_mul_f32 v32, v36, v20
	v_fma_f32 v31, v35, v19, -v32
	s_delay_alu instid0(VALU_DEP_1) | instskip(NEXT) | instid1(VALU_DEP_1)
	v_dual_mul_f32 v28, v34, v50 :: v_dual_add_f32 v25, v25, v31
	v_fma_f32 v21, v33, v49, -v28
	v_add_f32_e32 v28, v24, v23
	v_mul_f32_e32 v16, v35, v20
	v_mul_f32_e32 v31, v52, v20
	;; [unrolled: 1-line block ×3, first 2 shown]
	v_add_f32_e32 v15, v15, v21
	ds_load_2addr_b64 v[21:24], v13 offset0:96 offset1:112
	v_mul_f32_e32 v30, v35, v18
	v_fmac_f32_e32 v16, v36, v19
	v_fmac_f32_e32 v20, v52, v19
	s_delay_alu instid0(VALU_DEP_3) | instskip(NEXT) | instid1(VALU_DEP_3)
	v_fmac_f32_e32 v30, v36, v17
	v_add_f32_e32 v32, v26, v16
	s_delay_alu instid0(VALU_DEP_3) | instskip(SKIP_1) | instid1(VALU_DEP_4)
	v_add_f32_e32 v29, v29, v20
	v_fma_f32 v16, v51, v19, -v31
	v_add_f32_e32 v6, v6, v30
	s_delay_alu instid0(VALU_DEP_2) | instskip(SKIP_3) | instid1(VALU_DEP_3)
	v_dual_mul_f32 v30, v52, v18 :: v_dual_add_f32 v33, v15, v16
	s_waitcnt lgkmcnt(0)
	v_mul_f32_e32 v35, v54, v24
	v_mul_f32_e32 v20, v37, v24
	v_fma_f32 v30, v51, v17, -v30
	v_mul_f32_e32 v19, v38, v22
	s_delay_alu instid0(VALU_DEP_3) | instskip(NEXT) | instid1(VALU_DEP_2)
	v_fmac_f32_e32 v20, v38, v23
	v_fma_f32 v19, v37, v21, -v19
	s_delay_alu instid0(VALU_DEP_2) | instskip(SKIP_2) | instid1(VALU_DEP_4)
	v_add_f32_e32 v36, v32, v20
	v_fma_f32 v20, v53, v23, -v35
	v_dual_add_f32 v30, v27, v30 :: v_dual_mul_f32 v27, v38, v24
	v_add_f32_e32 v5, v5, v19
	v_dual_mul_f32 v19, v54, v22 :: v_dual_mul_f32 v24, v53, v24
	s_delay_alu instid0(VALU_DEP_3) | instskip(NEXT) | instid1(VALU_DEP_2)
	v_fma_f32 v27, v37, v23, -v27
	v_fma_f32 v19, v53, v21, -v19
	s_delay_alu instid0(VALU_DEP_3) | instskip(SKIP_1) | instid1(VALU_DEP_4)
	v_dual_fmac_f32 v24, v54, v23 :: v_dual_add_f32 v23, v33, v20
	v_mul_f32_e32 v18, v51, v18
	v_add_f32_e32 v34, v25, v27
	v_mul_f32_e32 v26, v37, v22
	v_dual_mul_f32 v22, v53, v22 :: v_dual_add_f32 v35, v30, v19
	v_add_f32_e32 v24, v29, v24
	s_delay_alu instid0(VALU_DEP_2) | instskip(SKIP_1) | instid1(VALU_DEP_1)
	v_fmac_f32_e32 v22, v54, v21
	v_fmac_f32_e32 v18, v52, v17
	v_add_f32_e32 v31, v28, v18
	ds_load_2addr_b64 v[15:18], v13 offset0:128 offset1:144
	v_add_f32_e32 v37, v31, v22
	s_waitcnt lgkmcnt(0)
	v_mul_f32_e32 v19, v40, v16
	v_mul_f32_e32 v31, v40, v18
	;; [unrolled: 1-line block ×3, first 2 shown]
	s_delay_alu instid0(VALU_DEP_3)
	v_fma_f32 v30, v39, v15, -v19
	v_fmac_f32_e32 v26, v38, v21
	ds_load_2addr_b64 v[19:22], v13 offset0:160 offset1:176
	v_mul_f32_e32 v38, v39, v18
	v_fma_f32 v39, v39, v17, -v31
	v_add_f32_e32 v5, v5, v30
	v_add_f32_e32 v6, v6, v26
	ds_load_b128 v[25:28], v14 offset:1056
	ds_load_b128 v[29:32], v14 offset:1072
	v_fmac_f32_e32 v38, v40, v17
	v_fmac_f32_e32 v33, v40, v15
	s_delay_alu instid0(VALU_DEP_2) | instskip(SKIP_3) | instid1(VALU_DEP_2)
	v_add_f32_e32 v36, v36, v38
	s_waitcnt lgkmcnt(1)
	v_dual_mul_f32 v38, v25, v18 :: v_dual_mul_f32 v47, v26, v16
	v_mul_f32_e32 v16, v25, v16
	v_fmac_f32_e32 v38, v26, v17
	s_delay_alu instid0(VALU_DEP_1) | instskip(SKIP_1) | instid1(VALU_DEP_1)
	v_add_f32_e32 v38, v24, v38
	v_mul_f32_e32 v24, v41, v22
	v_fmac_f32_e32 v24, v42, v21
	v_add_f32_e32 v6, v6, v33
	v_add_f32_e32 v33, v34, v39
	v_fma_f32 v34, v25, v15, -v47
	v_mul_f32_e32 v39, v26, v18
	v_mul_f32_e32 v18, v42, v20
	s_delay_alu instid0(VALU_DEP_3) | instskip(NEXT) | instid1(VALU_DEP_2)
	v_add_f32_e32 v34, v35, v34
	v_fma_f32 v35, v41, v19, -v18
	s_delay_alu instid0(VALU_DEP_1) | instskip(SKIP_3) | instid1(VALU_DEP_3)
	v_add_f32_e32 v5, v5, v35
	v_fmac_f32_e32 v16, v26, v15
	v_fma_f32 v15, v25, v17, -v39
	v_mul_f32_e32 v26, v41, v20
	v_add_f32_e32 v25, v37, v16
	s_delay_alu instid0(VALU_DEP_3) | instskip(SKIP_3) | instid1(VALU_DEP_2)
	v_add_f32_e32 v23, v23, v15
	ds_load_2addr_b64 v[15:18], v13 offset0:192 offset1:208
	v_mul_f32_e32 v37, v42, v22
	v_fmac_f32_e32 v26, v42, v19
	v_fma_f32 v35, v41, v21, -v37
	s_delay_alu instid0(VALU_DEP_2) | instskip(SKIP_1) | instid1(VALU_DEP_3)
	v_add_f32_e32 v6, v6, v26
	v_mul_f32_e32 v26, v28, v20
	v_dual_mul_f32 v20, v27, v20 :: v_dual_add_f32 v33, v33, v35
	v_mul_f32_e32 v35, v28, v22
	s_delay_alu instid0(VALU_DEP_3) | instskip(NEXT) | instid1(VALU_DEP_3)
	v_fma_f32 v26, v27, v19, -v26
	v_fmac_f32_e32 v20, v28, v19
	v_dual_add_f32 v19, v36, v24 :: v_dual_mul_f32 v22, v27, v22
	s_delay_alu instid0(VALU_DEP_4) | instskip(NEXT) | instid1(VALU_DEP_3)
	v_fma_f32 v24, v27, v21, -v35
	v_dual_add_f32 v27, v34, v26 :: v_dual_add_f32 v20, v25, v20
	s_waitcnt lgkmcnt(0)
	v_mul_f32_e32 v34, v44, v16
	s_delay_alu instid0(VALU_DEP_3)
	v_dual_fmac_f32 v22, v28, v21 :: v_dual_add_f32 v21, v23, v24
	ds_load_2addr_b64 v[23:26], v13 offset0:224 offset1:240
	v_mul_f32_e32 v28, v43, v16
	v_fma_f32 v34, v43, v15, -v34
	v_mul_f32_e32 v35, v44, v18
	v_mul_f32_e32 v36, v43, v18
	s_waitcnt lgkmcnt(0)
	s_delay_alu instid0(VALU_DEP_3) | instskip(SKIP_3) | instid1(VALU_DEP_4)
	v_dual_fmac_f32 v28, v44, v15 :: v_dual_add_f32 v5, v5, v34
	v_mul_f32_e32 v34, v30, v16
	v_fma_f32 v35, v43, v17, -v35
	v_fmac_f32_e32 v36, v44, v17
	v_add_f32_e32 v6, v6, v28
	v_mul_f32_e32 v16, v29, v16
	v_fma_f32 v28, v29, v15, -v34
	v_dual_mul_f32 v34, v30, v18 :: v_dual_add_f32 v33, v33, v35
	s_delay_alu instid0(VALU_DEP_3) | instskip(NEXT) | instid1(VALU_DEP_3)
	v_dual_add_f32 v35, v19, v36 :: v_dual_fmac_f32 v16, v30, v15
	v_dual_add_f32 v15, v27, v28 :: v_dual_mul_f32 v18, v29, v18
	s_delay_alu instid0(VALU_DEP_3) | instskip(SKIP_3) | instid1(VALU_DEP_4)
	v_fma_f32 v19, v29, v17, -v34
	v_mul_f32_e32 v27, v46, v24
	v_mul_f32_e32 v28, v45, v24
	v_add_f32_e32 v16, v20, v16
	v_dual_fmac_f32 v18, v30, v17 :: v_dual_add_f32 v29, v21, v19
	s_delay_alu instid0(VALU_DEP_4)
	v_fma_f32 v17, v45, v23, -v27
	v_mul_f32_e32 v19, v46, v26
	v_fmac_f32_e32 v28, v46, v23
	v_mul_f32_e32 v20, v45, v26
	s_barrier
	v_add_f32_e32 v21, v5, v17
	v_mul_f32_e32 v17, v32, v26
	v_fma_f32 v5, v45, v25, -v19
	v_fmac_f32_e32 v20, v46, v25
	buffer_gl0_inv
	v_dual_add_f32 v19, v33, v5 :: v_dual_add_f32 v22, v38, v22
	s_delay_alu instid0(VALU_DEP_1) | instskip(SKIP_4) | instid1(VALU_DEP_3)
	v_dual_add_f32 v20, v35, v20 :: v_dual_add_f32 v27, v22, v18
	v_add_f32_e32 v22, v6, v28
	v_mul_f32_e32 v6, v32, v24
	v_mul_f32_e32 v18, v31, v24
	;; [unrolled: 1-line block ×3, first 2 shown]
	v_fma_f32 v5, v31, v23, -v6
	s_delay_alu instid0(VALU_DEP_3) | instskip(SKIP_1) | instid1(VALU_DEP_4)
	v_fmac_f32_e32 v18, v32, v23
	v_fma_f32 v6, v31, v25, -v17
	v_fmac_f32_e32 v24, v32, v25
	s_delay_alu instid0(VALU_DEP_3) | instskip(NEXT) | instid1(VALU_DEP_2)
	v_dual_add_f32 v17, v15, v5 :: v_dual_add_f32 v18, v16, v18
	v_dual_add_f32 v15, v29, v6 :: v_dual_add_f32 v16, v27, v24
	s_cbranch_scc1 .LBB221_9
.LBB221_3:                              ; =>This Inner Loop Header: Depth=1
	v_add_nc_u32_e32 v5, s21, v10
	s_delay_alu instid0(VALU_DEP_1) | instskip(NEXT) | instid1(VALU_DEP_1)
	v_cmp_le_i32_e64 s2, s17, v5
	s_or_b32 s2, s3, s2
	s_delay_alu instid0(SALU_CYCLE_1) | instskip(NEXT) | instid1(SALU_CYCLE_1)
	s_and_saveexec_b32 s10, s2
	s_xor_b32 s2, exec_lo, s10
	s_cbranch_execz .LBB221_5
; %bb.4:                                ;   in Loop: Header=BB221_3 Depth=1
	v_mov_b32_e32 v5, v4
	ds_store_b64 v11, v[4:5]
.LBB221_5:                              ;   in Loop: Header=BB221_3 Depth=1
	s_and_not1_saveexec_b32 s2, s2
	s_cbranch_execz .LBB221_7
; %bb.6:                                ;   in Loop: Header=BB221_3 Depth=1
	global_load_b64 v[5:6], v[0:1], off
	s_waitcnt vmcnt(0)
	ds_store_b64 v11, v[5:6]
.LBB221_7:                              ;   in Loop: Header=BB221_3 Depth=1
	s_or_b32 exec_lo, exec_lo, s2
	v_dual_mov_b32 v6, 0 :: v_dual_add_nc_u32 v5, s21, v9
	s_delay_alu instid0(VALU_DEP_1) | instskip(SKIP_1) | instid1(VALU_DEP_2)
	v_cmp_gt_i32_e64 s2, s17, v5
	v_mov_b32_e32 v5, 0
	s_and_b32 s10, s2, vcc_lo
	s_delay_alu instid0(SALU_CYCLE_1)
	s_and_saveexec_b32 s2, s10
	s_cbranch_execz .LBB221_2
; %bb.8:                                ;   in Loop: Header=BB221_3 Depth=1
	global_load_b64 v[5:6], v[2:3], off offset:-4
	s_branch .LBB221_2
.LBB221_9:
	s_clause 0x2
	s_load_b32 s2, s[0:1], 0x50
	s_load_b64 s[6:7], s[0:1], 0x58
	s_load_b64 s[8:9], s[0:1], 0x48
	v_add_nc_u32_e32 v4, s14, v8
	v_add_nc_u32_e32 v0, s20, v7
	s_delay_alu instid0(VALU_DEP_2)
	v_cmp_gt_i32_e32 vcc_lo, s16, v4
	s_waitcnt lgkmcnt(0)
	v_mad_i64_i32 v[1:2], null, v4, s2, 0
	s_mul_i32 s1, s15, s7
	s_mul_hi_u32 s3, s15, s6
	s_mul_i32 s0, s15, s6
	s_add_i32 s1, s3, s1
	s_delay_alu instid0(SALU_CYCLE_1) | instskip(NEXT) | instid1(VALU_DEP_1)
	s_lshl_b64 s[6:7], s[0:1], 3
	v_lshlrev_b64 v[1:2], 3, v[1:2]
	s_add_u32 s3, s8, s6
	v_cmp_le_i32_e64 s0, v0, v4
	s_addc_u32 s6, s9, s7
	s_delay_alu instid0(VALU_DEP_2) | instskip(NEXT) | instid1(VALU_DEP_1)
	v_add_co_u32 v5, s1, s3, v1
	v_add_co_ci_u32_e64 v6, s1, s6, v2, s1
	s_delay_alu instid0(VALU_DEP_3) | instskip(NEXT) | instid1(SALU_CYCLE_1)
	s_and_b32 s0, vcc_lo, s0
	s_and_saveexec_b32 s1, s0
	s_cbranch_execz .LBB221_11
; %bb.10:
	v_ashrrev_i32_e32 v1, 31, v0
	v_mul_f32_e32 v2, s4, v22
	v_mul_f32_e32 v3, s5, v22
	s_delay_alu instid0(VALU_DEP_3) | instskip(NEXT) | instid1(VALU_DEP_3)
	v_lshlrev_b64 v[7:8], 3, v[0:1]
	v_fmac_f32_e32 v2, s5, v21
	s_delay_alu instid0(VALU_DEP_3) | instskip(NEXT) | instid1(VALU_DEP_3)
	v_fma_f32 v1, v21, s4, -v3
	v_add_co_u32 v7, s0, v5, v7
	s_delay_alu instid0(VALU_DEP_1)
	v_add_co_ci_u32_e64 v8, s0, v6, v8, s0
	global_store_b64 v[7:8], v[1:2], off
.LBB221_11:
	s_or_b32 exec_lo, exec_lo, s1
	v_add_nc_u32_e32 v2, 16, v0
	s_delay_alu instid0(VALU_DEP_1) | instskip(NEXT) | instid1(VALU_DEP_1)
	v_cmp_le_i32_e64 s0, v2, v4
	s_and_b32 s1, vcc_lo, s0
	s_delay_alu instid0(SALU_CYCLE_1)
	s_and_saveexec_b32 s0, s1
	s_cbranch_execz .LBB221_13
; %bb.12:
	v_ashrrev_i32_e32 v3, 31, v2
	v_mul_f32_e32 v8, s4, v20
	v_mul_f32_e32 v1, s5, v20
	s_delay_alu instid0(VALU_DEP_3) | instskip(NEXT) | instid1(VALU_DEP_3)
	v_lshlrev_b64 v[9:10], 3, v[2:3]
	v_fmac_f32_e32 v8, s5, v19
	s_delay_alu instid0(VALU_DEP_3) | instskip(NEXT) | instid1(VALU_DEP_3)
	v_fma_f32 v7, v19, s4, -v1
	v_add_co_u32 v5, vcc_lo, v5, v9
	s_delay_alu instid0(VALU_DEP_4)
	v_add_co_ci_u32_e32 v6, vcc_lo, v6, v10, vcc_lo
	global_store_b64 v[5:6], v[7:8], off
.LBB221_13:
	s_or_b32 exec_lo, exec_lo, s0
	v_add_nc_u32_e32 v3, 16, v4
	s_delay_alu instid0(VALU_DEP_1) | instskip(SKIP_2) | instid1(VALU_DEP_1)
	v_mad_i64_i32 v[4:5], null, v3, s2, 0
	v_cmp_gt_i32_e32 vcc_lo, s16, v3
	v_cmp_le_i32_e64 s0, v0, v3
	s_and_b32 s0, vcc_lo, s0
	s_delay_alu instid0(VALU_DEP_3) | instskip(NEXT) | instid1(VALU_DEP_1)
	v_lshlrev_b64 v[4:5], 3, v[4:5]
	v_add_co_u32 v4, s1, s3, v4
	s_delay_alu instid0(VALU_DEP_1)
	v_add_co_ci_u32_e64 v5, s1, s6, v5, s1
	s_and_saveexec_b32 s1, s0
	s_cbranch_execz .LBB221_15
; %bb.14:
	v_ashrrev_i32_e32 v1, 31, v0
	v_mul_f32_e32 v7, s4, v18
	v_mul_f32_e32 v6, s5, v18
	s_delay_alu instid0(VALU_DEP_3) | instskip(NEXT) | instid1(VALU_DEP_3)
	v_lshlrev_b64 v[0:1], 3, v[0:1]
	v_fmac_f32_e32 v7, s5, v17
	s_delay_alu instid0(VALU_DEP_3) | instskip(NEXT) | instid1(VALU_DEP_3)
	v_fma_f32 v6, v17, s4, -v6
	v_add_co_u32 v0, s0, v4, v0
	s_delay_alu instid0(VALU_DEP_1)
	v_add_co_ci_u32_e64 v1, s0, v5, v1, s0
	global_store_b64 v[0:1], v[6:7], off
.LBB221_15:
	s_or_b32 exec_lo, exec_lo, s1
	v_cmp_le_i32_e64 s0, v2, v3
	s_delay_alu instid0(VALU_DEP_1) | instskip(NEXT) | instid1(SALU_CYCLE_1)
	s_and_b32 s0, vcc_lo, s0
	s_and_saveexec_b32 s1, s0
	s_cbranch_execz .LBB221_17
; %bb.16:
	v_ashrrev_i32_e32 v3, 31, v2
	v_mul_f32_e32 v1, s4, v16
	v_mul_f32_e32 v0, s5, v16
	s_delay_alu instid0(VALU_DEP_3) | instskip(NEXT) | instid1(VALU_DEP_3)
	v_lshlrev_b64 v[2:3], 3, v[2:3]
	v_fmac_f32_e32 v1, s5, v15
	s_delay_alu instid0(VALU_DEP_3) | instskip(NEXT) | instid1(VALU_DEP_3)
	v_fma_f32 v0, v15, s4, -v0
	v_add_co_u32 v2, vcc_lo, v4, v2
	s_delay_alu instid0(VALU_DEP_4)
	v_add_co_ci_u32_e32 v3, vcc_lo, v5, v3, vcc_lo
	global_store_b64 v[2:3], v[0:1], off
.LBB221_17:
	s_nop 0
	s_sendmsg sendmsg(MSG_DEALLOC_VGPRS)
	s_endpgm
	.section	.rodata,"a",@progbits
	.p2align	6, 0x0
	.amdhsa_kernel _ZL34rocblas_syrkx_herkx_general_kernelIi19rocblas_complex_numIfELi16ELi32ELi8ELb1ELb0ELc78ELc85EKS1_S1_EviT_T0_PT8_S3_lS6_S3_lS4_PT9_S3_li
		.amdhsa_group_segment_fixed_size 4096
		.amdhsa_private_segment_fixed_size 0
		.amdhsa_kernarg_size 100
		.amdhsa_user_sgpr_count 13
		.amdhsa_user_sgpr_dispatch_ptr 0
		.amdhsa_user_sgpr_queue_ptr 0
		.amdhsa_user_sgpr_kernarg_segment_ptr 1
		.amdhsa_user_sgpr_dispatch_id 0
		.amdhsa_user_sgpr_private_segment_size 0
		.amdhsa_wavefront_size32 1
		.amdhsa_uses_dynamic_stack 0
		.amdhsa_enable_private_segment 0
		.amdhsa_system_sgpr_workgroup_id_x 1
		.amdhsa_system_sgpr_workgroup_id_y 1
		.amdhsa_system_sgpr_workgroup_id_z 1
		.amdhsa_system_sgpr_workgroup_info 0
		.amdhsa_system_vgpr_workitem_id 1
		.amdhsa_next_free_vgpr 59
		.amdhsa_next_free_sgpr 25
		.amdhsa_reserve_vcc 1
		.amdhsa_float_round_mode_32 0
		.amdhsa_float_round_mode_16_64 0
		.amdhsa_float_denorm_mode_32 3
		.amdhsa_float_denorm_mode_16_64 3
		.amdhsa_dx10_clamp 1
		.amdhsa_ieee_mode 1
		.amdhsa_fp16_overflow 0
		.amdhsa_workgroup_processor_mode 1
		.amdhsa_memory_ordered 1
		.amdhsa_forward_progress 0
		.amdhsa_shared_vgpr_count 0
		.amdhsa_exception_fp_ieee_invalid_op 0
		.amdhsa_exception_fp_denorm_src 0
		.amdhsa_exception_fp_ieee_div_zero 0
		.amdhsa_exception_fp_ieee_overflow 0
		.amdhsa_exception_fp_ieee_underflow 0
		.amdhsa_exception_fp_ieee_inexact 0
		.amdhsa_exception_int_div_zero 0
	.end_amdhsa_kernel
	.section	.text._ZL34rocblas_syrkx_herkx_general_kernelIi19rocblas_complex_numIfELi16ELi32ELi8ELb1ELb0ELc78ELc85EKS1_S1_EviT_T0_PT8_S3_lS6_S3_lS4_PT9_S3_li,"axG",@progbits,_ZL34rocblas_syrkx_herkx_general_kernelIi19rocblas_complex_numIfELi16ELi32ELi8ELb1ELb0ELc78ELc85EKS1_S1_EviT_T0_PT8_S3_lS6_S3_lS4_PT9_S3_li,comdat
.Lfunc_end221:
	.size	_ZL34rocblas_syrkx_herkx_general_kernelIi19rocblas_complex_numIfELi16ELi32ELi8ELb1ELb0ELc78ELc85EKS1_S1_EviT_T0_PT8_S3_lS6_S3_lS4_PT9_S3_li, .Lfunc_end221-_ZL34rocblas_syrkx_herkx_general_kernelIi19rocblas_complex_numIfELi16ELi32ELi8ELb1ELb0ELc78ELc85EKS1_S1_EviT_T0_PT8_S3_lS6_S3_lS4_PT9_S3_li
                                        ; -- End function
	.section	.AMDGPU.csdata,"",@progbits
; Kernel info:
; codeLenInByte = 2512
; NumSgprs: 27
; NumVgprs: 59
; ScratchSize: 0
; MemoryBound: 1
; FloatMode: 240
; IeeeMode: 1
; LDSByteSize: 4096 bytes/workgroup (compile time only)
; SGPRBlocks: 3
; VGPRBlocks: 7
; NumSGPRsForWavesPerEU: 27
; NumVGPRsForWavesPerEU: 59
; Occupancy: 16
; WaveLimiterHint : 0
; COMPUTE_PGM_RSRC2:SCRATCH_EN: 0
; COMPUTE_PGM_RSRC2:USER_SGPR: 13
; COMPUTE_PGM_RSRC2:TRAP_HANDLER: 0
; COMPUTE_PGM_RSRC2:TGID_X_EN: 1
; COMPUTE_PGM_RSRC2:TGID_Y_EN: 1
; COMPUTE_PGM_RSRC2:TGID_Z_EN: 1
; COMPUTE_PGM_RSRC2:TIDIG_COMP_CNT: 1
	.section	.text._ZL34rocblas_syrkx_herkx_general_kernelIi19rocblas_complex_numIfELi16ELi32ELi8ELb0ELb0ELc84ELc76EKS1_S1_EviT_T0_PT8_S3_lS6_S3_lS4_PT9_S3_li,"axG",@progbits,_ZL34rocblas_syrkx_herkx_general_kernelIi19rocblas_complex_numIfELi16ELi32ELi8ELb0ELb0ELc84ELc76EKS1_S1_EviT_T0_PT8_S3_lS6_S3_lS4_PT9_S3_li,comdat
	.globl	_ZL34rocblas_syrkx_herkx_general_kernelIi19rocblas_complex_numIfELi16ELi32ELi8ELb0ELb0ELc84ELc76EKS1_S1_EviT_T0_PT8_S3_lS6_S3_lS4_PT9_S3_li ; -- Begin function _ZL34rocblas_syrkx_herkx_general_kernelIi19rocblas_complex_numIfELi16ELi32ELi8ELb0ELb0ELc84ELc76EKS1_S1_EviT_T0_PT8_S3_lS6_S3_lS4_PT9_S3_li
	.p2align	8
	.type	_ZL34rocblas_syrkx_herkx_general_kernelIi19rocblas_complex_numIfELi16ELi32ELi8ELb0ELb0ELc84ELc76EKS1_S1_EviT_T0_PT8_S3_lS6_S3_lS4_PT9_S3_li,@function
_ZL34rocblas_syrkx_herkx_general_kernelIi19rocblas_complex_numIfELi16ELi32ELi8ELb0ELb0ELc84ELc76EKS1_S1_EviT_T0_PT8_S3_lS6_S3_lS4_PT9_S3_li: ; @_ZL34rocblas_syrkx_herkx_general_kernelIi19rocblas_complex_numIfELi16ELi32ELi8ELb0ELb0ELc84ELc76EKS1_S1_EviT_T0_PT8_S3_lS6_S3_lS4_PT9_S3_li
; %bb.0:
	s_clause 0x3
	s_load_b64 s[20:21], s[0:1], 0x0
	s_load_b128 s[8:11], s[0:1], 0x8
	s_load_b128 s[4:7], s[0:1], 0x38
	s_load_b64 s[22:23], s[0:1], 0x48
	v_dual_mov_b32 v21, 0 :: v_dual_and_b32 v6, 0x3ff, v0
	v_bfe_u32 v7, v0, 10, 10
	v_dual_mov_b32 v20, 0 :: v_dual_mov_b32 v19, 0
	v_dual_mov_b32 v18, 0 :: v_dual_mov_b32 v17, 0
	;; [unrolled: 1-line block ×3, first 2 shown]
	v_mov_b32_e32 v14, 0
	s_lshl_b32 s12, s13, 5
	s_lshl_b32 s13, s14, 5
	s_mov_b32 s14, 0
	s_waitcnt lgkmcnt(0)
	s_cmp_lt_i32 s21, 1
	s_cbranch_scc1 .LBB222_11
; %bb.1:
	s_load_b32 s2, s[0:1], 0x18
	v_lshl_add_u32 v0, v7, 4, v6
	s_clause 0x1
	s_load_b128 s[16:19], s[0:1], 0x20
	s_load_b32 s3, s[0:1], 0x30
	v_dual_mov_b32 v15, 0 :: v_dual_and_b32 v8, 7, v6
	v_mov_b32_e32 v17, 0
	v_and_b32_e32 v1, 31, v0
	v_lshrrev_b32_e32 v2, 3, v0
	v_lshrrev_b32_e32 v11, 5, v0
	v_lshlrev_b32_e32 v4, 3, v8
	s_delay_alu instid0(VALU_DEP_4) | instskip(SKIP_4) | instid1(VALU_DEP_4)
	v_dual_mov_b32 v16, 0 :: v_dual_add_nc_u32 v3, s12, v1
	v_or_b32_e32 v12, s12, v1
	v_dual_mov_b32 v20, 0 :: v_dual_lshlrev_b32 v13, 3, v1
	v_dual_mov_b32 v18, 0 :: v_dual_add_nc_u32 v5, s13, v2
	v_lshl_or_b32 v14, v2, 6, v4
	v_cmp_gt_i32_e32 vcc_lo, s20, v12
	s_delay_alu instid0(VALU_DEP_4)
	v_lshl_or_b32 v12, v11, 8, v13
	s_waitcnt lgkmcnt(0)
	v_mad_i64_i32 v[0:1], null, s2, v3, 0
	s_mul_i32 s17, s17, s15
	s_mul_hi_u32 s24, s16, s15
	v_mad_i64_i32 v[2:3], null, s3, v5, 0
	s_mul_i32 s16, s16, s15
	s_add_i32 s17, s24, s17
	s_delay_alu instid0(VALU_DEP_2)
	v_lshlrev_b64 v[0:1], 3, v[0:1]
	s_lshl_b64 s[16:17], s[16:17], 3
	v_cmp_gt_i32_e64 s2, s20, v5
	v_add_nc_u32_e32 v13, 0x800, v14
	s_mul_i32 s5, s5, s15
	v_lshlrev_b32_e32 v9, 3, v6
	v_add_co_u32 v5, s3, v0, s16
	s_delay_alu instid0(VALU_DEP_1)
	v_add_co_ci_u32_e64 v14, s3, s17, v1, s3
	s_mul_hi_u32 s3, s4, s15
	v_lshlrev_b64 v[0:1], 3, v[2:3]
	s_add_i32 s5, s3, s5
	s_mul_i32 s4, s4, s15
	v_dual_mov_b32 v19, 0 :: v_dual_lshlrev_b32 v2, 3, v11
	s_lshl_b64 s[4:5], s[4:5], 3
	v_lshl_add_u32 v10, v7, 6, 0x800
	v_add_co_u32 v0, s3, v0, s4
	s_delay_alu instid0(VALU_DEP_1) | instskip(SKIP_1) | instid1(VALU_DEP_1)
	v_add_co_ci_u32_e64 v1, s3, s5, v1, s3
	v_add_co_u32 v2, s3, v5, v2
	v_add_co_ci_u32_e64 v3, s3, 0, v14, s3
	s_delay_alu instid0(VALU_DEP_4) | instskip(NEXT) | instid1(VALU_DEP_1)
	v_add_co_u32 v4, s3, v0, v4
	v_add_co_ci_u32_e64 v5, s3, 0, v1, s3
	s_delay_alu instid0(VALU_DEP_4) | instskip(NEXT) | instid1(VALU_DEP_1)
	;; [unrolled: 3-line block ×3, first 2 shown]
	v_add_co_u32 v2, s3, s18, v4
	v_add_co_ci_u32_e64 v3, s3, s19, v5, s3
	v_mov_b32_e32 v4, 0
	v_dual_mov_b32 v14, 0 :: v_dual_mov_b32 v21, 0
	s_xor_b32 s3, vcc_lo, -1
	s_xor_b32 s2, s2, -1
	s_branch .LBB222_3
.LBB222_2:                              ;   in Loop: Header=BB222_3 Depth=1
	s_or_b32 exec_lo, exec_lo, s4
	s_waitcnt lgkmcnt(0)
	s_barrier
	buffer_gl0_inv
	ds_load_2addr_b64 v[22:25], v9 offset1:16
	ds_load_b128 v[26:29], v10
	ds_load_b128 v[30:33], v10 offset:1024
	ds_load_b128 v[34:37], v10 offset:16
	;; [unrolled: 1-line block ×4, first 2 shown]
	ds_load_2addr_b64 v[46:49], v9 offset0:32 offset1:48
	ds_load_b128 v[50:53], v10 offset:1040
	v_add_co_u32 v0, vcc_lo, v0, 64
	v_add_co_ci_u32_e32 v1, vcc_lo, 0, v1, vcc_lo
	v_add_co_u32 v2, vcc_lo, v2, 64
	v_add_co_ci_u32_e32 v3, vcc_lo, 0, v3, vcc_lo
	s_add_i32 s14, s14, 8
	s_delay_alu instid0(SALU_CYCLE_1)
	s_cmp_ge_i32 s14, s21
	s_waitcnt lgkmcnt(6)
	v_dual_mul_f32 v5, v27, v23 :: v_dual_mul_f32 v56, v26, v25
	v_dual_mul_f32 v54, v26, v23 :: v_dual_mul_f32 v55, v27, v25
	s_waitcnt lgkmcnt(5)
	v_mul_f32_e32 v58, v31, v25
	s_delay_alu instid0(VALU_DEP_3) | instskip(SKIP_3) | instid1(VALU_DEP_4)
	v_fma_f32 v5, v26, v22, -v5
	v_dual_mul_f32 v25, v30, v25 :: v_dual_fmac_f32 v56, v27, v24
	v_fmac_f32_e32 v54, v27, v22
	v_fma_f32 v26, v26, v24, -v55
	v_add_f32_e32 v5, v20, v5
	v_mul_f32_e32 v57, v31, v23
	s_delay_alu instid0(VALU_DEP_4) | instskip(SKIP_2) | instid1(VALU_DEP_4)
	v_dual_mul_f32 v23, v30, v23 :: v_dual_add_f32 v20, v21, v54
	v_fmac_f32_e32 v25, v31, v24
	v_dual_add_f32 v21, v18, v26 :: v_dual_add_f32 v26, v19, v56
	v_fma_f32 v27, v30, v22, -v57
	s_delay_alu instid0(VALU_DEP_4) | instskip(SKIP_3) | instid1(VALU_DEP_2)
	v_fmac_f32_e32 v23, v31, v22
	v_fma_f32 v22, v30, v24, -v58
	s_waitcnt lgkmcnt(1)
	v_mul_f32_e32 v30, v29, v47
	v_dual_add_f32 v27, v16, v27 :: v_dual_add_f32 v14, v14, v22
	v_dual_mul_f32 v22, v28, v47 :: v_dual_add_f32 v15, v15, v25
	v_mul_f32_e32 v25, v28, v49
	s_delay_alu instid0(VALU_DEP_4) | instskip(NEXT) | instid1(VALU_DEP_3)
	v_fma_f32 v24, v28, v46, -v30
	v_fmac_f32_e32 v22, v29, v46
	v_add_f32_e32 v23, v17, v23
	ds_load_2addr_b64 v[16:19], v9 offset0:64 offset1:80
	v_mul_f32_e32 v30, v29, v49
	v_fmac_f32_e32 v25, v29, v48
	v_add_f32_e32 v5, v5, v24
	s_delay_alu instid0(VALU_DEP_2) | instskip(SKIP_1) | instid1(VALU_DEP_1)
	v_add_f32_e32 v25, v26, v25
	v_mul_f32_e32 v26, v32, v49
	v_fmac_f32_e32 v26, v33, v48
	s_waitcnt lgkmcnt(0)
	s_delay_alu instid0(VALU_DEP_1) | instskip(SKIP_1) | instid1(VALU_DEP_2)
	v_dual_add_f32 v26, v15, v26 :: v_dual_mul_f32 v29, v34, v17
	v_mul_f32_e32 v15, v34, v19
	v_fmac_f32_e32 v29, v35, v16
	v_fma_f32 v24, v28, v48, -v30
	v_mul_f32_e32 v28, v33, v47
	v_add_f32_e32 v30, v20, v22
	v_mul_f32_e32 v20, v32, v47
	v_mul_f32_e32 v22, v33, v49
	v_add_f32_e32 v24, v21, v24
	v_fma_f32 v21, v32, v46, -v28
	s_delay_alu instid0(VALU_DEP_4) | instskip(SKIP_1) | instid1(VALU_DEP_3)
	v_dual_add_f32 v29, v30, v29 :: v_dual_fmac_f32 v20, v33, v46
	v_fmac_f32_e32 v15, v35, v18
	v_add_f32_e32 v27, v27, v21
	v_fma_f32 v21, v32, v48, -v22
	v_mul_f32_e32 v22, v35, v17
	v_mul_f32_e32 v32, v35, v19
	v_add_f32_e32 v28, v23, v20
	s_delay_alu instid0(VALU_DEP_4) | instskip(NEXT) | instid1(VALU_DEP_4)
	v_add_f32_e32 v14, v14, v21
	v_fma_f32 v31, v34, v16, -v22
	ds_load_2addr_b64 v[20:23], v9 offset0:96 offset1:112
	v_add_f32_e32 v5, v5, v31
	v_fma_f32 v31, v34, v18, -v32
	s_delay_alu instid0(VALU_DEP_1) | instskip(SKIP_3) | instid1(VALU_DEP_3)
	v_add_f32_e32 v24, v24, v31
	v_mul_f32_e32 v31, v51, v19
	v_mul_f32_e32 v19, v50, v19
	v_add_f32_e32 v32, v25, v15
	v_fma_f32 v15, v50, v18, -v31
	s_delay_alu instid0(VALU_DEP_3)
	v_fmac_f32_e32 v19, v51, v18
	v_mul_f32_e32 v30, v51, v17
	v_mul_f32_e32 v17, v50, v17
	s_waitcnt lgkmcnt(0)
	v_dual_mul_f32 v18, v37, v21 :: v_dual_add_f32 v31, v14, v15
	v_add_f32_e32 v33, v26, v19
	v_fma_f32 v30, v50, v16, -v30
	v_fmac_f32_e32 v17, v51, v16
	s_delay_alu instid0(VALU_DEP_4) | instskip(SKIP_1) | instid1(VALU_DEP_4)
	v_fma_f32 v18, v36, v20, -v18
	v_mul_f32_e32 v25, v36, v21
	v_dual_mul_f32 v19, v36, v23 :: v_dual_add_f32 v30, v27, v30
	s_delay_alu instid0(VALU_DEP_4) | instskip(SKIP_4) | instid1(VALU_DEP_2)
	v_add_f32_e32 v28, v28, v17
	ds_load_2addr_b64 v[14:17], v9 offset0:128 offset1:144
	v_add_f32_e32 v5, v5, v18
	v_mul_f32_e32 v18, v53, v21
	v_fmac_f32_e32 v19, v37, v22
	v_fma_f32 v18, v52, v20, -v18
	v_mul_f32_e32 v27, v37, v23
	s_delay_alu instid0(VALU_DEP_1) | instskip(NEXT) | instid1(VALU_DEP_3)
	v_fma_f32 v26, v36, v22, -v27
	v_add_f32_e32 v36, v30, v18
	s_waitcnt lgkmcnt(0)
	s_delay_alu instid0(VALU_DEP_2) | instskip(SKIP_2) | instid1(VALU_DEP_3)
	v_dual_add_f32 v35, v24, v26 :: v_dual_mul_f32 v46, v38, v15
	v_dual_fmac_f32 v25, v37, v20 :: v_dual_add_f32 v32, v32, v19
	v_mul_f32_e32 v18, v39, v15
	v_fmac_f32_e32 v46, v39, v14
	s_delay_alu instid0(VALU_DEP_3)
	v_add_f32_e32 v34, v29, v25
	v_mul_f32_e32 v29, v53, v23
	v_mul_f32_e32 v23, v52, v23
	ds_load_b128 v[24:27], v10 offset:1056
	v_add_f32_e32 v34, v34, v46
	v_fma_f32 v19, v52, v22, -v29
	v_mul_f32_e32 v21, v52, v21
	v_fmac_f32_e32 v23, v53, v22
	v_mul_f32_e32 v29, v39, v17
	s_delay_alu instid0(VALU_DEP_3) | instskip(NEXT) | instid1(VALU_DEP_3)
	v_dual_add_f32 v22, v31, v19 :: v_dual_fmac_f32 v21, v53, v20
	v_add_f32_e32 v23, v33, v23
	s_delay_alu instid0(VALU_DEP_2) | instskip(SKIP_4) | instid1(VALU_DEP_2)
	v_add_f32_e32 v37, v28, v21
	v_fma_f32 v28, v38, v14, -v18
	ds_load_2addr_b64 v[18:21], v9 offset0:160 offset1:176
	v_mul_f32_e32 v33, v38, v17
	v_fma_f32 v38, v38, v16, -v29
	v_fmac_f32_e32 v33, v39, v16
	s_delay_alu instid0(VALU_DEP_1)
	v_dual_add_f32 v35, v35, v38 :: v_dual_add_f32 v32, v32, v33
	v_add_f32_e32 v5, v5, v28
	ds_load_b128 v[28:31], v10 offset:1072
	s_waitcnt lgkmcnt(2)
	v_mul_f32_e32 v47, v25, v15
	v_mul_f32_e32 v15, v24, v15
	;; [unrolled: 1-line block ×4, first 2 shown]
	s_delay_alu instid0(VALU_DEP_4) | instskip(NEXT) | instid1(VALU_DEP_4)
	v_fma_f32 v38, v24, v14, -v47
	v_fmac_f32_e32 v15, v25, v14
	s_delay_alu instid0(VALU_DEP_4)
	v_fma_f32 v14, v24, v16, -v39
	s_waitcnt lgkmcnt(1)
	v_mul_f32_e32 v17, v41, v19
	v_dual_fmac_f32 v33, v25, v16 :: v_dual_add_f32 v36, v36, v38
	v_add_f32_e32 v24, v37, v15
	v_add_f32_e32 v22, v22, v14
	s_delay_alu instid0(VALU_DEP_4) | instskip(SKIP_2) | instid1(VALU_DEP_1)
	v_fma_f32 v37, v40, v18, -v17
	ds_load_2addr_b64 v[14:17], v9 offset0:192 offset1:208
	v_dual_mul_f32 v25, v40, v19 :: v_dual_mul_f32 v38, v41, v21
	v_fmac_f32_e32 v25, v41, v18
	s_delay_alu instid0(VALU_DEP_1) | instskip(SKIP_4) | instid1(VALU_DEP_3)
	v_add_f32_e32 v34, v34, v25
	v_add_f32_e32 v33, v23, v33
	v_mul_f32_e32 v23, v40, v21
	v_mul_f32_e32 v25, v27, v19
	v_mul_f32_e32 v19, v26, v19
	v_fmac_f32_e32 v23, v41, v20
	s_delay_alu instid0(VALU_DEP_3) | instskip(NEXT) | instid1(VALU_DEP_2)
	v_fma_f32 v25, v26, v18, -v25
	v_dual_fmac_f32 v19, v27, v18 :: v_dual_add_f32 v18, v32, v23
	s_waitcnt lgkmcnt(0)
	v_dual_mul_f32 v32, v43, v15 :: v_dual_add_f32 v5, v5, v37
	v_fma_f32 v37, v40, v20, -v38
	s_delay_alu instid0(VALU_DEP_3) | instskip(NEXT) | instid1(VALU_DEP_3)
	v_add_f32_e32 v19, v24, v19
	v_fma_f32 v32, v42, v14, -v32
	s_delay_alu instid0(VALU_DEP_1) | instskip(NEXT) | instid1(VALU_DEP_4)
	v_add_f32_e32 v5, v5, v32
	v_add_f32_e32 v35, v35, v37
	v_mul_f32_e32 v37, v27, v21
	v_dual_mul_f32 v21, v26, v21 :: v_dual_mul_f32 v32, v29, v15
	s_delay_alu instid0(VALU_DEP_2) | instskip(NEXT) | instid1(VALU_DEP_2)
	v_fma_f32 v23, v26, v20, -v37
	v_dual_add_f32 v26, v36, v25 :: v_dual_fmac_f32 v21, v27, v20
	v_mul_f32_e32 v27, v42, v15
	v_mul_f32_e32 v15, v28, v15
	s_delay_alu instid0(VALU_DEP_4)
	v_add_f32_e32 v20, v22, v23
	ds_load_2addr_b64 v[22:25], v9 offset0:224 offset1:240
	v_fma_f32 v32, v28, v14, -v32
	v_dual_fmac_f32 v27, v43, v14 :: v_dual_mul_f32 v36, v42, v17
	v_fmac_f32_e32 v15, v29, v14
	s_waitcnt lgkmcnt(0)
	s_delay_alu instid0(VALU_DEP_3) | instskip(NEXT) | instid1(VALU_DEP_3)
	v_add_f32_e32 v14, v26, v32
	v_dual_add_f32 v27, v34, v27 :: v_dual_fmac_f32 v36, v43, v16
	s_delay_alu instid0(VALU_DEP_3)
	v_dual_mul_f32 v34, v29, v17 :: v_dual_add_f32 v15, v19, v15
	s_barrier
	buffer_gl0_inv
	v_mul_f32_e32 v26, v45, v23
	v_add_f32_e32 v21, v33, v21
	v_mul_f32_e32 v33, v43, v17
	v_mul_f32_e32 v17, v28, v17
	;; [unrolled: 1-line block ×3, first 2 shown]
	s_delay_alu instid0(VALU_DEP_3) | instskip(NEXT) | instid1(VALU_DEP_3)
	v_fma_f32 v33, v42, v16, -v33
	v_fmac_f32_e32 v17, v29, v16
	s_delay_alu instid0(VALU_DEP_3) | instskip(NEXT) | instid1(VALU_DEP_3)
	v_fmac_f32_e32 v19, v45, v24
	v_add_f32_e32 v33, v35, v33
	v_add_f32_e32 v35, v18, v36
	v_fma_f32 v18, v28, v16, -v34
	v_fma_f32 v16, v44, v22, -v26
	v_mul_f32_e32 v28, v44, v23
	v_dual_add_f32 v26, v21, v17 :: v_dual_mul_f32 v17, v30, v23
	s_delay_alu instid0(VALU_DEP_4) | instskip(NEXT) | instid1(VALU_DEP_4)
	v_dual_add_f32 v29, v20, v18 :: v_dual_mul_f32 v18, v45, v25
	v_add_f32_e32 v20, v5, v16
	v_mul_f32_e32 v16, v31, v23
	v_mul_f32_e32 v23, v31, v25
	;; [unrolled: 1-line block ×3, first 2 shown]
	v_fma_f32 v5, v44, v24, -v18
	v_fmac_f32_e32 v28, v45, v22
	v_fmac_f32_e32 v17, v31, v22
	v_add_f32_e32 v19, v35, v19
	s_delay_alu instid0(VALU_DEP_4)
	v_dual_fmac_f32 v25, v31, v24 :: v_dual_add_f32 v18, v33, v5
	v_fma_f32 v5, v30, v22, -v16
	v_fma_f32 v22, v30, v24, -v23
	v_add_f32_e32 v21, v27, v28
	v_add_f32_e32 v17, v15, v17
	;; [unrolled: 1-line block ×5, first 2 shown]
	s_cbranch_scc1 .LBB222_11
.LBB222_3:                              ; =>This Inner Loop Header: Depth=1
	v_add_nc_u32_e32 v5, s14, v11
	s_delay_alu instid0(VALU_DEP_1) | instskip(SKIP_1) | instid1(SALU_CYCLE_1)
	v_cmp_le_i32_e32 vcc_lo, s21, v5
	s_or_b32 s4, s3, vcc_lo
	s_and_saveexec_b32 s5, s4
	s_delay_alu instid0(SALU_CYCLE_1)
	s_xor_b32 s4, exec_lo, s5
	s_cbranch_execz .LBB222_5
; %bb.4:                                ;   in Loop: Header=BB222_3 Depth=1
	v_mov_b32_e32 v5, v4
	ds_store_b64 v12, v[4:5]
.LBB222_5:                              ;   in Loop: Header=BB222_3 Depth=1
	s_and_not1_saveexec_b32 s4, s4
	s_cbranch_execz .LBB222_7
; %bb.6:                                ;   in Loop: Header=BB222_3 Depth=1
	global_load_b64 v[22:23], v[0:1], off
	s_waitcnt vmcnt(0)
	ds_store_b64 v12, v[22:23]
.LBB222_7:                              ;   in Loop: Header=BB222_3 Depth=1
	s_or_b32 exec_lo, exec_lo, s4
	v_add_nc_u32_e32 v5, s14, v8
	s_delay_alu instid0(VALU_DEP_1) | instskip(SKIP_1) | instid1(SALU_CYCLE_1)
	v_cmp_le_i32_e32 vcc_lo, s21, v5
	s_or_b32 s4, vcc_lo, s2
	s_and_saveexec_b32 s5, s4
	s_delay_alu instid0(SALU_CYCLE_1)
	s_xor_b32 s4, exec_lo, s5
	s_cbranch_execz .LBB222_9
; %bb.8:                                ;   in Loop: Header=BB222_3 Depth=1
	v_mov_b32_e32 v5, v4
	ds_store_b64 v13, v[4:5]
.LBB222_9:                              ;   in Loop: Header=BB222_3 Depth=1
	s_and_not1_saveexec_b32 s4, s4
	s_cbranch_execz .LBB222_2
; %bb.10:                               ;   in Loop: Header=BB222_3 Depth=1
	global_load_b64 v[22:23], v[2:3], off
	s_waitcnt vmcnt(0)
	ds_store_b64 v13, v[22:23]
	s_branch .LBB222_2
.LBB222_11:
	s_clause 0x1
	s_load_b32 s2, s[0:1], 0x50
	s_load_b64 s[4:5], s[0:1], 0x58
	v_add_nc_u32_e32 v4, s13, v7
	v_add_nc_u32_e32 v0, s12, v6
	s_delay_alu instid0(VALU_DEP_1)
	v_cmp_le_i32_e64 s0, v4, v0
	v_cmp_gt_i32_e32 vcc_lo, s20, v0
	s_waitcnt lgkmcnt(0)
	v_mad_i64_i32 v[1:2], null, v4, s2, 0
	s_mul_i32 s1, s15, s5
	s_mul_hi_u32 s3, s15, s4
	s_mul_i32 s4, s15, s4
	s_add_i32 s5, s3, s1
	s_delay_alu instid0(SALU_CYCLE_1) | instskip(NEXT) | instid1(VALU_DEP_1)
	s_lshl_b64 s[4:5], s[4:5], 3
	v_lshlrev_b64 v[1:2], 3, v[1:2]
	s_add_u32 s3, s22, s4
	s_addc_u32 s4, s23, s5
	s_and_b32 s0, s0, vcc_lo
	s_delay_alu instid0(VALU_DEP_1) | instskip(NEXT) | instid1(VALU_DEP_1)
	v_add_co_u32 v5, s1, s3, v1
	v_add_co_ci_u32_e64 v6, s1, s4, v2, s1
	s_and_saveexec_b32 s1, s0
	s_cbranch_execz .LBB222_13
; %bb.12:
	v_ashrrev_i32_e32 v1, 31, v0
	s_delay_alu instid0(VALU_DEP_1) | instskip(NEXT) | instid1(VALU_DEP_1)
	v_lshlrev_b64 v[1:2], 3, v[0:1]
	v_add_co_u32 v1, s0, v5, v1
	s_delay_alu instid0(VALU_DEP_1)
	v_add_co_ci_u32_e64 v2, s0, v6, v2, s0
	global_load_b64 v[7:8], v[1:2], off
	v_mul_f32_e32 v3, s9, v21
	s_waitcnt vmcnt(0)
	v_dual_mul_f32 v9, s8, v21 :: v_dual_mul_f32 v10, s7, v8
	v_mul_f32_e32 v8, s6, v8
	s_delay_alu instid0(VALU_DEP_3) | instskip(NEXT) | instid1(VALU_DEP_3)
	v_fma_f32 v3, v20, s8, -v3
	v_fmac_f32_e32 v9, s9, v20
	s_delay_alu instid0(VALU_DEP_4) | instskip(NEXT) | instid1(VALU_DEP_1)
	v_fma_f32 v10, v7, s6, -v10
	v_dual_fmac_f32 v8, s7, v7 :: v_dual_add_f32 v7, v3, v10
	s_delay_alu instid0(VALU_DEP_1)
	v_add_f32_e32 v8, v9, v8
	global_store_b64 v[1:2], v[7:8], off
.LBB222_13:
	s_or_b32 exec_lo, exec_lo, s1
	v_add_nc_u32_e32 v2, 16, v0
	s_delay_alu instid0(VALU_DEP_1) | instskip(SKIP_1) | instid1(VALU_DEP_1)
	v_cmp_le_i32_e64 s1, v4, v2
	v_cmp_gt_i32_e64 s0, s20, v2
	s_and_b32 s1, s1, s0
	s_delay_alu instid0(SALU_CYCLE_1)
	s_and_saveexec_b32 s5, s1
	s_cbranch_execz .LBB222_15
; %bb.14:
	v_ashrrev_i32_e32 v3, 31, v2
	s_delay_alu instid0(VALU_DEP_1) | instskip(SKIP_1) | instid1(VALU_DEP_1)
	v_lshlrev_b64 v[7:8], 3, v[2:3]
	v_mul_f32_e32 v3, s8, v19
	v_fmac_f32_e32 v3, s9, v18
	s_delay_alu instid0(VALU_DEP_3) | instskip(NEXT) | instid1(VALU_DEP_1)
	v_add_co_u32 v5, s1, v5, v7
	v_add_co_ci_u32_e64 v6, s1, v6, v8, s1
	global_load_b64 v[7:8], v[5:6], off
	v_mul_f32_e32 v1, s9, v19
	s_waitcnt vmcnt(0)
	v_mul_f32_e32 v9, s7, v8
	v_mul_f32_e32 v8, s6, v8
	s_delay_alu instid0(VALU_DEP_3) | instskip(NEXT) | instid1(VALU_DEP_2)
	v_fma_f32 v1, v18, s8, -v1
	v_fmac_f32_e32 v8, s7, v7
	s_delay_alu instid0(VALU_DEP_4) | instskip(NEXT) | instid1(VALU_DEP_1)
	v_fma_f32 v9, v7, s6, -v9
	v_dual_add_f32 v8, v3, v8 :: v_dual_add_f32 v7, v1, v9
	global_store_b64 v[5:6], v[7:8], off
.LBB222_15:
	s_or_b32 exec_lo, exec_lo, s5
	v_add_nc_u32_e32 v3, 16, v4
	s_delay_alu instid0(VALU_DEP_1) | instskip(SKIP_1) | instid1(VALU_DEP_2)
	v_mad_i64_i32 v[4:5], null, v3, s2, 0
	v_cmp_le_i32_e64 s1, v3, v0
	v_lshlrev_b64 v[4:5], 3, v[4:5]
	s_delay_alu instid0(VALU_DEP_1) | instskip(NEXT) | instid1(VALU_DEP_1)
	v_add_co_u32 v4, s2, s3, v4
	v_add_co_ci_u32_e64 v5, s2, s4, v5, s2
	s_delay_alu instid0(VALU_DEP_4) | instskip(NEXT) | instid1(SALU_CYCLE_1)
	s_and_b32 s2, s1, vcc_lo
	s_and_saveexec_b32 s1, s2
	s_cbranch_execz .LBB222_17
; %bb.16:
	v_ashrrev_i32_e32 v1, 31, v0
	s_delay_alu instid0(VALU_DEP_1) | instskip(NEXT) | instid1(VALU_DEP_1)
	v_lshlrev_b64 v[0:1], 3, v[0:1]
	v_add_co_u32 v0, vcc_lo, v4, v0
	s_delay_alu instid0(VALU_DEP_2)
	v_add_co_ci_u32_e32 v1, vcc_lo, v5, v1, vcc_lo
	global_load_b64 v[6:7], v[0:1], off
	v_mul_f32_e32 v8, s9, v17
	s_waitcnt vmcnt(0)
	v_dual_mul_f32 v9, s8, v17 :: v_dual_mul_f32 v10, s7, v7
	v_mul_f32_e32 v7, s6, v7
	s_delay_alu instid0(VALU_DEP_3) | instskip(NEXT) | instid1(VALU_DEP_3)
	v_fma_f32 v8, v16, s8, -v8
	v_fma_f32 v10, v6, s6, -v10
	s_delay_alu instid0(VALU_DEP_4) | instskip(NEXT) | instid1(VALU_DEP_4)
	v_fmac_f32_e32 v9, s9, v16
	v_fmac_f32_e32 v7, s7, v6
	s_delay_alu instid0(VALU_DEP_1)
	v_dual_add_f32 v6, v8, v10 :: v_dual_add_f32 v7, v9, v7
	global_store_b64 v[0:1], v[6:7], off
.LBB222_17:
	s_or_b32 exec_lo, exec_lo, s1
	v_cmp_le_i32_e32 vcc_lo, v3, v2
	s_and_b32 s0, vcc_lo, s0
	s_delay_alu instid0(SALU_CYCLE_1)
	s_and_saveexec_b32 s1, s0
	s_cbranch_execz .LBB222_19
; %bb.18:
	v_ashrrev_i32_e32 v3, 31, v2
	s_delay_alu instid0(VALU_DEP_1) | instskip(NEXT) | instid1(VALU_DEP_1)
	v_lshlrev_b64 v[0:1], 3, v[2:3]
	v_add_co_u32 v0, vcc_lo, v4, v0
	s_delay_alu instid0(VALU_DEP_2) | instskip(SKIP_4) | instid1(VALU_DEP_1)
	v_add_co_ci_u32_e32 v1, vcc_lo, v5, v1, vcc_lo
	global_load_b64 v[2:3], v[0:1], off
	s_waitcnt vmcnt(0)
	v_mul_f32_e32 v6, s7, v3
	v_mul_f32_e32 v3, s6, v3
	v_fmac_f32_e32 v3, s7, v2
	s_delay_alu instid0(VALU_DEP_3) | instskip(SKIP_1) | instid1(VALU_DEP_1)
	v_fma_f32 v6, v2, s6, -v6
	v_mul_f32_e32 v5, s8, v15
	v_dual_mul_f32 v4, s9, v15 :: v_dual_fmac_f32 v5, s9, v14
	s_delay_alu instid0(VALU_DEP_1) | instskip(NEXT) | instid1(VALU_DEP_1)
	v_fma_f32 v4, v14, s8, -v4
	v_dual_add_f32 v3, v5, v3 :: v_dual_add_f32 v2, v4, v6
	global_store_b64 v[0:1], v[2:3], off
.LBB222_19:
	s_nop 0
	s_sendmsg sendmsg(MSG_DEALLOC_VGPRS)
	s_endpgm
	.section	.rodata,"a",@progbits
	.p2align	6, 0x0
	.amdhsa_kernel _ZL34rocblas_syrkx_herkx_general_kernelIi19rocblas_complex_numIfELi16ELi32ELi8ELb0ELb0ELc84ELc76EKS1_S1_EviT_T0_PT8_S3_lS6_S3_lS4_PT9_S3_li
		.amdhsa_group_segment_fixed_size 4096
		.amdhsa_private_segment_fixed_size 0
		.amdhsa_kernarg_size 100
		.amdhsa_user_sgpr_count 13
		.amdhsa_user_sgpr_dispatch_ptr 0
		.amdhsa_user_sgpr_queue_ptr 0
		.amdhsa_user_sgpr_kernarg_segment_ptr 1
		.amdhsa_user_sgpr_dispatch_id 0
		.amdhsa_user_sgpr_private_segment_size 0
		.amdhsa_wavefront_size32 1
		.amdhsa_uses_dynamic_stack 0
		.amdhsa_enable_private_segment 0
		.amdhsa_system_sgpr_workgroup_id_x 1
		.amdhsa_system_sgpr_workgroup_id_y 1
		.amdhsa_system_sgpr_workgroup_id_z 1
		.amdhsa_system_sgpr_workgroup_info 0
		.amdhsa_system_vgpr_workitem_id 1
		.amdhsa_next_free_vgpr 59
		.amdhsa_next_free_sgpr 25
		.amdhsa_reserve_vcc 1
		.amdhsa_float_round_mode_32 0
		.amdhsa_float_round_mode_16_64 0
		.amdhsa_float_denorm_mode_32 3
		.amdhsa_float_denorm_mode_16_64 3
		.amdhsa_dx10_clamp 1
		.amdhsa_ieee_mode 1
		.amdhsa_fp16_overflow 0
		.amdhsa_workgroup_processor_mode 1
		.amdhsa_memory_ordered 1
		.amdhsa_forward_progress 0
		.amdhsa_shared_vgpr_count 0
		.amdhsa_exception_fp_ieee_invalid_op 0
		.amdhsa_exception_fp_denorm_src 0
		.amdhsa_exception_fp_ieee_div_zero 0
		.amdhsa_exception_fp_ieee_overflow 0
		.amdhsa_exception_fp_ieee_underflow 0
		.amdhsa_exception_fp_ieee_inexact 0
		.amdhsa_exception_int_div_zero 0
	.end_amdhsa_kernel
	.section	.text._ZL34rocblas_syrkx_herkx_general_kernelIi19rocblas_complex_numIfELi16ELi32ELi8ELb0ELb0ELc84ELc76EKS1_S1_EviT_T0_PT8_S3_lS6_S3_lS4_PT9_S3_li,"axG",@progbits,_ZL34rocblas_syrkx_herkx_general_kernelIi19rocblas_complex_numIfELi16ELi32ELi8ELb0ELb0ELc84ELc76EKS1_S1_EviT_T0_PT8_S3_lS6_S3_lS4_PT9_S3_li,comdat
.Lfunc_end222:
	.size	_ZL34rocblas_syrkx_herkx_general_kernelIi19rocblas_complex_numIfELi16ELi32ELi8ELb0ELb0ELc84ELc76EKS1_S1_EviT_T0_PT8_S3_lS6_S3_lS4_PT9_S3_li, .Lfunc_end222-_ZL34rocblas_syrkx_herkx_general_kernelIi19rocblas_complex_numIfELi16ELi32ELi8ELb0ELb0ELc84ELc76EKS1_S1_EviT_T0_PT8_S3_lS6_S3_lS4_PT9_S3_li
                                        ; -- End function
	.section	.AMDGPU.csdata,"",@progbits
; Kernel info:
; codeLenInByte = 2636
; NumSgprs: 27
; NumVgprs: 59
; ScratchSize: 0
; MemoryBound: 1
; FloatMode: 240
; IeeeMode: 1
; LDSByteSize: 4096 bytes/workgroup (compile time only)
; SGPRBlocks: 3
; VGPRBlocks: 7
; NumSGPRsForWavesPerEU: 27
; NumVGPRsForWavesPerEU: 59
; Occupancy: 16
; WaveLimiterHint : 0
; COMPUTE_PGM_RSRC2:SCRATCH_EN: 0
; COMPUTE_PGM_RSRC2:USER_SGPR: 13
; COMPUTE_PGM_RSRC2:TRAP_HANDLER: 0
; COMPUTE_PGM_RSRC2:TGID_X_EN: 1
; COMPUTE_PGM_RSRC2:TGID_Y_EN: 1
; COMPUTE_PGM_RSRC2:TGID_Z_EN: 1
; COMPUTE_PGM_RSRC2:TIDIG_COMP_CNT: 1
	.section	.text._ZL34rocblas_syrkx_herkx_general_kernelIi19rocblas_complex_numIfELi16ELi32ELi8ELb0ELb0ELc67ELc76EKS1_S1_EviT_T0_PT8_S3_lS6_S3_lS4_PT9_S3_li,"axG",@progbits,_ZL34rocblas_syrkx_herkx_general_kernelIi19rocblas_complex_numIfELi16ELi32ELi8ELb0ELb0ELc67ELc76EKS1_S1_EviT_T0_PT8_S3_lS6_S3_lS4_PT9_S3_li,comdat
	.globl	_ZL34rocblas_syrkx_herkx_general_kernelIi19rocblas_complex_numIfELi16ELi32ELi8ELb0ELb0ELc67ELc76EKS1_S1_EviT_T0_PT8_S3_lS6_S3_lS4_PT9_S3_li ; -- Begin function _ZL34rocblas_syrkx_herkx_general_kernelIi19rocblas_complex_numIfELi16ELi32ELi8ELb0ELb0ELc67ELc76EKS1_S1_EviT_T0_PT8_S3_lS6_S3_lS4_PT9_S3_li
	.p2align	8
	.type	_ZL34rocblas_syrkx_herkx_general_kernelIi19rocblas_complex_numIfELi16ELi32ELi8ELb0ELb0ELc67ELc76EKS1_S1_EviT_T0_PT8_S3_lS6_S3_lS4_PT9_S3_li,@function
_ZL34rocblas_syrkx_herkx_general_kernelIi19rocblas_complex_numIfELi16ELi32ELi8ELb0ELb0ELc67ELc76EKS1_S1_EviT_T0_PT8_S3_lS6_S3_lS4_PT9_S3_li: ; @_ZL34rocblas_syrkx_herkx_general_kernelIi19rocblas_complex_numIfELi16ELi32ELi8ELb0ELb0ELc67ELc76EKS1_S1_EviT_T0_PT8_S3_lS6_S3_lS4_PT9_S3_li
; %bb.0:
	s_clause 0x3
	s_load_b64 s[20:21], s[0:1], 0x0
	s_load_b128 s[8:11], s[0:1], 0x8
	s_load_b128 s[4:7], s[0:1], 0x38
	s_load_b64 s[22:23], s[0:1], 0x48
	v_dual_mov_b32 v22, 0 :: v_dual_and_b32 v7, 0x3ff, v0
	v_bfe_u32 v8, v0, 10, 10
	v_dual_mov_b32 v21, 0 :: v_dual_mov_b32 v20, 0
	v_dual_mov_b32 v19, 0 :: v_dual_mov_b32 v18, 0
	;; [unrolled: 1-line block ×3, first 2 shown]
	v_mov_b32_e32 v15, 0
	s_lshl_b32 s12, s13, 5
	s_lshl_b32 s13, s14, 5
	s_mov_b32 s14, 0
	s_waitcnt lgkmcnt(0)
	s_cmp_lt_i32 s21, 1
	s_cbranch_scc1 .LBB223_9
; %bb.1:
	s_load_b32 s2, s[0:1], 0x18
	v_lshl_add_u32 v0, v8, 4, v7
	s_clause 0x1
	s_load_b128 s[16:19], s[0:1], 0x20
	s_load_b32 s3, s[0:1], 0x30
	v_and_b32_e32 v9, 7, v7
	v_dual_mov_b32 v17, 0 :: v_dual_lshlrev_b32 v10, 3, v7
	v_and_b32_e32 v2, 31, v0
	v_lshrrev_b32_e32 v1, 3, v0
	s_delay_alu instid0(VALU_DEP_4) | instskip(SKIP_1) | instid1(VALU_DEP_4)
	v_dual_mov_b32 v19, 0 :: v_dual_lshlrev_b32 v4, 3, v9
	v_lshrrev_b32_e32 v12, 5, v0
	v_dual_mov_b32 v21, 0 :: v_dual_add_nc_u32 v6, s12, v2
	s_delay_alu instid0(VALU_DEP_4) | instskip(NEXT) | instid1(VALU_DEP_4)
	v_dual_mov_b32 v16, 0 :: v_dual_add_nc_u32 v5, s13, v1
	v_lshl_or_b32 v14, v1, 6, v4
	v_or_b32_e32 v3, s12, v2
	v_lshlrev_b32_e32 v2, 3, v2
	v_dual_mov_b32 v18, 0 :: v_dual_lshlrev_b32 v15, 3, v12
	s_waitcnt lgkmcnt(0)
	v_mad_i64_i32 v[0:1], null, s2, v6, 0
	s_mul_i32 s17, s17, s15
	s_mul_hi_u32 s24, s16, s15
	v_cmp_gt_i32_e32 vcc_lo, s20, v3
	v_lshl_or_b32 v13, v12, 8, v2
	v_mad_i64_i32 v[2:3], null, s3, v5, 0
	s_delay_alu instid0(VALU_DEP_4)
	v_lshlrev_b64 v[0:1], 3, v[0:1]
	s_mul_i32 s16, s16, s15
	s_add_i32 s17, s24, s17
	v_cmp_gt_i32_e64 s2, s20, v5
	s_lshl_b64 s[16:17], s[16:17], 3
	v_lshl_add_u32 v11, v8, 6, 0x800
	v_add_co_u32 v5, s3, v0, s16
	s_delay_alu instid0(VALU_DEP_1)
	v_add_co_ci_u32_e64 v6, s3, s17, v1, s3
	s_mul_i32 s3, s5, s15
	s_mul_hi_u32 s5, s4, s15
	v_lshlrev_b64 v[0:1], 3, v[2:3]
	s_add_i32 s5, s5, s3
	s_mul_i32 s4, s4, s15
	v_add_co_u32 v2, s3, v5, v15
	s_lshl_b64 s[4:5], s[4:5], 3
	v_add_co_ci_u32_e64 v3, s3, 0, v6, s3
	v_add_co_u32 v0, s3, v0, s4
	s_delay_alu instid0(VALU_DEP_1) | instskip(SKIP_1) | instid1(VALU_DEP_1)
	v_add_co_ci_u32_e64 v1, s3, s5, v1, s3
	v_add_co_u32 v2, s3, v2, s10
	v_add_co_ci_u32_e64 v3, s3, s11, v3, s3
	s_delay_alu instid0(VALU_DEP_4) | instskip(NEXT) | instid1(VALU_DEP_1)
	v_add_co_u32 v4, s3, v0, v4
	v_add_co_ci_u32_e64 v5, s3, 0, v1, s3
	s_delay_alu instid0(VALU_DEP_4) | instskip(NEXT) | instid1(VALU_DEP_1)
	v_add_co_u32 v0, s3, v2, 4
	v_add_co_ci_u32_e64 v1, s3, 0, v3, s3
	s_delay_alu instid0(VALU_DEP_4)
	v_add_co_u32 v2, s3, s18, v4
	v_add_nc_u32_e32 v14, 0x800, v14
	v_add_co_ci_u32_e64 v3, s3, s19, v5, s3
	v_dual_mov_b32 v4, 0 :: v_dual_mov_b32 v15, 0
	v_mov_b32_e32 v20, 0
	v_mov_b32_e32 v22, 0
	s_xor_b32 s3, s2, -1
	s_branch .LBB223_3
.LBB223_2:                              ;   in Loop: Header=BB223_3 Depth=1
	s_or_b32 exec_lo, exec_lo, s2
	s_waitcnt lgkmcnt(0)
	s_barrier
	buffer_gl0_inv
	ds_load_2addr_b64 v[23:26], v10 offset1:16
	ds_load_b128 v[27:30], v11
	ds_load_b128 v[31:34], v11 offset:1024
	ds_load_b128 v[35:38], v11 offset:16
	;; [unrolled: 1-line block ×4, first 2 shown]
	ds_load_2addr_b64 v[47:50], v10 offset0:32 offset1:48
	ds_load_b128 v[51:54], v11 offset:1040
	v_add_co_u32 v0, s2, v0, 64
	s_delay_alu instid0(VALU_DEP_1) | instskip(SKIP_1) | instid1(VALU_DEP_1)
	v_add_co_ci_u32_e64 v1, s2, 0, v1, s2
	v_add_co_u32 v2, s2, v2, 64
	v_add_co_ci_u32_e64 v3, s2, 0, v3, s2
	s_add_i32 s14, s14, 8
	s_delay_alu instid0(SALU_CYCLE_1)
	s_cmp_ge_i32 s14, s21
	s_waitcnt lgkmcnt(6)
	v_dual_mul_f32 v5, v28, v24 :: v_dual_mul_f32 v56, v27, v26
	v_dual_mul_f32 v6, v27, v24 :: v_dual_mul_f32 v55, v28, v26
	s_waitcnt lgkmcnt(5)
	v_mul_f32_e32 v57, v32, v24
	s_delay_alu instid0(VALU_DEP_3)
	v_fma_f32 v5, v27, v23, -v5
	v_fmac_f32_e32 v56, v28, v25
	v_fmac_f32_e32 v6, v28, v23
	v_fma_f32 v27, v27, v25, -v55
	v_mul_f32_e32 v58, v32, v26
	v_mul_f32_e32 v26, v31, v26
	v_fma_f32 v28, v31, v23, -v57
	v_dual_mul_f32 v24, v31, v24 :: v_dual_add_f32 v5, v21, v5
	s_delay_alu instid0(VALU_DEP_3) | instskip(NEXT) | instid1(VALU_DEP_3)
	v_dual_add_f32 v21, v19, v27 :: v_dual_fmac_f32 v26, v32, v25
	v_add_f32_e32 v27, v17, v28
	s_waitcnt lgkmcnt(1)
	v_mul_f32_e32 v28, v30, v48
	v_fmac_f32_e32 v24, v32, v23
	v_fma_f32 v23, v31, v25, -v58
	s_delay_alu instid0(VALU_DEP_3) | instskip(SKIP_1) | instid1(VALU_DEP_3)
	v_fma_f32 v25, v29, v47, -v28
	v_mul_f32_e32 v28, v30, v50
	v_dual_add_f32 v6, v22, v6 :: v_dual_add_f32 v15, v15, v23
	v_mul_f32_e32 v23, v29, v48
	s_delay_alu instid0(VALU_DEP_4) | instskip(NEXT) | instid1(VALU_DEP_4)
	v_dual_add_f32 v5, v5, v25 :: v_dual_add_f32 v22, v20, v56
	v_fma_f32 v25, v29, v49, -v28
	v_add_f32_e32 v24, v18, v24
	ds_load_2addr_b64 v[17:20], v10 offset0:64 offset1:80
	v_fmac_f32_e32 v23, v30, v47
	v_dual_mul_f32 v28, v34, v48 :: v_dual_add_f32 v25, v21, v25
	s_delay_alu instid0(VALU_DEP_2)
	v_dual_add_f32 v6, v6, v23 :: v_dual_mul_f32 v23, v33, v48
	v_add_f32_e32 v16, v16, v26
	v_mul_f32_e32 v26, v29, v50
	v_mul_f32_e32 v29, v33, v50
	v_fma_f32 v21, v33, v47, -v28
	v_fmac_f32_e32 v23, v34, v47
	s_delay_alu instid0(VALU_DEP_3) | instskip(SKIP_1) | instid1(VALU_DEP_4)
	v_fmac_f32_e32 v29, v34, v49
	v_fmac_f32_e32 v26, v30, v49
	v_add_f32_e32 v27, v27, v21
	s_delay_alu instid0(VALU_DEP_2) | instskip(SKIP_2) | instid1(VALU_DEP_1)
	v_dual_add_f32 v29, v16, v29 :: v_dual_add_f32 v26, v22, v26
	s_waitcnt lgkmcnt(0)
	v_mul_f32_e32 v22, v36, v18
	v_fma_f32 v31, v35, v17, -v22
	s_delay_alu instid0(VALU_DEP_1) | instskip(NEXT) | instid1(VALU_DEP_1)
	v_dual_add_f32 v5, v5, v31 :: v_dual_mul_f32 v32, v36, v20
	v_fma_f32 v31, v35, v19, -v32
	s_delay_alu instid0(VALU_DEP_1) | instskip(NEXT) | instid1(VALU_DEP_1)
	v_dual_mul_f32 v28, v34, v50 :: v_dual_add_f32 v25, v25, v31
	v_fma_f32 v21, v33, v49, -v28
	v_add_f32_e32 v28, v24, v23
	v_mul_f32_e32 v16, v35, v20
	v_mul_f32_e32 v31, v52, v20
	;; [unrolled: 1-line block ×3, first 2 shown]
	v_add_f32_e32 v15, v15, v21
	ds_load_2addr_b64 v[21:24], v10 offset0:96 offset1:112
	v_mul_f32_e32 v30, v35, v18
	v_fmac_f32_e32 v16, v36, v19
	v_fmac_f32_e32 v20, v52, v19
	s_delay_alu instid0(VALU_DEP_3) | instskip(NEXT) | instid1(VALU_DEP_3)
	v_fmac_f32_e32 v30, v36, v17
	v_add_f32_e32 v32, v26, v16
	s_delay_alu instid0(VALU_DEP_3) | instskip(SKIP_1) | instid1(VALU_DEP_4)
	v_add_f32_e32 v29, v29, v20
	v_fma_f32 v16, v51, v19, -v31
	v_add_f32_e32 v6, v6, v30
	s_delay_alu instid0(VALU_DEP_2) | instskip(SKIP_3) | instid1(VALU_DEP_3)
	v_dual_mul_f32 v30, v52, v18 :: v_dual_add_f32 v33, v15, v16
	s_waitcnt lgkmcnt(0)
	v_mul_f32_e32 v35, v54, v24
	v_mul_f32_e32 v20, v37, v24
	v_fma_f32 v30, v51, v17, -v30
	v_mul_f32_e32 v19, v38, v22
	s_delay_alu instid0(VALU_DEP_3) | instskip(NEXT) | instid1(VALU_DEP_2)
	v_fmac_f32_e32 v20, v38, v23
	v_fma_f32 v19, v37, v21, -v19
	s_delay_alu instid0(VALU_DEP_2) | instskip(SKIP_2) | instid1(VALU_DEP_4)
	v_add_f32_e32 v36, v32, v20
	v_fma_f32 v20, v53, v23, -v35
	v_dual_add_f32 v30, v27, v30 :: v_dual_mul_f32 v27, v38, v24
	v_add_f32_e32 v5, v5, v19
	v_dual_mul_f32 v19, v54, v22 :: v_dual_mul_f32 v24, v53, v24
	s_delay_alu instid0(VALU_DEP_3) | instskip(NEXT) | instid1(VALU_DEP_2)
	v_fma_f32 v27, v37, v23, -v27
	v_fma_f32 v19, v53, v21, -v19
	s_delay_alu instid0(VALU_DEP_3) | instskip(SKIP_1) | instid1(VALU_DEP_4)
	v_dual_fmac_f32 v24, v54, v23 :: v_dual_add_f32 v23, v33, v20
	v_mul_f32_e32 v18, v51, v18
	v_add_f32_e32 v34, v25, v27
	v_mul_f32_e32 v26, v37, v22
	v_dual_mul_f32 v22, v53, v22 :: v_dual_add_f32 v35, v30, v19
	v_add_f32_e32 v24, v29, v24
	s_delay_alu instid0(VALU_DEP_2) | instskip(SKIP_1) | instid1(VALU_DEP_1)
	v_fmac_f32_e32 v22, v54, v21
	v_fmac_f32_e32 v18, v52, v17
	v_add_f32_e32 v31, v28, v18
	ds_load_2addr_b64 v[15:18], v10 offset0:128 offset1:144
	v_add_f32_e32 v37, v31, v22
	s_waitcnt lgkmcnt(0)
	v_mul_f32_e32 v19, v40, v16
	v_mul_f32_e32 v31, v40, v18
	;; [unrolled: 1-line block ×3, first 2 shown]
	s_delay_alu instid0(VALU_DEP_3)
	v_fma_f32 v30, v39, v15, -v19
	v_fmac_f32_e32 v26, v38, v21
	ds_load_2addr_b64 v[19:22], v10 offset0:160 offset1:176
	v_mul_f32_e32 v38, v39, v18
	v_fma_f32 v39, v39, v17, -v31
	v_add_f32_e32 v5, v5, v30
	v_add_f32_e32 v6, v6, v26
	ds_load_b128 v[25:28], v11 offset:1056
	ds_load_b128 v[29:32], v11 offset:1072
	v_fmac_f32_e32 v38, v40, v17
	v_fmac_f32_e32 v33, v40, v15
	s_delay_alu instid0(VALU_DEP_2) | instskip(SKIP_3) | instid1(VALU_DEP_2)
	v_add_f32_e32 v36, v36, v38
	s_waitcnt lgkmcnt(1)
	v_dual_mul_f32 v38, v25, v18 :: v_dual_mul_f32 v47, v26, v16
	v_mul_f32_e32 v16, v25, v16
	v_fmac_f32_e32 v38, v26, v17
	s_delay_alu instid0(VALU_DEP_1) | instskip(SKIP_1) | instid1(VALU_DEP_1)
	v_add_f32_e32 v38, v24, v38
	v_mul_f32_e32 v24, v41, v22
	v_fmac_f32_e32 v24, v42, v21
	v_add_f32_e32 v6, v6, v33
	v_add_f32_e32 v33, v34, v39
	v_fma_f32 v34, v25, v15, -v47
	v_mul_f32_e32 v39, v26, v18
	v_mul_f32_e32 v18, v42, v20
	s_delay_alu instid0(VALU_DEP_3) | instskip(NEXT) | instid1(VALU_DEP_2)
	v_add_f32_e32 v34, v35, v34
	v_fma_f32 v35, v41, v19, -v18
	s_delay_alu instid0(VALU_DEP_1) | instskip(SKIP_3) | instid1(VALU_DEP_3)
	v_add_f32_e32 v5, v5, v35
	v_fmac_f32_e32 v16, v26, v15
	v_fma_f32 v15, v25, v17, -v39
	v_mul_f32_e32 v26, v41, v20
	v_add_f32_e32 v25, v37, v16
	s_delay_alu instid0(VALU_DEP_3) | instskip(SKIP_3) | instid1(VALU_DEP_2)
	v_add_f32_e32 v23, v23, v15
	ds_load_2addr_b64 v[15:18], v10 offset0:192 offset1:208
	v_mul_f32_e32 v37, v42, v22
	v_fmac_f32_e32 v26, v42, v19
	v_fma_f32 v35, v41, v21, -v37
	s_delay_alu instid0(VALU_DEP_2) | instskip(SKIP_1) | instid1(VALU_DEP_3)
	v_add_f32_e32 v6, v6, v26
	v_mul_f32_e32 v26, v28, v20
	v_dual_mul_f32 v20, v27, v20 :: v_dual_add_f32 v33, v33, v35
	v_mul_f32_e32 v35, v28, v22
	s_delay_alu instid0(VALU_DEP_3) | instskip(NEXT) | instid1(VALU_DEP_3)
	v_fma_f32 v26, v27, v19, -v26
	v_fmac_f32_e32 v20, v28, v19
	v_dual_add_f32 v19, v36, v24 :: v_dual_mul_f32 v22, v27, v22
	s_delay_alu instid0(VALU_DEP_4) | instskip(NEXT) | instid1(VALU_DEP_3)
	v_fma_f32 v24, v27, v21, -v35
	v_dual_add_f32 v27, v34, v26 :: v_dual_add_f32 v20, v25, v20
	s_waitcnt lgkmcnt(0)
	v_mul_f32_e32 v34, v44, v16
	s_delay_alu instid0(VALU_DEP_3)
	v_dual_fmac_f32 v22, v28, v21 :: v_dual_add_f32 v21, v23, v24
	ds_load_2addr_b64 v[23:26], v10 offset0:224 offset1:240
	v_mul_f32_e32 v28, v43, v16
	v_fma_f32 v34, v43, v15, -v34
	v_mul_f32_e32 v35, v44, v18
	v_mul_f32_e32 v36, v43, v18
	s_waitcnt lgkmcnt(0)
	s_delay_alu instid0(VALU_DEP_3) | instskip(SKIP_3) | instid1(VALU_DEP_4)
	v_dual_fmac_f32 v28, v44, v15 :: v_dual_add_f32 v5, v5, v34
	v_mul_f32_e32 v34, v30, v16
	v_fma_f32 v35, v43, v17, -v35
	v_fmac_f32_e32 v36, v44, v17
	v_add_f32_e32 v6, v6, v28
	v_mul_f32_e32 v16, v29, v16
	v_fma_f32 v28, v29, v15, -v34
	v_dual_mul_f32 v34, v30, v18 :: v_dual_add_f32 v33, v33, v35
	s_delay_alu instid0(VALU_DEP_3) | instskip(NEXT) | instid1(VALU_DEP_3)
	v_dual_add_f32 v35, v19, v36 :: v_dual_fmac_f32 v16, v30, v15
	v_dual_add_f32 v15, v27, v28 :: v_dual_mul_f32 v18, v29, v18
	s_delay_alu instid0(VALU_DEP_3) | instskip(SKIP_3) | instid1(VALU_DEP_4)
	v_fma_f32 v19, v29, v17, -v34
	v_mul_f32_e32 v27, v46, v24
	v_mul_f32_e32 v28, v45, v24
	v_add_f32_e32 v16, v20, v16
	v_dual_fmac_f32 v18, v30, v17 :: v_dual_add_f32 v29, v21, v19
	s_delay_alu instid0(VALU_DEP_4)
	v_fma_f32 v17, v45, v23, -v27
	v_mul_f32_e32 v19, v46, v26
	v_fmac_f32_e32 v28, v46, v23
	v_mul_f32_e32 v20, v45, v26
	s_barrier
	v_add_f32_e32 v21, v5, v17
	v_mul_f32_e32 v17, v32, v26
	v_fma_f32 v5, v45, v25, -v19
	v_fmac_f32_e32 v20, v46, v25
	buffer_gl0_inv
	v_dual_add_f32 v19, v33, v5 :: v_dual_add_f32 v22, v38, v22
	s_delay_alu instid0(VALU_DEP_1) | instskip(SKIP_4) | instid1(VALU_DEP_3)
	v_dual_add_f32 v20, v35, v20 :: v_dual_add_f32 v27, v22, v18
	v_add_f32_e32 v22, v6, v28
	v_mul_f32_e32 v6, v32, v24
	v_mul_f32_e32 v18, v31, v24
	;; [unrolled: 1-line block ×3, first 2 shown]
	v_fma_f32 v5, v31, v23, -v6
	s_delay_alu instid0(VALU_DEP_3) | instskip(SKIP_1) | instid1(VALU_DEP_4)
	v_fmac_f32_e32 v18, v32, v23
	v_fma_f32 v6, v31, v25, -v17
	v_fmac_f32_e32 v24, v32, v25
	s_delay_alu instid0(VALU_DEP_3) | instskip(NEXT) | instid1(VALU_DEP_2)
	v_dual_add_f32 v17, v15, v5 :: v_dual_add_f32 v18, v16, v18
	v_dual_add_f32 v15, v29, v6 :: v_dual_add_f32 v16, v27, v24
	s_cbranch_scc1 .LBB223_9
.LBB223_3:                              ; =>This Inner Loop Header: Depth=1
	v_dual_mov_b32 v6, 0 :: v_dual_add_nc_u32 v5, s14, v12
	s_delay_alu instid0(VALU_DEP_1) | instskip(SKIP_1) | instid1(VALU_DEP_2)
	v_cmp_gt_i32_e64 s2, s21, v5
	v_mov_b32_e32 v5, 0
	s_and_b32 s4, vcc_lo, s2
	s_delay_alu instid0(SALU_CYCLE_1)
	s_and_saveexec_b32 s2, s4
	s_cbranch_execz .LBB223_5
; %bb.4:                                ;   in Loop: Header=BB223_3 Depth=1
	global_load_b64 v[5:6], v[0:1], off offset:-4
.LBB223_5:                              ;   in Loop: Header=BB223_3 Depth=1
	s_or_b32 exec_lo, exec_lo, s2
	v_add_nc_u32_e32 v23, s14, v9
	s_waitcnt vmcnt(0)
	ds_store_b64 v13, v[5:6]
	v_cmp_le_i32_e64 s2, s21, v23
	s_delay_alu instid0(VALU_DEP_1) | instskip(NEXT) | instid1(SALU_CYCLE_1)
	s_or_b32 s2, s2, s3
	s_and_saveexec_b32 s4, s2
	s_delay_alu instid0(SALU_CYCLE_1)
	s_xor_b32 s2, exec_lo, s4
	s_cbranch_execz .LBB223_7
; %bb.6:                                ;   in Loop: Header=BB223_3 Depth=1
	v_mov_b32_e32 v5, v4
	ds_store_b64 v14, v[4:5]
.LBB223_7:                              ;   in Loop: Header=BB223_3 Depth=1
	s_and_not1_saveexec_b32 s2, s2
	s_cbranch_execz .LBB223_2
; %bb.8:                                ;   in Loop: Header=BB223_3 Depth=1
	global_load_b64 v[5:6], v[2:3], off
	s_waitcnt vmcnt(0)
	ds_store_b64 v14, v[5:6]
	s_branch .LBB223_2
.LBB223_9:
	s_clause 0x1
	s_load_b32 s2, s[0:1], 0x50
	s_load_b64 s[4:5], s[0:1], 0x58
	v_add_nc_u32_e32 v4, s13, v8
	v_add_nc_u32_e32 v0, s12, v7
	s_delay_alu instid0(VALU_DEP_1)
	v_cmp_le_i32_e64 s0, v4, v0
	v_cmp_gt_i32_e32 vcc_lo, s20, v0
	s_waitcnt lgkmcnt(0)
	v_mad_i64_i32 v[1:2], null, v4, s2, 0
	s_mul_i32 s1, s15, s5
	s_mul_hi_u32 s3, s15, s4
	s_mul_i32 s4, s15, s4
	s_add_i32 s5, s3, s1
	s_delay_alu instid0(SALU_CYCLE_1) | instskip(NEXT) | instid1(VALU_DEP_1)
	s_lshl_b64 s[4:5], s[4:5], 3
	v_lshlrev_b64 v[1:2], 3, v[1:2]
	s_add_u32 s3, s22, s4
	s_addc_u32 s4, s23, s5
	s_and_b32 s0, s0, vcc_lo
	s_delay_alu instid0(VALU_DEP_1) | instskip(NEXT) | instid1(VALU_DEP_1)
	v_add_co_u32 v5, s1, s3, v1
	v_add_co_ci_u32_e64 v6, s1, s4, v2, s1
	s_and_saveexec_b32 s1, s0
	s_cbranch_execz .LBB223_11
; %bb.10:
	v_ashrrev_i32_e32 v1, 31, v0
	s_delay_alu instid0(VALU_DEP_1) | instskip(NEXT) | instid1(VALU_DEP_1)
	v_lshlrev_b64 v[1:2], 3, v[0:1]
	v_add_co_u32 v1, s0, v5, v1
	s_delay_alu instid0(VALU_DEP_1)
	v_add_co_ci_u32_e64 v2, s0, v6, v2, s0
	global_load_b64 v[7:8], v[1:2], off
	v_mul_f32_e32 v3, s9, v22
	s_waitcnt vmcnt(0)
	v_dual_mul_f32 v9, s8, v22 :: v_dual_mul_f32 v10, s7, v8
	v_mul_f32_e32 v8, s6, v8
	s_delay_alu instid0(VALU_DEP_3) | instskip(NEXT) | instid1(VALU_DEP_3)
	v_fma_f32 v3, v21, s8, -v3
	v_fmac_f32_e32 v9, s9, v21
	s_delay_alu instid0(VALU_DEP_4) | instskip(NEXT) | instid1(VALU_DEP_1)
	v_fma_f32 v10, v7, s6, -v10
	v_dual_fmac_f32 v8, s7, v7 :: v_dual_add_f32 v7, v3, v10
	s_delay_alu instid0(VALU_DEP_1)
	v_add_f32_e32 v8, v9, v8
	global_store_b64 v[1:2], v[7:8], off
.LBB223_11:
	s_or_b32 exec_lo, exec_lo, s1
	v_add_nc_u32_e32 v2, 16, v0
	s_delay_alu instid0(VALU_DEP_1) | instskip(SKIP_1) | instid1(VALU_DEP_1)
	v_cmp_le_i32_e64 s1, v4, v2
	v_cmp_gt_i32_e64 s0, s20, v2
	s_and_b32 s1, s1, s0
	s_delay_alu instid0(SALU_CYCLE_1)
	s_and_saveexec_b32 s5, s1
	s_cbranch_execz .LBB223_13
; %bb.12:
	v_ashrrev_i32_e32 v3, 31, v2
	s_delay_alu instid0(VALU_DEP_1) | instskip(SKIP_1) | instid1(VALU_DEP_2)
	v_lshlrev_b64 v[7:8], 3, v[2:3]
	v_mul_f32_e32 v3, s8, v20
	v_add_co_u32 v5, s1, v5, v7
	s_delay_alu instid0(VALU_DEP_1) | instskip(NEXT) | instid1(VALU_DEP_3)
	v_add_co_ci_u32_e64 v6, s1, v6, v8, s1
	v_fmac_f32_e32 v3, s9, v19
	global_load_b64 v[7:8], v[5:6], off
	s_waitcnt vmcnt(0)
	v_mul_f32_e32 v9, s7, v8
	v_mul_f32_e32 v8, s6, v8
	;; [unrolled: 1-line block ×3, first 2 shown]
	s_delay_alu instid0(VALU_DEP_3) | instskip(NEXT) | instid1(VALU_DEP_3)
	v_fma_f32 v9, v7, s6, -v9
	v_fmac_f32_e32 v8, s7, v7
	s_delay_alu instid0(VALU_DEP_3) | instskip(NEXT) | instid1(VALU_DEP_1)
	v_fma_f32 v1, v19, s8, -v1
	v_dual_add_f32 v8, v3, v8 :: v_dual_add_f32 v7, v1, v9
	global_store_b64 v[5:6], v[7:8], off
.LBB223_13:
	s_or_b32 exec_lo, exec_lo, s5
	v_add_nc_u32_e32 v3, 16, v4
	s_delay_alu instid0(VALU_DEP_1) | instskip(SKIP_1) | instid1(VALU_DEP_2)
	v_mad_i64_i32 v[4:5], null, v3, s2, 0
	v_cmp_le_i32_e64 s1, v3, v0
	v_lshlrev_b64 v[4:5], 3, v[4:5]
	s_delay_alu instid0(VALU_DEP_1) | instskip(NEXT) | instid1(VALU_DEP_1)
	v_add_co_u32 v4, s2, s3, v4
	v_add_co_ci_u32_e64 v5, s2, s4, v5, s2
	s_delay_alu instid0(VALU_DEP_4) | instskip(NEXT) | instid1(SALU_CYCLE_1)
	s_and_b32 s2, s1, vcc_lo
	s_and_saveexec_b32 s1, s2
	s_cbranch_execz .LBB223_15
; %bb.14:
	v_ashrrev_i32_e32 v1, 31, v0
	s_delay_alu instid0(VALU_DEP_1) | instskip(NEXT) | instid1(VALU_DEP_1)
	v_lshlrev_b64 v[0:1], 3, v[0:1]
	v_add_co_u32 v0, vcc_lo, v4, v0
	s_delay_alu instid0(VALU_DEP_2)
	v_add_co_ci_u32_e32 v1, vcc_lo, v5, v1, vcc_lo
	global_load_b64 v[6:7], v[0:1], off
	v_mul_f32_e32 v8, s9, v18
	s_waitcnt vmcnt(0)
	v_dual_mul_f32 v9, s8, v18 :: v_dual_mul_f32 v10, s7, v7
	v_mul_f32_e32 v7, s6, v7
	s_delay_alu instid0(VALU_DEP_3) | instskip(NEXT) | instid1(VALU_DEP_3)
	v_fma_f32 v8, v17, s8, -v8
	v_fma_f32 v10, v6, s6, -v10
	s_delay_alu instid0(VALU_DEP_4) | instskip(NEXT) | instid1(VALU_DEP_4)
	v_fmac_f32_e32 v9, s9, v17
	v_fmac_f32_e32 v7, s7, v6
	s_delay_alu instid0(VALU_DEP_1)
	v_dual_add_f32 v6, v8, v10 :: v_dual_add_f32 v7, v9, v7
	global_store_b64 v[0:1], v[6:7], off
.LBB223_15:
	s_or_b32 exec_lo, exec_lo, s1
	v_cmp_le_i32_e32 vcc_lo, v3, v2
	s_and_b32 s0, vcc_lo, s0
	s_delay_alu instid0(SALU_CYCLE_1)
	s_and_saveexec_b32 s1, s0
	s_cbranch_execz .LBB223_17
; %bb.16:
	v_ashrrev_i32_e32 v3, 31, v2
	s_delay_alu instid0(VALU_DEP_1) | instskip(NEXT) | instid1(VALU_DEP_1)
	v_lshlrev_b64 v[0:1], 3, v[2:3]
	v_add_co_u32 v0, vcc_lo, v4, v0
	s_delay_alu instid0(VALU_DEP_2)
	v_add_co_ci_u32_e32 v1, vcc_lo, v5, v1, vcc_lo
	global_load_b64 v[2:3], v[0:1], off
	v_mul_f32_e32 v4, s9, v16
	s_waitcnt vmcnt(0)
	v_dual_mul_f32 v5, s8, v16 :: v_dual_mul_f32 v6, s7, v3
	v_mul_f32_e32 v3, s6, v3
	s_delay_alu instid0(VALU_DEP_3) | instskip(NEXT) | instid1(VALU_DEP_3)
	v_fma_f32 v4, v15, s8, -v4
	v_fma_f32 v6, v2, s6, -v6
	s_delay_alu instid0(VALU_DEP_4) | instskip(NEXT) | instid1(VALU_DEP_4)
	v_fmac_f32_e32 v5, s9, v15
	v_fmac_f32_e32 v3, s7, v2
	s_delay_alu instid0(VALU_DEP_1)
	v_dual_add_f32 v2, v4, v6 :: v_dual_add_f32 v3, v5, v3
	global_store_b64 v[0:1], v[2:3], off
.LBB223_17:
	s_nop 0
	s_sendmsg sendmsg(MSG_DEALLOC_VGPRS)
	s_endpgm
	.section	.rodata,"a",@progbits
	.p2align	6, 0x0
	.amdhsa_kernel _ZL34rocblas_syrkx_herkx_general_kernelIi19rocblas_complex_numIfELi16ELi32ELi8ELb0ELb0ELc67ELc76EKS1_S1_EviT_T0_PT8_S3_lS6_S3_lS4_PT9_S3_li
		.amdhsa_group_segment_fixed_size 4096
		.amdhsa_private_segment_fixed_size 0
		.amdhsa_kernarg_size 100
		.amdhsa_user_sgpr_count 13
		.amdhsa_user_sgpr_dispatch_ptr 0
		.amdhsa_user_sgpr_queue_ptr 0
		.amdhsa_user_sgpr_kernarg_segment_ptr 1
		.amdhsa_user_sgpr_dispatch_id 0
		.amdhsa_user_sgpr_private_segment_size 0
		.amdhsa_wavefront_size32 1
		.amdhsa_uses_dynamic_stack 0
		.amdhsa_enable_private_segment 0
		.amdhsa_system_sgpr_workgroup_id_x 1
		.amdhsa_system_sgpr_workgroup_id_y 1
		.amdhsa_system_sgpr_workgroup_id_z 1
		.amdhsa_system_sgpr_workgroup_info 0
		.amdhsa_system_vgpr_workitem_id 1
		.amdhsa_next_free_vgpr 59
		.amdhsa_next_free_sgpr 25
		.amdhsa_reserve_vcc 1
		.amdhsa_float_round_mode_32 0
		.amdhsa_float_round_mode_16_64 0
		.amdhsa_float_denorm_mode_32 3
		.amdhsa_float_denorm_mode_16_64 3
		.amdhsa_dx10_clamp 1
		.amdhsa_ieee_mode 1
		.amdhsa_fp16_overflow 0
		.amdhsa_workgroup_processor_mode 1
		.amdhsa_memory_ordered 1
		.amdhsa_forward_progress 0
		.amdhsa_shared_vgpr_count 0
		.amdhsa_exception_fp_ieee_invalid_op 0
		.amdhsa_exception_fp_denorm_src 0
		.amdhsa_exception_fp_ieee_div_zero 0
		.amdhsa_exception_fp_ieee_overflow 0
		.amdhsa_exception_fp_ieee_underflow 0
		.amdhsa_exception_fp_ieee_inexact 0
		.amdhsa_exception_int_div_zero 0
	.end_amdhsa_kernel
	.section	.text._ZL34rocblas_syrkx_herkx_general_kernelIi19rocblas_complex_numIfELi16ELi32ELi8ELb0ELb0ELc67ELc76EKS1_S1_EviT_T0_PT8_S3_lS6_S3_lS4_PT9_S3_li,"axG",@progbits,_ZL34rocblas_syrkx_herkx_general_kernelIi19rocblas_complex_numIfELi16ELi32ELi8ELb0ELb0ELc67ELc76EKS1_S1_EviT_T0_PT8_S3_lS6_S3_lS4_PT9_S3_li,comdat
.Lfunc_end223:
	.size	_ZL34rocblas_syrkx_herkx_general_kernelIi19rocblas_complex_numIfELi16ELi32ELi8ELb0ELb0ELc67ELc76EKS1_S1_EviT_T0_PT8_S3_lS6_S3_lS4_PT9_S3_li, .Lfunc_end223-_ZL34rocblas_syrkx_herkx_general_kernelIi19rocblas_complex_numIfELi16ELi32ELi8ELb0ELb0ELc67ELc76EKS1_S1_EviT_T0_PT8_S3_lS6_S3_lS4_PT9_S3_li
                                        ; -- End function
	.section	.AMDGPU.csdata,"",@progbits
; Kernel info:
; codeLenInByte = 2656
; NumSgprs: 27
; NumVgprs: 59
; ScratchSize: 0
; MemoryBound: 1
; FloatMode: 240
; IeeeMode: 1
; LDSByteSize: 4096 bytes/workgroup (compile time only)
; SGPRBlocks: 3
; VGPRBlocks: 7
; NumSGPRsForWavesPerEU: 27
; NumVGPRsForWavesPerEU: 59
; Occupancy: 16
; WaveLimiterHint : 0
; COMPUTE_PGM_RSRC2:SCRATCH_EN: 0
; COMPUTE_PGM_RSRC2:USER_SGPR: 13
; COMPUTE_PGM_RSRC2:TRAP_HANDLER: 0
; COMPUTE_PGM_RSRC2:TGID_X_EN: 1
; COMPUTE_PGM_RSRC2:TGID_Y_EN: 1
; COMPUTE_PGM_RSRC2:TGID_Z_EN: 1
; COMPUTE_PGM_RSRC2:TIDIG_COMP_CNT: 1
	.section	.text._ZL34rocblas_syrkx_herkx_general_kernelIi19rocblas_complex_numIfELi16ELi32ELi8ELb0ELb0ELc78ELc76EKS1_S1_EviT_T0_PT8_S3_lS6_S3_lS4_PT9_S3_li,"axG",@progbits,_ZL34rocblas_syrkx_herkx_general_kernelIi19rocblas_complex_numIfELi16ELi32ELi8ELb0ELb0ELc78ELc76EKS1_S1_EviT_T0_PT8_S3_lS6_S3_lS4_PT9_S3_li,comdat
	.globl	_ZL34rocblas_syrkx_herkx_general_kernelIi19rocblas_complex_numIfELi16ELi32ELi8ELb0ELb0ELc78ELc76EKS1_S1_EviT_T0_PT8_S3_lS6_S3_lS4_PT9_S3_li ; -- Begin function _ZL34rocblas_syrkx_herkx_general_kernelIi19rocblas_complex_numIfELi16ELi32ELi8ELb0ELb0ELc78ELc76EKS1_S1_EviT_T0_PT8_S3_lS6_S3_lS4_PT9_S3_li
	.p2align	8
	.type	_ZL34rocblas_syrkx_herkx_general_kernelIi19rocblas_complex_numIfELi16ELi32ELi8ELb0ELb0ELc78ELc76EKS1_S1_EviT_T0_PT8_S3_lS6_S3_lS4_PT9_S3_li,@function
_ZL34rocblas_syrkx_herkx_general_kernelIi19rocblas_complex_numIfELi16ELi32ELi8ELb0ELb0ELc78ELc76EKS1_S1_EviT_T0_PT8_S3_lS6_S3_lS4_PT9_S3_li: ; @_ZL34rocblas_syrkx_herkx_general_kernelIi19rocblas_complex_numIfELi16ELi32ELi8ELb0ELb0ELc78ELc76EKS1_S1_EviT_T0_PT8_S3_lS6_S3_lS4_PT9_S3_li
; %bb.0:
	s_clause 0x3
	s_load_b64 s[20:21], s[0:1], 0x0
	s_load_b128 s[8:11], s[0:1], 0x8
	s_load_b128 s[4:7], s[0:1], 0x38
	s_load_b64 s[22:23], s[0:1], 0x48
	v_dual_mov_b32 v22, 0 :: v_dual_and_b32 v7, 0x3ff, v0
	v_bfe_u32 v8, v0, 10, 10
	v_dual_mov_b32 v21, 0 :: v_dual_mov_b32 v20, 0
	v_dual_mov_b32 v19, 0 :: v_dual_mov_b32 v18, 0
	;; [unrolled: 1-line block ×3, first 2 shown]
	v_mov_b32_e32 v15, 0
	s_lshl_b32 s26, s13, 5
	s_lshl_b32 s14, s14, 5
	s_mov_b32 s27, 0
	s_waitcnt lgkmcnt(0)
	s_cmp_lt_i32 s21, 1
	s_cbranch_scc1 .LBB224_9
; %bb.1:
	s_clause 0x1
	s_load_b32 s12, s[0:1], 0x18
	s_load_b128 s[16:19], s[0:1], 0x20
	v_lshl_add_u32 v0, v8, 4, v7
	s_load_b32 s24, s[0:1], 0x30
	v_and_b32_e32 v9, 7, v7
	v_mov_b32_e32 v19, 0
	s_mul_i32 s5, s5, s15
	v_and_b32_e32 v4, 31, v0
	v_lshrrev_b32_e32 v1, 3, v0
	v_lshlrev_b32_e32 v2, 3, v9
	v_lshrrev_b32_e32 v11, 5, v0
	s_mul_hi_u32 s28, s4, s15
	v_or_b32_e32 v3, s26, v4
	v_dual_mov_b32 v21, 0 :: v_dual_add_nc_u32 v0, s14, v1
	v_lshl_or_b32 v1, v1, 6, v2
	v_lshlrev_b32_e32 v5, 3, v4
	s_delay_alu instid0(VALU_DEP_4)
	v_cmp_gt_i32_e64 s2, s20, v3
	v_add_nc_u32_e32 v4, s26, v4
	s_add_i32 s5, s28, s5
	s_waitcnt lgkmcnt(0)
	v_mad_i64_i32 v[2:3], null, v11, s12, 0
	v_lshl_or_b32 v13, v11, 8, v5
	s_mul_i32 s3, s17, s15
	s_mul_hi_u32 s17, s16, s15
	v_mad_i64_i32 v[5:6], null, s24, v9, 0
	s_mul_i32 s16, s16, s15
	s_delay_alu instid0(VALU_DEP_3)
	v_lshlrev_b64 v[2:3], 3, v[2:3]
	s_add_i32 s17, s17, s3
	v_add_nc_u32_e32 v14, 0x800, v1
	s_lshl_b64 s[16:17], s[16:17], 3
	v_ashrrev_i32_e32 v1, 31, v0
	s_mul_i32 s4, s4, s15
	v_add_co_u32 v15, s3, v2, s16
	s_delay_alu instid0(VALU_DEP_1)
	v_add_co_ci_u32_e64 v16, s3, s17, v3, s3
	v_lshlrev_b64 v[2:3], 3, v[5:6]
	v_ashrrev_i32_e32 v5, 31, v4
	s_lshl_b64 s[4:5], s[4:5], 3
	v_cmp_gt_i32_e32 vcc_lo, s20, v0
	v_lshlrev_b64 v[0:1], 3, v[0:1]
	v_lshlrev_b32_e32 v10, 3, v7
	v_add_co_u32 v6, s3, s4, v2
	s_delay_alu instid0(VALU_DEP_1) | instskip(SKIP_1) | instid1(VALU_DEP_3)
	v_add_co_ci_u32_e64 v17, s3, s5, v3, s3
	v_lshlrev_b64 v[2:3], 3, v[4:5]
	v_add_co_u32 v0, s3, v6, v0
	s_delay_alu instid0(VALU_DEP_1) | instskip(SKIP_1) | instid1(VALU_DEP_4)
	v_add_co_ci_u32_e64 v1, s3, v17, v1, s3
	v_mov_b32_e32 v17, 0
	v_add_co_u32 v2, s3, v15, v2
	s_delay_alu instid0(VALU_DEP_1) | instskip(SKIP_1) | instid1(VALU_DEP_1)
	v_add_co_ci_u32_e64 v3, s3, v16, v3, s3
	v_add_co_u32 v4, s3, v0, s18
	v_add_co_ci_u32_e64 v5, s3, s19, v1, s3
	s_delay_alu instid0(VALU_DEP_4) | instskip(NEXT) | instid1(VALU_DEP_1)
	v_add_co_u32 v0, s3, s10, v2
	v_add_co_ci_u32_e64 v1, s3, s11, v3, s3
	s_delay_alu instid0(VALU_DEP_4)
	v_add_co_u32 v2, s3, v4, 4
	v_lshl_add_u32 v12, v8, 6, 0x800
	v_add_co_ci_u32_e64 v3, s3, 0, v5, s3
	v_mov_b32_e32 v4, 0
	v_dual_mov_b32 v16, 0 :: v_dual_mov_b32 v15, 0
	v_mov_b32_e32 v18, 0
	v_mov_b32_e32 v20, 0
	;; [unrolled: 1-line block ×3, first 2 shown]
	s_ashr_i32 s13, s12, 31
	s_ashr_i32 s25, s24, 31
	s_lshl_b64 s[4:5], s[12:13], 6
	s_lshl_b64 s[10:11], s[24:25], 6
	s_xor_b32 s3, s2, -1
	s_branch .LBB224_3
.LBB224_2:                              ;   in Loop: Header=BB224_3 Depth=1
	s_or_b32 exec_lo, exec_lo, s2
	s_waitcnt vmcnt(0)
	ds_store_b64 v14, v[5:6]
	s_waitcnt lgkmcnt(0)
	s_barrier
	buffer_gl0_inv
	ds_load_2addr_b64 v[23:26], v10 offset1:16
	ds_load_b128 v[27:30], v12
	ds_load_b128 v[31:34], v12 offset:1024
	ds_load_b128 v[35:38], v12 offset:16
	;; [unrolled: 1-line block ×4, first 2 shown]
	ds_load_2addr_b64 v[47:50], v10 offset0:32 offset1:48
	ds_load_b128 v[51:54], v12 offset:1040
	v_add_co_u32 v0, s2, v0, s4
	s_delay_alu instid0(VALU_DEP_1) | instskip(SKIP_1) | instid1(VALU_DEP_1)
	v_add_co_ci_u32_e64 v1, s2, s5, v1, s2
	v_add_co_u32 v2, s2, v2, s10
	v_add_co_ci_u32_e64 v3, s2, s11, v3, s2
	s_add_i32 s27, s27, 8
	s_delay_alu instid0(SALU_CYCLE_1)
	s_cmp_ge_i32 s27, s21
	s_waitcnt lgkmcnt(6)
	v_dual_mul_f32 v5, v28, v24 :: v_dual_mul_f32 v56, v27, v26
	v_dual_mul_f32 v6, v27, v24 :: v_dual_mul_f32 v55, v28, v26
	s_waitcnt lgkmcnt(5)
	v_mul_f32_e32 v57, v32, v24
	s_delay_alu instid0(VALU_DEP_3)
	v_fma_f32 v5, v27, v23, -v5
	v_fmac_f32_e32 v56, v28, v25
	v_fmac_f32_e32 v6, v28, v23
	v_fma_f32 v27, v27, v25, -v55
	v_mul_f32_e32 v58, v32, v26
	v_mul_f32_e32 v26, v31, v26
	v_fma_f32 v28, v31, v23, -v57
	v_dual_mul_f32 v24, v31, v24 :: v_dual_add_f32 v5, v21, v5
	s_delay_alu instid0(VALU_DEP_3) | instskip(NEXT) | instid1(VALU_DEP_3)
	v_dual_add_f32 v21, v19, v27 :: v_dual_fmac_f32 v26, v32, v25
	v_add_f32_e32 v27, v17, v28
	s_waitcnt lgkmcnt(1)
	v_mul_f32_e32 v28, v30, v48
	v_fmac_f32_e32 v24, v32, v23
	v_fma_f32 v23, v31, v25, -v58
	s_delay_alu instid0(VALU_DEP_3) | instskip(SKIP_1) | instid1(VALU_DEP_3)
	v_fma_f32 v25, v29, v47, -v28
	v_mul_f32_e32 v28, v30, v50
	v_dual_add_f32 v6, v22, v6 :: v_dual_add_f32 v15, v15, v23
	v_mul_f32_e32 v23, v29, v48
	s_delay_alu instid0(VALU_DEP_4) | instskip(NEXT) | instid1(VALU_DEP_4)
	v_dual_add_f32 v5, v5, v25 :: v_dual_add_f32 v22, v20, v56
	v_fma_f32 v25, v29, v49, -v28
	v_add_f32_e32 v24, v18, v24
	ds_load_2addr_b64 v[17:20], v10 offset0:64 offset1:80
	v_fmac_f32_e32 v23, v30, v47
	v_dual_mul_f32 v28, v34, v48 :: v_dual_add_f32 v25, v21, v25
	s_delay_alu instid0(VALU_DEP_2)
	v_dual_add_f32 v6, v6, v23 :: v_dual_mul_f32 v23, v33, v48
	v_add_f32_e32 v16, v16, v26
	v_mul_f32_e32 v26, v29, v50
	v_mul_f32_e32 v29, v33, v50
	v_fma_f32 v21, v33, v47, -v28
	v_fmac_f32_e32 v23, v34, v47
	s_delay_alu instid0(VALU_DEP_3) | instskip(SKIP_1) | instid1(VALU_DEP_4)
	v_fmac_f32_e32 v29, v34, v49
	v_fmac_f32_e32 v26, v30, v49
	v_add_f32_e32 v27, v27, v21
	s_delay_alu instid0(VALU_DEP_2) | instskip(SKIP_2) | instid1(VALU_DEP_1)
	v_dual_add_f32 v29, v16, v29 :: v_dual_add_f32 v26, v22, v26
	s_waitcnt lgkmcnt(0)
	v_mul_f32_e32 v22, v36, v18
	v_fma_f32 v31, v35, v17, -v22
	s_delay_alu instid0(VALU_DEP_1) | instskip(NEXT) | instid1(VALU_DEP_1)
	v_dual_add_f32 v5, v5, v31 :: v_dual_mul_f32 v32, v36, v20
	v_fma_f32 v31, v35, v19, -v32
	s_delay_alu instid0(VALU_DEP_1) | instskip(NEXT) | instid1(VALU_DEP_1)
	v_dual_mul_f32 v28, v34, v50 :: v_dual_add_f32 v25, v25, v31
	v_fma_f32 v21, v33, v49, -v28
	v_add_f32_e32 v28, v24, v23
	v_mul_f32_e32 v16, v35, v20
	v_mul_f32_e32 v31, v52, v20
	;; [unrolled: 1-line block ×3, first 2 shown]
	v_add_f32_e32 v15, v15, v21
	ds_load_2addr_b64 v[21:24], v10 offset0:96 offset1:112
	v_mul_f32_e32 v30, v35, v18
	v_fmac_f32_e32 v16, v36, v19
	v_fmac_f32_e32 v20, v52, v19
	s_delay_alu instid0(VALU_DEP_3) | instskip(NEXT) | instid1(VALU_DEP_3)
	v_fmac_f32_e32 v30, v36, v17
	v_add_f32_e32 v32, v26, v16
	s_delay_alu instid0(VALU_DEP_3) | instskip(SKIP_1) | instid1(VALU_DEP_4)
	v_add_f32_e32 v29, v29, v20
	v_fma_f32 v16, v51, v19, -v31
	v_add_f32_e32 v6, v6, v30
	s_delay_alu instid0(VALU_DEP_2) | instskip(SKIP_3) | instid1(VALU_DEP_3)
	v_dual_mul_f32 v30, v52, v18 :: v_dual_add_f32 v33, v15, v16
	s_waitcnt lgkmcnt(0)
	v_mul_f32_e32 v35, v54, v24
	v_mul_f32_e32 v20, v37, v24
	v_fma_f32 v30, v51, v17, -v30
	v_mul_f32_e32 v19, v38, v22
	s_delay_alu instid0(VALU_DEP_3) | instskip(NEXT) | instid1(VALU_DEP_2)
	v_fmac_f32_e32 v20, v38, v23
	v_fma_f32 v19, v37, v21, -v19
	s_delay_alu instid0(VALU_DEP_2) | instskip(SKIP_2) | instid1(VALU_DEP_4)
	v_add_f32_e32 v36, v32, v20
	v_fma_f32 v20, v53, v23, -v35
	v_dual_add_f32 v30, v27, v30 :: v_dual_mul_f32 v27, v38, v24
	v_add_f32_e32 v5, v5, v19
	v_dual_mul_f32 v19, v54, v22 :: v_dual_mul_f32 v24, v53, v24
	s_delay_alu instid0(VALU_DEP_3) | instskip(NEXT) | instid1(VALU_DEP_2)
	v_fma_f32 v27, v37, v23, -v27
	v_fma_f32 v19, v53, v21, -v19
	s_delay_alu instid0(VALU_DEP_3) | instskip(SKIP_1) | instid1(VALU_DEP_4)
	v_dual_fmac_f32 v24, v54, v23 :: v_dual_add_f32 v23, v33, v20
	v_mul_f32_e32 v18, v51, v18
	v_add_f32_e32 v34, v25, v27
	v_mul_f32_e32 v26, v37, v22
	v_dual_mul_f32 v22, v53, v22 :: v_dual_add_f32 v35, v30, v19
	v_add_f32_e32 v24, v29, v24
	s_delay_alu instid0(VALU_DEP_2) | instskip(SKIP_1) | instid1(VALU_DEP_1)
	v_fmac_f32_e32 v22, v54, v21
	v_fmac_f32_e32 v18, v52, v17
	v_add_f32_e32 v31, v28, v18
	ds_load_2addr_b64 v[15:18], v10 offset0:128 offset1:144
	v_add_f32_e32 v37, v31, v22
	s_waitcnt lgkmcnt(0)
	v_mul_f32_e32 v19, v40, v16
	v_mul_f32_e32 v31, v40, v18
	;; [unrolled: 1-line block ×3, first 2 shown]
	s_delay_alu instid0(VALU_DEP_3)
	v_fma_f32 v30, v39, v15, -v19
	v_fmac_f32_e32 v26, v38, v21
	ds_load_2addr_b64 v[19:22], v10 offset0:160 offset1:176
	v_mul_f32_e32 v38, v39, v18
	v_fma_f32 v39, v39, v17, -v31
	v_add_f32_e32 v5, v5, v30
	v_add_f32_e32 v6, v6, v26
	ds_load_b128 v[25:28], v12 offset:1056
	ds_load_b128 v[29:32], v12 offset:1072
	v_fmac_f32_e32 v38, v40, v17
	v_fmac_f32_e32 v33, v40, v15
	s_delay_alu instid0(VALU_DEP_2) | instskip(SKIP_3) | instid1(VALU_DEP_2)
	v_add_f32_e32 v36, v36, v38
	s_waitcnt lgkmcnt(1)
	v_dual_mul_f32 v38, v25, v18 :: v_dual_mul_f32 v47, v26, v16
	v_mul_f32_e32 v16, v25, v16
	v_fmac_f32_e32 v38, v26, v17
	s_delay_alu instid0(VALU_DEP_1) | instskip(SKIP_1) | instid1(VALU_DEP_1)
	v_add_f32_e32 v38, v24, v38
	v_mul_f32_e32 v24, v41, v22
	v_fmac_f32_e32 v24, v42, v21
	v_add_f32_e32 v6, v6, v33
	v_add_f32_e32 v33, v34, v39
	v_fma_f32 v34, v25, v15, -v47
	v_mul_f32_e32 v39, v26, v18
	v_mul_f32_e32 v18, v42, v20
	s_delay_alu instid0(VALU_DEP_3) | instskip(NEXT) | instid1(VALU_DEP_2)
	v_add_f32_e32 v34, v35, v34
	v_fma_f32 v35, v41, v19, -v18
	s_delay_alu instid0(VALU_DEP_1) | instskip(SKIP_3) | instid1(VALU_DEP_3)
	v_add_f32_e32 v5, v5, v35
	v_fmac_f32_e32 v16, v26, v15
	v_fma_f32 v15, v25, v17, -v39
	v_mul_f32_e32 v26, v41, v20
	v_add_f32_e32 v25, v37, v16
	s_delay_alu instid0(VALU_DEP_3) | instskip(SKIP_3) | instid1(VALU_DEP_2)
	v_add_f32_e32 v23, v23, v15
	ds_load_2addr_b64 v[15:18], v10 offset0:192 offset1:208
	v_mul_f32_e32 v37, v42, v22
	v_fmac_f32_e32 v26, v42, v19
	v_fma_f32 v35, v41, v21, -v37
	s_delay_alu instid0(VALU_DEP_2) | instskip(SKIP_1) | instid1(VALU_DEP_3)
	v_add_f32_e32 v6, v6, v26
	v_mul_f32_e32 v26, v28, v20
	v_dual_mul_f32 v20, v27, v20 :: v_dual_add_f32 v33, v33, v35
	v_mul_f32_e32 v35, v28, v22
	s_delay_alu instid0(VALU_DEP_3) | instskip(NEXT) | instid1(VALU_DEP_3)
	v_fma_f32 v26, v27, v19, -v26
	v_fmac_f32_e32 v20, v28, v19
	v_dual_add_f32 v19, v36, v24 :: v_dual_mul_f32 v22, v27, v22
	s_delay_alu instid0(VALU_DEP_4) | instskip(NEXT) | instid1(VALU_DEP_3)
	v_fma_f32 v24, v27, v21, -v35
	v_dual_add_f32 v27, v34, v26 :: v_dual_add_f32 v20, v25, v20
	s_waitcnt lgkmcnt(0)
	v_mul_f32_e32 v34, v44, v16
	s_delay_alu instid0(VALU_DEP_3)
	v_dual_fmac_f32 v22, v28, v21 :: v_dual_add_f32 v21, v23, v24
	ds_load_2addr_b64 v[23:26], v10 offset0:224 offset1:240
	v_mul_f32_e32 v28, v43, v16
	v_fma_f32 v34, v43, v15, -v34
	v_mul_f32_e32 v35, v44, v18
	v_mul_f32_e32 v36, v43, v18
	s_waitcnt lgkmcnt(0)
	s_delay_alu instid0(VALU_DEP_3) | instskip(SKIP_3) | instid1(VALU_DEP_4)
	v_dual_fmac_f32 v28, v44, v15 :: v_dual_add_f32 v5, v5, v34
	v_mul_f32_e32 v34, v30, v16
	v_fma_f32 v35, v43, v17, -v35
	v_fmac_f32_e32 v36, v44, v17
	v_add_f32_e32 v6, v6, v28
	v_mul_f32_e32 v16, v29, v16
	v_fma_f32 v28, v29, v15, -v34
	v_dual_mul_f32 v34, v30, v18 :: v_dual_add_f32 v33, v33, v35
	s_delay_alu instid0(VALU_DEP_3) | instskip(NEXT) | instid1(VALU_DEP_3)
	v_dual_add_f32 v35, v19, v36 :: v_dual_fmac_f32 v16, v30, v15
	v_dual_add_f32 v15, v27, v28 :: v_dual_mul_f32 v18, v29, v18
	s_delay_alu instid0(VALU_DEP_3) | instskip(SKIP_3) | instid1(VALU_DEP_4)
	v_fma_f32 v19, v29, v17, -v34
	v_mul_f32_e32 v27, v46, v24
	v_mul_f32_e32 v28, v45, v24
	v_add_f32_e32 v16, v20, v16
	v_dual_fmac_f32 v18, v30, v17 :: v_dual_add_f32 v29, v21, v19
	s_delay_alu instid0(VALU_DEP_4)
	v_fma_f32 v17, v45, v23, -v27
	v_mul_f32_e32 v19, v46, v26
	v_fmac_f32_e32 v28, v46, v23
	v_mul_f32_e32 v20, v45, v26
	s_barrier
	v_add_f32_e32 v21, v5, v17
	v_mul_f32_e32 v17, v32, v26
	v_fma_f32 v5, v45, v25, -v19
	v_fmac_f32_e32 v20, v46, v25
	buffer_gl0_inv
	v_dual_add_f32 v19, v33, v5 :: v_dual_add_f32 v22, v38, v22
	s_delay_alu instid0(VALU_DEP_1) | instskip(SKIP_4) | instid1(VALU_DEP_3)
	v_dual_add_f32 v20, v35, v20 :: v_dual_add_f32 v27, v22, v18
	v_add_f32_e32 v22, v6, v28
	v_mul_f32_e32 v6, v32, v24
	v_mul_f32_e32 v18, v31, v24
	;; [unrolled: 1-line block ×3, first 2 shown]
	v_fma_f32 v5, v31, v23, -v6
	s_delay_alu instid0(VALU_DEP_3) | instskip(SKIP_1) | instid1(VALU_DEP_4)
	v_fmac_f32_e32 v18, v32, v23
	v_fma_f32 v6, v31, v25, -v17
	v_fmac_f32_e32 v24, v32, v25
	s_delay_alu instid0(VALU_DEP_3) | instskip(NEXT) | instid1(VALU_DEP_2)
	v_dual_add_f32 v17, v15, v5 :: v_dual_add_f32 v18, v16, v18
	v_dual_add_f32 v15, v29, v6 :: v_dual_add_f32 v16, v27, v24
	s_cbranch_scc1 .LBB224_9
.LBB224_3:                              ; =>This Inner Loop Header: Depth=1
	v_add_nc_u32_e32 v5, s27, v11
	s_delay_alu instid0(VALU_DEP_1) | instskip(NEXT) | instid1(VALU_DEP_1)
	v_cmp_le_i32_e64 s2, s21, v5
	s_or_b32 s2, s3, s2
	s_delay_alu instid0(SALU_CYCLE_1) | instskip(NEXT) | instid1(SALU_CYCLE_1)
	s_and_saveexec_b32 s12, s2
	s_xor_b32 s2, exec_lo, s12
	s_cbranch_execz .LBB224_5
; %bb.4:                                ;   in Loop: Header=BB224_3 Depth=1
	v_mov_b32_e32 v5, v4
	ds_store_b64 v13, v[4:5]
.LBB224_5:                              ;   in Loop: Header=BB224_3 Depth=1
	s_and_not1_saveexec_b32 s2, s2
	s_cbranch_execz .LBB224_7
; %bb.6:                                ;   in Loop: Header=BB224_3 Depth=1
	global_load_b64 v[5:6], v[0:1], off
	s_waitcnt vmcnt(0)
	ds_store_b64 v13, v[5:6]
.LBB224_7:                              ;   in Loop: Header=BB224_3 Depth=1
	s_or_b32 exec_lo, exec_lo, s2
	v_dual_mov_b32 v6, 0 :: v_dual_add_nc_u32 v5, s27, v9
	s_delay_alu instid0(VALU_DEP_1) | instskip(SKIP_1) | instid1(VALU_DEP_2)
	v_cmp_gt_i32_e64 s2, s21, v5
	v_mov_b32_e32 v5, 0
	s_and_b32 s12, s2, vcc_lo
	s_delay_alu instid0(SALU_CYCLE_1)
	s_and_saveexec_b32 s2, s12
	s_cbranch_execz .LBB224_2
; %bb.8:                                ;   in Loop: Header=BB224_3 Depth=1
	global_load_b64 v[5:6], v[2:3], off offset:-4
	s_branch .LBB224_2
.LBB224_9:
	s_clause 0x1
	s_load_b32 s2, s[0:1], 0x50
	s_load_b64 s[4:5], s[0:1], 0x58
	v_add_nc_u32_e32 v4, s14, v8
	v_add_nc_u32_e32 v0, s26, v7
	s_delay_alu instid0(VALU_DEP_1)
	v_cmp_le_i32_e64 s0, v4, v0
	v_cmp_gt_i32_e32 vcc_lo, s20, v0
	s_waitcnt lgkmcnt(0)
	v_mad_i64_i32 v[1:2], null, v4, s2, 0
	s_mul_i32 s1, s15, s5
	s_mul_hi_u32 s3, s15, s4
	s_mul_i32 s4, s15, s4
	s_add_i32 s5, s3, s1
	s_delay_alu instid0(SALU_CYCLE_1) | instskip(NEXT) | instid1(VALU_DEP_1)
	s_lshl_b64 s[4:5], s[4:5], 3
	v_lshlrev_b64 v[1:2], 3, v[1:2]
	s_add_u32 s3, s22, s4
	s_addc_u32 s4, s23, s5
	s_and_b32 s0, s0, vcc_lo
	s_delay_alu instid0(VALU_DEP_1) | instskip(NEXT) | instid1(VALU_DEP_1)
	v_add_co_u32 v5, s1, s3, v1
	v_add_co_ci_u32_e64 v6, s1, s4, v2, s1
	s_and_saveexec_b32 s1, s0
	s_cbranch_execz .LBB224_11
; %bb.10:
	v_ashrrev_i32_e32 v1, 31, v0
	s_delay_alu instid0(VALU_DEP_1) | instskip(NEXT) | instid1(VALU_DEP_1)
	v_lshlrev_b64 v[1:2], 3, v[0:1]
	v_add_co_u32 v1, s0, v5, v1
	s_delay_alu instid0(VALU_DEP_1)
	v_add_co_ci_u32_e64 v2, s0, v6, v2, s0
	global_load_b64 v[7:8], v[1:2], off
	v_mul_f32_e32 v3, s9, v22
	s_waitcnt vmcnt(0)
	v_dual_mul_f32 v9, s8, v22 :: v_dual_mul_f32 v10, s7, v8
	v_mul_f32_e32 v8, s6, v8
	s_delay_alu instid0(VALU_DEP_3) | instskip(NEXT) | instid1(VALU_DEP_3)
	v_fma_f32 v3, v21, s8, -v3
	v_fmac_f32_e32 v9, s9, v21
	s_delay_alu instid0(VALU_DEP_4) | instskip(NEXT) | instid1(VALU_DEP_1)
	v_fma_f32 v10, v7, s6, -v10
	v_dual_fmac_f32 v8, s7, v7 :: v_dual_add_f32 v7, v3, v10
	s_delay_alu instid0(VALU_DEP_1)
	v_add_f32_e32 v8, v9, v8
	global_store_b64 v[1:2], v[7:8], off
.LBB224_11:
	s_or_b32 exec_lo, exec_lo, s1
	v_add_nc_u32_e32 v2, 16, v0
	s_delay_alu instid0(VALU_DEP_1) | instskip(SKIP_1) | instid1(VALU_DEP_1)
	v_cmp_le_i32_e64 s1, v4, v2
	v_cmp_gt_i32_e64 s0, s20, v2
	s_and_b32 s1, s1, s0
	s_delay_alu instid0(SALU_CYCLE_1)
	s_and_saveexec_b32 s5, s1
	s_cbranch_execz .LBB224_13
; %bb.12:
	v_ashrrev_i32_e32 v3, 31, v2
	s_delay_alu instid0(VALU_DEP_1) | instskip(SKIP_1) | instid1(VALU_DEP_2)
	v_lshlrev_b64 v[7:8], 3, v[2:3]
	v_mul_f32_e32 v3, s8, v20
	v_add_co_u32 v5, s1, v5, v7
	s_delay_alu instid0(VALU_DEP_1) | instskip(NEXT) | instid1(VALU_DEP_3)
	v_add_co_ci_u32_e64 v6, s1, v6, v8, s1
	v_fmac_f32_e32 v3, s9, v19
	global_load_b64 v[7:8], v[5:6], off
	s_waitcnt vmcnt(0)
	v_mul_f32_e32 v9, s7, v8
	v_mul_f32_e32 v8, s6, v8
	;; [unrolled: 1-line block ×3, first 2 shown]
	s_delay_alu instid0(VALU_DEP_3) | instskip(NEXT) | instid1(VALU_DEP_3)
	v_fma_f32 v9, v7, s6, -v9
	v_fmac_f32_e32 v8, s7, v7
	s_delay_alu instid0(VALU_DEP_3) | instskip(NEXT) | instid1(VALU_DEP_1)
	v_fma_f32 v1, v19, s8, -v1
	v_dual_add_f32 v8, v3, v8 :: v_dual_add_f32 v7, v1, v9
	global_store_b64 v[5:6], v[7:8], off
.LBB224_13:
	s_or_b32 exec_lo, exec_lo, s5
	v_add_nc_u32_e32 v3, 16, v4
	s_delay_alu instid0(VALU_DEP_1) | instskip(SKIP_1) | instid1(VALU_DEP_2)
	v_mad_i64_i32 v[4:5], null, v3, s2, 0
	v_cmp_le_i32_e64 s1, v3, v0
	v_lshlrev_b64 v[4:5], 3, v[4:5]
	s_delay_alu instid0(VALU_DEP_1) | instskip(NEXT) | instid1(VALU_DEP_1)
	v_add_co_u32 v4, s2, s3, v4
	v_add_co_ci_u32_e64 v5, s2, s4, v5, s2
	s_delay_alu instid0(VALU_DEP_4) | instskip(NEXT) | instid1(SALU_CYCLE_1)
	s_and_b32 s2, s1, vcc_lo
	s_and_saveexec_b32 s1, s2
	s_cbranch_execz .LBB224_15
; %bb.14:
	v_ashrrev_i32_e32 v1, 31, v0
	s_delay_alu instid0(VALU_DEP_1) | instskip(NEXT) | instid1(VALU_DEP_1)
	v_lshlrev_b64 v[0:1], 3, v[0:1]
	v_add_co_u32 v0, vcc_lo, v4, v0
	s_delay_alu instid0(VALU_DEP_2)
	v_add_co_ci_u32_e32 v1, vcc_lo, v5, v1, vcc_lo
	global_load_b64 v[6:7], v[0:1], off
	v_mul_f32_e32 v8, s9, v18
	s_waitcnt vmcnt(0)
	v_dual_mul_f32 v9, s8, v18 :: v_dual_mul_f32 v10, s7, v7
	v_mul_f32_e32 v7, s6, v7
	s_delay_alu instid0(VALU_DEP_3) | instskip(NEXT) | instid1(VALU_DEP_3)
	v_fma_f32 v8, v17, s8, -v8
	v_fma_f32 v10, v6, s6, -v10
	s_delay_alu instid0(VALU_DEP_4) | instskip(NEXT) | instid1(VALU_DEP_4)
	v_fmac_f32_e32 v9, s9, v17
	v_fmac_f32_e32 v7, s7, v6
	s_delay_alu instid0(VALU_DEP_1)
	v_dual_add_f32 v6, v8, v10 :: v_dual_add_f32 v7, v9, v7
	global_store_b64 v[0:1], v[6:7], off
.LBB224_15:
	s_or_b32 exec_lo, exec_lo, s1
	v_cmp_le_i32_e32 vcc_lo, v3, v2
	s_and_b32 s0, vcc_lo, s0
	s_delay_alu instid0(SALU_CYCLE_1)
	s_and_saveexec_b32 s1, s0
	s_cbranch_execz .LBB224_17
; %bb.16:
	v_ashrrev_i32_e32 v3, 31, v2
	s_delay_alu instid0(VALU_DEP_1) | instskip(NEXT) | instid1(VALU_DEP_1)
	v_lshlrev_b64 v[0:1], 3, v[2:3]
	v_add_co_u32 v0, vcc_lo, v4, v0
	s_delay_alu instid0(VALU_DEP_2)
	v_add_co_ci_u32_e32 v1, vcc_lo, v5, v1, vcc_lo
	global_load_b64 v[2:3], v[0:1], off
	v_mul_f32_e32 v4, s9, v16
	s_waitcnt vmcnt(0)
	v_dual_mul_f32 v5, s8, v16 :: v_dual_mul_f32 v6, s7, v3
	v_mul_f32_e32 v3, s6, v3
	s_delay_alu instid0(VALU_DEP_3) | instskip(NEXT) | instid1(VALU_DEP_3)
	v_fma_f32 v4, v15, s8, -v4
	v_fma_f32 v6, v2, s6, -v6
	s_delay_alu instid0(VALU_DEP_4) | instskip(NEXT) | instid1(VALU_DEP_4)
	v_fmac_f32_e32 v5, s9, v15
	v_fmac_f32_e32 v3, s7, v2
	s_delay_alu instid0(VALU_DEP_1)
	v_dual_add_f32 v2, v4, v6 :: v_dual_add_f32 v3, v5, v3
	global_store_b64 v[0:1], v[2:3], off
.LBB224_17:
	s_nop 0
	s_sendmsg sendmsg(MSG_DEALLOC_VGPRS)
	s_endpgm
	.section	.rodata,"a",@progbits
	.p2align	6, 0x0
	.amdhsa_kernel _ZL34rocblas_syrkx_herkx_general_kernelIi19rocblas_complex_numIfELi16ELi32ELi8ELb0ELb0ELc78ELc76EKS1_S1_EviT_T0_PT8_S3_lS6_S3_lS4_PT9_S3_li
		.amdhsa_group_segment_fixed_size 4096
		.amdhsa_private_segment_fixed_size 0
		.amdhsa_kernarg_size 100
		.amdhsa_user_sgpr_count 13
		.amdhsa_user_sgpr_dispatch_ptr 0
		.amdhsa_user_sgpr_queue_ptr 0
		.amdhsa_user_sgpr_kernarg_segment_ptr 1
		.amdhsa_user_sgpr_dispatch_id 0
		.amdhsa_user_sgpr_private_segment_size 0
		.amdhsa_wavefront_size32 1
		.amdhsa_uses_dynamic_stack 0
		.amdhsa_enable_private_segment 0
		.amdhsa_system_sgpr_workgroup_id_x 1
		.amdhsa_system_sgpr_workgroup_id_y 1
		.amdhsa_system_sgpr_workgroup_id_z 1
		.amdhsa_system_sgpr_workgroup_info 0
		.amdhsa_system_vgpr_workitem_id 1
		.amdhsa_next_free_vgpr 59
		.amdhsa_next_free_sgpr 29
		.amdhsa_reserve_vcc 1
		.amdhsa_float_round_mode_32 0
		.amdhsa_float_round_mode_16_64 0
		.amdhsa_float_denorm_mode_32 3
		.amdhsa_float_denorm_mode_16_64 3
		.amdhsa_dx10_clamp 1
		.amdhsa_ieee_mode 1
		.amdhsa_fp16_overflow 0
		.amdhsa_workgroup_processor_mode 1
		.amdhsa_memory_ordered 1
		.amdhsa_forward_progress 0
		.amdhsa_shared_vgpr_count 0
		.amdhsa_exception_fp_ieee_invalid_op 0
		.amdhsa_exception_fp_denorm_src 0
		.amdhsa_exception_fp_ieee_div_zero 0
		.amdhsa_exception_fp_ieee_overflow 0
		.amdhsa_exception_fp_ieee_underflow 0
		.amdhsa_exception_fp_ieee_inexact 0
		.amdhsa_exception_int_div_zero 0
	.end_amdhsa_kernel
	.section	.text._ZL34rocblas_syrkx_herkx_general_kernelIi19rocblas_complex_numIfELi16ELi32ELi8ELb0ELb0ELc78ELc76EKS1_S1_EviT_T0_PT8_S3_lS6_S3_lS4_PT9_S3_li,"axG",@progbits,_ZL34rocblas_syrkx_herkx_general_kernelIi19rocblas_complex_numIfELi16ELi32ELi8ELb0ELb0ELc78ELc76EKS1_S1_EviT_T0_PT8_S3_lS6_S3_lS4_PT9_S3_li,comdat
.Lfunc_end224:
	.size	_ZL34rocblas_syrkx_herkx_general_kernelIi19rocblas_complex_numIfELi16ELi32ELi8ELb0ELb0ELc78ELc76EKS1_S1_EviT_T0_PT8_S3_lS6_S3_lS4_PT9_S3_li, .Lfunc_end224-_ZL34rocblas_syrkx_herkx_general_kernelIi19rocblas_complex_numIfELi16ELi32ELi8ELb0ELb0ELc78ELc76EKS1_S1_EviT_T0_PT8_S3_lS6_S3_lS4_PT9_S3_li
                                        ; -- End function
	.section	.AMDGPU.csdata,"",@progbits
; Kernel info:
; codeLenInByte = 2692
; NumSgprs: 31
; NumVgprs: 59
; ScratchSize: 0
; MemoryBound: 1
; FloatMode: 240
; IeeeMode: 1
; LDSByteSize: 4096 bytes/workgroup (compile time only)
; SGPRBlocks: 3
; VGPRBlocks: 7
; NumSGPRsForWavesPerEU: 31
; NumVGPRsForWavesPerEU: 59
; Occupancy: 16
; WaveLimiterHint : 0
; COMPUTE_PGM_RSRC2:SCRATCH_EN: 0
; COMPUTE_PGM_RSRC2:USER_SGPR: 13
; COMPUTE_PGM_RSRC2:TRAP_HANDLER: 0
; COMPUTE_PGM_RSRC2:TGID_X_EN: 1
; COMPUTE_PGM_RSRC2:TGID_Y_EN: 1
; COMPUTE_PGM_RSRC2:TGID_Z_EN: 1
; COMPUTE_PGM_RSRC2:TIDIG_COMP_CNT: 1
	.section	.text._ZL34rocblas_syrkx_herkx_general_kernelIi19rocblas_complex_numIfELi16ELi32ELi8ELb0ELb0ELc84ELc85EKS1_S1_EviT_T0_PT8_S3_lS6_S3_lS4_PT9_S3_li,"axG",@progbits,_ZL34rocblas_syrkx_herkx_general_kernelIi19rocblas_complex_numIfELi16ELi32ELi8ELb0ELb0ELc84ELc85EKS1_S1_EviT_T0_PT8_S3_lS6_S3_lS4_PT9_S3_li,comdat
	.globl	_ZL34rocblas_syrkx_herkx_general_kernelIi19rocblas_complex_numIfELi16ELi32ELi8ELb0ELb0ELc84ELc85EKS1_S1_EviT_T0_PT8_S3_lS6_S3_lS4_PT9_S3_li ; -- Begin function _ZL34rocblas_syrkx_herkx_general_kernelIi19rocblas_complex_numIfELi16ELi32ELi8ELb0ELb0ELc84ELc85EKS1_S1_EviT_T0_PT8_S3_lS6_S3_lS4_PT9_S3_li
	.p2align	8
	.type	_ZL34rocblas_syrkx_herkx_general_kernelIi19rocblas_complex_numIfELi16ELi32ELi8ELb0ELb0ELc84ELc85EKS1_S1_EviT_T0_PT8_S3_lS6_S3_lS4_PT9_S3_li,@function
_ZL34rocblas_syrkx_herkx_general_kernelIi19rocblas_complex_numIfELi16ELi32ELi8ELb0ELb0ELc84ELc85EKS1_S1_EviT_T0_PT8_S3_lS6_S3_lS4_PT9_S3_li: ; @_ZL34rocblas_syrkx_herkx_general_kernelIi19rocblas_complex_numIfELi16ELi32ELi8ELb0ELb0ELc84ELc85EKS1_S1_EviT_T0_PT8_S3_lS6_S3_lS4_PT9_S3_li
; %bb.0:
	s_clause 0x3
	s_load_b64 s[20:21], s[0:1], 0x0
	s_load_b128 s[8:11], s[0:1], 0x8
	s_load_b128 s[4:7], s[0:1], 0x38
	s_load_b64 s[22:23], s[0:1], 0x48
	v_dual_mov_b32 v21, 0 :: v_dual_and_b32 v6, 0x3ff, v0
	v_bfe_u32 v7, v0, 10, 10
	v_dual_mov_b32 v20, 0 :: v_dual_mov_b32 v19, 0
	v_dual_mov_b32 v18, 0 :: v_dual_mov_b32 v17, 0
	;; [unrolled: 1-line block ×3, first 2 shown]
	v_mov_b32_e32 v14, 0
	s_lshl_b32 s12, s13, 5
	s_lshl_b32 s13, s14, 5
	s_mov_b32 s14, 0
	s_waitcnt lgkmcnt(0)
	s_cmp_lt_i32 s21, 1
	s_cbranch_scc1 .LBB225_11
; %bb.1:
	s_load_b32 s2, s[0:1], 0x18
	v_lshl_add_u32 v0, v7, 4, v6
	s_clause 0x1
	s_load_b128 s[16:19], s[0:1], 0x20
	s_load_b32 s3, s[0:1], 0x30
	v_dual_mov_b32 v15, 0 :: v_dual_and_b32 v8, 7, v6
	v_mov_b32_e32 v17, 0
	v_and_b32_e32 v1, 31, v0
	v_lshrrev_b32_e32 v2, 3, v0
	v_lshrrev_b32_e32 v11, 5, v0
	v_lshlrev_b32_e32 v4, 3, v8
	s_delay_alu instid0(VALU_DEP_4) | instskip(SKIP_4) | instid1(VALU_DEP_4)
	v_dual_mov_b32 v16, 0 :: v_dual_add_nc_u32 v3, s12, v1
	v_or_b32_e32 v12, s12, v1
	v_dual_mov_b32 v20, 0 :: v_dual_lshlrev_b32 v13, 3, v1
	v_dual_mov_b32 v18, 0 :: v_dual_add_nc_u32 v5, s13, v2
	v_lshl_or_b32 v14, v2, 6, v4
	v_cmp_gt_i32_e32 vcc_lo, s20, v12
	s_delay_alu instid0(VALU_DEP_4)
	v_lshl_or_b32 v12, v11, 8, v13
	s_waitcnt lgkmcnt(0)
	v_mad_i64_i32 v[0:1], null, s2, v3, 0
	s_mul_i32 s17, s17, s15
	s_mul_hi_u32 s24, s16, s15
	v_mad_i64_i32 v[2:3], null, s3, v5, 0
	s_mul_i32 s16, s16, s15
	s_add_i32 s17, s24, s17
	s_delay_alu instid0(VALU_DEP_2)
	v_lshlrev_b64 v[0:1], 3, v[0:1]
	s_lshl_b64 s[16:17], s[16:17], 3
	v_cmp_gt_i32_e64 s2, s20, v5
	v_add_nc_u32_e32 v13, 0x800, v14
	s_mul_i32 s5, s5, s15
	v_lshlrev_b32_e32 v9, 3, v6
	v_add_co_u32 v5, s3, v0, s16
	s_delay_alu instid0(VALU_DEP_1)
	v_add_co_ci_u32_e64 v14, s3, s17, v1, s3
	s_mul_hi_u32 s3, s4, s15
	v_lshlrev_b64 v[0:1], 3, v[2:3]
	s_add_i32 s5, s3, s5
	s_mul_i32 s4, s4, s15
	v_dual_mov_b32 v19, 0 :: v_dual_lshlrev_b32 v2, 3, v11
	s_lshl_b64 s[4:5], s[4:5], 3
	v_lshl_add_u32 v10, v7, 6, 0x800
	v_add_co_u32 v0, s3, v0, s4
	s_delay_alu instid0(VALU_DEP_1) | instskip(SKIP_1) | instid1(VALU_DEP_1)
	v_add_co_ci_u32_e64 v1, s3, s5, v1, s3
	v_add_co_u32 v2, s3, v5, v2
	v_add_co_ci_u32_e64 v3, s3, 0, v14, s3
	s_delay_alu instid0(VALU_DEP_4) | instskip(NEXT) | instid1(VALU_DEP_1)
	v_add_co_u32 v4, s3, v0, v4
	v_add_co_ci_u32_e64 v5, s3, 0, v1, s3
	s_delay_alu instid0(VALU_DEP_4) | instskip(NEXT) | instid1(VALU_DEP_1)
	;; [unrolled: 3-line block ×3, first 2 shown]
	v_add_co_u32 v2, s3, s18, v4
	v_add_co_ci_u32_e64 v3, s3, s19, v5, s3
	v_mov_b32_e32 v4, 0
	v_dual_mov_b32 v14, 0 :: v_dual_mov_b32 v21, 0
	s_xor_b32 s3, vcc_lo, -1
	s_xor_b32 s2, s2, -1
	s_branch .LBB225_3
.LBB225_2:                              ;   in Loop: Header=BB225_3 Depth=1
	s_or_b32 exec_lo, exec_lo, s4
	s_waitcnt lgkmcnt(0)
	s_barrier
	buffer_gl0_inv
	ds_load_2addr_b64 v[22:25], v9 offset1:16
	ds_load_b128 v[26:29], v10
	ds_load_b128 v[30:33], v10 offset:1024
	ds_load_b128 v[34:37], v10 offset:16
	;; [unrolled: 1-line block ×4, first 2 shown]
	ds_load_2addr_b64 v[46:49], v9 offset0:32 offset1:48
	ds_load_b128 v[50:53], v10 offset:1040
	v_add_co_u32 v0, vcc_lo, v0, 64
	v_add_co_ci_u32_e32 v1, vcc_lo, 0, v1, vcc_lo
	v_add_co_u32 v2, vcc_lo, v2, 64
	v_add_co_ci_u32_e32 v3, vcc_lo, 0, v3, vcc_lo
	s_add_i32 s14, s14, 8
	s_delay_alu instid0(SALU_CYCLE_1)
	s_cmp_ge_i32 s14, s21
	s_waitcnt lgkmcnt(6)
	v_dual_mul_f32 v5, v27, v23 :: v_dual_mul_f32 v56, v26, v25
	v_dual_mul_f32 v54, v26, v23 :: v_dual_mul_f32 v55, v27, v25
	s_waitcnt lgkmcnt(5)
	v_mul_f32_e32 v58, v31, v25
	s_delay_alu instid0(VALU_DEP_3) | instskip(SKIP_3) | instid1(VALU_DEP_4)
	v_fma_f32 v5, v26, v22, -v5
	v_dual_mul_f32 v25, v30, v25 :: v_dual_fmac_f32 v56, v27, v24
	v_fmac_f32_e32 v54, v27, v22
	v_fma_f32 v26, v26, v24, -v55
	v_add_f32_e32 v5, v20, v5
	v_mul_f32_e32 v57, v31, v23
	s_delay_alu instid0(VALU_DEP_4) | instskip(SKIP_2) | instid1(VALU_DEP_4)
	v_dual_mul_f32 v23, v30, v23 :: v_dual_add_f32 v20, v21, v54
	v_fmac_f32_e32 v25, v31, v24
	v_dual_add_f32 v21, v18, v26 :: v_dual_add_f32 v26, v19, v56
	v_fma_f32 v27, v30, v22, -v57
	s_delay_alu instid0(VALU_DEP_4) | instskip(SKIP_3) | instid1(VALU_DEP_2)
	v_fmac_f32_e32 v23, v31, v22
	v_fma_f32 v22, v30, v24, -v58
	s_waitcnt lgkmcnt(1)
	v_mul_f32_e32 v30, v29, v47
	v_dual_add_f32 v27, v16, v27 :: v_dual_add_f32 v14, v14, v22
	v_dual_mul_f32 v22, v28, v47 :: v_dual_add_f32 v15, v15, v25
	v_mul_f32_e32 v25, v28, v49
	s_delay_alu instid0(VALU_DEP_4) | instskip(NEXT) | instid1(VALU_DEP_3)
	v_fma_f32 v24, v28, v46, -v30
	v_fmac_f32_e32 v22, v29, v46
	v_add_f32_e32 v23, v17, v23
	ds_load_2addr_b64 v[16:19], v9 offset0:64 offset1:80
	v_mul_f32_e32 v30, v29, v49
	v_fmac_f32_e32 v25, v29, v48
	v_add_f32_e32 v5, v5, v24
	s_delay_alu instid0(VALU_DEP_2) | instskip(SKIP_1) | instid1(VALU_DEP_1)
	v_add_f32_e32 v25, v26, v25
	v_mul_f32_e32 v26, v32, v49
	v_fmac_f32_e32 v26, v33, v48
	s_waitcnt lgkmcnt(0)
	s_delay_alu instid0(VALU_DEP_1) | instskip(SKIP_1) | instid1(VALU_DEP_2)
	v_dual_add_f32 v26, v15, v26 :: v_dual_mul_f32 v29, v34, v17
	v_mul_f32_e32 v15, v34, v19
	v_fmac_f32_e32 v29, v35, v16
	v_fma_f32 v24, v28, v48, -v30
	v_mul_f32_e32 v28, v33, v47
	v_add_f32_e32 v30, v20, v22
	v_mul_f32_e32 v20, v32, v47
	v_mul_f32_e32 v22, v33, v49
	v_add_f32_e32 v24, v21, v24
	v_fma_f32 v21, v32, v46, -v28
	s_delay_alu instid0(VALU_DEP_4) | instskip(SKIP_1) | instid1(VALU_DEP_3)
	v_dual_add_f32 v29, v30, v29 :: v_dual_fmac_f32 v20, v33, v46
	v_fmac_f32_e32 v15, v35, v18
	v_add_f32_e32 v27, v27, v21
	v_fma_f32 v21, v32, v48, -v22
	v_mul_f32_e32 v22, v35, v17
	v_mul_f32_e32 v32, v35, v19
	v_add_f32_e32 v28, v23, v20
	s_delay_alu instid0(VALU_DEP_4) | instskip(NEXT) | instid1(VALU_DEP_4)
	v_add_f32_e32 v14, v14, v21
	v_fma_f32 v31, v34, v16, -v22
	ds_load_2addr_b64 v[20:23], v9 offset0:96 offset1:112
	v_add_f32_e32 v5, v5, v31
	v_fma_f32 v31, v34, v18, -v32
	s_delay_alu instid0(VALU_DEP_1) | instskip(SKIP_3) | instid1(VALU_DEP_3)
	v_add_f32_e32 v24, v24, v31
	v_mul_f32_e32 v31, v51, v19
	v_mul_f32_e32 v19, v50, v19
	v_add_f32_e32 v32, v25, v15
	v_fma_f32 v15, v50, v18, -v31
	s_delay_alu instid0(VALU_DEP_3)
	v_fmac_f32_e32 v19, v51, v18
	v_mul_f32_e32 v30, v51, v17
	v_mul_f32_e32 v17, v50, v17
	s_waitcnt lgkmcnt(0)
	v_dual_mul_f32 v18, v37, v21 :: v_dual_add_f32 v31, v14, v15
	v_add_f32_e32 v33, v26, v19
	v_fma_f32 v30, v50, v16, -v30
	v_fmac_f32_e32 v17, v51, v16
	s_delay_alu instid0(VALU_DEP_4) | instskip(SKIP_1) | instid1(VALU_DEP_4)
	v_fma_f32 v18, v36, v20, -v18
	v_mul_f32_e32 v25, v36, v21
	v_dual_mul_f32 v19, v36, v23 :: v_dual_add_f32 v30, v27, v30
	s_delay_alu instid0(VALU_DEP_4) | instskip(SKIP_4) | instid1(VALU_DEP_2)
	v_add_f32_e32 v28, v28, v17
	ds_load_2addr_b64 v[14:17], v9 offset0:128 offset1:144
	v_add_f32_e32 v5, v5, v18
	v_mul_f32_e32 v18, v53, v21
	v_fmac_f32_e32 v19, v37, v22
	v_fma_f32 v18, v52, v20, -v18
	v_mul_f32_e32 v27, v37, v23
	s_delay_alu instid0(VALU_DEP_1) | instskip(NEXT) | instid1(VALU_DEP_3)
	v_fma_f32 v26, v36, v22, -v27
	v_add_f32_e32 v36, v30, v18
	s_waitcnt lgkmcnt(0)
	s_delay_alu instid0(VALU_DEP_2) | instskip(SKIP_2) | instid1(VALU_DEP_3)
	v_dual_add_f32 v35, v24, v26 :: v_dual_mul_f32 v46, v38, v15
	v_dual_fmac_f32 v25, v37, v20 :: v_dual_add_f32 v32, v32, v19
	v_mul_f32_e32 v18, v39, v15
	v_fmac_f32_e32 v46, v39, v14
	s_delay_alu instid0(VALU_DEP_3)
	v_add_f32_e32 v34, v29, v25
	v_mul_f32_e32 v29, v53, v23
	v_mul_f32_e32 v23, v52, v23
	ds_load_b128 v[24:27], v10 offset:1056
	v_add_f32_e32 v34, v34, v46
	v_fma_f32 v19, v52, v22, -v29
	v_mul_f32_e32 v21, v52, v21
	v_fmac_f32_e32 v23, v53, v22
	v_mul_f32_e32 v29, v39, v17
	s_delay_alu instid0(VALU_DEP_3) | instskip(NEXT) | instid1(VALU_DEP_3)
	v_dual_add_f32 v22, v31, v19 :: v_dual_fmac_f32 v21, v53, v20
	v_add_f32_e32 v23, v33, v23
	s_delay_alu instid0(VALU_DEP_2) | instskip(SKIP_4) | instid1(VALU_DEP_2)
	v_add_f32_e32 v37, v28, v21
	v_fma_f32 v28, v38, v14, -v18
	ds_load_2addr_b64 v[18:21], v9 offset0:160 offset1:176
	v_mul_f32_e32 v33, v38, v17
	v_fma_f32 v38, v38, v16, -v29
	v_fmac_f32_e32 v33, v39, v16
	s_delay_alu instid0(VALU_DEP_1)
	v_dual_add_f32 v35, v35, v38 :: v_dual_add_f32 v32, v32, v33
	v_add_f32_e32 v5, v5, v28
	ds_load_b128 v[28:31], v10 offset:1072
	s_waitcnt lgkmcnt(2)
	v_mul_f32_e32 v47, v25, v15
	v_mul_f32_e32 v15, v24, v15
	;; [unrolled: 1-line block ×4, first 2 shown]
	s_delay_alu instid0(VALU_DEP_4) | instskip(NEXT) | instid1(VALU_DEP_4)
	v_fma_f32 v38, v24, v14, -v47
	v_fmac_f32_e32 v15, v25, v14
	s_delay_alu instid0(VALU_DEP_4)
	v_fma_f32 v14, v24, v16, -v39
	s_waitcnt lgkmcnt(1)
	v_mul_f32_e32 v17, v41, v19
	v_dual_fmac_f32 v33, v25, v16 :: v_dual_add_f32 v36, v36, v38
	v_add_f32_e32 v24, v37, v15
	v_add_f32_e32 v22, v22, v14
	s_delay_alu instid0(VALU_DEP_4) | instskip(SKIP_2) | instid1(VALU_DEP_1)
	v_fma_f32 v37, v40, v18, -v17
	ds_load_2addr_b64 v[14:17], v9 offset0:192 offset1:208
	v_dual_mul_f32 v25, v40, v19 :: v_dual_mul_f32 v38, v41, v21
	v_fmac_f32_e32 v25, v41, v18
	s_delay_alu instid0(VALU_DEP_1) | instskip(SKIP_4) | instid1(VALU_DEP_3)
	v_add_f32_e32 v34, v34, v25
	v_add_f32_e32 v33, v23, v33
	v_mul_f32_e32 v23, v40, v21
	v_mul_f32_e32 v25, v27, v19
	;; [unrolled: 1-line block ×3, first 2 shown]
	v_fmac_f32_e32 v23, v41, v20
	s_delay_alu instid0(VALU_DEP_3) | instskip(NEXT) | instid1(VALU_DEP_2)
	v_fma_f32 v25, v26, v18, -v25
	v_dual_fmac_f32 v19, v27, v18 :: v_dual_add_f32 v18, v32, v23
	s_waitcnt lgkmcnt(0)
	v_dual_mul_f32 v32, v43, v15 :: v_dual_add_f32 v5, v5, v37
	v_fma_f32 v37, v40, v20, -v38
	s_delay_alu instid0(VALU_DEP_3) | instskip(NEXT) | instid1(VALU_DEP_3)
	v_add_f32_e32 v19, v24, v19
	v_fma_f32 v32, v42, v14, -v32
	s_delay_alu instid0(VALU_DEP_1) | instskip(NEXT) | instid1(VALU_DEP_4)
	v_add_f32_e32 v5, v5, v32
	v_add_f32_e32 v35, v35, v37
	v_mul_f32_e32 v37, v27, v21
	v_dual_mul_f32 v21, v26, v21 :: v_dual_mul_f32 v32, v29, v15
	s_delay_alu instid0(VALU_DEP_2) | instskip(NEXT) | instid1(VALU_DEP_2)
	v_fma_f32 v23, v26, v20, -v37
	v_dual_add_f32 v26, v36, v25 :: v_dual_fmac_f32 v21, v27, v20
	v_mul_f32_e32 v27, v42, v15
	v_mul_f32_e32 v15, v28, v15
	s_delay_alu instid0(VALU_DEP_4)
	v_add_f32_e32 v20, v22, v23
	ds_load_2addr_b64 v[22:25], v9 offset0:224 offset1:240
	v_fma_f32 v32, v28, v14, -v32
	v_dual_fmac_f32 v27, v43, v14 :: v_dual_mul_f32 v36, v42, v17
	v_fmac_f32_e32 v15, v29, v14
	s_waitcnt lgkmcnt(0)
	s_delay_alu instid0(VALU_DEP_3) | instskip(NEXT) | instid1(VALU_DEP_3)
	v_add_f32_e32 v14, v26, v32
	v_dual_add_f32 v27, v34, v27 :: v_dual_fmac_f32 v36, v43, v16
	s_delay_alu instid0(VALU_DEP_3)
	v_dual_mul_f32 v34, v29, v17 :: v_dual_add_f32 v15, v19, v15
	s_barrier
	buffer_gl0_inv
	v_mul_f32_e32 v26, v45, v23
	v_add_f32_e32 v21, v33, v21
	v_mul_f32_e32 v33, v43, v17
	v_mul_f32_e32 v17, v28, v17
	;; [unrolled: 1-line block ×3, first 2 shown]
	s_delay_alu instid0(VALU_DEP_3) | instskip(NEXT) | instid1(VALU_DEP_3)
	v_fma_f32 v33, v42, v16, -v33
	v_fmac_f32_e32 v17, v29, v16
	s_delay_alu instid0(VALU_DEP_3) | instskip(NEXT) | instid1(VALU_DEP_3)
	v_fmac_f32_e32 v19, v45, v24
	v_add_f32_e32 v33, v35, v33
	v_add_f32_e32 v35, v18, v36
	v_fma_f32 v18, v28, v16, -v34
	v_fma_f32 v16, v44, v22, -v26
	v_mul_f32_e32 v28, v44, v23
	v_dual_add_f32 v26, v21, v17 :: v_dual_mul_f32 v17, v30, v23
	s_delay_alu instid0(VALU_DEP_4) | instskip(NEXT) | instid1(VALU_DEP_4)
	v_dual_add_f32 v29, v20, v18 :: v_dual_mul_f32 v18, v45, v25
	v_add_f32_e32 v20, v5, v16
	v_mul_f32_e32 v16, v31, v23
	v_mul_f32_e32 v23, v31, v25
	;; [unrolled: 1-line block ×3, first 2 shown]
	v_fma_f32 v5, v44, v24, -v18
	v_fmac_f32_e32 v28, v45, v22
	v_fmac_f32_e32 v17, v31, v22
	v_add_f32_e32 v19, v35, v19
	s_delay_alu instid0(VALU_DEP_4)
	v_dual_fmac_f32 v25, v31, v24 :: v_dual_add_f32 v18, v33, v5
	v_fma_f32 v5, v30, v22, -v16
	v_fma_f32 v22, v30, v24, -v23
	v_add_f32_e32 v21, v27, v28
	v_add_f32_e32 v17, v15, v17
	v_add_f32_e32 v15, v26, v25
	v_add_f32_e32 v16, v14, v5
	v_add_f32_e32 v14, v29, v22
	s_cbranch_scc1 .LBB225_11
.LBB225_3:                              ; =>This Inner Loop Header: Depth=1
	v_add_nc_u32_e32 v5, s14, v11
	s_delay_alu instid0(VALU_DEP_1) | instskip(SKIP_1) | instid1(SALU_CYCLE_1)
	v_cmp_le_i32_e32 vcc_lo, s21, v5
	s_or_b32 s4, s3, vcc_lo
	s_and_saveexec_b32 s5, s4
	s_delay_alu instid0(SALU_CYCLE_1)
	s_xor_b32 s4, exec_lo, s5
	s_cbranch_execz .LBB225_5
; %bb.4:                                ;   in Loop: Header=BB225_3 Depth=1
	v_mov_b32_e32 v5, v4
	ds_store_b64 v12, v[4:5]
.LBB225_5:                              ;   in Loop: Header=BB225_3 Depth=1
	s_and_not1_saveexec_b32 s4, s4
	s_cbranch_execz .LBB225_7
; %bb.6:                                ;   in Loop: Header=BB225_3 Depth=1
	global_load_b64 v[22:23], v[0:1], off
	s_waitcnt vmcnt(0)
	ds_store_b64 v12, v[22:23]
.LBB225_7:                              ;   in Loop: Header=BB225_3 Depth=1
	s_or_b32 exec_lo, exec_lo, s4
	v_add_nc_u32_e32 v5, s14, v8
	s_delay_alu instid0(VALU_DEP_1) | instskip(SKIP_1) | instid1(SALU_CYCLE_1)
	v_cmp_le_i32_e32 vcc_lo, s21, v5
	s_or_b32 s4, vcc_lo, s2
	s_and_saveexec_b32 s5, s4
	s_delay_alu instid0(SALU_CYCLE_1)
	s_xor_b32 s4, exec_lo, s5
	s_cbranch_execz .LBB225_9
; %bb.8:                                ;   in Loop: Header=BB225_3 Depth=1
	v_mov_b32_e32 v5, v4
	ds_store_b64 v13, v[4:5]
.LBB225_9:                              ;   in Loop: Header=BB225_3 Depth=1
	s_and_not1_saveexec_b32 s4, s4
	s_cbranch_execz .LBB225_2
; %bb.10:                               ;   in Loop: Header=BB225_3 Depth=1
	global_load_b64 v[22:23], v[2:3], off
	s_waitcnt vmcnt(0)
	ds_store_b64 v13, v[22:23]
	s_branch .LBB225_2
.LBB225_11:
	s_clause 0x1
	s_load_b32 s2, s[0:1], 0x50
	s_load_b64 s[0:1], s[0:1], 0x58
	v_add_nc_u32_e32 v4, s13, v7
	v_add_nc_u32_e32 v0, s12, v6
	s_delay_alu instid0(VALU_DEP_2)
	v_cmp_gt_i32_e32 vcc_lo, s20, v4
	s_waitcnt lgkmcnt(0)
	v_mad_i64_i32 v[1:2], null, v4, s2, 0
	s_mul_i32 s1, s15, s1
	s_mul_hi_u32 s3, s15, s0
	s_mul_i32 s0, s15, s0
	s_add_i32 s1, s3, s1
	s_delay_alu instid0(SALU_CYCLE_1) | instskip(NEXT) | instid1(VALU_DEP_1)
	s_lshl_b64 s[4:5], s[0:1], 3
	v_lshlrev_b64 v[1:2], 3, v[1:2]
	s_add_u32 s3, s22, s4
	v_cmp_le_i32_e64 s0, v0, v4
	s_addc_u32 s4, s23, s5
	s_delay_alu instid0(VALU_DEP_2) | instskip(NEXT) | instid1(VALU_DEP_1)
	v_add_co_u32 v5, s1, s3, v1
	v_add_co_ci_u32_e64 v6, s1, s4, v2, s1
	s_delay_alu instid0(VALU_DEP_3) | instskip(NEXT) | instid1(SALU_CYCLE_1)
	s_and_b32 s0, vcc_lo, s0
	s_and_saveexec_b32 s1, s0
	s_cbranch_execz .LBB225_13
; %bb.12:
	v_ashrrev_i32_e32 v1, 31, v0
	s_delay_alu instid0(VALU_DEP_1) | instskip(NEXT) | instid1(VALU_DEP_1)
	v_lshlrev_b64 v[1:2], 3, v[0:1]
	v_add_co_u32 v1, s0, v5, v1
	s_delay_alu instid0(VALU_DEP_1)
	v_add_co_ci_u32_e64 v2, s0, v6, v2, s0
	global_load_b64 v[7:8], v[1:2], off
	v_mul_f32_e32 v3, s9, v21
	s_waitcnt vmcnt(0)
	v_dual_mul_f32 v9, s8, v21 :: v_dual_mul_f32 v10, s7, v8
	v_mul_f32_e32 v8, s6, v8
	s_delay_alu instid0(VALU_DEP_3) | instskip(NEXT) | instid1(VALU_DEP_3)
	v_fma_f32 v3, v20, s8, -v3
	v_fmac_f32_e32 v9, s9, v20
	s_delay_alu instid0(VALU_DEP_4) | instskip(NEXT) | instid1(VALU_DEP_1)
	v_fma_f32 v10, v7, s6, -v10
	v_dual_fmac_f32 v8, s7, v7 :: v_dual_add_f32 v7, v3, v10
	s_delay_alu instid0(VALU_DEP_1)
	v_add_f32_e32 v8, v9, v8
	global_store_b64 v[1:2], v[7:8], off
.LBB225_13:
	s_or_b32 exec_lo, exec_lo, s1
	v_add_nc_u32_e32 v2, 16, v0
	s_delay_alu instid0(VALU_DEP_1) | instskip(NEXT) | instid1(VALU_DEP_1)
	v_cmp_le_i32_e64 s0, v2, v4
	s_and_b32 s1, vcc_lo, s0
	s_delay_alu instid0(SALU_CYCLE_1)
	s_and_saveexec_b32 s0, s1
	s_cbranch_execz .LBB225_15
; %bb.14:
	v_ashrrev_i32_e32 v3, 31, v2
	s_delay_alu instid0(VALU_DEP_1) | instskip(SKIP_1) | instid1(VALU_DEP_1)
	v_lshlrev_b64 v[7:8], 3, v[2:3]
	v_mul_f32_e32 v3, s8, v19
	v_fmac_f32_e32 v3, s9, v18
	s_delay_alu instid0(VALU_DEP_3) | instskip(NEXT) | instid1(VALU_DEP_4)
	v_add_co_u32 v5, vcc_lo, v5, v7
	v_add_co_ci_u32_e32 v6, vcc_lo, v6, v8, vcc_lo
	global_load_b64 v[7:8], v[5:6], off
	v_mul_f32_e32 v1, s9, v19
	s_waitcnt vmcnt(0)
	v_mul_f32_e32 v9, s7, v8
	v_mul_f32_e32 v8, s6, v8
	s_delay_alu instid0(VALU_DEP_3) | instskip(NEXT) | instid1(VALU_DEP_2)
	v_fma_f32 v1, v18, s8, -v1
	v_fmac_f32_e32 v8, s7, v7
	s_delay_alu instid0(VALU_DEP_4) | instskip(NEXT) | instid1(VALU_DEP_1)
	v_fma_f32 v9, v7, s6, -v9
	v_dual_add_f32 v8, v3, v8 :: v_dual_add_f32 v7, v1, v9
	global_store_b64 v[5:6], v[7:8], off
.LBB225_15:
	s_or_b32 exec_lo, exec_lo, s0
	v_add_nc_u32_e32 v3, 16, v4
	s_delay_alu instid0(VALU_DEP_1) | instskip(SKIP_2) | instid1(VALU_DEP_1)
	v_mad_i64_i32 v[4:5], null, v3, s2, 0
	v_cmp_gt_i32_e32 vcc_lo, s20, v3
	v_cmp_le_i32_e64 s0, v0, v3
	s_and_b32 s0, vcc_lo, s0
	s_delay_alu instid0(VALU_DEP_3) | instskip(NEXT) | instid1(VALU_DEP_1)
	v_lshlrev_b64 v[4:5], 3, v[4:5]
	v_add_co_u32 v4, s1, s3, v4
	s_delay_alu instid0(VALU_DEP_1)
	v_add_co_ci_u32_e64 v5, s1, s4, v5, s1
	s_and_saveexec_b32 s1, s0
	s_cbranch_execz .LBB225_17
; %bb.16:
	v_ashrrev_i32_e32 v1, 31, v0
	s_delay_alu instid0(VALU_DEP_1) | instskip(NEXT) | instid1(VALU_DEP_1)
	v_lshlrev_b64 v[0:1], 3, v[0:1]
	v_add_co_u32 v0, s0, v4, v0
	s_delay_alu instid0(VALU_DEP_1)
	v_add_co_ci_u32_e64 v1, s0, v5, v1, s0
	global_load_b64 v[6:7], v[0:1], off
	v_mul_f32_e32 v8, s9, v17
	s_waitcnt vmcnt(0)
	v_dual_mul_f32 v9, s8, v17 :: v_dual_mul_f32 v10, s7, v7
	v_mul_f32_e32 v7, s6, v7
	s_delay_alu instid0(VALU_DEP_3) | instskip(NEXT) | instid1(VALU_DEP_3)
	v_fma_f32 v8, v16, s8, -v8
	v_fma_f32 v10, v6, s6, -v10
	s_delay_alu instid0(VALU_DEP_4) | instskip(NEXT) | instid1(VALU_DEP_4)
	v_fmac_f32_e32 v9, s9, v16
	v_fmac_f32_e32 v7, s7, v6
	s_delay_alu instid0(VALU_DEP_1)
	v_dual_add_f32 v6, v8, v10 :: v_dual_add_f32 v7, v9, v7
	global_store_b64 v[0:1], v[6:7], off
.LBB225_17:
	s_or_b32 exec_lo, exec_lo, s1
	v_cmp_le_i32_e64 s0, v2, v3
	s_delay_alu instid0(VALU_DEP_1) | instskip(NEXT) | instid1(SALU_CYCLE_1)
	s_and_b32 s0, vcc_lo, s0
	s_and_saveexec_b32 s1, s0
	s_cbranch_execz .LBB225_19
; %bb.18:
	v_ashrrev_i32_e32 v3, 31, v2
	s_delay_alu instid0(VALU_DEP_1) | instskip(NEXT) | instid1(VALU_DEP_1)
	v_lshlrev_b64 v[0:1], 3, v[2:3]
	v_add_co_u32 v0, vcc_lo, v4, v0
	s_delay_alu instid0(VALU_DEP_2) | instskip(SKIP_4) | instid1(VALU_DEP_1)
	v_add_co_ci_u32_e32 v1, vcc_lo, v5, v1, vcc_lo
	global_load_b64 v[2:3], v[0:1], off
	s_waitcnt vmcnt(0)
	v_mul_f32_e32 v6, s7, v3
	v_mul_f32_e32 v3, s6, v3
	v_fmac_f32_e32 v3, s7, v2
	s_delay_alu instid0(VALU_DEP_3) | instskip(SKIP_1) | instid1(VALU_DEP_1)
	v_fma_f32 v6, v2, s6, -v6
	v_mul_f32_e32 v5, s8, v15
	v_dual_mul_f32 v4, s9, v15 :: v_dual_fmac_f32 v5, s9, v14
	s_delay_alu instid0(VALU_DEP_1) | instskip(NEXT) | instid1(VALU_DEP_1)
	v_fma_f32 v4, v14, s8, -v4
	v_dual_add_f32 v3, v5, v3 :: v_dual_add_f32 v2, v4, v6
	global_store_b64 v[0:1], v[2:3], off
.LBB225_19:
	s_nop 0
	s_sendmsg sendmsg(MSG_DEALLOC_VGPRS)
	s_endpgm
	.section	.rodata,"a",@progbits
	.p2align	6, 0x0
	.amdhsa_kernel _ZL34rocblas_syrkx_herkx_general_kernelIi19rocblas_complex_numIfELi16ELi32ELi8ELb0ELb0ELc84ELc85EKS1_S1_EviT_T0_PT8_S3_lS6_S3_lS4_PT9_S3_li
		.amdhsa_group_segment_fixed_size 4096
		.amdhsa_private_segment_fixed_size 0
		.amdhsa_kernarg_size 100
		.amdhsa_user_sgpr_count 13
		.amdhsa_user_sgpr_dispatch_ptr 0
		.amdhsa_user_sgpr_queue_ptr 0
		.amdhsa_user_sgpr_kernarg_segment_ptr 1
		.amdhsa_user_sgpr_dispatch_id 0
		.amdhsa_user_sgpr_private_segment_size 0
		.amdhsa_wavefront_size32 1
		.amdhsa_uses_dynamic_stack 0
		.amdhsa_enable_private_segment 0
		.amdhsa_system_sgpr_workgroup_id_x 1
		.amdhsa_system_sgpr_workgroup_id_y 1
		.amdhsa_system_sgpr_workgroup_id_z 1
		.amdhsa_system_sgpr_workgroup_info 0
		.amdhsa_system_vgpr_workitem_id 1
		.amdhsa_next_free_vgpr 59
		.amdhsa_next_free_sgpr 25
		.amdhsa_reserve_vcc 1
		.amdhsa_float_round_mode_32 0
		.amdhsa_float_round_mode_16_64 0
		.amdhsa_float_denorm_mode_32 3
		.amdhsa_float_denorm_mode_16_64 3
		.amdhsa_dx10_clamp 1
		.amdhsa_ieee_mode 1
		.amdhsa_fp16_overflow 0
		.amdhsa_workgroup_processor_mode 1
		.amdhsa_memory_ordered 1
		.amdhsa_forward_progress 0
		.amdhsa_shared_vgpr_count 0
		.amdhsa_exception_fp_ieee_invalid_op 0
		.amdhsa_exception_fp_denorm_src 0
		.amdhsa_exception_fp_ieee_div_zero 0
		.amdhsa_exception_fp_ieee_overflow 0
		.amdhsa_exception_fp_ieee_underflow 0
		.amdhsa_exception_fp_ieee_inexact 0
		.amdhsa_exception_int_div_zero 0
	.end_amdhsa_kernel
	.section	.text._ZL34rocblas_syrkx_herkx_general_kernelIi19rocblas_complex_numIfELi16ELi32ELi8ELb0ELb0ELc84ELc85EKS1_S1_EviT_T0_PT8_S3_lS6_S3_lS4_PT9_S3_li,"axG",@progbits,_ZL34rocblas_syrkx_herkx_general_kernelIi19rocblas_complex_numIfELi16ELi32ELi8ELb0ELb0ELc84ELc85EKS1_S1_EviT_T0_PT8_S3_lS6_S3_lS4_PT9_S3_li,comdat
.Lfunc_end225:
	.size	_ZL34rocblas_syrkx_herkx_general_kernelIi19rocblas_complex_numIfELi16ELi32ELi8ELb0ELb0ELc84ELc85EKS1_S1_EviT_T0_PT8_S3_lS6_S3_lS4_PT9_S3_li, .Lfunc_end225-_ZL34rocblas_syrkx_herkx_general_kernelIi19rocblas_complex_numIfELi16ELi32ELi8ELb0ELb0ELc84ELc85EKS1_S1_EviT_T0_PT8_S3_lS6_S3_lS4_PT9_S3_li
                                        ; -- End function
	.section	.AMDGPU.csdata,"",@progbits
; Kernel info:
; codeLenInByte = 2640
; NumSgprs: 27
; NumVgprs: 59
; ScratchSize: 0
; MemoryBound: 1
; FloatMode: 240
; IeeeMode: 1
; LDSByteSize: 4096 bytes/workgroup (compile time only)
; SGPRBlocks: 3
; VGPRBlocks: 7
; NumSGPRsForWavesPerEU: 27
; NumVGPRsForWavesPerEU: 59
; Occupancy: 16
; WaveLimiterHint : 0
; COMPUTE_PGM_RSRC2:SCRATCH_EN: 0
; COMPUTE_PGM_RSRC2:USER_SGPR: 13
; COMPUTE_PGM_RSRC2:TRAP_HANDLER: 0
; COMPUTE_PGM_RSRC2:TGID_X_EN: 1
; COMPUTE_PGM_RSRC2:TGID_Y_EN: 1
; COMPUTE_PGM_RSRC2:TGID_Z_EN: 1
; COMPUTE_PGM_RSRC2:TIDIG_COMP_CNT: 1
	.section	.text._ZL34rocblas_syrkx_herkx_general_kernelIi19rocblas_complex_numIfELi16ELi32ELi8ELb0ELb0ELc67ELc85EKS1_S1_EviT_T0_PT8_S3_lS6_S3_lS4_PT9_S3_li,"axG",@progbits,_ZL34rocblas_syrkx_herkx_general_kernelIi19rocblas_complex_numIfELi16ELi32ELi8ELb0ELb0ELc67ELc85EKS1_S1_EviT_T0_PT8_S3_lS6_S3_lS4_PT9_S3_li,comdat
	.globl	_ZL34rocblas_syrkx_herkx_general_kernelIi19rocblas_complex_numIfELi16ELi32ELi8ELb0ELb0ELc67ELc85EKS1_S1_EviT_T0_PT8_S3_lS6_S3_lS4_PT9_S3_li ; -- Begin function _ZL34rocblas_syrkx_herkx_general_kernelIi19rocblas_complex_numIfELi16ELi32ELi8ELb0ELb0ELc67ELc85EKS1_S1_EviT_T0_PT8_S3_lS6_S3_lS4_PT9_S3_li
	.p2align	8
	.type	_ZL34rocblas_syrkx_herkx_general_kernelIi19rocblas_complex_numIfELi16ELi32ELi8ELb0ELb0ELc67ELc85EKS1_S1_EviT_T0_PT8_S3_lS6_S3_lS4_PT9_S3_li,@function
_ZL34rocblas_syrkx_herkx_general_kernelIi19rocblas_complex_numIfELi16ELi32ELi8ELb0ELb0ELc67ELc85EKS1_S1_EviT_T0_PT8_S3_lS6_S3_lS4_PT9_S3_li: ; @_ZL34rocblas_syrkx_herkx_general_kernelIi19rocblas_complex_numIfELi16ELi32ELi8ELb0ELb0ELc67ELc85EKS1_S1_EviT_T0_PT8_S3_lS6_S3_lS4_PT9_S3_li
; %bb.0:
	s_clause 0x3
	s_load_b64 s[20:21], s[0:1], 0x0
	s_load_b128 s[8:11], s[0:1], 0x8
	s_load_b128 s[4:7], s[0:1], 0x38
	s_load_b64 s[22:23], s[0:1], 0x48
	v_dual_mov_b32 v22, 0 :: v_dual_and_b32 v7, 0x3ff, v0
	v_bfe_u32 v8, v0, 10, 10
	v_dual_mov_b32 v21, 0 :: v_dual_mov_b32 v20, 0
	v_dual_mov_b32 v19, 0 :: v_dual_mov_b32 v18, 0
	;; [unrolled: 1-line block ×3, first 2 shown]
	v_mov_b32_e32 v15, 0
	s_lshl_b32 s12, s13, 5
	s_lshl_b32 s13, s14, 5
	s_mov_b32 s14, 0
	s_waitcnt lgkmcnt(0)
	s_cmp_lt_i32 s21, 1
	s_cbranch_scc1 .LBB226_9
; %bb.1:
	s_load_b32 s2, s[0:1], 0x18
	v_lshl_add_u32 v0, v8, 4, v7
	s_clause 0x1
	s_load_b128 s[16:19], s[0:1], 0x20
	s_load_b32 s3, s[0:1], 0x30
	v_and_b32_e32 v9, 7, v7
	v_dual_mov_b32 v17, 0 :: v_dual_lshlrev_b32 v10, 3, v7
	v_and_b32_e32 v2, 31, v0
	v_lshrrev_b32_e32 v1, 3, v0
	s_delay_alu instid0(VALU_DEP_4) | instskip(SKIP_1) | instid1(VALU_DEP_4)
	v_dual_mov_b32 v19, 0 :: v_dual_lshlrev_b32 v4, 3, v9
	v_lshrrev_b32_e32 v12, 5, v0
	v_dual_mov_b32 v21, 0 :: v_dual_add_nc_u32 v6, s12, v2
	s_delay_alu instid0(VALU_DEP_4) | instskip(NEXT) | instid1(VALU_DEP_4)
	v_dual_mov_b32 v16, 0 :: v_dual_add_nc_u32 v5, s13, v1
	v_lshl_or_b32 v14, v1, 6, v4
	v_or_b32_e32 v3, s12, v2
	v_lshlrev_b32_e32 v2, 3, v2
	v_dual_mov_b32 v18, 0 :: v_dual_lshlrev_b32 v15, 3, v12
	s_waitcnt lgkmcnt(0)
	v_mad_i64_i32 v[0:1], null, s2, v6, 0
	s_mul_i32 s17, s17, s15
	s_mul_hi_u32 s24, s16, s15
	v_cmp_gt_i32_e32 vcc_lo, s20, v3
	v_lshl_or_b32 v13, v12, 8, v2
	v_mad_i64_i32 v[2:3], null, s3, v5, 0
	s_delay_alu instid0(VALU_DEP_4)
	v_lshlrev_b64 v[0:1], 3, v[0:1]
	s_mul_i32 s16, s16, s15
	s_add_i32 s17, s24, s17
	v_cmp_gt_i32_e64 s2, s20, v5
	s_lshl_b64 s[16:17], s[16:17], 3
	v_lshl_add_u32 v11, v8, 6, 0x800
	v_add_co_u32 v5, s3, v0, s16
	s_delay_alu instid0(VALU_DEP_1)
	v_add_co_ci_u32_e64 v6, s3, s17, v1, s3
	s_mul_i32 s3, s5, s15
	s_mul_hi_u32 s5, s4, s15
	v_lshlrev_b64 v[0:1], 3, v[2:3]
	s_add_i32 s5, s5, s3
	s_mul_i32 s4, s4, s15
	v_add_co_u32 v2, s3, v5, v15
	s_lshl_b64 s[4:5], s[4:5], 3
	v_add_co_ci_u32_e64 v3, s3, 0, v6, s3
	v_add_co_u32 v0, s3, v0, s4
	s_delay_alu instid0(VALU_DEP_1) | instskip(SKIP_1) | instid1(VALU_DEP_1)
	v_add_co_ci_u32_e64 v1, s3, s5, v1, s3
	v_add_co_u32 v2, s3, v2, s10
	v_add_co_ci_u32_e64 v3, s3, s11, v3, s3
	s_delay_alu instid0(VALU_DEP_4) | instskip(NEXT) | instid1(VALU_DEP_1)
	v_add_co_u32 v4, s3, v0, v4
	v_add_co_ci_u32_e64 v5, s3, 0, v1, s3
	s_delay_alu instid0(VALU_DEP_4) | instskip(NEXT) | instid1(VALU_DEP_1)
	v_add_co_u32 v0, s3, v2, 4
	v_add_co_ci_u32_e64 v1, s3, 0, v3, s3
	s_delay_alu instid0(VALU_DEP_4)
	v_add_co_u32 v2, s3, s18, v4
	v_add_nc_u32_e32 v14, 0x800, v14
	v_add_co_ci_u32_e64 v3, s3, s19, v5, s3
	v_dual_mov_b32 v4, 0 :: v_dual_mov_b32 v15, 0
	v_mov_b32_e32 v20, 0
	v_mov_b32_e32 v22, 0
	s_xor_b32 s3, s2, -1
	s_branch .LBB226_3
.LBB226_2:                              ;   in Loop: Header=BB226_3 Depth=1
	s_or_b32 exec_lo, exec_lo, s2
	s_waitcnt lgkmcnt(0)
	s_barrier
	buffer_gl0_inv
	ds_load_2addr_b64 v[23:26], v10 offset1:16
	ds_load_b128 v[27:30], v11
	ds_load_b128 v[31:34], v11 offset:1024
	ds_load_b128 v[35:38], v11 offset:16
	ds_load_b128 v[39:42], v11 offset:32
	ds_load_b128 v[43:46], v11 offset:48
	ds_load_2addr_b64 v[47:50], v10 offset0:32 offset1:48
	ds_load_b128 v[51:54], v11 offset:1040
	v_add_co_u32 v0, s2, v0, 64
	s_delay_alu instid0(VALU_DEP_1) | instskip(SKIP_1) | instid1(VALU_DEP_1)
	v_add_co_ci_u32_e64 v1, s2, 0, v1, s2
	v_add_co_u32 v2, s2, v2, 64
	v_add_co_ci_u32_e64 v3, s2, 0, v3, s2
	s_add_i32 s14, s14, 8
	s_delay_alu instid0(SALU_CYCLE_1)
	s_cmp_ge_i32 s14, s21
	s_waitcnt lgkmcnt(6)
	v_dual_mul_f32 v5, v28, v24 :: v_dual_mul_f32 v56, v27, v26
	v_dual_mul_f32 v6, v27, v24 :: v_dual_mul_f32 v55, v28, v26
	s_waitcnt lgkmcnt(5)
	v_mul_f32_e32 v57, v32, v24
	s_delay_alu instid0(VALU_DEP_3)
	v_fma_f32 v5, v27, v23, -v5
	v_fmac_f32_e32 v56, v28, v25
	v_fmac_f32_e32 v6, v28, v23
	v_fma_f32 v27, v27, v25, -v55
	v_mul_f32_e32 v58, v32, v26
	v_mul_f32_e32 v26, v31, v26
	v_fma_f32 v28, v31, v23, -v57
	v_dual_mul_f32 v24, v31, v24 :: v_dual_add_f32 v5, v21, v5
	s_delay_alu instid0(VALU_DEP_3) | instskip(NEXT) | instid1(VALU_DEP_3)
	v_dual_add_f32 v21, v19, v27 :: v_dual_fmac_f32 v26, v32, v25
	v_add_f32_e32 v27, v17, v28
	s_waitcnt lgkmcnt(1)
	v_mul_f32_e32 v28, v30, v48
	v_fmac_f32_e32 v24, v32, v23
	v_fma_f32 v23, v31, v25, -v58
	s_delay_alu instid0(VALU_DEP_3) | instskip(SKIP_1) | instid1(VALU_DEP_3)
	v_fma_f32 v25, v29, v47, -v28
	v_mul_f32_e32 v28, v30, v50
	v_dual_add_f32 v6, v22, v6 :: v_dual_add_f32 v15, v15, v23
	v_mul_f32_e32 v23, v29, v48
	s_delay_alu instid0(VALU_DEP_4) | instskip(NEXT) | instid1(VALU_DEP_4)
	v_dual_add_f32 v5, v5, v25 :: v_dual_add_f32 v22, v20, v56
	v_fma_f32 v25, v29, v49, -v28
	v_add_f32_e32 v24, v18, v24
	ds_load_2addr_b64 v[17:20], v10 offset0:64 offset1:80
	v_fmac_f32_e32 v23, v30, v47
	v_dual_mul_f32 v28, v34, v48 :: v_dual_add_f32 v25, v21, v25
	s_delay_alu instid0(VALU_DEP_2)
	v_dual_add_f32 v6, v6, v23 :: v_dual_mul_f32 v23, v33, v48
	v_add_f32_e32 v16, v16, v26
	v_mul_f32_e32 v26, v29, v50
	v_mul_f32_e32 v29, v33, v50
	v_fma_f32 v21, v33, v47, -v28
	v_fmac_f32_e32 v23, v34, v47
	s_delay_alu instid0(VALU_DEP_3) | instskip(SKIP_1) | instid1(VALU_DEP_4)
	v_fmac_f32_e32 v29, v34, v49
	v_fmac_f32_e32 v26, v30, v49
	v_add_f32_e32 v27, v27, v21
	s_delay_alu instid0(VALU_DEP_2) | instskip(SKIP_2) | instid1(VALU_DEP_1)
	v_dual_add_f32 v29, v16, v29 :: v_dual_add_f32 v26, v22, v26
	s_waitcnt lgkmcnt(0)
	v_mul_f32_e32 v22, v36, v18
	v_fma_f32 v31, v35, v17, -v22
	s_delay_alu instid0(VALU_DEP_1) | instskip(NEXT) | instid1(VALU_DEP_1)
	v_dual_add_f32 v5, v5, v31 :: v_dual_mul_f32 v32, v36, v20
	v_fma_f32 v31, v35, v19, -v32
	s_delay_alu instid0(VALU_DEP_1) | instskip(NEXT) | instid1(VALU_DEP_1)
	v_dual_mul_f32 v28, v34, v50 :: v_dual_add_f32 v25, v25, v31
	v_fma_f32 v21, v33, v49, -v28
	v_add_f32_e32 v28, v24, v23
	v_mul_f32_e32 v16, v35, v20
	v_mul_f32_e32 v31, v52, v20
	;; [unrolled: 1-line block ×3, first 2 shown]
	v_add_f32_e32 v15, v15, v21
	ds_load_2addr_b64 v[21:24], v10 offset0:96 offset1:112
	v_mul_f32_e32 v30, v35, v18
	v_fmac_f32_e32 v16, v36, v19
	v_fmac_f32_e32 v20, v52, v19
	s_delay_alu instid0(VALU_DEP_3) | instskip(NEXT) | instid1(VALU_DEP_3)
	v_fmac_f32_e32 v30, v36, v17
	v_add_f32_e32 v32, v26, v16
	s_delay_alu instid0(VALU_DEP_3) | instskip(SKIP_1) | instid1(VALU_DEP_4)
	v_add_f32_e32 v29, v29, v20
	v_fma_f32 v16, v51, v19, -v31
	v_add_f32_e32 v6, v6, v30
	s_delay_alu instid0(VALU_DEP_2) | instskip(SKIP_3) | instid1(VALU_DEP_3)
	v_dual_mul_f32 v30, v52, v18 :: v_dual_add_f32 v33, v15, v16
	s_waitcnt lgkmcnt(0)
	v_mul_f32_e32 v35, v54, v24
	v_mul_f32_e32 v20, v37, v24
	v_fma_f32 v30, v51, v17, -v30
	v_mul_f32_e32 v19, v38, v22
	s_delay_alu instid0(VALU_DEP_3) | instskip(NEXT) | instid1(VALU_DEP_2)
	v_fmac_f32_e32 v20, v38, v23
	v_fma_f32 v19, v37, v21, -v19
	s_delay_alu instid0(VALU_DEP_2) | instskip(SKIP_2) | instid1(VALU_DEP_4)
	v_add_f32_e32 v36, v32, v20
	v_fma_f32 v20, v53, v23, -v35
	v_dual_add_f32 v30, v27, v30 :: v_dual_mul_f32 v27, v38, v24
	v_add_f32_e32 v5, v5, v19
	v_dual_mul_f32 v19, v54, v22 :: v_dual_mul_f32 v24, v53, v24
	s_delay_alu instid0(VALU_DEP_3) | instskip(NEXT) | instid1(VALU_DEP_2)
	v_fma_f32 v27, v37, v23, -v27
	v_fma_f32 v19, v53, v21, -v19
	s_delay_alu instid0(VALU_DEP_3) | instskip(SKIP_1) | instid1(VALU_DEP_4)
	v_dual_fmac_f32 v24, v54, v23 :: v_dual_add_f32 v23, v33, v20
	v_mul_f32_e32 v18, v51, v18
	v_add_f32_e32 v34, v25, v27
	v_mul_f32_e32 v26, v37, v22
	v_dual_mul_f32 v22, v53, v22 :: v_dual_add_f32 v35, v30, v19
	v_add_f32_e32 v24, v29, v24
	s_delay_alu instid0(VALU_DEP_2) | instskip(SKIP_1) | instid1(VALU_DEP_1)
	v_fmac_f32_e32 v22, v54, v21
	v_fmac_f32_e32 v18, v52, v17
	v_add_f32_e32 v31, v28, v18
	ds_load_2addr_b64 v[15:18], v10 offset0:128 offset1:144
	v_add_f32_e32 v37, v31, v22
	s_waitcnt lgkmcnt(0)
	v_mul_f32_e32 v19, v40, v16
	v_mul_f32_e32 v31, v40, v18
	;; [unrolled: 1-line block ×3, first 2 shown]
	s_delay_alu instid0(VALU_DEP_3)
	v_fma_f32 v30, v39, v15, -v19
	v_fmac_f32_e32 v26, v38, v21
	ds_load_2addr_b64 v[19:22], v10 offset0:160 offset1:176
	v_mul_f32_e32 v38, v39, v18
	v_fma_f32 v39, v39, v17, -v31
	v_add_f32_e32 v5, v5, v30
	v_add_f32_e32 v6, v6, v26
	ds_load_b128 v[25:28], v11 offset:1056
	ds_load_b128 v[29:32], v11 offset:1072
	v_fmac_f32_e32 v38, v40, v17
	v_fmac_f32_e32 v33, v40, v15
	s_delay_alu instid0(VALU_DEP_2) | instskip(SKIP_3) | instid1(VALU_DEP_2)
	v_add_f32_e32 v36, v36, v38
	s_waitcnt lgkmcnt(1)
	v_dual_mul_f32 v38, v25, v18 :: v_dual_mul_f32 v47, v26, v16
	v_mul_f32_e32 v16, v25, v16
	v_fmac_f32_e32 v38, v26, v17
	s_delay_alu instid0(VALU_DEP_1) | instskip(SKIP_1) | instid1(VALU_DEP_1)
	v_add_f32_e32 v38, v24, v38
	v_mul_f32_e32 v24, v41, v22
	v_fmac_f32_e32 v24, v42, v21
	v_add_f32_e32 v6, v6, v33
	v_add_f32_e32 v33, v34, v39
	v_fma_f32 v34, v25, v15, -v47
	v_mul_f32_e32 v39, v26, v18
	v_mul_f32_e32 v18, v42, v20
	s_delay_alu instid0(VALU_DEP_3) | instskip(NEXT) | instid1(VALU_DEP_2)
	v_add_f32_e32 v34, v35, v34
	v_fma_f32 v35, v41, v19, -v18
	s_delay_alu instid0(VALU_DEP_1) | instskip(SKIP_3) | instid1(VALU_DEP_3)
	v_add_f32_e32 v5, v5, v35
	v_fmac_f32_e32 v16, v26, v15
	v_fma_f32 v15, v25, v17, -v39
	v_mul_f32_e32 v26, v41, v20
	v_add_f32_e32 v25, v37, v16
	s_delay_alu instid0(VALU_DEP_3) | instskip(SKIP_3) | instid1(VALU_DEP_2)
	v_add_f32_e32 v23, v23, v15
	ds_load_2addr_b64 v[15:18], v10 offset0:192 offset1:208
	v_mul_f32_e32 v37, v42, v22
	v_fmac_f32_e32 v26, v42, v19
	v_fma_f32 v35, v41, v21, -v37
	s_delay_alu instid0(VALU_DEP_2) | instskip(SKIP_1) | instid1(VALU_DEP_3)
	v_add_f32_e32 v6, v6, v26
	v_mul_f32_e32 v26, v28, v20
	v_dual_mul_f32 v20, v27, v20 :: v_dual_add_f32 v33, v33, v35
	v_mul_f32_e32 v35, v28, v22
	s_delay_alu instid0(VALU_DEP_3) | instskip(NEXT) | instid1(VALU_DEP_3)
	v_fma_f32 v26, v27, v19, -v26
	v_fmac_f32_e32 v20, v28, v19
	v_dual_add_f32 v19, v36, v24 :: v_dual_mul_f32 v22, v27, v22
	s_delay_alu instid0(VALU_DEP_4) | instskip(NEXT) | instid1(VALU_DEP_3)
	v_fma_f32 v24, v27, v21, -v35
	v_dual_add_f32 v27, v34, v26 :: v_dual_add_f32 v20, v25, v20
	s_waitcnt lgkmcnt(0)
	v_mul_f32_e32 v34, v44, v16
	s_delay_alu instid0(VALU_DEP_3)
	v_dual_fmac_f32 v22, v28, v21 :: v_dual_add_f32 v21, v23, v24
	ds_load_2addr_b64 v[23:26], v10 offset0:224 offset1:240
	v_mul_f32_e32 v28, v43, v16
	v_fma_f32 v34, v43, v15, -v34
	v_mul_f32_e32 v35, v44, v18
	v_mul_f32_e32 v36, v43, v18
	s_waitcnt lgkmcnt(0)
	s_delay_alu instid0(VALU_DEP_3) | instskip(SKIP_3) | instid1(VALU_DEP_4)
	v_dual_fmac_f32 v28, v44, v15 :: v_dual_add_f32 v5, v5, v34
	v_mul_f32_e32 v34, v30, v16
	v_fma_f32 v35, v43, v17, -v35
	v_fmac_f32_e32 v36, v44, v17
	v_add_f32_e32 v6, v6, v28
	v_mul_f32_e32 v16, v29, v16
	v_fma_f32 v28, v29, v15, -v34
	v_dual_mul_f32 v34, v30, v18 :: v_dual_add_f32 v33, v33, v35
	s_delay_alu instid0(VALU_DEP_3) | instskip(NEXT) | instid1(VALU_DEP_3)
	v_dual_add_f32 v35, v19, v36 :: v_dual_fmac_f32 v16, v30, v15
	v_dual_add_f32 v15, v27, v28 :: v_dual_mul_f32 v18, v29, v18
	s_delay_alu instid0(VALU_DEP_3) | instskip(SKIP_3) | instid1(VALU_DEP_4)
	v_fma_f32 v19, v29, v17, -v34
	v_mul_f32_e32 v27, v46, v24
	v_mul_f32_e32 v28, v45, v24
	v_add_f32_e32 v16, v20, v16
	v_dual_fmac_f32 v18, v30, v17 :: v_dual_add_f32 v29, v21, v19
	s_delay_alu instid0(VALU_DEP_4)
	v_fma_f32 v17, v45, v23, -v27
	v_mul_f32_e32 v19, v46, v26
	v_fmac_f32_e32 v28, v46, v23
	v_mul_f32_e32 v20, v45, v26
	s_barrier
	v_add_f32_e32 v21, v5, v17
	v_mul_f32_e32 v17, v32, v26
	v_fma_f32 v5, v45, v25, -v19
	v_fmac_f32_e32 v20, v46, v25
	buffer_gl0_inv
	v_dual_add_f32 v19, v33, v5 :: v_dual_add_f32 v22, v38, v22
	s_delay_alu instid0(VALU_DEP_1) | instskip(SKIP_4) | instid1(VALU_DEP_3)
	v_dual_add_f32 v20, v35, v20 :: v_dual_add_f32 v27, v22, v18
	v_add_f32_e32 v22, v6, v28
	v_mul_f32_e32 v6, v32, v24
	v_mul_f32_e32 v18, v31, v24
	;; [unrolled: 1-line block ×3, first 2 shown]
	v_fma_f32 v5, v31, v23, -v6
	s_delay_alu instid0(VALU_DEP_3) | instskip(SKIP_1) | instid1(VALU_DEP_4)
	v_fmac_f32_e32 v18, v32, v23
	v_fma_f32 v6, v31, v25, -v17
	v_fmac_f32_e32 v24, v32, v25
	s_delay_alu instid0(VALU_DEP_3) | instskip(NEXT) | instid1(VALU_DEP_2)
	v_dual_add_f32 v17, v15, v5 :: v_dual_add_f32 v18, v16, v18
	v_dual_add_f32 v15, v29, v6 :: v_dual_add_f32 v16, v27, v24
	s_cbranch_scc1 .LBB226_9
.LBB226_3:                              ; =>This Inner Loop Header: Depth=1
	v_dual_mov_b32 v6, 0 :: v_dual_add_nc_u32 v5, s14, v12
	s_delay_alu instid0(VALU_DEP_1) | instskip(SKIP_1) | instid1(VALU_DEP_2)
	v_cmp_gt_i32_e64 s2, s21, v5
	v_mov_b32_e32 v5, 0
	s_and_b32 s4, vcc_lo, s2
	s_delay_alu instid0(SALU_CYCLE_1)
	s_and_saveexec_b32 s2, s4
	s_cbranch_execz .LBB226_5
; %bb.4:                                ;   in Loop: Header=BB226_3 Depth=1
	global_load_b64 v[5:6], v[0:1], off offset:-4
.LBB226_5:                              ;   in Loop: Header=BB226_3 Depth=1
	s_or_b32 exec_lo, exec_lo, s2
	v_add_nc_u32_e32 v23, s14, v9
	s_waitcnt vmcnt(0)
	ds_store_b64 v13, v[5:6]
	v_cmp_le_i32_e64 s2, s21, v23
	s_delay_alu instid0(VALU_DEP_1) | instskip(NEXT) | instid1(SALU_CYCLE_1)
	s_or_b32 s2, s2, s3
	s_and_saveexec_b32 s4, s2
	s_delay_alu instid0(SALU_CYCLE_1)
	s_xor_b32 s2, exec_lo, s4
	s_cbranch_execz .LBB226_7
; %bb.6:                                ;   in Loop: Header=BB226_3 Depth=1
	v_mov_b32_e32 v5, v4
	ds_store_b64 v14, v[4:5]
.LBB226_7:                              ;   in Loop: Header=BB226_3 Depth=1
	s_and_not1_saveexec_b32 s2, s2
	s_cbranch_execz .LBB226_2
; %bb.8:                                ;   in Loop: Header=BB226_3 Depth=1
	global_load_b64 v[5:6], v[2:3], off
	s_waitcnt vmcnt(0)
	ds_store_b64 v14, v[5:6]
	s_branch .LBB226_2
.LBB226_9:
	s_clause 0x1
	s_load_b32 s2, s[0:1], 0x50
	s_load_b64 s[0:1], s[0:1], 0x58
	v_add_nc_u32_e32 v4, s13, v8
	v_add_nc_u32_e32 v0, s12, v7
	s_delay_alu instid0(VALU_DEP_2)
	v_cmp_gt_i32_e32 vcc_lo, s20, v4
	s_waitcnt lgkmcnt(0)
	v_mad_i64_i32 v[1:2], null, v4, s2, 0
	s_mul_i32 s1, s15, s1
	s_mul_hi_u32 s3, s15, s0
	s_mul_i32 s0, s15, s0
	s_add_i32 s1, s3, s1
	s_delay_alu instid0(SALU_CYCLE_1) | instskip(NEXT) | instid1(VALU_DEP_1)
	s_lshl_b64 s[4:5], s[0:1], 3
	v_lshlrev_b64 v[1:2], 3, v[1:2]
	s_add_u32 s3, s22, s4
	v_cmp_le_i32_e64 s0, v0, v4
	s_addc_u32 s4, s23, s5
	s_delay_alu instid0(VALU_DEP_2) | instskip(NEXT) | instid1(VALU_DEP_1)
	v_add_co_u32 v5, s1, s3, v1
	v_add_co_ci_u32_e64 v6, s1, s4, v2, s1
	s_delay_alu instid0(VALU_DEP_3) | instskip(NEXT) | instid1(SALU_CYCLE_1)
	s_and_b32 s0, vcc_lo, s0
	s_and_saveexec_b32 s1, s0
	s_cbranch_execz .LBB226_11
; %bb.10:
	v_ashrrev_i32_e32 v1, 31, v0
	s_delay_alu instid0(VALU_DEP_1) | instskip(NEXT) | instid1(VALU_DEP_1)
	v_lshlrev_b64 v[1:2], 3, v[0:1]
	v_add_co_u32 v1, s0, v5, v1
	s_delay_alu instid0(VALU_DEP_1)
	v_add_co_ci_u32_e64 v2, s0, v6, v2, s0
	global_load_b64 v[7:8], v[1:2], off
	v_mul_f32_e32 v3, s9, v22
	s_waitcnt vmcnt(0)
	v_dual_mul_f32 v9, s8, v22 :: v_dual_mul_f32 v10, s7, v8
	v_mul_f32_e32 v8, s6, v8
	s_delay_alu instid0(VALU_DEP_3) | instskip(NEXT) | instid1(VALU_DEP_3)
	v_fma_f32 v3, v21, s8, -v3
	v_fmac_f32_e32 v9, s9, v21
	s_delay_alu instid0(VALU_DEP_4) | instskip(NEXT) | instid1(VALU_DEP_1)
	v_fma_f32 v10, v7, s6, -v10
	v_dual_fmac_f32 v8, s7, v7 :: v_dual_add_f32 v7, v3, v10
	s_delay_alu instid0(VALU_DEP_1)
	v_add_f32_e32 v8, v9, v8
	global_store_b64 v[1:2], v[7:8], off
.LBB226_11:
	s_or_b32 exec_lo, exec_lo, s1
	v_add_nc_u32_e32 v2, 16, v0
	s_delay_alu instid0(VALU_DEP_1) | instskip(NEXT) | instid1(VALU_DEP_1)
	v_cmp_le_i32_e64 s0, v2, v4
	s_and_b32 s1, vcc_lo, s0
	s_delay_alu instid0(SALU_CYCLE_1)
	s_and_saveexec_b32 s0, s1
	s_cbranch_execz .LBB226_13
; %bb.12:
	v_ashrrev_i32_e32 v3, 31, v2
	s_delay_alu instid0(VALU_DEP_1) | instskip(SKIP_1) | instid1(VALU_DEP_2)
	v_lshlrev_b64 v[7:8], 3, v[2:3]
	v_mul_f32_e32 v3, s8, v20
	v_add_co_u32 v5, vcc_lo, v5, v7
	s_delay_alu instid0(VALU_DEP_3) | instskip(NEXT) | instid1(VALU_DEP_3)
	v_add_co_ci_u32_e32 v6, vcc_lo, v6, v8, vcc_lo
	v_fmac_f32_e32 v3, s9, v19
	global_load_b64 v[7:8], v[5:6], off
	s_waitcnt vmcnt(0)
	v_mul_f32_e32 v9, s7, v8
	v_mul_f32_e32 v8, s6, v8
	;; [unrolled: 1-line block ×3, first 2 shown]
	s_delay_alu instid0(VALU_DEP_3) | instskip(NEXT) | instid1(VALU_DEP_3)
	v_fma_f32 v9, v7, s6, -v9
	v_fmac_f32_e32 v8, s7, v7
	s_delay_alu instid0(VALU_DEP_3) | instskip(NEXT) | instid1(VALU_DEP_1)
	v_fma_f32 v1, v19, s8, -v1
	v_dual_add_f32 v8, v3, v8 :: v_dual_add_f32 v7, v1, v9
	global_store_b64 v[5:6], v[7:8], off
.LBB226_13:
	s_or_b32 exec_lo, exec_lo, s0
	v_add_nc_u32_e32 v3, 16, v4
	s_delay_alu instid0(VALU_DEP_1) | instskip(SKIP_2) | instid1(VALU_DEP_1)
	v_mad_i64_i32 v[4:5], null, v3, s2, 0
	v_cmp_gt_i32_e32 vcc_lo, s20, v3
	v_cmp_le_i32_e64 s0, v0, v3
	s_and_b32 s0, vcc_lo, s0
	s_delay_alu instid0(VALU_DEP_3) | instskip(NEXT) | instid1(VALU_DEP_1)
	v_lshlrev_b64 v[4:5], 3, v[4:5]
	v_add_co_u32 v4, s1, s3, v4
	s_delay_alu instid0(VALU_DEP_1)
	v_add_co_ci_u32_e64 v5, s1, s4, v5, s1
	s_and_saveexec_b32 s1, s0
	s_cbranch_execz .LBB226_15
; %bb.14:
	v_ashrrev_i32_e32 v1, 31, v0
	s_delay_alu instid0(VALU_DEP_1) | instskip(NEXT) | instid1(VALU_DEP_1)
	v_lshlrev_b64 v[0:1], 3, v[0:1]
	v_add_co_u32 v0, s0, v4, v0
	s_delay_alu instid0(VALU_DEP_1)
	v_add_co_ci_u32_e64 v1, s0, v5, v1, s0
	global_load_b64 v[6:7], v[0:1], off
	v_mul_f32_e32 v8, s9, v18
	s_waitcnt vmcnt(0)
	v_dual_mul_f32 v9, s8, v18 :: v_dual_mul_f32 v10, s7, v7
	v_mul_f32_e32 v7, s6, v7
	s_delay_alu instid0(VALU_DEP_3) | instskip(NEXT) | instid1(VALU_DEP_3)
	v_fma_f32 v8, v17, s8, -v8
	v_fma_f32 v10, v6, s6, -v10
	s_delay_alu instid0(VALU_DEP_4) | instskip(NEXT) | instid1(VALU_DEP_4)
	v_fmac_f32_e32 v9, s9, v17
	v_fmac_f32_e32 v7, s7, v6
	s_delay_alu instid0(VALU_DEP_1)
	v_dual_add_f32 v6, v8, v10 :: v_dual_add_f32 v7, v9, v7
	global_store_b64 v[0:1], v[6:7], off
.LBB226_15:
	s_or_b32 exec_lo, exec_lo, s1
	v_cmp_le_i32_e64 s0, v2, v3
	s_delay_alu instid0(VALU_DEP_1) | instskip(NEXT) | instid1(SALU_CYCLE_1)
	s_and_b32 s0, vcc_lo, s0
	s_and_saveexec_b32 s1, s0
	s_cbranch_execz .LBB226_17
; %bb.16:
	v_ashrrev_i32_e32 v3, 31, v2
	s_delay_alu instid0(VALU_DEP_1) | instskip(NEXT) | instid1(VALU_DEP_1)
	v_lshlrev_b64 v[0:1], 3, v[2:3]
	v_add_co_u32 v0, vcc_lo, v4, v0
	s_delay_alu instid0(VALU_DEP_2)
	v_add_co_ci_u32_e32 v1, vcc_lo, v5, v1, vcc_lo
	global_load_b64 v[2:3], v[0:1], off
	v_mul_f32_e32 v4, s9, v16
	s_waitcnt vmcnt(0)
	v_dual_mul_f32 v5, s8, v16 :: v_dual_mul_f32 v6, s7, v3
	v_mul_f32_e32 v3, s6, v3
	s_delay_alu instid0(VALU_DEP_3) | instskip(NEXT) | instid1(VALU_DEP_3)
	v_fma_f32 v4, v15, s8, -v4
	v_fma_f32 v6, v2, s6, -v6
	s_delay_alu instid0(VALU_DEP_4) | instskip(NEXT) | instid1(VALU_DEP_4)
	v_fmac_f32_e32 v5, s9, v15
	v_fmac_f32_e32 v3, s7, v2
	s_delay_alu instid0(VALU_DEP_1)
	v_dual_add_f32 v2, v4, v6 :: v_dual_add_f32 v3, v5, v3
	global_store_b64 v[0:1], v[2:3], off
.LBB226_17:
	s_nop 0
	s_sendmsg sendmsg(MSG_DEALLOC_VGPRS)
	s_endpgm
	.section	.rodata,"a",@progbits
	.p2align	6, 0x0
	.amdhsa_kernel _ZL34rocblas_syrkx_herkx_general_kernelIi19rocblas_complex_numIfELi16ELi32ELi8ELb0ELb0ELc67ELc85EKS1_S1_EviT_T0_PT8_S3_lS6_S3_lS4_PT9_S3_li
		.amdhsa_group_segment_fixed_size 4096
		.amdhsa_private_segment_fixed_size 0
		.amdhsa_kernarg_size 100
		.amdhsa_user_sgpr_count 13
		.amdhsa_user_sgpr_dispatch_ptr 0
		.amdhsa_user_sgpr_queue_ptr 0
		.amdhsa_user_sgpr_kernarg_segment_ptr 1
		.amdhsa_user_sgpr_dispatch_id 0
		.amdhsa_user_sgpr_private_segment_size 0
		.amdhsa_wavefront_size32 1
		.amdhsa_uses_dynamic_stack 0
		.amdhsa_enable_private_segment 0
		.amdhsa_system_sgpr_workgroup_id_x 1
		.amdhsa_system_sgpr_workgroup_id_y 1
		.amdhsa_system_sgpr_workgroup_id_z 1
		.amdhsa_system_sgpr_workgroup_info 0
		.amdhsa_system_vgpr_workitem_id 1
		.amdhsa_next_free_vgpr 59
		.amdhsa_next_free_sgpr 25
		.amdhsa_reserve_vcc 1
		.amdhsa_float_round_mode_32 0
		.amdhsa_float_round_mode_16_64 0
		.amdhsa_float_denorm_mode_32 3
		.amdhsa_float_denorm_mode_16_64 3
		.amdhsa_dx10_clamp 1
		.amdhsa_ieee_mode 1
		.amdhsa_fp16_overflow 0
		.amdhsa_workgroup_processor_mode 1
		.amdhsa_memory_ordered 1
		.amdhsa_forward_progress 0
		.amdhsa_shared_vgpr_count 0
		.amdhsa_exception_fp_ieee_invalid_op 0
		.amdhsa_exception_fp_denorm_src 0
		.amdhsa_exception_fp_ieee_div_zero 0
		.amdhsa_exception_fp_ieee_overflow 0
		.amdhsa_exception_fp_ieee_underflow 0
		.amdhsa_exception_fp_ieee_inexact 0
		.amdhsa_exception_int_div_zero 0
	.end_amdhsa_kernel
	.section	.text._ZL34rocblas_syrkx_herkx_general_kernelIi19rocblas_complex_numIfELi16ELi32ELi8ELb0ELb0ELc67ELc85EKS1_S1_EviT_T0_PT8_S3_lS6_S3_lS4_PT9_S3_li,"axG",@progbits,_ZL34rocblas_syrkx_herkx_general_kernelIi19rocblas_complex_numIfELi16ELi32ELi8ELb0ELb0ELc67ELc85EKS1_S1_EviT_T0_PT8_S3_lS6_S3_lS4_PT9_S3_li,comdat
.Lfunc_end226:
	.size	_ZL34rocblas_syrkx_herkx_general_kernelIi19rocblas_complex_numIfELi16ELi32ELi8ELb0ELb0ELc67ELc85EKS1_S1_EviT_T0_PT8_S3_lS6_S3_lS4_PT9_S3_li, .Lfunc_end226-_ZL34rocblas_syrkx_herkx_general_kernelIi19rocblas_complex_numIfELi16ELi32ELi8ELb0ELb0ELc67ELc85EKS1_S1_EviT_T0_PT8_S3_lS6_S3_lS4_PT9_S3_li
                                        ; -- End function
	.section	.AMDGPU.csdata,"",@progbits
; Kernel info:
; codeLenInByte = 2660
; NumSgprs: 27
; NumVgprs: 59
; ScratchSize: 0
; MemoryBound: 1
; FloatMode: 240
; IeeeMode: 1
; LDSByteSize: 4096 bytes/workgroup (compile time only)
; SGPRBlocks: 3
; VGPRBlocks: 7
; NumSGPRsForWavesPerEU: 27
; NumVGPRsForWavesPerEU: 59
; Occupancy: 16
; WaveLimiterHint : 0
; COMPUTE_PGM_RSRC2:SCRATCH_EN: 0
; COMPUTE_PGM_RSRC2:USER_SGPR: 13
; COMPUTE_PGM_RSRC2:TRAP_HANDLER: 0
; COMPUTE_PGM_RSRC2:TGID_X_EN: 1
; COMPUTE_PGM_RSRC2:TGID_Y_EN: 1
; COMPUTE_PGM_RSRC2:TGID_Z_EN: 1
; COMPUTE_PGM_RSRC2:TIDIG_COMP_CNT: 1
	.section	.text._ZL34rocblas_syrkx_herkx_general_kernelIi19rocblas_complex_numIfELi16ELi32ELi8ELb0ELb0ELc78ELc85EKS1_S1_EviT_T0_PT8_S3_lS6_S3_lS4_PT9_S3_li,"axG",@progbits,_ZL34rocblas_syrkx_herkx_general_kernelIi19rocblas_complex_numIfELi16ELi32ELi8ELb0ELb0ELc78ELc85EKS1_S1_EviT_T0_PT8_S3_lS6_S3_lS4_PT9_S3_li,comdat
	.globl	_ZL34rocblas_syrkx_herkx_general_kernelIi19rocblas_complex_numIfELi16ELi32ELi8ELb0ELb0ELc78ELc85EKS1_S1_EviT_T0_PT8_S3_lS6_S3_lS4_PT9_S3_li ; -- Begin function _ZL34rocblas_syrkx_herkx_general_kernelIi19rocblas_complex_numIfELi16ELi32ELi8ELb0ELb0ELc78ELc85EKS1_S1_EviT_T0_PT8_S3_lS6_S3_lS4_PT9_S3_li
	.p2align	8
	.type	_ZL34rocblas_syrkx_herkx_general_kernelIi19rocblas_complex_numIfELi16ELi32ELi8ELb0ELb0ELc78ELc85EKS1_S1_EviT_T0_PT8_S3_lS6_S3_lS4_PT9_S3_li,@function
_ZL34rocblas_syrkx_herkx_general_kernelIi19rocblas_complex_numIfELi16ELi32ELi8ELb0ELb0ELc78ELc85EKS1_S1_EviT_T0_PT8_S3_lS6_S3_lS4_PT9_S3_li: ; @_ZL34rocblas_syrkx_herkx_general_kernelIi19rocblas_complex_numIfELi16ELi32ELi8ELb0ELb0ELc78ELc85EKS1_S1_EviT_T0_PT8_S3_lS6_S3_lS4_PT9_S3_li
; %bb.0:
	s_clause 0x3
	s_load_b64 s[20:21], s[0:1], 0x0
	s_load_b128 s[8:11], s[0:1], 0x8
	s_load_b128 s[4:7], s[0:1], 0x38
	s_load_b64 s[22:23], s[0:1], 0x48
	v_dual_mov_b32 v22, 0 :: v_dual_and_b32 v7, 0x3ff, v0
	v_bfe_u32 v8, v0, 10, 10
	v_dual_mov_b32 v21, 0 :: v_dual_mov_b32 v20, 0
	v_dual_mov_b32 v19, 0 :: v_dual_mov_b32 v18, 0
	;; [unrolled: 1-line block ×3, first 2 shown]
	v_mov_b32_e32 v15, 0
	s_lshl_b32 s26, s13, 5
	s_lshl_b32 s14, s14, 5
	s_mov_b32 s27, 0
	s_waitcnt lgkmcnt(0)
	s_cmp_lt_i32 s21, 1
	s_cbranch_scc1 .LBB227_9
; %bb.1:
	s_clause 0x1
	s_load_b32 s12, s[0:1], 0x18
	s_load_b128 s[16:19], s[0:1], 0x20
	v_lshl_add_u32 v0, v8, 4, v7
	s_load_b32 s24, s[0:1], 0x30
	v_and_b32_e32 v9, 7, v7
	v_mov_b32_e32 v19, 0
	s_mul_i32 s5, s5, s15
	v_and_b32_e32 v4, 31, v0
	v_lshrrev_b32_e32 v1, 3, v0
	v_lshlrev_b32_e32 v2, 3, v9
	v_lshrrev_b32_e32 v11, 5, v0
	s_mul_hi_u32 s28, s4, s15
	v_or_b32_e32 v3, s26, v4
	v_dual_mov_b32 v21, 0 :: v_dual_add_nc_u32 v0, s14, v1
	v_lshl_or_b32 v1, v1, 6, v2
	v_lshlrev_b32_e32 v5, 3, v4
	s_delay_alu instid0(VALU_DEP_4)
	v_cmp_gt_i32_e64 s2, s20, v3
	v_add_nc_u32_e32 v4, s26, v4
	s_add_i32 s5, s28, s5
	s_waitcnt lgkmcnt(0)
	v_mad_i64_i32 v[2:3], null, v11, s12, 0
	v_lshl_or_b32 v13, v11, 8, v5
	s_mul_i32 s3, s17, s15
	s_mul_hi_u32 s17, s16, s15
	v_mad_i64_i32 v[5:6], null, s24, v9, 0
	s_mul_i32 s16, s16, s15
	s_delay_alu instid0(VALU_DEP_3)
	v_lshlrev_b64 v[2:3], 3, v[2:3]
	s_add_i32 s17, s17, s3
	v_add_nc_u32_e32 v14, 0x800, v1
	s_lshl_b64 s[16:17], s[16:17], 3
	v_ashrrev_i32_e32 v1, 31, v0
	s_mul_i32 s4, s4, s15
	v_add_co_u32 v15, s3, v2, s16
	s_delay_alu instid0(VALU_DEP_1)
	v_add_co_ci_u32_e64 v16, s3, s17, v3, s3
	v_lshlrev_b64 v[2:3], 3, v[5:6]
	v_ashrrev_i32_e32 v5, 31, v4
	s_lshl_b64 s[4:5], s[4:5], 3
	v_cmp_gt_i32_e32 vcc_lo, s20, v0
	v_lshlrev_b64 v[0:1], 3, v[0:1]
	v_lshlrev_b32_e32 v10, 3, v7
	v_add_co_u32 v6, s3, s4, v2
	s_delay_alu instid0(VALU_DEP_1) | instskip(SKIP_1) | instid1(VALU_DEP_3)
	v_add_co_ci_u32_e64 v17, s3, s5, v3, s3
	v_lshlrev_b64 v[2:3], 3, v[4:5]
	v_add_co_u32 v0, s3, v6, v0
	s_delay_alu instid0(VALU_DEP_1) | instskip(SKIP_1) | instid1(VALU_DEP_4)
	v_add_co_ci_u32_e64 v1, s3, v17, v1, s3
	v_mov_b32_e32 v17, 0
	v_add_co_u32 v2, s3, v15, v2
	s_delay_alu instid0(VALU_DEP_1) | instskip(SKIP_1) | instid1(VALU_DEP_1)
	v_add_co_ci_u32_e64 v3, s3, v16, v3, s3
	v_add_co_u32 v4, s3, v0, s18
	v_add_co_ci_u32_e64 v5, s3, s19, v1, s3
	s_delay_alu instid0(VALU_DEP_4) | instskip(NEXT) | instid1(VALU_DEP_1)
	v_add_co_u32 v0, s3, s10, v2
	v_add_co_ci_u32_e64 v1, s3, s11, v3, s3
	s_delay_alu instid0(VALU_DEP_4)
	v_add_co_u32 v2, s3, v4, 4
	v_lshl_add_u32 v12, v8, 6, 0x800
	v_add_co_ci_u32_e64 v3, s3, 0, v5, s3
	v_mov_b32_e32 v4, 0
	v_dual_mov_b32 v16, 0 :: v_dual_mov_b32 v15, 0
	v_mov_b32_e32 v18, 0
	v_mov_b32_e32 v20, 0
	;; [unrolled: 1-line block ×3, first 2 shown]
	s_ashr_i32 s13, s12, 31
	s_ashr_i32 s25, s24, 31
	s_lshl_b64 s[4:5], s[12:13], 6
	s_lshl_b64 s[10:11], s[24:25], 6
	s_xor_b32 s3, s2, -1
	s_branch .LBB227_3
.LBB227_2:                              ;   in Loop: Header=BB227_3 Depth=1
	s_or_b32 exec_lo, exec_lo, s2
	s_waitcnt vmcnt(0)
	ds_store_b64 v14, v[5:6]
	s_waitcnt lgkmcnt(0)
	s_barrier
	buffer_gl0_inv
	ds_load_2addr_b64 v[23:26], v10 offset1:16
	ds_load_b128 v[27:30], v12
	ds_load_b128 v[31:34], v12 offset:1024
	ds_load_b128 v[35:38], v12 offset:16
	;; [unrolled: 1-line block ×4, first 2 shown]
	ds_load_2addr_b64 v[47:50], v10 offset0:32 offset1:48
	ds_load_b128 v[51:54], v12 offset:1040
	v_add_co_u32 v0, s2, v0, s4
	s_delay_alu instid0(VALU_DEP_1) | instskip(SKIP_1) | instid1(VALU_DEP_1)
	v_add_co_ci_u32_e64 v1, s2, s5, v1, s2
	v_add_co_u32 v2, s2, v2, s10
	v_add_co_ci_u32_e64 v3, s2, s11, v3, s2
	s_add_i32 s27, s27, 8
	s_delay_alu instid0(SALU_CYCLE_1)
	s_cmp_ge_i32 s27, s21
	s_waitcnt lgkmcnt(6)
	v_dual_mul_f32 v5, v28, v24 :: v_dual_mul_f32 v56, v27, v26
	v_dual_mul_f32 v6, v27, v24 :: v_dual_mul_f32 v55, v28, v26
	s_waitcnt lgkmcnt(5)
	v_mul_f32_e32 v57, v32, v24
	s_delay_alu instid0(VALU_DEP_3)
	v_fma_f32 v5, v27, v23, -v5
	v_fmac_f32_e32 v56, v28, v25
	v_fmac_f32_e32 v6, v28, v23
	v_fma_f32 v27, v27, v25, -v55
	v_mul_f32_e32 v58, v32, v26
	v_mul_f32_e32 v26, v31, v26
	v_fma_f32 v28, v31, v23, -v57
	v_dual_mul_f32 v24, v31, v24 :: v_dual_add_f32 v5, v21, v5
	s_delay_alu instid0(VALU_DEP_3) | instskip(NEXT) | instid1(VALU_DEP_3)
	v_dual_add_f32 v21, v19, v27 :: v_dual_fmac_f32 v26, v32, v25
	v_add_f32_e32 v27, v17, v28
	s_waitcnt lgkmcnt(1)
	v_mul_f32_e32 v28, v30, v48
	v_fmac_f32_e32 v24, v32, v23
	v_fma_f32 v23, v31, v25, -v58
	s_delay_alu instid0(VALU_DEP_3) | instskip(SKIP_1) | instid1(VALU_DEP_3)
	v_fma_f32 v25, v29, v47, -v28
	v_mul_f32_e32 v28, v30, v50
	v_dual_add_f32 v6, v22, v6 :: v_dual_add_f32 v15, v15, v23
	v_mul_f32_e32 v23, v29, v48
	s_delay_alu instid0(VALU_DEP_4) | instskip(NEXT) | instid1(VALU_DEP_4)
	v_dual_add_f32 v5, v5, v25 :: v_dual_add_f32 v22, v20, v56
	v_fma_f32 v25, v29, v49, -v28
	v_add_f32_e32 v24, v18, v24
	ds_load_2addr_b64 v[17:20], v10 offset0:64 offset1:80
	v_fmac_f32_e32 v23, v30, v47
	v_dual_mul_f32 v28, v34, v48 :: v_dual_add_f32 v25, v21, v25
	s_delay_alu instid0(VALU_DEP_2)
	v_dual_add_f32 v6, v6, v23 :: v_dual_mul_f32 v23, v33, v48
	v_add_f32_e32 v16, v16, v26
	v_mul_f32_e32 v26, v29, v50
	v_mul_f32_e32 v29, v33, v50
	v_fma_f32 v21, v33, v47, -v28
	v_fmac_f32_e32 v23, v34, v47
	s_delay_alu instid0(VALU_DEP_3) | instskip(SKIP_1) | instid1(VALU_DEP_4)
	v_fmac_f32_e32 v29, v34, v49
	v_fmac_f32_e32 v26, v30, v49
	v_add_f32_e32 v27, v27, v21
	s_delay_alu instid0(VALU_DEP_2) | instskip(SKIP_2) | instid1(VALU_DEP_1)
	v_dual_add_f32 v29, v16, v29 :: v_dual_add_f32 v26, v22, v26
	s_waitcnt lgkmcnt(0)
	v_mul_f32_e32 v22, v36, v18
	v_fma_f32 v31, v35, v17, -v22
	s_delay_alu instid0(VALU_DEP_1) | instskip(NEXT) | instid1(VALU_DEP_1)
	v_dual_add_f32 v5, v5, v31 :: v_dual_mul_f32 v32, v36, v20
	v_fma_f32 v31, v35, v19, -v32
	s_delay_alu instid0(VALU_DEP_1) | instskip(NEXT) | instid1(VALU_DEP_1)
	v_dual_mul_f32 v28, v34, v50 :: v_dual_add_f32 v25, v25, v31
	v_fma_f32 v21, v33, v49, -v28
	v_add_f32_e32 v28, v24, v23
	v_mul_f32_e32 v16, v35, v20
	v_mul_f32_e32 v31, v52, v20
	;; [unrolled: 1-line block ×3, first 2 shown]
	v_add_f32_e32 v15, v15, v21
	ds_load_2addr_b64 v[21:24], v10 offset0:96 offset1:112
	v_mul_f32_e32 v30, v35, v18
	v_fmac_f32_e32 v16, v36, v19
	v_fmac_f32_e32 v20, v52, v19
	s_delay_alu instid0(VALU_DEP_3) | instskip(NEXT) | instid1(VALU_DEP_3)
	v_fmac_f32_e32 v30, v36, v17
	v_add_f32_e32 v32, v26, v16
	s_delay_alu instid0(VALU_DEP_3) | instskip(SKIP_1) | instid1(VALU_DEP_4)
	v_add_f32_e32 v29, v29, v20
	v_fma_f32 v16, v51, v19, -v31
	v_add_f32_e32 v6, v6, v30
	s_delay_alu instid0(VALU_DEP_2) | instskip(SKIP_3) | instid1(VALU_DEP_3)
	v_dual_mul_f32 v30, v52, v18 :: v_dual_add_f32 v33, v15, v16
	s_waitcnt lgkmcnt(0)
	v_mul_f32_e32 v35, v54, v24
	v_mul_f32_e32 v20, v37, v24
	v_fma_f32 v30, v51, v17, -v30
	v_mul_f32_e32 v19, v38, v22
	s_delay_alu instid0(VALU_DEP_3) | instskip(NEXT) | instid1(VALU_DEP_2)
	v_fmac_f32_e32 v20, v38, v23
	v_fma_f32 v19, v37, v21, -v19
	s_delay_alu instid0(VALU_DEP_2) | instskip(SKIP_2) | instid1(VALU_DEP_4)
	v_add_f32_e32 v36, v32, v20
	v_fma_f32 v20, v53, v23, -v35
	v_dual_add_f32 v30, v27, v30 :: v_dual_mul_f32 v27, v38, v24
	v_add_f32_e32 v5, v5, v19
	v_dual_mul_f32 v19, v54, v22 :: v_dual_mul_f32 v24, v53, v24
	s_delay_alu instid0(VALU_DEP_3) | instskip(NEXT) | instid1(VALU_DEP_2)
	v_fma_f32 v27, v37, v23, -v27
	v_fma_f32 v19, v53, v21, -v19
	s_delay_alu instid0(VALU_DEP_3) | instskip(SKIP_1) | instid1(VALU_DEP_4)
	v_dual_fmac_f32 v24, v54, v23 :: v_dual_add_f32 v23, v33, v20
	v_mul_f32_e32 v18, v51, v18
	v_add_f32_e32 v34, v25, v27
	v_mul_f32_e32 v26, v37, v22
	v_dual_mul_f32 v22, v53, v22 :: v_dual_add_f32 v35, v30, v19
	v_add_f32_e32 v24, v29, v24
	s_delay_alu instid0(VALU_DEP_2) | instskip(SKIP_1) | instid1(VALU_DEP_1)
	v_fmac_f32_e32 v22, v54, v21
	v_fmac_f32_e32 v18, v52, v17
	v_add_f32_e32 v31, v28, v18
	ds_load_2addr_b64 v[15:18], v10 offset0:128 offset1:144
	v_add_f32_e32 v37, v31, v22
	s_waitcnt lgkmcnt(0)
	v_mul_f32_e32 v19, v40, v16
	v_mul_f32_e32 v31, v40, v18
	v_mul_f32_e32 v33, v39, v16
	s_delay_alu instid0(VALU_DEP_3)
	v_fma_f32 v30, v39, v15, -v19
	v_fmac_f32_e32 v26, v38, v21
	ds_load_2addr_b64 v[19:22], v10 offset0:160 offset1:176
	v_mul_f32_e32 v38, v39, v18
	v_fma_f32 v39, v39, v17, -v31
	v_add_f32_e32 v5, v5, v30
	v_add_f32_e32 v6, v6, v26
	ds_load_b128 v[25:28], v12 offset:1056
	ds_load_b128 v[29:32], v12 offset:1072
	v_fmac_f32_e32 v38, v40, v17
	v_fmac_f32_e32 v33, v40, v15
	s_delay_alu instid0(VALU_DEP_2) | instskip(SKIP_3) | instid1(VALU_DEP_2)
	v_add_f32_e32 v36, v36, v38
	s_waitcnt lgkmcnt(1)
	v_dual_mul_f32 v38, v25, v18 :: v_dual_mul_f32 v47, v26, v16
	v_mul_f32_e32 v16, v25, v16
	v_fmac_f32_e32 v38, v26, v17
	s_delay_alu instid0(VALU_DEP_1) | instskip(SKIP_1) | instid1(VALU_DEP_1)
	v_add_f32_e32 v38, v24, v38
	v_mul_f32_e32 v24, v41, v22
	v_fmac_f32_e32 v24, v42, v21
	v_add_f32_e32 v6, v6, v33
	v_add_f32_e32 v33, v34, v39
	v_fma_f32 v34, v25, v15, -v47
	v_mul_f32_e32 v39, v26, v18
	v_mul_f32_e32 v18, v42, v20
	s_delay_alu instid0(VALU_DEP_3) | instskip(NEXT) | instid1(VALU_DEP_2)
	v_add_f32_e32 v34, v35, v34
	v_fma_f32 v35, v41, v19, -v18
	s_delay_alu instid0(VALU_DEP_1) | instskip(SKIP_3) | instid1(VALU_DEP_3)
	v_add_f32_e32 v5, v5, v35
	v_fmac_f32_e32 v16, v26, v15
	v_fma_f32 v15, v25, v17, -v39
	v_mul_f32_e32 v26, v41, v20
	v_add_f32_e32 v25, v37, v16
	s_delay_alu instid0(VALU_DEP_3) | instskip(SKIP_3) | instid1(VALU_DEP_2)
	v_add_f32_e32 v23, v23, v15
	ds_load_2addr_b64 v[15:18], v10 offset0:192 offset1:208
	v_mul_f32_e32 v37, v42, v22
	v_fmac_f32_e32 v26, v42, v19
	v_fma_f32 v35, v41, v21, -v37
	s_delay_alu instid0(VALU_DEP_2) | instskip(SKIP_1) | instid1(VALU_DEP_3)
	v_add_f32_e32 v6, v6, v26
	v_mul_f32_e32 v26, v28, v20
	v_dual_mul_f32 v20, v27, v20 :: v_dual_add_f32 v33, v33, v35
	v_mul_f32_e32 v35, v28, v22
	s_delay_alu instid0(VALU_DEP_3) | instskip(NEXT) | instid1(VALU_DEP_3)
	v_fma_f32 v26, v27, v19, -v26
	v_fmac_f32_e32 v20, v28, v19
	v_dual_add_f32 v19, v36, v24 :: v_dual_mul_f32 v22, v27, v22
	s_delay_alu instid0(VALU_DEP_4) | instskip(NEXT) | instid1(VALU_DEP_3)
	v_fma_f32 v24, v27, v21, -v35
	v_dual_add_f32 v27, v34, v26 :: v_dual_add_f32 v20, v25, v20
	s_waitcnt lgkmcnt(0)
	v_mul_f32_e32 v34, v44, v16
	s_delay_alu instid0(VALU_DEP_3)
	v_dual_fmac_f32 v22, v28, v21 :: v_dual_add_f32 v21, v23, v24
	ds_load_2addr_b64 v[23:26], v10 offset0:224 offset1:240
	v_mul_f32_e32 v28, v43, v16
	v_fma_f32 v34, v43, v15, -v34
	v_mul_f32_e32 v35, v44, v18
	v_mul_f32_e32 v36, v43, v18
	s_waitcnt lgkmcnt(0)
	s_delay_alu instid0(VALU_DEP_3) | instskip(SKIP_3) | instid1(VALU_DEP_4)
	v_dual_fmac_f32 v28, v44, v15 :: v_dual_add_f32 v5, v5, v34
	v_mul_f32_e32 v34, v30, v16
	v_fma_f32 v35, v43, v17, -v35
	v_fmac_f32_e32 v36, v44, v17
	v_add_f32_e32 v6, v6, v28
	v_mul_f32_e32 v16, v29, v16
	v_fma_f32 v28, v29, v15, -v34
	v_dual_mul_f32 v34, v30, v18 :: v_dual_add_f32 v33, v33, v35
	s_delay_alu instid0(VALU_DEP_3) | instskip(NEXT) | instid1(VALU_DEP_3)
	v_dual_add_f32 v35, v19, v36 :: v_dual_fmac_f32 v16, v30, v15
	v_dual_add_f32 v15, v27, v28 :: v_dual_mul_f32 v18, v29, v18
	s_delay_alu instid0(VALU_DEP_3) | instskip(SKIP_3) | instid1(VALU_DEP_4)
	v_fma_f32 v19, v29, v17, -v34
	v_mul_f32_e32 v27, v46, v24
	v_mul_f32_e32 v28, v45, v24
	v_add_f32_e32 v16, v20, v16
	v_dual_fmac_f32 v18, v30, v17 :: v_dual_add_f32 v29, v21, v19
	s_delay_alu instid0(VALU_DEP_4)
	v_fma_f32 v17, v45, v23, -v27
	v_mul_f32_e32 v19, v46, v26
	v_fmac_f32_e32 v28, v46, v23
	v_mul_f32_e32 v20, v45, v26
	s_barrier
	v_add_f32_e32 v21, v5, v17
	v_mul_f32_e32 v17, v32, v26
	v_fma_f32 v5, v45, v25, -v19
	v_fmac_f32_e32 v20, v46, v25
	buffer_gl0_inv
	v_dual_add_f32 v19, v33, v5 :: v_dual_add_f32 v22, v38, v22
	s_delay_alu instid0(VALU_DEP_1) | instskip(SKIP_4) | instid1(VALU_DEP_3)
	v_dual_add_f32 v20, v35, v20 :: v_dual_add_f32 v27, v22, v18
	v_add_f32_e32 v22, v6, v28
	v_mul_f32_e32 v6, v32, v24
	v_mul_f32_e32 v18, v31, v24
	;; [unrolled: 1-line block ×3, first 2 shown]
	v_fma_f32 v5, v31, v23, -v6
	s_delay_alu instid0(VALU_DEP_3) | instskip(SKIP_1) | instid1(VALU_DEP_4)
	v_fmac_f32_e32 v18, v32, v23
	v_fma_f32 v6, v31, v25, -v17
	v_fmac_f32_e32 v24, v32, v25
	s_delay_alu instid0(VALU_DEP_3) | instskip(NEXT) | instid1(VALU_DEP_2)
	v_dual_add_f32 v17, v15, v5 :: v_dual_add_f32 v18, v16, v18
	v_dual_add_f32 v15, v29, v6 :: v_dual_add_f32 v16, v27, v24
	s_cbranch_scc1 .LBB227_9
.LBB227_3:                              ; =>This Inner Loop Header: Depth=1
	v_add_nc_u32_e32 v5, s27, v11
	s_delay_alu instid0(VALU_DEP_1) | instskip(NEXT) | instid1(VALU_DEP_1)
	v_cmp_le_i32_e64 s2, s21, v5
	s_or_b32 s2, s3, s2
	s_delay_alu instid0(SALU_CYCLE_1) | instskip(NEXT) | instid1(SALU_CYCLE_1)
	s_and_saveexec_b32 s12, s2
	s_xor_b32 s2, exec_lo, s12
	s_cbranch_execz .LBB227_5
; %bb.4:                                ;   in Loop: Header=BB227_3 Depth=1
	v_mov_b32_e32 v5, v4
	ds_store_b64 v13, v[4:5]
.LBB227_5:                              ;   in Loop: Header=BB227_3 Depth=1
	s_and_not1_saveexec_b32 s2, s2
	s_cbranch_execz .LBB227_7
; %bb.6:                                ;   in Loop: Header=BB227_3 Depth=1
	global_load_b64 v[5:6], v[0:1], off
	s_waitcnt vmcnt(0)
	ds_store_b64 v13, v[5:6]
.LBB227_7:                              ;   in Loop: Header=BB227_3 Depth=1
	s_or_b32 exec_lo, exec_lo, s2
	v_dual_mov_b32 v6, 0 :: v_dual_add_nc_u32 v5, s27, v9
	s_delay_alu instid0(VALU_DEP_1) | instskip(SKIP_1) | instid1(VALU_DEP_2)
	v_cmp_gt_i32_e64 s2, s21, v5
	v_mov_b32_e32 v5, 0
	s_and_b32 s12, s2, vcc_lo
	s_delay_alu instid0(SALU_CYCLE_1)
	s_and_saveexec_b32 s2, s12
	s_cbranch_execz .LBB227_2
; %bb.8:                                ;   in Loop: Header=BB227_3 Depth=1
	global_load_b64 v[5:6], v[2:3], off offset:-4
	s_branch .LBB227_2
.LBB227_9:
	s_clause 0x1
	s_load_b32 s2, s[0:1], 0x50
	s_load_b64 s[0:1], s[0:1], 0x58
	v_add_nc_u32_e32 v4, s14, v8
	v_add_nc_u32_e32 v0, s26, v7
	s_delay_alu instid0(VALU_DEP_2)
	v_cmp_gt_i32_e32 vcc_lo, s20, v4
	s_waitcnt lgkmcnt(0)
	v_mad_i64_i32 v[1:2], null, v4, s2, 0
	s_mul_i32 s1, s15, s1
	s_mul_hi_u32 s3, s15, s0
	s_mul_i32 s0, s15, s0
	s_add_i32 s1, s3, s1
	s_delay_alu instid0(SALU_CYCLE_1) | instskip(NEXT) | instid1(VALU_DEP_1)
	s_lshl_b64 s[4:5], s[0:1], 3
	v_lshlrev_b64 v[1:2], 3, v[1:2]
	s_add_u32 s3, s22, s4
	v_cmp_le_i32_e64 s0, v0, v4
	s_addc_u32 s4, s23, s5
	s_delay_alu instid0(VALU_DEP_2) | instskip(NEXT) | instid1(VALU_DEP_1)
	v_add_co_u32 v5, s1, s3, v1
	v_add_co_ci_u32_e64 v6, s1, s4, v2, s1
	s_delay_alu instid0(VALU_DEP_3) | instskip(NEXT) | instid1(SALU_CYCLE_1)
	s_and_b32 s0, vcc_lo, s0
	s_and_saveexec_b32 s1, s0
	s_cbranch_execz .LBB227_11
; %bb.10:
	v_ashrrev_i32_e32 v1, 31, v0
	s_delay_alu instid0(VALU_DEP_1) | instskip(NEXT) | instid1(VALU_DEP_1)
	v_lshlrev_b64 v[1:2], 3, v[0:1]
	v_add_co_u32 v1, s0, v5, v1
	s_delay_alu instid0(VALU_DEP_1)
	v_add_co_ci_u32_e64 v2, s0, v6, v2, s0
	global_load_b64 v[7:8], v[1:2], off
	v_mul_f32_e32 v3, s9, v22
	s_waitcnt vmcnt(0)
	v_dual_mul_f32 v9, s8, v22 :: v_dual_mul_f32 v10, s7, v8
	v_mul_f32_e32 v8, s6, v8
	s_delay_alu instid0(VALU_DEP_3) | instskip(NEXT) | instid1(VALU_DEP_3)
	v_fma_f32 v3, v21, s8, -v3
	v_fmac_f32_e32 v9, s9, v21
	s_delay_alu instid0(VALU_DEP_4) | instskip(NEXT) | instid1(VALU_DEP_1)
	v_fma_f32 v10, v7, s6, -v10
	v_dual_fmac_f32 v8, s7, v7 :: v_dual_add_f32 v7, v3, v10
	s_delay_alu instid0(VALU_DEP_1)
	v_add_f32_e32 v8, v9, v8
	global_store_b64 v[1:2], v[7:8], off
.LBB227_11:
	s_or_b32 exec_lo, exec_lo, s1
	v_add_nc_u32_e32 v2, 16, v0
	s_delay_alu instid0(VALU_DEP_1) | instskip(NEXT) | instid1(VALU_DEP_1)
	v_cmp_le_i32_e64 s0, v2, v4
	s_and_b32 s1, vcc_lo, s0
	s_delay_alu instid0(SALU_CYCLE_1)
	s_and_saveexec_b32 s0, s1
	s_cbranch_execz .LBB227_13
; %bb.12:
	v_ashrrev_i32_e32 v3, 31, v2
	s_delay_alu instid0(VALU_DEP_1) | instskip(SKIP_1) | instid1(VALU_DEP_2)
	v_lshlrev_b64 v[7:8], 3, v[2:3]
	v_mul_f32_e32 v3, s8, v20
	v_add_co_u32 v5, vcc_lo, v5, v7
	s_delay_alu instid0(VALU_DEP_3) | instskip(NEXT) | instid1(VALU_DEP_3)
	v_add_co_ci_u32_e32 v6, vcc_lo, v6, v8, vcc_lo
	v_fmac_f32_e32 v3, s9, v19
	global_load_b64 v[7:8], v[5:6], off
	s_waitcnt vmcnt(0)
	v_mul_f32_e32 v9, s7, v8
	v_mul_f32_e32 v8, s6, v8
	;; [unrolled: 1-line block ×3, first 2 shown]
	s_delay_alu instid0(VALU_DEP_3) | instskip(NEXT) | instid1(VALU_DEP_3)
	v_fma_f32 v9, v7, s6, -v9
	v_fmac_f32_e32 v8, s7, v7
	s_delay_alu instid0(VALU_DEP_3) | instskip(NEXT) | instid1(VALU_DEP_1)
	v_fma_f32 v1, v19, s8, -v1
	v_dual_add_f32 v8, v3, v8 :: v_dual_add_f32 v7, v1, v9
	global_store_b64 v[5:6], v[7:8], off
.LBB227_13:
	s_or_b32 exec_lo, exec_lo, s0
	v_add_nc_u32_e32 v3, 16, v4
	s_delay_alu instid0(VALU_DEP_1) | instskip(SKIP_2) | instid1(VALU_DEP_1)
	v_mad_i64_i32 v[4:5], null, v3, s2, 0
	v_cmp_gt_i32_e32 vcc_lo, s20, v3
	v_cmp_le_i32_e64 s0, v0, v3
	s_and_b32 s0, vcc_lo, s0
	s_delay_alu instid0(VALU_DEP_3) | instskip(NEXT) | instid1(VALU_DEP_1)
	v_lshlrev_b64 v[4:5], 3, v[4:5]
	v_add_co_u32 v4, s1, s3, v4
	s_delay_alu instid0(VALU_DEP_1)
	v_add_co_ci_u32_e64 v5, s1, s4, v5, s1
	s_and_saveexec_b32 s1, s0
	s_cbranch_execz .LBB227_15
; %bb.14:
	v_ashrrev_i32_e32 v1, 31, v0
	s_delay_alu instid0(VALU_DEP_1) | instskip(NEXT) | instid1(VALU_DEP_1)
	v_lshlrev_b64 v[0:1], 3, v[0:1]
	v_add_co_u32 v0, s0, v4, v0
	s_delay_alu instid0(VALU_DEP_1)
	v_add_co_ci_u32_e64 v1, s0, v5, v1, s0
	global_load_b64 v[6:7], v[0:1], off
	v_mul_f32_e32 v8, s9, v18
	s_waitcnt vmcnt(0)
	v_dual_mul_f32 v9, s8, v18 :: v_dual_mul_f32 v10, s7, v7
	v_mul_f32_e32 v7, s6, v7
	s_delay_alu instid0(VALU_DEP_3) | instskip(NEXT) | instid1(VALU_DEP_3)
	v_fma_f32 v8, v17, s8, -v8
	v_fma_f32 v10, v6, s6, -v10
	s_delay_alu instid0(VALU_DEP_4) | instskip(NEXT) | instid1(VALU_DEP_4)
	v_fmac_f32_e32 v9, s9, v17
	v_fmac_f32_e32 v7, s7, v6
	s_delay_alu instid0(VALU_DEP_1)
	v_dual_add_f32 v6, v8, v10 :: v_dual_add_f32 v7, v9, v7
	global_store_b64 v[0:1], v[6:7], off
.LBB227_15:
	s_or_b32 exec_lo, exec_lo, s1
	v_cmp_le_i32_e64 s0, v2, v3
	s_delay_alu instid0(VALU_DEP_1) | instskip(NEXT) | instid1(SALU_CYCLE_1)
	s_and_b32 s0, vcc_lo, s0
	s_and_saveexec_b32 s1, s0
	s_cbranch_execz .LBB227_17
; %bb.16:
	v_ashrrev_i32_e32 v3, 31, v2
	s_delay_alu instid0(VALU_DEP_1) | instskip(NEXT) | instid1(VALU_DEP_1)
	v_lshlrev_b64 v[0:1], 3, v[2:3]
	v_add_co_u32 v0, vcc_lo, v4, v0
	s_delay_alu instid0(VALU_DEP_2)
	v_add_co_ci_u32_e32 v1, vcc_lo, v5, v1, vcc_lo
	global_load_b64 v[2:3], v[0:1], off
	v_mul_f32_e32 v4, s9, v16
	s_waitcnt vmcnt(0)
	v_dual_mul_f32 v5, s8, v16 :: v_dual_mul_f32 v6, s7, v3
	v_mul_f32_e32 v3, s6, v3
	s_delay_alu instid0(VALU_DEP_3) | instskip(NEXT) | instid1(VALU_DEP_3)
	v_fma_f32 v4, v15, s8, -v4
	v_fma_f32 v6, v2, s6, -v6
	s_delay_alu instid0(VALU_DEP_4) | instskip(NEXT) | instid1(VALU_DEP_4)
	v_fmac_f32_e32 v5, s9, v15
	v_fmac_f32_e32 v3, s7, v2
	s_delay_alu instid0(VALU_DEP_1)
	v_dual_add_f32 v2, v4, v6 :: v_dual_add_f32 v3, v5, v3
	global_store_b64 v[0:1], v[2:3], off
.LBB227_17:
	s_nop 0
	s_sendmsg sendmsg(MSG_DEALLOC_VGPRS)
	s_endpgm
	.section	.rodata,"a",@progbits
	.p2align	6, 0x0
	.amdhsa_kernel _ZL34rocblas_syrkx_herkx_general_kernelIi19rocblas_complex_numIfELi16ELi32ELi8ELb0ELb0ELc78ELc85EKS1_S1_EviT_T0_PT8_S3_lS6_S3_lS4_PT9_S3_li
		.amdhsa_group_segment_fixed_size 4096
		.amdhsa_private_segment_fixed_size 0
		.amdhsa_kernarg_size 100
		.amdhsa_user_sgpr_count 13
		.amdhsa_user_sgpr_dispatch_ptr 0
		.amdhsa_user_sgpr_queue_ptr 0
		.amdhsa_user_sgpr_kernarg_segment_ptr 1
		.amdhsa_user_sgpr_dispatch_id 0
		.amdhsa_user_sgpr_private_segment_size 0
		.amdhsa_wavefront_size32 1
		.amdhsa_uses_dynamic_stack 0
		.amdhsa_enable_private_segment 0
		.amdhsa_system_sgpr_workgroup_id_x 1
		.amdhsa_system_sgpr_workgroup_id_y 1
		.amdhsa_system_sgpr_workgroup_id_z 1
		.amdhsa_system_sgpr_workgroup_info 0
		.amdhsa_system_vgpr_workitem_id 1
		.amdhsa_next_free_vgpr 59
		.amdhsa_next_free_sgpr 29
		.amdhsa_reserve_vcc 1
		.amdhsa_float_round_mode_32 0
		.amdhsa_float_round_mode_16_64 0
		.amdhsa_float_denorm_mode_32 3
		.amdhsa_float_denorm_mode_16_64 3
		.amdhsa_dx10_clamp 1
		.amdhsa_ieee_mode 1
		.amdhsa_fp16_overflow 0
		.amdhsa_workgroup_processor_mode 1
		.amdhsa_memory_ordered 1
		.amdhsa_forward_progress 0
		.amdhsa_shared_vgpr_count 0
		.amdhsa_exception_fp_ieee_invalid_op 0
		.amdhsa_exception_fp_denorm_src 0
		.amdhsa_exception_fp_ieee_div_zero 0
		.amdhsa_exception_fp_ieee_overflow 0
		.amdhsa_exception_fp_ieee_underflow 0
		.amdhsa_exception_fp_ieee_inexact 0
		.amdhsa_exception_int_div_zero 0
	.end_amdhsa_kernel
	.section	.text._ZL34rocblas_syrkx_herkx_general_kernelIi19rocblas_complex_numIfELi16ELi32ELi8ELb0ELb0ELc78ELc85EKS1_S1_EviT_T0_PT8_S3_lS6_S3_lS4_PT9_S3_li,"axG",@progbits,_ZL34rocblas_syrkx_herkx_general_kernelIi19rocblas_complex_numIfELi16ELi32ELi8ELb0ELb0ELc78ELc85EKS1_S1_EviT_T0_PT8_S3_lS6_S3_lS4_PT9_S3_li,comdat
.Lfunc_end227:
	.size	_ZL34rocblas_syrkx_herkx_general_kernelIi19rocblas_complex_numIfELi16ELi32ELi8ELb0ELb0ELc78ELc85EKS1_S1_EviT_T0_PT8_S3_lS6_S3_lS4_PT9_S3_li, .Lfunc_end227-_ZL34rocblas_syrkx_herkx_general_kernelIi19rocblas_complex_numIfELi16ELi32ELi8ELb0ELb0ELc78ELc85EKS1_S1_EviT_T0_PT8_S3_lS6_S3_lS4_PT9_S3_li
                                        ; -- End function
	.section	.AMDGPU.csdata,"",@progbits
; Kernel info:
; codeLenInByte = 2696
; NumSgprs: 31
; NumVgprs: 59
; ScratchSize: 0
; MemoryBound: 1
; FloatMode: 240
; IeeeMode: 1
; LDSByteSize: 4096 bytes/workgroup (compile time only)
; SGPRBlocks: 3
; VGPRBlocks: 7
; NumSGPRsForWavesPerEU: 31
; NumVGPRsForWavesPerEU: 59
; Occupancy: 16
; WaveLimiterHint : 0
; COMPUTE_PGM_RSRC2:SCRATCH_EN: 0
; COMPUTE_PGM_RSRC2:USER_SGPR: 13
; COMPUTE_PGM_RSRC2:TRAP_HANDLER: 0
; COMPUTE_PGM_RSRC2:TGID_X_EN: 1
; COMPUTE_PGM_RSRC2:TGID_Y_EN: 1
; COMPUTE_PGM_RSRC2:TGID_Z_EN: 1
; COMPUTE_PGM_RSRC2:TIDIG_COMP_CNT: 1
	.section	.text._ZL26rocblas_syr2k_scale_kernelIiLi128ELi8ELb0E19rocblas_complex_numIfES1_PS1_EvbiT_T3_T4_T5_S3_li,"axG",@progbits,_ZL26rocblas_syr2k_scale_kernelIiLi128ELi8ELb0E19rocblas_complex_numIfES1_PS1_EvbiT_T3_T4_T5_S3_li,comdat
	.globl	_ZL26rocblas_syr2k_scale_kernelIiLi128ELi8ELb0E19rocblas_complex_numIfES1_PS1_EvbiT_T3_T4_T5_S3_li ; -- Begin function _ZL26rocblas_syr2k_scale_kernelIiLi128ELi8ELb0E19rocblas_complex_numIfES1_PS1_EvbiT_T3_T4_T5_S3_li
	.p2align	8
	.type	_ZL26rocblas_syr2k_scale_kernelIiLi128ELi8ELb0E19rocblas_complex_numIfES1_PS1_EvbiT_T3_T4_T5_S3_li,@function
_ZL26rocblas_syr2k_scale_kernelIiLi128ELi8ELb0E19rocblas_complex_numIfES1_PS1_EvbiT_T3_T4_T5_S3_li: ; @_ZL26rocblas_syr2k_scale_kernelIiLi128ELi8ELb0E19rocblas_complex_numIfES1_PS1_EvbiT_T3_T4_T5_S3_li
; %bb.0:
	s_load_b64 s[4:5], s[0:1], 0x14
	s_waitcnt lgkmcnt(0)
	v_cmp_eq_f32_e64 s2, s4, 1.0
	v_cmp_eq_f32_e64 s3, s5, 0
	s_delay_alu instid0(VALU_DEP_1) | instskip(NEXT) | instid1(SALU_CYCLE_1)
	s_and_b32 s2, s2, s3
	s_and_b32 vcc_lo, exec_lo, s2
	s_cbranch_vccnz .LBB228_5
; %bb.1:
	s_clause 0x1
	s_load_b64 s[2:3], s[0:1], 0x0
	s_load_b32 s6, s[0:1], 0x4c
	v_and_b32_e32 v2, 0x3ff, v0
	v_bfe_u32 v3, v0, 10, 10
	s_waitcnt lgkmcnt(0)
	s_bitcmp1_b32 s2, 0
	s_cselect_b32 vcc_lo, -1, 0
	s_lshr_b32 s2, s6, 16
	s_and_b32 s6, s6, 0xffff
	s_delay_alu instid0(SALU_CYCLE_1) | instskip(SKIP_1) | instid1(VALU_DEP_1)
	v_mad_u64_u32 v[0:1], null, s13, s6, v[2:3]
	v_mad_u64_u32 v[1:2], null, s14, s2, v[3:4]
	v_cndmask_b32_e32 v2, v1, v0, vcc_lo
	v_max_u32_e32 v3, v0, v1
	v_cndmask_b32_e32 v4, v0, v1, vcc_lo
	s_delay_alu instid0(VALU_DEP_2) | instskip(NEXT) | instid1(VALU_DEP_2)
	v_cmp_gt_u32_e32 vcc_lo, s3, v3
	v_cmp_le_i32_e64 s2, v2, v4
	s_delay_alu instid0(VALU_DEP_1) | instskip(NEXT) | instid1(SALU_CYCLE_1)
	s_and_b32 s2, vcc_lo, s2
	s_and_saveexec_b32 s3, s2
	s_cbranch_execz .LBB228_5
; %bb.2:
	s_clause 0x2
	s_load_b32 s6, s[0:1], 0x28
	s_load_b64 s[2:3], s[0:1], 0x30
	s_load_b64 s[0:1], s[0:1], 0x20
	s_waitcnt lgkmcnt(0)
	v_mad_u64_u32 v[2:3], null, v1, s6, 0
	s_ashr_i32 s6, s6, 31
	s_mul_i32 s3, s15, s3
	s_delay_alu instid0(VALU_DEP_1) | instskip(SKIP_4) | instid1(SALU_CYCLE_1)
	v_mad_u64_u32 v[4:5], null, v1, s6, v[3:4]
	v_mov_b32_e32 v1, 0
	s_mul_hi_u32 s6, s15, s2
	s_mul_i32 s2, s15, s2
	s_add_i32 s3, s6, s3
	s_lshl_b64 s[2:3], s[2:3], 3
	s_delay_alu instid0(VALU_DEP_2)
	v_mov_b32_e32 v3, v4
	s_add_u32 s0, s0, s2
	v_lshlrev_b64 v[4:5], 3, v[0:1]
	s_addc_u32 s1, s1, s3
	s_or_b32 s2, s4, s5
	v_lshlrev_b64 v[2:3], 3, v[2:3]
	s_bitset0_b32 s2, 31
	s_delay_alu instid0(SALU_CYCLE_1) | instskip(NEXT) | instid1(VALU_DEP_1)
	s_cmp_eq_u32 s2, 0
	v_add_co_u32 v0, vcc_lo, s0, v2
	s_delay_alu instid0(VALU_DEP_2) | instskip(NEXT) | instid1(VALU_DEP_2)
	v_add_co_ci_u32_e32 v3, vcc_lo, s1, v3, vcc_lo
	v_add_co_u32 v2, vcc_lo, v0, v4
	v_mov_b32_e32 v0, v1
	s_delay_alu instid0(VALU_DEP_3)
	v_add_co_ci_u32_e32 v3, vcc_lo, v3, v5, vcc_lo
	s_cbranch_scc1 .LBB228_4
; %bb.3:
	global_load_b64 v[4:5], v[2:3], off
	s_waitcnt vmcnt(0)
	v_mul_f32_e32 v1, s4, v5
	s_delay_alu instid0(VALU_DEP_1) | instskip(NEXT) | instid1(VALU_DEP_1)
	v_dual_mul_f32 v0, s5, v5 :: v_dual_fmac_f32 v1, s5, v4
	v_fma_f32 v0, v4, s4, -v0
.LBB228_4:
	global_store_b64 v[2:3], v[0:1], off
.LBB228_5:
	s_nop 0
	s_sendmsg sendmsg(MSG_DEALLOC_VGPRS)
	s_endpgm
	.section	.rodata,"a",@progbits
	.p2align	6, 0x0
	.amdhsa_kernel _ZL26rocblas_syr2k_scale_kernelIiLi128ELi8ELb0E19rocblas_complex_numIfES1_PS1_EvbiT_T3_T4_T5_S3_li
		.amdhsa_group_segment_fixed_size 0
		.amdhsa_private_segment_fixed_size 0
		.amdhsa_kernarg_size 320
		.amdhsa_user_sgpr_count 13
		.amdhsa_user_sgpr_dispatch_ptr 0
		.amdhsa_user_sgpr_queue_ptr 0
		.amdhsa_user_sgpr_kernarg_segment_ptr 1
		.amdhsa_user_sgpr_dispatch_id 0
		.amdhsa_user_sgpr_private_segment_size 0
		.amdhsa_wavefront_size32 1
		.amdhsa_uses_dynamic_stack 0
		.amdhsa_enable_private_segment 0
		.amdhsa_system_sgpr_workgroup_id_x 1
		.amdhsa_system_sgpr_workgroup_id_y 1
		.amdhsa_system_sgpr_workgroup_id_z 1
		.amdhsa_system_sgpr_workgroup_info 0
		.amdhsa_system_vgpr_workitem_id 1
		.amdhsa_next_free_vgpr 6
		.amdhsa_next_free_sgpr 16
		.amdhsa_reserve_vcc 1
		.amdhsa_float_round_mode_32 0
		.amdhsa_float_round_mode_16_64 0
		.amdhsa_float_denorm_mode_32 3
		.amdhsa_float_denorm_mode_16_64 3
		.amdhsa_dx10_clamp 1
		.amdhsa_ieee_mode 1
		.amdhsa_fp16_overflow 0
		.amdhsa_workgroup_processor_mode 1
		.amdhsa_memory_ordered 1
		.amdhsa_forward_progress 0
		.amdhsa_shared_vgpr_count 0
		.amdhsa_exception_fp_ieee_invalid_op 0
		.amdhsa_exception_fp_denorm_src 0
		.amdhsa_exception_fp_ieee_div_zero 0
		.amdhsa_exception_fp_ieee_overflow 0
		.amdhsa_exception_fp_ieee_underflow 0
		.amdhsa_exception_fp_ieee_inexact 0
		.amdhsa_exception_int_div_zero 0
	.end_amdhsa_kernel
	.section	.text._ZL26rocblas_syr2k_scale_kernelIiLi128ELi8ELb0E19rocblas_complex_numIfES1_PS1_EvbiT_T3_T4_T5_S3_li,"axG",@progbits,_ZL26rocblas_syr2k_scale_kernelIiLi128ELi8ELb0E19rocblas_complex_numIfES1_PS1_EvbiT_T3_T4_T5_S3_li,comdat
.Lfunc_end228:
	.size	_ZL26rocblas_syr2k_scale_kernelIiLi128ELi8ELb0E19rocblas_complex_numIfES1_PS1_EvbiT_T3_T4_T5_S3_li, .Lfunc_end228-_ZL26rocblas_syr2k_scale_kernelIiLi128ELi8ELb0E19rocblas_complex_numIfES1_PS1_EvbiT_T3_T4_T5_S3_li
                                        ; -- End function
	.section	.AMDGPU.csdata,"",@progbits
; Kernel info:
; codeLenInByte = 392
; NumSgprs: 18
; NumVgprs: 6
; ScratchSize: 0
; MemoryBound: 0
; FloatMode: 240
; IeeeMode: 1
; LDSByteSize: 0 bytes/workgroup (compile time only)
; SGPRBlocks: 2
; VGPRBlocks: 0
; NumSGPRsForWavesPerEU: 18
; NumVGPRsForWavesPerEU: 6
; Occupancy: 16
; WaveLimiterHint : 0
; COMPUTE_PGM_RSRC2:SCRATCH_EN: 0
; COMPUTE_PGM_RSRC2:USER_SGPR: 13
; COMPUTE_PGM_RSRC2:TRAP_HANDLER: 0
; COMPUTE_PGM_RSRC2:TGID_X_EN: 1
; COMPUTE_PGM_RSRC2:TGID_Y_EN: 1
; COMPUTE_PGM_RSRC2:TGID_Z_EN: 1
; COMPUTE_PGM_RSRC2:TIDIG_COMP_CNT: 1
	.section	.text._ZL26rocblas_syr2k_her2k_kernelIiLb0ELb0ELb0ELi32EPK19rocblas_complex_numIfES3_PS1_EvbiT_T4_T5_S5_lS7_S5_lT6_S5_li,"axG",@progbits,_ZL26rocblas_syr2k_her2k_kernelIiLb0ELb0ELb0ELi32EPK19rocblas_complex_numIfES3_PS1_EvbiT_T4_T5_S5_lS7_S5_lT6_S5_li,comdat
	.globl	_ZL26rocblas_syr2k_her2k_kernelIiLb0ELb0ELb0ELi32EPK19rocblas_complex_numIfES3_PS1_EvbiT_T4_T5_S5_lS7_S5_lT6_S5_li ; -- Begin function _ZL26rocblas_syr2k_her2k_kernelIiLb0ELb0ELb0ELi32EPK19rocblas_complex_numIfES3_PS1_EvbiT_T4_T5_S5_lS7_S5_lT6_S5_li
	.p2align	8
	.type	_ZL26rocblas_syr2k_her2k_kernelIiLb0ELb0ELb0ELi32EPK19rocblas_complex_numIfES3_PS1_EvbiT_T4_T5_S5_lS7_S5_lT6_S5_li,@function
_ZL26rocblas_syr2k_her2k_kernelIiLb0ELb0ELb0ELi32EPK19rocblas_complex_numIfES3_PS1_EvbiT_T4_T5_S5_lS7_S5_lT6_S5_li: ; @_ZL26rocblas_syr2k_her2k_kernelIiLb0ELb0ELb0ELi32EPK19rocblas_complex_numIfES3_PS1_EvbiT_T4_T5_S5_lS7_S5_lT6_S5_li
; %bb.0:
	s_load_b128 s[8:11], s[0:1], 0x10
	s_waitcnt lgkmcnt(0)
	s_load_b64 s[8:9], s[8:9], 0x0
	s_waitcnt lgkmcnt(0)
	v_cmp_eq_f32_e64 s2, s8, 0
	v_cmp_eq_f32_e64 s3, s9, 0
	s_delay_alu instid0(VALU_DEP_1) | instskip(NEXT) | instid1(SALU_CYCLE_1)
	s_and_b32 s2, s2, s3
	s_and_b32 vcc_lo, exec_lo, s2
	s_cbranch_vccnz .LBB229_11
; %bb.1:
	s_load_b128 s[4:7], s[0:1], 0x0
	s_lshl_b32 s2, s14, 5
	s_waitcnt lgkmcnt(0)
	s_and_b32 s3, 1, s4
	s_lshl_b32 s4, s13, 5
	s_cmp_eq_u32 s3, 1
	s_cselect_b32 vcc_lo, -1, 0
	s_delay_alu instid0(SALU_CYCLE_1) | instskip(SKIP_2) | instid1(SALU_CYCLE_1)
	s_and_b32 s3, vcc_lo, exec_lo
	s_cselect_b32 s3, s4, s2
	s_cselect_b32 s7, s2, s4
	s_cmp_gt_i32 s3, s7
	s_cbranch_scc1 .LBB229_11
; %bb.2:
	s_cmp_lt_i32 s6, 1
	s_cbranch_scc1 .LBB229_11
; %bb.3:
	s_clause 0x1
	s_load_b128 s[20:23], s[0:1], 0x28
	s_load_b128 s[16:19], s[0:1], 0x40
	v_bfe_u32 v6, v0, 10, 10
	v_and_b32_e32 v7, 0x3ff, v0
	s_clause 0x1
	s_load_b64 s[12:13], s[0:1], 0x58
	s_load_b32 s3, s[0:1], 0x20
	v_add_nc_u32_e32 v0, s2, v6
	v_add_nc_u32_e32 v1, s4, v7
	s_clause 0x1
	s_load_b32 s4, s[0:1], 0x38
	s_load_b32 s2, s[0:1], 0x50
	v_lshlrev_b32_e32 v12, 3, v6
	v_dual_cndmask_b32 v17, v0, v1 :: v_dual_lshlrev_b32 v8, 8, v7
	v_ashrrev_i32_e32 v2, 31, v1
	v_cndmask_b32_e32 v16, v1, v0, vcc_lo
	v_cmp_gt_i32_e32 vcc_lo, s5, v1
	s_delay_alu instid0(VALU_DEP_4)
	v_add_nc_u32_e32 v11, v8, v12
	v_or_b32_e32 v12, 0x2000, v12
	v_lshlrev_b64 v[2:3], 3, v[1:2]
	s_waitcnt lgkmcnt(0)
	s_mul_i32 s1, s15, s21
	s_mul_hi_u32 s7, s15, s20
	s_mul_i32 s0, s15, s20
	s_add_i32 s1, s7, s1
	s_mul_i32 s14, s15, s17
	s_lshl_b64 s[0:1], s[0:1], 3
	s_mul_hi_u32 s17, s15, s16
	s_mul_i32 s7, s15, s13
	s_add_u32 s13, s10, s0
	s_mul_i32 s16, s15, s16
	s_addc_u32 s20, s11, s1
	s_add_i32 s17, s17, s14
	s_mul_hi_u32 s11, s15, s12
	s_lshl_b64 s[0:1], s[16:17], 3
	s_mul_i32 s10, s15, s12
	s_add_u32 s12, s22, s0
	v_mad_i64_i32 v[4:5], null, s2, v0, 0
	s_addc_u32 s14, s23, s1
	s_add_i32 s11, s11, s7
	v_ashrrev_i32_e32 v1, 31, v0
	s_lshl_b64 s[0:1], s[10:11], 3
	v_add_nc_u32_e32 v15, v12, v8
	s_add_u32 s7, s18, s0
	v_add_co_u32 v9, s0, s13, v2
	s_delay_alu instid0(VALU_DEP_1)
	v_add_co_ci_u32_e64 v10, s0, s20, v3, s0
	v_lshlrev_b64 v[13:14], 3, v[0:1]
	v_cmp_gt_i32_e64 s0, s5, v0
	v_lshlrev_b64 v[0:1], 3, v[4:5]
	s_addc_u32 s10, s19, s1
	v_add_nc_u32_e32 v18, 0x1800, v12
	s_delay_alu instid0(VALU_DEP_4) | instskip(NEXT) | instid1(VALU_DEP_3)
	v_add_co_u32 v13, s1, s12, v13
	v_add_co_u32 v0, s2, s7, v0
	s_delay_alu instid0(VALU_DEP_1) | instskip(SKIP_2) | instid1(VALU_DEP_4)
	v_add_co_ci_u32_e64 v1, s2, s10, v1, s2
	v_add_co_ci_u32_e64 v14, s1, s14, v14, s1
	v_cmp_le_i32_e64 s1, v17, v16
	v_add_co_u32 v0, s2, v0, v2
	s_delay_alu instid0(VALU_DEP_1) | instskip(SKIP_3) | instid1(SALU_CYCLE_1)
	v_add_co_ci_u32_e64 v1, s2, v1, v3, s2
	v_add_nc_u32_e32 v16, 0x800, v12
	v_add_nc_u32_e32 v17, 0x1000, v12
	s_and_b32 s5, s0, vcc_lo
	s_and_b32 s2, s5, s1
	s_mov_b32 s5, 0
	s_branch .LBB229_5
.LBB229_4:                              ;   in Loop: Header=BB229_5 Depth=1
	s_or_b32 exec_lo, exec_lo, s1
	s_add_i32 s5, s5, 32
	s_waitcnt_vscnt null, 0x0
	s_cmp_lt_i32 s5, s6
	s_barrier
	buffer_gl0_inv
	s_cbranch_scc0 .LBB229_11
.LBB229_5:                              ; =>This Inner Loop Header: Depth=1
	v_dual_mov_b32 v2, 0 :: v_dual_add_nc_u32 v3, s5, v6
	v_dual_mov_b32 v4, 0 :: v_dual_mov_b32 v5, 0
	s_delay_alu instid0(VALU_DEP_2) | instskip(NEXT) | instid1(VALU_DEP_1)
	v_cmp_gt_i32_e64 s1, s6, v3
	s_and_b32 s1, vcc_lo, s1
	s_delay_alu instid0(SALU_CYCLE_1)
	s_and_saveexec_b32 s7, s1
	s_cbranch_execz .LBB229_7
; %bb.6:                                ;   in Loop: Header=BB229_5 Depth=1
	v_mad_i64_i32 v[4:5], null, v3, s3, 0
	s_delay_alu instid0(VALU_DEP_1) | instskip(NEXT) | instid1(VALU_DEP_1)
	v_lshlrev_b64 v[3:4], 3, v[4:5]
	v_add_co_u32 v3, s1, v9, v3
	s_delay_alu instid0(VALU_DEP_1)
	v_add_co_ci_u32_e64 v4, s1, v10, v4, s1
	global_load_b64 v[4:5], v[3:4], off
.LBB229_7:                              ;   in Loop: Header=BB229_5 Depth=1
	s_or_b32 exec_lo, exec_lo, s7
	v_add_nc_u32_e32 v19, s5, v7
	v_mov_b32_e32 v3, 0
	s_waitcnt vmcnt(0)
	ds_store_b64 v11, v[4:5]
	v_cmp_gt_i32_e64 s1, s6, v19
	s_delay_alu instid0(VALU_DEP_1) | instskip(NEXT) | instid1(SALU_CYCLE_1)
	s_and_b32 s1, s0, s1
	s_and_saveexec_b32 s7, s1
	s_cbranch_execz .LBB229_9
; %bb.8:                                ;   in Loop: Header=BB229_5 Depth=1
	v_mad_i64_i32 v[2:3], null, v19, s4, 0
	s_delay_alu instid0(VALU_DEP_1) | instskip(NEXT) | instid1(VALU_DEP_1)
	v_lshlrev_b64 v[2:3], 3, v[2:3]
	v_add_co_u32 v2, s1, v13, v2
	s_delay_alu instid0(VALU_DEP_1)
	v_add_co_ci_u32_e64 v3, s1, v14, v3, s1
	global_load_b64 v[2:3], v[2:3], off
.LBB229_9:                              ;   in Loop: Header=BB229_5 Depth=1
	s_or_b32 exec_lo, exec_lo, s7
	s_waitcnt vmcnt(0)
	ds_store_b64 v15, v[2:3]
	s_waitcnt lgkmcnt(0)
	s_barrier
	buffer_gl0_inv
	s_and_saveexec_b32 s1, s2
	s_cbranch_execz .LBB229_4
; %bb.10:                               ;   in Loop: Header=BB229_5 Depth=1
	ds_load_b128 v[2:5], v8
	ds_load_b128 v[19:22], v8 offset:16
	ds_load_b128 v[23:26], v8 offset:32
	;; [unrolled: 1-line block ×3, first 2 shown]
	ds_load_2addr_b64 v[31:34], v12 offset1:32
	s_waitcnt lgkmcnt(0)
	v_mul_f32_e32 v35, v32, v3
	v_mul_f32_e32 v3, v31, v3
	s_delay_alu instid0(VALU_DEP_2) | instskip(NEXT) | instid1(VALU_DEP_2)
	v_fma_f32 v35, v31, v2, -v35
	v_fmac_f32_e32 v3, v32, v2
	v_mul_f32_e32 v31, v34, v5
	s_delay_alu instid0(VALU_DEP_3) | instskip(NEXT) | instid1(VALU_DEP_3)
	v_dual_mul_f32 v5, v33, v5 :: v_dual_add_f32 v2, 0, v35
	v_add_f32_e32 v3, 0, v3
	s_delay_alu instid0(VALU_DEP_3) | instskip(NEXT) | instid1(VALU_DEP_3)
	v_fma_f32 v31, v33, v4, -v31
	v_fmac_f32_e32 v5, v34, v4
	s_delay_alu instid0(VALU_DEP_1) | instskip(SKIP_3) | instid1(VALU_DEP_1)
	v_dual_add_f32 v31, v2, v31 :: v_dual_add_f32 v32, v3, v5
	ds_load_2addr_b64 v[2:5], v12 offset0:64 offset1:96
	s_waitcnt lgkmcnt(0)
	v_mul_f32_e32 v33, v3, v20
	v_fma_f32 v33, v2, v19, -v33
	v_mul_f32_e32 v2, v2, v20
	s_delay_alu instid0(VALU_DEP_1) | instskip(NEXT) | instid1(VALU_DEP_1)
	v_dual_fmac_f32 v2, v3, v19 :: v_dual_mul_f32 v19, v5, v22
	v_add_f32_e32 v2, v32, v2
	s_delay_alu instid0(VALU_DEP_2) | instskip(SKIP_1) | instid1(VALU_DEP_1)
	v_fma_f32 v19, v4, v21, -v19
	v_mul_f32_e32 v4, v4, v22
	v_fmac_f32_e32 v4, v5, v21
	s_delay_alu instid0(VALU_DEP_1) | instskip(NEXT) | instid1(VALU_DEP_1)
	v_dual_add_f32 v3, v31, v33 :: v_dual_add_f32 v20, v2, v4
	v_add_f32_e32 v19, v3, v19
	ds_load_2addr_b64 v[2:5], v12 offset0:128 offset1:160
	s_waitcnt lgkmcnt(0)
	v_mul_f32_e32 v21, v3, v24
	s_delay_alu instid0(VALU_DEP_1) | instskip(SKIP_1) | instid1(VALU_DEP_1)
	v_fma_f32 v21, v2, v23, -v21
	v_mul_f32_e32 v2, v2, v24
	v_fmac_f32_e32 v2, v3, v23
	s_delay_alu instid0(VALU_DEP_1) | instskip(SKIP_1) | instid1(VALU_DEP_1)
	v_dual_add_f32 v2, v20, v2 :: v_dual_add_f32 v3, v19, v21
	v_mul_f32_e32 v19, v5, v26
	v_fma_f32 v19, v4, v25, -v19
	v_mul_f32_e32 v4, v4, v26
	s_delay_alu instid0(VALU_DEP_1) | instskip(NEXT) | instid1(VALU_DEP_1)
	v_fmac_f32_e32 v4, v5, v25
	v_dual_add_f32 v20, v2, v4 :: v_dual_add_f32 v19, v3, v19
	ds_load_2addr_b64 v[2:5], v12 offset0:192 offset1:224
	s_waitcnt lgkmcnt(0)
	v_mul_f32_e32 v21, v3, v28
	s_delay_alu instid0(VALU_DEP_1) | instskip(SKIP_1) | instid1(VALU_DEP_1)
	v_fma_f32 v21, v2, v27, -v21
	v_mul_f32_e32 v2, v2, v28
	v_fmac_f32_e32 v2, v3, v27
	s_delay_alu instid0(VALU_DEP_1) | instskip(SKIP_1) | instid1(VALU_DEP_1)
	v_dual_add_f32 v2, v20, v2 :: v_dual_add_f32 v3, v19, v21
	v_mul_f32_e32 v19, v5, v30
	v_fma_f32 v19, v4, v29, -v19
	v_mul_f32_e32 v4, v4, v30
	s_delay_alu instid0(VALU_DEP_1) | instskip(NEXT) | instid1(VALU_DEP_1)
	v_fmac_f32_e32 v4, v5, v29
	v_dual_add_f32 v24, v2, v4 :: v_dual_add_f32 v23, v3, v19
	ds_load_b128 v[2:5], v8 offset:64
	ds_load_2addr_b64 v[19:22], v16 offset1:32
	s_waitcnt lgkmcnt(0)
	v_mul_f32_e32 v25, v20, v3
	v_mul_f32_e32 v3, v19, v3
	s_delay_alu instid0(VALU_DEP_2) | instskip(SKIP_1) | instid1(VALU_DEP_3)
	v_fma_f32 v25, v19, v2, -v25
	v_mul_f32_e32 v19, v22, v5
	v_fmac_f32_e32 v3, v20, v2
	v_mul_f32_e32 v5, v21, v5
	s_delay_alu instid0(VALU_DEP_4) | instskip(NEXT) | instid1(VALU_DEP_4)
	v_add_f32_e32 v2, v23, v25
	v_fma_f32 v19, v21, v4, -v19
	s_delay_alu instid0(VALU_DEP_3) | instskip(NEXT) | instid1(VALU_DEP_2)
	v_fmac_f32_e32 v5, v22, v4
	v_add_f32_e32 v23, v2, v19
	v_add_f32_e32 v3, v24, v3
	s_delay_alu instid0(VALU_DEP_1)
	v_add_f32_e32 v24, v3, v5
	ds_load_b128 v[2:5], v8 offset:80
	ds_load_2addr_b64 v[19:22], v16 offset0:64 offset1:96
	s_waitcnt lgkmcnt(0)
	v_mul_f32_e32 v25, v20, v3
	v_mul_f32_e32 v3, v19, v3
	s_delay_alu instid0(VALU_DEP_2) | instskip(NEXT) | instid1(VALU_DEP_2)
	v_fma_f32 v25, v19, v2, -v25
	v_fmac_f32_e32 v3, v20, v2
	v_mul_f32_e32 v19, v22, v5
	v_mul_f32_e32 v5, v21, v5
	s_delay_alu instid0(VALU_DEP_3) | instskip(NEXT) | instid1(VALU_DEP_3)
	v_add_f32_e32 v3, v24, v3
	v_fma_f32 v19, v21, v4, -v19
	s_delay_alu instid0(VALU_DEP_3) | instskip(NEXT) | instid1(VALU_DEP_1)
	v_fmac_f32_e32 v5, v22, v4
	v_add_f32_e32 v24, v3, v5
	v_add_f32_e32 v2, v23, v25
	s_delay_alu instid0(VALU_DEP_1)
	v_add_f32_e32 v23, v2, v19
	ds_load_b128 v[2:5], v8 offset:96
	ds_load_2addr_b64 v[19:22], v16 offset0:128 offset1:160
	s_waitcnt lgkmcnt(0)
	v_mul_f32_e32 v25, v20, v3
	v_mul_f32_e32 v3, v19, v3
	s_delay_alu instid0(VALU_DEP_2) | instskip(NEXT) | instid1(VALU_DEP_2)
	v_fma_f32 v25, v19, v2, -v25
	v_fmac_f32_e32 v3, v20, v2
	v_mul_f32_e32 v19, v22, v5
	v_mul_f32_e32 v5, v21, v5
	s_delay_alu instid0(VALU_DEP_3) | instskip(NEXT) | instid1(VALU_DEP_3)
	v_dual_add_f32 v2, v23, v25 :: v_dual_add_f32 v3, v24, v3
	v_fma_f32 v19, v21, v4, -v19
	s_delay_alu instid0(VALU_DEP_3) | instskip(NEXT) | instid1(VALU_DEP_1)
	v_fmac_f32_e32 v5, v22, v4
	v_dual_add_f32 v23, v2, v19 :: v_dual_add_f32 v24, v3, v5
	ds_load_b128 v[2:5], v8 offset:112
	ds_load_2addr_b64 v[19:22], v16 offset0:192 offset1:224
	s_waitcnt lgkmcnt(0)
	v_mul_f32_e32 v25, v20, v3
	v_mul_f32_e32 v3, v19, v3
	s_delay_alu instid0(VALU_DEP_2) | instskip(NEXT) | instid1(VALU_DEP_2)
	v_fma_f32 v25, v19, v2, -v25
	v_fmac_f32_e32 v3, v20, v2
	v_mul_f32_e32 v19, v22, v5
	v_mul_f32_e32 v5, v21, v5
	s_delay_alu instid0(VALU_DEP_3) | instskip(NEXT) | instid1(VALU_DEP_3)
	v_dual_add_f32 v2, v23, v25 :: v_dual_add_f32 v3, v24, v3
	v_fma_f32 v19, v21, v4, -v19
	s_delay_alu instid0(VALU_DEP_3) | instskip(NEXT) | instid1(VALU_DEP_1)
	v_fmac_f32_e32 v5, v22, v4
	v_dual_add_f32 v23, v2, v19 :: v_dual_add_f32 v24, v3, v5
	ds_load_b128 v[2:5], v8 offset:128
	ds_load_2addr_b64 v[19:22], v17 offset1:32
	s_waitcnt lgkmcnt(0)
	v_mul_f32_e32 v25, v20, v3
	v_mul_f32_e32 v3, v19, v3
	s_delay_alu instid0(VALU_DEP_2) | instskip(NEXT) | instid1(VALU_DEP_2)
	v_fma_f32 v25, v19, v2, -v25
	v_fmac_f32_e32 v3, v20, v2
	v_mul_f32_e32 v19, v22, v5
	v_mul_f32_e32 v5, v21, v5
	s_delay_alu instid0(VALU_DEP_3) | instskip(NEXT) | instid1(VALU_DEP_3)
	v_dual_add_f32 v2, v23, v25 :: v_dual_add_f32 v3, v24, v3
	v_fma_f32 v19, v21, v4, -v19
	s_delay_alu instid0(VALU_DEP_3) | instskip(NEXT) | instid1(VALU_DEP_1)
	v_fmac_f32_e32 v5, v22, v4
	v_dual_add_f32 v23, v2, v19 :: v_dual_add_f32 v24, v3, v5
	ds_load_b128 v[2:5], v8 offset:144
	ds_load_2addr_b64 v[19:22], v17 offset0:64 offset1:96
	s_waitcnt lgkmcnt(0)
	v_mul_f32_e32 v25, v20, v3
	v_mul_f32_e32 v3, v19, v3
	s_delay_alu instid0(VALU_DEP_2) | instskip(NEXT) | instid1(VALU_DEP_2)
	v_fma_f32 v25, v19, v2, -v25
	v_fmac_f32_e32 v3, v20, v2
	v_mul_f32_e32 v19, v22, v5
	v_mul_f32_e32 v5, v21, v5
	s_delay_alu instid0(VALU_DEP_3) | instskip(NEXT) | instid1(VALU_DEP_3)
	v_dual_add_f32 v2, v23, v25 :: v_dual_add_f32 v3, v24, v3
	v_fma_f32 v19, v21, v4, -v19
	s_delay_alu instid0(VALU_DEP_3) | instskip(NEXT) | instid1(VALU_DEP_1)
	v_fmac_f32_e32 v5, v22, v4
	v_dual_add_f32 v23, v2, v19 :: v_dual_add_f32 v24, v3, v5
	ds_load_b128 v[2:5], v8 offset:160
	ds_load_2addr_b64 v[19:22], v17 offset0:128 offset1:160
	;; [unrolled: 16-line block ×3, first 2 shown]
	s_waitcnt lgkmcnt(0)
	v_mul_f32_e32 v25, v20, v3
	v_mul_f32_e32 v3, v19, v3
	s_delay_alu instid0(VALU_DEP_2) | instskip(NEXT) | instid1(VALU_DEP_2)
	v_fma_f32 v25, v19, v2, -v25
	v_fmac_f32_e32 v3, v20, v2
	v_mul_f32_e32 v19, v22, v5
	v_mul_f32_e32 v5, v21, v5
	s_delay_alu instid0(VALU_DEP_3) | instskip(NEXT) | instid1(VALU_DEP_3)
	v_dual_add_f32 v2, v23, v25 :: v_dual_add_f32 v3, v24, v3
	v_fma_f32 v19, v21, v4, -v19
	s_delay_alu instid0(VALU_DEP_3) | instskip(NEXT) | instid1(VALU_DEP_1)
	v_fmac_f32_e32 v5, v22, v4
	v_dual_add_f32 v23, v2, v19 :: v_dual_add_f32 v24, v3, v5
	ds_load_b128 v[2:5], v8 offset:192
	ds_load_2addr_b64 v[19:22], v18 offset1:32
	s_waitcnt lgkmcnt(0)
	v_mul_f32_e32 v25, v20, v3
	v_mul_f32_e32 v3, v19, v3
	s_delay_alu instid0(VALU_DEP_2) | instskip(NEXT) | instid1(VALU_DEP_2)
	v_fma_f32 v25, v19, v2, -v25
	v_fmac_f32_e32 v3, v20, v2
	v_mul_f32_e32 v19, v22, v5
	v_mul_f32_e32 v5, v21, v5
	s_delay_alu instid0(VALU_DEP_3) | instskip(NEXT) | instid1(VALU_DEP_3)
	v_dual_add_f32 v2, v23, v25 :: v_dual_add_f32 v3, v24, v3
	v_fma_f32 v19, v21, v4, -v19
	s_delay_alu instid0(VALU_DEP_3) | instskip(NEXT) | instid1(VALU_DEP_1)
	v_fmac_f32_e32 v5, v22, v4
	v_dual_add_f32 v23, v2, v19 :: v_dual_add_f32 v24, v3, v5
	ds_load_b128 v[2:5], v8 offset:208
	ds_load_2addr_b64 v[19:22], v18 offset0:64 offset1:96
	s_waitcnt lgkmcnt(0)
	v_mul_f32_e32 v25, v20, v3
	v_mul_f32_e32 v3, v19, v3
	s_delay_alu instid0(VALU_DEP_2) | instskip(NEXT) | instid1(VALU_DEP_2)
	v_fma_f32 v25, v19, v2, -v25
	v_fmac_f32_e32 v3, v20, v2
	v_mul_f32_e32 v19, v22, v5
	v_mul_f32_e32 v5, v21, v5
	s_delay_alu instid0(VALU_DEP_3) | instskip(NEXT) | instid1(VALU_DEP_3)
	v_dual_add_f32 v2, v23, v25 :: v_dual_add_f32 v3, v24, v3
	v_fma_f32 v19, v21, v4, -v19
	s_delay_alu instid0(VALU_DEP_3) | instskip(NEXT) | instid1(VALU_DEP_1)
	v_fmac_f32_e32 v5, v22, v4
	v_dual_add_f32 v23, v2, v19 :: v_dual_add_f32 v24, v3, v5
	ds_load_b128 v[2:5], v8 offset:224
	ds_load_2addr_b64 v[19:22], v18 offset0:128 offset1:160
	;; [unrolled: 16-line block ×3, first 2 shown]
	s_waitcnt lgkmcnt(0)
	v_mul_f32_e32 v25, v20, v3
	v_mul_f32_e32 v3, v19, v3
	s_delay_alu instid0(VALU_DEP_2) | instskip(NEXT) | instid1(VALU_DEP_2)
	v_fma_f32 v25, v19, v2, -v25
	v_fmac_f32_e32 v3, v20, v2
	v_mul_f32_e32 v19, v22, v5
	v_mul_f32_e32 v5, v21, v5
	s_delay_alu instid0(VALU_DEP_3) | instskip(NEXT) | instid1(VALU_DEP_3)
	v_dual_add_f32 v2, v23, v25 :: v_dual_add_f32 v3, v24, v3
	v_fma_f32 v19, v21, v4, -v19
	s_delay_alu instid0(VALU_DEP_3) | instskip(NEXT) | instid1(VALU_DEP_1)
	v_fmac_f32_e32 v5, v22, v4
	v_dual_add_f32 v4, v2, v19 :: v_dual_add_f32 v5, v3, v5
	s_delay_alu instid0(VALU_DEP_1) | instskip(NEXT) | instid1(VALU_DEP_1)
	v_dual_mul_f32 v3, s9, v4 :: v_dual_mul_f32 v2, s9, v5
	v_fmac_f32_e32 v3, s8, v5
	s_delay_alu instid0(VALU_DEP_2)
	v_fma_f32 v2, s8, v4, -v2
	global_load_b64 v[4:5], v[0:1], off
	s_waitcnt vmcnt(0)
	v_dual_add_f32 v2, v4, v2 :: v_dual_add_f32 v3, v5, v3
	global_store_b64 v[0:1], v[2:3], off
	s_branch .LBB229_4
.LBB229_11:
	s_endpgm
	.section	.rodata,"a",@progbits
	.p2align	6, 0x0
	.amdhsa_kernel _ZL26rocblas_syr2k_her2k_kernelIiLb0ELb0ELb0ELi32EPK19rocblas_complex_numIfES3_PS1_EvbiT_T4_T5_S5_lS7_S5_lT6_S5_li
		.amdhsa_group_segment_fixed_size 16384
		.amdhsa_private_segment_fixed_size 0
		.amdhsa_kernarg_size 100
		.amdhsa_user_sgpr_count 13
		.amdhsa_user_sgpr_dispatch_ptr 0
		.amdhsa_user_sgpr_queue_ptr 0
		.amdhsa_user_sgpr_kernarg_segment_ptr 1
		.amdhsa_user_sgpr_dispatch_id 0
		.amdhsa_user_sgpr_private_segment_size 0
		.amdhsa_wavefront_size32 1
		.amdhsa_uses_dynamic_stack 0
		.amdhsa_enable_private_segment 0
		.amdhsa_system_sgpr_workgroup_id_x 1
		.amdhsa_system_sgpr_workgroup_id_y 1
		.amdhsa_system_sgpr_workgroup_id_z 1
		.amdhsa_system_sgpr_workgroup_info 0
		.amdhsa_system_vgpr_workitem_id 1
		.amdhsa_next_free_vgpr 36
		.amdhsa_next_free_sgpr 24
		.amdhsa_reserve_vcc 1
		.amdhsa_float_round_mode_32 0
		.amdhsa_float_round_mode_16_64 0
		.amdhsa_float_denorm_mode_32 3
		.amdhsa_float_denorm_mode_16_64 3
		.amdhsa_dx10_clamp 1
		.amdhsa_ieee_mode 1
		.amdhsa_fp16_overflow 0
		.amdhsa_workgroup_processor_mode 1
		.amdhsa_memory_ordered 1
		.amdhsa_forward_progress 0
		.amdhsa_shared_vgpr_count 0
		.amdhsa_exception_fp_ieee_invalid_op 0
		.amdhsa_exception_fp_denorm_src 0
		.amdhsa_exception_fp_ieee_div_zero 0
		.amdhsa_exception_fp_ieee_overflow 0
		.amdhsa_exception_fp_ieee_underflow 0
		.amdhsa_exception_fp_ieee_inexact 0
		.amdhsa_exception_int_div_zero 0
	.end_amdhsa_kernel
	.section	.text._ZL26rocblas_syr2k_her2k_kernelIiLb0ELb0ELb0ELi32EPK19rocblas_complex_numIfES3_PS1_EvbiT_T4_T5_S5_lS7_S5_lT6_S5_li,"axG",@progbits,_ZL26rocblas_syr2k_her2k_kernelIiLb0ELb0ELb0ELi32EPK19rocblas_complex_numIfES3_PS1_EvbiT_T4_T5_S5_lS7_S5_lT6_S5_li,comdat
.Lfunc_end229:
	.size	_ZL26rocblas_syr2k_her2k_kernelIiLb0ELb0ELb0ELi32EPK19rocblas_complex_numIfES3_PS1_EvbiT_T4_T5_S5_lS7_S5_lT6_S5_li, .Lfunc_end229-_ZL26rocblas_syr2k_her2k_kernelIiLb0ELb0ELb0ELi32EPK19rocblas_complex_numIfES3_PS1_EvbiT_T4_T5_S5_lS7_S5_lT6_S5_li
                                        ; -- End function
	.section	.AMDGPU.csdata,"",@progbits
; Kernel info:
; codeLenInByte = 2252
; NumSgprs: 26
; NumVgprs: 36
; ScratchSize: 0
; MemoryBound: 0
; FloatMode: 240
; IeeeMode: 1
; LDSByteSize: 16384 bytes/workgroup (compile time only)
; SGPRBlocks: 3
; VGPRBlocks: 4
; NumSGPRsForWavesPerEU: 26
; NumVGPRsForWavesPerEU: 36
; Occupancy: 16
; WaveLimiterHint : 0
; COMPUTE_PGM_RSRC2:SCRATCH_EN: 0
; COMPUTE_PGM_RSRC2:USER_SGPR: 13
; COMPUTE_PGM_RSRC2:TRAP_HANDLER: 0
; COMPUTE_PGM_RSRC2:TGID_X_EN: 1
; COMPUTE_PGM_RSRC2:TGID_Y_EN: 1
; COMPUTE_PGM_RSRC2:TGID_Z_EN: 1
; COMPUTE_PGM_RSRC2:TIDIG_COMP_CNT: 1
	.section	.text._ZL26rocblas_syr2k_her2k_kernelIiLb0ELb0ELb1ELi32EPK19rocblas_complex_numIfES3_PS1_EvbiT_T4_T5_S5_lS7_S5_lT6_S5_li,"axG",@progbits,_ZL26rocblas_syr2k_her2k_kernelIiLb0ELb0ELb1ELi32EPK19rocblas_complex_numIfES3_PS1_EvbiT_T4_T5_S5_lS7_S5_lT6_S5_li,comdat
	.globl	_ZL26rocblas_syr2k_her2k_kernelIiLb0ELb0ELb1ELi32EPK19rocblas_complex_numIfES3_PS1_EvbiT_T4_T5_S5_lS7_S5_lT6_S5_li ; -- Begin function _ZL26rocblas_syr2k_her2k_kernelIiLb0ELb0ELb1ELi32EPK19rocblas_complex_numIfES3_PS1_EvbiT_T4_T5_S5_lS7_S5_lT6_S5_li
	.p2align	8
	.type	_ZL26rocblas_syr2k_her2k_kernelIiLb0ELb0ELb1ELi32EPK19rocblas_complex_numIfES3_PS1_EvbiT_T4_T5_S5_lS7_S5_lT6_S5_li,@function
_ZL26rocblas_syr2k_her2k_kernelIiLb0ELb0ELb1ELi32EPK19rocblas_complex_numIfES3_PS1_EvbiT_T4_T5_S5_lS7_S5_lT6_S5_li: ; @_ZL26rocblas_syr2k_her2k_kernelIiLb0ELb0ELb1ELi32EPK19rocblas_complex_numIfES3_PS1_EvbiT_T4_T5_S5_lS7_S5_lT6_S5_li
; %bb.0:
	s_load_b128 s[8:11], s[0:1], 0x10
	s_waitcnt lgkmcnt(0)
	s_load_b64 s[8:9], s[8:9], 0x0
	s_waitcnt lgkmcnt(0)
	v_cmp_eq_f32_e64 s2, s8, 0
	v_cmp_eq_f32_e64 s3, s9, 0
	s_delay_alu instid0(VALU_DEP_1) | instskip(NEXT) | instid1(SALU_CYCLE_1)
	s_and_b32 s2, s2, s3
	s_and_b32 vcc_lo, exec_lo, s2
	s_cbranch_vccnz .LBB230_11
; %bb.1:
	s_load_b128 s[4:7], s[0:1], 0x0
	s_lshl_b32 s2, s14, 5
	s_lshl_b32 s3, s13, 5
	s_waitcnt lgkmcnt(0)
	s_and_b32 s4, 1, s4
	s_delay_alu instid0(SALU_CYCLE_1) | instskip(SKIP_1) | instid1(SALU_CYCLE_1)
	s_cmp_eq_u32 s4, 1
	s_cselect_b32 vcc_lo, -1, 0
	s_and_b32 s4, vcc_lo, exec_lo
	s_cselect_b32 s4, s3, s2
	s_cselect_b32 s7, s2, s3
	s_delay_alu instid0(SALU_CYCLE_1)
	s_cmp_gt_i32 s4, s7
	s_cbranch_scc1 .LBB230_11
; %bb.2:
	s_cmp_lt_i32 s6, 1
	s_cbranch_scc1 .LBB230_11
; %bb.3:
	s_clause 0x5
	s_load_b128 s[20:23], s[0:1], 0x28
	s_load_b128 s[16:19], s[0:1], 0x40
	s_load_b32 s4, s[0:1], 0x20
	s_load_b32 s7, s[0:1], 0x38
	;; [unrolled: 1-line block ×3, first 2 shown]
	s_load_b64 s[12:13], s[0:1], 0x58
	v_and_b32_e32 v8, 0x3ff, v0
	v_bfe_u32 v9, v0, 10, 10
	s_delay_alu instid0(VALU_DEP_2) | instskip(NEXT) | instid1(VALU_DEP_2)
	v_add_nc_u32_e32 v0, s3, v8
	v_add_nc_u32_e32 v14, s2, v9
	v_lshlrev_b32_e32 v15, 3, v9
	v_lshlrev_b32_e32 v10, 8, v8
	s_delay_alu instid0(VALU_DEP_4) | instskip(NEXT) | instid1(VALU_DEP_4)
	v_ashrrev_i32_e32 v1, 31, v0
	v_dual_cndmask_b32 v18, v0, v14 :: v_dual_cndmask_b32 v19, v14, v0
	v_cmp_gt_i32_e32 vcc_lo, s5, v0
	s_delay_alu instid0(VALU_DEP_4)
	v_add_nc_u32_e32 v13, v10, v15
	s_waitcnt lgkmcnt(0)
	v_mad_i64_i32 v[2:3], null, s4, v0, 0
	s_mul_i32 s1, s15, s21
	s_mul_hi_u32 s3, s15, s20
	s_mul_i32 s0, s15, s20
	s_add_i32 s1, s3, s1
	s_mul_i32 s17, s15, s17
	s_lshl_b64 s[0:1], s[0:1], 3
	s_mul_hi_u32 s20, s15, s16
	s_add_u32 s10, s10, s0
	s_mul_i32 s2, s15, s16
	s_addc_u32 s11, s11, s1
	s_add_i32 s3, s20, s17
	s_mul_i32 s13, s15, s13
	s_lshl_b64 s[0:1], s[2:3], 3
	s_mul_hi_u32 s16, s15, s12
	v_lshlrev_b64 v[2:3], 3, v[2:3]
	v_mad_i64_i32 v[4:5], null, s7, v14, 0
	v_mad_i64_i32 v[6:7], null, s14, v14, 0
	s_add_u32 s4, s22, s0
	s_mul_i32 s2, s15, s12
	s_addc_u32 s12, s23, s1
	s_add_i32 s3, s16, s13
	v_lshlrev_b64 v[0:1], 3, v[0:1]
	s_lshl_b64 s[0:1], s[2:3], 3
	s_delay_alu instid0(SALU_CYCLE_1) | instskip(SKIP_1) | instid1(VALU_DEP_1)
	s_add_u32 s2, s18, s0
	v_add_co_u32 v11, s0, s10, v2
	v_add_co_ci_u32_e64 v12, s0, s11, v3, s0
	v_lshlrev_b64 v[2:3], 3, v[4:5]
	v_lshlrev_b64 v[4:5], 3, v[6:7]
	s_addc_u32 s3, s19, s1
	v_cmp_gt_i32_e64 s0, s5, v14
	v_or_b32_e32 v14, 0x2000, v15
	s_delay_alu instid0(VALU_DEP_4) | instskip(NEXT) | instid1(VALU_DEP_4)
	v_add_co_u32 v15, s1, s4, v2
	v_add_co_u32 v2, s2, s2, v4
	v_add_co_ci_u32_e64 v16, s1, s12, v3, s1
	v_add_co_ci_u32_e64 v3, s2, s3, v5, s2
	v_cmp_le_i32_e64 s1, v19, v18
	s_delay_alu instid0(VALU_DEP_4) | instskip(SKIP_1) | instid1(VALU_DEP_4)
	v_add_co_u32 v0, s2, v2, v0
	v_add_nc_u32_e32 v17, v14, v10
	v_add_co_ci_u32_e64 v1, s2, v3, v1, s2
	v_add_nc_u32_e32 v18, 0x800, v14
	v_add_nc_u32_e32 v19, 0x1000, v14
	;; [unrolled: 1-line block ×3, first 2 shown]
	s_and_b32 s3, s0, vcc_lo
	s_delay_alu instid0(SALU_CYCLE_1)
	s_and_b32 s2, s3, s1
	s_mov_b32 s3, 0
	s_branch .LBB230_5
.LBB230_4:                              ;   in Loop: Header=BB230_5 Depth=1
	s_or_b32 exec_lo, exec_lo, s1
	s_add_i32 s3, s3, 32
	s_waitcnt_vscnt null, 0x0
	s_cmp_lt_i32 s3, s6
	s_barrier
	buffer_gl0_inv
	s_cbranch_scc0 .LBB230_11
.LBB230_5:                              ; =>This Inner Loop Header: Depth=1
	v_dual_mov_b32 v2, 0 :: v_dual_add_nc_u32 v3, s3, v9
	v_dual_mov_b32 v4, 0 :: v_dual_mov_b32 v5, 0
	s_delay_alu instid0(VALU_DEP_2) | instskip(NEXT) | instid1(VALU_DEP_1)
	v_cmp_gt_i32_e64 s1, s6, v3
	s_and_b32 s1, vcc_lo, s1
	s_delay_alu instid0(SALU_CYCLE_1)
	s_and_saveexec_b32 s4, s1
	s_cbranch_execz .LBB230_7
; %bb.6:                                ;   in Loop: Header=BB230_5 Depth=1
	v_ashrrev_i32_e32 v4, 31, v3
	s_delay_alu instid0(VALU_DEP_1) | instskip(NEXT) | instid1(VALU_DEP_1)
	v_lshlrev_b64 v[3:4], 3, v[3:4]
	v_add_co_u32 v3, s1, v11, v3
	s_delay_alu instid0(VALU_DEP_1)
	v_add_co_ci_u32_e64 v4, s1, v12, v4, s1
	global_load_b64 v[4:5], v[3:4], off
.LBB230_7:                              ;   in Loop: Header=BB230_5 Depth=1
	s_or_b32 exec_lo, exec_lo, s4
	v_dual_mov_b32 v3, 0 :: v_dual_add_nc_u32 v6, s3, v8
	s_waitcnt vmcnt(0)
	ds_store_b64 v13, v[4:5]
	v_cmp_gt_i32_e64 s1, s6, v6
	s_delay_alu instid0(VALU_DEP_1) | instskip(NEXT) | instid1(SALU_CYCLE_1)
	s_and_b32 s1, s0, s1
	s_and_saveexec_b32 s4, s1
	s_cbranch_execz .LBB230_9
; %bb.8:                                ;   in Loop: Header=BB230_5 Depth=1
	v_ashrrev_i32_e32 v7, 31, v6
	s_delay_alu instid0(VALU_DEP_1) | instskip(NEXT) | instid1(VALU_DEP_1)
	v_lshlrev_b64 v[2:3], 3, v[6:7]
	v_add_co_u32 v2, s1, v15, v2
	s_delay_alu instid0(VALU_DEP_1)
	v_add_co_ci_u32_e64 v3, s1, v16, v3, s1
	global_load_b64 v[2:3], v[2:3], off
.LBB230_9:                              ;   in Loop: Header=BB230_5 Depth=1
	s_or_b32 exec_lo, exec_lo, s4
	s_waitcnt vmcnt(0)
	ds_store_b64 v17, v[2:3]
	s_waitcnt lgkmcnt(0)
	s_barrier
	buffer_gl0_inv
	s_and_saveexec_b32 s1, s2
	s_cbranch_execz .LBB230_4
; %bb.10:                               ;   in Loop: Header=BB230_5 Depth=1
	ds_load_b128 v[2:5], v10
	ds_load_b128 v[21:24], v10 offset:16
	ds_load_b128 v[25:28], v10 offset:32
	;; [unrolled: 1-line block ×3, first 2 shown]
	ds_load_2addr_b64 v[33:36], v14 offset1:32
	s_waitcnt lgkmcnt(0)
	v_mul_f32_e32 v6, v34, v3
	s_delay_alu instid0(VALU_DEP_1) | instskip(SKIP_1) | instid1(VALU_DEP_1)
	v_fma_f32 v6, v33, v2, -v6
	v_mul_f32_e32 v3, v33, v3
	v_fmac_f32_e32 v3, v34, v2
	s_delay_alu instid0(VALU_DEP_3) | instskip(SKIP_2) | instid1(VALU_DEP_2)
	v_add_f32_e32 v2, 0, v6
	v_mul_f32_e32 v6, v36, v5
	v_mul_f32_e32 v5, v35, v5
	v_fma_f32 v6, v35, v4, -v6
	v_add_f32_e32 v3, 0, v3
	s_delay_alu instid0(VALU_DEP_2) | instskip(NEXT) | instid1(VALU_DEP_1)
	v_dual_fmac_f32 v5, v36, v4 :: v_dual_add_f32 v6, v2, v6
	v_add_f32_e32 v7, v3, v5
	ds_load_2addr_b64 v[2:5], v14 offset0:64 offset1:96
	s_waitcnt lgkmcnt(0)
	v_mul_f32_e32 v33, v3, v22
	s_delay_alu instid0(VALU_DEP_1) | instskip(SKIP_1) | instid1(VALU_DEP_1)
	v_fma_f32 v33, v2, v21, -v33
	v_mul_f32_e32 v2, v2, v22
	v_fmac_f32_e32 v2, v3, v21
	s_delay_alu instid0(VALU_DEP_3) | instskip(NEXT) | instid1(VALU_DEP_2)
	v_dual_add_f32 v3, v6, v33 :: v_dual_mul_f32 v6, v5, v24
	v_add_f32_e32 v2, v7, v2
	s_delay_alu instid0(VALU_DEP_2) | instskip(SKIP_1) | instid1(VALU_DEP_1)
	v_fma_f32 v6, v4, v23, -v6
	v_mul_f32_e32 v4, v4, v24
	v_fmac_f32_e32 v4, v5, v23
	s_delay_alu instid0(VALU_DEP_1) | instskip(SKIP_3) | instid1(VALU_DEP_1)
	v_dual_add_f32 v6, v3, v6 :: v_dual_add_f32 v7, v2, v4
	ds_load_2addr_b64 v[2:5], v14 offset0:128 offset1:160
	s_waitcnt lgkmcnt(0)
	v_mul_f32_e32 v21, v3, v26
	v_fma_f32 v21, v2, v25, -v21
	v_mul_f32_e32 v2, v2, v26
	s_delay_alu instid0(VALU_DEP_1) | instskip(NEXT) | instid1(VALU_DEP_3)
	v_fmac_f32_e32 v2, v3, v25
	v_dual_add_f32 v3, v6, v21 :: v_dual_mul_f32 v6, v5, v28
	s_delay_alu instid0(VALU_DEP_2) | instskip(NEXT) | instid1(VALU_DEP_2)
	v_add_f32_e32 v2, v7, v2
	v_fma_f32 v6, v4, v27, -v6
	s_delay_alu instid0(VALU_DEP_1) | instskip(SKIP_1) | instid1(VALU_DEP_1)
	v_add_f32_e32 v6, v3, v6
	v_mul_f32_e32 v4, v4, v28
	v_fmac_f32_e32 v4, v5, v27
	s_delay_alu instid0(VALU_DEP_1) | instskip(SKIP_3) | instid1(VALU_DEP_1)
	v_add_f32_e32 v7, v2, v4
	ds_load_2addr_b64 v[2:5], v14 offset0:192 offset1:224
	s_waitcnt lgkmcnt(0)
	v_mul_f32_e32 v21, v3, v30
	v_fma_f32 v21, v2, v29, -v21
	v_mul_f32_e32 v2, v2, v30
	s_delay_alu instid0(VALU_DEP_1) | instskip(NEXT) | instid1(VALU_DEP_3)
	v_fmac_f32_e32 v2, v3, v29
	v_dual_add_f32 v3, v6, v21 :: v_dual_mul_f32 v6, v5, v32
	s_delay_alu instid0(VALU_DEP_2) | instskip(NEXT) | instid1(VALU_DEP_2)
	v_add_f32_e32 v2, v7, v2
	v_fma_f32 v6, v4, v31, -v6
	v_mul_f32_e32 v4, v4, v32
	s_delay_alu instid0(VALU_DEP_1) | instskip(NEXT) | instid1(VALU_DEP_1)
	v_fmac_f32_e32 v4, v5, v31
	v_dual_add_f32 v6, v3, v6 :: v_dual_add_f32 v7, v2, v4
	ds_load_b128 v[2:5], v10 offset:64
	ds_load_2addr_b64 v[21:24], v18 offset1:32
	s_waitcnt lgkmcnt(0)
	v_mul_f32_e32 v25, v22, v3
	v_mul_f32_e32 v3, v21, v3
	s_delay_alu instid0(VALU_DEP_2) | instskip(NEXT) | instid1(VALU_DEP_2)
	v_fma_f32 v25, v21, v2, -v25
	v_fmac_f32_e32 v3, v22, v2
	s_delay_alu instid0(VALU_DEP_2) | instskip(SKIP_2) | instid1(VALU_DEP_4)
	v_add_f32_e32 v2, v6, v25
	v_mul_f32_e32 v6, v24, v5
	v_mul_f32_e32 v5, v23, v5
	v_add_f32_e32 v3, v7, v3
	s_delay_alu instid0(VALU_DEP_3) | instskip(NEXT) | instid1(VALU_DEP_1)
	v_fma_f32 v6, v23, v4, -v6
	v_dual_fmac_f32 v5, v24, v4 :: v_dual_add_f32 v6, v2, v6
	s_delay_alu instid0(VALU_DEP_1)
	v_add_f32_e32 v7, v3, v5
	ds_load_b128 v[2:5], v10 offset:80
	ds_load_2addr_b64 v[21:24], v18 offset0:64 offset1:96
	s_waitcnt lgkmcnt(0)
	v_mul_f32_e32 v25, v22, v3
	v_mul_f32_e32 v3, v21, v3
	s_delay_alu instid0(VALU_DEP_2) | instskip(NEXT) | instid1(VALU_DEP_2)
	v_fma_f32 v25, v21, v2, -v25
	v_fmac_f32_e32 v3, v22, v2
	s_delay_alu instid0(VALU_DEP_2) | instskip(SKIP_2) | instid1(VALU_DEP_4)
	v_add_f32_e32 v2, v6, v25
	v_mul_f32_e32 v6, v24, v5
	v_mul_f32_e32 v5, v23, v5
	v_add_f32_e32 v3, v7, v3
	s_delay_alu instid0(VALU_DEP_3) | instskip(NEXT) | instid1(VALU_DEP_1)
	v_fma_f32 v6, v23, v4, -v6
	v_dual_fmac_f32 v5, v24, v4 :: v_dual_add_f32 v6, v2, v6
	s_delay_alu instid0(VALU_DEP_1)
	v_add_f32_e32 v7, v3, v5
	ds_load_b128 v[2:5], v10 offset:96
	ds_load_2addr_b64 v[21:24], v18 offset0:128 offset1:160
	s_waitcnt lgkmcnt(0)
	v_mul_f32_e32 v25, v22, v3
	v_mul_f32_e32 v3, v21, v3
	s_delay_alu instid0(VALU_DEP_2) | instskip(NEXT) | instid1(VALU_DEP_2)
	v_fma_f32 v25, v21, v2, -v25
	v_fmac_f32_e32 v3, v22, v2
	s_delay_alu instid0(VALU_DEP_2) | instskip(NEXT) | instid1(VALU_DEP_2)
	v_add_f32_e32 v2, v6, v25
	v_dual_mul_f32 v6, v24, v5 :: v_dual_add_f32 v3, v7, v3
	s_delay_alu instid0(VALU_DEP_1) | instskip(NEXT) | instid1(VALU_DEP_1)
	v_fma_f32 v6, v23, v4, -v6
	v_dual_mul_f32 v5, v23, v5 :: v_dual_add_f32 v6, v2, v6
	s_delay_alu instid0(VALU_DEP_1) | instskip(NEXT) | instid1(VALU_DEP_1)
	v_fmac_f32_e32 v5, v24, v4
	v_add_f32_e32 v7, v3, v5
	ds_load_b128 v[2:5], v10 offset:112
	ds_load_2addr_b64 v[21:24], v18 offset0:192 offset1:224
	s_waitcnt lgkmcnt(0)
	v_mul_f32_e32 v25, v22, v3
	v_mul_f32_e32 v3, v21, v3
	s_delay_alu instid0(VALU_DEP_2) | instskip(NEXT) | instid1(VALU_DEP_2)
	v_fma_f32 v25, v21, v2, -v25
	v_fmac_f32_e32 v3, v22, v2
	s_delay_alu instid0(VALU_DEP_2) | instskip(SKIP_2) | instid1(VALU_DEP_2)
	v_add_f32_e32 v2, v6, v25
	v_mul_f32_e32 v6, v24, v5
	v_mul_f32_e32 v5, v23, v5
	v_fma_f32 v6, v23, v4, -v6
	s_delay_alu instid0(VALU_DEP_1) | instskip(SKIP_1) | instid1(VALU_DEP_1)
	v_dual_fmac_f32 v5, v24, v4 :: v_dual_add_f32 v6, v2, v6
	v_add_f32_e32 v3, v7, v3
	v_add_f32_e32 v7, v3, v5
	ds_load_b128 v[2:5], v10 offset:128
	ds_load_2addr_b64 v[21:24], v19 offset1:32
	s_waitcnt lgkmcnt(0)
	v_mul_f32_e32 v25, v22, v3
	v_mul_f32_e32 v3, v21, v3
	s_delay_alu instid0(VALU_DEP_2) | instskip(NEXT) | instid1(VALU_DEP_2)
	v_fma_f32 v25, v21, v2, -v25
	v_fmac_f32_e32 v3, v22, v2
	s_delay_alu instid0(VALU_DEP_2) | instskip(SKIP_2) | instid1(VALU_DEP_4)
	v_add_f32_e32 v2, v6, v25
	v_mul_f32_e32 v6, v24, v5
	v_mul_f32_e32 v5, v23, v5
	v_add_f32_e32 v3, v7, v3
	s_delay_alu instid0(VALU_DEP_3) | instskip(NEXT) | instid1(VALU_DEP_1)
	v_fma_f32 v6, v23, v4, -v6
	v_dual_fmac_f32 v5, v24, v4 :: v_dual_add_f32 v6, v2, v6
	s_delay_alu instid0(VALU_DEP_1)
	v_add_f32_e32 v7, v3, v5
	ds_load_b128 v[2:5], v10 offset:144
	ds_load_2addr_b64 v[21:24], v19 offset0:64 offset1:96
	s_waitcnt lgkmcnt(0)
	v_mul_f32_e32 v25, v22, v3
	v_mul_f32_e32 v3, v21, v3
	s_delay_alu instid0(VALU_DEP_2) | instskip(NEXT) | instid1(VALU_DEP_2)
	v_fma_f32 v25, v21, v2, -v25
	v_fmac_f32_e32 v3, v22, v2
	s_delay_alu instid0(VALU_DEP_2) | instskip(SKIP_2) | instid1(VALU_DEP_4)
	v_add_f32_e32 v2, v6, v25
	v_mul_f32_e32 v6, v24, v5
	v_mul_f32_e32 v5, v23, v5
	v_add_f32_e32 v3, v7, v3
	s_delay_alu instid0(VALU_DEP_3) | instskip(NEXT) | instid1(VALU_DEP_1)
	v_fma_f32 v6, v23, v4, -v6
	v_dual_fmac_f32 v5, v24, v4 :: v_dual_add_f32 v6, v2, v6
	s_delay_alu instid0(VALU_DEP_1)
	v_add_f32_e32 v7, v3, v5
	ds_load_b128 v[2:5], v10 offset:160
	ds_load_2addr_b64 v[21:24], v19 offset0:128 offset1:160
	;; [unrolled: 18-line block ×3, first 2 shown]
	s_waitcnt lgkmcnt(0)
	v_mul_f32_e32 v25, v22, v3
	v_mul_f32_e32 v3, v21, v3
	s_delay_alu instid0(VALU_DEP_2) | instskip(NEXT) | instid1(VALU_DEP_2)
	v_fma_f32 v25, v21, v2, -v25
	v_fmac_f32_e32 v3, v22, v2
	s_delay_alu instid0(VALU_DEP_2) | instskip(SKIP_2) | instid1(VALU_DEP_4)
	v_add_f32_e32 v2, v6, v25
	v_mul_f32_e32 v6, v24, v5
	v_mul_f32_e32 v5, v23, v5
	v_add_f32_e32 v3, v7, v3
	s_delay_alu instid0(VALU_DEP_3) | instskip(NEXT) | instid1(VALU_DEP_1)
	v_fma_f32 v6, v23, v4, -v6
	v_dual_fmac_f32 v5, v24, v4 :: v_dual_add_f32 v6, v2, v6
	s_delay_alu instid0(VALU_DEP_1)
	v_add_f32_e32 v7, v3, v5
	ds_load_b128 v[2:5], v10 offset:192
	ds_load_2addr_b64 v[21:24], v20 offset1:32
	s_waitcnt lgkmcnt(0)
	v_mul_f32_e32 v25, v22, v3
	v_mul_f32_e32 v3, v21, v3
	s_delay_alu instid0(VALU_DEP_2) | instskip(NEXT) | instid1(VALU_DEP_2)
	v_fma_f32 v25, v21, v2, -v25
	v_fmac_f32_e32 v3, v22, v2
	s_delay_alu instid0(VALU_DEP_2) | instskip(SKIP_2) | instid1(VALU_DEP_4)
	v_add_f32_e32 v2, v6, v25
	v_mul_f32_e32 v6, v24, v5
	v_mul_f32_e32 v5, v23, v5
	v_add_f32_e32 v3, v7, v3
	s_delay_alu instid0(VALU_DEP_3) | instskip(NEXT) | instid1(VALU_DEP_1)
	v_fma_f32 v6, v23, v4, -v6
	v_dual_fmac_f32 v5, v24, v4 :: v_dual_add_f32 v6, v2, v6
	s_delay_alu instid0(VALU_DEP_1)
	v_add_f32_e32 v7, v3, v5
	ds_load_b128 v[2:5], v10 offset:208
	ds_load_2addr_b64 v[21:24], v20 offset0:64 offset1:96
	s_waitcnt lgkmcnt(0)
	v_mul_f32_e32 v25, v22, v3
	v_mul_f32_e32 v3, v21, v3
	s_delay_alu instid0(VALU_DEP_2) | instskip(NEXT) | instid1(VALU_DEP_2)
	v_fma_f32 v25, v21, v2, -v25
	v_fmac_f32_e32 v3, v22, v2
	s_delay_alu instid0(VALU_DEP_2) | instskip(SKIP_2) | instid1(VALU_DEP_4)
	v_add_f32_e32 v2, v6, v25
	v_mul_f32_e32 v6, v24, v5
	v_mul_f32_e32 v5, v23, v5
	v_add_f32_e32 v3, v7, v3
	s_delay_alu instid0(VALU_DEP_3) | instskip(NEXT) | instid1(VALU_DEP_1)
	v_fma_f32 v6, v23, v4, -v6
	v_dual_fmac_f32 v5, v24, v4 :: v_dual_add_f32 v6, v2, v6
	s_delay_alu instid0(VALU_DEP_1)
	v_add_f32_e32 v7, v3, v5
	ds_load_b128 v[2:5], v10 offset:224
	ds_load_2addr_b64 v[21:24], v20 offset0:128 offset1:160
	;; [unrolled: 18-line block ×3, first 2 shown]
	s_waitcnt lgkmcnt(0)
	v_mul_f32_e32 v25, v22, v3
	v_mul_f32_e32 v3, v21, v3
	s_delay_alu instid0(VALU_DEP_2) | instskip(NEXT) | instid1(VALU_DEP_2)
	v_fma_f32 v25, v21, v2, -v25
	v_fmac_f32_e32 v3, v22, v2
	s_delay_alu instid0(VALU_DEP_2) | instskip(SKIP_2) | instid1(VALU_DEP_4)
	v_add_f32_e32 v2, v6, v25
	v_mul_f32_e32 v6, v24, v5
	v_mul_f32_e32 v5, v23, v5
	v_add_f32_e32 v3, v7, v3
	s_delay_alu instid0(VALU_DEP_3) | instskip(NEXT) | instid1(VALU_DEP_1)
	v_fma_f32 v6, v23, v4, -v6
	v_dual_fmac_f32 v5, v24, v4 :: v_dual_add_f32 v4, v2, v6
	s_delay_alu instid0(VALU_DEP_1) | instskip(NEXT) | instid1(VALU_DEP_1)
	v_add_f32_e32 v5, v3, v5
	v_dual_mul_f32 v3, s9, v4 :: v_dual_mul_f32 v2, s9, v5
	s_delay_alu instid0(VALU_DEP_1) | instskip(NEXT) | instid1(VALU_DEP_2)
	v_fmac_f32_e32 v3, s8, v5
	v_fma_f32 v2, s8, v4, -v2
	global_load_b64 v[4:5], v[0:1], off
	s_waitcnt vmcnt(0)
	v_dual_add_f32 v2, v4, v2 :: v_dual_add_f32 v3, v5, v3
	global_store_b64 v[0:1], v[2:3], off
	s_branch .LBB230_4
.LBB230_11:
	s_endpgm
	.section	.rodata,"a",@progbits
	.p2align	6, 0x0
	.amdhsa_kernel _ZL26rocblas_syr2k_her2k_kernelIiLb0ELb0ELb1ELi32EPK19rocblas_complex_numIfES3_PS1_EvbiT_T4_T5_S5_lS7_S5_lT6_S5_li
		.amdhsa_group_segment_fixed_size 16384
		.amdhsa_private_segment_fixed_size 0
		.amdhsa_kernarg_size 100
		.amdhsa_user_sgpr_count 13
		.amdhsa_user_sgpr_dispatch_ptr 0
		.amdhsa_user_sgpr_queue_ptr 0
		.amdhsa_user_sgpr_kernarg_segment_ptr 1
		.amdhsa_user_sgpr_dispatch_id 0
		.amdhsa_user_sgpr_private_segment_size 0
		.amdhsa_wavefront_size32 1
		.amdhsa_uses_dynamic_stack 0
		.amdhsa_enable_private_segment 0
		.amdhsa_system_sgpr_workgroup_id_x 1
		.amdhsa_system_sgpr_workgroup_id_y 1
		.amdhsa_system_sgpr_workgroup_id_z 1
		.amdhsa_system_sgpr_workgroup_info 0
		.amdhsa_system_vgpr_workitem_id 1
		.amdhsa_next_free_vgpr 37
		.amdhsa_next_free_sgpr 24
		.amdhsa_reserve_vcc 1
		.amdhsa_float_round_mode_32 0
		.amdhsa_float_round_mode_16_64 0
		.amdhsa_float_denorm_mode_32 3
		.amdhsa_float_denorm_mode_16_64 3
		.amdhsa_dx10_clamp 1
		.amdhsa_ieee_mode 1
		.amdhsa_fp16_overflow 0
		.amdhsa_workgroup_processor_mode 1
		.amdhsa_memory_ordered 1
		.amdhsa_forward_progress 0
		.amdhsa_shared_vgpr_count 0
		.amdhsa_exception_fp_ieee_invalid_op 0
		.amdhsa_exception_fp_denorm_src 0
		.amdhsa_exception_fp_ieee_div_zero 0
		.amdhsa_exception_fp_ieee_overflow 0
		.amdhsa_exception_fp_ieee_underflow 0
		.amdhsa_exception_fp_ieee_inexact 0
		.amdhsa_exception_int_div_zero 0
	.end_amdhsa_kernel
	.section	.text._ZL26rocblas_syr2k_her2k_kernelIiLb0ELb0ELb1ELi32EPK19rocblas_complex_numIfES3_PS1_EvbiT_T4_T5_S5_lS7_S5_lT6_S5_li,"axG",@progbits,_ZL26rocblas_syr2k_her2k_kernelIiLb0ELb0ELb1ELi32EPK19rocblas_complex_numIfES3_PS1_EvbiT_T4_T5_S5_lS7_S5_lT6_S5_li,comdat
.Lfunc_end230:
	.size	_ZL26rocblas_syr2k_her2k_kernelIiLb0ELb0ELb1ELi32EPK19rocblas_complex_numIfES3_PS1_EvbiT_T4_T5_S5_lS7_S5_lT6_S5_li, .Lfunc_end230-_ZL26rocblas_syr2k_her2k_kernelIiLb0ELb0ELb1ELi32EPK19rocblas_complex_numIfES3_PS1_EvbiT_T4_T5_S5_lS7_S5_lT6_S5_li
                                        ; -- End function
	.section	.AMDGPU.csdata,"",@progbits
; Kernel info:
; codeLenInByte = 2304
; NumSgprs: 26
; NumVgprs: 37
; ScratchSize: 0
; MemoryBound: 0
; FloatMode: 240
; IeeeMode: 1
; LDSByteSize: 16384 bytes/workgroup (compile time only)
; SGPRBlocks: 3
; VGPRBlocks: 4
; NumSGPRsForWavesPerEU: 26
; NumVGPRsForWavesPerEU: 37
; Occupancy: 16
; WaveLimiterHint : 0
; COMPUTE_PGM_RSRC2:SCRATCH_EN: 0
; COMPUTE_PGM_RSRC2:USER_SGPR: 13
; COMPUTE_PGM_RSRC2:TRAP_HANDLER: 0
; COMPUTE_PGM_RSRC2:TGID_X_EN: 1
; COMPUTE_PGM_RSRC2:TGID_Y_EN: 1
; COMPUTE_PGM_RSRC2:TGID_Z_EN: 1
; COMPUTE_PGM_RSRC2:TIDIG_COMP_CNT: 1
	.section	.text._ZL26rocblas_syr2k_her2k_kernelIiLb0ELb0ELb0ELi32E19rocblas_complex_numIdEPKS1_PS1_EvbiT_T4_T5_S5_lS7_S5_lT6_S5_li,"axG",@progbits,_ZL26rocblas_syr2k_her2k_kernelIiLb0ELb0ELb0ELi32E19rocblas_complex_numIdEPKS1_PS1_EvbiT_T4_T5_S5_lS7_S5_lT6_S5_li,comdat
	.globl	_ZL26rocblas_syr2k_her2k_kernelIiLb0ELb0ELb0ELi32E19rocblas_complex_numIdEPKS1_PS1_EvbiT_T4_T5_S5_lS7_S5_lT6_S5_li ; -- Begin function _ZL26rocblas_syr2k_her2k_kernelIiLb0ELb0ELb0ELi32E19rocblas_complex_numIdEPKS1_PS1_EvbiT_T4_T5_S5_lS7_S5_lT6_S5_li
	.p2align	8
	.type	_ZL26rocblas_syr2k_her2k_kernelIiLb0ELb0ELb0ELi32E19rocblas_complex_numIdEPKS1_PS1_EvbiT_T4_T5_S5_lS7_S5_lT6_S5_li,@function
_ZL26rocblas_syr2k_her2k_kernelIiLb0ELb0ELb0ELi32E19rocblas_complex_numIdEPKS1_PS1_EvbiT_T4_T5_S5_lS7_S5_lT6_S5_li: ; @_ZL26rocblas_syr2k_her2k_kernelIiLb0ELb0ELb0ELi32E19rocblas_complex_numIdEPKS1_PS1_EvbiT_T4_T5_S5_lS7_S5_lT6_S5_li
; %bb.0:
	s_load_b128 s[4:7], s[0:1], 0x10
	s_waitcnt lgkmcnt(0)
	v_cmp_eq_f64_e64 s2, s[4:5], 0
	v_cmp_eq_f64_e64 s3, s[6:7], 0
	s_delay_alu instid0(VALU_DEP_1) | instskip(NEXT) | instid1(SALU_CYCLE_1)
	s_and_b32 s2, s2, s3
	s_and_b32 vcc_lo, exec_lo, s2
	s_cbranch_vccnz .LBB231_11
; %bb.1:
	s_load_b128 s[8:11], s[0:1], 0x0
	s_lshl_b32 s2, s14, 5
	s_lshl_b32 s3, s13, 5
	s_waitcnt lgkmcnt(0)
	s_and_b32 s8, 1, s8
	s_delay_alu instid0(SALU_CYCLE_1) | instskip(SKIP_1) | instid1(SALU_CYCLE_1)
	s_cmp_eq_u32 s8, 1
	s_cselect_b32 vcc_lo, -1, 0
	s_and_b32 s8, vcc_lo, exec_lo
	s_cselect_b32 s8, s3, s2
	s_cselect_b32 s11, s2, s3
	s_delay_alu instid0(SALU_CYCLE_1)
	s_cmp_gt_i32 s8, s11
	s_cbranch_scc1 .LBB231_11
; %bb.2:
	s_cmp_lt_i32 s10, 1
	s_cbranch_scc1 .LBB231_11
; %bb.3:
	s_clause 0x1
	s_load_b128 s[20:23], s[0:1], 0x30
	s_load_b128 s[16:19], s[0:1], 0x48
	v_bfe_u32 v10, v0, 10, 10
	v_and_b32_e32 v11, 0x3ff, v0
	s_clause 0x1
	s_load_b64 s[12:13], s[0:1], 0x60
	s_load_b64 s[24:25], s[0:1], 0x20
	v_add_nc_u32_e32 v0, s2, v10
	v_add_nc_u32_e32 v1, s3, v11
	s_clause 0x2
	s_load_b32 s3, s[0:1], 0x28
	s_load_b32 s8, s[0:1], 0x40
	;; [unrolled: 1-line block ×3, first 2 shown]
	v_dual_cndmask_b32 v9, v1, v0 :: v_dual_lshlrev_b32 v8, 4, v10
	v_ashrrev_i32_e32 v2, 31, v1
	v_cndmask_b32_e32 v20, v0, v1, vcc_lo
	v_cmp_gt_i32_e32 vcc_lo, s9, v1
	v_lshlrev_b32_e32 v12, 9, v11
	v_or_b32_e32 v16, 0x4000, v8
	v_lshlrev_b64 v[2:3], 4, v[1:2]
	s_waitcnt lgkmcnt(0)
	s_mul_i32 s1, s15, s21
	s_mul_hi_u32 s11, s15, s20
	s_mul_i32 s0, s15, s20
	s_add_i32 s1, s11, s1
	s_mul_i32 s14, s15, s17
	s_lshl_b64 s[0:1], s[0:1], 4
	s_mul_hi_u32 s17, s15, s16
	s_add_u32 s20, s24, s0
	s_mul_i32 s16, s15, s16
	s_addc_u32 s21, s25, s1
	s_add_i32 s17, s17, s14
	s_mul_i32 s11, s15, s13
	s_lshl_b64 s[0:1], s[16:17], 4
	s_mul_hi_u32 s13, s15, s12
	s_add_u32 s14, s22, s0
	v_mad_i64_i32 v[4:5], null, s2, v0, 0
	s_mul_i32 s12, s15, s12
	s_addc_u32 s15, s23, s1
	s_add_i32 s13, s13, s11
	v_ashrrev_i32_e32 v1, 31, v0
	s_lshl_b64 s[0:1], s[12:13], 4
	v_add_nc_u32_e32 v15, v12, v8
	s_add_u32 s11, s18, s0
	v_add_co_u32 v13, s0, s20, v2
	s_delay_alu instid0(VALU_DEP_1)
	v_add_co_ci_u32_e64 v14, s0, s21, v3, s0
	v_lshlrev_b64 v[6:7], 4, v[0:1]
	v_cmp_gt_i32_e64 s0, s9, v0
	v_lshlrev_b64 v[0:1], 4, v[4:5]
	s_addc_u32 s12, s19, s1
	v_add_nc_u32_e32 v19, v16, v12
	s_delay_alu instid0(VALU_DEP_4) | instskip(NEXT) | instid1(VALU_DEP_3)
	v_add_co_u32 v17, s1, s14, v6
	v_add_co_u32 v0, s2, s11, v0
	s_delay_alu instid0(VALU_DEP_1) | instskip(SKIP_2) | instid1(VALU_DEP_4)
	v_add_co_ci_u32_e64 v1, s2, s12, v1, s2
	v_add_co_ci_u32_e64 v18, s1, s15, v7, s1
	v_cmp_le_i32_e64 s1, v20, v9
	v_add_co_u32 v8, s2, v0, v2
	s_delay_alu instid0(VALU_DEP_1)
	v_add_co_ci_u32_e64 v9, s2, v1, v3, s2
	s_and_b32 s9, s0, vcc_lo
	s_delay_alu instid0(VALU_DEP_3) | instid1(SALU_CYCLE_1)
	s_and_b32 s2, s9, s1
	s_mov_b32 s9, 0
	s_branch .LBB231_5
.LBB231_4:                              ;   in Loop: Header=BB231_5 Depth=1
	s_or_b32 exec_lo, exec_lo, s1
	s_add_i32 s9, s9, 32
	s_waitcnt_vscnt null, 0x0
	s_cmp_lt_i32 s9, s10
	s_barrier
	buffer_gl0_inv
	s_cbranch_scc0 .LBB231_11
.LBB231_5:                              ; =>This Inner Loop Header: Depth=1
	v_add_nc_u32_e32 v2, s9, v10
	v_mov_b32_e32 v0, 0
	v_mov_b32_e32 v1, 0
	s_delay_alu instid0(VALU_DEP_3) | instskip(NEXT) | instid1(VALU_DEP_2)
	v_cmp_gt_i32_e64 s1, s10, v2
	v_dual_mov_b32 v5, v1 :: v_dual_mov_b32 v4, v0
	v_dual_mov_b32 v7, v1 :: v_dual_mov_b32 v6, v0
	s_delay_alu instid0(VALU_DEP_3) | instskip(NEXT) | instid1(SALU_CYCLE_1)
	s_and_b32 s1, vcc_lo, s1
	s_and_saveexec_b32 s11, s1
	s_cbranch_execz .LBB231_7
; %bb.6:                                ;   in Loop: Header=BB231_5 Depth=1
	v_mad_i64_i32 v[3:4], null, v2, s3, 0
	s_delay_alu instid0(VALU_DEP_1) | instskip(NEXT) | instid1(VALU_DEP_1)
	v_lshlrev_b64 v[2:3], 4, v[3:4]
	v_add_co_u32 v2, s1, v13, v2
	s_delay_alu instid0(VALU_DEP_1)
	v_add_co_ci_u32_e64 v3, s1, v14, v3, s1
	global_load_b128 v[4:7], v[2:3], off
.LBB231_7:                              ;   in Loop: Header=BB231_5 Depth=1
	s_or_b32 exec_lo, exec_lo, s11
	v_dual_mov_b32 v3, v1 :: v_dual_add_nc_u32 v20, s9, v11
	v_mov_b32_e32 v2, v0
	s_waitcnt vmcnt(0)
	ds_store_b128 v15, v[4:7]
	v_cmp_gt_i32_e64 s1, s10, v20
	s_delay_alu instid0(VALU_DEP_1) | instskip(NEXT) | instid1(SALU_CYCLE_1)
	s_and_b32 s1, s0, s1
	s_and_saveexec_b32 s11, s1
	s_cbranch_execz .LBB231_9
; %bb.8:                                ;   in Loop: Header=BB231_5 Depth=1
	v_mad_i64_i32 v[0:1], null, v20, s8, 0
	s_delay_alu instid0(VALU_DEP_1) | instskip(NEXT) | instid1(VALU_DEP_1)
	v_lshlrev_b64 v[0:1], 4, v[0:1]
	v_add_co_u32 v0, s1, v17, v0
	s_delay_alu instid0(VALU_DEP_1)
	v_add_co_ci_u32_e64 v1, s1, v18, v1, s1
	global_load_b128 v[0:3], v[0:1], off
.LBB231_9:                              ;   in Loop: Header=BB231_5 Depth=1
	s_or_b32 exec_lo, exec_lo, s11
	s_waitcnt vmcnt(0)
	ds_store_b128 v19, v[0:3]
	s_waitcnt lgkmcnt(0)
	s_barrier
	buffer_gl0_inv
	s_and_saveexec_b32 s1, s2
	s_cbranch_execz .LBB231_4
; %bb.10:                               ;   in Loop: Header=BB231_5 Depth=1
	ds_load_b128 v[0:3], v16
	ds_load_b128 v[4:7], v12
	ds_load_b128 v[20:23], v12 offset:16
	ds_load_b128 v[24:27], v16 offset:512
	s_waitcnt lgkmcnt(2)
	v_mul_f64 v[28:29], v[0:1], v[6:7]
	v_mul_f64 v[6:7], v[2:3], v[6:7]
	s_waitcnt lgkmcnt(0)
	v_mul_f64 v[36:37], v[26:27], v[22:23]
	v_mul_f64 v[22:23], v[24:25], v[22:23]
	s_delay_alu instid0(VALU_DEP_4) | instskip(NEXT) | instid1(VALU_DEP_4)
	v_fma_f64 v[38:39], v[2:3], v[4:5], v[28:29]
	v_fma_f64 v[40:41], v[0:1], v[4:5], -v[6:7]
	ds_load_b128 v[0:3], v16 offset:1024
	ds_load_b128 v[4:7], v12 offset:32
	;; [unrolled: 1-line block ×4, first 2 shown]
	v_fma_f64 v[24:25], v[24:25], v[20:21], -v[36:37]
	v_fma_f64 v[20:21], v[26:27], v[20:21], v[22:23]
	s_waitcnt lgkmcnt(2)
	v_mul_f64 v[42:43], v[2:3], v[6:7]
	v_mul_f64 v[6:7], v[0:1], v[6:7]
	s_waitcnt lgkmcnt(0)
	v_mul_f64 v[36:37], v[34:35], v[30:31]
	v_mul_f64 v[30:31], v[32:33], v[30:31]
	v_add_f64 v[22:23], v[38:39], 0
	v_add_f64 v[26:27], v[40:41], 0
	v_fma_f64 v[38:39], v[0:1], v[4:5], -v[42:43]
	v_fma_f64 v[40:41], v[2:3], v[4:5], v[6:7]
	v_fma_f64 v[32:33], v[32:33], v[28:29], -v[36:37]
	v_fma_f64 v[28:29], v[34:35], v[28:29], v[30:31]
	v_add_f64 v[42:43], v[22:23], v[20:21]
	v_add_f64 v[44:45], v[26:27], v[24:25]
	ds_load_b128 v[0:3], v12 offset:64
	ds_load_b128 v[4:7], v16 offset:2048
	ds_load_b128 v[20:23], v16 offset:2560
	ds_load_b128 v[24:27], v12 offset:80
	s_waitcnt lgkmcnt(2)
	v_mul_f64 v[46:47], v[6:7], v[2:3]
	v_mul_f64 v[2:3], v[4:5], v[2:3]
	s_waitcnt lgkmcnt(0)
	v_mul_f64 v[36:37], v[22:23], v[26:27]
	v_add_f64 v[30:31], v[42:43], v[40:41]
	v_add_f64 v[34:35], v[44:45], v[38:39]
	v_mul_f64 v[38:39], v[20:21], v[26:27]
	v_fma_f64 v[40:41], v[4:5], v[0:1], -v[46:47]
	v_fma_f64 v[42:43], v[6:7], v[0:1], v[2:3]
	v_fma_f64 v[20:21], v[20:21], v[24:25], -v[36:37]
	v_add_f64 v[44:45], v[30:31], v[28:29]
	v_add_f64 v[34:35], v[34:35], v[32:33]
	ds_load_b128 v[0:3], v12 offset:96
	ds_load_b128 v[4:7], v16 offset:3072
	ds_load_b128 v[26:29], v16 offset:3584
	ds_load_b128 v[30:33], v12 offset:112
	v_fma_f64 v[22:23], v[22:23], v[24:25], v[38:39]
	s_waitcnt lgkmcnt(2)
	v_mul_f64 v[46:47], v[6:7], v[2:3]
	v_mul_f64 v[2:3], v[4:5], v[2:3]
	s_waitcnt lgkmcnt(0)
	v_mul_f64 v[36:37], v[28:29], v[32:33]
	v_mul_f64 v[38:39], v[26:27], v[32:33]
	v_add_f64 v[24:25], v[44:45], v[42:43]
	v_add_f64 v[34:35], v[34:35], v[40:41]
	v_fma_f64 v[40:41], v[4:5], v[0:1], -v[46:47]
	v_fma_f64 v[42:43], v[6:7], v[0:1], v[2:3]
	v_fma_f64 v[26:27], v[26:27], v[30:31], -v[36:37]
	v_fma_f64 v[28:29], v[28:29], v[30:31], v[38:39]
	v_add_f64 v[24:25], v[24:25], v[22:23]
	v_add_f64 v[44:45], v[34:35], v[20:21]
	ds_load_b128 v[0:3], v12 offset:128
	ds_load_b128 v[4:7], v16 offset:4096
	ds_load_b128 v[20:23], v16 offset:4608
	ds_load_b128 v[32:35], v12 offset:144
	s_waitcnt lgkmcnt(2)
	v_mul_f64 v[46:47], v[6:7], v[2:3]
	v_mul_f64 v[2:3], v[4:5], v[2:3]
	s_waitcnt lgkmcnt(0)
	v_mul_f64 v[36:37], v[22:23], v[34:35]
	v_mul_f64 v[34:35], v[20:21], v[34:35]
	v_add_f64 v[24:25], v[24:25], v[42:43]
	v_add_f64 v[30:31], v[44:45], v[40:41]
	v_fma_f64 v[38:39], v[4:5], v[0:1], -v[46:47]
	v_fma_f64 v[40:41], v[6:7], v[0:1], v[2:3]
	v_fma_f64 v[20:21], v[20:21], v[32:33], -v[36:37]
	v_fma_f64 v[22:23], v[22:23], v[32:33], v[34:35]
	v_add_f64 v[42:43], v[24:25], v[28:29]
	v_add_f64 v[44:45], v[30:31], v[26:27]
	ds_load_b128 v[0:3], v12 offset:160
	ds_load_b128 v[4:7], v16 offset:5120
	ds_load_b128 v[24:27], v16 offset:5632
	ds_load_b128 v[28:31], v12 offset:176
	s_waitcnt lgkmcnt(2)
	v_mul_f64 v[46:47], v[6:7], v[2:3]
	v_mul_f64 v[2:3], v[4:5], v[2:3]
	s_waitcnt lgkmcnt(0)
	v_mul_f64 v[36:37], v[26:27], v[30:31]
	v_add_f64 v[32:33], v[42:43], v[40:41]
	v_add_f64 v[34:35], v[44:45], v[38:39]
	v_mul_f64 v[38:39], v[24:25], v[30:31]
	v_fma_f64 v[40:41], v[4:5], v[0:1], -v[46:47]
	v_fma_f64 v[42:43], v[6:7], v[0:1], v[2:3]
	v_fma_f64 v[24:25], v[24:25], v[28:29], -v[36:37]
	v_add_f64 v[44:45], v[32:33], v[22:23]
	v_add_f64 v[34:35], v[34:35], v[20:21]
	ds_load_b128 v[0:3], v12 offset:192
	ds_load_b128 v[4:7], v16 offset:6144
	ds_load_b128 v[20:23], v16 offset:6656
	ds_load_b128 v[30:33], v12 offset:208
	v_fma_f64 v[26:27], v[26:27], v[28:29], v[38:39]
	s_waitcnt lgkmcnt(2)
	v_mul_f64 v[46:47], v[6:7], v[2:3]
	v_mul_f64 v[2:3], v[4:5], v[2:3]
	s_waitcnt lgkmcnt(0)
	v_mul_f64 v[36:37], v[22:23], v[32:33]
	v_mul_f64 v[38:39], v[20:21], v[32:33]
	v_add_f64 v[28:29], v[44:45], v[42:43]
	v_add_f64 v[34:35], v[34:35], v[40:41]
	v_fma_f64 v[40:41], v[4:5], v[0:1], -v[46:47]
	v_fma_f64 v[42:43], v[6:7], v[0:1], v[2:3]
	v_fma_f64 v[20:21], v[20:21], v[30:31], -v[36:37]
	v_fma_f64 v[22:23], v[22:23], v[30:31], v[38:39]
	v_add_f64 v[28:29], v[28:29], v[26:27]
	v_add_f64 v[44:45], v[34:35], v[24:25]
	ds_load_b128 v[0:3], v12 offset:224
	ds_load_b128 v[4:7], v16 offset:7168
	ds_load_b128 v[24:27], v16 offset:7680
	ds_load_b128 v[32:35], v12 offset:240
	;; [unrolled: 54-line block ×4, first 2 shown]
	s_waitcnt lgkmcnt(2)
	v_mul_f64 v[46:47], v[6:7], v[2:3]
	v_mul_f64 v[2:3], v[4:5], v[2:3]
	s_waitcnt lgkmcnt(0)
	v_mul_f64 v[38:39], v[26:27], v[34:35]
	v_add_f64 v[28:29], v[28:29], v[42:43]
	v_add_f64 v[30:31], v[44:45], v[40:41]
	v_mul_f64 v[40:41], v[24:25], v[34:35]
	v_fma_f64 v[42:43], v[4:5], v[0:1], -v[46:47]
	v_fma_f64 v[44:45], v[6:7], v[0:1], v[2:3]
	ds_load_b128 v[0:3], v12 offset:448
	ds_load_b128 v[4:7], v16 offset:14336
	v_fma_f64 v[24:25], v[24:25], v[32:33], -v[38:39]
	v_add_f64 v[46:47], v[28:29], v[22:23]
	v_add_f64 v[48:49], v[30:31], v[20:21]
	global_load_b128 v[20:23], v[8:9], off
	v_fma_f64 v[26:27], v[26:27], v[32:33], v[40:41]
	s_waitcnt lgkmcnt(0)
	v_mul_f64 v[50:51], v[6:7], v[2:3]
	v_mul_f64 v[2:3], v[4:5], v[2:3]
	ds_load_b128 v[28:31], v16 offset:14848
	ds_load_b128 v[34:37], v12 offset:464
	s_waitcnt lgkmcnt(0)
	v_mul_f64 v[40:41], v[30:31], v[36:37]
	v_add_f64 v[32:33], v[46:47], v[44:45]
	v_add_f64 v[38:39], v[48:49], v[42:43]
	v_mul_f64 v[42:43], v[28:29], v[36:37]
	v_fma_f64 v[44:45], v[4:5], v[0:1], -v[50:51]
	v_fma_f64 v[46:47], v[6:7], v[0:1], v[2:3]
	v_fma_f64 v[28:29], v[28:29], v[34:35], -v[40:41]
	v_add_f64 v[32:33], v[32:33], v[26:27]
	v_add_f64 v[48:49], v[38:39], v[24:25]
	ds_load_b128 v[0:3], v12 offset:480
	ds_load_b128 v[4:7], v16 offset:15360
	;; [unrolled: 1-line block ×4, first 2 shown]
	v_fma_f64 v[30:31], v[30:31], v[34:35], v[42:43]
	s_waitcnt lgkmcnt(2)
	v_mul_f64 v[50:51], v[6:7], v[2:3]
	v_mul_f64 v[2:3], v[4:5], v[2:3]
	s_waitcnt lgkmcnt(0)
	v_mul_f64 v[40:41], v[26:27], v[38:39]
	v_mul_f64 v[38:39], v[24:25], v[38:39]
	v_add_f64 v[32:33], v[32:33], v[46:47]
	v_add_f64 v[34:35], v[48:49], v[44:45]
	v_fma_f64 v[4:5], v[4:5], v[0:1], -v[50:51]
	v_fma_f64 v[0:1], v[6:7], v[0:1], v[2:3]
	v_fma_f64 v[24:25], v[24:25], v[36:37], -v[40:41]
	v_fma_f64 v[26:27], v[26:27], v[36:37], v[38:39]
	v_add_f64 v[2:3], v[32:33], v[30:31]
	v_add_f64 v[6:7], v[34:35], v[28:29]
	s_delay_alu instid0(VALU_DEP_2) | instskip(NEXT) | instid1(VALU_DEP_2)
	v_add_f64 v[0:1], v[2:3], v[0:1]
	v_add_f64 v[2:3], v[6:7], v[4:5]
	s_delay_alu instid0(VALU_DEP_2) | instskip(NEXT) | instid1(VALU_DEP_2)
	;; [unrolled: 3-line block ×3, first 2 shown]
	v_mul_f64 v[4:5], s[6:7], v[0:1]
	v_mul_f64 v[6:7], s[6:7], v[2:3]
	s_delay_alu instid0(VALU_DEP_2) | instskip(NEXT) | instid1(VALU_DEP_2)
	v_fma_f64 v[2:3], s[4:5], v[2:3], -v[4:5]
	v_fma_f64 v[4:5], s[4:5], v[0:1], v[6:7]
	s_waitcnt vmcnt(0)
	s_delay_alu instid0(VALU_DEP_2) | instskip(NEXT) | instid1(VALU_DEP_2)
	v_add_f64 v[0:1], v[20:21], v[2:3]
	v_add_f64 v[2:3], v[22:23], v[4:5]
	global_store_b128 v[8:9], v[0:3], off
	s_branch .LBB231_4
.LBB231_11:
	s_endpgm
	.section	.rodata,"a",@progbits
	.p2align	6, 0x0
	.amdhsa_kernel _ZL26rocblas_syr2k_her2k_kernelIiLb0ELb0ELb0ELi32E19rocblas_complex_numIdEPKS1_PS1_EvbiT_T4_T5_S5_lS7_S5_lT6_S5_li
		.amdhsa_group_segment_fixed_size 32768
		.amdhsa_private_segment_fixed_size 0
		.amdhsa_kernarg_size 108
		.amdhsa_user_sgpr_count 13
		.amdhsa_user_sgpr_dispatch_ptr 0
		.amdhsa_user_sgpr_queue_ptr 0
		.amdhsa_user_sgpr_kernarg_segment_ptr 1
		.amdhsa_user_sgpr_dispatch_id 0
		.amdhsa_user_sgpr_private_segment_size 0
		.amdhsa_wavefront_size32 1
		.amdhsa_uses_dynamic_stack 0
		.amdhsa_enable_private_segment 0
		.amdhsa_system_sgpr_workgroup_id_x 1
		.amdhsa_system_sgpr_workgroup_id_y 1
		.amdhsa_system_sgpr_workgroup_id_z 1
		.amdhsa_system_sgpr_workgroup_info 0
		.amdhsa_system_vgpr_workitem_id 1
		.amdhsa_next_free_vgpr 52
		.amdhsa_next_free_sgpr 26
		.amdhsa_reserve_vcc 1
		.amdhsa_float_round_mode_32 0
		.amdhsa_float_round_mode_16_64 0
		.amdhsa_float_denorm_mode_32 3
		.amdhsa_float_denorm_mode_16_64 3
		.amdhsa_dx10_clamp 1
		.amdhsa_ieee_mode 1
		.amdhsa_fp16_overflow 0
		.amdhsa_workgroup_processor_mode 1
		.amdhsa_memory_ordered 1
		.amdhsa_forward_progress 0
		.amdhsa_shared_vgpr_count 0
		.amdhsa_exception_fp_ieee_invalid_op 0
		.amdhsa_exception_fp_denorm_src 0
		.amdhsa_exception_fp_ieee_div_zero 0
		.amdhsa_exception_fp_ieee_overflow 0
		.amdhsa_exception_fp_ieee_underflow 0
		.amdhsa_exception_fp_ieee_inexact 0
		.amdhsa_exception_int_div_zero 0
	.end_amdhsa_kernel
	.section	.text._ZL26rocblas_syr2k_her2k_kernelIiLb0ELb0ELb0ELi32E19rocblas_complex_numIdEPKS1_PS1_EvbiT_T4_T5_S5_lS7_S5_lT6_S5_li,"axG",@progbits,_ZL26rocblas_syr2k_her2k_kernelIiLb0ELb0ELb0ELi32E19rocblas_complex_numIdEPKS1_PS1_EvbiT_T4_T5_S5_lS7_S5_lT6_S5_li,comdat
.Lfunc_end231:
	.size	_ZL26rocblas_syr2k_her2k_kernelIiLb0ELb0ELb0ELi32E19rocblas_complex_numIdEPKS1_PS1_EvbiT_T4_T5_S5_lS7_S5_lT6_S5_li, .Lfunc_end231-_ZL26rocblas_syr2k_her2k_kernelIiLb0ELb0ELb0ELi32E19rocblas_complex_numIdEPKS1_PS1_EvbiT_T4_T5_S5_lS7_S5_lT6_S5_li
                                        ; -- End function
	.section	.AMDGPU.csdata,"",@progbits
; Kernel info:
; codeLenInByte = 3036
; NumSgprs: 28
; NumVgprs: 52
; ScratchSize: 0
; MemoryBound: 1
; FloatMode: 240
; IeeeMode: 1
; LDSByteSize: 32768 bytes/workgroup (compile time only)
; SGPRBlocks: 3
; VGPRBlocks: 6
; NumSGPRsForWavesPerEU: 28
; NumVGPRsForWavesPerEU: 52
; Occupancy: 16
; WaveLimiterHint : 0
; COMPUTE_PGM_RSRC2:SCRATCH_EN: 0
; COMPUTE_PGM_RSRC2:USER_SGPR: 13
; COMPUTE_PGM_RSRC2:TRAP_HANDLER: 0
; COMPUTE_PGM_RSRC2:TGID_X_EN: 1
; COMPUTE_PGM_RSRC2:TGID_Y_EN: 1
; COMPUTE_PGM_RSRC2:TGID_Z_EN: 1
; COMPUTE_PGM_RSRC2:TIDIG_COMP_CNT: 1
	.section	.text._ZL26rocblas_syr2k_her2k_kernelIiLb0ELb0ELb1ELi32E19rocblas_complex_numIdEPKS1_PS1_EvbiT_T4_T5_S5_lS7_S5_lT6_S5_li,"axG",@progbits,_ZL26rocblas_syr2k_her2k_kernelIiLb0ELb0ELb1ELi32E19rocblas_complex_numIdEPKS1_PS1_EvbiT_T4_T5_S5_lS7_S5_lT6_S5_li,comdat
	.globl	_ZL26rocblas_syr2k_her2k_kernelIiLb0ELb0ELb1ELi32E19rocblas_complex_numIdEPKS1_PS1_EvbiT_T4_T5_S5_lS7_S5_lT6_S5_li ; -- Begin function _ZL26rocblas_syr2k_her2k_kernelIiLb0ELb0ELb1ELi32E19rocblas_complex_numIdEPKS1_PS1_EvbiT_T4_T5_S5_lS7_S5_lT6_S5_li
	.p2align	8
	.type	_ZL26rocblas_syr2k_her2k_kernelIiLb0ELb0ELb1ELi32E19rocblas_complex_numIdEPKS1_PS1_EvbiT_T4_T5_S5_lS7_S5_lT6_S5_li,@function
_ZL26rocblas_syr2k_her2k_kernelIiLb0ELb0ELb1ELi32E19rocblas_complex_numIdEPKS1_PS1_EvbiT_T4_T5_S5_lS7_S5_lT6_S5_li: ; @_ZL26rocblas_syr2k_her2k_kernelIiLb0ELb0ELb1ELi32E19rocblas_complex_numIdEPKS1_PS1_EvbiT_T4_T5_S5_lS7_S5_lT6_S5_li
; %bb.0:
	s_load_b128 s[4:7], s[0:1], 0x10
	s_waitcnt lgkmcnt(0)
	v_cmp_eq_f64_e64 s2, s[4:5], 0
	v_cmp_eq_f64_e64 s3, s[6:7], 0
	s_delay_alu instid0(VALU_DEP_1) | instskip(NEXT) | instid1(SALU_CYCLE_1)
	s_and_b32 s2, s2, s3
	s_and_b32 vcc_lo, exec_lo, s2
	s_cbranch_vccnz .LBB232_11
; %bb.1:
	s_load_b128 s[8:11], s[0:1], 0x0
	s_lshl_b32 s2, s14, 5
	s_lshl_b32 s3, s13, 5
	s_waitcnt lgkmcnt(0)
	s_and_b32 s8, 1, s8
	s_delay_alu instid0(SALU_CYCLE_1) | instskip(SKIP_1) | instid1(SALU_CYCLE_1)
	s_cmp_eq_u32 s8, 1
	s_cselect_b32 vcc_lo, -1, 0
	s_and_b32 s8, vcc_lo, exec_lo
	s_cselect_b32 s8, s3, s2
	s_cselect_b32 s11, s2, s3
	s_delay_alu instid0(SALU_CYCLE_1)
	s_cmp_gt_i32 s8, s11
	s_cbranch_scc1 .LBB232_11
; %bb.2:
	s_cmp_lt_i32 s10, 1
	s_cbranch_scc1 .LBB232_11
; %bb.3:
	s_clause 0x6
	s_load_b128 s[20:23], s[0:1], 0x30
	s_load_b128 s[16:19], s[0:1], 0x48
	s_load_b32 s8, s[0:1], 0x28
	s_load_b32 s11, s[0:1], 0x40
	;; [unrolled: 1-line block ×3, first 2 shown]
	s_load_b64 s[12:13], s[0:1], 0x60
	s_load_b64 s[24:25], s[0:1], 0x20
	v_and_b32_e32 v13, 0x3ff, v0
	v_bfe_u32 v12, v0, 10, 10
	s_delay_alu instid0(VALU_DEP_2) | instskip(NEXT) | instid1(VALU_DEP_2)
	v_add_nc_u32_e32 v0, s3, v13
	v_add_nc_u32_e32 v8, s2, v12
	v_lshlrev_b32_e32 v11, 4, v12
	v_lshlrev_b32_e32 v14, 9, v13
	s_delay_alu instid0(VALU_DEP_4) | instskip(NEXT) | instid1(VALU_DEP_4)
	v_ashrrev_i32_e32 v1, 31, v0
	v_cndmask_b32_e32 v9, v0, v8, vcc_lo
	s_delay_alu instid0(VALU_DEP_3)
	v_dual_cndmask_b32 v10, v8, v0 :: v_dual_add_nc_u32 v17, v14, v11
	v_cmp_gt_i32_e32 vcc_lo, s9, v0
	s_waitcnt lgkmcnt(0)
	s_mul_i32 s1, s15, s21
	s_mul_hi_u32 s3, s15, s20
	s_mul_i32 s0, s15, s20
	s_add_i32 s1, s3, s1
	v_mad_i64_i32 v[2:3], null, s8, v0, 0
	s_lshl_b64 s[0:1], s[0:1], 4
	s_mul_i32 s17, s15, s17
	s_mul_hi_u32 s20, s15, s16
	s_add_u32 s21, s24, s0
	s_mul_i32 s2, s15, s16
	s_addc_u32 s24, s25, s1
	s_add_i32 s3, s20, s17
	s_mul_i32 s13, s15, s13
	s_lshl_b64 s[2:3], s[2:3], 4
	s_mul_hi_u32 s16, s15, s12
	v_lshlrev_b64 v[2:3], 4, v[2:3]
	v_mad_i64_i32 v[4:5], null, s11, v8, 0
	v_mad_i64_i32 v[6:7], null, s14, v8, 0
	s_add_u32 s2, s22, s2
	s_mul_i32 s0, s15, s12
	s_addc_u32 s3, s23, s3
	s_add_i32 s1, s16, s13
	v_lshlrev_b64 v[0:1], 4, v[0:1]
	s_lshl_b64 s[0:1], s[0:1], 4
	v_or_b32_e32 v18, 0x4000, v11
	s_add_u32 s8, s18, s0
	v_add_co_u32 v15, s0, s21, v2
	s_delay_alu instid0(VALU_DEP_1)
	v_add_co_ci_u32_e64 v16, s0, s24, v3, s0
	v_lshlrev_b64 v[2:3], 4, v[4:5]
	v_lshlrev_b64 v[4:5], 4, v[6:7]
	s_addc_u32 s12, s19, s1
	v_cmp_gt_i32_e64 s0, s9, v8
	v_add_nc_u32_e32 v21, v18, v14
	s_delay_alu instid0(VALU_DEP_4) | instskip(NEXT) | instid1(VALU_DEP_4)
	v_add_co_u32 v19, s1, s2, v2
	v_add_co_u32 v2, s2, s8, v4
	v_add_co_ci_u32_e64 v20, s1, s3, v3, s1
	v_add_co_ci_u32_e64 v3, s2, s12, v5, s2
	v_cmp_le_i32_e64 s1, v10, v9
	s_delay_alu instid0(VALU_DEP_4) | instskip(NEXT) | instid1(VALU_DEP_1)
	v_add_co_u32 v8, s2, v2, v0
	v_add_co_ci_u32_e64 v9, s2, v3, v1, s2
	s_and_b32 s3, s0, vcc_lo
	s_delay_alu instid0(VALU_DEP_3) | instid1(SALU_CYCLE_1)
	s_and_b32 s2, s3, s1
	s_mov_b32 s3, 0
	s_branch .LBB232_5
.LBB232_4:                              ;   in Loop: Header=BB232_5 Depth=1
	s_or_b32 exec_lo, exec_lo, s1
	s_add_i32 s3, s3, 32
	s_waitcnt_vscnt null, 0x0
	s_cmp_lt_i32 s3, s10
	s_barrier
	buffer_gl0_inv
	s_cbranch_scc0 .LBB232_11
.LBB232_5:                              ; =>This Inner Loop Header: Depth=1
	v_add_nc_u32_e32 v2, s3, v12
	v_mov_b32_e32 v0, 0
	v_mov_b32_e32 v1, 0
	s_delay_alu instid0(VALU_DEP_3) | instskip(NEXT) | instid1(VALU_DEP_2)
	v_cmp_gt_i32_e64 s1, s10, v2
	v_dual_mov_b32 v5, v1 :: v_dual_mov_b32 v4, v0
	v_dual_mov_b32 v7, v1 :: v_dual_mov_b32 v6, v0
	s_delay_alu instid0(VALU_DEP_3) | instskip(NEXT) | instid1(SALU_CYCLE_1)
	s_and_b32 s1, vcc_lo, s1
	s_and_saveexec_b32 s8, s1
	s_cbranch_execz .LBB232_7
; %bb.6:                                ;   in Loop: Header=BB232_5 Depth=1
	v_ashrrev_i32_e32 v3, 31, v2
	s_delay_alu instid0(VALU_DEP_1) | instskip(NEXT) | instid1(VALU_DEP_1)
	v_lshlrev_b64 v[2:3], 4, v[2:3]
	v_add_co_u32 v2, s1, v15, v2
	s_delay_alu instid0(VALU_DEP_1)
	v_add_co_ci_u32_e64 v3, s1, v16, v3, s1
	global_load_b128 v[4:7], v[2:3], off
.LBB232_7:                              ;   in Loop: Header=BB232_5 Depth=1
	s_or_b32 exec_lo, exec_lo, s8
	v_dual_mov_b32 v3, v1 :: v_dual_add_nc_u32 v10, s3, v13
	v_mov_b32_e32 v2, v0
	s_waitcnt vmcnt(0)
	ds_store_b128 v17, v[4:7]
	v_cmp_gt_i32_e64 s1, s10, v10
	s_delay_alu instid0(VALU_DEP_1) | instskip(NEXT) | instid1(SALU_CYCLE_1)
	s_and_b32 s1, s0, s1
	s_and_saveexec_b32 s8, s1
	s_cbranch_execz .LBB232_9
; %bb.8:                                ;   in Loop: Header=BB232_5 Depth=1
	v_ashrrev_i32_e32 v11, 31, v10
	s_delay_alu instid0(VALU_DEP_1) | instskip(NEXT) | instid1(VALU_DEP_1)
	v_lshlrev_b64 v[0:1], 4, v[10:11]
	v_add_co_u32 v0, s1, v19, v0
	s_delay_alu instid0(VALU_DEP_1)
	v_add_co_ci_u32_e64 v1, s1, v20, v1, s1
	global_load_b128 v[0:3], v[0:1], off
.LBB232_9:                              ;   in Loop: Header=BB232_5 Depth=1
	s_or_b32 exec_lo, exec_lo, s8
	s_waitcnt vmcnt(0)
	ds_store_b128 v21, v[0:3]
	s_waitcnt lgkmcnt(0)
	s_barrier
	buffer_gl0_inv
	s_and_saveexec_b32 s1, s2
	s_cbranch_execz .LBB232_4
; %bb.10:                               ;   in Loop: Header=BB232_5 Depth=1
	ds_load_b128 v[0:3], v18
	ds_load_b128 v[4:7], v14
	ds_load_b128 v[22:25], v14 offset:16
	ds_load_b128 v[26:29], v18 offset:512
	s_waitcnt lgkmcnt(2)
	v_mul_f64 v[10:11], v[0:1], v[6:7]
	v_mul_f64 v[6:7], v[2:3], v[6:7]
	s_waitcnt lgkmcnt(0)
	v_mul_f64 v[38:39], v[28:29], v[24:25]
	v_mul_f64 v[24:25], v[26:27], v[24:25]
	s_delay_alu instid0(VALU_DEP_4) | instskip(NEXT) | instid1(VALU_DEP_4)
	v_fma_f64 v[10:11], v[2:3], v[4:5], v[10:11]
	v_fma_f64 v[40:41], v[0:1], v[4:5], -v[6:7]
	ds_load_b128 v[0:3], v18 offset:1024
	ds_load_b128 v[4:7], v14 offset:32
	;; [unrolled: 1-line block ×4, first 2 shown]
	v_fma_f64 v[26:27], v[26:27], v[22:23], -v[38:39]
	v_fma_f64 v[22:23], v[28:29], v[22:23], v[24:25]
	s_waitcnt lgkmcnt(2)
	v_mul_f64 v[42:43], v[2:3], v[6:7]
	v_mul_f64 v[6:7], v[0:1], v[6:7]
	s_waitcnt lgkmcnt(0)
	v_mul_f64 v[38:39], v[36:37], v[32:33]
	v_mul_f64 v[32:33], v[34:35], v[32:33]
	v_add_f64 v[10:11], v[10:11], 0
	v_add_f64 v[24:25], v[40:41], 0
	v_fma_f64 v[40:41], v[0:1], v[4:5], -v[42:43]
	v_fma_f64 v[42:43], v[2:3], v[4:5], v[6:7]
	v_fma_f64 v[34:35], v[34:35], v[30:31], -v[38:39]
	v_fma_f64 v[30:31], v[36:37], v[30:31], v[32:33]
	v_add_f64 v[10:11], v[10:11], v[22:23]
	v_add_f64 v[44:45], v[24:25], v[26:27]
	ds_load_b128 v[0:3], v14 offset:64
	ds_load_b128 v[4:7], v18 offset:2048
	ds_load_b128 v[22:25], v18 offset:2560
	ds_load_b128 v[26:29], v14 offset:80
	s_waitcnt lgkmcnt(2)
	v_mul_f64 v[46:47], v[6:7], v[2:3]
	v_mul_f64 v[2:3], v[4:5], v[2:3]
	s_waitcnt lgkmcnt(0)
	v_mul_f64 v[36:37], v[24:25], v[28:29]
	v_mul_f64 v[38:39], v[22:23], v[28:29]
	v_add_f64 v[10:11], v[10:11], v[42:43]
	v_add_f64 v[32:33], v[44:45], v[40:41]
	v_fma_f64 v[40:41], v[4:5], v[0:1], -v[46:47]
	v_fma_f64 v[42:43], v[6:7], v[0:1], v[2:3]
	v_fma_f64 v[22:23], v[22:23], v[26:27], -v[36:37]
	v_fma_f64 v[24:25], v[24:25], v[26:27], v[38:39]
	v_add_f64 v[10:11], v[10:11], v[30:31]
	v_add_f64 v[44:45], v[32:33], v[34:35]
	ds_load_b128 v[0:3], v14 offset:96
	ds_load_b128 v[4:7], v18 offset:3072
	ds_load_b128 v[28:31], v18 offset:3584
	ds_load_b128 v[32:35], v14 offset:112
	s_waitcnt lgkmcnt(2)
	v_mul_f64 v[46:47], v[6:7], v[2:3]
	v_mul_f64 v[2:3], v[4:5], v[2:3]
	s_waitcnt lgkmcnt(0)
	v_mul_f64 v[38:39], v[30:31], v[34:35]
	v_add_f64 v[10:11], v[10:11], v[42:43]
	v_add_f64 v[26:27], v[44:45], v[40:41]
	v_mul_f64 v[40:41], v[28:29], v[34:35]
	v_fma_f64 v[42:43], v[4:5], v[0:1], -v[46:47]
	v_fma_f64 v[44:45], v[6:7], v[0:1], v[2:3]
	v_fma_f64 v[28:29], v[28:29], v[32:33], -v[38:39]
	v_add_f64 v[10:11], v[10:11], v[24:25]
	v_add_f64 v[26:27], v[26:27], v[22:23]
	ds_load_b128 v[0:3], v14 offset:128
	ds_load_b128 v[4:7], v18 offset:4096
	ds_load_b128 v[22:25], v18 offset:4608
	ds_load_b128 v[34:37], v14 offset:144
	v_fma_f64 v[30:31], v[30:31], v[32:33], v[40:41]
	s_waitcnt lgkmcnt(2)
	v_mul_f64 v[46:47], v[6:7], v[2:3]
	v_mul_f64 v[2:3], v[4:5], v[2:3]
	s_waitcnt lgkmcnt(0)
	v_mul_f64 v[38:39], v[24:25], v[36:37]
	v_mul_f64 v[36:37], v[22:23], v[36:37]
	v_add_f64 v[10:11], v[10:11], v[44:45]
	v_add_f64 v[26:27], v[26:27], v[42:43]
	v_fma_f64 v[40:41], v[4:5], v[0:1], -v[46:47]
	v_fma_f64 v[42:43], v[6:7], v[0:1], v[2:3]
	v_fma_f64 v[22:23], v[22:23], v[34:35], -v[38:39]
	v_fma_f64 v[24:25], v[24:25], v[34:35], v[36:37]
	v_add_f64 v[10:11], v[10:11], v[30:31]
	v_add_f64 v[44:45], v[26:27], v[28:29]
	ds_load_b128 v[0:3], v14 offset:160
	ds_load_b128 v[4:7], v18 offset:5120
	ds_load_b128 v[26:29], v18 offset:5632
	ds_load_b128 v[30:33], v14 offset:176
	s_waitcnt lgkmcnt(2)
	v_mul_f64 v[46:47], v[6:7], v[2:3]
	v_mul_f64 v[2:3], v[4:5], v[2:3]
	s_waitcnt lgkmcnt(0)
	v_mul_f64 v[36:37], v[28:29], v[32:33]
	v_mul_f64 v[38:39], v[26:27], v[32:33]
	v_add_f64 v[10:11], v[10:11], v[42:43]
	v_add_f64 v[34:35], v[44:45], v[40:41]
	v_fma_f64 v[40:41], v[4:5], v[0:1], -v[46:47]
	v_fma_f64 v[42:43], v[6:7], v[0:1], v[2:3]
	v_fma_f64 v[26:27], v[26:27], v[30:31], -v[36:37]
	v_fma_f64 v[28:29], v[28:29], v[30:31], v[38:39]
	v_add_f64 v[10:11], v[10:11], v[24:25]
	v_add_f64 v[44:45], v[34:35], v[22:23]
	ds_load_b128 v[0:3], v14 offset:192
	ds_load_b128 v[4:7], v18 offset:6144
	ds_load_b128 v[22:25], v18 offset:6656
	ds_load_b128 v[32:35], v14 offset:208
	s_waitcnt lgkmcnt(2)
	v_mul_f64 v[46:47], v[6:7], v[2:3]
	v_mul_f64 v[2:3], v[4:5], v[2:3]
	s_waitcnt lgkmcnt(0)
	v_mul_f64 v[38:39], v[24:25], v[34:35]
	v_add_f64 v[10:11], v[10:11], v[42:43]
	v_add_f64 v[30:31], v[44:45], v[40:41]
	v_mul_f64 v[40:41], v[22:23], v[34:35]
	v_fma_f64 v[42:43], v[4:5], v[0:1], -v[46:47]
	v_fma_f64 v[44:45], v[6:7], v[0:1], v[2:3]
	v_fma_f64 v[22:23], v[22:23], v[32:33], -v[38:39]
	v_add_f64 v[10:11], v[10:11], v[28:29]
	v_add_f64 v[30:31], v[30:31], v[26:27]
	ds_load_b128 v[0:3], v14 offset:224
	ds_load_b128 v[4:7], v18 offset:7168
	ds_load_b128 v[26:29], v18 offset:7680
	ds_load_b128 v[34:37], v14 offset:240
	v_fma_f64 v[24:25], v[24:25], v[32:33], v[40:41]
	s_waitcnt lgkmcnt(2)
	v_mul_f64 v[46:47], v[6:7], v[2:3]
	v_mul_f64 v[2:3], v[4:5], v[2:3]
	s_waitcnt lgkmcnt(0)
	v_mul_f64 v[38:39], v[28:29], v[36:37]
	v_mul_f64 v[36:37], v[26:27], v[36:37]
	v_add_f64 v[10:11], v[10:11], v[44:45]
	v_add_f64 v[30:31], v[30:31], v[42:43]
	v_fma_f64 v[40:41], v[4:5], v[0:1], -v[46:47]
	v_fma_f64 v[42:43], v[6:7], v[0:1], v[2:3]
	v_fma_f64 v[26:27], v[26:27], v[34:35], -v[38:39]
	v_fma_f64 v[28:29], v[28:29], v[34:35], v[36:37]
	v_add_f64 v[10:11], v[10:11], v[24:25]
	v_add_f64 v[44:45], v[30:31], v[22:23]
	ds_load_b128 v[0:3], v14 offset:256
	ds_load_b128 v[4:7], v18 offset:8192
	ds_load_b128 v[22:25], v18 offset:8704
	ds_load_b128 v[30:33], v14 offset:272
	s_waitcnt lgkmcnt(2)
	v_mul_f64 v[46:47], v[6:7], v[2:3]
	v_mul_f64 v[2:3], v[4:5], v[2:3]
	s_waitcnt lgkmcnt(0)
	v_mul_f64 v[36:37], v[24:25], v[32:33]
	v_mul_f64 v[38:39], v[22:23], v[32:33]
	v_add_f64 v[10:11], v[10:11], v[42:43]
	v_add_f64 v[34:35], v[44:45], v[40:41]
	v_fma_f64 v[40:41], v[4:5], v[0:1], -v[46:47]
	v_fma_f64 v[42:43], v[6:7], v[0:1], v[2:3]
	v_fma_f64 v[22:23], v[22:23], v[30:31], -v[36:37]
	v_fma_f64 v[24:25], v[24:25], v[30:31], v[38:39]
	v_add_f64 v[10:11], v[10:11], v[28:29]
	v_add_f64 v[44:45], v[34:35], v[26:27]
	ds_load_b128 v[0:3], v14 offset:288
	ds_load_b128 v[4:7], v18 offset:9216
	ds_load_b128 v[26:29], v18 offset:9728
	ds_load_b128 v[32:35], v14 offset:304
	s_waitcnt lgkmcnt(2)
	v_mul_f64 v[46:47], v[6:7], v[2:3]
	v_mul_f64 v[2:3], v[4:5], v[2:3]
	s_waitcnt lgkmcnt(0)
	v_mul_f64 v[38:39], v[28:29], v[34:35]
	v_add_f64 v[10:11], v[10:11], v[42:43]
	v_add_f64 v[30:31], v[44:45], v[40:41]
	v_mul_f64 v[40:41], v[26:27], v[34:35]
	v_fma_f64 v[42:43], v[4:5], v[0:1], -v[46:47]
	v_fma_f64 v[44:45], v[6:7], v[0:1], v[2:3]
	v_fma_f64 v[26:27], v[26:27], v[32:33], -v[38:39]
	v_add_f64 v[10:11], v[10:11], v[24:25]
	v_add_f64 v[30:31], v[30:31], v[22:23]
	ds_load_b128 v[0:3], v14 offset:320
	ds_load_b128 v[4:7], v18 offset:10240
	ds_load_b128 v[22:25], v18 offset:10752
	ds_load_b128 v[34:37], v14 offset:336
	v_fma_f64 v[28:29], v[28:29], v[32:33], v[40:41]
	s_waitcnt lgkmcnt(2)
	v_mul_f64 v[46:47], v[6:7], v[2:3]
	v_mul_f64 v[2:3], v[4:5], v[2:3]
	s_waitcnt lgkmcnt(0)
	v_mul_f64 v[38:39], v[24:25], v[36:37]
	v_mul_f64 v[36:37], v[22:23], v[36:37]
	v_add_f64 v[10:11], v[10:11], v[44:45]
	v_add_f64 v[30:31], v[30:31], v[42:43]
	v_fma_f64 v[40:41], v[4:5], v[0:1], -v[46:47]
	v_fma_f64 v[42:43], v[6:7], v[0:1], v[2:3]
	v_fma_f64 v[22:23], v[22:23], v[34:35], -v[38:39]
	v_fma_f64 v[24:25], v[24:25], v[34:35], v[36:37]
	v_add_f64 v[10:11], v[10:11], v[28:29]
	v_add_f64 v[44:45], v[30:31], v[26:27]
	ds_load_b128 v[0:3], v14 offset:352
	ds_load_b128 v[4:7], v18 offset:11264
	ds_load_b128 v[26:29], v18 offset:11776
	ds_load_b128 v[30:33], v14 offset:368
	s_waitcnt lgkmcnt(2)
	v_mul_f64 v[46:47], v[6:7], v[2:3]
	v_mul_f64 v[2:3], v[4:5], v[2:3]
	s_waitcnt lgkmcnt(0)
	v_mul_f64 v[36:37], v[28:29], v[32:33]
	v_mul_f64 v[38:39], v[26:27], v[32:33]
	v_add_f64 v[10:11], v[10:11], v[42:43]
	v_add_f64 v[34:35], v[44:45], v[40:41]
	v_fma_f64 v[40:41], v[4:5], v[0:1], -v[46:47]
	v_fma_f64 v[42:43], v[6:7], v[0:1], v[2:3]
	v_fma_f64 v[26:27], v[26:27], v[30:31], -v[36:37]
	v_fma_f64 v[28:29], v[28:29], v[30:31], v[38:39]
	v_add_f64 v[10:11], v[10:11], v[24:25]
	v_add_f64 v[44:45], v[34:35], v[22:23]
	ds_load_b128 v[0:3], v14 offset:384
	ds_load_b128 v[4:7], v18 offset:12288
	ds_load_b128 v[22:25], v18 offset:12800
	ds_load_b128 v[32:35], v14 offset:400
	s_waitcnt lgkmcnt(2)
	v_mul_f64 v[46:47], v[6:7], v[2:3]
	v_mul_f64 v[2:3], v[4:5], v[2:3]
	s_waitcnt lgkmcnt(0)
	v_mul_f64 v[38:39], v[24:25], v[34:35]
	v_add_f64 v[10:11], v[10:11], v[42:43]
	v_add_f64 v[30:31], v[44:45], v[40:41]
	v_mul_f64 v[40:41], v[22:23], v[34:35]
	v_fma_f64 v[42:43], v[4:5], v[0:1], -v[46:47]
	v_fma_f64 v[44:45], v[6:7], v[0:1], v[2:3]
	v_fma_f64 v[22:23], v[22:23], v[32:33], -v[38:39]
	v_add_f64 v[10:11], v[10:11], v[28:29]
	v_add_f64 v[30:31], v[30:31], v[26:27]
	ds_load_b128 v[0:3], v14 offset:416
	ds_load_b128 v[4:7], v18 offset:13312
	ds_load_b128 v[26:29], v18 offset:13824
	ds_load_b128 v[34:37], v14 offset:432
	v_fma_f64 v[24:25], v[24:25], v[32:33], v[40:41]
	s_waitcnt lgkmcnt(2)
	v_mul_f64 v[46:47], v[6:7], v[2:3]
	v_mul_f64 v[2:3], v[4:5], v[2:3]
	s_waitcnt lgkmcnt(0)
	v_mul_f64 v[40:41], v[28:29], v[36:37]
	v_add_f64 v[10:11], v[10:11], v[44:45]
	v_add_f64 v[30:31], v[30:31], v[42:43]
	v_mul_f64 v[42:43], v[26:27], v[36:37]
	v_fma_f64 v[44:45], v[4:5], v[0:1], -v[46:47]
	v_fma_f64 v[46:47], v[6:7], v[0:1], v[2:3]
	ds_load_b128 v[0:3], v14 offset:448
	ds_load_b128 v[4:7], v18 offset:14336
	v_fma_f64 v[26:27], v[26:27], v[34:35], -v[40:41]
	v_add_f64 v[10:11], v[10:11], v[24:25]
	v_add_f64 v[48:49], v[30:31], v[22:23]
	global_load_b128 v[22:25], v[8:9], off
	v_fma_f64 v[28:29], v[28:29], v[34:35], v[42:43]
	s_waitcnt lgkmcnt(0)
	v_mul_f64 v[50:51], v[6:7], v[2:3]
	v_mul_f64 v[2:3], v[4:5], v[2:3]
	ds_load_b128 v[30:33], v18 offset:14848
	ds_load_b128 v[36:39], v14 offset:464
	s_waitcnt lgkmcnt(0)
	v_mul_f64 v[42:43], v[32:33], v[38:39]
	v_add_f64 v[10:11], v[10:11], v[46:47]
	v_add_f64 v[34:35], v[48:49], v[44:45]
	v_mul_f64 v[44:45], v[30:31], v[38:39]
	v_fma_f64 v[46:47], v[4:5], v[0:1], -v[50:51]
	v_fma_f64 v[48:49], v[6:7], v[0:1], v[2:3]
	v_fma_f64 v[30:31], v[30:31], v[36:37], -v[42:43]
	v_add_f64 v[10:11], v[10:11], v[28:29]
	v_add_f64 v[34:35], v[34:35], v[26:27]
	ds_load_b128 v[0:3], v14 offset:480
	ds_load_b128 v[4:7], v18 offset:15360
	;; [unrolled: 1-line block ×4, first 2 shown]
	v_fma_f64 v[32:33], v[32:33], v[36:37], v[44:45]
	s_waitcnt lgkmcnt(2)
	v_mul_f64 v[50:51], v[6:7], v[2:3]
	v_mul_f64 v[2:3], v[4:5], v[2:3]
	s_waitcnt lgkmcnt(0)
	v_mul_f64 v[36:37], v[28:29], v[40:41]
	v_mul_f64 v[40:41], v[26:27], v[40:41]
	v_add_f64 v[10:11], v[10:11], v[48:49]
	v_add_f64 v[34:35], v[34:35], v[46:47]
	v_fma_f64 v[4:5], v[4:5], v[0:1], -v[50:51]
	v_fma_f64 v[0:1], v[6:7], v[0:1], v[2:3]
	s_delay_alu instid0(VALU_DEP_4) | instskip(NEXT) | instid1(VALU_DEP_4)
	v_add_f64 v[2:3], v[10:11], v[32:33]
	v_add_f64 v[6:7], v[34:35], v[30:31]
	v_fma_f64 v[10:11], v[26:27], v[38:39], -v[36:37]
	v_fma_f64 v[26:27], v[28:29], v[38:39], v[40:41]
	s_delay_alu instid0(VALU_DEP_4) | instskip(NEXT) | instid1(VALU_DEP_4)
	v_add_f64 v[0:1], v[2:3], v[0:1]
	v_add_f64 v[2:3], v[6:7], v[4:5]
	s_delay_alu instid0(VALU_DEP_2) | instskip(NEXT) | instid1(VALU_DEP_2)
	v_add_f64 v[0:1], v[0:1], v[26:27]
	v_add_f64 v[2:3], v[2:3], v[10:11]
	s_delay_alu instid0(VALU_DEP_2) | instskip(NEXT) | instid1(VALU_DEP_2)
	v_mul_f64 v[4:5], s[6:7], v[0:1]
	v_mul_f64 v[6:7], s[6:7], v[2:3]
	s_delay_alu instid0(VALU_DEP_2) | instskip(NEXT) | instid1(VALU_DEP_2)
	v_fma_f64 v[2:3], s[4:5], v[2:3], -v[4:5]
	v_fma_f64 v[4:5], s[4:5], v[0:1], v[6:7]
	s_waitcnt vmcnt(0)
	s_delay_alu instid0(VALU_DEP_2) | instskip(NEXT) | instid1(VALU_DEP_2)
	v_add_f64 v[0:1], v[22:23], v[2:3]
	v_add_f64 v[2:3], v[24:25], v[4:5]
	global_store_b128 v[8:9], v[0:3], off
	s_branch .LBB232_4
.LBB232_11:
	s_endpgm
	.section	.rodata,"a",@progbits
	.p2align	6, 0x0
	.amdhsa_kernel _ZL26rocblas_syr2k_her2k_kernelIiLb0ELb0ELb1ELi32E19rocblas_complex_numIdEPKS1_PS1_EvbiT_T4_T5_S5_lS7_S5_lT6_S5_li
		.amdhsa_group_segment_fixed_size 32768
		.amdhsa_private_segment_fixed_size 0
		.amdhsa_kernarg_size 108
		.amdhsa_user_sgpr_count 13
		.amdhsa_user_sgpr_dispatch_ptr 0
		.amdhsa_user_sgpr_queue_ptr 0
		.amdhsa_user_sgpr_kernarg_segment_ptr 1
		.amdhsa_user_sgpr_dispatch_id 0
		.amdhsa_user_sgpr_private_segment_size 0
		.amdhsa_wavefront_size32 1
		.amdhsa_uses_dynamic_stack 0
		.amdhsa_enable_private_segment 0
		.amdhsa_system_sgpr_workgroup_id_x 1
		.amdhsa_system_sgpr_workgroup_id_y 1
		.amdhsa_system_sgpr_workgroup_id_z 1
		.amdhsa_system_sgpr_workgroup_info 0
		.amdhsa_system_vgpr_workitem_id 1
		.amdhsa_next_free_vgpr 52
		.amdhsa_next_free_sgpr 26
		.amdhsa_reserve_vcc 1
		.amdhsa_float_round_mode_32 0
		.amdhsa_float_round_mode_16_64 0
		.amdhsa_float_denorm_mode_32 3
		.amdhsa_float_denorm_mode_16_64 3
		.amdhsa_dx10_clamp 1
		.amdhsa_ieee_mode 1
		.amdhsa_fp16_overflow 0
		.amdhsa_workgroup_processor_mode 1
		.amdhsa_memory_ordered 1
		.amdhsa_forward_progress 0
		.amdhsa_shared_vgpr_count 0
		.amdhsa_exception_fp_ieee_invalid_op 0
		.amdhsa_exception_fp_denorm_src 0
		.amdhsa_exception_fp_ieee_div_zero 0
		.amdhsa_exception_fp_ieee_overflow 0
		.amdhsa_exception_fp_ieee_underflow 0
		.amdhsa_exception_fp_ieee_inexact 0
		.amdhsa_exception_int_div_zero 0
	.end_amdhsa_kernel
	.section	.text._ZL26rocblas_syr2k_her2k_kernelIiLb0ELb0ELb1ELi32E19rocblas_complex_numIdEPKS1_PS1_EvbiT_T4_T5_S5_lS7_S5_lT6_S5_li,"axG",@progbits,_ZL26rocblas_syr2k_her2k_kernelIiLb0ELb0ELb1ELi32E19rocblas_complex_numIdEPKS1_PS1_EvbiT_T4_T5_S5_lS7_S5_lT6_S5_li,comdat
.Lfunc_end232:
	.size	_ZL26rocblas_syr2k_her2k_kernelIiLb0ELb0ELb1ELi32E19rocblas_complex_numIdEPKS1_PS1_EvbiT_T4_T5_S5_lS7_S5_lT6_S5_li, .Lfunc_end232-_ZL26rocblas_syr2k_her2k_kernelIiLb0ELb0ELb1ELi32E19rocblas_complex_numIdEPKS1_PS1_EvbiT_T4_T5_S5_lS7_S5_lT6_S5_li
                                        ; -- End function
	.section	.AMDGPU.csdata,"",@progbits
; Kernel info:
; codeLenInByte = 3052
; NumSgprs: 28
; NumVgprs: 52
; ScratchSize: 0
; MemoryBound: 1
; FloatMode: 240
; IeeeMode: 1
; LDSByteSize: 32768 bytes/workgroup (compile time only)
; SGPRBlocks: 3
; VGPRBlocks: 6
; NumSGPRsForWavesPerEU: 28
; NumVGPRsForWavesPerEU: 52
; Occupancy: 16
; WaveLimiterHint : 0
; COMPUTE_PGM_RSRC2:SCRATCH_EN: 0
; COMPUTE_PGM_RSRC2:USER_SGPR: 13
; COMPUTE_PGM_RSRC2:TRAP_HANDLER: 0
; COMPUTE_PGM_RSRC2:TGID_X_EN: 1
; COMPUTE_PGM_RSRC2:TGID_Y_EN: 1
; COMPUTE_PGM_RSRC2:TGID_Z_EN: 1
; COMPUTE_PGM_RSRC2:TIDIG_COMP_CNT: 1
	.section	.text._ZL37rocblas_syrkx_herkx_restricted_kernelIi19rocblas_complex_numIdELi16ELi32ELi8ELi1ELi1ELb0ELc84ELc76EKS1_S1_EviT_PT9_S3_lS5_S3_lPT10_S3_li,"axG",@progbits,_ZL37rocblas_syrkx_herkx_restricted_kernelIi19rocblas_complex_numIdELi16ELi32ELi8ELi1ELi1ELb0ELc84ELc76EKS1_S1_EviT_PT9_S3_lS5_S3_lPT10_S3_li,comdat
	.globl	_ZL37rocblas_syrkx_herkx_restricted_kernelIi19rocblas_complex_numIdELi16ELi32ELi8ELi1ELi1ELb0ELc84ELc76EKS1_S1_EviT_PT9_S3_lS5_S3_lPT10_S3_li ; -- Begin function _ZL37rocblas_syrkx_herkx_restricted_kernelIi19rocblas_complex_numIdELi16ELi32ELi8ELi1ELi1ELb0ELc84ELc76EKS1_S1_EviT_PT9_S3_lS5_S3_lPT10_S3_li
	.p2align	8
	.type	_ZL37rocblas_syrkx_herkx_restricted_kernelIi19rocblas_complex_numIdELi16ELi32ELi8ELi1ELi1ELb0ELc84ELc76EKS1_S1_EviT_PT9_S3_lS5_S3_lPT10_S3_li,@function
_ZL37rocblas_syrkx_herkx_restricted_kernelIi19rocblas_complex_numIdELi16ELi32ELi8ELi1ELi1ELb0ELc84ELc76EKS1_S1_EviT_PT9_S3_lS5_S3_lPT10_S3_li: ; @_ZL37rocblas_syrkx_herkx_restricted_kernelIi19rocblas_complex_numIdELi16ELi32ELi8ELi1ELi1ELb0ELc84ELc76EKS1_S1_EviT_PT9_S3_lS5_S3_lPT10_S3_li
; %bb.0:
	s_clause 0x1
	s_load_b64 s[2:3], s[0:1], 0x0
	s_load_b128 s[4:7], s[0:1], 0x30
	v_mov_b32_e32 v16, 0
	v_dual_mov_b32 v17, 0 :: v_dual_and_b32 v20, 0x3ff, v0
	v_bfe_u32 v21, v0, 10, 10
	s_delay_alu instid0(VALU_DEP_3) | instskip(NEXT) | instid1(VALU_DEP_3)
	v_mov_b32_e32 v6, v16
	v_dual_mov_b32 v4, v16 :: v_dual_mov_b32 v5, v17
	v_dual_mov_b32 v19, v17 :: v_dual_mov_b32 v18, v16
	;; [unrolled: 1-line block ×6, first 2 shown]
	v_mov_b32_e32 v9, v17
	s_lshl_b32 s12, s13, 5
	s_lshl_b32 s13, s14, 5
	s_waitcnt lgkmcnt(0)
	s_cmp_lt_i32 s3, 1
	s_mov_b32 s14, 0
	s_cbranch_scc1 .LBB233_3
; %bb.1:
	s_clause 0x3
	s_load_b32 s18, s[0:1], 0x10
	s_load_b128 s[8:11], s[0:1], 0x18
	s_load_b64 s[16:17], s[0:1], 0x8
	s_load_b32 s19, s[0:1], 0x28
	v_lshl_add_u32 v2, v21, 4, v20
	v_dual_mov_b32 v1, 0 :: v_dual_and_b32 v0, 7, v20
	v_lshlrev_b32_e32 v22, 4, v20
	s_mul_i32 s5, s5, s15
	s_delay_alu instid0(VALU_DEP_3)
	v_lshrrev_b32_e32 v4, 3, v2
	v_and_b32_e32 v5, 31, v2
	v_lshlrev_b32_e32 v3, 4, v0
	v_lshrrev_b32_e32 v2, 5, v2
	v_lshl_add_u32 v25, v21, 7, 0x1000
	v_add_nc_u32_e32 v9, s13, v4
	v_add_nc_u32_e32 v8, s12, v5
	v_lshl_or_b32 v7, v4, 7, v3
	v_dual_mov_b32 v3, v1 :: v_dual_lshlrev_b32 v6, 4, v5
	s_waitcnt lgkmcnt(0)
	s_delay_alu instid0(VALU_DEP_1) | instskip(NEXT) | instid1(VALU_DEP_2)
	v_mad_i64_i32 v[4:5], null, s18, v8, v[2:3]
	v_lshl_or_b32 v23, v2, 9, v6
	s_mul_i32 s9, s9, s15
	s_mul_hi_u32 s18, s8, s15
	v_mad_i64_i32 v[2:3], null, s19, v9, v[0:1]
	s_mul_i32 s8, s8, s15
	s_add_i32 s9, s18, s9
	s_delay_alu instid0(VALU_DEP_3)
	v_lshlrev_b64 v[0:1], 4, v[4:5]
	s_lshl_b64 s[8:9], s[8:9], 4
	v_mov_b32_e32 v8, 0
	v_mov_b32_e32 v9, 0
	s_add_u32 s8, s16, s8
	s_mul_hi_u32 s16, s4, s15
	s_addc_u32 s9, s17, s9
	s_add_i32 s5, s16, s5
	s_mul_i32 s4, s4, s15
	v_lshlrev_b64 v[2:3], 4, v[2:3]
	s_lshl_b64 s[4:5], s[4:5], 4
	v_add_co_u32 v0, vcc_lo, s8, v0
	s_add_u32 s4, s10, s4
	v_add_co_ci_u32_e32 v1, vcc_lo, s9, v1, vcc_lo
	s_addc_u32 s5, s11, s5
	v_add_co_u32 v2, vcc_lo, s4, v2
	v_add_co_ci_u32_e32 v3, vcc_lo, s5, v3, vcc_lo
	v_add_co_u32 v0, vcc_lo, v0, 8
	v_add_co_ci_u32_e32 v1, vcc_lo, 0, v1, vcc_lo
	s_delay_alu instid0(VALU_DEP_4)
	v_add_co_u32 v2, vcc_lo, v2, 8
	v_dual_mov_b32 v13, v9 :: v_dual_add_nc_u32 v24, 0x1000, v7
	v_add_co_ci_u32_e32 v3, vcc_lo, 0, v3, vcc_lo
	v_dual_mov_b32 v12, v8 :: v_dual_mov_b32 v11, v9
	v_dual_mov_b32 v10, v8 :: v_dual_mov_b32 v15, v9
	v_mov_b32_e32 v14, v8
	v_dual_mov_b32 v4, v8 :: v_dual_mov_b32 v5, v9
	v_dual_mov_b32 v6, v8 :: v_dual_mov_b32 v7, v9
	;; [unrolled: 1-line block ×4, first 2 shown]
.LBB233_2:                              ; =>This Inner Loop Header: Depth=1
	global_load_b128 v[26:29], v[0:1], off offset:-8
	v_add_co_u32 v0, vcc_lo, 0x80, v0
	v_add_co_ci_u32_e32 v1, vcc_lo, 0, v1, vcc_lo
	s_add_i32 s14, s14, 8
	s_delay_alu instid0(SALU_CYCLE_1)
	s_cmp_ge_i32 s14, s3
	s_waitcnt vmcnt(0)
	ds_store_b128 v23, v[26:29]
	global_load_b128 v[26:29], v[2:3], off offset:-8
	v_add_co_u32 v2, vcc_lo, 0x80, v2
	v_add_co_ci_u32_e32 v3, vcc_lo, 0, v3, vcc_lo
	s_waitcnt vmcnt(0)
	ds_store_b128 v24, v[26:29]
	s_waitcnt lgkmcnt(0)
	s_barrier
	buffer_gl0_inv
	ds_load_b128 v[26:29], v25
	ds_load_b128 v[30:33], v25 offset:16
	ds_load_b128 v[34:37], v25 offset:32
	;; [unrolled: 1-line block ×3, first 2 shown]
	ds_load_b128 v[42:45], v22
	s_waitcnt lgkmcnt(0)
	v_mul_f64 v[46:47], v[28:29], v[44:45]
	v_mul_f64 v[48:49], v[26:27], v[44:45]
	s_delay_alu instid0(VALU_DEP_2) | instskip(NEXT) | instid1(VALU_DEP_2)
	v_fma_f64 v[46:47], v[26:27], v[42:43], -v[46:47]
	v_fma_f64 v[48:49], v[28:29], v[42:43], v[48:49]
	s_delay_alu instid0(VALU_DEP_2) | instskip(NEXT) | instid1(VALU_DEP_2)
	v_add_f64 v[46:47], v[16:17], v[46:47]
	v_add_f64 v[48:49], v[18:19], v[48:49]
	ds_load_b128 v[16:19], v22 offset:256
	s_waitcnt lgkmcnt(0)
	v_mul_f64 v[50:51], v[28:29], v[18:19]
	s_delay_alu instid0(VALU_DEP_1) | instskip(SKIP_1) | instid1(VALU_DEP_1)
	v_fma_f64 v[50:51], v[26:27], v[16:17], -v[50:51]
	v_mul_f64 v[26:27], v[26:27], v[18:19]
	v_fma_f64 v[26:27], v[28:29], v[16:17], v[26:27]
	s_delay_alu instid0(VALU_DEP_3) | instskip(NEXT) | instid1(VALU_DEP_2)
	v_add_f64 v[28:29], v[6:7], v[50:51]
	v_add_f64 v[26:27], v[4:5], v[26:27]
	ds_load_b128 v[4:7], v25 offset:2048
	s_waitcnt lgkmcnt(0)
	v_mul_f64 v[50:51], v[6:7], v[44:45]
	v_mul_f64 v[44:45], v[4:5], v[44:45]
	s_delay_alu instid0(VALU_DEP_2) | instskip(NEXT) | instid1(VALU_DEP_2)
	v_fma_f64 v[50:51], v[4:5], v[42:43], -v[50:51]
	v_fma_f64 v[42:43], v[6:7], v[42:43], v[44:45]
	s_delay_alu instid0(VALU_DEP_2) | instskip(NEXT) | instid1(VALU_DEP_2)
	v_add_f64 v[44:45], v[14:15], v[50:51]
	v_add_f64 v[42:43], v[10:11], v[42:43]
	v_mul_f64 v[10:11], v[6:7], v[18:19]
	s_delay_alu instid0(VALU_DEP_1) | instskip(SKIP_1) | instid1(VALU_DEP_1)
	v_fma_f64 v[10:11], v[4:5], v[16:17], -v[10:11]
	v_mul_f64 v[4:5], v[4:5], v[18:19]
	v_fma_f64 v[4:5], v[6:7], v[16:17], v[4:5]
	s_delay_alu instid0(VALU_DEP_3) | instskip(NEXT) | instid1(VALU_DEP_2)
	v_add_f64 v[16:17], v[12:13], v[10:11]
	v_add_f64 v[18:19], v[8:9], v[4:5]
	ds_load_b128 v[4:7], v22 offset:512
	s_waitcnt lgkmcnt(0)
	v_mul_f64 v[8:9], v[32:33], v[6:7]
	v_mul_f64 v[10:11], v[30:31], v[6:7]
	s_delay_alu instid0(VALU_DEP_2) | instskip(NEXT) | instid1(VALU_DEP_2)
	v_fma_f64 v[8:9], v[30:31], v[4:5], -v[8:9]
	v_fma_f64 v[10:11], v[32:33], v[4:5], v[10:11]
	s_delay_alu instid0(VALU_DEP_2) | instskip(NEXT) | instid1(VALU_DEP_2)
	v_add_f64 v[46:47], v[46:47], v[8:9]
	v_add_f64 v[48:49], v[48:49], v[10:11]
	ds_load_b128 v[8:11], v22 offset:768
	s_waitcnt lgkmcnt(0)
	v_mul_f64 v[12:13], v[32:33], v[10:11]
	v_mul_f64 v[14:15], v[30:31], v[10:11]
	s_delay_alu instid0(VALU_DEP_2) | instskip(NEXT) | instid1(VALU_DEP_2)
	v_fma_f64 v[12:13], v[30:31], v[8:9], -v[12:13]
	v_fma_f64 v[14:15], v[32:33], v[8:9], v[14:15]
	s_delay_alu instid0(VALU_DEP_2) | instskip(NEXT) | instid1(VALU_DEP_2)
	v_add_f64 v[28:29], v[28:29], v[12:13]
	v_add_f64 v[26:27], v[26:27], v[14:15]
	ds_load_b128 v[12:15], v25 offset:2064
	s_waitcnt lgkmcnt(0)
	v_mul_f64 v[30:31], v[14:15], v[6:7]
	v_mul_f64 v[6:7], v[12:13], v[6:7]
	s_delay_alu instid0(VALU_DEP_2) | instskip(NEXT) | instid1(VALU_DEP_2)
	v_fma_f64 v[30:31], v[12:13], v[4:5], -v[30:31]
	v_fma_f64 v[4:5], v[14:15], v[4:5], v[6:7]
	v_mul_f64 v[6:7], v[12:13], v[10:11]
	s_delay_alu instid0(VALU_DEP_3) | instskip(NEXT) | instid1(VALU_DEP_3)
	v_add_f64 v[30:31], v[44:45], v[30:31]
	v_add_f64 v[32:33], v[42:43], v[4:5]
	v_mul_f64 v[4:5], v[14:15], v[10:11]
	s_delay_alu instid0(VALU_DEP_4) | instskip(NEXT) | instid1(VALU_DEP_2)
	v_fma_f64 v[6:7], v[14:15], v[8:9], v[6:7]
	v_fma_f64 v[4:5], v[12:13], v[8:9], -v[4:5]
	s_delay_alu instid0(VALU_DEP_2) | instskip(NEXT) | instid1(VALU_DEP_2)
	v_add_f64 v[18:19], v[18:19], v[6:7]
	v_add_f64 v[16:17], v[16:17], v[4:5]
	ds_load_b128 v[4:7], v22 offset:1024
	s_waitcnt lgkmcnt(0)
	v_mul_f64 v[8:9], v[36:37], v[6:7]
	v_mul_f64 v[10:11], v[34:35], v[6:7]
	s_delay_alu instid0(VALU_DEP_2) | instskip(NEXT) | instid1(VALU_DEP_2)
	v_fma_f64 v[8:9], v[34:35], v[4:5], -v[8:9]
	v_fma_f64 v[10:11], v[36:37], v[4:5], v[10:11]
	s_delay_alu instid0(VALU_DEP_2) | instskip(NEXT) | instid1(VALU_DEP_2)
	v_add_f64 v[42:43], v[46:47], v[8:9]
	v_add_f64 v[44:45], v[48:49], v[10:11]
	ds_load_b128 v[8:11], v22 offset:1280
	s_waitcnt lgkmcnt(0)
	v_mul_f64 v[12:13], v[36:37], v[10:11]
	v_mul_f64 v[14:15], v[34:35], v[10:11]
	s_delay_alu instid0(VALU_DEP_2) | instskip(NEXT) | instid1(VALU_DEP_2)
	v_fma_f64 v[12:13], v[34:35], v[8:9], -v[12:13]
	v_fma_f64 v[14:15], v[36:37], v[8:9], v[14:15]
	s_delay_alu instid0(VALU_DEP_2) | instskip(NEXT) | instid1(VALU_DEP_2)
	v_add_f64 v[28:29], v[28:29], v[12:13]
	v_add_f64 v[26:27], v[26:27], v[14:15]
	ds_load_b128 v[12:15], v25 offset:2080
	s_waitcnt lgkmcnt(0)
	v_mul_f64 v[34:35], v[14:15], v[6:7]
	v_mul_f64 v[6:7], v[12:13], v[6:7]
	s_delay_alu instid0(VALU_DEP_2) | instskip(NEXT) | instid1(VALU_DEP_2)
	v_fma_f64 v[34:35], v[12:13], v[4:5], -v[34:35]
	v_fma_f64 v[4:5], v[14:15], v[4:5], v[6:7]
	v_mul_f64 v[6:7], v[12:13], v[10:11]
	s_delay_alu instid0(VALU_DEP_3) | instskip(NEXT) | instid1(VALU_DEP_3)
	v_add_f64 v[30:31], v[30:31], v[34:35]
	v_add_f64 v[32:33], v[32:33], v[4:5]
	v_mul_f64 v[4:5], v[14:15], v[10:11]
	s_delay_alu instid0(VALU_DEP_4) | instskip(NEXT) | instid1(VALU_DEP_2)
	v_fma_f64 v[6:7], v[14:15], v[8:9], v[6:7]
	v_fma_f64 v[4:5], v[12:13], v[8:9], -v[4:5]
	s_delay_alu instid0(VALU_DEP_2) | instskip(NEXT) | instid1(VALU_DEP_2)
	;; [unrolled: 38-line block ×3, first 2 shown]
	v_add_f64 v[18:19], v[18:19], v[6:7]
	v_add_f64 v[16:17], v[16:17], v[4:5]
	ds_load_b128 v[4:7], v25 offset:64
	ds_load_b128 v[8:11], v22 offset:2048
	s_waitcnt lgkmcnt(0)
	v_mul_f64 v[12:13], v[6:7], v[10:11]
	v_mul_f64 v[14:15], v[4:5], v[10:11]
	s_delay_alu instid0(VALU_DEP_2) | instskip(NEXT) | instid1(VALU_DEP_2)
	v_fma_f64 v[12:13], v[4:5], v[8:9], -v[12:13]
	v_fma_f64 v[14:15], v[6:7], v[8:9], v[14:15]
	s_delay_alu instid0(VALU_DEP_2) | instskip(NEXT) | instid1(VALU_DEP_2)
	v_add_f64 v[34:35], v[34:35], v[12:13]
	v_add_f64 v[36:37], v[36:37], v[14:15]
	ds_load_b128 v[12:15], v22 offset:2304
	s_waitcnt lgkmcnt(0)
	v_mul_f64 v[38:39], v[6:7], v[14:15]
	s_delay_alu instid0(VALU_DEP_1) | instskip(SKIP_1) | instid1(VALU_DEP_2)
	v_fma_f64 v[38:39], v[4:5], v[12:13], -v[38:39]
	v_mul_f64 v[4:5], v[4:5], v[14:15]
	v_add_f64 v[28:29], v[28:29], v[38:39]
	s_delay_alu instid0(VALU_DEP_2) | instskip(NEXT) | instid1(VALU_DEP_1)
	v_fma_f64 v[4:5], v[6:7], v[12:13], v[4:5]
	v_add_f64 v[26:27], v[26:27], v[4:5]
	ds_load_b128 v[4:7], v25 offset:2112
	s_waitcnt lgkmcnt(0)
	v_mul_f64 v[38:39], v[6:7], v[10:11]
	v_mul_f64 v[10:11], v[4:5], v[10:11]
	s_delay_alu instid0(VALU_DEP_2) | instskip(NEXT) | instid1(VALU_DEP_2)
	v_fma_f64 v[38:39], v[4:5], v[8:9], -v[38:39]
	v_fma_f64 v[8:9], v[6:7], v[8:9], v[10:11]
	s_delay_alu instid0(VALU_DEP_2) | instskip(NEXT) | instid1(VALU_DEP_2)
	v_add_f64 v[30:31], v[30:31], v[38:39]
	v_add_f64 v[32:33], v[32:33], v[8:9]
	v_mul_f64 v[8:9], v[6:7], v[14:15]
	s_delay_alu instid0(VALU_DEP_1) | instskip(SKIP_1) | instid1(VALU_DEP_2)
	v_fma_f64 v[8:9], v[4:5], v[12:13], -v[8:9]
	v_mul_f64 v[4:5], v[4:5], v[14:15]
	v_add_f64 v[16:17], v[16:17], v[8:9]
	s_delay_alu instid0(VALU_DEP_2) | instskip(NEXT) | instid1(VALU_DEP_1)
	v_fma_f64 v[4:5], v[6:7], v[12:13], v[4:5]
	v_add_f64 v[18:19], v[18:19], v[4:5]
	ds_load_b128 v[4:7], v25 offset:80
	ds_load_b128 v[8:11], v22 offset:2560
	s_waitcnt lgkmcnt(0)
	v_mul_f64 v[12:13], v[6:7], v[10:11]
	v_mul_f64 v[14:15], v[4:5], v[10:11]
	s_delay_alu instid0(VALU_DEP_2) | instskip(NEXT) | instid1(VALU_DEP_2)
	v_fma_f64 v[12:13], v[4:5], v[8:9], -v[12:13]
	v_fma_f64 v[14:15], v[6:7], v[8:9], v[14:15]
	s_delay_alu instid0(VALU_DEP_2) | instskip(NEXT) | instid1(VALU_DEP_2)
	v_add_f64 v[34:35], v[34:35], v[12:13]
	v_add_f64 v[36:37], v[36:37], v[14:15]
	ds_load_b128 v[12:15], v22 offset:2816
	s_waitcnt lgkmcnt(0)
	v_mul_f64 v[38:39], v[6:7], v[14:15]
	s_delay_alu instid0(VALU_DEP_1) | instskip(SKIP_1) | instid1(VALU_DEP_2)
	v_fma_f64 v[38:39], v[4:5], v[12:13], -v[38:39]
	v_mul_f64 v[4:5], v[4:5], v[14:15]
	v_add_f64 v[28:29], v[28:29], v[38:39]
	s_delay_alu instid0(VALU_DEP_2) | instskip(NEXT) | instid1(VALU_DEP_1)
	v_fma_f64 v[4:5], v[6:7], v[12:13], v[4:5]
	v_add_f64 v[26:27], v[26:27], v[4:5]
	ds_load_b128 v[4:7], v25 offset:2128
	s_waitcnt lgkmcnt(0)
	v_mul_f64 v[38:39], v[6:7], v[10:11]
	v_mul_f64 v[10:11], v[4:5], v[10:11]
	s_delay_alu instid0(VALU_DEP_2) | instskip(NEXT) | instid1(VALU_DEP_2)
	v_fma_f64 v[38:39], v[4:5], v[8:9], -v[38:39]
	v_fma_f64 v[8:9], v[6:7], v[8:9], v[10:11]
	s_delay_alu instid0(VALU_DEP_2) | instskip(NEXT) | instid1(VALU_DEP_2)
	v_add_f64 v[30:31], v[30:31], v[38:39]
	v_add_f64 v[32:33], v[32:33], v[8:9]
	v_mul_f64 v[8:9], v[6:7], v[14:15]
	s_delay_alu instid0(VALU_DEP_1) | instskip(SKIP_1) | instid1(VALU_DEP_2)
	v_fma_f64 v[8:9], v[4:5], v[12:13], -v[8:9]
	v_mul_f64 v[4:5], v[4:5], v[14:15]
	v_add_f64 v[16:17], v[16:17], v[8:9]
	s_delay_alu instid0(VALU_DEP_2) | instskip(NEXT) | instid1(VALU_DEP_1)
	v_fma_f64 v[4:5], v[6:7], v[12:13], v[4:5]
	v_add_f64 v[18:19], v[18:19], v[4:5]
	ds_load_b128 v[4:7], v25 offset:96
	ds_load_b128 v[8:11], v22 offset:3072
	s_waitcnt lgkmcnt(0)
	v_mul_f64 v[12:13], v[6:7], v[10:11]
	v_mul_f64 v[14:15], v[4:5], v[10:11]
	s_delay_alu instid0(VALU_DEP_2) | instskip(NEXT) | instid1(VALU_DEP_2)
	v_fma_f64 v[12:13], v[4:5], v[8:9], -v[12:13]
	v_fma_f64 v[14:15], v[6:7], v[8:9], v[14:15]
	s_delay_alu instid0(VALU_DEP_2) | instskip(NEXT) | instid1(VALU_DEP_2)
	v_add_f64 v[34:35], v[34:35], v[12:13]
	v_add_f64 v[36:37], v[36:37], v[14:15]
	ds_load_b128 v[12:15], v22 offset:3328
	s_waitcnt lgkmcnt(0)
	v_mul_f64 v[38:39], v[6:7], v[14:15]
	s_delay_alu instid0(VALU_DEP_1) | instskip(SKIP_1) | instid1(VALU_DEP_2)
	v_fma_f64 v[38:39], v[4:5], v[12:13], -v[38:39]
	v_mul_f64 v[4:5], v[4:5], v[14:15]
	v_add_f64 v[38:39], v[28:29], v[38:39]
	s_delay_alu instid0(VALU_DEP_2) | instskip(NEXT) | instid1(VALU_DEP_1)
	v_fma_f64 v[4:5], v[6:7], v[12:13], v[4:5]
	v_add_f64 v[40:41], v[26:27], v[4:5]
	ds_load_b128 v[4:7], v25 offset:2144
	s_waitcnt lgkmcnt(0)
	v_mul_f64 v[26:27], v[6:7], v[10:11]
	v_mul_f64 v[10:11], v[4:5], v[10:11]
	s_delay_alu instid0(VALU_DEP_2) | instskip(NEXT) | instid1(VALU_DEP_2)
	v_fma_f64 v[26:27], v[4:5], v[8:9], -v[26:27]
	v_fma_f64 v[8:9], v[6:7], v[8:9], v[10:11]
	s_delay_alu instid0(VALU_DEP_2) | instskip(NEXT) | instid1(VALU_DEP_2)
	v_add_f64 v[42:43], v[30:31], v[26:27]
	v_add_f64 v[44:45], v[32:33], v[8:9]
	v_mul_f64 v[8:9], v[6:7], v[14:15]
	s_delay_alu instid0(VALU_DEP_1) | instskip(SKIP_1) | instid1(VALU_DEP_1)
	v_fma_f64 v[8:9], v[4:5], v[12:13], -v[8:9]
	v_mul_f64 v[4:5], v[4:5], v[14:15]
	v_fma_f64 v[4:5], v[6:7], v[12:13], v[4:5]
	s_delay_alu instid0(VALU_DEP_3) | instskip(NEXT) | instid1(VALU_DEP_2)
	v_add_f64 v[12:13], v[16:17], v[8:9]
	v_add_f64 v[46:47], v[18:19], v[4:5]
	ds_load_b128 v[4:7], v25 offset:112
	ds_load_b128 v[8:11], v22 offset:3584
	;; [unrolled: 1-line block ×4, first 2 shown]
	s_waitcnt lgkmcnt(0)
	s_barrier
	buffer_gl0_inv
	v_mul_f64 v[14:15], v[6:7], v[10:11]
	v_mul_f64 v[16:17], v[4:5], v[10:11]
	s_delay_alu instid0(VALU_DEP_2) | instskip(NEXT) | instid1(VALU_DEP_2)
	v_fma_f64 v[14:15], v[4:5], v[8:9], -v[14:15]
	v_fma_f64 v[18:19], v[6:7], v[8:9], v[16:17]
	s_delay_alu instid0(VALU_DEP_2) | instskip(SKIP_1) | instid1(VALU_DEP_3)
	v_add_f64 v[16:17], v[34:35], v[14:15]
	v_mul_f64 v[14:15], v[6:7], v[28:29]
	v_add_f64 v[18:19], v[36:37], v[18:19]
	s_delay_alu instid0(VALU_DEP_2) | instskip(SKIP_1) | instid1(VALU_DEP_1)
	v_fma_f64 v[14:15], v[4:5], v[26:27], -v[14:15]
	v_mul_f64 v[4:5], v[4:5], v[28:29]
	v_fma_f64 v[4:5], v[6:7], v[26:27], v[4:5]
	s_delay_alu instid0(VALU_DEP_3) | instskip(SKIP_2) | instid1(VALU_DEP_4)
	v_add_f64 v[6:7], v[38:39], v[14:15]
	v_mul_f64 v[14:15], v[32:33], v[10:11]
	v_mul_f64 v[10:11], v[30:31], v[10:11]
	v_add_f64 v[4:5], v[40:41], v[4:5]
	s_delay_alu instid0(VALU_DEP_3) | instskip(NEXT) | instid1(VALU_DEP_3)
	v_fma_f64 v[14:15], v[30:31], v[8:9], -v[14:15]
	v_fma_f64 v[8:9], v[32:33], v[8:9], v[10:11]
	s_delay_alu instid0(VALU_DEP_2) | instskip(NEXT) | instid1(VALU_DEP_2)
	v_add_f64 v[14:15], v[42:43], v[14:15]
	v_add_f64 v[10:11], v[44:45], v[8:9]
	v_mul_f64 v[8:9], v[32:33], v[28:29]
	v_mul_f64 v[28:29], v[30:31], v[28:29]
	s_delay_alu instid0(VALU_DEP_2) | instskip(NEXT) | instid1(VALU_DEP_2)
	v_fma_f64 v[8:9], v[30:31], v[26:27], -v[8:9]
	v_fma_f64 v[26:27], v[32:33], v[26:27], v[28:29]
	s_delay_alu instid0(VALU_DEP_2) | instskip(NEXT) | instid1(VALU_DEP_2)
	v_add_f64 v[12:13], v[12:13], v[8:9]
	v_add_f64 v[8:9], v[46:47], v[26:27]
	s_cbranch_scc0 .LBB233_2
.LBB233_3:
	s_clause 0x1
	s_load_b32 s3, s[0:1], 0x40
	s_load_b64 s[4:5], s[0:1], 0x48
	v_add_nc_u32_e32 v21, s13, v21
	v_add_nc_u32_e32 v0, s12, v20
	s_delay_alu instid0(VALU_DEP_1)
	v_cmp_le_i32_e64 s0, v21, v0
	v_cmp_gt_i32_e32 vcc_lo, s2, v0
	s_waitcnt lgkmcnt(0)
	v_mad_i64_i32 v[1:2], null, v21, s3, 0
	s_mul_i32 s1, s15, s5
	s_mul_hi_u32 s5, s15, s4
	s_mul_i32 s4, s15, s4
	s_add_i32 s5, s5, s1
	s_delay_alu instid0(SALU_CYCLE_1) | instskip(NEXT) | instid1(VALU_DEP_1)
	s_lshl_b64 s[4:5], s[4:5], 4
	v_lshlrev_b64 v[1:2], 4, v[1:2]
	s_add_u32 s4, s6, s4
	s_addc_u32 s5, s7, s5
	s_and_b32 s0, s0, vcc_lo
	s_delay_alu instid0(VALU_DEP_1) | instskip(NEXT) | instid1(VALU_DEP_1)
	v_add_co_u32 v20, s1, s4, v1
	v_add_co_ci_u32_e64 v22, s1, s5, v2, s1
	s_and_saveexec_b32 s1, s0
	s_cbranch_execz .LBB233_5
; %bb.4:
	v_ashrrev_i32_e32 v1, 31, v0
	s_delay_alu instid0(VALU_DEP_1) | instskip(NEXT) | instid1(VALU_DEP_1)
	v_lshlrev_b64 v[1:2], 4, v[0:1]
	v_add_co_u32 v1, s0, v20, v1
	s_delay_alu instid0(VALU_DEP_1)
	v_add_co_ci_u32_e64 v2, s0, v22, v2, s0
	global_load_b128 v[23:26], v[1:2], off
	s_waitcnt vmcnt(0)
	v_add_f64 v[16:17], v[16:17], v[23:24]
	v_add_f64 v[18:19], v[18:19], v[25:26]
	global_store_b128 v[1:2], v[16:19], off
.LBB233_5:
	s_or_b32 exec_lo, exec_lo, s1
	v_add_nc_u32_e32 v2, 16, v0
	s_delay_alu instid0(VALU_DEP_1) | instskip(SKIP_1) | instid1(VALU_DEP_1)
	v_cmp_le_i32_e64 s1, v21, v2
	v_cmp_gt_i32_e64 s0, s2, v2
	s_and_b32 s1, s1, s0
	s_delay_alu instid0(SALU_CYCLE_1)
	s_and_saveexec_b32 s2, s1
	s_cbranch_execz .LBB233_7
; %bb.6:
	v_ashrrev_i32_e32 v3, 31, v2
	s_delay_alu instid0(VALU_DEP_1) | instskip(NEXT) | instid1(VALU_DEP_1)
	v_lshlrev_b64 v[16:17], 4, v[2:3]
	v_add_co_u32 v23, s1, v20, v16
	s_delay_alu instid0(VALU_DEP_1)
	v_add_co_ci_u32_e64 v24, s1, v22, v17, s1
	global_load_b128 v[16:19], v[23:24], off
	s_waitcnt vmcnt(0)
	v_add_f64 v[16:17], v[6:7], v[16:17]
	v_add_f64 v[18:19], v[4:5], v[18:19]
	global_store_b128 v[23:24], v[16:19], off
.LBB233_7:
	s_or_b32 exec_lo, exec_lo, s2
	v_add_nc_u32_e32 v3, 16, v21
	s_delay_alu instid0(VALU_DEP_1) | instskip(SKIP_1) | instid1(VALU_DEP_2)
	v_mad_i64_i32 v[4:5], null, v3, s3, 0
	v_cmp_le_i32_e64 s1, v3, v0
	v_lshlrev_b64 v[4:5], 4, v[4:5]
	s_delay_alu instid0(VALU_DEP_1) | instskip(NEXT) | instid1(VALU_DEP_1)
	v_add_co_u32 v4, s2, s4, v4
	v_add_co_ci_u32_e64 v5, s2, s5, v5, s2
	s_delay_alu instid0(VALU_DEP_4) | instskip(NEXT) | instid1(SALU_CYCLE_1)
	s_and_b32 s2, s1, vcc_lo
	s_and_saveexec_b32 s1, s2
	s_cbranch_execz .LBB233_9
; %bb.8:
	v_ashrrev_i32_e32 v1, 31, v0
	s_delay_alu instid0(VALU_DEP_1) | instskip(NEXT) | instid1(VALU_DEP_1)
	v_lshlrev_b64 v[0:1], 4, v[0:1]
	v_add_co_u32 v0, vcc_lo, v4, v0
	s_delay_alu instid0(VALU_DEP_2)
	v_add_co_ci_u32_e32 v1, vcc_lo, v5, v1, vcc_lo
	global_load_b128 v[16:19], v[0:1], off
	s_waitcnt vmcnt(0)
	v_add_f64 v[14:15], v[14:15], v[16:17]
	v_add_f64 v[16:17], v[10:11], v[18:19]
	global_store_b128 v[0:1], v[14:17], off
.LBB233_9:
	s_or_b32 exec_lo, exec_lo, s1
	v_cmp_le_i32_e32 vcc_lo, v3, v2
	s_and_b32 s0, vcc_lo, s0
	s_delay_alu instid0(SALU_CYCLE_1)
	s_and_saveexec_b32 s1, s0
	s_cbranch_execz .LBB233_11
; %bb.10:
	v_ashrrev_i32_e32 v3, 31, v2
	s_delay_alu instid0(VALU_DEP_1) | instskip(NEXT) | instid1(VALU_DEP_1)
	v_lshlrev_b64 v[0:1], 4, v[2:3]
	v_add_co_u32 v4, vcc_lo, v4, v0
	s_delay_alu instid0(VALU_DEP_2)
	v_add_co_ci_u32_e32 v5, vcc_lo, v5, v1, vcc_lo
	global_load_b128 v[0:3], v[4:5], off
	s_waitcnt vmcnt(0)
	v_add_f64 v[0:1], v[12:13], v[0:1]
	v_add_f64 v[2:3], v[8:9], v[2:3]
	global_store_b128 v[4:5], v[0:3], off
.LBB233_11:
	s_nop 0
	s_sendmsg sendmsg(MSG_DEALLOC_VGPRS)
	s_endpgm
	.section	.rodata,"a",@progbits
	.p2align	6, 0x0
	.amdhsa_kernel _ZL37rocblas_syrkx_herkx_restricted_kernelIi19rocblas_complex_numIdELi16ELi32ELi8ELi1ELi1ELb0ELc84ELc76EKS1_S1_EviT_PT9_S3_lS5_S3_lPT10_S3_li
		.amdhsa_group_segment_fixed_size 8192
		.amdhsa_private_segment_fixed_size 0
		.amdhsa_kernarg_size 84
		.amdhsa_user_sgpr_count 13
		.amdhsa_user_sgpr_dispatch_ptr 0
		.amdhsa_user_sgpr_queue_ptr 0
		.amdhsa_user_sgpr_kernarg_segment_ptr 1
		.amdhsa_user_sgpr_dispatch_id 0
		.amdhsa_user_sgpr_private_segment_size 0
		.amdhsa_wavefront_size32 1
		.amdhsa_uses_dynamic_stack 0
		.amdhsa_enable_private_segment 0
		.amdhsa_system_sgpr_workgroup_id_x 1
		.amdhsa_system_sgpr_workgroup_id_y 1
		.amdhsa_system_sgpr_workgroup_id_z 1
		.amdhsa_system_sgpr_workgroup_info 0
		.amdhsa_system_vgpr_workitem_id 1
		.amdhsa_next_free_vgpr 52
		.amdhsa_next_free_sgpr 20
		.amdhsa_reserve_vcc 1
		.amdhsa_float_round_mode_32 0
		.amdhsa_float_round_mode_16_64 0
		.amdhsa_float_denorm_mode_32 3
		.amdhsa_float_denorm_mode_16_64 3
		.amdhsa_dx10_clamp 1
		.amdhsa_ieee_mode 1
		.amdhsa_fp16_overflow 0
		.amdhsa_workgroup_processor_mode 1
		.amdhsa_memory_ordered 1
		.amdhsa_forward_progress 0
		.amdhsa_shared_vgpr_count 0
		.amdhsa_exception_fp_ieee_invalid_op 0
		.amdhsa_exception_fp_denorm_src 0
		.amdhsa_exception_fp_ieee_div_zero 0
		.amdhsa_exception_fp_ieee_overflow 0
		.amdhsa_exception_fp_ieee_underflow 0
		.amdhsa_exception_fp_ieee_inexact 0
		.amdhsa_exception_int_div_zero 0
	.end_amdhsa_kernel
	.section	.text._ZL37rocblas_syrkx_herkx_restricted_kernelIi19rocblas_complex_numIdELi16ELi32ELi8ELi1ELi1ELb0ELc84ELc76EKS1_S1_EviT_PT9_S3_lS5_S3_lPT10_S3_li,"axG",@progbits,_ZL37rocblas_syrkx_herkx_restricted_kernelIi19rocblas_complex_numIdELi16ELi32ELi8ELi1ELi1ELb0ELc84ELc76EKS1_S1_EviT_PT9_S3_lS5_S3_lPT10_S3_li,comdat
.Lfunc_end233:
	.size	_ZL37rocblas_syrkx_herkx_restricted_kernelIi19rocblas_complex_numIdELi16ELi32ELi8ELi1ELi1ELb0ELc84ELc76EKS1_S1_EviT_PT9_S3_lS5_S3_lPT10_S3_li, .Lfunc_end233-_ZL37rocblas_syrkx_herkx_restricted_kernelIi19rocblas_complex_numIdELi16ELi32ELi8ELi1ELi1ELb0ELc84ELc76EKS1_S1_EviT_PT9_S3_lS5_S3_lPT10_S3_li
                                        ; -- End function
	.section	.AMDGPU.csdata,"",@progbits
; Kernel info:
; codeLenInByte = 3284
; NumSgprs: 22
; NumVgprs: 52
; ScratchSize: 0
; MemoryBound: 0
; FloatMode: 240
; IeeeMode: 1
; LDSByteSize: 8192 bytes/workgroup (compile time only)
; SGPRBlocks: 2
; VGPRBlocks: 6
; NumSGPRsForWavesPerEU: 22
; NumVGPRsForWavesPerEU: 52
; Occupancy: 16
; WaveLimiterHint : 0
; COMPUTE_PGM_RSRC2:SCRATCH_EN: 0
; COMPUTE_PGM_RSRC2:USER_SGPR: 13
; COMPUTE_PGM_RSRC2:TRAP_HANDLER: 0
; COMPUTE_PGM_RSRC2:TGID_X_EN: 1
; COMPUTE_PGM_RSRC2:TGID_Y_EN: 1
; COMPUTE_PGM_RSRC2:TGID_Z_EN: 1
; COMPUTE_PGM_RSRC2:TIDIG_COMP_CNT: 1
	.section	.text._ZL37rocblas_syrkx_herkx_restricted_kernelIi19rocblas_complex_numIdELi16ELi32ELi8ELi1ELi1ELb0ELc67ELc76EKS1_S1_EviT_PT9_S3_lS5_S3_lPT10_S3_li,"axG",@progbits,_ZL37rocblas_syrkx_herkx_restricted_kernelIi19rocblas_complex_numIdELi16ELi32ELi8ELi1ELi1ELb0ELc67ELc76EKS1_S1_EviT_PT9_S3_lS5_S3_lPT10_S3_li,comdat
	.globl	_ZL37rocblas_syrkx_herkx_restricted_kernelIi19rocblas_complex_numIdELi16ELi32ELi8ELi1ELi1ELb0ELc67ELc76EKS1_S1_EviT_PT9_S3_lS5_S3_lPT10_S3_li ; -- Begin function _ZL37rocblas_syrkx_herkx_restricted_kernelIi19rocblas_complex_numIdELi16ELi32ELi8ELi1ELi1ELb0ELc67ELc76EKS1_S1_EviT_PT9_S3_lS5_S3_lPT10_S3_li
	.p2align	8
	.type	_ZL37rocblas_syrkx_herkx_restricted_kernelIi19rocblas_complex_numIdELi16ELi32ELi8ELi1ELi1ELb0ELc67ELc76EKS1_S1_EviT_PT9_S3_lS5_S3_lPT10_S3_li,@function
_ZL37rocblas_syrkx_herkx_restricted_kernelIi19rocblas_complex_numIdELi16ELi32ELi8ELi1ELi1ELb0ELc67ELc76EKS1_S1_EviT_PT9_S3_lS5_S3_lPT10_S3_li: ; @_ZL37rocblas_syrkx_herkx_restricted_kernelIi19rocblas_complex_numIdELi16ELi32ELi8ELi1ELi1ELb0ELc67ELc76EKS1_S1_EviT_PT9_S3_lS5_S3_lPT10_S3_li
; %bb.0:
	s_clause 0x1
	s_load_b64 s[2:3], s[0:1], 0x0
	s_load_b128 s[4:7], s[0:1], 0x30
	v_mov_b32_e32 v16, 0
	v_dual_mov_b32 v17, 0 :: v_dual_and_b32 v20, 0x3ff, v0
	v_bfe_u32 v21, v0, 10, 10
	s_delay_alu instid0(VALU_DEP_3) | instskip(NEXT) | instid1(VALU_DEP_3)
	v_mov_b32_e32 v6, v16
	v_dual_mov_b32 v4, v16 :: v_dual_mov_b32 v5, v17
	v_dual_mov_b32 v19, v17 :: v_dual_mov_b32 v18, v16
	;; [unrolled: 1-line block ×6, first 2 shown]
	v_mov_b32_e32 v9, v17
	s_lshl_b32 s12, s13, 5
	s_lshl_b32 s13, s14, 5
	s_waitcnt lgkmcnt(0)
	s_cmp_lt_i32 s3, 1
	s_mov_b32 s14, 0
	s_cbranch_scc1 .LBB234_3
; %bb.1:
	s_clause 0x3
	s_load_b32 s18, s[0:1], 0x10
	s_load_b128 s[8:11], s[0:1], 0x18
	s_load_b64 s[16:17], s[0:1], 0x8
	s_load_b32 s19, s[0:1], 0x28
	v_lshl_add_u32 v2, v21, 4, v20
	v_dual_mov_b32 v1, 0 :: v_dual_and_b32 v0, 7, v20
	v_lshlrev_b32_e32 v22, 4, v20
	s_mul_i32 s5, s5, s15
	s_delay_alu instid0(VALU_DEP_3)
	v_lshrrev_b32_e32 v4, 3, v2
	v_and_b32_e32 v5, 31, v2
	v_lshlrev_b32_e32 v3, 4, v0
	v_lshrrev_b32_e32 v2, 5, v2
	v_lshl_add_u32 v25, v21, 7, 0x1000
	v_add_nc_u32_e32 v9, s13, v4
	v_add_nc_u32_e32 v8, s12, v5
	v_lshl_or_b32 v7, v4, 7, v3
	v_dual_mov_b32 v3, v1 :: v_dual_lshlrev_b32 v6, 4, v5
	s_waitcnt lgkmcnt(0)
	s_delay_alu instid0(VALU_DEP_1) | instskip(NEXT) | instid1(VALU_DEP_2)
	v_mad_i64_i32 v[4:5], null, s18, v8, v[2:3]
	v_lshl_or_b32 v23, v2, 9, v6
	s_mul_i32 s9, s9, s15
	s_mul_hi_u32 s18, s8, s15
	v_mad_i64_i32 v[2:3], null, s19, v9, v[0:1]
	s_mul_i32 s8, s8, s15
	s_add_i32 s9, s18, s9
	s_delay_alu instid0(VALU_DEP_3)
	v_lshlrev_b64 v[0:1], 4, v[4:5]
	s_lshl_b64 s[8:9], s[8:9], 4
	v_mov_b32_e32 v8, 0
	v_mov_b32_e32 v9, 0
	s_add_u32 s8, s16, s8
	s_mul_hi_u32 s16, s4, s15
	s_addc_u32 s9, s17, s9
	s_add_i32 s5, s16, s5
	s_mul_i32 s4, s4, s15
	v_lshlrev_b64 v[2:3], 4, v[2:3]
	s_lshl_b64 s[4:5], s[4:5], 4
	v_add_co_u32 v0, vcc_lo, s8, v0
	s_add_u32 s4, s10, s4
	v_add_co_ci_u32_e32 v1, vcc_lo, s9, v1, vcc_lo
	s_addc_u32 s5, s11, s5
	v_add_co_u32 v2, vcc_lo, s4, v2
	v_add_co_ci_u32_e32 v3, vcc_lo, s5, v3, vcc_lo
	v_add_co_u32 v0, vcc_lo, v0, 8
	v_add_co_ci_u32_e32 v1, vcc_lo, 0, v1, vcc_lo
	s_delay_alu instid0(VALU_DEP_4)
	v_add_co_u32 v2, vcc_lo, v2, 8
	v_dual_mov_b32 v13, v9 :: v_dual_add_nc_u32 v24, 0x1000, v7
	v_add_co_ci_u32_e32 v3, vcc_lo, 0, v3, vcc_lo
	v_dual_mov_b32 v12, v8 :: v_dual_mov_b32 v11, v9
	v_dual_mov_b32 v10, v8 :: v_dual_mov_b32 v15, v9
	v_mov_b32_e32 v14, v8
	v_dual_mov_b32 v4, v8 :: v_dual_mov_b32 v5, v9
	v_dual_mov_b32 v6, v8 :: v_dual_mov_b32 v7, v9
	;; [unrolled: 1-line block ×4, first 2 shown]
.LBB234_2:                              ; =>This Inner Loop Header: Depth=1
	global_load_b128 v[26:29], v[0:1], off offset:-8
	v_add_co_u32 v0, vcc_lo, 0x80, v0
	v_add_co_ci_u32_e32 v1, vcc_lo, 0, v1, vcc_lo
	s_add_i32 s14, s14, 8
	s_delay_alu instid0(SALU_CYCLE_1)
	s_cmp_ge_i32 s14, s3
	s_waitcnt vmcnt(0)
	ds_store_b128 v23, v[26:29]
	global_load_b128 v[26:29], v[2:3], off offset:-8
	v_add_co_u32 v2, vcc_lo, 0x80, v2
	v_add_co_ci_u32_e32 v3, vcc_lo, 0, v3, vcc_lo
	s_waitcnt vmcnt(0)
	ds_store_b128 v24, v[26:29]
	s_waitcnt lgkmcnt(0)
	s_barrier
	buffer_gl0_inv
	ds_load_b128 v[26:29], v25
	ds_load_b128 v[30:33], v25 offset:16
	ds_load_b128 v[34:37], v25 offset:32
	;; [unrolled: 1-line block ×3, first 2 shown]
	ds_load_b128 v[42:45], v22
	s_waitcnt lgkmcnt(0)
	v_mul_f64 v[46:47], v[28:29], v[44:45]
	v_mul_f64 v[48:49], v[26:27], v[44:45]
	s_delay_alu instid0(VALU_DEP_2) | instskip(NEXT) | instid1(VALU_DEP_2)
	v_fma_f64 v[46:47], v[26:27], v[42:43], -v[46:47]
	v_fma_f64 v[48:49], v[28:29], v[42:43], v[48:49]
	s_delay_alu instid0(VALU_DEP_2) | instskip(NEXT) | instid1(VALU_DEP_2)
	v_add_f64 v[46:47], v[16:17], v[46:47]
	v_add_f64 v[48:49], v[18:19], v[48:49]
	ds_load_b128 v[16:19], v22 offset:256
	s_waitcnt lgkmcnt(0)
	v_mul_f64 v[50:51], v[28:29], v[18:19]
	s_delay_alu instid0(VALU_DEP_1) | instskip(SKIP_1) | instid1(VALU_DEP_1)
	v_fma_f64 v[50:51], v[26:27], v[16:17], -v[50:51]
	v_mul_f64 v[26:27], v[26:27], v[18:19]
	v_fma_f64 v[26:27], v[28:29], v[16:17], v[26:27]
	s_delay_alu instid0(VALU_DEP_3) | instskip(NEXT) | instid1(VALU_DEP_2)
	v_add_f64 v[28:29], v[6:7], v[50:51]
	v_add_f64 v[26:27], v[4:5], v[26:27]
	ds_load_b128 v[4:7], v25 offset:2048
	s_waitcnt lgkmcnt(0)
	v_mul_f64 v[50:51], v[6:7], v[44:45]
	v_mul_f64 v[44:45], v[4:5], v[44:45]
	s_delay_alu instid0(VALU_DEP_2) | instskip(NEXT) | instid1(VALU_DEP_2)
	v_fma_f64 v[50:51], v[4:5], v[42:43], -v[50:51]
	v_fma_f64 v[42:43], v[6:7], v[42:43], v[44:45]
	s_delay_alu instid0(VALU_DEP_2) | instskip(NEXT) | instid1(VALU_DEP_2)
	v_add_f64 v[44:45], v[14:15], v[50:51]
	v_add_f64 v[42:43], v[10:11], v[42:43]
	v_mul_f64 v[10:11], v[6:7], v[18:19]
	s_delay_alu instid0(VALU_DEP_1) | instskip(SKIP_1) | instid1(VALU_DEP_1)
	v_fma_f64 v[10:11], v[4:5], v[16:17], -v[10:11]
	v_mul_f64 v[4:5], v[4:5], v[18:19]
	v_fma_f64 v[4:5], v[6:7], v[16:17], v[4:5]
	s_delay_alu instid0(VALU_DEP_3) | instskip(NEXT) | instid1(VALU_DEP_2)
	v_add_f64 v[16:17], v[12:13], v[10:11]
	v_add_f64 v[18:19], v[8:9], v[4:5]
	ds_load_b128 v[4:7], v22 offset:512
	s_waitcnt lgkmcnt(0)
	v_mul_f64 v[8:9], v[32:33], v[6:7]
	v_mul_f64 v[10:11], v[30:31], v[6:7]
	s_delay_alu instid0(VALU_DEP_2) | instskip(NEXT) | instid1(VALU_DEP_2)
	v_fma_f64 v[8:9], v[30:31], v[4:5], -v[8:9]
	v_fma_f64 v[10:11], v[32:33], v[4:5], v[10:11]
	s_delay_alu instid0(VALU_DEP_2) | instskip(NEXT) | instid1(VALU_DEP_2)
	v_add_f64 v[46:47], v[46:47], v[8:9]
	v_add_f64 v[48:49], v[48:49], v[10:11]
	ds_load_b128 v[8:11], v22 offset:768
	s_waitcnt lgkmcnt(0)
	v_mul_f64 v[12:13], v[32:33], v[10:11]
	v_mul_f64 v[14:15], v[30:31], v[10:11]
	s_delay_alu instid0(VALU_DEP_2) | instskip(NEXT) | instid1(VALU_DEP_2)
	v_fma_f64 v[12:13], v[30:31], v[8:9], -v[12:13]
	v_fma_f64 v[14:15], v[32:33], v[8:9], v[14:15]
	s_delay_alu instid0(VALU_DEP_2) | instskip(NEXT) | instid1(VALU_DEP_2)
	v_add_f64 v[28:29], v[28:29], v[12:13]
	v_add_f64 v[26:27], v[26:27], v[14:15]
	ds_load_b128 v[12:15], v25 offset:2064
	s_waitcnt lgkmcnt(0)
	v_mul_f64 v[30:31], v[14:15], v[6:7]
	v_mul_f64 v[6:7], v[12:13], v[6:7]
	s_delay_alu instid0(VALU_DEP_2) | instskip(NEXT) | instid1(VALU_DEP_2)
	v_fma_f64 v[30:31], v[12:13], v[4:5], -v[30:31]
	v_fma_f64 v[4:5], v[14:15], v[4:5], v[6:7]
	v_mul_f64 v[6:7], v[12:13], v[10:11]
	s_delay_alu instid0(VALU_DEP_3) | instskip(NEXT) | instid1(VALU_DEP_3)
	v_add_f64 v[30:31], v[44:45], v[30:31]
	v_add_f64 v[32:33], v[42:43], v[4:5]
	v_mul_f64 v[4:5], v[14:15], v[10:11]
	s_delay_alu instid0(VALU_DEP_4) | instskip(NEXT) | instid1(VALU_DEP_2)
	v_fma_f64 v[6:7], v[14:15], v[8:9], v[6:7]
	v_fma_f64 v[4:5], v[12:13], v[8:9], -v[4:5]
	s_delay_alu instid0(VALU_DEP_2) | instskip(NEXT) | instid1(VALU_DEP_2)
	v_add_f64 v[18:19], v[18:19], v[6:7]
	v_add_f64 v[16:17], v[16:17], v[4:5]
	ds_load_b128 v[4:7], v22 offset:1024
	s_waitcnt lgkmcnt(0)
	v_mul_f64 v[8:9], v[36:37], v[6:7]
	v_mul_f64 v[10:11], v[34:35], v[6:7]
	s_delay_alu instid0(VALU_DEP_2) | instskip(NEXT) | instid1(VALU_DEP_2)
	v_fma_f64 v[8:9], v[34:35], v[4:5], -v[8:9]
	v_fma_f64 v[10:11], v[36:37], v[4:5], v[10:11]
	s_delay_alu instid0(VALU_DEP_2) | instskip(NEXT) | instid1(VALU_DEP_2)
	v_add_f64 v[42:43], v[46:47], v[8:9]
	v_add_f64 v[44:45], v[48:49], v[10:11]
	ds_load_b128 v[8:11], v22 offset:1280
	s_waitcnt lgkmcnt(0)
	v_mul_f64 v[12:13], v[36:37], v[10:11]
	v_mul_f64 v[14:15], v[34:35], v[10:11]
	s_delay_alu instid0(VALU_DEP_2) | instskip(NEXT) | instid1(VALU_DEP_2)
	v_fma_f64 v[12:13], v[34:35], v[8:9], -v[12:13]
	v_fma_f64 v[14:15], v[36:37], v[8:9], v[14:15]
	s_delay_alu instid0(VALU_DEP_2) | instskip(NEXT) | instid1(VALU_DEP_2)
	v_add_f64 v[28:29], v[28:29], v[12:13]
	v_add_f64 v[26:27], v[26:27], v[14:15]
	ds_load_b128 v[12:15], v25 offset:2080
	s_waitcnt lgkmcnt(0)
	v_mul_f64 v[34:35], v[14:15], v[6:7]
	v_mul_f64 v[6:7], v[12:13], v[6:7]
	s_delay_alu instid0(VALU_DEP_2) | instskip(NEXT) | instid1(VALU_DEP_2)
	v_fma_f64 v[34:35], v[12:13], v[4:5], -v[34:35]
	v_fma_f64 v[4:5], v[14:15], v[4:5], v[6:7]
	v_mul_f64 v[6:7], v[12:13], v[10:11]
	s_delay_alu instid0(VALU_DEP_3) | instskip(NEXT) | instid1(VALU_DEP_3)
	v_add_f64 v[30:31], v[30:31], v[34:35]
	v_add_f64 v[32:33], v[32:33], v[4:5]
	v_mul_f64 v[4:5], v[14:15], v[10:11]
	s_delay_alu instid0(VALU_DEP_4) | instskip(NEXT) | instid1(VALU_DEP_2)
	v_fma_f64 v[6:7], v[14:15], v[8:9], v[6:7]
	v_fma_f64 v[4:5], v[12:13], v[8:9], -v[4:5]
	s_delay_alu instid0(VALU_DEP_2) | instskip(NEXT) | instid1(VALU_DEP_2)
	;; [unrolled: 38-line block ×3, first 2 shown]
	v_add_f64 v[18:19], v[18:19], v[6:7]
	v_add_f64 v[16:17], v[16:17], v[4:5]
	ds_load_b128 v[4:7], v25 offset:64
	ds_load_b128 v[8:11], v22 offset:2048
	s_waitcnt lgkmcnt(0)
	v_mul_f64 v[12:13], v[6:7], v[10:11]
	v_mul_f64 v[14:15], v[4:5], v[10:11]
	s_delay_alu instid0(VALU_DEP_2) | instskip(NEXT) | instid1(VALU_DEP_2)
	v_fma_f64 v[12:13], v[4:5], v[8:9], -v[12:13]
	v_fma_f64 v[14:15], v[6:7], v[8:9], v[14:15]
	s_delay_alu instid0(VALU_DEP_2) | instskip(NEXT) | instid1(VALU_DEP_2)
	v_add_f64 v[34:35], v[34:35], v[12:13]
	v_add_f64 v[36:37], v[36:37], v[14:15]
	ds_load_b128 v[12:15], v22 offset:2304
	s_waitcnt lgkmcnt(0)
	v_mul_f64 v[38:39], v[6:7], v[14:15]
	s_delay_alu instid0(VALU_DEP_1) | instskip(SKIP_1) | instid1(VALU_DEP_2)
	v_fma_f64 v[38:39], v[4:5], v[12:13], -v[38:39]
	v_mul_f64 v[4:5], v[4:5], v[14:15]
	v_add_f64 v[28:29], v[28:29], v[38:39]
	s_delay_alu instid0(VALU_DEP_2) | instskip(NEXT) | instid1(VALU_DEP_1)
	v_fma_f64 v[4:5], v[6:7], v[12:13], v[4:5]
	v_add_f64 v[26:27], v[26:27], v[4:5]
	ds_load_b128 v[4:7], v25 offset:2112
	s_waitcnt lgkmcnt(0)
	v_mul_f64 v[38:39], v[6:7], v[10:11]
	v_mul_f64 v[10:11], v[4:5], v[10:11]
	s_delay_alu instid0(VALU_DEP_2) | instskip(NEXT) | instid1(VALU_DEP_2)
	v_fma_f64 v[38:39], v[4:5], v[8:9], -v[38:39]
	v_fma_f64 v[8:9], v[6:7], v[8:9], v[10:11]
	s_delay_alu instid0(VALU_DEP_2) | instskip(NEXT) | instid1(VALU_DEP_2)
	v_add_f64 v[30:31], v[30:31], v[38:39]
	v_add_f64 v[32:33], v[32:33], v[8:9]
	v_mul_f64 v[8:9], v[6:7], v[14:15]
	s_delay_alu instid0(VALU_DEP_1) | instskip(SKIP_1) | instid1(VALU_DEP_2)
	v_fma_f64 v[8:9], v[4:5], v[12:13], -v[8:9]
	v_mul_f64 v[4:5], v[4:5], v[14:15]
	v_add_f64 v[16:17], v[16:17], v[8:9]
	s_delay_alu instid0(VALU_DEP_2) | instskip(NEXT) | instid1(VALU_DEP_1)
	v_fma_f64 v[4:5], v[6:7], v[12:13], v[4:5]
	v_add_f64 v[18:19], v[18:19], v[4:5]
	ds_load_b128 v[4:7], v25 offset:80
	ds_load_b128 v[8:11], v22 offset:2560
	s_waitcnt lgkmcnt(0)
	v_mul_f64 v[12:13], v[6:7], v[10:11]
	v_mul_f64 v[14:15], v[4:5], v[10:11]
	s_delay_alu instid0(VALU_DEP_2) | instskip(NEXT) | instid1(VALU_DEP_2)
	v_fma_f64 v[12:13], v[4:5], v[8:9], -v[12:13]
	v_fma_f64 v[14:15], v[6:7], v[8:9], v[14:15]
	s_delay_alu instid0(VALU_DEP_2) | instskip(NEXT) | instid1(VALU_DEP_2)
	v_add_f64 v[34:35], v[34:35], v[12:13]
	v_add_f64 v[36:37], v[36:37], v[14:15]
	ds_load_b128 v[12:15], v22 offset:2816
	s_waitcnt lgkmcnt(0)
	v_mul_f64 v[38:39], v[6:7], v[14:15]
	s_delay_alu instid0(VALU_DEP_1) | instskip(SKIP_1) | instid1(VALU_DEP_2)
	v_fma_f64 v[38:39], v[4:5], v[12:13], -v[38:39]
	v_mul_f64 v[4:5], v[4:5], v[14:15]
	v_add_f64 v[28:29], v[28:29], v[38:39]
	s_delay_alu instid0(VALU_DEP_2) | instskip(NEXT) | instid1(VALU_DEP_1)
	v_fma_f64 v[4:5], v[6:7], v[12:13], v[4:5]
	v_add_f64 v[26:27], v[26:27], v[4:5]
	ds_load_b128 v[4:7], v25 offset:2128
	s_waitcnt lgkmcnt(0)
	v_mul_f64 v[38:39], v[6:7], v[10:11]
	v_mul_f64 v[10:11], v[4:5], v[10:11]
	s_delay_alu instid0(VALU_DEP_2) | instskip(NEXT) | instid1(VALU_DEP_2)
	v_fma_f64 v[38:39], v[4:5], v[8:9], -v[38:39]
	v_fma_f64 v[8:9], v[6:7], v[8:9], v[10:11]
	s_delay_alu instid0(VALU_DEP_2) | instskip(NEXT) | instid1(VALU_DEP_2)
	v_add_f64 v[30:31], v[30:31], v[38:39]
	v_add_f64 v[32:33], v[32:33], v[8:9]
	v_mul_f64 v[8:9], v[6:7], v[14:15]
	s_delay_alu instid0(VALU_DEP_1) | instskip(SKIP_1) | instid1(VALU_DEP_2)
	v_fma_f64 v[8:9], v[4:5], v[12:13], -v[8:9]
	v_mul_f64 v[4:5], v[4:5], v[14:15]
	v_add_f64 v[16:17], v[16:17], v[8:9]
	s_delay_alu instid0(VALU_DEP_2) | instskip(NEXT) | instid1(VALU_DEP_1)
	v_fma_f64 v[4:5], v[6:7], v[12:13], v[4:5]
	v_add_f64 v[18:19], v[18:19], v[4:5]
	ds_load_b128 v[4:7], v25 offset:96
	ds_load_b128 v[8:11], v22 offset:3072
	s_waitcnt lgkmcnt(0)
	v_mul_f64 v[12:13], v[6:7], v[10:11]
	v_mul_f64 v[14:15], v[4:5], v[10:11]
	s_delay_alu instid0(VALU_DEP_2) | instskip(NEXT) | instid1(VALU_DEP_2)
	v_fma_f64 v[12:13], v[4:5], v[8:9], -v[12:13]
	v_fma_f64 v[14:15], v[6:7], v[8:9], v[14:15]
	s_delay_alu instid0(VALU_DEP_2) | instskip(NEXT) | instid1(VALU_DEP_2)
	v_add_f64 v[34:35], v[34:35], v[12:13]
	v_add_f64 v[36:37], v[36:37], v[14:15]
	ds_load_b128 v[12:15], v22 offset:3328
	s_waitcnt lgkmcnt(0)
	v_mul_f64 v[38:39], v[6:7], v[14:15]
	s_delay_alu instid0(VALU_DEP_1) | instskip(SKIP_1) | instid1(VALU_DEP_2)
	v_fma_f64 v[38:39], v[4:5], v[12:13], -v[38:39]
	v_mul_f64 v[4:5], v[4:5], v[14:15]
	v_add_f64 v[38:39], v[28:29], v[38:39]
	s_delay_alu instid0(VALU_DEP_2) | instskip(NEXT) | instid1(VALU_DEP_1)
	v_fma_f64 v[4:5], v[6:7], v[12:13], v[4:5]
	v_add_f64 v[40:41], v[26:27], v[4:5]
	ds_load_b128 v[4:7], v25 offset:2144
	s_waitcnt lgkmcnt(0)
	v_mul_f64 v[26:27], v[6:7], v[10:11]
	v_mul_f64 v[10:11], v[4:5], v[10:11]
	s_delay_alu instid0(VALU_DEP_2) | instskip(NEXT) | instid1(VALU_DEP_2)
	v_fma_f64 v[26:27], v[4:5], v[8:9], -v[26:27]
	v_fma_f64 v[8:9], v[6:7], v[8:9], v[10:11]
	s_delay_alu instid0(VALU_DEP_2) | instskip(NEXT) | instid1(VALU_DEP_2)
	v_add_f64 v[42:43], v[30:31], v[26:27]
	v_add_f64 v[44:45], v[32:33], v[8:9]
	v_mul_f64 v[8:9], v[6:7], v[14:15]
	s_delay_alu instid0(VALU_DEP_1) | instskip(SKIP_1) | instid1(VALU_DEP_1)
	v_fma_f64 v[8:9], v[4:5], v[12:13], -v[8:9]
	v_mul_f64 v[4:5], v[4:5], v[14:15]
	v_fma_f64 v[4:5], v[6:7], v[12:13], v[4:5]
	s_delay_alu instid0(VALU_DEP_3) | instskip(NEXT) | instid1(VALU_DEP_2)
	v_add_f64 v[12:13], v[16:17], v[8:9]
	v_add_f64 v[46:47], v[18:19], v[4:5]
	ds_load_b128 v[4:7], v25 offset:112
	ds_load_b128 v[8:11], v22 offset:3584
	;; [unrolled: 1-line block ×4, first 2 shown]
	s_waitcnt lgkmcnt(0)
	s_barrier
	buffer_gl0_inv
	v_mul_f64 v[14:15], v[6:7], v[10:11]
	v_mul_f64 v[16:17], v[4:5], v[10:11]
	s_delay_alu instid0(VALU_DEP_2) | instskip(NEXT) | instid1(VALU_DEP_2)
	v_fma_f64 v[14:15], v[4:5], v[8:9], -v[14:15]
	v_fma_f64 v[18:19], v[6:7], v[8:9], v[16:17]
	s_delay_alu instid0(VALU_DEP_2) | instskip(SKIP_1) | instid1(VALU_DEP_3)
	v_add_f64 v[16:17], v[34:35], v[14:15]
	v_mul_f64 v[14:15], v[6:7], v[28:29]
	v_add_f64 v[18:19], v[36:37], v[18:19]
	s_delay_alu instid0(VALU_DEP_2) | instskip(SKIP_1) | instid1(VALU_DEP_1)
	v_fma_f64 v[14:15], v[4:5], v[26:27], -v[14:15]
	v_mul_f64 v[4:5], v[4:5], v[28:29]
	v_fma_f64 v[4:5], v[6:7], v[26:27], v[4:5]
	s_delay_alu instid0(VALU_DEP_3) | instskip(SKIP_2) | instid1(VALU_DEP_4)
	v_add_f64 v[6:7], v[38:39], v[14:15]
	v_mul_f64 v[14:15], v[32:33], v[10:11]
	v_mul_f64 v[10:11], v[30:31], v[10:11]
	v_add_f64 v[4:5], v[40:41], v[4:5]
	s_delay_alu instid0(VALU_DEP_3) | instskip(NEXT) | instid1(VALU_DEP_3)
	v_fma_f64 v[14:15], v[30:31], v[8:9], -v[14:15]
	v_fma_f64 v[8:9], v[32:33], v[8:9], v[10:11]
	s_delay_alu instid0(VALU_DEP_2) | instskip(NEXT) | instid1(VALU_DEP_2)
	v_add_f64 v[14:15], v[42:43], v[14:15]
	v_add_f64 v[10:11], v[44:45], v[8:9]
	v_mul_f64 v[8:9], v[32:33], v[28:29]
	v_mul_f64 v[28:29], v[30:31], v[28:29]
	s_delay_alu instid0(VALU_DEP_2) | instskip(NEXT) | instid1(VALU_DEP_2)
	v_fma_f64 v[8:9], v[30:31], v[26:27], -v[8:9]
	v_fma_f64 v[26:27], v[32:33], v[26:27], v[28:29]
	s_delay_alu instid0(VALU_DEP_2) | instskip(NEXT) | instid1(VALU_DEP_2)
	v_add_f64 v[12:13], v[12:13], v[8:9]
	v_add_f64 v[8:9], v[46:47], v[26:27]
	s_cbranch_scc0 .LBB234_2
.LBB234_3:
	s_clause 0x1
	s_load_b32 s3, s[0:1], 0x40
	s_load_b64 s[4:5], s[0:1], 0x48
	v_add_nc_u32_e32 v21, s13, v21
	v_add_nc_u32_e32 v0, s12, v20
	s_delay_alu instid0(VALU_DEP_1)
	v_cmp_le_i32_e64 s0, v21, v0
	v_cmp_gt_i32_e32 vcc_lo, s2, v0
	s_waitcnt lgkmcnt(0)
	v_mad_i64_i32 v[1:2], null, v21, s3, 0
	s_mul_i32 s1, s15, s5
	s_mul_hi_u32 s5, s15, s4
	s_mul_i32 s4, s15, s4
	s_add_i32 s5, s5, s1
	s_delay_alu instid0(SALU_CYCLE_1) | instskip(NEXT) | instid1(VALU_DEP_1)
	s_lshl_b64 s[4:5], s[4:5], 4
	v_lshlrev_b64 v[1:2], 4, v[1:2]
	s_add_u32 s4, s6, s4
	s_addc_u32 s5, s7, s5
	s_and_b32 s0, s0, vcc_lo
	s_delay_alu instid0(VALU_DEP_1) | instskip(NEXT) | instid1(VALU_DEP_1)
	v_add_co_u32 v20, s1, s4, v1
	v_add_co_ci_u32_e64 v22, s1, s5, v2, s1
	s_and_saveexec_b32 s1, s0
	s_cbranch_execz .LBB234_5
; %bb.4:
	v_ashrrev_i32_e32 v1, 31, v0
	s_delay_alu instid0(VALU_DEP_1) | instskip(NEXT) | instid1(VALU_DEP_1)
	v_lshlrev_b64 v[1:2], 4, v[0:1]
	v_add_co_u32 v1, s0, v20, v1
	s_delay_alu instid0(VALU_DEP_1)
	v_add_co_ci_u32_e64 v2, s0, v22, v2, s0
	global_load_b128 v[23:26], v[1:2], off
	s_waitcnt vmcnt(0)
	v_add_f64 v[16:17], v[16:17], v[23:24]
	v_add_f64 v[18:19], v[18:19], v[25:26]
	global_store_b128 v[1:2], v[16:19], off
.LBB234_5:
	s_or_b32 exec_lo, exec_lo, s1
	v_add_nc_u32_e32 v2, 16, v0
	s_delay_alu instid0(VALU_DEP_1) | instskip(SKIP_1) | instid1(VALU_DEP_1)
	v_cmp_le_i32_e64 s1, v21, v2
	v_cmp_gt_i32_e64 s0, s2, v2
	s_and_b32 s1, s1, s0
	s_delay_alu instid0(SALU_CYCLE_1)
	s_and_saveexec_b32 s2, s1
	s_cbranch_execz .LBB234_7
; %bb.6:
	v_ashrrev_i32_e32 v3, 31, v2
	s_delay_alu instid0(VALU_DEP_1) | instskip(NEXT) | instid1(VALU_DEP_1)
	v_lshlrev_b64 v[16:17], 4, v[2:3]
	v_add_co_u32 v23, s1, v20, v16
	s_delay_alu instid0(VALU_DEP_1)
	v_add_co_ci_u32_e64 v24, s1, v22, v17, s1
	global_load_b128 v[16:19], v[23:24], off
	s_waitcnt vmcnt(0)
	v_add_f64 v[16:17], v[6:7], v[16:17]
	v_add_f64 v[18:19], v[4:5], v[18:19]
	global_store_b128 v[23:24], v[16:19], off
.LBB234_7:
	s_or_b32 exec_lo, exec_lo, s2
	v_add_nc_u32_e32 v3, 16, v21
	s_delay_alu instid0(VALU_DEP_1) | instskip(SKIP_1) | instid1(VALU_DEP_2)
	v_mad_i64_i32 v[4:5], null, v3, s3, 0
	v_cmp_le_i32_e64 s1, v3, v0
	v_lshlrev_b64 v[4:5], 4, v[4:5]
	s_delay_alu instid0(VALU_DEP_1) | instskip(NEXT) | instid1(VALU_DEP_1)
	v_add_co_u32 v4, s2, s4, v4
	v_add_co_ci_u32_e64 v5, s2, s5, v5, s2
	s_delay_alu instid0(VALU_DEP_4) | instskip(NEXT) | instid1(SALU_CYCLE_1)
	s_and_b32 s2, s1, vcc_lo
	s_and_saveexec_b32 s1, s2
	s_cbranch_execz .LBB234_9
; %bb.8:
	v_ashrrev_i32_e32 v1, 31, v0
	s_delay_alu instid0(VALU_DEP_1) | instskip(NEXT) | instid1(VALU_DEP_1)
	v_lshlrev_b64 v[0:1], 4, v[0:1]
	v_add_co_u32 v0, vcc_lo, v4, v0
	s_delay_alu instid0(VALU_DEP_2)
	v_add_co_ci_u32_e32 v1, vcc_lo, v5, v1, vcc_lo
	global_load_b128 v[16:19], v[0:1], off
	s_waitcnt vmcnt(0)
	v_add_f64 v[14:15], v[14:15], v[16:17]
	v_add_f64 v[16:17], v[10:11], v[18:19]
	global_store_b128 v[0:1], v[14:17], off
.LBB234_9:
	s_or_b32 exec_lo, exec_lo, s1
	v_cmp_le_i32_e32 vcc_lo, v3, v2
	s_and_b32 s0, vcc_lo, s0
	s_delay_alu instid0(SALU_CYCLE_1)
	s_and_saveexec_b32 s1, s0
	s_cbranch_execz .LBB234_11
; %bb.10:
	v_ashrrev_i32_e32 v3, 31, v2
	s_delay_alu instid0(VALU_DEP_1) | instskip(NEXT) | instid1(VALU_DEP_1)
	v_lshlrev_b64 v[0:1], 4, v[2:3]
	v_add_co_u32 v4, vcc_lo, v4, v0
	s_delay_alu instid0(VALU_DEP_2)
	v_add_co_ci_u32_e32 v5, vcc_lo, v5, v1, vcc_lo
	global_load_b128 v[0:3], v[4:5], off
	s_waitcnt vmcnt(0)
	v_add_f64 v[0:1], v[12:13], v[0:1]
	v_add_f64 v[2:3], v[8:9], v[2:3]
	global_store_b128 v[4:5], v[0:3], off
.LBB234_11:
	s_nop 0
	s_sendmsg sendmsg(MSG_DEALLOC_VGPRS)
	s_endpgm
	.section	.rodata,"a",@progbits
	.p2align	6, 0x0
	.amdhsa_kernel _ZL37rocblas_syrkx_herkx_restricted_kernelIi19rocblas_complex_numIdELi16ELi32ELi8ELi1ELi1ELb0ELc67ELc76EKS1_S1_EviT_PT9_S3_lS5_S3_lPT10_S3_li
		.amdhsa_group_segment_fixed_size 8192
		.amdhsa_private_segment_fixed_size 0
		.amdhsa_kernarg_size 84
		.amdhsa_user_sgpr_count 13
		.amdhsa_user_sgpr_dispatch_ptr 0
		.amdhsa_user_sgpr_queue_ptr 0
		.amdhsa_user_sgpr_kernarg_segment_ptr 1
		.amdhsa_user_sgpr_dispatch_id 0
		.amdhsa_user_sgpr_private_segment_size 0
		.amdhsa_wavefront_size32 1
		.amdhsa_uses_dynamic_stack 0
		.amdhsa_enable_private_segment 0
		.amdhsa_system_sgpr_workgroup_id_x 1
		.amdhsa_system_sgpr_workgroup_id_y 1
		.amdhsa_system_sgpr_workgroup_id_z 1
		.amdhsa_system_sgpr_workgroup_info 0
		.amdhsa_system_vgpr_workitem_id 1
		.amdhsa_next_free_vgpr 52
		.amdhsa_next_free_sgpr 20
		.amdhsa_reserve_vcc 1
		.amdhsa_float_round_mode_32 0
		.amdhsa_float_round_mode_16_64 0
		.amdhsa_float_denorm_mode_32 3
		.amdhsa_float_denorm_mode_16_64 3
		.amdhsa_dx10_clamp 1
		.amdhsa_ieee_mode 1
		.amdhsa_fp16_overflow 0
		.amdhsa_workgroup_processor_mode 1
		.amdhsa_memory_ordered 1
		.amdhsa_forward_progress 0
		.amdhsa_shared_vgpr_count 0
		.amdhsa_exception_fp_ieee_invalid_op 0
		.amdhsa_exception_fp_denorm_src 0
		.amdhsa_exception_fp_ieee_div_zero 0
		.amdhsa_exception_fp_ieee_overflow 0
		.amdhsa_exception_fp_ieee_underflow 0
		.amdhsa_exception_fp_ieee_inexact 0
		.amdhsa_exception_int_div_zero 0
	.end_amdhsa_kernel
	.section	.text._ZL37rocblas_syrkx_herkx_restricted_kernelIi19rocblas_complex_numIdELi16ELi32ELi8ELi1ELi1ELb0ELc67ELc76EKS1_S1_EviT_PT9_S3_lS5_S3_lPT10_S3_li,"axG",@progbits,_ZL37rocblas_syrkx_herkx_restricted_kernelIi19rocblas_complex_numIdELi16ELi32ELi8ELi1ELi1ELb0ELc67ELc76EKS1_S1_EviT_PT9_S3_lS5_S3_lPT10_S3_li,comdat
.Lfunc_end234:
	.size	_ZL37rocblas_syrkx_herkx_restricted_kernelIi19rocblas_complex_numIdELi16ELi32ELi8ELi1ELi1ELb0ELc67ELc76EKS1_S1_EviT_PT9_S3_lS5_S3_lPT10_S3_li, .Lfunc_end234-_ZL37rocblas_syrkx_herkx_restricted_kernelIi19rocblas_complex_numIdELi16ELi32ELi8ELi1ELi1ELb0ELc67ELc76EKS1_S1_EviT_PT9_S3_lS5_S3_lPT10_S3_li
                                        ; -- End function
	.section	.AMDGPU.csdata,"",@progbits
; Kernel info:
; codeLenInByte = 3284
; NumSgprs: 22
; NumVgprs: 52
; ScratchSize: 0
; MemoryBound: 0
; FloatMode: 240
; IeeeMode: 1
; LDSByteSize: 8192 bytes/workgroup (compile time only)
; SGPRBlocks: 2
; VGPRBlocks: 6
; NumSGPRsForWavesPerEU: 22
; NumVGPRsForWavesPerEU: 52
; Occupancy: 16
; WaveLimiterHint : 0
; COMPUTE_PGM_RSRC2:SCRATCH_EN: 0
; COMPUTE_PGM_RSRC2:USER_SGPR: 13
; COMPUTE_PGM_RSRC2:TRAP_HANDLER: 0
; COMPUTE_PGM_RSRC2:TGID_X_EN: 1
; COMPUTE_PGM_RSRC2:TGID_Y_EN: 1
; COMPUTE_PGM_RSRC2:TGID_Z_EN: 1
; COMPUTE_PGM_RSRC2:TIDIG_COMP_CNT: 1
	.section	.text._ZL37rocblas_syrkx_herkx_restricted_kernelIi19rocblas_complex_numIdELi16ELi32ELi8ELi1ELi1ELb0ELc78ELc76EKS1_S1_EviT_PT9_S3_lS5_S3_lPT10_S3_li,"axG",@progbits,_ZL37rocblas_syrkx_herkx_restricted_kernelIi19rocblas_complex_numIdELi16ELi32ELi8ELi1ELi1ELb0ELc78ELc76EKS1_S1_EviT_PT9_S3_lS5_S3_lPT10_S3_li,comdat
	.globl	_ZL37rocblas_syrkx_herkx_restricted_kernelIi19rocblas_complex_numIdELi16ELi32ELi8ELi1ELi1ELb0ELc78ELc76EKS1_S1_EviT_PT9_S3_lS5_S3_lPT10_S3_li ; -- Begin function _ZL37rocblas_syrkx_herkx_restricted_kernelIi19rocblas_complex_numIdELi16ELi32ELi8ELi1ELi1ELb0ELc78ELc76EKS1_S1_EviT_PT9_S3_lS5_S3_lPT10_S3_li
	.p2align	8
	.type	_ZL37rocblas_syrkx_herkx_restricted_kernelIi19rocblas_complex_numIdELi16ELi32ELi8ELi1ELi1ELb0ELc78ELc76EKS1_S1_EviT_PT9_S3_lS5_S3_lPT10_S3_li,@function
_ZL37rocblas_syrkx_herkx_restricted_kernelIi19rocblas_complex_numIdELi16ELi32ELi8ELi1ELi1ELb0ELc78ELc76EKS1_S1_EviT_PT9_S3_lS5_S3_lPT10_S3_li: ; @_ZL37rocblas_syrkx_herkx_restricted_kernelIi19rocblas_complex_numIdELi16ELi32ELi8ELi1ELi1ELb0ELc78ELc76EKS1_S1_EviT_PT9_S3_lS5_S3_lPT10_S3_li
; %bb.0:
	s_clause 0x1
	s_load_b64 s[2:3], s[0:1], 0x0
	s_load_b128 s[4:7], s[0:1], 0x30
	v_mov_b32_e32 v16, 0
	v_dual_mov_b32 v17, 0 :: v_dual_and_b32 v20, 0x3ff, v0
	v_bfe_u32 v21, v0, 10, 10
	s_delay_alu instid0(VALU_DEP_3) | instskip(NEXT) | instid1(VALU_DEP_3)
	v_mov_b32_e32 v6, v16
	v_dual_mov_b32 v4, v16 :: v_dual_mov_b32 v5, v17
	v_dual_mov_b32 v19, v17 :: v_dual_mov_b32 v18, v16
	;; [unrolled: 1-line block ×6, first 2 shown]
	v_mov_b32_e32 v9, v17
	s_lshl_b32 s12, s13, 5
	s_lshl_b32 s13, s14, 5
	s_waitcnt lgkmcnt(0)
	s_cmp_lt_i32 s3, 1
	s_mov_b32 s14, 0
	s_cbranch_scc1 .LBB235_3
; %bb.1:
	v_lshl_add_u32 v0, v21, 4, v20
	v_and_b32_e32 v6, 7, v20
	s_clause 0x3
	s_load_b32 s16, s[0:1], 0x10
	s_load_b32 s18, s[0:1], 0x28
	s_load_b128 s[8:11], s[0:1], 0x18
	s_load_b64 s[20:21], s[0:1], 0x8
	v_lshrrev_b32_e32 v1, 3, v0
	v_lshlrev_b32_e32 v3, 4, v6
	v_lshrrev_b32_e32 v7, 5, v0
	s_mul_i32 s5, s5, s15
	v_lshl_add_u32 v25, v21, 7, 0x1000
	s_delay_alu instid0(VALU_DEP_3) | instskip(NEXT) | instid1(VALU_DEP_1)
	v_lshl_or_b32 v8, v1, 7, v3
	v_dual_mov_b32 v8, 0 :: v_dual_add_nc_u32 v23, 0x1000, v8
	v_dual_mov_b32 v9, 0 :: v_dual_and_b32 v2, 31, v0
	v_add_nc_u32_e32 v0, s13, v1
	s_waitcnt lgkmcnt(0)
	s_ashr_i32 s17, s16, 31
	s_ashr_i32 s19, s18, 31
	v_mov_b32_e32 v11, v9
	v_dual_mov_b32 v13, v9 :: v_dual_lshlrev_b32 v4, 4, v2
	v_dual_mov_b32 v15, v9 :: v_dual_add_nc_u32 v2, s12, v2
	v_ashrrev_i32_e32 v1, 31, v0
	s_mul_i32 s9, s9, s15
	s_delay_alu instid0(VALU_DEP_3)
	v_lshl_or_b32 v22, v7, 9, v4
	s_mul_hi_u32 s22, s8, s15
	v_ashrrev_i32_e32 v3, 31, v2
	v_mad_i64_i32 v[4:5], null, s18, v6, v[0:1]
	s_add_i32 s9, s22, s9
	s_mul_i32 s8, s8, s15
	s_delay_alu instid0(VALU_DEP_2)
	v_mad_i64_i32 v[0:1], null, s16, v7, v[2:3]
	s_lshl_b64 s[8:9], s[8:9], 4
	v_dual_mov_b32 v10, v8 :: v_dual_mov_b32 v19, v9
	s_add_u32 s8, s20, s8
	s_addc_u32 s9, s21, s9
	s_mul_hi_u32 s20, s4, s15
	s_delay_alu instid0(VALU_DEP_2) | instskip(SKIP_4) | instid1(VALU_DEP_3)
	v_lshlrev_b64 v[0:1], 4, v[0:1]
	s_add_i32 s5, s20, s5
	s_mul_i32 s4, s4, s15
	v_dual_mov_b32 v14, v8 :: v_dual_mov_b32 v17, v9
	v_mov_b32_e32 v6, v8
	v_add_co_u32 v2, vcc_lo, s8, v0
	v_add_co_ci_u32_e32 v3, vcc_lo, s9, v1, vcc_lo
	v_lshlrev_b64 v[0:1], 4, v[4:5]
	s_lshl_b64 s[8:9], s[4:5], 4
	s_lshl_b64 s[4:5], s[16:17], 7
	s_add_u32 s8, s10, s8
	s_addc_u32 s9, s11, s9
	v_dual_mov_b32 v7, v9 :: v_dual_lshlrev_b32 v24, 4, v20
	v_add_co_u32 v4, vcc_lo, s8, v0
	v_add_co_ci_u32_e32 v5, vcc_lo, s9, v1, vcc_lo
	v_add_co_u32 v0, vcc_lo, v2, 8
	v_add_co_ci_u32_e32 v1, vcc_lo, 0, v3, vcc_lo
	s_delay_alu instid0(VALU_DEP_4) | instskip(NEXT) | instid1(VALU_DEP_4)
	v_add_co_u32 v2, vcc_lo, v4, 8
	v_add_co_ci_u32_e32 v3, vcc_lo, 0, v5, vcc_lo
	v_mov_b32_e32 v4, v8
	v_dual_mov_b32 v12, v8 :: v_dual_mov_b32 v5, v9
	v_mov_b32_e32 v18, v8
	v_mov_b32_e32 v16, v8
	s_lshl_b64 s[8:9], s[18:19], 7
.LBB235_2:                              ; =>This Inner Loop Header: Depth=1
	global_load_b128 v[26:29], v[0:1], off offset:-8
	v_add_co_u32 v0, vcc_lo, v0, s4
	v_add_co_ci_u32_e32 v1, vcc_lo, s5, v1, vcc_lo
	s_add_i32 s14, s14, 8
	s_delay_alu instid0(SALU_CYCLE_1)
	s_cmp_ge_i32 s14, s3
	s_waitcnt vmcnt(0)
	ds_store_b128 v22, v[26:29]
	global_load_b128 v[26:29], v[2:3], off offset:-8
	v_add_co_u32 v2, vcc_lo, v2, s8
	v_add_co_ci_u32_e32 v3, vcc_lo, s9, v3, vcc_lo
	s_waitcnt vmcnt(0)
	ds_store_b128 v23, v[26:29]
	s_waitcnt lgkmcnt(0)
	s_barrier
	buffer_gl0_inv
	ds_load_b128 v[26:29], v25
	ds_load_b128 v[30:33], v25 offset:16
	ds_load_b128 v[34:37], v25 offset:32
	;; [unrolled: 1-line block ×3, first 2 shown]
	ds_load_b128 v[42:45], v24
	s_waitcnt lgkmcnt(0)
	v_mul_f64 v[46:47], v[28:29], v[44:45]
	v_mul_f64 v[48:49], v[26:27], v[44:45]
	s_delay_alu instid0(VALU_DEP_2) | instskip(NEXT) | instid1(VALU_DEP_2)
	v_fma_f64 v[46:47], v[26:27], v[42:43], -v[46:47]
	v_fma_f64 v[48:49], v[28:29], v[42:43], v[48:49]
	s_delay_alu instid0(VALU_DEP_2) | instskip(NEXT) | instid1(VALU_DEP_2)
	v_add_f64 v[46:47], v[16:17], v[46:47]
	v_add_f64 v[48:49], v[18:19], v[48:49]
	ds_load_b128 v[16:19], v24 offset:256
	s_waitcnt lgkmcnt(0)
	v_mul_f64 v[50:51], v[28:29], v[18:19]
	s_delay_alu instid0(VALU_DEP_1) | instskip(SKIP_1) | instid1(VALU_DEP_1)
	v_fma_f64 v[50:51], v[26:27], v[16:17], -v[50:51]
	v_mul_f64 v[26:27], v[26:27], v[18:19]
	v_fma_f64 v[26:27], v[28:29], v[16:17], v[26:27]
	s_delay_alu instid0(VALU_DEP_3) | instskip(NEXT) | instid1(VALU_DEP_2)
	v_add_f64 v[28:29], v[6:7], v[50:51]
	v_add_f64 v[26:27], v[4:5], v[26:27]
	ds_load_b128 v[4:7], v25 offset:2048
	s_waitcnt lgkmcnt(0)
	v_mul_f64 v[50:51], v[6:7], v[44:45]
	v_mul_f64 v[44:45], v[4:5], v[44:45]
	s_delay_alu instid0(VALU_DEP_2) | instskip(NEXT) | instid1(VALU_DEP_2)
	v_fma_f64 v[50:51], v[4:5], v[42:43], -v[50:51]
	v_fma_f64 v[42:43], v[6:7], v[42:43], v[44:45]
	s_delay_alu instid0(VALU_DEP_2) | instskip(NEXT) | instid1(VALU_DEP_2)
	v_add_f64 v[44:45], v[14:15], v[50:51]
	v_add_f64 v[42:43], v[10:11], v[42:43]
	v_mul_f64 v[10:11], v[6:7], v[18:19]
	s_delay_alu instid0(VALU_DEP_1) | instskip(SKIP_1) | instid1(VALU_DEP_1)
	v_fma_f64 v[10:11], v[4:5], v[16:17], -v[10:11]
	v_mul_f64 v[4:5], v[4:5], v[18:19]
	v_fma_f64 v[4:5], v[6:7], v[16:17], v[4:5]
	s_delay_alu instid0(VALU_DEP_3) | instskip(NEXT) | instid1(VALU_DEP_2)
	v_add_f64 v[16:17], v[12:13], v[10:11]
	v_add_f64 v[18:19], v[8:9], v[4:5]
	ds_load_b128 v[4:7], v24 offset:512
	s_waitcnt lgkmcnt(0)
	v_mul_f64 v[8:9], v[32:33], v[6:7]
	v_mul_f64 v[10:11], v[30:31], v[6:7]
	s_delay_alu instid0(VALU_DEP_2) | instskip(NEXT) | instid1(VALU_DEP_2)
	v_fma_f64 v[8:9], v[30:31], v[4:5], -v[8:9]
	v_fma_f64 v[10:11], v[32:33], v[4:5], v[10:11]
	s_delay_alu instid0(VALU_DEP_2) | instskip(NEXT) | instid1(VALU_DEP_2)
	v_add_f64 v[46:47], v[46:47], v[8:9]
	v_add_f64 v[48:49], v[48:49], v[10:11]
	ds_load_b128 v[8:11], v24 offset:768
	s_waitcnt lgkmcnt(0)
	v_mul_f64 v[12:13], v[32:33], v[10:11]
	v_mul_f64 v[14:15], v[30:31], v[10:11]
	s_delay_alu instid0(VALU_DEP_2) | instskip(NEXT) | instid1(VALU_DEP_2)
	v_fma_f64 v[12:13], v[30:31], v[8:9], -v[12:13]
	v_fma_f64 v[14:15], v[32:33], v[8:9], v[14:15]
	s_delay_alu instid0(VALU_DEP_2) | instskip(NEXT) | instid1(VALU_DEP_2)
	v_add_f64 v[28:29], v[28:29], v[12:13]
	v_add_f64 v[26:27], v[26:27], v[14:15]
	ds_load_b128 v[12:15], v25 offset:2064
	s_waitcnt lgkmcnt(0)
	v_mul_f64 v[30:31], v[14:15], v[6:7]
	v_mul_f64 v[6:7], v[12:13], v[6:7]
	s_delay_alu instid0(VALU_DEP_2) | instskip(NEXT) | instid1(VALU_DEP_2)
	v_fma_f64 v[30:31], v[12:13], v[4:5], -v[30:31]
	v_fma_f64 v[4:5], v[14:15], v[4:5], v[6:7]
	v_mul_f64 v[6:7], v[12:13], v[10:11]
	s_delay_alu instid0(VALU_DEP_3) | instskip(NEXT) | instid1(VALU_DEP_3)
	v_add_f64 v[30:31], v[44:45], v[30:31]
	v_add_f64 v[32:33], v[42:43], v[4:5]
	v_mul_f64 v[4:5], v[14:15], v[10:11]
	s_delay_alu instid0(VALU_DEP_4) | instskip(NEXT) | instid1(VALU_DEP_2)
	v_fma_f64 v[6:7], v[14:15], v[8:9], v[6:7]
	v_fma_f64 v[4:5], v[12:13], v[8:9], -v[4:5]
	s_delay_alu instid0(VALU_DEP_2) | instskip(NEXT) | instid1(VALU_DEP_2)
	v_add_f64 v[18:19], v[18:19], v[6:7]
	v_add_f64 v[16:17], v[16:17], v[4:5]
	ds_load_b128 v[4:7], v24 offset:1024
	s_waitcnt lgkmcnt(0)
	v_mul_f64 v[8:9], v[36:37], v[6:7]
	v_mul_f64 v[10:11], v[34:35], v[6:7]
	s_delay_alu instid0(VALU_DEP_2) | instskip(NEXT) | instid1(VALU_DEP_2)
	v_fma_f64 v[8:9], v[34:35], v[4:5], -v[8:9]
	v_fma_f64 v[10:11], v[36:37], v[4:5], v[10:11]
	s_delay_alu instid0(VALU_DEP_2) | instskip(NEXT) | instid1(VALU_DEP_2)
	v_add_f64 v[42:43], v[46:47], v[8:9]
	v_add_f64 v[44:45], v[48:49], v[10:11]
	ds_load_b128 v[8:11], v24 offset:1280
	s_waitcnt lgkmcnt(0)
	v_mul_f64 v[12:13], v[36:37], v[10:11]
	v_mul_f64 v[14:15], v[34:35], v[10:11]
	s_delay_alu instid0(VALU_DEP_2) | instskip(NEXT) | instid1(VALU_DEP_2)
	v_fma_f64 v[12:13], v[34:35], v[8:9], -v[12:13]
	v_fma_f64 v[14:15], v[36:37], v[8:9], v[14:15]
	s_delay_alu instid0(VALU_DEP_2) | instskip(NEXT) | instid1(VALU_DEP_2)
	v_add_f64 v[28:29], v[28:29], v[12:13]
	v_add_f64 v[26:27], v[26:27], v[14:15]
	ds_load_b128 v[12:15], v25 offset:2080
	s_waitcnt lgkmcnt(0)
	v_mul_f64 v[34:35], v[14:15], v[6:7]
	v_mul_f64 v[6:7], v[12:13], v[6:7]
	s_delay_alu instid0(VALU_DEP_2) | instskip(NEXT) | instid1(VALU_DEP_2)
	v_fma_f64 v[34:35], v[12:13], v[4:5], -v[34:35]
	v_fma_f64 v[4:5], v[14:15], v[4:5], v[6:7]
	v_mul_f64 v[6:7], v[12:13], v[10:11]
	s_delay_alu instid0(VALU_DEP_3) | instskip(NEXT) | instid1(VALU_DEP_3)
	v_add_f64 v[30:31], v[30:31], v[34:35]
	v_add_f64 v[32:33], v[32:33], v[4:5]
	v_mul_f64 v[4:5], v[14:15], v[10:11]
	s_delay_alu instid0(VALU_DEP_4) | instskip(NEXT) | instid1(VALU_DEP_2)
	v_fma_f64 v[6:7], v[14:15], v[8:9], v[6:7]
	v_fma_f64 v[4:5], v[12:13], v[8:9], -v[4:5]
	s_delay_alu instid0(VALU_DEP_2) | instskip(NEXT) | instid1(VALU_DEP_2)
	;; [unrolled: 38-line block ×3, first 2 shown]
	v_add_f64 v[18:19], v[18:19], v[6:7]
	v_add_f64 v[16:17], v[16:17], v[4:5]
	ds_load_b128 v[4:7], v25 offset:64
	ds_load_b128 v[8:11], v24 offset:2048
	s_waitcnt lgkmcnt(0)
	v_mul_f64 v[12:13], v[6:7], v[10:11]
	v_mul_f64 v[14:15], v[4:5], v[10:11]
	s_delay_alu instid0(VALU_DEP_2) | instskip(NEXT) | instid1(VALU_DEP_2)
	v_fma_f64 v[12:13], v[4:5], v[8:9], -v[12:13]
	v_fma_f64 v[14:15], v[6:7], v[8:9], v[14:15]
	s_delay_alu instid0(VALU_DEP_2) | instskip(NEXT) | instid1(VALU_DEP_2)
	v_add_f64 v[34:35], v[34:35], v[12:13]
	v_add_f64 v[36:37], v[36:37], v[14:15]
	ds_load_b128 v[12:15], v24 offset:2304
	s_waitcnt lgkmcnt(0)
	v_mul_f64 v[38:39], v[6:7], v[14:15]
	s_delay_alu instid0(VALU_DEP_1) | instskip(SKIP_1) | instid1(VALU_DEP_2)
	v_fma_f64 v[38:39], v[4:5], v[12:13], -v[38:39]
	v_mul_f64 v[4:5], v[4:5], v[14:15]
	v_add_f64 v[28:29], v[28:29], v[38:39]
	s_delay_alu instid0(VALU_DEP_2) | instskip(NEXT) | instid1(VALU_DEP_1)
	v_fma_f64 v[4:5], v[6:7], v[12:13], v[4:5]
	v_add_f64 v[26:27], v[26:27], v[4:5]
	ds_load_b128 v[4:7], v25 offset:2112
	s_waitcnt lgkmcnt(0)
	v_mul_f64 v[38:39], v[6:7], v[10:11]
	v_mul_f64 v[10:11], v[4:5], v[10:11]
	s_delay_alu instid0(VALU_DEP_2) | instskip(NEXT) | instid1(VALU_DEP_2)
	v_fma_f64 v[38:39], v[4:5], v[8:9], -v[38:39]
	v_fma_f64 v[8:9], v[6:7], v[8:9], v[10:11]
	s_delay_alu instid0(VALU_DEP_2) | instskip(NEXT) | instid1(VALU_DEP_2)
	v_add_f64 v[30:31], v[30:31], v[38:39]
	v_add_f64 v[32:33], v[32:33], v[8:9]
	v_mul_f64 v[8:9], v[6:7], v[14:15]
	s_delay_alu instid0(VALU_DEP_1) | instskip(SKIP_1) | instid1(VALU_DEP_2)
	v_fma_f64 v[8:9], v[4:5], v[12:13], -v[8:9]
	v_mul_f64 v[4:5], v[4:5], v[14:15]
	v_add_f64 v[16:17], v[16:17], v[8:9]
	s_delay_alu instid0(VALU_DEP_2) | instskip(NEXT) | instid1(VALU_DEP_1)
	v_fma_f64 v[4:5], v[6:7], v[12:13], v[4:5]
	v_add_f64 v[18:19], v[18:19], v[4:5]
	ds_load_b128 v[4:7], v25 offset:80
	ds_load_b128 v[8:11], v24 offset:2560
	s_waitcnt lgkmcnt(0)
	v_mul_f64 v[12:13], v[6:7], v[10:11]
	v_mul_f64 v[14:15], v[4:5], v[10:11]
	s_delay_alu instid0(VALU_DEP_2) | instskip(NEXT) | instid1(VALU_DEP_2)
	v_fma_f64 v[12:13], v[4:5], v[8:9], -v[12:13]
	v_fma_f64 v[14:15], v[6:7], v[8:9], v[14:15]
	s_delay_alu instid0(VALU_DEP_2) | instskip(NEXT) | instid1(VALU_DEP_2)
	v_add_f64 v[34:35], v[34:35], v[12:13]
	v_add_f64 v[36:37], v[36:37], v[14:15]
	ds_load_b128 v[12:15], v24 offset:2816
	s_waitcnt lgkmcnt(0)
	v_mul_f64 v[38:39], v[6:7], v[14:15]
	s_delay_alu instid0(VALU_DEP_1) | instskip(SKIP_1) | instid1(VALU_DEP_2)
	v_fma_f64 v[38:39], v[4:5], v[12:13], -v[38:39]
	v_mul_f64 v[4:5], v[4:5], v[14:15]
	v_add_f64 v[28:29], v[28:29], v[38:39]
	s_delay_alu instid0(VALU_DEP_2) | instskip(NEXT) | instid1(VALU_DEP_1)
	v_fma_f64 v[4:5], v[6:7], v[12:13], v[4:5]
	v_add_f64 v[26:27], v[26:27], v[4:5]
	ds_load_b128 v[4:7], v25 offset:2128
	s_waitcnt lgkmcnt(0)
	v_mul_f64 v[38:39], v[6:7], v[10:11]
	v_mul_f64 v[10:11], v[4:5], v[10:11]
	s_delay_alu instid0(VALU_DEP_2) | instskip(NEXT) | instid1(VALU_DEP_2)
	v_fma_f64 v[38:39], v[4:5], v[8:9], -v[38:39]
	v_fma_f64 v[8:9], v[6:7], v[8:9], v[10:11]
	s_delay_alu instid0(VALU_DEP_2) | instskip(NEXT) | instid1(VALU_DEP_2)
	v_add_f64 v[30:31], v[30:31], v[38:39]
	v_add_f64 v[32:33], v[32:33], v[8:9]
	v_mul_f64 v[8:9], v[6:7], v[14:15]
	s_delay_alu instid0(VALU_DEP_1) | instskip(SKIP_1) | instid1(VALU_DEP_2)
	v_fma_f64 v[8:9], v[4:5], v[12:13], -v[8:9]
	v_mul_f64 v[4:5], v[4:5], v[14:15]
	v_add_f64 v[16:17], v[16:17], v[8:9]
	s_delay_alu instid0(VALU_DEP_2) | instskip(NEXT) | instid1(VALU_DEP_1)
	v_fma_f64 v[4:5], v[6:7], v[12:13], v[4:5]
	v_add_f64 v[18:19], v[18:19], v[4:5]
	ds_load_b128 v[4:7], v25 offset:96
	ds_load_b128 v[8:11], v24 offset:3072
	s_waitcnt lgkmcnt(0)
	v_mul_f64 v[12:13], v[6:7], v[10:11]
	v_mul_f64 v[14:15], v[4:5], v[10:11]
	s_delay_alu instid0(VALU_DEP_2) | instskip(NEXT) | instid1(VALU_DEP_2)
	v_fma_f64 v[12:13], v[4:5], v[8:9], -v[12:13]
	v_fma_f64 v[14:15], v[6:7], v[8:9], v[14:15]
	s_delay_alu instid0(VALU_DEP_2) | instskip(NEXT) | instid1(VALU_DEP_2)
	v_add_f64 v[34:35], v[34:35], v[12:13]
	v_add_f64 v[36:37], v[36:37], v[14:15]
	ds_load_b128 v[12:15], v24 offset:3328
	s_waitcnt lgkmcnt(0)
	v_mul_f64 v[38:39], v[6:7], v[14:15]
	s_delay_alu instid0(VALU_DEP_1) | instskip(SKIP_1) | instid1(VALU_DEP_2)
	v_fma_f64 v[38:39], v[4:5], v[12:13], -v[38:39]
	v_mul_f64 v[4:5], v[4:5], v[14:15]
	v_add_f64 v[38:39], v[28:29], v[38:39]
	s_delay_alu instid0(VALU_DEP_2) | instskip(NEXT) | instid1(VALU_DEP_1)
	v_fma_f64 v[4:5], v[6:7], v[12:13], v[4:5]
	v_add_f64 v[40:41], v[26:27], v[4:5]
	ds_load_b128 v[4:7], v25 offset:2144
	s_waitcnt lgkmcnt(0)
	v_mul_f64 v[26:27], v[6:7], v[10:11]
	v_mul_f64 v[10:11], v[4:5], v[10:11]
	s_delay_alu instid0(VALU_DEP_2) | instskip(NEXT) | instid1(VALU_DEP_2)
	v_fma_f64 v[26:27], v[4:5], v[8:9], -v[26:27]
	v_fma_f64 v[8:9], v[6:7], v[8:9], v[10:11]
	s_delay_alu instid0(VALU_DEP_2) | instskip(NEXT) | instid1(VALU_DEP_2)
	v_add_f64 v[42:43], v[30:31], v[26:27]
	v_add_f64 v[44:45], v[32:33], v[8:9]
	v_mul_f64 v[8:9], v[6:7], v[14:15]
	s_delay_alu instid0(VALU_DEP_1) | instskip(SKIP_1) | instid1(VALU_DEP_1)
	v_fma_f64 v[8:9], v[4:5], v[12:13], -v[8:9]
	v_mul_f64 v[4:5], v[4:5], v[14:15]
	v_fma_f64 v[4:5], v[6:7], v[12:13], v[4:5]
	s_delay_alu instid0(VALU_DEP_3) | instskip(NEXT) | instid1(VALU_DEP_2)
	v_add_f64 v[12:13], v[16:17], v[8:9]
	v_add_f64 v[46:47], v[18:19], v[4:5]
	ds_load_b128 v[4:7], v25 offset:112
	ds_load_b128 v[8:11], v24 offset:3584
	;; [unrolled: 1-line block ×4, first 2 shown]
	s_waitcnt lgkmcnt(0)
	s_barrier
	buffer_gl0_inv
	v_mul_f64 v[14:15], v[6:7], v[10:11]
	v_mul_f64 v[16:17], v[4:5], v[10:11]
	s_delay_alu instid0(VALU_DEP_2) | instskip(NEXT) | instid1(VALU_DEP_2)
	v_fma_f64 v[14:15], v[4:5], v[8:9], -v[14:15]
	v_fma_f64 v[18:19], v[6:7], v[8:9], v[16:17]
	s_delay_alu instid0(VALU_DEP_2) | instskip(SKIP_1) | instid1(VALU_DEP_3)
	v_add_f64 v[16:17], v[34:35], v[14:15]
	v_mul_f64 v[14:15], v[6:7], v[28:29]
	v_add_f64 v[18:19], v[36:37], v[18:19]
	s_delay_alu instid0(VALU_DEP_2) | instskip(SKIP_1) | instid1(VALU_DEP_1)
	v_fma_f64 v[14:15], v[4:5], v[26:27], -v[14:15]
	v_mul_f64 v[4:5], v[4:5], v[28:29]
	v_fma_f64 v[4:5], v[6:7], v[26:27], v[4:5]
	s_delay_alu instid0(VALU_DEP_3) | instskip(SKIP_2) | instid1(VALU_DEP_4)
	v_add_f64 v[6:7], v[38:39], v[14:15]
	v_mul_f64 v[14:15], v[32:33], v[10:11]
	v_mul_f64 v[10:11], v[30:31], v[10:11]
	v_add_f64 v[4:5], v[40:41], v[4:5]
	s_delay_alu instid0(VALU_DEP_3) | instskip(NEXT) | instid1(VALU_DEP_3)
	v_fma_f64 v[14:15], v[30:31], v[8:9], -v[14:15]
	v_fma_f64 v[8:9], v[32:33], v[8:9], v[10:11]
	s_delay_alu instid0(VALU_DEP_2) | instskip(NEXT) | instid1(VALU_DEP_2)
	v_add_f64 v[14:15], v[42:43], v[14:15]
	v_add_f64 v[10:11], v[44:45], v[8:9]
	v_mul_f64 v[8:9], v[32:33], v[28:29]
	v_mul_f64 v[28:29], v[30:31], v[28:29]
	s_delay_alu instid0(VALU_DEP_2) | instskip(NEXT) | instid1(VALU_DEP_2)
	v_fma_f64 v[8:9], v[30:31], v[26:27], -v[8:9]
	v_fma_f64 v[26:27], v[32:33], v[26:27], v[28:29]
	s_delay_alu instid0(VALU_DEP_2) | instskip(NEXT) | instid1(VALU_DEP_2)
	v_add_f64 v[12:13], v[12:13], v[8:9]
	v_add_f64 v[8:9], v[46:47], v[26:27]
	s_cbranch_scc0 .LBB235_2
.LBB235_3:
	s_clause 0x1
	s_load_b32 s3, s[0:1], 0x40
	s_load_b64 s[4:5], s[0:1], 0x48
	v_add_nc_u32_e32 v21, s13, v21
	v_add_nc_u32_e32 v0, s12, v20
	s_delay_alu instid0(VALU_DEP_1)
	v_cmp_le_i32_e64 s0, v21, v0
	v_cmp_gt_i32_e32 vcc_lo, s2, v0
	s_waitcnt lgkmcnt(0)
	v_mad_i64_i32 v[1:2], null, v21, s3, 0
	s_mul_i32 s1, s15, s5
	s_mul_hi_u32 s5, s15, s4
	s_mul_i32 s4, s15, s4
	s_add_i32 s5, s5, s1
	s_delay_alu instid0(SALU_CYCLE_1) | instskip(NEXT) | instid1(VALU_DEP_1)
	s_lshl_b64 s[4:5], s[4:5], 4
	v_lshlrev_b64 v[1:2], 4, v[1:2]
	s_add_u32 s4, s6, s4
	s_addc_u32 s5, s7, s5
	s_and_b32 s0, s0, vcc_lo
	s_delay_alu instid0(VALU_DEP_1) | instskip(NEXT) | instid1(VALU_DEP_1)
	v_add_co_u32 v20, s1, s4, v1
	v_add_co_ci_u32_e64 v22, s1, s5, v2, s1
	s_and_saveexec_b32 s1, s0
	s_cbranch_execz .LBB235_5
; %bb.4:
	v_ashrrev_i32_e32 v1, 31, v0
	s_delay_alu instid0(VALU_DEP_1) | instskip(NEXT) | instid1(VALU_DEP_1)
	v_lshlrev_b64 v[1:2], 4, v[0:1]
	v_add_co_u32 v1, s0, v20, v1
	s_delay_alu instid0(VALU_DEP_1)
	v_add_co_ci_u32_e64 v2, s0, v22, v2, s0
	global_load_b128 v[23:26], v[1:2], off
	s_waitcnt vmcnt(0)
	v_add_f64 v[16:17], v[16:17], v[23:24]
	v_add_f64 v[18:19], v[18:19], v[25:26]
	global_store_b128 v[1:2], v[16:19], off
.LBB235_5:
	s_or_b32 exec_lo, exec_lo, s1
	v_add_nc_u32_e32 v2, 16, v0
	s_delay_alu instid0(VALU_DEP_1) | instskip(SKIP_1) | instid1(VALU_DEP_1)
	v_cmp_le_i32_e64 s1, v21, v2
	v_cmp_gt_i32_e64 s0, s2, v2
	s_and_b32 s1, s1, s0
	s_delay_alu instid0(SALU_CYCLE_1)
	s_and_saveexec_b32 s2, s1
	s_cbranch_execz .LBB235_7
; %bb.6:
	v_ashrrev_i32_e32 v3, 31, v2
	s_delay_alu instid0(VALU_DEP_1) | instskip(NEXT) | instid1(VALU_DEP_1)
	v_lshlrev_b64 v[16:17], 4, v[2:3]
	v_add_co_u32 v23, s1, v20, v16
	s_delay_alu instid0(VALU_DEP_1)
	v_add_co_ci_u32_e64 v24, s1, v22, v17, s1
	global_load_b128 v[16:19], v[23:24], off
	s_waitcnt vmcnt(0)
	v_add_f64 v[16:17], v[6:7], v[16:17]
	v_add_f64 v[18:19], v[4:5], v[18:19]
	global_store_b128 v[23:24], v[16:19], off
.LBB235_7:
	s_or_b32 exec_lo, exec_lo, s2
	v_add_nc_u32_e32 v3, 16, v21
	s_delay_alu instid0(VALU_DEP_1) | instskip(SKIP_1) | instid1(VALU_DEP_2)
	v_mad_i64_i32 v[4:5], null, v3, s3, 0
	v_cmp_le_i32_e64 s1, v3, v0
	v_lshlrev_b64 v[4:5], 4, v[4:5]
	s_delay_alu instid0(VALU_DEP_1) | instskip(NEXT) | instid1(VALU_DEP_1)
	v_add_co_u32 v4, s2, s4, v4
	v_add_co_ci_u32_e64 v5, s2, s5, v5, s2
	s_delay_alu instid0(VALU_DEP_4) | instskip(NEXT) | instid1(SALU_CYCLE_1)
	s_and_b32 s2, s1, vcc_lo
	s_and_saveexec_b32 s1, s2
	s_cbranch_execz .LBB235_9
; %bb.8:
	v_ashrrev_i32_e32 v1, 31, v0
	s_delay_alu instid0(VALU_DEP_1) | instskip(NEXT) | instid1(VALU_DEP_1)
	v_lshlrev_b64 v[0:1], 4, v[0:1]
	v_add_co_u32 v0, vcc_lo, v4, v0
	s_delay_alu instid0(VALU_DEP_2)
	v_add_co_ci_u32_e32 v1, vcc_lo, v5, v1, vcc_lo
	global_load_b128 v[16:19], v[0:1], off
	s_waitcnt vmcnt(0)
	v_add_f64 v[14:15], v[14:15], v[16:17]
	v_add_f64 v[16:17], v[10:11], v[18:19]
	global_store_b128 v[0:1], v[14:17], off
.LBB235_9:
	s_or_b32 exec_lo, exec_lo, s1
	v_cmp_le_i32_e32 vcc_lo, v3, v2
	s_and_b32 s0, vcc_lo, s0
	s_delay_alu instid0(SALU_CYCLE_1)
	s_and_saveexec_b32 s1, s0
	s_cbranch_execz .LBB235_11
; %bb.10:
	v_ashrrev_i32_e32 v3, 31, v2
	s_delay_alu instid0(VALU_DEP_1) | instskip(NEXT) | instid1(VALU_DEP_1)
	v_lshlrev_b64 v[0:1], 4, v[2:3]
	v_add_co_u32 v4, vcc_lo, v4, v0
	s_delay_alu instid0(VALU_DEP_2)
	v_add_co_ci_u32_e32 v5, vcc_lo, v5, v1, vcc_lo
	global_load_b128 v[0:3], v[4:5], off
	s_waitcnt vmcnt(0)
	v_add_f64 v[0:1], v[12:13], v[0:1]
	v_add_f64 v[2:3], v[8:9], v[2:3]
	global_store_b128 v[4:5], v[0:3], off
.LBB235_11:
	s_nop 0
	s_sendmsg sendmsg(MSG_DEALLOC_VGPRS)
	s_endpgm
	.section	.rodata,"a",@progbits
	.p2align	6, 0x0
	.amdhsa_kernel _ZL37rocblas_syrkx_herkx_restricted_kernelIi19rocblas_complex_numIdELi16ELi32ELi8ELi1ELi1ELb0ELc78ELc76EKS1_S1_EviT_PT9_S3_lS5_S3_lPT10_S3_li
		.amdhsa_group_segment_fixed_size 8192
		.amdhsa_private_segment_fixed_size 0
		.amdhsa_kernarg_size 84
		.amdhsa_user_sgpr_count 13
		.amdhsa_user_sgpr_dispatch_ptr 0
		.amdhsa_user_sgpr_queue_ptr 0
		.amdhsa_user_sgpr_kernarg_segment_ptr 1
		.amdhsa_user_sgpr_dispatch_id 0
		.amdhsa_user_sgpr_private_segment_size 0
		.amdhsa_wavefront_size32 1
		.amdhsa_uses_dynamic_stack 0
		.amdhsa_enable_private_segment 0
		.amdhsa_system_sgpr_workgroup_id_x 1
		.amdhsa_system_sgpr_workgroup_id_y 1
		.amdhsa_system_sgpr_workgroup_id_z 1
		.amdhsa_system_sgpr_workgroup_info 0
		.amdhsa_system_vgpr_workitem_id 1
		.amdhsa_next_free_vgpr 52
		.amdhsa_next_free_sgpr 23
		.amdhsa_reserve_vcc 1
		.amdhsa_float_round_mode_32 0
		.amdhsa_float_round_mode_16_64 0
		.amdhsa_float_denorm_mode_32 3
		.amdhsa_float_denorm_mode_16_64 3
		.amdhsa_dx10_clamp 1
		.amdhsa_ieee_mode 1
		.amdhsa_fp16_overflow 0
		.amdhsa_workgroup_processor_mode 1
		.amdhsa_memory_ordered 1
		.amdhsa_forward_progress 0
		.amdhsa_shared_vgpr_count 0
		.amdhsa_exception_fp_ieee_invalid_op 0
		.amdhsa_exception_fp_denorm_src 0
		.amdhsa_exception_fp_ieee_div_zero 0
		.amdhsa_exception_fp_ieee_overflow 0
		.amdhsa_exception_fp_ieee_underflow 0
		.amdhsa_exception_fp_ieee_inexact 0
		.amdhsa_exception_int_div_zero 0
	.end_amdhsa_kernel
	.section	.text._ZL37rocblas_syrkx_herkx_restricted_kernelIi19rocblas_complex_numIdELi16ELi32ELi8ELi1ELi1ELb0ELc78ELc76EKS1_S1_EviT_PT9_S3_lS5_S3_lPT10_S3_li,"axG",@progbits,_ZL37rocblas_syrkx_herkx_restricted_kernelIi19rocblas_complex_numIdELi16ELi32ELi8ELi1ELi1ELb0ELc78ELc76EKS1_S1_EviT_PT9_S3_lS5_S3_lPT10_S3_li,comdat
.Lfunc_end235:
	.size	_ZL37rocblas_syrkx_herkx_restricted_kernelIi19rocblas_complex_numIdELi16ELi32ELi8ELi1ELi1ELb0ELc78ELc76EKS1_S1_EviT_PT9_S3_lS5_S3_lPT10_S3_li, .Lfunc_end235-_ZL37rocblas_syrkx_herkx_restricted_kernelIi19rocblas_complex_numIdELi16ELi32ELi8ELi1ELi1ELb0ELc78ELc76EKS1_S1_EviT_PT9_S3_lS5_S3_lPT10_S3_li
                                        ; -- End function
	.section	.AMDGPU.csdata,"",@progbits
; Kernel info:
; codeLenInByte = 3296
; NumSgprs: 25
; NumVgprs: 52
; ScratchSize: 0
; MemoryBound: 0
; FloatMode: 240
; IeeeMode: 1
; LDSByteSize: 8192 bytes/workgroup (compile time only)
; SGPRBlocks: 3
; VGPRBlocks: 6
; NumSGPRsForWavesPerEU: 25
; NumVGPRsForWavesPerEU: 52
; Occupancy: 16
; WaveLimiterHint : 0
; COMPUTE_PGM_RSRC2:SCRATCH_EN: 0
; COMPUTE_PGM_RSRC2:USER_SGPR: 13
; COMPUTE_PGM_RSRC2:TRAP_HANDLER: 0
; COMPUTE_PGM_RSRC2:TGID_X_EN: 1
; COMPUTE_PGM_RSRC2:TGID_Y_EN: 1
; COMPUTE_PGM_RSRC2:TGID_Z_EN: 1
; COMPUTE_PGM_RSRC2:TIDIG_COMP_CNT: 1
	.section	.text._ZL37rocblas_syrkx_herkx_restricted_kernelIi19rocblas_complex_numIdELi16ELi32ELi8ELi1ELi1ELb0ELc84ELc85EKS1_S1_EviT_PT9_S3_lS5_S3_lPT10_S3_li,"axG",@progbits,_ZL37rocblas_syrkx_herkx_restricted_kernelIi19rocblas_complex_numIdELi16ELi32ELi8ELi1ELi1ELb0ELc84ELc85EKS1_S1_EviT_PT9_S3_lS5_S3_lPT10_S3_li,comdat
	.globl	_ZL37rocblas_syrkx_herkx_restricted_kernelIi19rocblas_complex_numIdELi16ELi32ELi8ELi1ELi1ELb0ELc84ELc85EKS1_S1_EviT_PT9_S3_lS5_S3_lPT10_S3_li ; -- Begin function _ZL37rocblas_syrkx_herkx_restricted_kernelIi19rocblas_complex_numIdELi16ELi32ELi8ELi1ELi1ELb0ELc84ELc85EKS1_S1_EviT_PT9_S3_lS5_S3_lPT10_S3_li
	.p2align	8
	.type	_ZL37rocblas_syrkx_herkx_restricted_kernelIi19rocblas_complex_numIdELi16ELi32ELi8ELi1ELi1ELb0ELc84ELc85EKS1_S1_EviT_PT9_S3_lS5_S3_lPT10_S3_li,@function
_ZL37rocblas_syrkx_herkx_restricted_kernelIi19rocblas_complex_numIdELi16ELi32ELi8ELi1ELi1ELb0ELc84ELc85EKS1_S1_EviT_PT9_S3_lS5_S3_lPT10_S3_li: ; @_ZL37rocblas_syrkx_herkx_restricted_kernelIi19rocblas_complex_numIdELi16ELi32ELi8ELi1ELi1ELb0ELc84ELc85EKS1_S1_EviT_PT9_S3_lS5_S3_lPT10_S3_li
; %bb.0:
	s_clause 0x1
	s_load_b64 s[2:3], s[0:1], 0x0
	s_load_b128 s[4:7], s[0:1], 0x30
	v_mov_b32_e32 v16, 0
	v_dual_mov_b32 v17, 0 :: v_dual_and_b32 v20, 0x3ff, v0
	v_bfe_u32 v21, v0, 10, 10
	s_delay_alu instid0(VALU_DEP_3) | instskip(NEXT) | instid1(VALU_DEP_3)
	v_mov_b32_e32 v6, v16
	v_dual_mov_b32 v4, v16 :: v_dual_mov_b32 v5, v17
	v_dual_mov_b32 v19, v17 :: v_dual_mov_b32 v18, v16
	;; [unrolled: 1-line block ×6, first 2 shown]
	v_mov_b32_e32 v9, v17
	s_lshl_b32 s12, s13, 5
	s_lshl_b32 s13, s14, 5
	s_waitcnt lgkmcnt(0)
	s_cmp_lt_i32 s3, 1
	s_mov_b32 s14, 0
	s_cbranch_scc1 .LBB236_3
; %bb.1:
	s_clause 0x3
	s_load_b32 s18, s[0:1], 0x10
	s_load_b128 s[8:11], s[0:1], 0x18
	s_load_b64 s[16:17], s[0:1], 0x8
	s_load_b32 s19, s[0:1], 0x28
	v_lshl_add_u32 v2, v21, 4, v20
	v_dual_mov_b32 v1, 0 :: v_dual_and_b32 v0, 7, v20
	v_lshlrev_b32_e32 v22, 4, v20
	s_mul_i32 s5, s5, s15
	s_delay_alu instid0(VALU_DEP_3)
	v_lshrrev_b32_e32 v4, 3, v2
	v_and_b32_e32 v5, 31, v2
	v_lshlrev_b32_e32 v3, 4, v0
	v_lshrrev_b32_e32 v2, 5, v2
	v_lshl_add_u32 v25, v21, 7, 0x1000
	v_add_nc_u32_e32 v9, s13, v4
	v_add_nc_u32_e32 v8, s12, v5
	v_lshl_or_b32 v7, v4, 7, v3
	v_dual_mov_b32 v3, v1 :: v_dual_lshlrev_b32 v6, 4, v5
	s_waitcnt lgkmcnt(0)
	s_delay_alu instid0(VALU_DEP_1) | instskip(NEXT) | instid1(VALU_DEP_2)
	v_mad_i64_i32 v[4:5], null, s18, v8, v[2:3]
	v_lshl_or_b32 v23, v2, 9, v6
	s_mul_i32 s9, s9, s15
	s_mul_hi_u32 s18, s8, s15
	v_mad_i64_i32 v[2:3], null, s19, v9, v[0:1]
	s_mul_i32 s8, s8, s15
	s_add_i32 s9, s18, s9
	s_delay_alu instid0(VALU_DEP_3)
	v_lshlrev_b64 v[0:1], 4, v[4:5]
	s_lshl_b64 s[8:9], s[8:9], 4
	v_mov_b32_e32 v8, 0
	v_mov_b32_e32 v9, 0
	s_add_u32 s8, s16, s8
	s_mul_hi_u32 s16, s4, s15
	s_addc_u32 s9, s17, s9
	s_add_i32 s5, s16, s5
	s_mul_i32 s4, s4, s15
	v_lshlrev_b64 v[2:3], 4, v[2:3]
	s_lshl_b64 s[4:5], s[4:5], 4
	v_add_co_u32 v0, vcc_lo, s8, v0
	s_add_u32 s4, s10, s4
	v_add_co_ci_u32_e32 v1, vcc_lo, s9, v1, vcc_lo
	s_addc_u32 s5, s11, s5
	v_add_co_u32 v2, vcc_lo, s4, v2
	v_add_co_ci_u32_e32 v3, vcc_lo, s5, v3, vcc_lo
	v_add_co_u32 v0, vcc_lo, v0, 8
	v_add_co_ci_u32_e32 v1, vcc_lo, 0, v1, vcc_lo
	s_delay_alu instid0(VALU_DEP_4)
	v_add_co_u32 v2, vcc_lo, v2, 8
	v_dual_mov_b32 v13, v9 :: v_dual_add_nc_u32 v24, 0x1000, v7
	v_add_co_ci_u32_e32 v3, vcc_lo, 0, v3, vcc_lo
	v_dual_mov_b32 v12, v8 :: v_dual_mov_b32 v11, v9
	v_dual_mov_b32 v10, v8 :: v_dual_mov_b32 v15, v9
	v_mov_b32_e32 v14, v8
	v_dual_mov_b32 v4, v8 :: v_dual_mov_b32 v5, v9
	v_dual_mov_b32 v6, v8 :: v_dual_mov_b32 v7, v9
	;; [unrolled: 1-line block ×4, first 2 shown]
.LBB236_2:                              ; =>This Inner Loop Header: Depth=1
	global_load_b128 v[26:29], v[0:1], off offset:-8
	v_add_co_u32 v0, vcc_lo, 0x80, v0
	v_add_co_ci_u32_e32 v1, vcc_lo, 0, v1, vcc_lo
	s_add_i32 s14, s14, 8
	s_delay_alu instid0(SALU_CYCLE_1)
	s_cmp_ge_i32 s14, s3
	s_waitcnt vmcnt(0)
	ds_store_b128 v23, v[26:29]
	global_load_b128 v[26:29], v[2:3], off offset:-8
	v_add_co_u32 v2, vcc_lo, 0x80, v2
	v_add_co_ci_u32_e32 v3, vcc_lo, 0, v3, vcc_lo
	s_waitcnt vmcnt(0)
	ds_store_b128 v24, v[26:29]
	s_waitcnt lgkmcnt(0)
	s_barrier
	buffer_gl0_inv
	ds_load_b128 v[26:29], v25
	ds_load_b128 v[30:33], v25 offset:16
	ds_load_b128 v[34:37], v25 offset:32
	;; [unrolled: 1-line block ×3, first 2 shown]
	ds_load_b128 v[42:45], v22
	s_waitcnt lgkmcnt(0)
	v_mul_f64 v[46:47], v[28:29], v[44:45]
	v_mul_f64 v[48:49], v[26:27], v[44:45]
	s_delay_alu instid0(VALU_DEP_2) | instskip(NEXT) | instid1(VALU_DEP_2)
	v_fma_f64 v[46:47], v[26:27], v[42:43], -v[46:47]
	v_fma_f64 v[48:49], v[28:29], v[42:43], v[48:49]
	s_delay_alu instid0(VALU_DEP_2) | instskip(NEXT) | instid1(VALU_DEP_2)
	v_add_f64 v[46:47], v[16:17], v[46:47]
	v_add_f64 v[48:49], v[18:19], v[48:49]
	ds_load_b128 v[16:19], v22 offset:256
	s_waitcnt lgkmcnt(0)
	v_mul_f64 v[50:51], v[28:29], v[18:19]
	s_delay_alu instid0(VALU_DEP_1) | instskip(SKIP_1) | instid1(VALU_DEP_1)
	v_fma_f64 v[50:51], v[26:27], v[16:17], -v[50:51]
	v_mul_f64 v[26:27], v[26:27], v[18:19]
	v_fma_f64 v[26:27], v[28:29], v[16:17], v[26:27]
	s_delay_alu instid0(VALU_DEP_3) | instskip(NEXT) | instid1(VALU_DEP_2)
	v_add_f64 v[28:29], v[6:7], v[50:51]
	v_add_f64 v[26:27], v[4:5], v[26:27]
	ds_load_b128 v[4:7], v25 offset:2048
	s_waitcnt lgkmcnt(0)
	v_mul_f64 v[50:51], v[6:7], v[44:45]
	v_mul_f64 v[44:45], v[4:5], v[44:45]
	s_delay_alu instid0(VALU_DEP_2) | instskip(NEXT) | instid1(VALU_DEP_2)
	v_fma_f64 v[50:51], v[4:5], v[42:43], -v[50:51]
	v_fma_f64 v[42:43], v[6:7], v[42:43], v[44:45]
	s_delay_alu instid0(VALU_DEP_2) | instskip(NEXT) | instid1(VALU_DEP_2)
	v_add_f64 v[44:45], v[14:15], v[50:51]
	v_add_f64 v[42:43], v[10:11], v[42:43]
	v_mul_f64 v[10:11], v[6:7], v[18:19]
	s_delay_alu instid0(VALU_DEP_1) | instskip(SKIP_1) | instid1(VALU_DEP_1)
	v_fma_f64 v[10:11], v[4:5], v[16:17], -v[10:11]
	v_mul_f64 v[4:5], v[4:5], v[18:19]
	v_fma_f64 v[4:5], v[6:7], v[16:17], v[4:5]
	s_delay_alu instid0(VALU_DEP_3) | instskip(NEXT) | instid1(VALU_DEP_2)
	v_add_f64 v[16:17], v[12:13], v[10:11]
	v_add_f64 v[18:19], v[8:9], v[4:5]
	ds_load_b128 v[4:7], v22 offset:512
	s_waitcnt lgkmcnt(0)
	v_mul_f64 v[8:9], v[32:33], v[6:7]
	v_mul_f64 v[10:11], v[30:31], v[6:7]
	s_delay_alu instid0(VALU_DEP_2) | instskip(NEXT) | instid1(VALU_DEP_2)
	v_fma_f64 v[8:9], v[30:31], v[4:5], -v[8:9]
	v_fma_f64 v[10:11], v[32:33], v[4:5], v[10:11]
	s_delay_alu instid0(VALU_DEP_2) | instskip(NEXT) | instid1(VALU_DEP_2)
	v_add_f64 v[46:47], v[46:47], v[8:9]
	v_add_f64 v[48:49], v[48:49], v[10:11]
	ds_load_b128 v[8:11], v22 offset:768
	s_waitcnt lgkmcnt(0)
	v_mul_f64 v[12:13], v[32:33], v[10:11]
	v_mul_f64 v[14:15], v[30:31], v[10:11]
	s_delay_alu instid0(VALU_DEP_2) | instskip(NEXT) | instid1(VALU_DEP_2)
	v_fma_f64 v[12:13], v[30:31], v[8:9], -v[12:13]
	v_fma_f64 v[14:15], v[32:33], v[8:9], v[14:15]
	s_delay_alu instid0(VALU_DEP_2) | instskip(NEXT) | instid1(VALU_DEP_2)
	v_add_f64 v[28:29], v[28:29], v[12:13]
	v_add_f64 v[26:27], v[26:27], v[14:15]
	ds_load_b128 v[12:15], v25 offset:2064
	s_waitcnt lgkmcnt(0)
	v_mul_f64 v[30:31], v[14:15], v[6:7]
	v_mul_f64 v[6:7], v[12:13], v[6:7]
	s_delay_alu instid0(VALU_DEP_2) | instskip(NEXT) | instid1(VALU_DEP_2)
	v_fma_f64 v[30:31], v[12:13], v[4:5], -v[30:31]
	v_fma_f64 v[4:5], v[14:15], v[4:5], v[6:7]
	v_mul_f64 v[6:7], v[12:13], v[10:11]
	s_delay_alu instid0(VALU_DEP_3) | instskip(NEXT) | instid1(VALU_DEP_3)
	v_add_f64 v[30:31], v[44:45], v[30:31]
	v_add_f64 v[32:33], v[42:43], v[4:5]
	v_mul_f64 v[4:5], v[14:15], v[10:11]
	s_delay_alu instid0(VALU_DEP_4) | instskip(NEXT) | instid1(VALU_DEP_2)
	v_fma_f64 v[6:7], v[14:15], v[8:9], v[6:7]
	v_fma_f64 v[4:5], v[12:13], v[8:9], -v[4:5]
	s_delay_alu instid0(VALU_DEP_2) | instskip(NEXT) | instid1(VALU_DEP_2)
	v_add_f64 v[18:19], v[18:19], v[6:7]
	v_add_f64 v[16:17], v[16:17], v[4:5]
	ds_load_b128 v[4:7], v22 offset:1024
	s_waitcnt lgkmcnt(0)
	v_mul_f64 v[8:9], v[36:37], v[6:7]
	v_mul_f64 v[10:11], v[34:35], v[6:7]
	s_delay_alu instid0(VALU_DEP_2) | instskip(NEXT) | instid1(VALU_DEP_2)
	v_fma_f64 v[8:9], v[34:35], v[4:5], -v[8:9]
	v_fma_f64 v[10:11], v[36:37], v[4:5], v[10:11]
	s_delay_alu instid0(VALU_DEP_2) | instskip(NEXT) | instid1(VALU_DEP_2)
	v_add_f64 v[42:43], v[46:47], v[8:9]
	v_add_f64 v[44:45], v[48:49], v[10:11]
	ds_load_b128 v[8:11], v22 offset:1280
	s_waitcnt lgkmcnt(0)
	v_mul_f64 v[12:13], v[36:37], v[10:11]
	v_mul_f64 v[14:15], v[34:35], v[10:11]
	s_delay_alu instid0(VALU_DEP_2) | instskip(NEXT) | instid1(VALU_DEP_2)
	v_fma_f64 v[12:13], v[34:35], v[8:9], -v[12:13]
	v_fma_f64 v[14:15], v[36:37], v[8:9], v[14:15]
	s_delay_alu instid0(VALU_DEP_2) | instskip(NEXT) | instid1(VALU_DEP_2)
	v_add_f64 v[28:29], v[28:29], v[12:13]
	v_add_f64 v[26:27], v[26:27], v[14:15]
	ds_load_b128 v[12:15], v25 offset:2080
	s_waitcnt lgkmcnt(0)
	v_mul_f64 v[34:35], v[14:15], v[6:7]
	v_mul_f64 v[6:7], v[12:13], v[6:7]
	s_delay_alu instid0(VALU_DEP_2) | instskip(NEXT) | instid1(VALU_DEP_2)
	v_fma_f64 v[34:35], v[12:13], v[4:5], -v[34:35]
	v_fma_f64 v[4:5], v[14:15], v[4:5], v[6:7]
	v_mul_f64 v[6:7], v[12:13], v[10:11]
	s_delay_alu instid0(VALU_DEP_3) | instskip(NEXT) | instid1(VALU_DEP_3)
	v_add_f64 v[30:31], v[30:31], v[34:35]
	v_add_f64 v[32:33], v[32:33], v[4:5]
	v_mul_f64 v[4:5], v[14:15], v[10:11]
	s_delay_alu instid0(VALU_DEP_4) | instskip(NEXT) | instid1(VALU_DEP_2)
	v_fma_f64 v[6:7], v[14:15], v[8:9], v[6:7]
	v_fma_f64 v[4:5], v[12:13], v[8:9], -v[4:5]
	s_delay_alu instid0(VALU_DEP_2) | instskip(NEXT) | instid1(VALU_DEP_2)
	;; [unrolled: 38-line block ×3, first 2 shown]
	v_add_f64 v[18:19], v[18:19], v[6:7]
	v_add_f64 v[16:17], v[16:17], v[4:5]
	ds_load_b128 v[4:7], v25 offset:64
	ds_load_b128 v[8:11], v22 offset:2048
	s_waitcnt lgkmcnt(0)
	v_mul_f64 v[12:13], v[6:7], v[10:11]
	v_mul_f64 v[14:15], v[4:5], v[10:11]
	s_delay_alu instid0(VALU_DEP_2) | instskip(NEXT) | instid1(VALU_DEP_2)
	v_fma_f64 v[12:13], v[4:5], v[8:9], -v[12:13]
	v_fma_f64 v[14:15], v[6:7], v[8:9], v[14:15]
	s_delay_alu instid0(VALU_DEP_2) | instskip(NEXT) | instid1(VALU_DEP_2)
	v_add_f64 v[34:35], v[34:35], v[12:13]
	v_add_f64 v[36:37], v[36:37], v[14:15]
	ds_load_b128 v[12:15], v22 offset:2304
	s_waitcnt lgkmcnt(0)
	v_mul_f64 v[38:39], v[6:7], v[14:15]
	s_delay_alu instid0(VALU_DEP_1) | instskip(SKIP_1) | instid1(VALU_DEP_2)
	v_fma_f64 v[38:39], v[4:5], v[12:13], -v[38:39]
	v_mul_f64 v[4:5], v[4:5], v[14:15]
	v_add_f64 v[28:29], v[28:29], v[38:39]
	s_delay_alu instid0(VALU_DEP_2) | instskip(NEXT) | instid1(VALU_DEP_1)
	v_fma_f64 v[4:5], v[6:7], v[12:13], v[4:5]
	v_add_f64 v[26:27], v[26:27], v[4:5]
	ds_load_b128 v[4:7], v25 offset:2112
	s_waitcnt lgkmcnt(0)
	v_mul_f64 v[38:39], v[6:7], v[10:11]
	v_mul_f64 v[10:11], v[4:5], v[10:11]
	s_delay_alu instid0(VALU_DEP_2) | instskip(NEXT) | instid1(VALU_DEP_2)
	v_fma_f64 v[38:39], v[4:5], v[8:9], -v[38:39]
	v_fma_f64 v[8:9], v[6:7], v[8:9], v[10:11]
	s_delay_alu instid0(VALU_DEP_2) | instskip(NEXT) | instid1(VALU_DEP_2)
	v_add_f64 v[30:31], v[30:31], v[38:39]
	v_add_f64 v[32:33], v[32:33], v[8:9]
	v_mul_f64 v[8:9], v[6:7], v[14:15]
	s_delay_alu instid0(VALU_DEP_1) | instskip(SKIP_1) | instid1(VALU_DEP_2)
	v_fma_f64 v[8:9], v[4:5], v[12:13], -v[8:9]
	v_mul_f64 v[4:5], v[4:5], v[14:15]
	v_add_f64 v[16:17], v[16:17], v[8:9]
	s_delay_alu instid0(VALU_DEP_2) | instskip(NEXT) | instid1(VALU_DEP_1)
	v_fma_f64 v[4:5], v[6:7], v[12:13], v[4:5]
	v_add_f64 v[18:19], v[18:19], v[4:5]
	ds_load_b128 v[4:7], v25 offset:80
	ds_load_b128 v[8:11], v22 offset:2560
	s_waitcnt lgkmcnt(0)
	v_mul_f64 v[12:13], v[6:7], v[10:11]
	v_mul_f64 v[14:15], v[4:5], v[10:11]
	s_delay_alu instid0(VALU_DEP_2) | instskip(NEXT) | instid1(VALU_DEP_2)
	v_fma_f64 v[12:13], v[4:5], v[8:9], -v[12:13]
	v_fma_f64 v[14:15], v[6:7], v[8:9], v[14:15]
	s_delay_alu instid0(VALU_DEP_2) | instskip(NEXT) | instid1(VALU_DEP_2)
	v_add_f64 v[34:35], v[34:35], v[12:13]
	v_add_f64 v[36:37], v[36:37], v[14:15]
	ds_load_b128 v[12:15], v22 offset:2816
	s_waitcnt lgkmcnt(0)
	v_mul_f64 v[38:39], v[6:7], v[14:15]
	s_delay_alu instid0(VALU_DEP_1) | instskip(SKIP_1) | instid1(VALU_DEP_2)
	v_fma_f64 v[38:39], v[4:5], v[12:13], -v[38:39]
	v_mul_f64 v[4:5], v[4:5], v[14:15]
	v_add_f64 v[28:29], v[28:29], v[38:39]
	s_delay_alu instid0(VALU_DEP_2) | instskip(NEXT) | instid1(VALU_DEP_1)
	v_fma_f64 v[4:5], v[6:7], v[12:13], v[4:5]
	v_add_f64 v[26:27], v[26:27], v[4:5]
	ds_load_b128 v[4:7], v25 offset:2128
	s_waitcnt lgkmcnt(0)
	v_mul_f64 v[38:39], v[6:7], v[10:11]
	v_mul_f64 v[10:11], v[4:5], v[10:11]
	s_delay_alu instid0(VALU_DEP_2) | instskip(NEXT) | instid1(VALU_DEP_2)
	v_fma_f64 v[38:39], v[4:5], v[8:9], -v[38:39]
	v_fma_f64 v[8:9], v[6:7], v[8:9], v[10:11]
	s_delay_alu instid0(VALU_DEP_2) | instskip(NEXT) | instid1(VALU_DEP_2)
	v_add_f64 v[30:31], v[30:31], v[38:39]
	v_add_f64 v[32:33], v[32:33], v[8:9]
	v_mul_f64 v[8:9], v[6:7], v[14:15]
	s_delay_alu instid0(VALU_DEP_1) | instskip(SKIP_1) | instid1(VALU_DEP_2)
	v_fma_f64 v[8:9], v[4:5], v[12:13], -v[8:9]
	v_mul_f64 v[4:5], v[4:5], v[14:15]
	v_add_f64 v[16:17], v[16:17], v[8:9]
	s_delay_alu instid0(VALU_DEP_2) | instskip(NEXT) | instid1(VALU_DEP_1)
	v_fma_f64 v[4:5], v[6:7], v[12:13], v[4:5]
	v_add_f64 v[18:19], v[18:19], v[4:5]
	ds_load_b128 v[4:7], v25 offset:96
	ds_load_b128 v[8:11], v22 offset:3072
	s_waitcnt lgkmcnt(0)
	v_mul_f64 v[12:13], v[6:7], v[10:11]
	v_mul_f64 v[14:15], v[4:5], v[10:11]
	s_delay_alu instid0(VALU_DEP_2) | instskip(NEXT) | instid1(VALU_DEP_2)
	v_fma_f64 v[12:13], v[4:5], v[8:9], -v[12:13]
	v_fma_f64 v[14:15], v[6:7], v[8:9], v[14:15]
	s_delay_alu instid0(VALU_DEP_2) | instskip(NEXT) | instid1(VALU_DEP_2)
	v_add_f64 v[34:35], v[34:35], v[12:13]
	v_add_f64 v[36:37], v[36:37], v[14:15]
	ds_load_b128 v[12:15], v22 offset:3328
	s_waitcnt lgkmcnt(0)
	v_mul_f64 v[38:39], v[6:7], v[14:15]
	s_delay_alu instid0(VALU_DEP_1) | instskip(SKIP_1) | instid1(VALU_DEP_2)
	v_fma_f64 v[38:39], v[4:5], v[12:13], -v[38:39]
	v_mul_f64 v[4:5], v[4:5], v[14:15]
	v_add_f64 v[38:39], v[28:29], v[38:39]
	s_delay_alu instid0(VALU_DEP_2) | instskip(NEXT) | instid1(VALU_DEP_1)
	v_fma_f64 v[4:5], v[6:7], v[12:13], v[4:5]
	v_add_f64 v[40:41], v[26:27], v[4:5]
	ds_load_b128 v[4:7], v25 offset:2144
	s_waitcnt lgkmcnt(0)
	v_mul_f64 v[26:27], v[6:7], v[10:11]
	v_mul_f64 v[10:11], v[4:5], v[10:11]
	s_delay_alu instid0(VALU_DEP_2) | instskip(NEXT) | instid1(VALU_DEP_2)
	v_fma_f64 v[26:27], v[4:5], v[8:9], -v[26:27]
	v_fma_f64 v[8:9], v[6:7], v[8:9], v[10:11]
	s_delay_alu instid0(VALU_DEP_2) | instskip(NEXT) | instid1(VALU_DEP_2)
	v_add_f64 v[42:43], v[30:31], v[26:27]
	v_add_f64 v[44:45], v[32:33], v[8:9]
	v_mul_f64 v[8:9], v[6:7], v[14:15]
	s_delay_alu instid0(VALU_DEP_1) | instskip(SKIP_1) | instid1(VALU_DEP_1)
	v_fma_f64 v[8:9], v[4:5], v[12:13], -v[8:9]
	v_mul_f64 v[4:5], v[4:5], v[14:15]
	v_fma_f64 v[4:5], v[6:7], v[12:13], v[4:5]
	s_delay_alu instid0(VALU_DEP_3) | instskip(NEXT) | instid1(VALU_DEP_2)
	v_add_f64 v[12:13], v[16:17], v[8:9]
	v_add_f64 v[46:47], v[18:19], v[4:5]
	ds_load_b128 v[4:7], v25 offset:112
	ds_load_b128 v[8:11], v22 offset:3584
	;; [unrolled: 1-line block ×4, first 2 shown]
	s_waitcnt lgkmcnt(0)
	s_barrier
	buffer_gl0_inv
	v_mul_f64 v[14:15], v[6:7], v[10:11]
	v_mul_f64 v[16:17], v[4:5], v[10:11]
	s_delay_alu instid0(VALU_DEP_2) | instskip(NEXT) | instid1(VALU_DEP_2)
	v_fma_f64 v[14:15], v[4:5], v[8:9], -v[14:15]
	v_fma_f64 v[18:19], v[6:7], v[8:9], v[16:17]
	s_delay_alu instid0(VALU_DEP_2) | instskip(SKIP_1) | instid1(VALU_DEP_3)
	v_add_f64 v[16:17], v[34:35], v[14:15]
	v_mul_f64 v[14:15], v[6:7], v[28:29]
	v_add_f64 v[18:19], v[36:37], v[18:19]
	s_delay_alu instid0(VALU_DEP_2) | instskip(SKIP_1) | instid1(VALU_DEP_1)
	v_fma_f64 v[14:15], v[4:5], v[26:27], -v[14:15]
	v_mul_f64 v[4:5], v[4:5], v[28:29]
	v_fma_f64 v[4:5], v[6:7], v[26:27], v[4:5]
	s_delay_alu instid0(VALU_DEP_3) | instskip(SKIP_2) | instid1(VALU_DEP_4)
	v_add_f64 v[6:7], v[38:39], v[14:15]
	v_mul_f64 v[14:15], v[32:33], v[10:11]
	v_mul_f64 v[10:11], v[30:31], v[10:11]
	v_add_f64 v[4:5], v[40:41], v[4:5]
	s_delay_alu instid0(VALU_DEP_3) | instskip(NEXT) | instid1(VALU_DEP_3)
	v_fma_f64 v[14:15], v[30:31], v[8:9], -v[14:15]
	v_fma_f64 v[8:9], v[32:33], v[8:9], v[10:11]
	s_delay_alu instid0(VALU_DEP_2) | instskip(NEXT) | instid1(VALU_DEP_2)
	v_add_f64 v[14:15], v[42:43], v[14:15]
	v_add_f64 v[10:11], v[44:45], v[8:9]
	v_mul_f64 v[8:9], v[32:33], v[28:29]
	v_mul_f64 v[28:29], v[30:31], v[28:29]
	s_delay_alu instid0(VALU_DEP_2) | instskip(NEXT) | instid1(VALU_DEP_2)
	v_fma_f64 v[8:9], v[30:31], v[26:27], -v[8:9]
	v_fma_f64 v[26:27], v[32:33], v[26:27], v[28:29]
	s_delay_alu instid0(VALU_DEP_2) | instskip(NEXT) | instid1(VALU_DEP_2)
	v_add_f64 v[12:13], v[12:13], v[8:9]
	v_add_f64 v[8:9], v[46:47], v[26:27]
	s_cbranch_scc0 .LBB236_2
.LBB236_3:
	s_clause 0x1
	s_load_b32 s3, s[0:1], 0x40
	s_load_b64 s[0:1], s[0:1], 0x48
	v_add_nc_u32_e32 v21, s13, v21
	v_add_nc_u32_e32 v0, s12, v20
	s_delay_alu instid0(VALU_DEP_2)
	v_cmp_gt_i32_e32 vcc_lo, s2, v21
	s_waitcnt lgkmcnt(0)
	v_mad_i64_i32 v[1:2], null, v21, s3, 0
	s_mul_i32 s1, s15, s1
	s_mul_hi_u32 s4, s15, s0
	s_mul_i32 s0, s15, s0
	s_add_i32 s1, s4, s1
	s_delay_alu instid0(SALU_CYCLE_1) | instskip(NEXT) | instid1(VALU_DEP_1)
	s_lshl_b64 s[4:5], s[0:1], 4
	v_lshlrev_b64 v[1:2], 4, v[1:2]
	s_add_u32 s4, s6, s4
	v_cmp_le_i32_e64 s0, v0, v21
	s_addc_u32 s5, s7, s5
	s_delay_alu instid0(VALU_DEP_2) | instskip(NEXT) | instid1(VALU_DEP_1)
	v_add_co_u32 v20, s1, s4, v1
	v_add_co_ci_u32_e64 v22, s1, s5, v2, s1
	s_delay_alu instid0(VALU_DEP_3) | instskip(NEXT) | instid1(SALU_CYCLE_1)
	s_and_b32 s0, vcc_lo, s0
	s_and_saveexec_b32 s1, s0
	s_cbranch_execz .LBB236_5
; %bb.4:
	v_ashrrev_i32_e32 v1, 31, v0
	s_delay_alu instid0(VALU_DEP_1) | instskip(NEXT) | instid1(VALU_DEP_1)
	v_lshlrev_b64 v[1:2], 4, v[0:1]
	v_add_co_u32 v1, s0, v20, v1
	s_delay_alu instid0(VALU_DEP_1)
	v_add_co_ci_u32_e64 v2, s0, v22, v2, s0
	global_load_b128 v[23:26], v[1:2], off
	s_waitcnt vmcnt(0)
	v_add_f64 v[16:17], v[16:17], v[23:24]
	v_add_f64 v[18:19], v[18:19], v[25:26]
	global_store_b128 v[1:2], v[16:19], off
.LBB236_5:
	s_or_b32 exec_lo, exec_lo, s1
	v_add_nc_u32_e32 v2, 16, v0
	s_delay_alu instid0(VALU_DEP_1) | instskip(NEXT) | instid1(VALU_DEP_1)
	v_cmp_le_i32_e64 s0, v2, v21
	s_and_b32 s1, vcc_lo, s0
	s_delay_alu instid0(SALU_CYCLE_1)
	s_and_saveexec_b32 s0, s1
	s_cbranch_execz .LBB236_7
; %bb.6:
	v_ashrrev_i32_e32 v3, 31, v2
	s_delay_alu instid0(VALU_DEP_1) | instskip(NEXT) | instid1(VALU_DEP_1)
	v_lshlrev_b64 v[16:17], 4, v[2:3]
	v_add_co_u32 v23, vcc_lo, v20, v16
	s_delay_alu instid0(VALU_DEP_2)
	v_add_co_ci_u32_e32 v24, vcc_lo, v22, v17, vcc_lo
	global_load_b128 v[16:19], v[23:24], off
	s_waitcnt vmcnt(0)
	v_add_f64 v[16:17], v[6:7], v[16:17]
	v_add_f64 v[18:19], v[4:5], v[18:19]
	global_store_b128 v[23:24], v[16:19], off
.LBB236_7:
	s_or_b32 exec_lo, exec_lo, s0
	v_add_nc_u32_e32 v3, 16, v21
	s_delay_alu instid0(VALU_DEP_1) | instskip(SKIP_2) | instid1(VALU_DEP_1)
	v_mad_i64_i32 v[4:5], null, v3, s3, 0
	v_cmp_gt_i32_e32 vcc_lo, s2, v3
	v_cmp_le_i32_e64 s0, v0, v3
	s_and_b32 s0, vcc_lo, s0
	s_delay_alu instid0(VALU_DEP_3) | instskip(NEXT) | instid1(VALU_DEP_1)
	v_lshlrev_b64 v[4:5], 4, v[4:5]
	v_add_co_u32 v4, s1, s4, v4
	s_delay_alu instid0(VALU_DEP_1)
	v_add_co_ci_u32_e64 v5, s1, s5, v5, s1
	s_and_saveexec_b32 s1, s0
	s_cbranch_execz .LBB236_9
; %bb.8:
	v_ashrrev_i32_e32 v1, 31, v0
	s_delay_alu instid0(VALU_DEP_1) | instskip(NEXT) | instid1(VALU_DEP_1)
	v_lshlrev_b64 v[0:1], 4, v[0:1]
	v_add_co_u32 v0, s0, v4, v0
	s_delay_alu instid0(VALU_DEP_1)
	v_add_co_ci_u32_e64 v1, s0, v5, v1, s0
	global_load_b128 v[16:19], v[0:1], off
	s_waitcnt vmcnt(0)
	v_add_f64 v[14:15], v[14:15], v[16:17]
	v_add_f64 v[16:17], v[10:11], v[18:19]
	global_store_b128 v[0:1], v[14:17], off
.LBB236_9:
	s_or_b32 exec_lo, exec_lo, s1
	v_cmp_le_i32_e64 s0, v2, v3
	s_delay_alu instid0(VALU_DEP_1) | instskip(NEXT) | instid1(SALU_CYCLE_1)
	s_and_b32 s0, vcc_lo, s0
	s_and_saveexec_b32 s1, s0
	s_cbranch_execz .LBB236_11
; %bb.10:
	v_ashrrev_i32_e32 v3, 31, v2
	s_delay_alu instid0(VALU_DEP_1) | instskip(NEXT) | instid1(VALU_DEP_1)
	v_lshlrev_b64 v[0:1], 4, v[2:3]
	v_add_co_u32 v4, vcc_lo, v4, v0
	s_delay_alu instid0(VALU_DEP_2)
	v_add_co_ci_u32_e32 v5, vcc_lo, v5, v1, vcc_lo
	global_load_b128 v[0:3], v[4:5], off
	s_waitcnt vmcnt(0)
	v_add_f64 v[0:1], v[12:13], v[0:1]
	v_add_f64 v[2:3], v[8:9], v[2:3]
	global_store_b128 v[4:5], v[0:3], off
.LBB236_11:
	s_nop 0
	s_sendmsg sendmsg(MSG_DEALLOC_VGPRS)
	s_endpgm
	.section	.rodata,"a",@progbits
	.p2align	6, 0x0
	.amdhsa_kernel _ZL37rocblas_syrkx_herkx_restricted_kernelIi19rocblas_complex_numIdELi16ELi32ELi8ELi1ELi1ELb0ELc84ELc85EKS1_S1_EviT_PT9_S3_lS5_S3_lPT10_S3_li
		.amdhsa_group_segment_fixed_size 8192
		.amdhsa_private_segment_fixed_size 0
		.amdhsa_kernarg_size 84
		.amdhsa_user_sgpr_count 13
		.amdhsa_user_sgpr_dispatch_ptr 0
		.amdhsa_user_sgpr_queue_ptr 0
		.amdhsa_user_sgpr_kernarg_segment_ptr 1
		.amdhsa_user_sgpr_dispatch_id 0
		.amdhsa_user_sgpr_private_segment_size 0
		.amdhsa_wavefront_size32 1
		.amdhsa_uses_dynamic_stack 0
		.amdhsa_enable_private_segment 0
		.amdhsa_system_sgpr_workgroup_id_x 1
		.amdhsa_system_sgpr_workgroup_id_y 1
		.amdhsa_system_sgpr_workgroup_id_z 1
		.amdhsa_system_sgpr_workgroup_info 0
		.amdhsa_system_vgpr_workitem_id 1
		.amdhsa_next_free_vgpr 52
		.amdhsa_next_free_sgpr 20
		.amdhsa_reserve_vcc 1
		.amdhsa_float_round_mode_32 0
		.amdhsa_float_round_mode_16_64 0
		.amdhsa_float_denorm_mode_32 3
		.amdhsa_float_denorm_mode_16_64 3
		.amdhsa_dx10_clamp 1
		.amdhsa_ieee_mode 1
		.amdhsa_fp16_overflow 0
		.amdhsa_workgroup_processor_mode 1
		.amdhsa_memory_ordered 1
		.amdhsa_forward_progress 0
		.amdhsa_shared_vgpr_count 0
		.amdhsa_exception_fp_ieee_invalid_op 0
		.amdhsa_exception_fp_denorm_src 0
		.amdhsa_exception_fp_ieee_div_zero 0
		.amdhsa_exception_fp_ieee_overflow 0
		.amdhsa_exception_fp_ieee_underflow 0
		.amdhsa_exception_fp_ieee_inexact 0
		.amdhsa_exception_int_div_zero 0
	.end_amdhsa_kernel
	.section	.text._ZL37rocblas_syrkx_herkx_restricted_kernelIi19rocblas_complex_numIdELi16ELi32ELi8ELi1ELi1ELb0ELc84ELc85EKS1_S1_EviT_PT9_S3_lS5_S3_lPT10_S3_li,"axG",@progbits,_ZL37rocblas_syrkx_herkx_restricted_kernelIi19rocblas_complex_numIdELi16ELi32ELi8ELi1ELi1ELb0ELc84ELc85EKS1_S1_EviT_PT9_S3_lS5_S3_lPT10_S3_li,comdat
.Lfunc_end236:
	.size	_ZL37rocblas_syrkx_herkx_restricted_kernelIi19rocblas_complex_numIdELi16ELi32ELi8ELi1ELi1ELb0ELc84ELc85EKS1_S1_EviT_PT9_S3_lS5_S3_lPT10_S3_li, .Lfunc_end236-_ZL37rocblas_syrkx_herkx_restricted_kernelIi19rocblas_complex_numIdELi16ELi32ELi8ELi1ELi1ELb0ELc84ELc85EKS1_S1_EviT_PT9_S3_lS5_S3_lPT10_S3_li
                                        ; -- End function
	.section	.AMDGPU.csdata,"",@progbits
; Kernel info:
; codeLenInByte = 3288
; NumSgprs: 22
; NumVgprs: 52
; ScratchSize: 0
; MemoryBound: 0
; FloatMode: 240
; IeeeMode: 1
; LDSByteSize: 8192 bytes/workgroup (compile time only)
; SGPRBlocks: 2
; VGPRBlocks: 6
; NumSGPRsForWavesPerEU: 22
; NumVGPRsForWavesPerEU: 52
; Occupancy: 16
; WaveLimiterHint : 0
; COMPUTE_PGM_RSRC2:SCRATCH_EN: 0
; COMPUTE_PGM_RSRC2:USER_SGPR: 13
; COMPUTE_PGM_RSRC2:TRAP_HANDLER: 0
; COMPUTE_PGM_RSRC2:TGID_X_EN: 1
; COMPUTE_PGM_RSRC2:TGID_Y_EN: 1
; COMPUTE_PGM_RSRC2:TGID_Z_EN: 1
; COMPUTE_PGM_RSRC2:TIDIG_COMP_CNT: 1
	.section	.text._ZL37rocblas_syrkx_herkx_restricted_kernelIi19rocblas_complex_numIdELi16ELi32ELi8ELi1ELi1ELb0ELc67ELc85EKS1_S1_EviT_PT9_S3_lS5_S3_lPT10_S3_li,"axG",@progbits,_ZL37rocblas_syrkx_herkx_restricted_kernelIi19rocblas_complex_numIdELi16ELi32ELi8ELi1ELi1ELb0ELc67ELc85EKS1_S1_EviT_PT9_S3_lS5_S3_lPT10_S3_li,comdat
	.globl	_ZL37rocblas_syrkx_herkx_restricted_kernelIi19rocblas_complex_numIdELi16ELi32ELi8ELi1ELi1ELb0ELc67ELc85EKS1_S1_EviT_PT9_S3_lS5_S3_lPT10_S3_li ; -- Begin function _ZL37rocblas_syrkx_herkx_restricted_kernelIi19rocblas_complex_numIdELi16ELi32ELi8ELi1ELi1ELb0ELc67ELc85EKS1_S1_EviT_PT9_S3_lS5_S3_lPT10_S3_li
	.p2align	8
	.type	_ZL37rocblas_syrkx_herkx_restricted_kernelIi19rocblas_complex_numIdELi16ELi32ELi8ELi1ELi1ELb0ELc67ELc85EKS1_S1_EviT_PT9_S3_lS5_S3_lPT10_S3_li,@function
_ZL37rocblas_syrkx_herkx_restricted_kernelIi19rocblas_complex_numIdELi16ELi32ELi8ELi1ELi1ELb0ELc67ELc85EKS1_S1_EviT_PT9_S3_lS5_S3_lPT10_S3_li: ; @_ZL37rocblas_syrkx_herkx_restricted_kernelIi19rocblas_complex_numIdELi16ELi32ELi8ELi1ELi1ELb0ELc67ELc85EKS1_S1_EviT_PT9_S3_lS5_S3_lPT10_S3_li
; %bb.0:
	s_clause 0x1
	s_load_b64 s[2:3], s[0:1], 0x0
	s_load_b128 s[4:7], s[0:1], 0x30
	v_mov_b32_e32 v16, 0
	v_dual_mov_b32 v17, 0 :: v_dual_and_b32 v20, 0x3ff, v0
	v_bfe_u32 v21, v0, 10, 10
	s_delay_alu instid0(VALU_DEP_3) | instskip(NEXT) | instid1(VALU_DEP_3)
	v_mov_b32_e32 v6, v16
	v_dual_mov_b32 v4, v16 :: v_dual_mov_b32 v5, v17
	v_dual_mov_b32 v19, v17 :: v_dual_mov_b32 v18, v16
	;; [unrolled: 1-line block ×6, first 2 shown]
	v_mov_b32_e32 v9, v17
	s_lshl_b32 s12, s13, 5
	s_lshl_b32 s13, s14, 5
	s_waitcnt lgkmcnt(0)
	s_cmp_lt_i32 s3, 1
	s_mov_b32 s14, 0
	s_cbranch_scc1 .LBB237_3
; %bb.1:
	s_clause 0x3
	s_load_b32 s18, s[0:1], 0x10
	s_load_b128 s[8:11], s[0:1], 0x18
	s_load_b64 s[16:17], s[0:1], 0x8
	s_load_b32 s19, s[0:1], 0x28
	v_lshl_add_u32 v2, v21, 4, v20
	v_dual_mov_b32 v1, 0 :: v_dual_and_b32 v0, 7, v20
	v_lshlrev_b32_e32 v22, 4, v20
	s_mul_i32 s5, s5, s15
	s_delay_alu instid0(VALU_DEP_3)
	v_lshrrev_b32_e32 v4, 3, v2
	v_and_b32_e32 v5, 31, v2
	v_lshlrev_b32_e32 v3, 4, v0
	v_lshrrev_b32_e32 v2, 5, v2
	v_lshl_add_u32 v25, v21, 7, 0x1000
	v_add_nc_u32_e32 v9, s13, v4
	v_add_nc_u32_e32 v8, s12, v5
	v_lshl_or_b32 v7, v4, 7, v3
	v_dual_mov_b32 v3, v1 :: v_dual_lshlrev_b32 v6, 4, v5
	s_waitcnt lgkmcnt(0)
	s_delay_alu instid0(VALU_DEP_1) | instskip(NEXT) | instid1(VALU_DEP_2)
	v_mad_i64_i32 v[4:5], null, s18, v8, v[2:3]
	v_lshl_or_b32 v23, v2, 9, v6
	s_mul_i32 s9, s9, s15
	s_mul_hi_u32 s18, s8, s15
	v_mad_i64_i32 v[2:3], null, s19, v9, v[0:1]
	s_mul_i32 s8, s8, s15
	s_add_i32 s9, s18, s9
	s_delay_alu instid0(VALU_DEP_3)
	v_lshlrev_b64 v[0:1], 4, v[4:5]
	s_lshl_b64 s[8:9], s[8:9], 4
	v_mov_b32_e32 v8, 0
	v_mov_b32_e32 v9, 0
	s_add_u32 s8, s16, s8
	s_mul_hi_u32 s16, s4, s15
	s_addc_u32 s9, s17, s9
	s_add_i32 s5, s16, s5
	s_mul_i32 s4, s4, s15
	v_lshlrev_b64 v[2:3], 4, v[2:3]
	s_lshl_b64 s[4:5], s[4:5], 4
	v_add_co_u32 v0, vcc_lo, s8, v0
	s_add_u32 s4, s10, s4
	v_add_co_ci_u32_e32 v1, vcc_lo, s9, v1, vcc_lo
	s_addc_u32 s5, s11, s5
	v_add_co_u32 v2, vcc_lo, s4, v2
	v_add_co_ci_u32_e32 v3, vcc_lo, s5, v3, vcc_lo
	v_add_co_u32 v0, vcc_lo, v0, 8
	v_add_co_ci_u32_e32 v1, vcc_lo, 0, v1, vcc_lo
	s_delay_alu instid0(VALU_DEP_4)
	v_add_co_u32 v2, vcc_lo, v2, 8
	v_dual_mov_b32 v13, v9 :: v_dual_add_nc_u32 v24, 0x1000, v7
	v_add_co_ci_u32_e32 v3, vcc_lo, 0, v3, vcc_lo
	v_dual_mov_b32 v12, v8 :: v_dual_mov_b32 v11, v9
	v_dual_mov_b32 v10, v8 :: v_dual_mov_b32 v15, v9
	v_mov_b32_e32 v14, v8
	v_dual_mov_b32 v4, v8 :: v_dual_mov_b32 v5, v9
	v_dual_mov_b32 v6, v8 :: v_dual_mov_b32 v7, v9
	;; [unrolled: 1-line block ×4, first 2 shown]
.LBB237_2:                              ; =>This Inner Loop Header: Depth=1
	global_load_b128 v[26:29], v[0:1], off offset:-8
	v_add_co_u32 v0, vcc_lo, 0x80, v0
	v_add_co_ci_u32_e32 v1, vcc_lo, 0, v1, vcc_lo
	s_add_i32 s14, s14, 8
	s_delay_alu instid0(SALU_CYCLE_1)
	s_cmp_ge_i32 s14, s3
	s_waitcnt vmcnt(0)
	ds_store_b128 v23, v[26:29]
	global_load_b128 v[26:29], v[2:3], off offset:-8
	v_add_co_u32 v2, vcc_lo, 0x80, v2
	v_add_co_ci_u32_e32 v3, vcc_lo, 0, v3, vcc_lo
	s_waitcnt vmcnt(0)
	ds_store_b128 v24, v[26:29]
	s_waitcnt lgkmcnt(0)
	s_barrier
	buffer_gl0_inv
	ds_load_b128 v[26:29], v25
	ds_load_b128 v[30:33], v25 offset:16
	ds_load_b128 v[34:37], v25 offset:32
	;; [unrolled: 1-line block ×3, first 2 shown]
	ds_load_b128 v[42:45], v22
	s_waitcnt lgkmcnt(0)
	v_mul_f64 v[46:47], v[28:29], v[44:45]
	v_mul_f64 v[48:49], v[26:27], v[44:45]
	s_delay_alu instid0(VALU_DEP_2) | instskip(NEXT) | instid1(VALU_DEP_2)
	v_fma_f64 v[46:47], v[26:27], v[42:43], -v[46:47]
	v_fma_f64 v[48:49], v[28:29], v[42:43], v[48:49]
	s_delay_alu instid0(VALU_DEP_2) | instskip(NEXT) | instid1(VALU_DEP_2)
	v_add_f64 v[46:47], v[16:17], v[46:47]
	v_add_f64 v[48:49], v[18:19], v[48:49]
	ds_load_b128 v[16:19], v22 offset:256
	s_waitcnt lgkmcnt(0)
	v_mul_f64 v[50:51], v[28:29], v[18:19]
	s_delay_alu instid0(VALU_DEP_1) | instskip(SKIP_1) | instid1(VALU_DEP_1)
	v_fma_f64 v[50:51], v[26:27], v[16:17], -v[50:51]
	v_mul_f64 v[26:27], v[26:27], v[18:19]
	v_fma_f64 v[26:27], v[28:29], v[16:17], v[26:27]
	s_delay_alu instid0(VALU_DEP_3) | instskip(NEXT) | instid1(VALU_DEP_2)
	v_add_f64 v[28:29], v[6:7], v[50:51]
	v_add_f64 v[26:27], v[4:5], v[26:27]
	ds_load_b128 v[4:7], v25 offset:2048
	s_waitcnt lgkmcnt(0)
	v_mul_f64 v[50:51], v[6:7], v[44:45]
	v_mul_f64 v[44:45], v[4:5], v[44:45]
	s_delay_alu instid0(VALU_DEP_2) | instskip(NEXT) | instid1(VALU_DEP_2)
	v_fma_f64 v[50:51], v[4:5], v[42:43], -v[50:51]
	v_fma_f64 v[42:43], v[6:7], v[42:43], v[44:45]
	s_delay_alu instid0(VALU_DEP_2) | instskip(NEXT) | instid1(VALU_DEP_2)
	v_add_f64 v[44:45], v[14:15], v[50:51]
	v_add_f64 v[42:43], v[10:11], v[42:43]
	v_mul_f64 v[10:11], v[6:7], v[18:19]
	s_delay_alu instid0(VALU_DEP_1) | instskip(SKIP_1) | instid1(VALU_DEP_1)
	v_fma_f64 v[10:11], v[4:5], v[16:17], -v[10:11]
	v_mul_f64 v[4:5], v[4:5], v[18:19]
	v_fma_f64 v[4:5], v[6:7], v[16:17], v[4:5]
	s_delay_alu instid0(VALU_DEP_3) | instskip(NEXT) | instid1(VALU_DEP_2)
	v_add_f64 v[16:17], v[12:13], v[10:11]
	v_add_f64 v[18:19], v[8:9], v[4:5]
	ds_load_b128 v[4:7], v22 offset:512
	s_waitcnt lgkmcnt(0)
	v_mul_f64 v[8:9], v[32:33], v[6:7]
	v_mul_f64 v[10:11], v[30:31], v[6:7]
	s_delay_alu instid0(VALU_DEP_2) | instskip(NEXT) | instid1(VALU_DEP_2)
	v_fma_f64 v[8:9], v[30:31], v[4:5], -v[8:9]
	v_fma_f64 v[10:11], v[32:33], v[4:5], v[10:11]
	s_delay_alu instid0(VALU_DEP_2) | instskip(NEXT) | instid1(VALU_DEP_2)
	v_add_f64 v[46:47], v[46:47], v[8:9]
	v_add_f64 v[48:49], v[48:49], v[10:11]
	ds_load_b128 v[8:11], v22 offset:768
	s_waitcnt lgkmcnt(0)
	v_mul_f64 v[12:13], v[32:33], v[10:11]
	v_mul_f64 v[14:15], v[30:31], v[10:11]
	s_delay_alu instid0(VALU_DEP_2) | instskip(NEXT) | instid1(VALU_DEP_2)
	v_fma_f64 v[12:13], v[30:31], v[8:9], -v[12:13]
	v_fma_f64 v[14:15], v[32:33], v[8:9], v[14:15]
	s_delay_alu instid0(VALU_DEP_2) | instskip(NEXT) | instid1(VALU_DEP_2)
	v_add_f64 v[28:29], v[28:29], v[12:13]
	v_add_f64 v[26:27], v[26:27], v[14:15]
	ds_load_b128 v[12:15], v25 offset:2064
	s_waitcnt lgkmcnt(0)
	v_mul_f64 v[30:31], v[14:15], v[6:7]
	v_mul_f64 v[6:7], v[12:13], v[6:7]
	s_delay_alu instid0(VALU_DEP_2) | instskip(NEXT) | instid1(VALU_DEP_2)
	v_fma_f64 v[30:31], v[12:13], v[4:5], -v[30:31]
	v_fma_f64 v[4:5], v[14:15], v[4:5], v[6:7]
	v_mul_f64 v[6:7], v[12:13], v[10:11]
	s_delay_alu instid0(VALU_DEP_3) | instskip(NEXT) | instid1(VALU_DEP_3)
	v_add_f64 v[30:31], v[44:45], v[30:31]
	v_add_f64 v[32:33], v[42:43], v[4:5]
	v_mul_f64 v[4:5], v[14:15], v[10:11]
	s_delay_alu instid0(VALU_DEP_4) | instskip(NEXT) | instid1(VALU_DEP_2)
	v_fma_f64 v[6:7], v[14:15], v[8:9], v[6:7]
	v_fma_f64 v[4:5], v[12:13], v[8:9], -v[4:5]
	s_delay_alu instid0(VALU_DEP_2) | instskip(NEXT) | instid1(VALU_DEP_2)
	v_add_f64 v[18:19], v[18:19], v[6:7]
	v_add_f64 v[16:17], v[16:17], v[4:5]
	ds_load_b128 v[4:7], v22 offset:1024
	s_waitcnt lgkmcnt(0)
	v_mul_f64 v[8:9], v[36:37], v[6:7]
	v_mul_f64 v[10:11], v[34:35], v[6:7]
	s_delay_alu instid0(VALU_DEP_2) | instskip(NEXT) | instid1(VALU_DEP_2)
	v_fma_f64 v[8:9], v[34:35], v[4:5], -v[8:9]
	v_fma_f64 v[10:11], v[36:37], v[4:5], v[10:11]
	s_delay_alu instid0(VALU_DEP_2) | instskip(NEXT) | instid1(VALU_DEP_2)
	v_add_f64 v[42:43], v[46:47], v[8:9]
	v_add_f64 v[44:45], v[48:49], v[10:11]
	ds_load_b128 v[8:11], v22 offset:1280
	s_waitcnt lgkmcnt(0)
	v_mul_f64 v[12:13], v[36:37], v[10:11]
	v_mul_f64 v[14:15], v[34:35], v[10:11]
	s_delay_alu instid0(VALU_DEP_2) | instskip(NEXT) | instid1(VALU_DEP_2)
	v_fma_f64 v[12:13], v[34:35], v[8:9], -v[12:13]
	v_fma_f64 v[14:15], v[36:37], v[8:9], v[14:15]
	s_delay_alu instid0(VALU_DEP_2) | instskip(NEXT) | instid1(VALU_DEP_2)
	v_add_f64 v[28:29], v[28:29], v[12:13]
	v_add_f64 v[26:27], v[26:27], v[14:15]
	ds_load_b128 v[12:15], v25 offset:2080
	s_waitcnt lgkmcnt(0)
	v_mul_f64 v[34:35], v[14:15], v[6:7]
	v_mul_f64 v[6:7], v[12:13], v[6:7]
	s_delay_alu instid0(VALU_DEP_2) | instskip(NEXT) | instid1(VALU_DEP_2)
	v_fma_f64 v[34:35], v[12:13], v[4:5], -v[34:35]
	v_fma_f64 v[4:5], v[14:15], v[4:5], v[6:7]
	v_mul_f64 v[6:7], v[12:13], v[10:11]
	s_delay_alu instid0(VALU_DEP_3) | instskip(NEXT) | instid1(VALU_DEP_3)
	v_add_f64 v[30:31], v[30:31], v[34:35]
	v_add_f64 v[32:33], v[32:33], v[4:5]
	v_mul_f64 v[4:5], v[14:15], v[10:11]
	s_delay_alu instid0(VALU_DEP_4) | instskip(NEXT) | instid1(VALU_DEP_2)
	v_fma_f64 v[6:7], v[14:15], v[8:9], v[6:7]
	v_fma_f64 v[4:5], v[12:13], v[8:9], -v[4:5]
	s_delay_alu instid0(VALU_DEP_2) | instskip(NEXT) | instid1(VALU_DEP_2)
	v_add_f64 v[18:19], v[18:19], v[6:7]
	v_add_f64 v[16:17], v[16:17], v[4:5]
	ds_load_b128 v[4:7], v22 offset:1536
	s_waitcnt lgkmcnt(0)
	v_mul_f64 v[8:9], v[40:41], v[6:7]
	v_mul_f64 v[10:11], v[38:39], v[6:7]
	s_delay_alu instid0(VALU_DEP_2) | instskip(NEXT) | instid1(VALU_DEP_2)
	v_fma_f64 v[8:9], v[38:39], v[4:5], -v[8:9]
	v_fma_f64 v[10:11], v[40:41], v[4:5], v[10:11]
	s_delay_alu instid0(VALU_DEP_2) | instskip(NEXT) | instid1(VALU_DEP_2)
	v_add_f64 v[34:35], v[42:43], v[8:9]
	v_add_f64 v[36:37], v[44:45], v[10:11]
	ds_load_b128 v[8:11], v22 offset:1792
	s_waitcnt lgkmcnt(0)
	v_mul_f64 v[12:13], v[40:41], v[10:11]
	v_mul_f64 v[14:15], v[38:39], v[10:11]
	s_delay_alu instid0(VALU_DEP_2) | instskip(NEXT) | instid1(VALU_DEP_2)
	v_fma_f64 v[12:13], v[38:39], v[8:9], -v[12:13]
	v_fma_f64 v[14:15], v[40:41], v[8:9], v[14:15]
	s_delay_alu instid0(VALU_DEP_2) | instskip(NEXT) | instid1(VALU_DEP_2)
	v_add_f64 v[28:29], v[28:29], v[12:13]
	v_add_f64 v[26:27], v[26:27], v[14:15]
	ds_load_b128 v[12:15], v25 offset:2096
	s_waitcnt lgkmcnt(0)
	v_mul_f64 v[38:39], v[14:15], v[6:7]
	v_mul_f64 v[6:7], v[12:13], v[6:7]
	s_delay_alu instid0(VALU_DEP_2) | instskip(NEXT) | instid1(VALU_DEP_2)
	v_fma_f64 v[38:39], v[12:13], v[4:5], -v[38:39]
	v_fma_f64 v[4:5], v[14:15], v[4:5], v[6:7]
	v_mul_f64 v[6:7], v[12:13], v[10:11]
	s_delay_alu instid0(VALU_DEP_3) | instskip(NEXT) | instid1(VALU_DEP_3)
	v_add_f64 v[30:31], v[30:31], v[38:39]
	v_add_f64 v[32:33], v[32:33], v[4:5]
	v_mul_f64 v[4:5], v[14:15], v[10:11]
	s_delay_alu instid0(VALU_DEP_4) | instskip(NEXT) | instid1(VALU_DEP_2)
	v_fma_f64 v[6:7], v[14:15], v[8:9], v[6:7]
	v_fma_f64 v[4:5], v[12:13], v[8:9], -v[4:5]
	s_delay_alu instid0(VALU_DEP_2) | instskip(NEXT) | instid1(VALU_DEP_2)
	v_add_f64 v[18:19], v[18:19], v[6:7]
	v_add_f64 v[16:17], v[16:17], v[4:5]
	ds_load_b128 v[4:7], v25 offset:64
	ds_load_b128 v[8:11], v22 offset:2048
	s_waitcnt lgkmcnt(0)
	v_mul_f64 v[12:13], v[6:7], v[10:11]
	v_mul_f64 v[14:15], v[4:5], v[10:11]
	s_delay_alu instid0(VALU_DEP_2) | instskip(NEXT) | instid1(VALU_DEP_2)
	v_fma_f64 v[12:13], v[4:5], v[8:9], -v[12:13]
	v_fma_f64 v[14:15], v[6:7], v[8:9], v[14:15]
	s_delay_alu instid0(VALU_DEP_2) | instskip(NEXT) | instid1(VALU_DEP_2)
	v_add_f64 v[34:35], v[34:35], v[12:13]
	v_add_f64 v[36:37], v[36:37], v[14:15]
	ds_load_b128 v[12:15], v22 offset:2304
	s_waitcnt lgkmcnt(0)
	v_mul_f64 v[38:39], v[6:7], v[14:15]
	s_delay_alu instid0(VALU_DEP_1) | instskip(SKIP_1) | instid1(VALU_DEP_2)
	v_fma_f64 v[38:39], v[4:5], v[12:13], -v[38:39]
	v_mul_f64 v[4:5], v[4:5], v[14:15]
	v_add_f64 v[28:29], v[28:29], v[38:39]
	s_delay_alu instid0(VALU_DEP_2) | instskip(NEXT) | instid1(VALU_DEP_1)
	v_fma_f64 v[4:5], v[6:7], v[12:13], v[4:5]
	v_add_f64 v[26:27], v[26:27], v[4:5]
	ds_load_b128 v[4:7], v25 offset:2112
	s_waitcnt lgkmcnt(0)
	v_mul_f64 v[38:39], v[6:7], v[10:11]
	v_mul_f64 v[10:11], v[4:5], v[10:11]
	s_delay_alu instid0(VALU_DEP_2) | instskip(NEXT) | instid1(VALU_DEP_2)
	v_fma_f64 v[38:39], v[4:5], v[8:9], -v[38:39]
	v_fma_f64 v[8:9], v[6:7], v[8:9], v[10:11]
	s_delay_alu instid0(VALU_DEP_2) | instskip(NEXT) | instid1(VALU_DEP_2)
	v_add_f64 v[30:31], v[30:31], v[38:39]
	v_add_f64 v[32:33], v[32:33], v[8:9]
	v_mul_f64 v[8:9], v[6:7], v[14:15]
	s_delay_alu instid0(VALU_DEP_1) | instskip(SKIP_1) | instid1(VALU_DEP_2)
	v_fma_f64 v[8:9], v[4:5], v[12:13], -v[8:9]
	v_mul_f64 v[4:5], v[4:5], v[14:15]
	v_add_f64 v[16:17], v[16:17], v[8:9]
	s_delay_alu instid0(VALU_DEP_2) | instskip(NEXT) | instid1(VALU_DEP_1)
	v_fma_f64 v[4:5], v[6:7], v[12:13], v[4:5]
	v_add_f64 v[18:19], v[18:19], v[4:5]
	ds_load_b128 v[4:7], v25 offset:80
	ds_load_b128 v[8:11], v22 offset:2560
	s_waitcnt lgkmcnt(0)
	v_mul_f64 v[12:13], v[6:7], v[10:11]
	v_mul_f64 v[14:15], v[4:5], v[10:11]
	s_delay_alu instid0(VALU_DEP_2) | instskip(NEXT) | instid1(VALU_DEP_2)
	v_fma_f64 v[12:13], v[4:5], v[8:9], -v[12:13]
	v_fma_f64 v[14:15], v[6:7], v[8:9], v[14:15]
	s_delay_alu instid0(VALU_DEP_2) | instskip(NEXT) | instid1(VALU_DEP_2)
	v_add_f64 v[34:35], v[34:35], v[12:13]
	v_add_f64 v[36:37], v[36:37], v[14:15]
	ds_load_b128 v[12:15], v22 offset:2816
	s_waitcnt lgkmcnt(0)
	v_mul_f64 v[38:39], v[6:7], v[14:15]
	s_delay_alu instid0(VALU_DEP_1) | instskip(SKIP_1) | instid1(VALU_DEP_2)
	v_fma_f64 v[38:39], v[4:5], v[12:13], -v[38:39]
	v_mul_f64 v[4:5], v[4:5], v[14:15]
	v_add_f64 v[28:29], v[28:29], v[38:39]
	s_delay_alu instid0(VALU_DEP_2) | instskip(NEXT) | instid1(VALU_DEP_1)
	v_fma_f64 v[4:5], v[6:7], v[12:13], v[4:5]
	v_add_f64 v[26:27], v[26:27], v[4:5]
	ds_load_b128 v[4:7], v25 offset:2128
	s_waitcnt lgkmcnt(0)
	v_mul_f64 v[38:39], v[6:7], v[10:11]
	v_mul_f64 v[10:11], v[4:5], v[10:11]
	s_delay_alu instid0(VALU_DEP_2) | instskip(NEXT) | instid1(VALU_DEP_2)
	v_fma_f64 v[38:39], v[4:5], v[8:9], -v[38:39]
	v_fma_f64 v[8:9], v[6:7], v[8:9], v[10:11]
	s_delay_alu instid0(VALU_DEP_2) | instskip(NEXT) | instid1(VALU_DEP_2)
	v_add_f64 v[30:31], v[30:31], v[38:39]
	v_add_f64 v[32:33], v[32:33], v[8:9]
	v_mul_f64 v[8:9], v[6:7], v[14:15]
	s_delay_alu instid0(VALU_DEP_1) | instskip(SKIP_1) | instid1(VALU_DEP_2)
	v_fma_f64 v[8:9], v[4:5], v[12:13], -v[8:9]
	v_mul_f64 v[4:5], v[4:5], v[14:15]
	v_add_f64 v[16:17], v[16:17], v[8:9]
	s_delay_alu instid0(VALU_DEP_2) | instskip(NEXT) | instid1(VALU_DEP_1)
	v_fma_f64 v[4:5], v[6:7], v[12:13], v[4:5]
	v_add_f64 v[18:19], v[18:19], v[4:5]
	ds_load_b128 v[4:7], v25 offset:96
	ds_load_b128 v[8:11], v22 offset:3072
	s_waitcnt lgkmcnt(0)
	v_mul_f64 v[12:13], v[6:7], v[10:11]
	v_mul_f64 v[14:15], v[4:5], v[10:11]
	s_delay_alu instid0(VALU_DEP_2) | instskip(NEXT) | instid1(VALU_DEP_2)
	v_fma_f64 v[12:13], v[4:5], v[8:9], -v[12:13]
	v_fma_f64 v[14:15], v[6:7], v[8:9], v[14:15]
	s_delay_alu instid0(VALU_DEP_2) | instskip(NEXT) | instid1(VALU_DEP_2)
	v_add_f64 v[34:35], v[34:35], v[12:13]
	v_add_f64 v[36:37], v[36:37], v[14:15]
	ds_load_b128 v[12:15], v22 offset:3328
	s_waitcnt lgkmcnt(0)
	v_mul_f64 v[38:39], v[6:7], v[14:15]
	s_delay_alu instid0(VALU_DEP_1) | instskip(SKIP_1) | instid1(VALU_DEP_2)
	v_fma_f64 v[38:39], v[4:5], v[12:13], -v[38:39]
	v_mul_f64 v[4:5], v[4:5], v[14:15]
	v_add_f64 v[38:39], v[28:29], v[38:39]
	s_delay_alu instid0(VALU_DEP_2) | instskip(NEXT) | instid1(VALU_DEP_1)
	v_fma_f64 v[4:5], v[6:7], v[12:13], v[4:5]
	v_add_f64 v[40:41], v[26:27], v[4:5]
	ds_load_b128 v[4:7], v25 offset:2144
	s_waitcnt lgkmcnt(0)
	v_mul_f64 v[26:27], v[6:7], v[10:11]
	v_mul_f64 v[10:11], v[4:5], v[10:11]
	s_delay_alu instid0(VALU_DEP_2) | instskip(NEXT) | instid1(VALU_DEP_2)
	v_fma_f64 v[26:27], v[4:5], v[8:9], -v[26:27]
	v_fma_f64 v[8:9], v[6:7], v[8:9], v[10:11]
	s_delay_alu instid0(VALU_DEP_2) | instskip(NEXT) | instid1(VALU_DEP_2)
	v_add_f64 v[42:43], v[30:31], v[26:27]
	v_add_f64 v[44:45], v[32:33], v[8:9]
	v_mul_f64 v[8:9], v[6:7], v[14:15]
	s_delay_alu instid0(VALU_DEP_1) | instskip(SKIP_1) | instid1(VALU_DEP_1)
	v_fma_f64 v[8:9], v[4:5], v[12:13], -v[8:9]
	v_mul_f64 v[4:5], v[4:5], v[14:15]
	v_fma_f64 v[4:5], v[6:7], v[12:13], v[4:5]
	s_delay_alu instid0(VALU_DEP_3) | instskip(NEXT) | instid1(VALU_DEP_2)
	v_add_f64 v[12:13], v[16:17], v[8:9]
	v_add_f64 v[46:47], v[18:19], v[4:5]
	ds_load_b128 v[4:7], v25 offset:112
	ds_load_b128 v[8:11], v22 offset:3584
	;; [unrolled: 1-line block ×4, first 2 shown]
	s_waitcnt lgkmcnt(0)
	s_barrier
	buffer_gl0_inv
	v_mul_f64 v[14:15], v[6:7], v[10:11]
	v_mul_f64 v[16:17], v[4:5], v[10:11]
	s_delay_alu instid0(VALU_DEP_2) | instskip(NEXT) | instid1(VALU_DEP_2)
	v_fma_f64 v[14:15], v[4:5], v[8:9], -v[14:15]
	v_fma_f64 v[18:19], v[6:7], v[8:9], v[16:17]
	s_delay_alu instid0(VALU_DEP_2) | instskip(SKIP_1) | instid1(VALU_DEP_3)
	v_add_f64 v[16:17], v[34:35], v[14:15]
	v_mul_f64 v[14:15], v[6:7], v[28:29]
	v_add_f64 v[18:19], v[36:37], v[18:19]
	s_delay_alu instid0(VALU_DEP_2) | instskip(SKIP_1) | instid1(VALU_DEP_1)
	v_fma_f64 v[14:15], v[4:5], v[26:27], -v[14:15]
	v_mul_f64 v[4:5], v[4:5], v[28:29]
	v_fma_f64 v[4:5], v[6:7], v[26:27], v[4:5]
	s_delay_alu instid0(VALU_DEP_3) | instskip(SKIP_2) | instid1(VALU_DEP_4)
	v_add_f64 v[6:7], v[38:39], v[14:15]
	v_mul_f64 v[14:15], v[32:33], v[10:11]
	v_mul_f64 v[10:11], v[30:31], v[10:11]
	v_add_f64 v[4:5], v[40:41], v[4:5]
	s_delay_alu instid0(VALU_DEP_3) | instskip(NEXT) | instid1(VALU_DEP_3)
	v_fma_f64 v[14:15], v[30:31], v[8:9], -v[14:15]
	v_fma_f64 v[8:9], v[32:33], v[8:9], v[10:11]
	s_delay_alu instid0(VALU_DEP_2) | instskip(NEXT) | instid1(VALU_DEP_2)
	v_add_f64 v[14:15], v[42:43], v[14:15]
	v_add_f64 v[10:11], v[44:45], v[8:9]
	v_mul_f64 v[8:9], v[32:33], v[28:29]
	v_mul_f64 v[28:29], v[30:31], v[28:29]
	s_delay_alu instid0(VALU_DEP_2) | instskip(NEXT) | instid1(VALU_DEP_2)
	v_fma_f64 v[8:9], v[30:31], v[26:27], -v[8:9]
	v_fma_f64 v[26:27], v[32:33], v[26:27], v[28:29]
	s_delay_alu instid0(VALU_DEP_2) | instskip(NEXT) | instid1(VALU_DEP_2)
	v_add_f64 v[12:13], v[12:13], v[8:9]
	v_add_f64 v[8:9], v[46:47], v[26:27]
	s_cbranch_scc0 .LBB237_2
.LBB237_3:
	s_clause 0x1
	s_load_b32 s3, s[0:1], 0x40
	s_load_b64 s[0:1], s[0:1], 0x48
	v_add_nc_u32_e32 v21, s13, v21
	v_add_nc_u32_e32 v0, s12, v20
	s_delay_alu instid0(VALU_DEP_2)
	v_cmp_gt_i32_e32 vcc_lo, s2, v21
	s_waitcnt lgkmcnt(0)
	v_mad_i64_i32 v[1:2], null, v21, s3, 0
	s_mul_i32 s1, s15, s1
	s_mul_hi_u32 s4, s15, s0
	s_mul_i32 s0, s15, s0
	s_add_i32 s1, s4, s1
	s_delay_alu instid0(SALU_CYCLE_1) | instskip(NEXT) | instid1(VALU_DEP_1)
	s_lshl_b64 s[4:5], s[0:1], 4
	v_lshlrev_b64 v[1:2], 4, v[1:2]
	s_add_u32 s4, s6, s4
	v_cmp_le_i32_e64 s0, v0, v21
	s_addc_u32 s5, s7, s5
	s_delay_alu instid0(VALU_DEP_2) | instskip(NEXT) | instid1(VALU_DEP_1)
	v_add_co_u32 v20, s1, s4, v1
	v_add_co_ci_u32_e64 v22, s1, s5, v2, s1
	s_delay_alu instid0(VALU_DEP_3) | instskip(NEXT) | instid1(SALU_CYCLE_1)
	s_and_b32 s0, vcc_lo, s0
	s_and_saveexec_b32 s1, s0
	s_cbranch_execz .LBB237_5
; %bb.4:
	v_ashrrev_i32_e32 v1, 31, v0
	s_delay_alu instid0(VALU_DEP_1) | instskip(NEXT) | instid1(VALU_DEP_1)
	v_lshlrev_b64 v[1:2], 4, v[0:1]
	v_add_co_u32 v1, s0, v20, v1
	s_delay_alu instid0(VALU_DEP_1)
	v_add_co_ci_u32_e64 v2, s0, v22, v2, s0
	global_load_b128 v[23:26], v[1:2], off
	s_waitcnt vmcnt(0)
	v_add_f64 v[16:17], v[16:17], v[23:24]
	v_add_f64 v[18:19], v[18:19], v[25:26]
	global_store_b128 v[1:2], v[16:19], off
.LBB237_5:
	s_or_b32 exec_lo, exec_lo, s1
	v_add_nc_u32_e32 v2, 16, v0
	s_delay_alu instid0(VALU_DEP_1) | instskip(NEXT) | instid1(VALU_DEP_1)
	v_cmp_le_i32_e64 s0, v2, v21
	s_and_b32 s1, vcc_lo, s0
	s_delay_alu instid0(SALU_CYCLE_1)
	s_and_saveexec_b32 s0, s1
	s_cbranch_execz .LBB237_7
; %bb.6:
	v_ashrrev_i32_e32 v3, 31, v2
	s_delay_alu instid0(VALU_DEP_1) | instskip(NEXT) | instid1(VALU_DEP_1)
	v_lshlrev_b64 v[16:17], 4, v[2:3]
	v_add_co_u32 v23, vcc_lo, v20, v16
	s_delay_alu instid0(VALU_DEP_2)
	v_add_co_ci_u32_e32 v24, vcc_lo, v22, v17, vcc_lo
	global_load_b128 v[16:19], v[23:24], off
	s_waitcnt vmcnt(0)
	v_add_f64 v[16:17], v[6:7], v[16:17]
	v_add_f64 v[18:19], v[4:5], v[18:19]
	global_store_b128 v[23:24], v[16:19], off
.LBB237_7:
	s_or_b32 exec_lo, exec_lo, s0
	v_add_nc_u32_e32 v3, 16, v21
	s_delay_alu instid0(VALU_DEP_1) | instskip(SKIP_2) | instid1(VALU_DEP_1)
	v_mad_i64_i32 v[4:5], null, v3, s3, 0
	v_cmp_gt_i32_e32 vcc_lo, s2, v3
	v_cmp_le_i32_e64 s0, v0, v3
	s_and_b32 s0, vcc_lo, s0
	s_delay_alu instid0(VALU_DEP_3) | instskip(NEXT) | instid1(VALU_DEP_1)
	v_lshlrev_b64 v[4:5], 4, v[4:5]
	v_add_co_u32 v4, s1, s4, v4
	s_delay_alu instid0(VALU_DEP_1)
	v_add_co_ci_u32_e64 v5, s1, s5, v5, s1
	s_and_saveexec_b32 s1, s0
	s_cbranch_execz .LBB237_9
; %bb.8:
	v_ashrrev_i32_e32 v1, 31, v0
	s_delay_alu instid0(VALU_DEP_1) | instskip(NEXT) | instid1(VALU_DEP_1)
	v_lshlrev_b64 v[0:1], 4, v[0:1]
	v_add_co_u32 v0, s0, v4, v0
	s_delay_alu instid0(VALU_DEP_1)
	v_add_co_ci_u32_e64 v1, s0, v5, v1, s0
	global_load_b128 v[16:19], v[0:1], off
	s_waitcnt vmcnt(0)
	v_add_f64 v[14:15], v[14:15], v[16:17]
	v_add_f64 v[16:17], v[10:11], v[18:19]
	global_store_b128 v[0:1], v[14:17], off
.LBB237_9:
	s_or_b32 exec_lo, exec_lo, s1
	v_cmp_le_i32_e64 s0, v2, v3
	s_delay_alu instid0(VALU_DEP_1) | instskip(NEXT) | instid1(SALU_CYCLE_1)
	s_and_b32 s0, vcc_lo, s0
	s_and_saveexec_b32 s1, s0
	s_cbranch_execz .LBB237_11
; %bb.10:
	v_ashrrev_i32_e32 v3, 31, v2
	s_delay_alu instid0(VALU_DEP_1) | instskip(NEXT) | instid1(VALU_DEP_1)
	v_lshlrev_b64 v[0:1], 4, v[2:3]
	v_add_co_u32 v4, vcc_lo, v4, v0
	s_delay_alu instid0(VALU_DEP_2)
	v_add_co_ci_u32_e32 v5, vcc_lo, v5, v1, vcc_lo
	global_load_b128 v[0:3], v[4:5], off
	s_waitcnt vmcnt(0)
	v_add_f64 v[0:1], v[12:13], v[0:1]
	v_add_f64 v[2:3], v[8:9], v[2:3]
	global_store_b128 v[4:5], v[0:3], off
.LBB237_11:
	s_nop 0
	s_sendmsg sendmsg(MSG_DEALLOC_VGPRS)
	s_endpgm
	.section	.rodata,"a",@progbits
	.p2align	6, 0x0
	.amdhsa_kernel _ZL37rocblas_syrkx_herkx_restricted_kernelIi19rocblas_complex_numIdELi16ELi32ELi8ELi1ELi1ELb0ELc67ELc85EKS1_S1_EviT_PT9_S3_lS5_S3_lPT10_S3_li
		.amdhsa_group_segment_fixed_size 8192
		.amdhsa_private_segment_fixed_size 0
		.amdhsa_kernarg_size 84
		.amdhsa_user_sgpr_count 13
		.amdhsa_user_sgpr_dispatch_ptr 0
		.amdhsa_user_sgpr_queue_ptr 0
		.amdhsa_user_sgpr_kernarg_segment_ptr 1
		.amdhsa_user_sgpr_dispatch_id 0
		.amdhsa_user_sgpr_private_segment_size 0
		.amdhsa_wavefront_size32 1
		.amdhsa_uses_dynamic_stack 0
		.amdhsa_enable_private_segment 0
		.amdhsa_system_sgpr_workgroup_id_x 1
		.amdhsa_system_sgpr_workgroup_id_y 1
		.amdhsa_system_sgpr_workgroup_id_z 1
		.amdhsa_system_sgpr_workgroup_info 0
		.amdhsa_system_vgpr_workitem_id 1
		.amdhsa_next_free_vgpr 52
		.amdhsa_next_free_sgpr 20
		.amdhsa_reserve_vcc 1
		.amdhsa_float_round_mode_32 0
		.amdhsa_float_round_mode_16_64 0
		.amdhsa_float_denorm_mode_32 3
		.amdhsa_float_denorm_mode_16_64 3
		.amdhsa_dx10_clamp 1
		.amdhsa_ieee_mode 1
		.amdhsa_fp16_overflow 0
		.amdhsa_workgroup_processor_mode 1
		.amdhsa_memory_ordered 1
		.amdhsa_forward_progress 0
		.amdhsa_shared_vgpr_count 0
		.amdhsa_exception_fp_ieee_invalid_op 0
		.amdhsa_exception_fp_denorm_src 0
		.amdhsa_exception_fp_ieee_div_zero 0
		.amdhsa_exception_fp_ieee_overflow 0
		.amdhsa_exception_fp_ieee_underflow 0
		.amdhsa_exception_fp_ieee_inexact 0
		.amdhsa_exception_int_div_zero 0
	.end_amdhsa_kernel
	.section	.text._ZL37rocblas_syrkx_herkx_restricted_kernelIi19rocblas_complex_numIdELi16ELi32ELi8ELi1ELi1ELb0ELc67ELc85EKS1_S1_EviT_PT9_S3_lS5_S3_lPT10_S3_li,"axG",@progbits,_ZL37rocblas_syrkx_herkx_restricted_kernelIi19rocblas_complex_numIdELi16ELi32ELi8ELi1ELi1ELb0ELc67ELc85EKS1_S1_EviT_PT9_S3_lS5_S3_lPT10_S3_li,comdat
.Lfunc_end237:
	.size	_ZL37rocblas_syrkx_herkx_restricted_kernelIi19rocblas_complex_numIdELi16ELi32ELi8ELi1ELi1ELb0ELc67ELc85EKS1_S1_EviT_PT9_S3_lS5_S3_lPT10_S3_li, .Lfunc_end237-_ZL37rocblas_syrkx_herkx_restricted_kernelIi19rocblas_complex_numIdELi16ELi32ELi8ELi1ELi1ELb0ELc67ELc85EKS1_S1_EviT_PT9_S3_lS5_S3_lPT10_S3_li
                                        ; -- End function
	.section	.AMDGPU.csdata,"",@progbits
; Kernel info:
; codeLenInByte = 3288
; NumSgprs: 22
; NumVgprs: 52
; ScratchSize: 0
; MemoryBound: 0
; FloatMode: 240
; IeeeMode: 1
; LDSByteSize: 8192 bytes/workgroup (compile time only)
; SGPRBlocks: 2
; VGPRBlocks: 6
; NumSGPRsForWavesPerEU: 22
; NumVGPRsForWavesPerEU: 52
; Occupancy: 16
; WaveLimiterHint : 0
; COMPUTE_PGM_RSRC2:SCRATCH_EN: 0
; COMPUTE_PGM_RSRC2:USER_SGPR: 13
; COMPUTE_PGM_RSRC2:TRAP_HANDLER: 0
; COMPUTE_PGM_RSRC2:TGID_X_EN: 1
; COMPUTE_PGM_RSRC2:TGID_Y_EN: 1
; COMPUTE_PGM_RSRC2:TGID_Z_EN: 1
; COMPUTE_PGM_RSRC2:TIDIG_COMP_CNT: 1
	.section	.text._ZL37rocblas_syrkx_herkx_restricted_kernelIi19rocblas_complex_numIdELi16ELi32ELi8ELi1ELi1ELb0ELc78ELc85EKS1_S1_EviT_PT9_S3_lS5_S3_lPT10_S3_li,"axG",@progbits,_ZL37rocblas_syrkx_herkx_restricted_kernelIi19rocblas_complex_numIdELi16ELi32ELi8ELi1ELi1ELb0ELc78ELc85EKS1_S1_EviT_PT9_S3_lS5_S3_lPT10_S3_li,comdat
	.globl	_ZL37rocblas_syrkx_herkx_restricted_kernelIi19rocblas_complex_numIdELi16ELi32ELi8ELi1ELi1ELb0ELc78ELc85EKS1_S1_EviT_PT9_S3_lS5_S3_lPT10_S3_li ; -- Begin function _ZL37rocblas_syrkx_herkx_restricted_kernelIi19rocblas_complex_numIdELi16ELi32ELi8ELi1ELi1ELb0ELc78ELc85EKS1_S1_EviT_PT9_S3_lS5_S3_lPT10_S3_li
	.p2align	8
	.type	_ZL37rocblas_syrkx_herkx_restricted_kernelIi19rocblas_complex_numIdELi16ELi32ELi8ELi1ELi1ELb0ELc78ELc85EKS1_S1_EviT_PT9_S3_lS5_S3_lPT10_S3_li,@function
_ZL37rocblas_syrkx_herkx_restricted_kernelIi19rocblas_complex_numIdELi16ELi32ELi8ELi1ELi1ELb0ELc78ELc85EKS1_S1_EviT_PT9_S3_lS5_S3_lPT10_S3_li: ; @_ZL37rocblas_syrkx_herkx_restricted_kernelIi19rocblas_complex_numIdELi16ELi32ELi8ELi1ELi1ELb0ELc78ELc85EKS1_S1_EviT_PT9_S3_lS5_S3_lPT10_S3_li
; %bb.0:
	s_clause 0x1
	s_load_b64 s[2:3], s[0:1], 0x0
	s_load_b128 s[4:7], s[0:1], 0x30
	v_mov_b32_e32 v16, 0
	v_dual_mov_b32 v17, 0 :: v_dual_and_b32 v20, 0x3ff, v0
	v_bfe_u32 v21, v0, 10, 10
	s_delay_alu instid0(VALU_DEP_3) | instskip(NEXT) | instid1(VALU_DEP_3)
	v_mov_b32_e32 v6, v16
	v_dual_mov_b32 v4, v16 :: v_dual_mov_b32 v5, v17
	v_dual_mov_b32 v19, v17 :: v_dual_mov_b32 v18, v16
	v_dual_mov_b32 v7, v17 :: v_dual_mov_b32 v14, v16
	v_dual_mov_b32 v15, v17 :: v_dual_mov_b32 v10, v16
	v_dual_mov_b32 v11, v17 :: v_dual_mov_b32 v12, v16
	v_dual_mov_b32 v13, v17 :: v_dual_mov_b32 v8, v16
	v_mov_b32_e32 v9, v17
	s_lshl_b32 s12, s13, 5
	s_lshl_b32 s13, s14, 5
	s_waitcnt lgkmcnt(0)
	s_cmp_lt_i32 s3, 1
	s_mov_b32 s14, 0
	s_cbranch_scc1 .LBB238_3
; %bb.1:
	v_lshl_add_u32 v0, v21, 4, v20
	v_and_b32_e32 v6, 7, v20
	s_clause 0x3
	s_load_b32 s16, s[0:1], 0x10
	s_load_b32 s18, s[0:1], 0x28
	s_load_b128 s[8:11], s[0:1], 0x18
	s_load_b64 s[20:21], s[0:1], 0x8
	v_lshrrev_b32_e32 v1, 3, v0
	v_lshlrev_b32_e32 v3, 4, v6
	v_lshrrev_b32_e32 v7, 5, v0
	s_mul_i32 s5, s5, s15
	v_lshl_add_u32 v25, v21, 7, 0x1000
	s_delay_alu instid0(VALU_DEP_3) | instskip(NEXT) | instid1(VALU_DEP_1)
	v_lshl_or_b32 v8, v1, 7, v3
	v_dual_mov_b32 v8, 0 :: v_dual_add_nc_u32 v23, 0x1000, v8
	v_dual_mov_b32 v9, 0 :: v_dual_and_b32 v2, 31, v0
	v_add_nc_u32_e32 v0, s13, v1
	s_waitcnt lgkmcnt(0)
	s_ashr_i32 s17, s16, 31
	s_ashr_i32 s19, s18, 31
	v_mov_b32_e32 v11, v9
	v_dual_mov_b32 v13, v9 :: v_dual_lshlrev_b32 v4, 4, v2
	v_dual_mov_b32 v15, v9 :: v_dual_add_nc_u32 v2, s12, v2
	v_ashrrev_i32_e32 v1, 31, v0
	s_mul_i32 s9, s9, s15
	s_delay_alu instid0(VALU_DEP_3)
	v_lshl_or_b32 v22, v7, 9, v4
	s_mul_hi_u32 s22, s8, s15
	v_ashrrev_i32_e32 v3, 31, v2
	v_mad_i64_i32 v[4:5], null, s18, v6, v[0:1]
	s_add_i32 s9, s22, s9
	s_mul_i32 s8, s8, s15
	s_delay_alu instid0(VALU_DEP_2)
	v_mad_i64_i32 v[0:1], null, s16, v7, v[2:3]
	s_lshl_b64 s[8:9], s[8:9], 4
	v_dual_mov_b32 v10, v8 :: v_dual_mov_b32 v19, v9
	s_add_u32 s8, s20, s8
	s_addc_u32 s9, s21, s9
	s_mul_hi_u32 s20, s4, s15
	s_delay_alu instid0(VALU_DEP_2) | instskip(SKIP_4) | instid1(VALU_DEP_3)
	v_lshlrev_b64 v[0:1], 4, v[0:1]
	s_add_i32 s5, s20, s5
	s_mul_i32 s4, s4, s15
	v_dual_mov_b32 v14, v8 :: v_dual_mov_b32 v17, v9
	v_mov_b32_e32 v6, v8
	v_add_co_u32 v2, vcc_lo, s8, v0
	v_add_co_ci_u32_e32 v3, vcc_lo, s9, v1, vcc_lo
	v_lshlrev_b64 v[0:1], 4, v[4:5]
	s_lshl_b64 s[8:9], s[4:5], 4
	s_lshl_b64 s[4:5], s[16:17], 7
	s_add_u32 s8, s10, s8
	s_addc_u32 s9, s11, s9
	v_dual_mov_b32 v7, v9 :: v_dual_lshlrev_b32 v24, 4, v20
	v_add_co_u32 v4, vcc_lo, s8, v0
	v_add_co_ci_u32_e32 v5, vcc_lo, s9, v1, vcc_lo
	v_add_co_u32 v0, vcc_lo, v2, 8
	v_add_co_ci_u32_e32 v1, vcc_lo, 0, v3, vcc_lo
	s_delay_alu instid0(VALU_DEP_4) | instskip(NEXT) | instid1(VALU_DEP_4)
	v_add_co_u32 v2, vcc_lo, v4, 8
	v_add_co_ci_u32_e32 v3, vcc_lo, 0, v5, vcc_lo
	v_mov_b32_e32 v4, v8
	v_dual_mov_b32 v12, v8 :: v_dual_mov_b32 v5, v9
	v_mov_b32_e32 v18, v8
	v_mov_b32_e32 v16, v8
	s_lshl_b64 s[8:9], s[18:19], 7
.LBB238_2:                              ; =>This Inner Loop Header: Depth=1
	global_load_b128 v[26:29], v[0:1], off offset:-8
	v_add_co_u32 v0, vcc_lo, v0, s4
	v_add_co_ci_u32_e32 v1, vcc_lo, s5, v1, vcc_lo
	s_add_i32 s14, s14, 8
	s_delay_alu instid0(SALU_CYCLE_1)
	s_cmp_ge_i32 s14, s3
	s_waitcnt vmcnt(0)
	ds_store_b128 v22, v[26:29]
	global_load_b128 v[26:29], v[2:3], off offset:-8
	v_add_co_u32 v2, vcc_lo, v2, s8
	v_add_co_ci_u32_e32 v3, vcc_lo, s9, v3, vcc_lo
	s_waitcnt vmcnt(0)
	ds_store_b128 v23, v[26:29]
	s_waitcnt lgkmcnt(0)
	s_barrier
	buffer_gl0_inv
	ds_load_b128 v[26:29], v25
	ds_load_b128 v[30:33], v25 offset:16
	ds_load_b128 v[34:37], v25 offset:32
	;; [unrolled: 1-line block ×3, first 2 shown]
	ds_load_b128 v[42:45], v24
	s_waitcnt lgkmcnt(0)
	v_mul_f64 v[46:47], v[28:29], v[44:45]
	v_mul_f64 v[48:49], v[26:27], v[44:45]
	s_delay_alu instid0(VALU_DEP_2) | instskip(NEXT) | instid1(VALU_DEP_2)
	v_fma_f64 v[46:47], v[26:27], v[42:43], -v[46:47]
	v_fma_f64 v[48:49], v[28:29], v[42:43], v[48:49]
	s_delay_alu instid0(VALU_DEP_2) | instskip(NEXT) | instid1(VALU_DEP_2)
	v_add_f64 v[46:47], v[16:17], v[46:47]
	v_add_f64 v[48:49], v[18:19], v[48:49]
	ds_load_b128 v[16:19], v24 offset:256
	s_waitcnt lgkmcnt(0)
	v_mul_f64 v[50:51], v[28:29], v[18:19]
	s_delay_alu instid0(VALU_DEP_1) | instskip(SKIP_1) | instid1(VALU_DEP_1)
	v_fma_f64 v[50:51], v[26:27], v[16:17], -v[50:51]
	v_mul_f64 v[26:27], v[26:27], v[18:19]
	v_fma_f64 v[26:27], v[28:29], v[16:17], v[26:27]
	s_delay_alu instid0(VALU_DEP_3) | instskip(NEXT) | instid1(VALU_DEP_2)
	v_add_f64 v[28:29], v[6:7], v[50:51]
	v_add_f64 v[26:27], v[4:5], v[26:27]
	ds_load_b128 v[4:7], v25 offset:2048
	s_waitcnt lgkmcnt(0)
	v_mul_f64 v[50:51], v[6:7], v[44:45]
	v_mul_f64 v[44:45], v[4:5], v[44:45]
	s_delay_alu instid0(VALU_DEP_2) | instskip(NEXT) | instid1(VALU_DEP_2)
	v_fma_f64 v[50:51], v[4:5], v[42:43], -v[50:51]
	v_fma_f64 v[42:43], v[6:7], v[42:43], v[44:45]
	s_delay_alu instid0(VALU_DEP_2) | instskip(NEXT) | instid1(VALU_DEP_2)
	v_add_f64 v[44:45], v[14:15], v[50:51]
	v_add_f64 v[42:43], v[10:11], v[42:43]
	v_mul_f64 v[10:11], v[6:7], v[18:19]
	s_delay_alu instid0(VALU_DEP_1) | instskip(SKIP_1) | instid1(VALU_DEP_1)
	v_fma_f64 v[10:11], v[4:5], v[16:17], -v[10:11]
	v_mul_f64 v[4:5], v[4:5], v[18:19]
	v_fma_f64 v[4:5], v[6:7], v[16:17], v[4:5]
	s_delay_alu instid0(VALU_DEP_3) | instskip(NEXT) | instid1(VALU_DEP_2)
	v_add_f64 v[16:17], v[12:13], v[10:11]
	v_add_f64 v[18:19], v[8:9], v[4:5]
	ds_load_b128 v[4:7], v24 offset:512
	s_waitcnt lgkmcnt(0)
	v_mul_f64 v[8:9], v[32:33], v[6:7]
	v_mul_f64 v[10:11], v[30:31], v[6:7]
	s_delay_alu instid0(VALU_DEP_2) | instskip(NEXT) | instid1(VALU_DEP_2)
	v_fma_f64 v[8:9], v[30:31], v[4:5], -v[8:9]
	v_fma_f64 v[10:11], v[32:33], v[4:5], v[10:11]
	s_delay_alu instid0(VALU_DEP_2) | instskip(NEXT) | instid1(VALU_DEP_2)
	v_add_f64 v[46:47], v[46:47], v[8:9]
	v_add_f64 v[48:49], v[48:49], v[10:11]
	ds_load_b128 v[8:11], v24 offset:768
	s_waitcnt lgkmcnt(0)
	v_mul_f64 v[12:13], v[32:33], v[10:11]
	v_mul_f64 v[14:15], v[30:31], v[10:11]
	s_delay_alu instid0(VALU_DEP_2) | instskip(NEXT) | instid1(VALU_DEP_2)
	v_fma_f64 v[12:13], v[30:31], v[8:9], -v[12:13]
	v_fma_f64 v[14:15], v[32:33], v[8:9], v[14:15]
	s_delay_alu instid0(VALU_DEP_2) | instskip(NEXT) | instid1(VALU_DEP_2)
	v_add_f64 v[28:29], v[28:29], v[12:13]
	v_add_f64 v[26:27], v[26:27], v[14:15]
	ds_load_b128 v[12:15], v25 offset:2064
	s_waitcnt lgkmcnt(0)
	v_mul_f64 v[30:31], v[14:15], v[6:7]
	v_mul_f64 v[6:7], v[12:13], v[6:7]
	s_delay_alu instid0(VALU_DEP_2) | instskip(NEXT) | instid1(VALU_DEP_2)
	v_fma_f64 v[30:31], v[12:13], v[4:5], -v[30:31]
	v_fma_f64 v[4:5], v[14:15], v[4:5], v[6:7]
	v_mul_f64 v[6:7], v[12:13], v[10:11]
	s_delay_alu instid0(VALU_DEP_3) | instskip(NEXT) | instid1(VALU_DEP_3)
	v_add_f64 v[30:31], v[44:45], v[30:31]
	v_add_f64 v[32:33], v[42:43], v[4:5]
	v_mul_f64 v[4:5], v[14:15], v[10:11]
	s_delay_alu instid0(VALU_DEP_4) | instskip(NEXT) | instid1(VALU_DEP_2)
	v_fma_f64 v[6:7], v[14:15], v[8:9], v[6:7]
	v_fma_f64 v[4:5], v[12:13], v[8:9], -v[4:5]
	s_delay_alu instid0(VALU_DEP_2) | instskip(NEXT) | instid1(VALU_DEP_2)
	v_add_f64 v[18:19], v[18:19], v[6:7]
	v_add_f64 v[16:17], v[16:17], v[4:5]
	ds_load_b128 v[4:7], v24 offset:1024
	s_waitcnt lgkmcnt(0)
	v_mul_f64 v[8:9], v[36:37], v[6:7]
	v_mul_f64 v[10:11], v[34:35], v[6:7]
	s_delay_alu instid0(VALU_DEP_2) | instskip(NEXT) | instid1(VALU_DEP_2)
	v_fma_f64 v[8:9], v[34:35], v[4:5], -v[8:9]
	v_fma_f64 v[10:11], v[36:37], v[4:5], v[10:11]
	s_delay_alu instid0(VALU_DEP_2) | instskip(NEXT) | instid1(VALU_DEP_2)
	v_add_f64 v[42:43], v[46:47], v[8:9]
	v_add_f64 v[44:45], v[48:49], v[10:11]
	ds_load_b128 v[8:11], v24 offset:1280
	s_waitcnt lgkmcnt(0)
	v_mul_f64 v[12:13], v[36:37], v[10:11]
	v_mul_f64 v[14:15], v[34:35], v[10:11]
	s_delay_alu instid0(VALU_DEP_2) | instskip(NEXT) | instid1(VALU_DEP_2)
	v_fma_f64 v[12:13], v[34:35], v[8:9], -v[12:13]
	v_fma_f64 v[14:15], v[36:37], v[8:9], v[14:15]
	s_delay_alu instid0(VALU_DEP_2) | instskip(NEXT) | instid1(VALU_DEP_2)
	v_add_f64 v[28:29], v[28:29], v[12:13]
	v_add_f64 v[26:27], v[26:27], v[14:15]
	ds_load_b128 v[12:15], v25 offset:2080
	s_waitcnt lgkmcnt(0)
	v_mul_f64 v[34:35], v[14:15], v[6:7]
	v_mul_f64 v[6:7], v[12:13], v[6:7]
	s_delay_alu instid0(VALU_DEP_2) | instskip(NEXT) | instid1(VALU_DEP_2)
	v_fma_f64 v[34:35], v[12:13], v[4:5], -v[34:35]
	v_fma_f64 v[4:5], v[14:15], v[4:5], v[6:7]
	v_mul_f64 v[6:7], v[12:13], v[10:11]
	s_delay_alu instid0(VALU_DEP_3) | instskip(NEXT) | instid1(VALU_DEP_3)
	v_add_f64 v[30:31], v[30:31], v[34:35]
	v_add_f64 v[32:33], v[32:33], v[4:5]
	v_mul_f64 v[4:5], v[14:15], v[10:11]
	s_delay_alu instid0(VALU_DEP_4) | instskip(NEXT) | instid1(VALU_DEP_2)
	v_fma_f64 v[6:7], v[14:15], v[8:9], v[6:7]
	v_fma_f64 v[4:5], v[12:13], v[8:9], -v[4:5]
	s_delay_alu instid0(VALU_DEP_2) | instskip(NEXT) | instid1(VALU_DEP_2)
	;; [unrolled: 38-line block ×3, first 2 shown]
	v_add_f64 v[18:19], v[18:19], v[6:7]
	v_add_f64 v[16:17], v[16:17], v[4:5]
	ds_load_b128 v[4:7], v25 offset:64
	ds_load_b128 v[8:11], v24 offset:2048
	s_waitcnt lgkmcnt(0)
	v_mul_f64 v[12:13], v[6:7], v[10:11]
	v_mul_f64 v[14:15], v[4:5], v[10:11]
	s_delay_alu instid0(VALU_DEP_2) | instskip(NEXT) | instid1(VALU_DEP_2)
	v_fma_f64 v[12:13], v[4:5], v[8:9], -v[12:13]
	v_fma_f64 v[14:15], v[6:7], v[8:9], v[14:15]
	s_delay_alu instid0(VALU_DEP_2) | instskip(NEXT) | instid1(VALU_DEP_2)
	v_add_f64 v[34:35], v[34:35], v[12:13]
	v_add_f64 v[36:37], v[36:37], v[14:15]
	ds_load_b128 v[12:15], v24 offset:2304
	s_waitcnt lgkmcnt(0)
	v_mul_f64 v[38:39], v[6:7], v[14:15]
	s_delay_alu instid0(VALU_DEP_1) | instskip(SKIP_1) | instid1(VALU_DEP_2)
	v_fma_f64 v[38:39], v[4:5], v[12:13], -v[38:39]
	v_mul_f64 v[4:5], v[4:5], v[14:15]
	v_add_f64 v[28:29], v[28:29], v[38:39]
	s_delay_alu instid0(VALU_DEP_2) | instskip(NEXT) | instid1(VALU_DEP_1)
	v_fma_f64 v[4:5], v[6:7], v[12:13], v[4:5]
	v_add_f64 v[26:27], v[26:27], v[4:5]
	ds_load_b128 v[4:7], v25 offset:2112
	s_waitcnt lgkmcnt(0)
	v_mul_f64 v[38:39], v[6:7], v[10:11]
	v_mul_f64 v[10:11], v[4:5], v[10:11]
	s_delay_alu instid0(VALU_DEP_2) | instskip(NEXT) | instid1(VALU_DEP_2)
	v_fma_f64 v[38:39], v[4:5], v[8:9], -v[38:39]
	v_fma_f64 v[8:9], v[6:7], v[8:9], v[10:11]
	s_delay_alu instid0(VALU_DEP_2) | instskip(NEXT) | instid1(VALU_DEP_2)
	v_add_f64 v[30:31], v[30:31], v[38:39]
	v_add_f64 v[32:33], v[32:33], v[8:9]
	v_mul_f64 v[8:9], v[6:7], v[14:15]
	s_delay_alu instid0(VALU_DEP_1) | instskip(SKIP_1) | instid1(VALU_DEP_2)
	v_fma_f64 v[8:9], v[4:5], v[12:13], -v[8:9]
	v_mul_f64 v[4:5], v[4:5], v[14:15]
	v_add_f64 v[16:17], v[16:17], v[8:9]
	s_delay_alu instid0(VALU_DEP_2) | instskip(NEXT) | instid1(VALU_DEP_1)
	v_fma_f64 v[4:5], v[6:7], v[12:13], v[4:5]
	v_add_f64 v[18:19], v[18:19], v[4:5]
	ds_load_b128 v[4:7], v25 offset:80
	ds_load_b128 v[8:11], v24 offset:2560
	s_waitcnt lgkmcnt(0)
	v_mul_f64 v[12:13], v[6:7], v[10:11]
	v_mul_f64 v[14:15], v[4:5], v[10:11]
	s_delay_alu instid0(VALU_DEP_2) | instskip(NEXT) | instid1(VALU_DEP_2)
	v_fma_f64 v[12:13], v[4:5], v[8:9], -v[12:13]
	v_fma_f64 v[14:15], v[6:7], v[8:9], v[14:15]
	s_delay_alu instid0(VALU_DEP_2) | instskip(NEXT) | instid1(VALU_DEP_2)
	v_add_f64 v[34:35], v[34:35], v[12:13]
	v_add_f64 v[36:37], v[36:37], v[14:15]
	ds_load_b128 v[12:15], v24 offset:2816
	s_waitcnt lgkmcnt(0)
	v_mul_f64 v[38:39], v[6:7], v[14:15]
	s_delay_alu instid0(VALU_DEP_1) | instskip(SKIP_1) | instid1(VALU_DEP_2)
	v_fma_f64 v[38:39], v[4:5], v[12:13], -v[38:39]
	v_mul_f64 v[4:5], v[4:5], v[14:15]
	v_add_f64 v[28:29], v[28:29], v[38:39]
	s_delay_alu instid0(VALU_DEP_2) | instskip(NEXT) | instid1(VALU_DEP_1)
	v_fma_f64 v[4:5], v[6:7], v[12:13], v[4:5]
	v_add_f64 v[26:27], v[26:27], v[4:5]
	ds_load_b128 v[4:7], v25 offset:2128
	s_waitcnt lgkmcnt(0)
	v_mul_f64 v[38:39], v[6:7], v[10:11]
	v_mul_f64 v[10:11], v[4:5], v[10:11]
	s_delay_alu instid0(VALU_DEP_2) | instskip(NEXT) | instid1(VALU_DEP_2)
	v_fma_f64 v[38:39], v[4:5], v[8:9], -v[38:39]
	v_fma_f64 v[8:9], v[6:7], v[8:9], v[10:11]
	s_delay_alu instid0(VALU_DEP_2) | instskip(NEXT) | instid1(VALU_DEP_2)
	v_add_f64 v[30:31], v[30:31], v[38:39]
	v_add_f64 v[32:33], v[32:33], v[8:9]
	v_mul_f64 v[8:9], v[6:7], v[14:15]
	s_delay_alu instid0(VALU_DEP_1) | instskip(SKIP_1) | instid1(VALU_DEP_2)
	v_fma_f64 v[8:9], v[4:5], v[12:13], -v[8:9]
	v_mul_f64 v[4:5], v[4:5], v[14:15]
	v_add_f64 v[16:17], v[16:17], v[8:9]
	s_delay_alu instid0(VALU_DEP_2) | instskip(NEXT) | instid1(VALU_DEP_1)
	v_fma_f64 v[4:5], v[6:7], v[12:13], v[4:5]
	v_add_f64 v[18:19], v[18:19], v[4:5]
	ds_load_b128 v[4:7], v25 offset:96
	ds_load_b128 v[8:11], v24 offset:3072
	s_waitcnt lgkmcnt(0)
	v_mul_f64 v[12:13], v[6:7], v[10:11]
	v_mul_f64 v[14:15], v[4:5], v[10:11]
	s_delay_alu instid0(VALU_DEP_2) | instskip(NEXT) | instid1(VALU_DEP_2)
	v_fma_f64 v[12:13], v[4:5], v[8:9], -v[12:13]
	v_fma_f64 v[14:15], v[6:7], v[8:9], v[14:15]
	s_delay_alu instid0(VALU_DEP_2) | instskip(NEXT) | instid1(VALU_DEP_2)
	v_add_f64 v[34:35], v[34:35], v[12:13]
	v_add_f64 v[36:37], v[36:37], v[14:15]
	ds_load_b128 v[12:15], v24 offset:3328
	s_waitcnt lgkmcnt(0)
	v_mul_f64 v[38:39], v[6:7], v[14:15]
	s_delay_alu instid0(VALU_DEP_1) | instskip(SKIP_1) | instid1(VALU_DEP_2)
	v_fma_f64 v[38:39], v[4:5], v[12:13], -v[38:39]
	v_mul_f64 v[4:5], v[4:5], v[14:15]
	v_add_f64 v[38:39], v[28:29], v[38:39]
	s_delay_alu instid0(VALU_DEP_2) | instskip(NEXT) | instid1(VALU_DEP_1)
	v_fma_f64 v[4:5], v[6:7], v[12:13], v[4:5]
	v_add_f64 v[40:41], v[26:27], v[4:5]
	ds_load_b128 v[4:7], v25 offset:2144
	s_waitcnt lgkmcnt(0)
	v_mul_f64 v[26:27], v[6:7], v[10:11]
	v_mul_f64 v[10:11], v[4:5], v[10:11]
	s_delay_alu instid0(VALU_DEP_2) | instskip(NEXT) | instid1(VALU_DEP_2)
	v_fma_f64 v[26:27], v[4:5], v[8:9], -v[26:27]
	v_fma_f64 v[8:9], v[6:7], v[8:9], v[10:11]
	s_delay_alu instid0(VALU_DEP_2) | instskip(NEXT) | instid1(VALU_DEP_2)
	v_add_f64 v[42:43], v[30:31], v[26:27]
	v_add_f64 v[44:45], v[32:33], v[8:9]
	v_mul_f64 v[8:9], v[6:7], v[14:15]
	s_delay_alu instid0(VALU_DEP_1) | instskip(SKIP_1) | instid1(VALU_DEP_1)
	v_fma_f64 v[8:9], v[4:5], v[12:13], -v[8:9]
	v_mul_f64 v[4:5], v[4:5], v[14:15]
	v_fma_f64 v[4:5], v[6:7], v[12:13], v[4:5]
	s_delay_alu instid0(VALU_DEP_3) | instskip(NEXT) | instid1(VALU_DEP_2)
	v_add_f64 v[12:13], v[16:17], v[8:9]
	v_add_f64 v[46:47], v[18:19], v[4:5]
	ds_load_b128 v[4:7], v25 offset:112
	ds_load_b128 v[8:11], v24 offset:3584
	ds_load_b128 v[26:29], v24 offset:3840
	ds_load_b128 v[30:33], v25 offset:2160
	s_waitcnt lgkmcnt(0)
	s_barrier
	buffer_gl0_inv
	v_mul_f64 v[14:15], v[6:7], v[10:11]
	v_mul_f64 v[16:17], v[4:5], v[10:11]
	s_delay_alu instid0(VALU_DEP_2) | instskip(NEXT) | instid1(VALU_DEP_2)
	v_fma_f64 v[14:15], v[4:5], v[8:9], -v[14:15]
	v_fma_f64 v[18:19], v[6:7], v[8:9], v[16:17]
	s_delay_alu instid0(VALU_DEP_2) | instskip(SKIP_1) | instid1(VALU_DEP_3)
	v_add_f64 v[16:17], v[34:35], v[14:15]
	v_mul_f64 v[14:15], v[6:7], v[28:29]
	v_add_f64 v[18:19], v[36:37], v[18:19]
	s_delay_alu instid0(VALU_DEP_2) | instskip(SKIP_1) | instid1(VALU_DEP_1)
	v_fma_f64 v[14:15], v[4:5], v[26:27], -v[14:15]
	v_mul_f64 v[4:5], v[4:5], v[28:29]
	v_fma_f64 v[4:5], v[6:7], v[26:27], v[4:5]
	s_delay_alu instid0(VALU_DEP_3) | instskip(SKIP_2) | instid1(VALU_DEP_4)
	v_add_f64 v[6:7], v[38:39], v[14:15]
	v_mul_f64 v[14:15], v[32:33], v[10:11]
	v_mul_f64 v[10:11], v[30:31], v[10:11]
	v_add_f64 v[4:5], v[40:41], v[4:5]
	s_delay_alu instid0(VALU_DEP_3) | instskip(NEXT) | instid1(VALU_DEP_3)
	v_fma_f64 v[14:15], v[30:31], v[8:9], -v[14:15]
	v_fma_f64 v[8:9], v[32:33], v[8:9], v[10:11]
	s_delay_alu instid0(VALU_DEP_2) | instskip(NEXT) | instid1(VALU_DEP_2)
	v_add_f64 v[14:15], v[42:43], v[14:15]
	v_add_f64 v[10:11], v[44:45], v[8:9]
	v_mul_f64 v[8:9], v[32:33], v[28:29]
	v_mul_f64 v[28:29], v[30:31], v[28:29]
	s_delay_alu instid0(VALU_DEP_2) | instskip(NEXT) | instid1(VALU_DEP_2)
	v_fma_f64 v[8:9], v[30:31], v[26:27], -v[8:9]
	v_fma_f64 v[26:27], v[32:33], v[26:27], v[28:29]
	s_delay_alu instid0(VALU_DEP_2) | instskip(NEXT) | instid1(VALU_DEP_2)
	v_add_f64 v[12:13], v[12:13], v[8:9]
	v_add_f64 v[8:9], v[46:47], v[26:27]
	s_cbranch_scc0 .LBB238_2
.LBB238_3:
	s_clause 0x1
	s_load_b32 s3, s[0:1], 0x40
	s_load_b64 s[0:1], s[0:1], 0x48
	v_add_nc_u32_e32 v21, s13, v21
	v_add_nc_u32_e32 v0, s12, v20
	s_delay_alu instid0(VALU_DEP_2)
	v_cmp_gt_i32_e32 vcc_lo, s2, v21
	s_waitcnt lgkmcnt(0)
	v_mad_i64_i32 v[1:2], null, v21, s3, 0
	s_mul_i32 s1, s15, s1
	s_mul_hi_u32 s4, s15, s0
	s_mul_i32 s0, s15, s0
	s_add_i32 s1, s4, s1
	s_delay_alu instid0(SALU_CYCLE_1) | instskip(NEXT) | instid1(VALU_DEP_1)
	s_lshl_b64 s[4:5], s[0:1], 4
	v_lshlrev_b64 v[1:2], 4, v[1:2]
	s_add_u32 s4, s6, s4
	v_cmp_le_i32_e64 s0, v0, v21
	s_addc_u32 s5, s7, s5
	s_delay_alu instid0(VALU_DEP_2) | instskip(NEXT) | instid1(VALU_DEP_1)
	v_add_co_u32 v20, s1, s4, v1
	v_add_co_ci_u32_e64 v22, s1, s5, v2, s1
	s_delay_alu instid0(VALU_DEP_3) | instskip(NEXT) | instid1(SALU_CYCLE_1)
	s_and_b32 s0, vcc_lo, s0
	s_and_saveexec_b32 s1, s0
	s_cbranch_execz .LBB238_5
; %bb.4:
	v_ashrrev_i32_e32 v1, 31, v0
	s_delay_alu instid0(VALU_DEP_1) | instskip(NEXT) | instid1(VALU_DEP_1)
	v_lshlrev_b64 v[1:2], 4, v[0:1]
	v_add_co_u32 v1, s0, v20, v1
	s_delay_alu instid0(VALU_DEP_1)
	v_add_co_ci_u32_e64 v2, s0, v22, v2, s0
	global_load_b128 v[23:26], v[1:2], off
	s_waitcnt vmcnt(0)
	v_add_f64 v[16:17], v[16:17], v[23:24]
	v_add_f64 v[18:19], v[18:19], v[25:26]
	global_store_b128 v[1:2], v[16:19], off
.LBB238_5:
	s_or_b32 exec_lo, exec_lo, s1
	v_add_nc_u32_e32 v2, 16, v0
	s_delay_alu instid0(VALU_DEP_1) | instskip(NEXT) | instid1(VALU_DEP_1)
	v_cmp_le_i32_e64 s0, v2, v21
	s_and_b32 s1, vcc_lo, s0
	s_delay_alu instid0(SALU_CYCLE_1)
	s_and_saveexec_b32 s0, s1
	s_cbranch_execz .LBB238_7
; %bb.6:
	v_ashrrev_i32_e32 v3, 31, v2
	s_delay_alu instid0(VALU_DEP_1) | instskip(NEXT) | instid1(VALU_DEP_1)
	v_lshlrev_b64 v[16:17], 4, v[2:3]
	v_add_co_u32 v23, vcc_lo, v20, v16
	s_delay_alu instid0(VALU_DEP_2)
	v_add_co_ci_u32_e32 v24, vcc_lo, v22, v17, vcc_lo
	global_load_b128 v[16:19], v[23:24], off
	s_waitcnt vmcnt(0)
	v_add_f64 v[16:17], v[6:7], v[16:17]
	v_add_f64 v[18:19], v[4:5], v[18:19]
	global_store_b128 v[23:24], v[16:19], off
.LBB238_7:
	s_or_b32 exec_lo, exec_lo, s0
	v_add_nc_u32_e32 v3, 16, v21
	s_delay_alu instid0(VALU_DEP_1) | instskip(SKIP_2) | instid1(VALU_DEP_1)
	v_mad_i64_i32 v[4:5], null, v3, s3, 0
	v_cmp_gt_i32_e32 vcc_lo, s2, v3
	v_cmp_le_i32_e64 s0, v0, v3
	s_and_b32 s0, vcc_lo, s0
	s_delay_alu instid0(VALU_DEP_3) | instskip(NEXT) | instid1(VALU_DEP_1)
	v_lshlrev_b64 v[4:5], 4, v[4:5]
	v_add_co_u32 v4, s1, s4, v4
	s_delay_alu instid0(VALU_DEP_1)
	v_add_co_ci_u32_e64 v5, s1, s5, v5, s1
	s_and_saveexec_b32 s1, s0
	s_cbranch_execz .LBB238_9
; %bb.8:
	v_ashrrev_i32_e32 v1, 31, v0
	s_delay_alu instid0(VALU_DEP_1) | instskip(NEXT) | instid1(VALU_DEP_1)
	v_lshlrev_b64 v[0:1], 4, v[0:1]
	v_add_co_u32 v0, s0, v4, v0
	s_delay_alu instid0(VALU_DEP_1)
	v_add_co_ci_u32_e64 v1, s0, v5, v1, s0
	global_load_b128 v[16:19], v[0:1], off
	s_waitcnt vmcnt(0)
	v_add_f64 v[14:15], v[14:15], v[16:17]
	v_add_f64 v[16:17], v[10:11], v[18:19]
	global_store_b128 v[0:1], v[14:17], off
.LBB238_9:
	s_or_b32 exec_lo, exec_lo, s1
	v_cmp_le_i32_e64 s0, v2, v3
	s_delay_alu instid0(VALU_DEP_1) | instskip(NEXT) | instid1(SALU_CYCLE_1)
	s_and_b32 s0, vcc_lo, s0
	s_and_saveexec_b32 s1, s0
	s_cbranch_execz .LBB238_11
; %bb.10:
	v_ashrrev_i32_e32 v3, 31, v2
	s_delay_alu instid0(VALU_DEP_1) | instskip(NEXT) | instid1(VALU_DEP_1)
	v_lshlrev_b64 v[0:1], 4, v[2:3]
	v_add_co_u32 v4, vcc_lo, v4, v0
	s_delay_alu instid0(VALU_DEP_2)
	v_add_co_ci_u32_e32 v5, vcc_lo, v5, v1, vcc_lo
	global_load_b128 v[0:3], v[4:5], off
	s_waitcnt vmcnt(0)
	v_add_f64 v[0:1], v[12:13], v[0:1]
	v_add_f64 v[2:3], v[8:9], v[2:3]
	global_store_b128 v[4:5], v[0:3], off
.LBB238_11:
	s_nop 0
	s_sendmsg sendmsg(MSG_DEALLOC_VGPRS)
	s_endpgm
	.section	.rodata,"a",@progbits
	.p2align	6, 0x0
	.amdhsa_kernel _ZL37rocblas_syrkx_herkx_restricted_kernelIi19rocblas_complex_numIdELi16ELi32ELi8ELi1ELi1ELb0ELc78ELc85EKS1_S1_EviT_PT9_S3_lS5_S3_lPT10_S3_li
		.amdhsa_group_segment_fixed_size 8192
		.amdhsa_private_segment_fixed_size 0
		.amdhsa_kernarg_size 84
		.amdhsa_user_sgpr_count 13
		.amdhsa_user_sgpr_dispatch_ptr 0
		.amdhsa_user_sgpr_queue_ptr 0
		.amdhsa_user_sgpr_kernarg_segment_ptr 1
		.amdhsa_user_sgpr_dispatch_id 0
		.amdhsa_user_sgpr_private_segment_size 0
		.amdhsa_wavefront_size32 1
		.amdhsa_uses_dynamic_stack 0
		.amdhsa_enable_private_segment 0
		.amdhsa_system_sgpr_workgroup_id_x 1
		.amdhsa_system_sgpr_workgroup_id_y 1
		.amdhsa_system_sgpr_workgroup_id_z 1
		.amdhsa_system_sgpr_workgroup_info 0
		.amdhsa_system_vgpr_workitem_id 1
		.amdhsa_next_free_vgpr 52
		.amdhsa_next_free_sgpr 23
		.amdhsa_reserve_vcc 1
		.amdhsa_float_round_mode_32 0
		.amdhsa_float_round_mode_16_64 0
		.amdhsa_float_denorm_mode_32 3
		.amdhsa_float_denorm_mode_16_64 3
		.amdhsa_dx10_clamp 1
		.amdhsa_ieee_mode 1
		.amdhsa_fp16_overflow 0
		.amdhsa_workgroup_processor_mode 1
		.amdhsa_memory_ordered 1
		.amdhsa_forward_progress 0
		.amdhsa_shared_vgpr_count 0
		.amdhsa_exception_fp_ieee_invalid_op 0
		.amdhsa_exception_fp_denorm_src 0
		.amdhsa_exception_fp_ieee_div_zero 0
		.amdhsa_exception_fp_ieee_overflow 0
		.amdhsa_exception_fp_ieee_underflow 0
		.amdhsa_exception_fp_ieee_inexact 0
		.amdhsa_exception_int_div_zero 0
	.end_amdhsa_kernel
	.section	.text._ZL37rocblas_syrkx_herkx_restricted_kernelIi19rocblas_complex_numIdELi16ELi32ELi8ELi1ELi1ELb0ELc78ELc85EKS1_S1_EviT_PT9_S3_lS5_S3_lPT10_S3_li,"axG",@progbits,_ZL37rocblas_syrkx_herkx_restricted_kernelIi19rocblas_complex_numIdELi16ELi32ELi8ELi1ELi1ELb0ELc78ELc85EKS1_S1_EviT_PT9_S3_lS5_S3_lPT10_S3_li,comdat
.Lfunc_end238:
	.size	_ZL37rocblas_syrkx_herkx_restricted_kernelIi19rocblas_complex_numIdELi16ELi32ELi8ELi1ELi1ELb0ELc78ELc85EKS1_S1_EviT_PT9_S3_lS5_S3_lPT10_S3_li, .Lfunc_end238-_ZL37rocblas_syrkx_herkx_restricted_kernelIi19rocblas_complex_numIdELi16ELi32ELi8ELi1ELi1ELb0ELc78ELc85EKS1_S1_EviT_PT9_S3_lS5_S3_lPT10_S3_li
                                        ; -- End function
	.section	.AMDGPU.csdata,"",@progbits
; Kernel info:
; codeLenInByte = 3300
; NumSgprs: 25
; NumVgprs: 52
; ScratchSize: 0
; MemoryBound: 0
; FloatMode: 240
; IeeeMode: 1
; LDSByteSize: 8192 bytes/workgroup (compile time only)
; SGPRBlocks: 3
; VGPRBlocks: 6
; NumSGPRsForWavesPerEU: 25
; NumVGPRsForWavesPerEU: 52
; Occupancy: 16
; WaveLimiterHint : 0
; COMPUTE_PGM_RSRC2:SCRATCH_EN: 0
; COMPUTE_PGM_RSRC2:USER_SGPR: 13
; COMPUTE_PGM_RSRC2:TRAP_HANDLER: 0
; COMPUTE_PGM_RSRC2:TGID_X_EN: 1
; COMPUTE_PGM_RSRC2:TGID_Y_EN: 1
; COMPUTE_PGM_RSRC2:TGID_Z_EN: 1
; COMPUTE_PGM_RSRC2:TIDIG_COMP_CNT: 1
	.section	.text._ZL37rocblas_syrkx_herkx_restricted_kernelIi19rocblas_complex_numIdELi16ELi32ELi8ELi1ELin1ELb0ELc84ELc76EKS1_S1_EviT_PT9_S3_lS5_S3_lPT10_S3_li,"axG",@progbits,_ZL37rocblas_syrkx_herkx_restricted_kernelIi19rocblas_complex_numIdELi16ELi32ELi8ELi1ELin1ELb0ELc84ELc76EKS1_S1_EviT_PT9_S3_lS5_S3_lPT10_S3_li,comdat
	.globl	_ZL37rocblas_syrkx_herkx_restricted_kernelIi19rocblas_complex_numIdELi16ELi32ELi8ELi1ELin1ELb0ELc84ELc76EKS1_S1_EviT_PT9_S3_lS5_S3_lPT10_S3_li ; -- Begin function _ZL37rocblas_syrkx_herkx_restricted_kernelIi19rocblas_complex_numIdELi16ELi32ELi8ELi1ELin1ELb0ELc84ELc76EKS1_S1_EviT_PT9_S3_lS5_S3_lPT10_S3_li
	.p2align	8
	.type	_ZL37rocblas_syrkx_herkx_restricted_kernelIi19rocblas_complex_numIdELi16ELi32ELi8ELi1ELin1ELb0ELc84ELc76EKS1_S1_EviT_PT9_S3_lS5_S3_lPT10_S3_li,@function
_ZL37rocblas_syrkx_herkx_restricted_kernelIi19rocblas_complex_numIdELi16ELi32ELi8ELi1ELin1ELb0ELc84ELc76EKS1_S1_EviT_PT9_S3_lS5_S3_lPT10_S3_li: ; @_ZL37rocblas_syrkx_herkx_restricted_kernelIi19rocblas_complex_numIdELi16ELi32ELi8ELi1ELin1ELb0ELc84ELc76EKS1_S1_EviT_PT9_S3_lS5_S3_lPT10_S3_li
; %bb.0:
	s_clause 0x1
	s_load_b64 s[2:3], s[0:1], 0x0
	s_load_b128 s[4:7], s[0:1], 0x30
	v_mov_b32_e32 v16, 0
	v_dual_mov_b32 v17, 0 :: v_dual_and_b32 v20, 0x3ff, v0
	v_bfe_u32 v21, v0, 10, 10
	s_delay_alu instid0(VALU_DEP_3) | instskip(NEXT) | instid1(VALU_DEP_3)
	v_mov_b32_e32 v6, v16
	v_dual_mov_b32 v4, v16 :: v_dual_mov_b32 v5, v17
	v_dual_mov_b32 v19, v17 :: v_dual_mov_b32 v18, v16
	;; [unrolled: 1-line block ×6, first 2 shown]
	v_mov_b32_e32 v9, v17
	s_lshl_b32 s12, s13, 5
	s_lshl_b32 s13, s14, 5
	s_waitcnt lgkmcnt(0)
	s_cmp_lt_i32 s3, 1
	s_mov_b32 s14, 0
	s_cbranch_scc1 .LBB239_3
; %bb.1:
	s_clause 0x3
	s_load_b32 s18, s[0:1], 0x10
	s_load_b128 s[8:11], s[0:1], 0x18
	s_load_b64 s[16:17], s[0:1], 0x8
	s_load_b32 s19, s[0:1], 0x28
	v_lshl_add_u32 v2, v21, 4, v20
	v_dual_mov_b32 v1, 0 :: v_dual_and_b32 v0, 7, v20
	v_lshlrev_b32_e32 v22, 4, v20
	s_mul_i32 s5, s5, s15
	s_delay_alu instid0(VALU_DEP_3)
	v_lshrrev_b32_e32 v4, 3, v2
	v_and_b32_e32 v5, 31, v2
	v_lshlrev_b32_e32 v3, 4, v0
	v_lshrrev_b32_e32 v2, 5, v2
	v_lshl_add_u32 v25, v21, 7, 0x1000
	v_add_nc_u32_e32 v9, s13, v4
	v_add_nc_u32_e32 v8, s12, v5
	v_lshl_or_b32 v7, v4, 7, v3
	v_dual_mov_b32 v3, v1 :: v_dual_lshlrev_b32 v6, 4, v5
	s_waitcnt lgkmcnt(0)
	s_delay_alu instid0(VALU_DEP_1) | instskip(NEXT) | instid1(VALU_DEP_2)
	v_mad_i64_i32 v[4:5], null, s18, v8, v[2:3]
	v_lshl_or_b32 v23, v2, 9, v6
	s_mul_i32 s9, s9, s15
	s_mul_hi_u32 s18, s8, s15
	v_mad_i64_i32 v[2:3], null, s19, v9, v[0:1]
	s_mul_i32 s8, s8, s15
	s_add_i32 s9, s18, s9
	s_delay_alu instid0(VALU_DEP_3)
	v_lshlrev_b64 v[0:1], 4, v[4:5]
	s_lshl_b64 s[8:9], s[8:9], 4
	v_mov_b32_e32 v8, 0
	v_mov_b32_e32 v9, 0
	s_add_u32 s8, s16, s8
	s_mul_hi_u32 s16, s4, s15
	s_addc_u32 s9, s17, s9
	s_add_i32 s5, s16, s5
	s_mul_i32 s4, s4, s15
	v_lshlrev_b64 v[2:3], 4, v[2:3]
	s_lshl_b64 s[4:5], s[4:5], 4
	v_add_co_u32 v0, vcc_lo, s8, v0
	s_add_u32 s4, s10, s4
	v_add_co_ci_u32_e32 v1, vcc_lo, s9, v1, vcc_lo
	s_addc_u32 s5, s11, s5
	v_add_co_u32 v2, vcc_lo, s4, v2
	v_add_co_ci_u32_e32 v3, vcc_lo, s5, v3, vcc_lo
	v_add_co_u32 v0, vcc_lo, v0, 8
	v_add_co_ci_u32_e32 v1, vcc_lo, 0, v1, vcc_lo
	s_delay_alu instid0(VALU_DEP_4)
	v_add_co_u32 v2, vcc_lo, v2, 8
	v_dual_mov_b32 v13, v9 :: v_dual_add_nc_u32 v24, 0x1000, v7
	v_add_co_ci_u32_e32 v3, vcc_lo, 0, v3, vcc_lo
	v_dual_mov_b32 v12, v8 :: v_dual_mov_b32 v11, v9
	v_dual_mov_b32 v10, v8 :: v_dual_mov_b32 v15, v9
	v_mov_b32_e32 v14, v8
	v_dual_mov_b32 v4, v8 :: v_dual_mov_b32 v5, v9
	v_dual_mov_b32 v6, v8 :: v_dual_mov_b32 v7, v9
	;; [unrolled: 1-line block ×4, first 2 shown]
.LBB239_2:                              ; =>This Inner Loop Header: Depth=1
	global_load_b128 v[26:29], v[0:1], off offset:-8
	v_add_co_u32 v0, vcc_lo, 0x80, v0
	v_add_co_ci_u32_e32 v1, vcc_lo, 0, v1, vcc_lo
	s_add_i32 s14, s14, 8
	s_delay_alu instid0(SALU_CYCLE_1)
	s_cmp_ge_i32 s14, s3
	s_waitcnt vmcnt(0)
	ds_store_b128 v23, v[26:29]
	global_load_b128 v[26:29], v[2:3], off offset:-8
	v_add_co_u32 v2, vcc_lo, 0x80, v2
	v_add_co_ci_u32_e32 v3, vcc_lo, 0, v3, vcc_lo
	s_waitcnt vmcnt(0)
	ds_store_b128 v24, v[26:29]
	s_waitcnt lgkmcnt(0)
	s_barrier
	buffer_gl0_inv
	ds_load_b128 v[26:29], v25
	ds_load_b128 v[30:33], v25 offset:16
	ds_load_b128 v[34:37], v25 offset:32
	;; [unrolled: 1-line block ×3, first 2 shown]
	ds_load_b128 v[42:45], v22
	s_waitcnt lgkmcnt(0)
	v_mul_f64 v[46:47], v[28:29], v[44:45]
	v_mul_f64 v[48:49], v[26:27], v[44:45]
	s_delay_alu instid0(VALU_DEP_2) | instskip(NEXT) | instid1(VALU_DEP_2)
	v_fma_f64 v[46:47], v[26:27], v[42:43], -v[46:47]
	v_fma_f64 v[48:49], v[28:29], v[42:43], v[48:49]
	s_delay_alu instid0(VALU_DEP_2) | instskip(NEXT) | instid1(VALU_DEP_2)
	v_add_f64 v[46:47], v[16:17], v[46:47]
	v_add_f64 v[48:49], v[18:19], v[48:49]
	ds_load_b128 v[16:19], v22 offset:256
	s_waitcnt lgkmcnt(0)
	v_mul_f64 v[50:51], v[28:29], v[18:19]
	s_delay_alu instid0(VALU_DEP_1) | instskip(SKIP_1) | instid1(VALU_DEP_1)
	v_fma_f64 v[50:51], v[26:27], v[16:17], -v[50:51]
	v_mul_f64 v[26:27], v[26:27], v[18:19]
	v_fma_f64 v[26:27], v[28:29], v[16:17], v[26:27]
	s_delay_alu instid0(VALU_DEP_3) | instskip(NEXT) | instid1(VALU_DEP_2)
	v_add_f64 v[28:29], v[6:7], v[50:51]
	v_add_f64 v[26:27], v[4:5], v[26:27]
	ds_load_b128 v[4:7], v25 offset:2048
	s_waitcnt lgkmcnt(0)
	v_mul_f64 v[50:51], v[6:7], v[44:45]
	v_mul_f64 v[44:45], v[4:5], v[44:45]
	s_delay_alu instid0(VALU_DEP_2) | instskip(NEXT) | instid1(VALU_DEP_2)
	v_fma_f64 v[50:51], v[4:5], v[42:43], -v[50:51]
	v_fma_f64 v[42:43], v[6:7], v[42:43], v[44:45]
	s_delay_alu instid0(VALU_DEP_2) | instskip(NEXT) | instid1(VALU_DEP_2)
	v_add_f64 v[44:45], v[14:15], v[50:51]
	v_add_f64 v[42:43], v[10:11], v[42:43]
	v_mul_f64 v[10:11], v[6:7], v[18:19]
	s_delay_alu instid0(VALU_DEP_1) | instskip(SKIP_1) | instid1(VALU_DEP_1)
	v_fma_f64 v[10:11], v[4:5], v[16:17], -v[10:11]
	v_mul_f64 v[4:5], v[4:5], v[18:19]
	v_fma_f64 v[4:5], v[6:7], v[16:17], v[4:5]
	s_delay_alu instid0(VALU_DEP_3) | instskip(NEXT) | instid1(VALU_DEP_2)
	v_add_f64 v[16:17], v[12:13], v[10:11]
	v_add_f64 v[18:19], v[8:9], v[4:5]
	ds_load_b128 v[4:7], v22 offset:512
	s_waitcnt lgkmcnt(0)
	v_mul_f64 v[8:9], v[32:33], v[6:7]
	v_mul_f64 v[10:11], v[30:31], v[6:7]
	s_delay_alu instid0(VALU_DEP_2) | instskip(NEXT) | instid1(VALU_DEP_2)
	v_fma_f64 v[8:9], v[30:31], v[4:5], -v[8:9]
	v_fma_f64 v[10:11], v[32:33], v[4:5], v[10:11]
	s_delay_alu instid0(VALU_DEP_2) | instskip(NEXT) | instid1(VALU_DEP_2)
	v_add_f64 v[46:47], v[46:47], v[8:9]
	v_add_f64 v[48:49], v[48:49], v[10:11]
	ds_load_b128 v[8:11], v22 offset:768
	s_waitcnt lgkmcnt(0)
	v_mul_f64 v[12:13], v[32:33], v[10:11]
	v_mul_f64 v[14:15], v[30:31], v[10:11]
	s_delay_alu instid0(VALU_DEP_2) | instskip(NEXT) | instid1(VALU_DEP_2)
	v_fma_f64 v[12:13], v[30:31], v[8:9], -v[12:13]
	v_fma_f64 v[14:15], v[32:33], v[8:9], v[14:15]
	s_delay_alu instid0(VALU_DEP_2) | instskip(NEXT) | instid1(VALU_DEP_2)
	v_add_f64 v[28:29], v[28:29], v[12:13]
	v_add_f64 v[26:27], v[26:27], v[14:15]
	ds_load_b128 v[12:15], v25 offset:2064
	s_waitcnt lgkmcnt(0)
	v_mul_f64 v[30:31], v[14:15], v[6:7]
	v_mul_f64 v[6:7], v[12:13], v[6:7]
	s_delay_alu instid0(VALU_DEP_2) | instskip(NEXT) | instid1(VALU_DEP_2)
	v_fma_f64 v[30:31], v[12:13], v[4:5], -v[30:31]
	v_fma_f64 v[4:5], v[14:15], v[4:5], v[6:7]
	v_mul_f64 v[6:7], v[12:13], v[10:11]
	s_delay_alu instid0(VALU_DEP_3) | instskip(NEXT) | instid1(VALU_DEP_3)
	v_add_f64 v[30:31], v[44:45], v[30:31]
	v_add_f64 v[32:33], v[42:43], v[4:5]
	v_mul_f64 v[4:5], v[14:15], v[10:11]
	s_delay_alu instid0(VALU_DEP_4) | instskip(NEXT) | instid1(VALU_DEP_2)
	v_fma_f64 v[6:7], v[14:15], v[8:9], v[6:7]
	v_fma_f64 v[4:5], v[12:13], v[8:9], -v[4:5]
	s_delay_alu instid0(VALU_DEP_2) | instskip(NEXT) | instid1(VALU_DEP_2)
	v_add_f64 v[18:19], v[18:19], v[6:7]
	v_add_f64 v[16:17], v[16:17], v[4:5]
	ds_load_b128 v[4:7], v22 offset:1024
	s_waitcnt lgkmcnt(0)
	v_mul_f64 v[8:9], v[36:37], v[6:7]
	v_mul_f64 v[10:11], v[34:35], v[6:7]
	s_delay_alu instid0(VALU_DEP_2) | instskip(NEXT) | instid1(VALU_DEP_2)
	v_fma_f64 v[8:9], v[34:35], v[4:5], -v[8:9]
	v_fma_f64 v[10:11], v[36:37], v[4:5], v[10:11]
	s_delay_alu instid0(VALU_DEP_2) | instskip(NEXT) | instid1(VALU_DEP_2)
	v_add_f64 v[42:43], v[46:47], v[8:9]
	v_add_f64 v[44:45], v[48:49], v[10:11]
	ds_load_b128 v[8:11], v22 offset:1280
	s_waitcnt lgkmcnt(0)
	v_mul_f64 v[12:13], v[36:37], v[10:11]
	v_mul_f64 v[14:15], v[34:35], v[10:11]
	s_delay_alu instid0(VALU_DEP_2) | instskip(NEXT) | instid1(VALU_DEP_2)
	v_fma_f64 v[12:13], v[34:35], v[8:9], -v[12:13]
	v_fma_f64 v[14:15], v[36:37], v[8:9], v[14:15]
	s_delay_alu instid0(VALU_DEP_2) | instskip(NEXT) | instid1(VALU_DEP_2)
	v_add_f64 v[28:29], v[28:29], v[12:13]
	v_add_f64 v[26:27], v[26:27], v[14:15]
	ds_load_b128 v[12:15], v25 offset:2080
	s_waitcnt lgkmcnt(0)
	v_mul_f64 v[34:35], v[14:15], v[6:7]
	v_mul_f64 v[6:7], v[12:13], v[6:7]
	s_delay_alu instid0(VALU_DEP_2) | instskip(NEXT) | instid1(VALU_DEP_2)
	v_fma_f64 v[34:35], v[12:13], v[4:5], -v[34:35]
	v_fma_f64 v[4:5], v[14:15], v[4:5], v[6:7]
	v_mul_f64 v[6:7], v[12:13], v[10:11]
	s_delay_alu instid0(VALU_DEP_3) | instskip(NEXT) | instid1(VALU_DEP_3)
	v_add_f64 v[30:31], v[30:31], v[34:35]
	v_add_f64 v[32:33], v[32:33], v[4:5]
	v_mul_f64 v[4:5], v[14:15], v[10:11]
	s_delay_alu instid0(VALU_DEP_4) | instskip(NEXT) | instid1(VALU_DEP_2)
	v_fma_f64 v[6:7], v[14:15], v[8:9], v[6:7]
	v_fma_f64 v[4:5], v[12:13], v[8:9], -v[4:5]
	s_delay_alu instid0(VALU_DEP_2) | instskip(NEXT) | instid1(VALU_DEP_2)
	;; [unrolled: 38-line block ×3, first 2 shown]
	v_add_f64 v[18:19], v[18:19], v[6:7]
	v_add_f64 v[16:17], v[16:17], v[4:5]
	ds_load_b128 v[4:7], v25 offset:64
	ds_load_b128 v[8:11], v22 offset:2048
	s_waitcnt lgkmcnt(0)
	v_mul_f64 v[12:13], v[6:7], v[10:11]
	v_mul_f64 v[14:15], v[4:5], v[10:11]
	s_delay_alu instid0(VALU_DEP_2) | instskip(NEXT) | instid1(VALU_DEP_2)
	v_fma_f64 v[12:13], v[4:5], v[8:9], -v[12:13]
	v_fma_f64 v[14:15], v[6:7], v[8:9], v[14:15]
	s_delay_alu instid0(VALU_DEP_2) | instskip(NEXT) | instid1(VALU_DEP_2)
	v_add_f64 v[34:35], v[34:35], v[12:13]
	v_add_f64 v[36:37], v[36:37], v[14:15]
	ds_load_b128 v[12:15], v22 offset:2304
	s_waitcnt lgkmcnt(0)
	v_mul_f64 v[38:39], v[6:7], v[14:15]
	s_delay_alu instid0(VALU_DEP_1) | instskip(SKIP_1) | instid1(VALU_DEP_2)
	v_fma_f64 v[38:39], v[4:5], v[12:13], -v[38:39]
	v_mul_f64 v[4:5], v[4:5], v[14:15]
	v_add_f64 v[28:29], v[28:29], v[38:39]
	s_delay_alu instid0(VALU_DEP_2) | instskip(NEXT) | instid1(VALU_DEP_1)
	v_fma_f64 v[4:5], v[6:7], v[12:13], v[4:5]
	v_add_f64 v[26:27], v[26:27], v[4:5]
	ds_load_b128 v[4:7], v25 offset:2112
	s_waitcnt lgkmcnt(0)
	v_mul_f64 v[38:39], v[6:7], v[10:11]
	v_mul_f64 v[10:11], v[4:5], v[10:11]
	s_delay_alu instid0(VALU_DEP_2) | instskip(NEXT) | instid1(VALU_DEP_2)
	v_fma_f64 v[38:39], v[4:5], v[8:9], -v[38:39]
	v_fma_f64 v[8:9], v[6:7], v[8:9], v[10:11]
	s_delay_alu instid0(VALU_DEP_2) | instskip(NEXT) | instid1(VALU_DEP_2)
	v_add_f64 v[30:31], v[30:31], v[38:39]
	v_add_f64 v[32:33], v[32:33], v[8:9]
	v_mul_f64 v[8:9], v[6:7], v[14:15]
	s_delay_alu instid0(VALU_DEP_1) | instskip(SKIP_1) | instid1(VALU_DEP_2)
	v_fma_f64 v[8:9], v[4:5], v[12:13], -v[8:9]
	v_mul_f64 v[4:5], v[4:5], v[14:15]
	v_add_f64 v[16:17], v[16:17], v[8:9]
	s_delay_alu instid0(VALU_DEP_2) | instskip(NEXT) | instid1(VALU_DEP_1)
	v_fma_f64 v[4:5], v[6:7], v[12:13], v[4:5]
	v_add_f64 v[18:19], v[18:19], v[4:5]
	ds_load_b128 v[4:7], v25 offset:80
	ds_load_b128 v[8:11], v22 offset:2560
	s_waitcnt lgkmcnt(0)
	v_mul_f64 v[12:13], v[6:7], v[10:11]
	v_mul_f64 v[14:15], v[4:5], v[10:11]
	s_delay_alu instid0(VALU_DEP_2) | instskip(NEXT) | instid1(VALU_DEP_2)
	v_fma_f64 v[12:13], v[4:5], v[8:9], -v[12:13]
	v_fma_f64 v[14:15], v[6:7], v[8:9], v[14:15]
	s_delay_alu instid0(VALU_DEP_2) | instskip(NEXT) | instid1(VALU_DEP_2)
	v_add_f64 v[34:35], v[34:35], v[12:13]
	v_add_f64 v[36:37], v[36:37], v[14:15]
	ds_load_b128 v[12:15], v22 offset:2816
	s_waitcnt lgkmcnt(0)
	v_mul_f64 v[38:39], v[6:7], v[14:15]
	s_delay_alu instid0(VALU_DEP_1) | instskip(SKIP_1) | instid1(VALU_DEP_2)
	v_fma_f64 v[38:39], v[4:5], v[12:13], -v[38:39]
	v_mul_f64 v[4:5], v[4:5], v[14:15]
	v_add_f64 v[28:29], v[28:29], v[38:39]
	s_delay_alu instid0(VALU_DEP_2) | instskip(NEXT) | instid1(VALU_DEP_1)
	v_fma_f64 v[4:5], v[6:7], v[12:13], v[4:5]
	v_add_f64 v[26:27], v[26:27], v[4:5]
	ds_load_b128 v[4:7], v25 offset:2128
	s_waitcnt lgkmcnt(0)
	v_mul_f64 v[38:39], v[6:7], v[10:11]
	v_mul_f64 v[10:11], v[4:5], v[10:11]
	s_delay_alu instid0(VALU_DEP_2) | instskip(NEXT) | instid1(VALU_DEP_2)
	v_fma_f64 v[38:39], v[4:5], v[8:9], -v[38:39]
	v_fma_f64 v[8:9], v[6:7], v[8:9], v[10:11]
	s_delay_alu instid0(VALU_DEP_2) | instskip(NEXT) | instid1(VALU_DEP_2)
	v_add_f64 v[30:31], v[30:31], v[38:39]
	v_add_f64 v[32:33], v[32:33], v[8:9]
	v_mul_f64 v[8:9], v[6:7], v[14:15]
	s_delay_alu instid0(VALU_DEP_1) | instskip(SKIP_1) | instid1(VALU_DEP_2)
	v_fma_f64 v[8:9], v[4:5], v[12:13], -v[8:9]
	v_mul_f64 v[4:5], v[4:5], v[14:15]
	v_add_f64 v[16:17], v[16:17], v[8:9]
	s_delay_alu instid0(VALU_DEP_2) | instskip(NEXT) | instid1(VALU_DEP_1)
	v_fma_f64 v[4:5], v[6:7], v[12:13], v[4:5]
	v_add_f64 v[18:19], v[18:19], v[4:5]
	ds_load_b128 v[4:7], v25 offset:96
	ds_load_b128 v[8:11], v22 offset:3072
	s_waitcnt lgkmcnt(0)
	v_mul_f64 v[12:13], v[6:7], v[10:11]
	v_mul_f64 v[14:15], v[4:5], v[10:11]
	s_delay_alu instid0(VALU_DEP_2) | instskip(NEXT) | instid1(VALU_DEP_2)
	v_fma_f64 v[12:13], v[4:5], v[8:9], -v[12:13]
	v_fma_f64 v[14:15], v[6:7], v[8:9], v[14:15]
	s_delay_alu instid0(VALU_DEP_2) | instskip(NEXT) | instid1(VALU_DEP_2)
	v_add_f64 v[34:35], v[34:35], v[12:13]
	v_add_f64 v[36:37], v[36:37], v[14:15]
	ds_load_b128 v[12:15], v22 offset:3328
	s_waitcnt lgkmcnt(0)
	v_mul_f64 v[38:39], v[6:7], v[14:15]
	s_delay_alu instid0(VALU_DEP_1) | instskip(SKIP_1) | instid1(VALU_DEP_2)
	v_fma_f64 v[38:39], v[4:5], v[12:13], -v[38:39]
	v_mul_f64 v[4:5], v[4:5], v[14:15]
	v_add_f64 v[38:39], v[28:29], v[38:39]
	s_delay_alu instid0(VALU_DEP_2) | instskip(NEXT) | instid1(VALU_DEP_1)
	v_fma_f64 v[4:5], v[6:7], v[12:13], v[4:5]
	v_add_f64 v[40:41], v[26:27], v[4:5]
	ds_load_b128 v[4:7], v25 offset:2144
	s_waitcnt lgkmcnt(0)
	v_mul_f64 v[26:27], v[6:7], v[10:11]
	v_mul_f64 v[10:11], v[4:5], v[10:11]
	s_delay_alu instid0(VALU_DEP_2) | instskip(NEXT) | instid1(VALU_DEP_2)
	v_fma_f64 v[26:27], v[4:5], v[8:9], -v[26:27]
	v_fma_f64 v[8:9], v[6:7], v[8:9], v[10:11]
	s_delay_alu instid0(VALU_DEP_2) | instskip(NEXT) | instid1(VALU_DEP_2)
	v_add_f64 v[42:43], v[30:31], v[26:27]
	v_add_f64 v[44:45], v[32:33], v[8:9]
	v_mul_f64 v[8:9], v[6:7], v[14:15]
	s_delay_alu instid0(VALU_DEP_1) | instskip(SKIP_1) | instid1(VALU_DEP_1)
	v_fma_f64 v[8:9], v[4:5], v[12:13], -v[8:9]
	v_mul_f64 v[4:5], v[4:5], v[14:15]
	v_fma_f64 v[4:5], v[6:7], v[12:13], v[4:5]
	s_delay_alu instid0(VALU_DEP_3) | instskip(NEXT) | instid1(VALU_DEP_2)
	v_add_f64 v[12:13], v[16:17], v[8:9]
	v_add_f64 v[46:47], v[18:19], v[4:5]
	ds_load_b128 v[4:7], v25 offset:112
	ds_load_b128 v[8:11], v22 offset:3584
	;; [unrolled: 1-line block ×4, first 2 shown]
	s_waitcnt lgkmcnt(0)
	s_barrier
	buffer_gl0_inv
	v_mul_f64 v[14:15], v[6:7], v[10:11]
	v_mul_f64 v[16:17], v[4:5], v[10:11]
	s_delay_alu instid0(VALU_DEP_2) | instskip(NEXT) | instid1(VALU_DEP_2)
	v_fma_f64 v[14:15], v[4:5], v[8:9], -v[14:15]
	v_fma_f64 v[18:19], v[6:7], v[8:9], v[16:17]
	s_delay_alu instid0(VALU_DEP_2) | instskip(SKIP_1) | instid1(VALU_DEP_3)
	v_add_f64 v[16:17], v[34:35], v[14:15]
	v_mul_f64 v[14:15], v[6:7], v[28:29]
	v_add_f64 v[18:19], v[36:37], v[18:19]
	s_delay_alu instid0(VALU_DEP_2) | instskip(SKIP_1) | instid1(VALU_DEP_1)
	v_fma_f64 v[14:15], v[4:5], v[26:27], -v[14:15]
	v_mul_f64 v[4:5], v[4:5], v[28:29]
	v_fma_f64 v[4:5], v[6:7], v[26:27], v[4:5]
	s_delay_alu instid0(VALU_DEP_3) | instskip(SKIP_2) | instid1(VALU_DEP_4)
	v_add_f64 v[6:7], v[38:39], v[14:15]
	v_mul_f64 v[14:15], v[32:33], v[10:11]
	v_mul_f64 v[10:11], v[30:31], v[10:11]
	v_add_f64 v[4:5], v[40:41], v[4:5]
	s_delay_alu instid0(VALU_DEP_3) | instskip(NEXT) | instid1(VALU_DEP_3)
	v_fma_f64 v[14:15], v[30:31], v[8:9], -v[14:15]
	v_fma_f64 v[8:9], v[32:33], v[8:9], v[10:11]
	s_delay_alu instid0(VALU_DEP_2) | instskip(NEXT) | instid1(VALU_DEP_2)
	v_add_f64 v[14:15], v[42:43], v[14:15]
	v_add_f64 v[10:11], v[44:45], v[8:9]
	v_mul_f64 v[8:9], v[32:33], v[28:29]
	v_mul_f64 v[28:29], v[30:31], v[28:29]
	s_delay_alu instid0(VALU_DEP_2) | instskip(NEXT) | instid1(VALU_DEP_2)
	v_fma_f64 v[8:9], v[30:31], v[26:27], -v[8:9]
	v_fma_f64 v[26:27], v[32:33], v[26:27], v[28:29]
	s_delay_alu instid0(VALU_DEP_2) | instskip(NEXT) | instid1(VALU_DEP_2)
	v_add_f64 v[12:13], v[12:13], v[8:9]
	v_add_f64 v[8:9], v[46:47], v[26:27]
	s_cbranch_scc0 .LBB239_2
.LBB239_3:
	s_clause 0x1
	s_load_b32 s3, s[0:1], 0x40
	s_load_b64 s[4:5], s[0:1], 0x48
	v_add_nc_u32_e32 v21, s13, v21
	v_add_nc_u32_e32 v0, s12, v20
	s_delay_alu instid0(VALU_DEP_1)
	v_cmp_le_i32_e64 s0, v21, v0
	v_cmp_gt_i32_e32 vcc_lo, s2, v0
	s_waitcnt lgkmcnt(0)
	v_mad_i64_i32 v[1:2], null, v21, s3, 0
	s_mul_i32 s1, s15, s5
	s_mul_hi_u32 s5, s15, s4
	s_mul_i32 s4, s15, s4
	s_add_i32 s5, s5, s1
	s_delay_alu instid0(SALU_CYCLE_1) | instskip(NEXT) | instid1(VALU_DEP_1)
	s_lshl_b64 s[4:5], s[4:5], 4
	v_lshlrev_b64 v[1:2], 4, v[1:2]
	s_add_u32 s4, s6, s4
	s_addc_u32 s5, s7, s5
	s_and_b32 s0, s0, vcc_lo
	s_delay_alu instid0(VALU_DEP_1) | instskip(NEXT) | instid1(VALU_DEP_1)
	v_add_co_u32 v20, s1, s4, v1
	v_add_co_ci_u32_e64 v22, s1, s5, v2, s1
	s_and_saveexec_b32 s1, s0
	s_cbranch_execz .LBB239_5
; %bb.4:
	v_ashrrev_i32_e32 v1, 31, v0
	s_delay_alu instid0(VALU_DEP_1) | instskip(NEXT) | instid1(VALU_DEP_1)
	v_lshlrev_b64 v[1:2], 4, v[0:1]
	v_add_co_u32 v1, s0, v20, v1
	s_delay_alu instid0(VALU_DEP_1)
	v_add_co_ci_u32_e64 v2, s0, v22, v2, s0
	global_load_b128 v[23:26], v[1:2], off
	s_waitcnt vmcnt(0)
	v_add_f64 v[16:17], v[16:17], -v[23:24]
	v_add_f64 v[18:19], v[18:19], -v[25:26]
	global_store_b128 v[1:2], v[16:19], off
.LBB239_5:
	s_or_b32 exec_lo, exec_lo, s1
	v_add_nc_u32_e32 v2, 16, v0
	s_delay_alu instid0(VALU_DEP_1) | instskip(SKIP_1) | instid1(VALU_DEP_1)
	v_cmp_le_i32_e64 s1, v21, v2
	v_cmp_gt_i32_e64 s0, s2, v2
	s_and_b32 s1, s1, s0
	s_delay_alu instid0(SALU_CYCLE_1)
	s_and_saveexec_b32 s2, s1
	s_cbranch_execz .LBB239_7
; %bb.6:
	v_ashrrev_i32_e32 v3, 31, v2
	s_delay_alu instid0(VALU_DEP_1) | instskip(NEXT) | instid1(VALU_DEP_1)
	v_lshlrev_b64 v[16:17], 4, v[2:3]
	v_add_co_u32 v23, s1, v20, v16
	s_delay_alu instid0(VALU_DEP_1)
	v_add_co_ci_u32_e64 v24, s1, v22, v17, s1
	global_load_b128 v[16:19], v[23:24], off
	s_waitcnt vmcnt(0)
	v_add_f64 v[16:17], v[6:7], -v[16:17]
	v_add_f64 v[18:19], v[4:5], -v[18:19]
	global_store_b128 v[23:24], v[16:19], off
.LBB239_7:
	s_or_b32 exec_lo, exec_lo, s2
	v_add_nc_u32_e32 v3, 16, v21
	s_delay_alu instid0(VALU_DEP_1) | instskip(SKIP_1) | instid1(VALU_DEP_2)
	v_mad_i64_i32 v[4:5], null, v3, s3, 0
	v_cmp_le_i32_e64 s1, v3, v0
	v_lshlrev_b64 v[4:5], 4, v[4:5]
	s_delay_alu instid0(VALU_DEP_1) | instskip(NEXT) | instid1(VALU_DEP_1)
	v_add_co_u32 v4, s2, s4, v4
	v_add_co_ci_u32_e64 v5, s2, s5, v5, s2
	s_delay_alu instid0(VALU_DEP_4) | instskip(NEXT) | instid1(SALU_CYCLE_1)
	s_and_b32 s2, s1, vcc_lo
	s_and_saveexec_b32 s1, s2
	s_cbranch_execz .LBB239_9
; %bb.8:
	v_ashrrev_i32_e32 v1, 31, v0
	s_delay_alu instid0(VALU_DEP_1) | instskip(NEXT) | instid1(VALU_DEP_1)
	v_lshlrev_b64 v[0:1], 4, v[0:1]
	v_add_co_u32 v0, vcc_lo, v4, v0
	s_delay_alu instid0(VALU_DEP_2)
	v_add_co_ci_u32_e32 v1, vcc_lo, v5, v1, vcc_lo
	global_load_b128 v[16:19], v[0:1], off
	s_waitcnt vmcnt(0)
	v_add_f64 v[14:15], v[14:15], -v[16:17]
	v_add_f64 v[16:17], v[10:11], -v[18:19]
	global_store_b128 v[0:1], v[14:17], off
.LBB239_9:
	s_or_b32 exec_lo, exec_lo, s1
	v_cmp_le_i32_e32 vcc_lo, v3, v2
	s_and_b32 s0, vcc_lo, s0
	s_delay_alu instid0(SALU_CYCLE_1)
	s_and_saveexec_b32 s1, s0
	s_cbranch_execz .LBB239_11
; %bb.10:
	v_ashrrev_i32_e32 v3, 31, v2
	s_delay_alu instid0(VALU_DEP_1) | instskip(NEXT) | instid1(VALU_DEP_1)
	v_lshlrev_b64 v[0:1], 4, v[2:3]
	v_add_co_u32 v4, vcc_lo, v4, v0
	s_delay_alu instid0(VALU_DEP_2)
	v_add_co_ci_u32_e32 v5, vcc_lo, v5, v1, vcc_lo
	global_load_b128 v[0:3], v[4:5], off
	s_waitcnt vmcnt(0)
	v_add_f64 v[0:1], v[12:13], -v[0:1]
	v_add_f64 v[2:3], v[8:9], -v[2:3]
	global_store_b128 v[4:5], v[0:3], off
.LBB239_11:
	s_nop 0
	s_sendmsg sendmsg(MSG_DEALLOC_VGPRS)
	s_endpgm
	.section	.rodata,"a",@progbits
	.p2align	6, 0x0
	.amdhsa_kernel _ZL37rocblas_syrkx_herkx_restricted_kernelIi19rocblas_complex_numIdELi16ELi32ELi8ELi1ELin1ELb0ELc84ELc76EKS1_S1_EviT_PT9_S3_lS5_S3_lPT10_S3_li
		.amdhsa_group_segment_fixed_size 8192
		.amdhsa_private_segment_fixed_size 0
		.amdhsa_kernarg_size 84
		.amdhsa_user_sgpr_count 13
		.amdhsa_user_sgpr_dispatch_ptr 0
		.amdhsa_user_sgpr_queue_ptr 0
		.amdhsa_user_sgpr_kernarg_segment_ptr 1
		.amdhsa_user_sgpr_dispatch_id 0
		.amdhsa_user_sgpr_private_segment_size 0
		.amdhsa_wavefront_size32 1
		.amdhsa_uses_dynamic_stack 0
		.amdhsa_enable_private_segment 0
		.amdhsa_system_sgpr_workgroup_id_x 1
		.amdhsa_system_sgpr_workgroup_id_y 1
		.amdhsa_system_sgpr_workgroup_id_z 1
		.amdhsa_system_sgpr_workgroup_info 0
		.amdhsa_system_vgpr_workitem_id 1
		.amdhsa_next_free_vgpr 52
		.amdhsa_next_free_sgpr 20
		.amdhsa_reserve_vcc 1
		.amdhsa_float_round_mode_32 0
		.amdhsa_float_round_mode_16_64 0
		.amdhsa_float_denorm_mode_32 3
		.amdhsa_float_denorm_mode_16_64 3
		.amdhsa_dx10_clamp 1
		.amdhsa_ieee_mode 1
		.amdhsa_fp16_overflow 0
		.amdhsa_workgroup_processor_mode 1
		.amdhsa_memory_ordered 1
		.amdhsa_forward_progress 0
		.amdhsa_shared_vgpr_count 0
		.amdhsa_exception_fp_ieee_invalid_op 0
		.amdhsa_exception_fp_denorm_src 0
		.amdhsa_exception_fp_ieee_div_zero 0
		.amdhsa_exception_fp_ieee_overflow 0
		.amdhsa_exception_fp_ieee_underflow 0
		.amdhsa_exception_fp_ieee_inexact 0
		.amdhsa_exception_int_div_zero 0
	.end_amdhsa_kernel
	.section	.text._ZL37rocblas_syrkx_herkx_restricted_kernelIi19rocblas_complex_numIdELi16ELi32ELi8ELi1ELin1ELb0ELc84ELc76EKS1_S1_EviT_PT9_S3_lS5_S3_lPT10_S3_li,"axG",@progbits,_ZL37rocblas_syrkx_herkx_restricted_kernelIi19rocblas_complex_numIdELi16ELi32ELi8ELi1ELin1ELb0ELc84ELc76EKS1_S1_EviT_PT9_S3_lS5_S3_lPT10_S3_li,comdat
.Lfunc_end239:
	.size	_ZL37rocblas_syrkx_herkx_restricted_kernelIi19rocblas_complex_numIdELi16ELi32ELi8ELi1ELin1ELb0ELc84ELc76EKS1_S1_EviT_PT9_S3_lS5_S3_lPT10_S3_li, .Lfunc_end239-_ZL37rocblas_syrkx_herkx_restricted_kernelIi19rocblas_complex_numIdELi16ELi32ELi8ELi1ELin1ELb0ELc84ELc76EKS1_S1_EviT_PT9_S3_lS5_S3_lPT10_S3_li
                                        ; -- End function
	.section	.AMDGPU.csdata,"",@progbits
; Kernel info:
; codeLenInByte = 3284
; NumSgprs: 22
; NumVgprs: 52
; ScratchSize: 0
; MemoryBound: 0
; FloatMode: 240
; IeeeMode: 1
; LDSByteSize: 8192 bytes/workgroup (compile time only)
; SGPRBlocks: 2
; VGPRBlocks: 6
; NumSGPRsForWavesPerEU: 22
; NumVGPRsForWavesPerEU: 52
; Occupancy: 16
; WaveLimiterHint : 0
; COMPUTE_PGM_RSRC2:SCRATCH_EN: 0
; COMPUTE_PGM_RSRC2:USER_SGPR: 13
; COMPUTE_PGM_RSRC2:TRAP_HANDLER: 0
; COMPUTE_PGM_RSRC2:TGID_X_EN: 1
; COMPUTE_PGM_RSRC2:TGID_Y_EN: 1
; COMPUTE_PGM_RSRC2:TGID_Z_EN: 1
; COMPUTE_PGM_RSRC2:TIDIG_COMP_CNT: 1
	.section	.text._ZL37rocblas_syrkx_herkx_restricted_kernelIi19rocblas_complex_numIdELi16ELi32ELi8ELi1ELin1ELb0ELc67ELc76EKS1_S1_EviT_PT9_S3_lS5_S3_lPT10_S3_li,"axG",@progbits,_ZL37rocblas_syrkx_herkx_restricted_kernelIi19rocblas_complex_numIdELi16ELi32ELi8ELi1ELin1ELb0ELc67ELc76EKS1_S1_EviT_PT9_S3_lS5_S3_lPT10_S3_li,comdat
	.globl	_ZL37rocblas_syrkx_herkx_restricted_kernelIi19rocblas_complex_numIdELi16ELi32ELi8ELi1ELin1ELb0ELc67ELc76EKS1_S1_EviT_PT9_S3_lS5_S3_lPT10_S3_li ; -- Begin function _ZL37rocblas_syrkx_herkx_restricted_kernelIi19rocblas_complex_numIdELi16ELi32ELi8ELi1ELin1ELb0ELc67ELc76EKS1_S1_EviT_PT9_S3_lS5_S3_lPT10_S3_li
	.p2align	8
	.type	_ZL37rocblas_syrkx_herkx_restricted_kernelIi19rocblas_complex_numIdELi16ELi32ELi8ELi1ELin1ELb0ELc67ELc76EKS1_S1_EviT_PT9_S3_lS5_S3_lPT10_S3_li,@function
_ZL37rocblas_syrkx_herkx_restricted_kernelIi19rocblas_complex_numIdELi16ELi32ELi8ELi1ELin1ELb0ELc67ELc76EKS1_S1_EviT_PT9_S3_lS5_S3_lPT10_S3_li: ; @_ZL37rocblas_syrkx_herkx_restricted_kernelIi19rocblas_complex_numIdELi16ELi32ELi8ELi1ELin1ELb0ELc67ELc76EKS1_S1_EviT_PT9_S3_lS5_S3_lPT10_S3_li
; %bb.0:
	s_clause 0x1
	s_load_b64 s[2:3], s[0:1], 0x0
	s_load_b128 s[4:7], s[0:1], 0x30
	v_mov_b32_e32 v16, 0
	v_dual_mov_b32 v17, 0 :: v_dual_and_b32 v20, 0x3ff, v0
	v_bfe_u32 v21, v0, 10, 10
	s_delay_alu instid0(VALU_DEP_3) | instskip(NEXT) | instid1(VALU_DEP_3)
	v_mov_b32_e32 v6, v16
	v_dual_mov_b32 v4, v16 :: v_dual_mov_b32 v5, v17
	v_dual_mov_b32 v19, v17 :: v_dual_mov_b32 v18, v16
	;; [unrolled: 1-line block ×6, first 2 shown]
	v_mov_b32_e32 v9, v17
	s_lshl_b32 s12, s13, 5
	s_lshl_b32 s13, s14, 5
	s_waitcnt lgkmcnt(0)
	s_cmp_lt_i32 s3, 1
	s_mov_b32 s14, 0
	s_cbranch_scc1 .LBB240_3
; %bb.1:
	s_clause 0x3
	s_load_b32 s18, s[0:1], 0x10
	s_load_b128 s[8:11], s[0:1], 0x18
	s_load_b64 s[16:17], s[0:1], 0x8
	s_load_b32 s19, s[0:1], 0x28
	v_lshl_add_u32 v2, v21, 4, v20
	v_dual_mov_b32 v1, 0 :: v_dual_and_b32 v0, 7, v20
	v_lshlrev_b32_e32 v22, 4, v20
	s_mul_i32 s5, s5, s15
	s_delay_alu instid0(VALU_DEP_3)
	v_lshrrev_b32_e32 v4, 3, v2
	v_and_b32_e32 v5, 31, v2
	v_lshlrev_b32_e32 v3, 4, v0
	v_lshrrev_b32_e32 v2, 5, v2
	v_lshl_add_u32 v25, v21, 7, 0x1000
	v_add_nc_u32_e32 v9, s13, v4
	v_add_nc_u32_e32 v8, s12, v5
	v_lshl_or_b32 v7, v4, 7, v3
	v_dual_mov_b32 v3, v1 :: v_dual_lshlrev_b32 v6, 4, v5
	s_waitcnt lgkmcnt(0)
	s_delay_alu instid0(VALU_DEP_1) | instskip(NEXT) | instid1(VALU_DEP_2)
	v_mad_i64_i32 v[4:5], null, s18, v8, v[2:3]
	v_lshl_or_b32 v23, v2, 9, v6
	s_mul_i32 s9, s9, s15
	s_mul_hi_u32 s18, s8, s15
	v_mad_i64_i32 v[2:3], null, s19, v9, v[0:1]
	s_mul_i32 s8, s8, s15
	s_add_i32 s9, s18, s9
	s_delay_alu instid0(VALU_DEP_3)
	v_lshlrev_b64 v[0:1], 4, v[4:5]
	s_lshl_b64 s[8:9], s[8:9], 4
	v_mov_b32_e32 v8, 0
	v_mov_b32_e32 v9, 0
	s_add_u32 s8, s16, s8
	s_mul_hi_u32 s16, s4, s15
	s_addc_u32 s9, s17, s9
	s_add_i32 s5, s16, s5
	s_mul_i32 s4, s4, s15
	v_lshlrev_b64 v[2:3], 4, v[2:3]
	s_lshl_b64 s[4:5], s[4:5], 4
	v_add_co_u32 v0, vcc_lo, s8, v0
	s_add_u32 s4, s10, s4
	v_add_co_ci_u32_e32 v1, vcc_lo, s9, v1, vcc_lo
	s_addc_u32 s5, s11, s5
	v_add_co_u32 v2, vcc_lo, s4, v2
	v_add_co_ci_u32_e32 v3, vcc_lo, s5, v3, vcc_lo
	v_add_co_u32 v0, vcc_lo, v0, 8
	v_add_co_ci_u32_e32 v1, vcc_lo, 0, v1, vcc_lo
	s_delay_alu instid0(VALU_DEP_4)
	v_add_co_u32 v2, vcc_lo, v2, 8
	v_dual_mov_b32 v13, v9 :: v_dual_add_nc_u32 v24, 0x1000, v7
	v_add_co_ci_u32_e32 v3, vcc_lo, 0, v3, vcc_lo
	v_dual_mov_b32 v12, v8 :: v_dual_mov_b32 v11, v9
	v_dual_mov_b32 v10, v8 :: v_dual_mov_b32 v15, v9
	v_mov_b32_e32 v14, v8
	v_dual_mov_b32 v4, v8 :: v_dual_mov_b32 v5, v9
	v_dual_mov_b32 v6, v8 :: v_dual_mov_b32 v7, v9
	;; [unrolled: 1-line block ×4, first 2 shown]
.LBB240_2:                              ; =>This Inner Loop Header: Depth=1
	global_load_b128 v[26:29], v[0:1], off offset:-8
	v_add_co_u32 v0, vcc_lo, 0x80, v0
	v_add_co_ci_u32_e32 v1, vcc_lo, 0, v1, vcc_lo
	s_add_i32 s14, s14, 8
	s_delay_alu instid0(SALU_CYCLE_1)
	s_cmp_ge_i32 s14, s3
	s_waitcnt vmcnt(0)
	ds_store_b128 v23, v[26:29]
	global_load_b128 v[26:29], v[2:3], off offset:-8
	v_add_co_u32 v2, vcc_lo, 0x80, v2
	v_add_co_ci_u32_e32 v3, vcc_lo, 0, v3, vcc_lo
	s_waitcnt vmcnt(0)
	ds_store_b128 v24, v[26:29]
	s_waitcnt lgkmcnt(0)
	s_barrier
	buffer_gl0_inv
	ds_load_b128 v[26:29], v25
	ds_load_b128 v[30:33], v25 offset:16
	ds_load_b128 v[34:37], v25 offset:32
	;; [unrolled: 1-line block ×3, first 2 shown]
	ds_load_b128 v[42:45], v22
	s_waitcnt lgkmcnt(0)
	v_mul_f64 v[46:47], v[28:29], v[44:45]
	v_mul_f64 v[48:49], v[26:27], v[44:45]
	s_delay_alu instid0(VALU_DEP_2) | instskip(NEXT) | instid1(VALU_DEP_2)
	v_fma_f64 v[46:47], v[26:27], v[42:43], -v[46:47]
	v_fma_f64 v[48:49], v[28:29], v[42:43], v[48:49]
	s_delay_alu instid0(VALU_DEP_2) | instskip(NEXT) | instid1(VALU_DEP_2)
	v_add_f64 v[46:47], v[16:17], v[46:47]
	v_add_f64 v[48:49], v[18:19], v[48:49]
	ds_load_b128 v[16:19], v22 offset:256
	s_waitcnt lgkmcnt(0)
	v_mul_f64 v[50:51], v[28:29], v[18:19]
	s_delay_alu instid0(VALU_DEP_1) | instskip(SKIP_1) | instid1(VALU_DEP_1)
	v_fma_f64 v[50:51], v[26:27], v[16:17], -v[50:51]
	v_mul_f64 v[26:27], v[26:27], v[18:19]
	v_fma_f64 v[26:27], v[28:29], v[16:17], v[26:27]
	s_delay_alu instid0(VALU_DEP_3) | instskip(NEXT) | instid1(VALU_DEP_2)
	v_add_f64 v[28:29], v[6:7], v[50:51]
	v_add_f64 v[26:27], v[4:5], v[26:27]
	ds_load_b128 v[4:7], v25 offset:2048
	s_waitcnt lgkmcnt(0)
	v_mul_f64 v[50:51], v[6:7], v[44:45]
	v_mul_f64 v[44:45], v[4:5], v[44:45]
	s_delay_alu instid0(VALU_DEP_2) | instskip(NEXT) | instid1(VALU_DEP_2)
	v_fma_f64 v[50:51], v[4:5], v[42:43], -v[50:51]
	v_fma_f64 v[42:43], v[6:7], v[42:43], v[44:45]
	s_delay_alu instid0(VALU_DEP_2) | instskip(NEXT) | instid1(VALU_DEP_2)
	v_add_f64 v[44:45], v[14:15], v[50:51]
	v_add_f64 v[42:43], v[10:11], v[42:43]
	v_mul_f64 v[10:11], v[6:7], v[18:19]
	s_delay_alu instid0(VALU_DEP_1) | instskip(SKIP_1) | instid1(VALU_DEP_1)
	v_fma_f64 v[10:11], v[4:5], v[16:17], -v[10:11]
	v_mul_f64 v[4:5], v[4:5], v[18:19]
	v_fma_f64 v[4:5], v[6:7], v[16:17], v[4:5]
	s_delay_alu instid0(VALU_DEP_3) | instskip(NEXT) | instid1(VALU_DEP_2)
	v_add_f64 v[16:17], v[12:13], v[10:11]
	v_add_f64 v[18:19], v[8:9], v[4:5]
	ds_load_b128 v[4:7], v22 offset:512
	s_waitcnt lgkmcnt(0)
	v_mul_f64 v[8:9], v[32:33], v[6:7]
	v_mul_f64 v[10:11], v[30:31], v[6:7]
	s_delay_alu instid0(VALU_DEP_2) | instskip(NEXT) | instid1(VALU_DEP_2)
	v_fma_f64 v[8:9], v[30:31], v[4:5], -v[8:9]
	v_fma_f64 v[10:11], v[32:33], v[4:5], v[10:11]
	s_delay_alu instid0(VALU_DEP_2) | instskip(NEXT) | instid1(VALU_DEP_2)
	v_add_f64 v[46:47], v[46:47], v[8:9]
	v_add_f64 v[48:49], v[48:49], v[10:11]
	ds_load_b128 v[8:11], v22 offset:768
	s_waitcnt lgkmcnt(0)
	v_mul_f64 v[12:13], v[32:33], v[10:11]
	v_mul_f64 v[14:15], v[30:31], v[10:11]
	s_delay_alu instid0(VALU_DEP_2) | instskip(NEXT) | instid1(VALU_DEP_2)
	v_fma_f64 v[12:13], v[30:31], v[8:9], -v[12:13]
	v_fma_f64 v[14:15], v[32:33], v[8:9], v[14:15]
	s_delay_alu instid0(VALU_DEP_2) | instskip(NEXT) | instid1(VALU_DEP_2)
	v_add_f64 v[28:29], v[28:29], v[12:13]
	v_add_f64 v[26:27], v[26:27], v[14:15]
	ds_load_b128 v[12:15], v25 offset:2064
	s_waitcnt lgkmcnt(0)
	v_mul_f64 v[30:31], v[14:15], v[6:7]
	v_mul_f64 v[6:7], v[12:13], v[6:7]
	s_delay_alu instid0(VALU_DEP_2) | instskip(NEXT) | instid1(VALU_DEP_2)
	v_fma_f64 v[30:31], v[12:13], v[4:5], -v[30:31]
	v_fma_f64 v[4:5], v[14:15], v[4:5], v[6:7]
	v_mul_f64 v[6:7], v[12:13], v[10:11]
	s_delay_alu instid0(VALU_DEP_3) | instskip(NEXT) | instid1(VALU_DEP_3)
	v_add_f64 v[30:31], v[44:45], v[30:31]
	v_add_f64 v[32:33], v[42:43], v[4:5]
	v_mul_f64 v[4:5], v[14:15], v[10:11]
	s_delay_alu instid0(VALU_DEP_4) | instskip(NEXT) | instid1(VALU_DEP_2)
	v_fma_f64 v[6:7], v[14:15], v[8:9], v[6:7]
	v_fma_f64 v[4:5], v[12:13], v[8:9], -v[4:5]
	s_delay_alu instid0(VALU_DEP_2) | instskip(NEXT) | instid1(VALU_DEP_2)
	v_add_f64 v[18:19], v[18:19], v[6:7]
	v_add_f64 v[16:17], v[16:17], v[4:5]
	ds_load_b128 v[4:7], v22 offset:1024
	s_waitcnt lgkmcnt(0)
	v_mul_f64 v[8:9], v[36:37], v[6:7]
	v_mul_f64 v[10:11], v[34:35], v[6:7]
	s_delay_alu instid0(VALU_DEP_2) | instskip(NEXT) | instid1(VALU_DEP_2)
	v_fma_f64 v[8:9], v[34:35], v[4:5], -v[8:9]
	v_fma_f64 v[10:11], v[36:37], v[4:5], v[10:11]
	s_delay_alu instid0(VALU_DEP_2) | instskip(NEXT) | instid1(VALU_DEP_2)
	v_add_f64 v[42:43], v[46:47], v[8:9]
	v_add_f64 v[44:45], v[48:49], v[10:11]
	ds_load_b128 v[8:11], v22 offset:1280
	s_waitcnt lgkmcnt(0)
	v_mul_f64 v[12:13], v[36:37], v[10:11]
	v_mul_f64 v[14:15], v[34:35], v[10:11]
	s_delay_alu instid0(VALU_DEP_2) | instskip(NEXT) | instid1(VALU_DEP_2)
	v_fma_f64 v[12:13], v[34:35], v[8:9], -v[12:13]
	v_fma_f64 v[14:15], v[36:37], v[8:9], v[14:15]
	s_delay_alu instid0(VALU_DEP_2) | instskip(NEXT) | instid1(VALU_DEP_2)
	v_add_f64 v[28:29], v[28:29], v[12:13]
	v_add_f64 v[26:27], v[26:27], v[14:15]
	ds_load_b128 v[12:15], v25 offset:2080
	s_waitcnt lgkmcnt(0)
	v_mul_f64 v[34:35], v[14:15], v[6:7]
	v_mul_f64 v[6:7], v[12:13], v[6:7]
	s_delay_alu instid0(VALU_DEP_2) | instskip(NEXT) | instid1(VALU_DEP_2)
	v_fma_f64 v[34:35], v[12:13], v[4:5], -v[34:35]
	v_fma_f64 v[4:5], v[14:15], v[4:5], v[6:7]
	v_mul_f64 v[6:7], v[12:13], v[10:11]
	s_delay_alu instid0(VALU_DEP_3) | instskip(NEXT) | instid1(VALU_DEP_3)
	v_add_f64 v[30:31], v[30:31], v[34:35]
	v_add_f64 v[32:33], v[32:33], v[4:5]
	v_mul_f64 v[4:5], v[14:15], v[10:11]
	s_delay_alu instid0(VALU_DEP_4) | instskip(NEXT) | instid1(VALU_DEP_2)
	v_fma_f64 v[6:7], v[14:15], v[8:9], v[6:7]
	v_fma_f64 v[4:5], v[12:13], v[8:9], -v[4:5]
	s_delay_alu instid0(VALU_DEP_2) | instskip(NEXT) | instid1(VALU_DEP_2)
	;; [unrolled: 38-line block ×3, first 2 shown]
	v_add_f64 v[18:19], v[18:19], v[6:7]
	v_add_f64 v[16:17], v[16:17], v[4:5]
	ds_load_b128 v[4:7], v25 offset:64
	ds_load_b128 v[8:11], v22 offset:2048
	s_waitcnt lgkmcnt(0)
	v_mul_f64 v[12:13], v[6:7], v[10:11]
	v_mul_f64 v[14:15], v[4:5], v[10:11]
	s_delay_alu instid0(VALU_DEP_2) | instskip(NEXT) | instid1(VALU_DEP_2)
	v_fma_f64 v[12:13], v[4:5], v[8:9], -v[12:13]
	v_fma_f64 v[14:15], v[6:7], v[8:9], v[14:15]
	s_delay_alu instid0(VALU_DEP_2) | instskip(NEXT) | instid1(VALU_DEP_2)
	v_add_f64 v[34:35], v[34:35], v[12:13]
	v_add_f64 v[36:37], v[36:37], v[14:15]
	ds_load_b128 v[12:15], v22 offset:2304
	s_waitcnt lgkmcnt(0)
	v_mul_f64 v[38:39], v[6:7], v[14:15]
	s_delay_alu instid0(VALU_DEP_1) | instskip(SKIP_1) | instid1(VALU_DEP_2)
	v_fma_f64 v[38:39], v[4:5], v[12:13], -v[38:39]
	v_mul_f64 v[4:5], v[4:5], v[14:15]
	v_add_f64 v[28:29], v[28:29], v[38:39]
	s_delay_alu instid0(VALU_DEP_2) | instskip(NEXT) | instid1(VALU_DEP_1)
	v_fma_f64 v[4:5], v[6:7], v[12:13], v[4:5]
	v_add_f64 v[26:27], v[26:27], v[4:5]
	ds_load_b128 v[4:7], v25 offset:2112
	s_waitcnt lgkmcnt(0)
	v_mul_f64 v[38:39], v[6:7], v[10:11]
	v_mul_f64 v[10:11], v[4:5], v[10:11]
	s_delay_alu instid0(VALU_DEP_2) | instskip(NEXT) | instid1(VALU_DEP_2)
	v_fma_f64 v[38:39], v[4:5], v[8:9], -v[38:39]
	v_fma_f64 v[8:9], v[6:7], v[8:9], v[10:11]
	s_delay_alu instid0(VALU_DEP_2) | instskip(NEXT) | instid1(VALU_DEP_2)
	v_add_f64 v[30:31], v[30:31], v[38:39]
	v_add_f64 v[32:33], v[32:33], v[8:9]
	v_mul_f64 v[8:9], v[6:7], v[14:15]
	s_delay_alu instid0(VALU_DEP_1) | instskip(SKIP_1) | instid1(VALU_DEP_2)
	v_fma_f64 v[8:9], v[4:5], v[12:13], -v[8:9]
	v_mul_f64 v[4:5], v[4:5], v[14:15]
	v_add_f64 v[16:17], v[16:17], v[8:9]
	s_delay_alu instid0(VALU_DEP_2) | instskip(NEXT) | instid1(VALU_DEP_1)
	v_fma_f64 v[4:5], v[6:7], v[12:13], v[4:5]
	v_add_f64 v[18:19], v[18:19], v[4:5]
	ds_load_b128 v[4:7], v25 offset:80
	ds_load_b128 v[8:11], v22 offset:2560
	s_waitcnt lgkmcnt(0)
	v_mul_f64 v[12:13], v[6:7], v[10:11]
	v_mul_f64 v[14:15], v[4:5], v[10:11]
	s_delay_alu instid0(VALU_DEP_2) | instskip(NEXT) | instid1(VALU_DEP_2)
	v_fma_f64 v[12:13], v[4:5], v[8:9], -v[12:13]
	v_fma_f64 v[14:15], v[6:7], v[8:9], v[14:15]
	s_delay_alu instid0(VALU_DEP_2) | instskip(NEXT) | instid1(VALU_DEP_2)
	v_add_f64 v[34:35], v[34:35], v[12:13]
	v_add_f64 v[36:37], v[36:37], v[14:15]
	ds_load_b128 v[12:15], v22 offset:2816
	s_waitcnt lgkmcnt(0)
	v_mul_f64 v[38:39], v[6:7], v[14:15]
	s_delay_alu instid0(VALU_DEP_1) | instskip(SKIP_1) | instid1(VALU_DEP_2)
	v_fma_f64 v[38:39], v[4:5], v[12:13], -v[38:39]
	v_mul_f64 v[4:5], v[4:5], v[14:15]
	v_add_f64 v[28:29], v[28:29], v[38:39]
	s_delay_alu instid0(VALU_DEP_2) | instskip(NEXT) | instid1(VALU_DEP_1)
	v_fma_f64 v[4:5], v[6:7], v[12:13], v[4:5]
	v_add_f64 v[26:27], v[26:27], v[4:5]
	ds_load_b128 v[4:7], v25 offset:2128
	s_waitcnt lgkmcnt(0)
	v_mul_f64 v[38:39], v[6:7], v[10:11]
	v_mul_f64 v[10:11], v[4:5], v[10:11]
	s_delay_alu instid0(VALU_DEP_2) | instskip(NEXT) | instid1(VALU_DEP_2)
	v_fma_f64 v[38:39], v[4:5], v[8:9], -v[38:39]
	v_fma_f64 v[8:9], v[6:7], v[8:9], v[10:11]
	s_delay_alu instid0(VALU_DEP_2) | instskip(NEXT) | instid1(VALU_DEP_2)
	v_add_f64 v[30:31], v[30:31], v[38:39]
	v_add_f64 v[32:33], v[32:33], v[8:9]
	v_mul_f64 v[8:9], v[6:7], v[14:15]
	s_delay_alu instid0(VALU_DEP_1) | instskip(SKIP_1) | instid1(VALU_DEP_2)
	v_fma_f64 v[8:9], v[4:5], v[12:13], -v[8:9]
	v_mul_f64 v[4:5], v[4:5], v[14:15]
	v_add_f64 v[16:17], v[16:17], v[8:9]
	s_delay_alu instid0(VALU_DEP_2) | instskip(NEXT) | instid1(VALU_DEP_1)
	v_fma_f64 v[4:5], v[6:7], v[12:13], v[4:5]
	v_add_f64 v[18:19], v[18:19], v[4:5]
	ds_load_b128 v[4:7], v25 offset:96
	ds_load_b128 v[8:11], v22 offset:3072
	s_waitcnt lgkmcnt(0)
	v_mul_f64 v[12:13], v[6:7], v[10:11]
	v_mul_f64 v[14:15], v[4:5], v[10:11]
	s_delay_alu instid0(VALU_DEP_2) | instskip(NEXT) | instid1(VALU_DEP_2)
	v_fma_f64 v[12:13], v[4:5], v[8:9], -v[12:13]
	v_fma_f64 v[14:15], v[6:7], v[8:9], v[14:15]
	s_delay_alu instid0(VALU_DEP_2) | instskip(NEXT) | instid1(VALU_DEP_2)
	v_add_f64 v[34:35], v[34:35], v[12:13]
	v_add_f64 v[36:37], v[36:37], v[14:15]
	ds_load_b128 v[12:15], v22 offset:3328
	s_waitcnt lgkmcnt(0)
	v_mul_f64 v[38:39], v[6:7], v[14:15]
	s_delay_alu instid0(VALU_DEP_1) | instskip(SKIP_1) | instid1(VALU_DEP_2)
	v_fma_f64 v[38:39], v[4:5], v[12:13], -v[38:39]
	v_mul_f64 v[4:5], v[4:5], v[14:15]
	v_add_f64 v[38:39], v[28:29], v[38:39]
	s_delay_alu instid0(VALU_DEP_2) | instskip(NEXT) | instid1(VALU_DEP_1)
	v_fma_f64 v[4:5], v[6:7], v[12:13], v[4:5]
	v_add_f64 v[40:41], v[26:27], v[4:5]
	ds_load_b128 v[4:7], v25 offset:2144
	s_waitcnt lgkmcnt(0)
	v_mul_f64 v[26:27], v[6:7], v[10:11]
	v_mul_f64 v[10:11], v[4:5], v[10:11]
	s_delay_alu instid0(VALU_DEP_2) | instskip(NEXT) | instid1(VALU_DEP_2)
	v_fma_f64 v[26:27], v[4:5], v[8:9], -v[26:27]
	v_fma_f64 v[8:9], v[6:7], v[8:9], v[10:11]
	s_delay_alu instid0(VALU_DEP_2) | instskip(NEXT) | instid1(VALU_DEP_2)
	v_add_f64 v[42:43], v[30:31], v[26:27]
	v_add_f64 v[44:45], v[32:33], v[8:9]
	v_mul_f64 v[8:9], v[6:7], v[14:15]
	s_delay_alu instid0(VALU_DEP_1) | instskip(SKIP_1) | instid1(VALU_DEP_1)
	v_fma_f64 v[8:9], v[4:5], v[12:13], -v[8:9]
	v_mul_f64 v[4:5], v[4:5], v[14:15]
	v_fma_f64 v[4:5], v[6:7], v[12:13], v[4:5]
	s_delay_alu instid0(VALU_DEP_3) | instskip(NEXT) | instid1(VALU_DEP_2)
	v_add_f64 v[12:13], v[16:17], v[8:9]
	v_add_f64 v[46:47], v[18:19], v[4:5]
	ds_load_b128 v[4:7], v25 offset:112
	ds_load_b128 v[8:11], v22 offset:3584
	;; [unrolled: 1-line block ×4, first 2 shown]
	s_waitcnt lgkmcnt(0)
	s_barrier
	buffer_gl0_inv
	v_mul_f64 v[14:15], v[6:7], v[10:11]
	v_mul_f64 v[16:17], v[4:5], v[10:11]
	s_delay_alu instid0(VALU_DEP_2) | instskip(NEXT) | instid1(VALU_DEP_2)
	v_fma_f64 v[14:15], v[4:5], v[8:9], -v[14:15]
	v_fma_f64 v[18:19], v[6:7], v[8:9], v[16:17]
	s_delay_alu instid0(VALU_DEP_2) | instskip(SKIP_1) | instid1(VALU_DEP_3)
	v_add_f64 v[16:17], v[34:35], v[14:15]
	v_mul_f64 v[14:15], v[6:7], v[28:29]
	v_add_f64 v[18:19], v[36:37], v[18:19]
	s_delay_alu instid0(VALU_DEP_2) | instskip(SKIP_1) | instid1(VALU_DEP_1)
	v_fma_f64 v[14:15], v[4:5], v[26:27], -v[14:15]
	v_mul_f64 v[4:5], v[4:5], v[28:29]
	v_fma_f64 v[4:5], v[6:7], v[26:27], v[4:5]
	s_delay_alu instid0(VALU_DEP_3) | instskip(SKIP_2) | instid1(VALU_DEP_4)
	v_add_f64 v[6:7], v[38:39], v[14:15]
	v_mul_f64 v[14:15], v[32:33], v[10:11]
	v_mul_f64 v[10:11], v[30:31], v[10:11]
	v_add_f64 v[4:5], v[40:41], v[4:5]
	s_delay_alu instid0(VALU_DEP_3) | instskip(NEXT) | instid1(VALU_DEP_3)
	v_fma_f64 v[14:15], v[30:31], v[8:9], -v[14:15]
	v_fma_f64 v[8:9], v[32:33], v[8:9], v[10:11]
	s_delay_alu instid0(VALU_DEP_2) | instskip(NEXT) | instid1(VALU_DEP_2)
	v_add_f64 v[14:15], v[42:43], v[14:15]
	v_add_f64 v[10:11], v[44:45], v[8:9]
	v_mul_f64 v[8:9], v[32:33], v[28:29]
	v_mul_f64 v[28:29], v[30:31], v[28:29]
	s_delay_alu instid0(VALU_DEP_2) | instskip(NEXT) | instid1(VALU_DEP_2)
	v_fma_f64 v[8:9], v[30:31], v[26:27], -v[8:9]
	v_fma_f64 v[26:27], v[32:33], v[26:27], v[28:29]
	s_delay_alu instid0(VALU_DEP_2) | instskip(NEXT) | instid1(VALU_DEP_2)
	v_add_f64 v[12:13], v[12:13], v[8:9]
	v_add_f64 v[8:9], v[46:47], v[26:27]
	s_cbranch_scc0 .LBB240_2
.LBB240_3:
	s_clause 0x1
	s_load_b32 s3, s[0:1], 0x40
	s_load_b64 s[4:5], s[0:1], 0x48
	v_add_nc_u32_e32 v21, s13, v21
	v_add_nc_u32_e32 v0, s12, v20
	s_delay_alu instid0(VALU_DEP_1)
	v_cmp_le_i32_e64 s0, v21, v0
	v_cmp_gt_i32_e32 vcc_lo, s2, v0
	s_waitcnt lgkmcnt(0)
	v_mad_i64_i32 v[1:2], null, v21, s3, 0
	s_mul_i32 s1, s15, s5
	s_mul_hi_u32 s5, s15, s4
	s_mul_i32 s4, s15, s4
	s_add_i32 s5, s5, s1
	s_delay_alu instid0(SALU_CYCLE_1) | instskip(NEXT) | instid1(VALU_DEP_1)
	s_lshl_b64 s[4:5], s[4:5], 4
	v_lshlrev_b64 v[1:2], 4, v[1:2]
	s_add_u32 s4, s6, s4
	s_addc_u32 s5, s7, s5
	s_and_b32 s0, s0, vcc_lo
	s_delay_alu instid0(VALU_DEP_1) | instskip(NEXT) | instid1(VALU_DEP_1)
	v_add_co_u32 v20, s1, s4, v1
	v_add_co_ci_u32_e64 v22, s1, s5, v2, s1
	s_and_saveexec_b32 s1, s0
	s_cbranch_execz .LBB240_5
; %bb.4:
	v_ashrrev_i32_e32 v1, 31, v0
	s_delay_alu instid0(VALU_DEP_1) | instskip(NEXT) | instid1(VALU_DEP_1)
	v_lshlrev_b64 v[1:2], 4, v[0:1]
	v_add_co_u32 v1, s0, v20, v1
	s_delay_alu instid0(VALU_DEP_1)
	v_add_co_ci_u32_e64 v2, s0, v22, v2, s0
	global_load_b128 v[23:26], v[1:2], off
	s_waitcnt vmcnt(0)
	v_add_f64 v[16:17], v[16:17], -v[23:24]
	v_add_f64 v[18:19], v[18:19], -v[25:26]
	global_store_b128 v[1:2], v[16:19], off
.LBB240_5:
	s_or_b32 exec_lo, exec_lo, s1
	v_add_nc_u32_e32 v2, 16, v0
	s_delay_alu instid0(VALU_DEP_1) | instskip(SKIP_1) | instid1(VALU_DEP_1)
	v_cmp_le_i32_e64 s1, v21, v2
	v_cmp_gt_i32_e64 s0, s2, v2
	s_and_b32 s1, s1, s0
	s_delay_alu instid0(SALU_CYCLE_1)
	s_and_saveexec_b32 s2, s1
	s_cbranch_execz .LBB240_7
; %bb.6:
	v_ashrrev_i32_e32 v3, 31, v2
	s_delay_alu instid0(VALU_DEP_1) | instskip(NEXT) | instid1(VALU_DEP_1)
	v_lshlrev_b64 v[16:17], 4, v[2:3]
	v_add_co_u32 v23, s1, v20, v16
	s_delay_alu instid0(VALU_DEP_1)
	v_add_co_ci_u32_e64 v24, s1, v22, v17, s1
	global_load_b128 v[16:19], v[23:24], off
	s_waitcnt vmcnt(0)
	v_add_f64 v[16:17], v[6:7], -v[16:17]
	v_add_f64 v[18:19], v[4:5], -v[18:19]
	global_store_b128 v[23:24], v[16:19], off
.LBB240_7:
	s_or_b32 exec_lo, exec_lo, s2
	v_add_nc_u32_e32 v3, 16, v21
	s_delay_alu instid0(VALU_DEP_1) | instskip(SKIP_1) | instid1(VALU_DEP_2)
	v_mad_i64_i32 v[4:5], null, v3, s3, 0
	v_cmp_le_i32_e64 s1, v3, v0
	v_lshlrev_b64 v[4:5], 4, v[4:5]
	s_delay_alu instid0(VALU_DEP_1) | instskip(NEXT) | instid1(VALU_DEP_1)
	v_add_co_u32 v4, s2, s4, v4
	v_add_co_ci_u32_e64 v5, s2, s5, v5, s2
	s_delay_alu instid0(VALU_DEP_4) | instskip(NEXT) | instid1(SALU_CYCLE_1)
	s_and_b32 s2, s1, vcc_lo
	s_and_saveexec_b32 s1, s2
	s_cbranch_execz .LBB240_9
; %bb.8:
	v_ashrrev_i32_e32 v1, 31, v0
	s_delay_alu instid0(VALU_DEP_1) | instskip(NEXT) | instid1(VALU_DEP_1)
	v_lshlrev_b64 v[0:1], 4, v[0:1]
	v_add_co_u32 v0, vcc_lo, v4, v0
	s_delay_alu instid0(VALU_DEP_2)
	v_add_co_ci_u32_e32 v1, vcc_lo, v5, v1, vcc_lo
	global_load_b128 v[16:19], v[0:1], off
	s_waitcnt vmcnt(0)
	v_add_f64 v[14:15], v[14:15], -v[16:17]
	v_add_f64 v[16:17], v[10:11], -v[18:19]
	global_store_b128 v[0:1], v[14:17], off
.LBB240_9:
	s_or_b32 exec_lo, exec_lo, s1
	v_cmp_le_i32_e32 vcc_lo, v3, v2
	s_and_b32 s0, vcc_lo, s0
	s_delay_alu instid0(SALU_CYCLE_1)
	s_and_saveexec_b32 s1, s0
	s_cbranch_execz .LBB240_11
; %bb.10:
	v_ashrrev_i32_e32 v3, 31, v2
	s_delay_alu instid0(VALU_DEP_1) | instskip(NEXT) | instid1(VALU_DEP_1)
	v_lshlrev_b64 v[0:1], 4, v[2:3]
	v_add_co_u32 v4, vcc_lo, v4, v0
	s_delay_alu instid0(VALU_DEP_2)
	v_add_co_ci_u32_e32 v5, vcc_lo, v5, v1, vcc_lo
	global_load_b128 v[0:3], v[4:5], off
	s_waitcnt vmcnt(0)
	v_add_f64 v[0:1], v[12:13], -v[0:1]
	v_add_f64 v[2:3], v[8:9], -v[2:3]
	global_store_b128 v[4:5], v[0:3], off
.LBB240_11:
	s_nop 0
	s_sendmsg sendmsg(MSG_DEALLOC_VGPRS)
	s_endpgm
	.section	.rodata,"a",@progbits
	.p2align	6, 0x0
	.amdhsa_kernel _ZL37rocblas_syrkx_herkx_restricted_kernelIi19rocblas_complex_numIdELi16ELi32ELi8ELi1ELin1ELb0ELc67ELc76EKS1_S1_EviT_PT9_S3_lS5_S3_lPT10_S3_li
		.amdhsa_group_segment_fixed_size 8192
		.amdhsa_private_segment_fixed_size 0
		.amdhsa_kernarg_size 84
		.amdhsa_user_sgpr_count 13
		.amdhsa_user_sgpr_dispatch_ptr 0
		.amdhsa_user_sgpr_queue_ptr 0
		.amdhsa_user_sgpr_kernarg_segment_ptr 1
		.amdhsa_user_sgpr_dispatch_id 0
		.amdhsa_user_sgpr_private_segment_size 0
		.amdhsa_wavefront_size32 1
		.amdhsa_uses_dynamic_stack 0
		.amdhsa_enable_private_segment 0
		.amdhsa_system_sgpr_workgroup_id_x 1
		.amdhsa_system_sgpr_workgroup_id_y 1
		.amdhsa_system_sgpr_workgroup_id_z 1
		.amdhsa_system_sgpr_workgroup_info 0
		.amdhsa_system_vgpr_workitem_id 1
		.amdhsa_next_free_vgpr 52
		.amdhsa_next_free_sgpr 20
		.amdhsa_reserve_vcc 1
		.amdhsa_float_round_mode_32 0
		.amdhsa_float_round_mode_16_64 0
		.amdhsa_float_denorm_mode_32 3
		.amdhsa_float_denorm_mode_16_64 3
		.amdhsa_dx10_clamp 1
		.amdhsa_ieee_mode 1
		.amdhsa_fp16_overflow 0
		.amdhsa_workgroup_processor_mode 1
		.amdhsa_memory_ordered 1
		.amdhsa_forward_progress 0
		.amdhsa_shared_vgpr_count 0
		.amdhsa_exception_fp_ieee_invalid_op 0
		.amdhsa_exception_fp_denorm_src 0
		.amdhsa_exception_fp_ieee_div_zero 0
		.amdhsa_exception_fp_ieee_overflow 0
		.amdhsa_exception_fp_ieee_underflow 0
		.amdhsa_exception_fp_ieee_inexact 0
		.amdhsa_exception_int_div_zero 0
	.end_amdhsa_kernel
	.section	.text._ZL37rocblas_syrkx_herkx_restricted_kernelIi19rocblas_complex_numIdELi16ELi32ELi8ELi1ELin1ELb0ELc67ELc76EKS1_S1_EviT_PT9_S3_lS5_S3_lPT10_S3_li,"axG",@progbits,_ZL37rocblas_syrkx_herkx_restricted_kernelIi19rocblas_complex_numIdELi16ELi32ELi8ELi1ELin1ELb0ELc67ELc76EKS1_S1_EviT_PT9_S3_lS5_S3_lPT10_S3_li,comdat
.Lfunc_end240:
	.size	_ZL37rocblas_syrkx_herkx_restricted_kernelIi19rocblas_complex_numIdELi16ELi32ELi8ELi1ELin1ELb0ELc67ELc76EKS1_S1_EviT_PT9_S3_lS5_S3_lPT10_S3_li, .Lfunc_end240-_ZL37rocblas_syrkx_herkx_restricted_kernelIi19rocblas_complex_numIdELi16ELi32ELi8ELi1ELin1ELb0ELc67ELc76EKS1_S1_EviT_PT9_S3_lS5_S3_lPT10_S3_li
                                        ; -- End function
	.section	.AMDGPU.csdata,"",@progbits
; Kernel info:
; codeLenInByte = 3284
; NumSgprs: 22
; NumVgprs: 52
; ScratchSize: 0
; MemoryBound: 0
; FloatMode: 240
; IeeeMode: 1
; LDSByteSize: 8192 bytes/workgroup (compile time only)
; SGPRBlocks: 2
; VGPRBlocks: 6
; NumSGPRsForWavesPerEU: 22
; NumVGPRsForWavesPerEU: 52
; Occupancy: 16
; WaveLimiterHint : 0
; COMPUTE_PGM_RSRC2:SCRATCH_EN: 0
; COMPUTE_PGM_RSRC2:USER_SGPR: 13
; COMPUTE_PGM_RSRC2:TRAP_HANDLER: 0
; COMPUTE_PGM_RSRC2:TGID_X_EN: 1
; COMPUTE_PGM_RSRC2:TGID_Y_EN: 1
; COMPUTE_PGM_RSRC2:TGID_Z_EN: 1
; COMPUTE_PGM_RSRC2:TIDIG_COMP_CNT: 1
	.section	.text._ZL37rocblas_syrkx_herkx_restricted_kernelIi19rocblas_complex_numIdELi16ELi32ELi8ELi1ELin1ELb0ELc78ELc76EKS1_S1_EviT_PT9_S3_lS5_S3_lPT10_S3_li,"axG",@progbits,_ZL37rocblas_syrkx_herkx_restricted_kernelIi19rocblas_complex_numIdELi16ELi32ELi8ELi1ELin1ELb0ELc78ELc76EKS1_S1_EviT_PT9_S3_lS5_S3_lPT10_S3_li,comdat
	.globl	_ZL37rocblas_syrkx_herkx_restricted_kernelIi19rocblas_complex_numIdELi16ELi32ELi8ELi1ELin1ELb0ELc78ELc76EKS1_S1_EviT_PT9_S3_lS5_S3_lPT10_S3_li ; -- Begin function _ZL37rocblas_syrkx_herkx_restricted_kernelIi19rocblas_complex_numIdELi16ELi32ELi8ELi1ELin1ELb0ELc78ELc76EKS1_S1_EviT_PT9_S3_lS5_S3_lPT10_S3_li
	.p2align	8
	.type	_ZL37rocblas_syrkx_herkx_restricted_kernelIi19rocblas_complex_numIdELi16ELi32ELi8ELi1ELin1ELb0ELc78ELc76EKS1_S1_EviT_PT9_S3_lS5_S3_lPT10_S3_li,@function
_ZL37rocblas_syrkx_herkx_restricted_kernelIi19rocblas_complex_numIdELi16ELi32ELi8ELi1ELin1ELb0ELc78ELc76EKS1_S1_EviT_PT9_S3_lS5_S3_lPT10_S3_li: ; @_ZL37rocblas_syrkx_herkx_restricted_kernelIi19rocblas_complex_numIdELi16ELi32ELi8ELi1ELin1ELb0ELc78ELc76EKS1_S1_EviT_PT9_S3_lS5_S3_lPT10_S3_li
; %bb.0:
	s_clause 0x1
	s_load_b64 s[2:3], s[0:1], 0x0
	s_load_b128 s[4:7], s[0:1], 0x30
	v_mov_b32_e32 v16, 0
	v_dual_mov_b32 v17, 0 :: v_dual_and_b32 v20, 0x3ff, v0
	v_bfe_u32 v21, v0, 10, 10
	s_delay_alu instid0(VALU_DEP_3) | instskip(NEXT) | instid1(VALU_DEP_3)
	v_mov_b32_e32 v6, v16
	v_dual_mov_b32 v4, v16 :: v_dual_mov_b32 v5, v17
	v_dual_mov_b32 v19, v17 :: v_dual_mov_b32 v18, v16
	;; [unrolled: 1-line block ×6, first 2 shown]
	v_mov_b32_e32 v9, v17
	s_lshl_b32 s12, s13, 5
	s_lshl_b32 s13, s14, 5
	s_waitcnt lgkmcnt(0)
	s_cmp_lt_i32 s3, 1
	s_mov_b32 s14, 0
	s_cbranch_scc1 .LBB241_3
; %bb.1:
	v_lshl_add_u32 v0, v21, 4, v20
	v_and_b32_e32 v6, 7, v20
	s_clause 0x3
	s_load_b32 s16, s[0:1], 0x10
	s_load_b32 s18, s[0:1], 0x28
	s_load_b128 s[8:11], s[0:1], 0x18
	s_load_b64 s[20:21], s[0:1], 0x8
	v_lshrrev_b32_e32 v1, 3, v0
	v_lshlrev_b32_e32 v3, 4, v6
	v_lshrrev_b32_e32 v7, 5, v0
	s_mul_i32 s5, s5, s15
	v_lshl_add_u32 v25, v21, 7, 0x1000
	s_delay_alu instid0(VALU_DEP_3) | instskip(NEXT) | instid1(VALU_DEP_1)
	v_lshl_or_b32 v8, v1, 7, v3
	v_dual_mov_b32 v8, 0 :: v_dual_add_nc_u32 v23, 0x1000, v8
	v_dual_mov_b32 v9, 0 :: v_dual_and_b32 v2, 31, v0
	v_add_nc_u32_e32 v0, s13, v1
	s_waitcnt lgkmcnt(0)
	s_ashr_i32 s17, s16, 31
	s_ashr_i32 s19, s18, 31
	v_mov_b32_e32 v11, v9
	v_dual_mov_b32 v13, v9 :: v_dual_lshlrev_b32 v4, 4, v2
	v_dual_mov_b32 v15, v9 :: v_dual_add_nc_u32 v2, s12, v2
	v_ashrrev_i32_e32 v1, 31, v0
	s_mul_i32 s9, s9, s15
	s_delay_alu instid0(VALU_DEP_3)
	v_lshl_or_b32 v22, v7, 9, v4
	s_mul_hi_u32 s22, s8, s15
	v_ashrrev_i32_e32 v3, 31, v2
	v_mad_i64_i32 v[4:5], null, s18, v6, v[0:1]
	s_add_i32 s9, s22, s9
	s_mul_i32 s8, s8, s15
	s_delay_alu instid0(VALU_DEP_2)
	v_mad_i64_i32 v[0:1], null, s16, v7, v[2:3]
	s_lshl_b64 s[8:9], s[8:9], 4
	v_dual_mov_b32 v10, v8 :: v_dual_mov_b32 v19, v9
	s_add_u32 s8, s20, s8
	s_addc_u32 s9, s21, s9
	s_mul_hi_u32 s20, s4, s15
	s_delay_alu instid0(VALU_DEP_2) | instskip(SKIP_4) | instid1(VALU_DEP_3)
	v_lshlrev_b64 v[0:1], 4, v[0:1]
	s_add_i32 s5, s20, s5
	s_mul_i32 s4, s4, s15
	v_dual_mov_b32 v14, v8 :: v_dual_mov_b32 v17, v9
	v_mov_b32_e32 v6, v8
	v_add_co_u32 v2, vcc_lo, s8, v0
	v_add_co_ci_u32_e32 v3, vcc_lo, s9, v1, vcc_lo
	v_lshlrev_b64 v[0:1], 4, v[4:5]
	s_lshl_b64 s[8:9], s[4:5], 4
	s_lshl_b64 s[4:5], s[16:17], 7
	s_add_u32 s8, s10, s8
	s_addc_u32 s9, s11, s9
	v_dual_mov_b32 v7, v9 :: v_dual_lshlrev_b32 v24, 4, v20
	v_add_co_u32 v4, vcc_lo, s8, v0
	v_add_co_ci_u32_e32 v5, vcc_lo, s9, v1, vcc_lo
	v_add_co_u32 v0, vcc_lo, v2, 8
	v_add_co_ci_u32_e32 v1, vcc_lo, 0, v3, vcc_lo
	s_delay_alu instid0(VALU_DEP_4) | instskip(NEXT) | instid1(VALU_DEP_4)
	v_add_co_u32 v2, vcc_lo, v4, 8
	v_add_co_ci_u32_e32 v3, vcc_lo, 0, v5, vcc_lo
	v_mov_b32_e32 v4, v8
	v_dual_mov_b32 v12, v8 :: v_dual_mov_b32 v5, v9
	v_mov_b32_e32 v18, v8
	v_mov_b32_e32 v16, v8
	s_lshl_b64 s[8:9], s[18:19], 7
.LBB241_2:                              ; =>This Inner Loop Header: Depth=1
	global_load_b128 v[26:29], v[0:1], off offset:-8
	v_add_co_u32 v0, vcc_lo, v0, s4
	v_add_co_ci_u32_e32 v1, vcc_lo, s5, v1, vcc_lo
	s_add_i32 s14, s14, 8
	s_delay_alu instid0(SALU_CYCLE_1)
	s_cmp_ge_i32 s14, s3
	s_waitcnt vmcnt(0)
	ds_store_b128 v22, v[26:29]
	global_load_b128 v[26:29], v[2:3], off offset:-8
	v_add_co_u32 v2, vcc_lo, v2, s8
	v_add_co_ci_u32_e32 v3, vcc_lo, s9, v3, vcc_lo
	s_waitcnt vmcnt(0)
	ds_store_b128 v23, v[26:29]
	s_waitcnt lgkmcnt(0)
	s_barrier
	buffer_gl0_inv
	ds_load_b128 v[26:29], v25
	ds_load_b128 v[30:33], v25 offset:16
	ds_load_b128 v[34:37], v25 offset:32
	;; [unrolled: 1-line block ×3, first 2 shown]
	ds_load_b128 v[42:45], v24
	s_waitcnt lgkmcnt(0)
	v_mul_f64 v[46:47], v[28:29], v[44:45]
	v_mul_f64 v[48:49], v[26:27], v[44:45]
	s_delay_alu instid0(VALU_DEP_2) | instskip(NEXT) | instid1(VALU_DEP_2)
	v_fma_f64 v[46:47], v[26:27], v[42:43], -v[46:47]
	v_fma_f64 v[48:49], v[28:29], v[42:43], v[48:49]
	s_delay_alu instid0(VALU_DEP_2) | instskip(NEXT) | instid1(VALU_DEP_2)
	v_add_f64 v[46:47], v[16:17], v[46:47]
	v_add_f64 v[48:49], v[18:19], v[48:49]
	ds_load_b128 v[16:19], v24 offset:256
	s_waitcnt lgkmcnt(0)
	v_mul_f64 v[50:51], v[28:29], v[18:19]
	s_delay_alu instid0(VALU_DEP_1) | instskip(SKIP_1) | instid1(VALU_DEP_1)
	v_fma_f64 v[50:51], v[26:27], v[16:17], -v[50:51]
	v_mul_f64 v[26:27], v[26:27], v[18:19]
	v_fma_f64 v[26:27], v[28:29], v[16:17], v[26:27]
	s_delay_alu instid0(VALU_DEP_3) | instskip(NEXT) | instid1(VALU_DEP_2)
	v_add_f64 v[28:29], v[6:7], v[50:51]
	v_add_f64 v[26:27], v[4:5], v[26:27]
	ds_load_b128 v[4:7], v25 offset:2048
	s_waitcnt lgkmcnt(0)
	v_mul_f64 v[50:51], v[6:7], v[44:45]
	v_mul_f64 v[44:45], v[4:5], v[44:45]
	s_delay_alu instid0(VALU_DEP_2) | instskip(NEXT) | instid1(VALU_DEP_2)
	v_fma_f64 v[50:51], v[4:5], v[42:43], -v[50:51]
	v_fma_f64 v[42:43], v[6:7], v[42:43], v[44:45]
	s_delay_alu instid0(VALU_DEP_2) | instskip(NEXT) | instid1(VALU_DEP_2)
	v_add_f64 v[44:45], v[14:15], v[50:51]
	v_add_f64 v[42:43], v[10:11], v[42:43]
	v_mul_f64 v[10:11], v[6:7], v[18:19]
	s_delay_alu instid0(VALU_DEP_1) | instskip(SKIP_1) | instid1(VALU_DEP_1)
	v_fma_f64 v[10:11], v[4:5], v[16:17], -v[10:11]
	v_mul_f64 v[4:5], v[4:5], v[18:19]
	v_fma_f64 v[4:5], v[6:7], v[16:17], v[4:5]
	s_delay_alu instid0(VALU_DEP_3) | instskip(NEXT) | instid1(VALU_DEP_2)
	v_add_f64 v[16:17], v[12:13], v[10:11]
	v_add_f64 v[18:19], v[8:9], v[4:5]
	ds_load_b128 v[4:7], v24 offset:512
	s_waitcnt lgkmcnt(0)
	v_mul_f64 v[8:9], v[32:33], v[6:7]
	v_mul_f64 v[10:11], v[30:31], v[6:7]
	s_delay_alu instid0(VALU_DEP_2) | instskip(NEXT) | instid1(VALU_DEP_2)
	v_fma_f64 v[8:9], v[30:31], v[4:5], -v[8:9]
	v_fma_f64 v[10:11], v[32:33], v[4:5], v[10:11]
	s_delay_alu instid0(VALU_DEP_2) | instskip(NEXT) | instid1(VALU_DEP_2)
	v_add_f64 v[46:47], v[46:47], v[8:9]
	v_add_f64 v[48:49], v[48:49], v[10:11]
	ds_load_b128 v[8:11], v24 offset:768
	s_waitcnt lgkmcnt(0)
	v_mul_f64 v[12:13], v[32:33], v[10:11]
	v_mul_f64 v[14:15], v[30:31], v[10:11]
	s_delay_alu instid0(VALU_DEP_2) | instskip(NEXT) | instid1(VALU_DEP_2)
	v_fma_f64 v[12:13], v[30:31], v[8:9], -v[12:13]
	v_fma_f64 v[14:15], v[32:33], v[8:9], v[14:15]
	s_delay_alu instid0(VALU_DEP_2) | instskip(NEXT) | instid1(VALU_DEP_2)
	v_add_f64 v[28:29], v[28:29], v[12:13]
	v_add_f64 v[26:27], v[26:27], v[14:15]
	ds_load_b128 v[12:15], v25 offset:2064
	s_waitcnt lgkmcnt(0)
	v_mul_f64 v[30:31], v[14:15], v[6:7]
	v_mul_f64 v[6:7], v[12:13], v[6:7]
	s_delay_alu instid0(VALU_DEP_2) | instskip(NEXT) | instid1(VALU_DEP_2)
	v_fma_f64 v[30:31], v[12:13], v[4:5], -v[30:31]
	v_fma_f64 v[4:5], v[14:15], v[4:5], v[6:7]
	v_mul_f64 v[6:7], v[12:13], v[10:11]
	s_delay_alu instid0(VALU_DEP_3) | instskip(NEXT) | instid1(VALU_DEP_3)
	v_add_f64 v[30:31], v[44:45], v[30:31]
	v_add_f64 v[32:33], v[42:43], v[4:5]
	v_mul_f64 v[4:5], v[14:15], v[10:11]
	s_delay_alu instid0(VALU_DEP_4) | instskip(NEXT) | instid1(VALU_DEP_2)
	v_fma_f64 v[6:7], v[14:15], v[8:9], v[6:7]
	v_fma_f64 v[4:5], v[12:13], v[8:9], -v[4:5]
	s_delay_alu instid0(VALU_DEP_2) | instskip(NEXT) | instid1(VALU_DEP_2)
	v_add_f64 v[18:19], v[18:19], v[6:7]
	v_add_f64 v[16:17], v[16:17], v[4:5]
	ds_load_b128 v[4:7], v24 offset:1024
	s_waitcnt lgkmcnt(0)
	v_mul_f64 v[8:9], v[36:37], v[6:7]
	v_mul_f64 v[10:11], v[34:35], v[6:7]
	s_delay_alu instid0(VALU_DEP_2) | instskip(NEXT) | instid1(VALU_DEP_2)
	v_fma_f64 v[8:9], v[34:35], v[4:5], -v[8:9]
	v_fma_f64 v[10:11], v[36:37], v[4:5], v[10:11]
	s_delay_alu instid0(VALU_DEP_2) | instskip(NEXT) | instid1(VALU_DEP_2)
	v_add_f64 v[42:43], v[46:47], v[8:9]
	v_add_f64 v[44:45], v[48:49], v[10:11]
	ds_load_b128 v[8:11], v24 offset:1280
	s_waitcnt lgkmcnt(0)
	v_mul_f64 v[12:13], v[36:37], v[10:11]
	v_mul_f64 v[14:15], v[34:35], v[10:11]
	s_delay_alu instid0(VALU_DEP_2) | instskip(NEXT) | instid1(VALU_DEP_2)
	v_fma_f64 v[12:13], v[34:35], v[8:9], -v[12:13]
	v_fma_f64 v[14:15], v[36:37], v[8:9], v[14:15]
	s_delay_alu instid0(VALU_DEP_2) | instskip(NEXT) | instid1(VALU_DEP_2)
	v_add_f64 v[28:29], v[28:29], v[12:13]
	v_add_f64 v[26:27], v[26:27], v[14:15]
	ds_load_b128 v[12:15], v25 offset:2080
	s_waitcnt lgkmcnt(0)
	v_mul_f64 v[34:35], v[14:15], v[6:7]
	v_mul_f64 v[6:7], v[12:13], v[6:7]
	s_delay_alu instid0(VALU_DEP_2) | instskip(NEXT) | instid1(VALU_DEP_2)
	v_fma_f64 v[34:35], v[12:13], v[4:5], -v[34:35]
	v_fma_f64 v[4:5], v[14:15], v[4:5], v[6:7]
	v_mul_f64 v[6:7], v[12:13], v[10:11]
	s_delay_alu instid0(VALU_DEP_3) | instskip(NEXT) | instid1(VALU_DEP_3)
	v_add_f64 v[30:31], v[30:31], v[34:35]
	v_add_f64 v[32:33], v[32:33], v[4:5]
	v_mul_f64 v[4:5], v[14:15], v[10:11]
	s_delay_alu instid0(VALU_DEP_4) | instskip(NEXT) | instid1(VALU_DEP_2)
	v_fma_f64 v[6:7], v[14:15], v[8:9], v[6:7]
	v_fma_f64 v[4:5], v[12:13], v[8:9], -v[4:5]
	s_delay_alu instid0(VALU_DEP_2) | instskip(NEXT) | instid1(VALU_DEP_2)
	;; [unrolled: 38-line block ×3, first 2 shown]
	v_add_f64 v[18:19], v[18:19], v[6:7]
	v_add_f64 v[16:17], v[16:17], v[4:5]
	ds_load_b128 v[4:7], v25 offset:64
	ds_load_b128 v[8:11], v24 offset:2048
	s_waitcnt lgkmcnt(0)
	v_mul_f64 v[12:13], v[6:7], v[10:11]
	v_mul_f64 v[14:15], v[4:5], v[10:11]
	s_delay_alu instid0(VALU_DEP_2) | instskip(NEXT) | instid1(VALU_DEP_2)
	v_fma_f64 v[12:13], v[4:5], v[8:9], -v[12:13]
	v_fma_f64 v[14:15], v[6:7], v[8:9], v[14:15]
	s_delay_alu instid0(VALU_DEP_2) | instskip(NEXT) | instid1(VALU_DEP_2)
	v_add_f64 v[34:35], v[34:35], v[12:13]
	v_add_f64 v[36:37], v[36:37], v[14:15]
	ds_load_b128 v[12:15], v24 offset:2304
	s_waitcnt lgkmcnt(0)
	v_mul_f64 v[38:39], v[6:7], v[14:15]
	s_delay_alu instid0(VALU_DEP_1) | instskip(SKIP_1) | instid1(VALU_DEP_2)
	v_fma_f64 v[38:39], v[4:5], v[12:13], -v[38:39]
	v_mul_f64 v[4:5], v[4:5], v[14:15]
	v_add_f64 v[28:29], v[28:29], v[38:39]
	s_delay_alu instid0(VALU_DEP_2) | instskip(NEXT) | instid1(VALU_DEP_1)
	v_fma_f64 v[4:5], v[6:7], v[12:13], v[4:5]
	v_add_f64 v[26:27], v[26:27], v[4:5]
	ds_load_b128 v[4:7], v25 offset:2112
	s_waitcnt lgkmcnt(0)
	v_mul_f64 v[38:39], v[6:7], v[10:11]
	v_mul_f64 v[10:11], v[4:5], v[10:11]
	s_delay_alu instid0(VALU_DEP_2) | instskip(NEXT) | instid1(VALU_DEP_2)
	v_fma_f64 v[38:39], v[4:5], v[8:9], -v[38:39]
	v_fma_f64 v[8:9], v[6:7], v[8:9], v[10:11]
	s_delay_alu instid0(VALU_DEP_2) | instskip(NEXT) | instid1(VALU_DEP_2)
	v_add_f64 v[30:31], v[30:31], v[38:39]
	v_add_f64 v[32:33], v[32:33], v[8:9]
	v_mul_f64 v[8:9], v[6:7], v[14:15]
	s_delay_alu instid0(VALU_DEP_1) | instskip(SKIP_1) | instid1(VALU_DEP_2)
	v_fma_f64 v[8:9], v[4:5], v[12:13], -v[8:9]
	v_mul_f64 v[4:5], v[4:5], v[14:15]
	v_add_f64 v[16:17], v[16:17], v[8:9]
	s_delay_alu instid0(VALU_DEP_2) | instskip(NEXT) | instid1(VALU_DEP_1)
	v_fma_f64 v[4:5], v[6:7], v[12:13], v[4:5]
	v_add_f64 v[18:19], v[18:19], v[4:5]
	ds_load_b128 v[4:7], v25 offset:80
	ds_load_b128 v[8:11], v24 offset:2560
	s_waitcnt lgkmcnt(0)
	v_mul_f64 v[12:13], v[6:7], v[10:11]
	v_mul_f64 v[14:15], v[4:5], v[10:11]
	s_delay_alu instid0(VALU_DEP_2) | instskip(NEXT) | instid1(VALU_DEP_2)
	v_fma_f64 v[12:13], v[4:5], v[8:9], -v[12:13]
	v_fma_f64 v[14:15], v[6:7], v[8:9], v[14:15]
	s_delay_alu instid0(VALU_DEP_2) | instskip(NEXT) | instid1(VALU_DEP_2)
	v_add_f64 v[34:35], v[34:35], v[12:13]
	v_add_f64 v[36:37], v[36:37], v[14:15]
	ds_load_b128 v[12:15], v24 offset:2816
	s_waitcnt lgkmcnt(0)
	v_mul_f64 v[38:39], v[6:7], v[14:15]
	s_delay_alu instid0(VALU_DEP_1) | instskip(SKIP_1) | instid1(VALU_DEP_2)
	v_fma_f64 v[38:39], v[4:5], v[12:13], -v[38:39]
	v_mul_f64 v[4:5], v[4:5], v[14:15]
	v_add_f64 v[28:29], v[28:29], v[38:39]
	s_delay_alu instid0(VALU_DEP_2) | instskip(NEXT) | instid1(VALU_DEP_1)
	v_fma_f64 v[4:5], v[6:7], v[12:13], v[4:5]
	v_add_f64 v[26:27], v[26:27], v[4:5]
	ds_load_b128 v[4:7], v25 offset:2128
	s_waitcnt lgkmcnt(0)
	v_mul_f64 v[38:39], v[6:7], v[10:11]
	v_mul_f64 v[10:11], v[4:5], v[10:11]
	s_delay_alu instid0(VALU_DEP_2) | instskip(NEXT) | instid1(VALU_DEP_2)
	v_fma_f64 v[38:39], v[4:5], v[8:9], -v[38:39]
	v_fma_f64 v[8:9], v[6:7], v[8:9], v[10:11]
	s_delay_alu instid0(VALU_DEP_2) | instskip(NEXT) | instid1(VALU_DEP_2)
	v_add_f64 v[30:31], v[30:31], v[38:39]
	v_add_f64 v[32:33], v[32:33], v[8:9]
	v_mul_f64 v[8:9], v[6:7], v[14:15]
	s_delay_alu instid0(VALU_DEP_1) | instskip(SKIP_1) | instid1(VALU_DEP_2)
	v_fma_f64 v[8:9], v[4:5], v[12:13], -v[8:9]
	v_mul_f64 v[4:5], v[4:5], v[14:15]
	v_add_f64 v[16:17], v[16:17], v[8:9]
	s_delay_alu instid0(VALU_DEP_2) | instskip(NEXT) | instid1(VALU_DEP_1)
	v_fma_f64 v[4:5], v[6:7], v[12:13], v[4:5]
	v_add_f64 v[18:19], v[18:19], v[4:5]
	ds_load_b128 v[4:7], v25 offset:96
	ds_load_b128 v[8:11], v24 offset:3072
	s_waitcnt lgkmcnt(0)
	v_mul_f64 v[12:13], v[6:7], v[10:11]
	v_mul_f64 v[14:15], v[4:5], v[10:11]
	s_delay_alu instid0(VALU_DEP_2) | instskip(NEXT) | instid1(VALU_DEP_2)
	v_fma_f64 v[12:13], v[4:5], v[8:9], -v[12:13]
	v_fma_f64 v[14:15], v[6:7], v[8:9], v[14:15]
	s_delay_alu instid0(VALU_DEP_2) | instskip(NEXT) | instid1(VALU_DEP_2)
	v_add_f64 v[34:35], v[34:35], v[12:13]
	v_add_f64 v[36:37], v[36:37], v[14:15]
	ds_load_b128 v[12:15], v24 offset:3328
	s_waitcnt lgkmcnt(0)
	v_mul_f64 v[38:39], v[6:7], v[14:15]
	s_delay_alu instid0(VALU_DEP_1) | instskip(SKIP_1) | instid1(VALU_DEP_2)
	v_fma_f64 v[38:39], v[4:5], v[12:13], -v[38:39]
	v_mul_f64 v[4:5], v[4:5], v[14:15]
	v_add_f64 v[38:39], v[28:29], v[38:39]
	s_delay_alu instid0(VALU_DEP_2) | instskip(NEXT) | instid1(VALU_DEP_1)
	v_fma_f64 v[4:5], v[6:7], v[12:13], v[4:5]
	v_add_f64 v[40:41], v[26:27], v[4:5]
	ds_load_b128 v[4:7], v25 offset:2144
	s_waitcnt lgkmcnt(0)
	v_mul_f64 v[26:27], v[6:7], v[10:11]
	v_mul_f64 v[10:11], v[4:5], v[10:11]
	s_delay_alu instid0(VALU_DEP_2) | instskip(NEXT) | instid1(VALU_DEP_2)
	v_fma_f64 v[26:27], v[4:5], v[8:9], -v[26:27]
	v_fma_f64 v[8:9], v[6:7], v[8:9], v[10:11]
	s_delay_alu instid0(VALU_DEP_2) | instskip(NEXT) | instid1(VALU_DEP_2)
	v_add_f64 v[42:43], v[30:31], v[26:27]
	v_add_f64 v[44:45], v[32:33], v[8:9]
	v_mul_f64 v[8:9], v[6:7], v[14:15]
	s_delay_alu instid0(VALU_DEP_1) | instskip(SKIP_1) | instid1(VALU_DEP_1)
	v_fma_f64 v[8:9], v[4:5], v[12:13], -v[8:9]
	v_mul_f64 v[4:5], v[4:5], v[14:15]
	v_fma_f64 v[4:5], v[6:7], v[12:13], v[4:5]
	s_delay_alu instid0(VALU_DEP_3) | instskip(NEXT) | instid1(VALU_DEP_2)
	v_add_f64 v[12:13], v[16:17], v[8:9]
	v_add_f64 v[46:47], v[18:19], v[4:5]
	ds_load_b128 v[4:7], v25 offset:112
	ds_load_b128 v[8:11], v24 offset:3584
	;; [unrolled: 1-line block ×4, first 2 shown]
	s_waitcnt lgkmcnt(0)
	s_barrier
	buffer_gl0_inv
	v_mul_f64 v[14:15], v[6:7], v[10:11]
	v_mul_f64 v[16:17], v[4:5], v[10:11]
	s_delay_alu instid0(VALU_DEP_2) | instskip(NEXT) | instid1(VALU_DEP_2)
	v_fma_f64 v[14:15], v[4:5], v[8:9], -v[14:15]
	v_fma_f64 v[18:19], v[6:7], v[8:9], v[16:17]
	s_delay_alu instid0(VALU_DEP_2) | instskip(SKIP_1) | instid1(VALU_DEP_3)
	v_add_f64 v[16:17], v[34:35], v[14:15]
	v_mul_f64 v[14:15], v[6:7], v[28:29]
	v_add_f64 v[18:19], v[36:37], v[18:19]
	s_delay_alu instid0(VALU_DEP_2) | instskip(SKIP_1) | instid1(VALU_DEP_1)
	v_fma_f64 v[14:15], v[4:5], v[26:27], -v[14:15]
	v_mul_f64 v[4:5], v[4:5], v[28:29]
	v_fma_f64 v[4:5], v[6:7], v[26:27], v[4:5]
	s_delay_alu instid0(VALU_DEP_3) | instskip(SKIP_2) | instid1(VALU_DEP_4)
	v_add_f64 v[6:7], v[38:39], v[14:15]
	v_mul_f64 v[14:15], v[32:33], v[10:11]
	v_mul_f64 v[10:11], v[30:31], v[10:11]
	v_add_f64 v[4:5], v[40:41], v[4:5]
	s_delay_alu instid0(VALU_DEP_3) | instskip(NEXT) | instid1(VALU_DEP_3)
	v_fma_f64 v[14:15], v[30:31], v[8:9], -v[14:15]
	v_fma_f64 v[8:9], v[32:33], v[8:9], v[10:11]
	s_delay_alu instid0(VALU_DEP_2) | instskip(NEXT) | instid1(VALU_DEP_2)
	v_add_f64 v[14:15], v[42:43], v[14:15]
	v_add_f64 v[10:11], v[44:45], v[8:9]
	v_mul_f64 v[8:9], v[32:33], v[28:29]
	v_mul_f64 v[28:29], v[30:31], v[28:29]
	s_delay_alu instid0(VALU_DEP_2) | instskip(NEXT) | instid1(VALU_DEP_2)
	v_fma_f64 v[8:9], v[30:31], v[26:27], -v[8:9]
	v_fma_f64 v[26:27], v[32:33], v[26:27], v[28:29]
	s_delay_alu instid0(VALU_DEP_2) | instskip(NEXT) | instid1(VALU_DEP_2)
	v_add_f64 v[12:13], v[12:13], v[8:9]
	v_add_f64 v[8:9], v[46:47], v[26:27]
	s_cbranch_scc0 .LBB241_2
.LBB241_3:
	s_clause 0x1
	s_load_b32 s3, s[0:1], 0x40
	s_load_b64 s[4:5], s[0:1], 0x48
	v_add_nc_u32_e32 v21, s13, v21
	v_add_nc_u32_e32 v0, s12, v20
	s_delay_alu instid0(VALU_DEP_1)
	v_cmp_le_i32_e64 s0, v21, v0
	v_cmp_gt_i32_e32 vcc_lo, s2, v0
	s_waitcnt lgkmcnt(0)
	v_mad_i64_i32 v[1:2], null, v21, s3, 0
	s_mul_i32 s1, s15, s5
	s_mul_hi_u32 s5, s15, s4
	s_mul_i32 s4, s15, s4
	s_add_i32 s5, s5, s1
	s_delay_alu instid0(SALU_CYCLE_1) | instskip(NEXT) | instid1(VALU_DEP_1)
	s_lshl_b64 s[4:5], s[4:5], 4
	v_lshlrev_b64 v[1:2], 4, v[1:2]
	s_add_u32 s4, s6, s4
	s_addc_u32 s5, s7, s5
	s_and_b32 s0, s0, vcc_lo
	s_delay_alu instid0(VALU_DEP_1) | instskip(NEXT) | instid1(VALU_DEP_1)
	v_add_co_u32 v20, s1, s4, v1
	v_add_co_ci_u32_e64 v22, s1, s5, v2, s1
	s_and_saveexec_b32 s1, s0
	s_cbranch_execz .LBB241_5
; %bb.4:
	v_ashrrev_i32_e32 v1, 31, v0
	s_delay_alu instid0(VALU_DEP_1) | instskip(NEXT) | instid1(VALU_DEP_1)
	v_lshlrev_b64 v[1:2], 4, v[0:1]
	v_add_co_u32 v1, s0, v20, v1
	s_delay_alu instid0(VALU_DEP_1)
	v_add_co_ci_u32_e64 v2, s0, v22, v2, s0
	global_load_b128 v[23:26], v[1:2], off
	s_waitcnt vmcnt(0)
	v_add_f64 v[16:17], v[16:17], -v[23:24]
	v_add_f64 v[18:19], v[18:19], -v[25:26]
	global_store_b128 v[1:2], v[16:19], off
.LBB241_5:
	s_or_b32 exec_lo, exec_lo, s1
	v_add_nc_u32_e32 v2, 16, v0
	s_delay_alu instid0(VALU_DEP_1) | instskip(SKIP_1) | instid1(VALU_DEP_1)
	v_cmp_le_i32_e64 s1, v21, v2
	v_cmp_gt_i32_e64 s0, s2, v2
	s_and_b32 s1, s1, s0
	s_delay_alu instid0(SALU_CYCLE_1)
	s_and_saveexec_b32 s2, s1
	s_cbranch_execz .LBB241_7
; %bb.6:
	v_ashrrev_i32_e32 v3, 31, v2
	s_delay_alu instid0(VALU_DEP_1) | instskip(NEXT) | instid1(VALU_DEP_1)
	v_lshlrev_b64 v[16:17], 4, v[2:3]
	v_add_co_u32 v23, s1, v20, v16
	s_delay_alu instid0(VALU_DEP_1)
	v_add_co_ci_u32_e64 v24, s1, v22, v17, s1
	global_load_b128 v[16:19], v[23:24], off
	s_waitcnt vmcnt(0)
	v_add_f64 v[16:17], v[6:7], -v[16:17]
	v_add_f64 v[18:19], v[4:5], -v[18:19]
	global_store_b128 v[23:24], v[16:19], off
.LBB241_7:
	s_or_b32 exec_lo, exec_lo, s2
	v_add_nc_u32_e32 v3, 16, v21
	s_delay_alu instid0(VALU_DEP_1) | instskip(SKIP_1) | instid1(VALU_DEP_2)
	v_mad_i64_i32 v[4:5], null, v3, s3, 0
	v_cmp_le_i32_e64 s1, v3, v0
	v_lshlrev_b64 v[4:5], 4, v[4:5]
	s_delay_alu instid0(VALU_DEP_1) | instskip(NEXT) | instid1(VALU_DEP_1)
	v_add_co_u32 v4, s2, s4, v4
	v_add_co_ci_u32_e64 v5, s2, s5, v5, s2
	s_delay_alu instid0(VALU_DEP_4) | instskip(NEXT) | instid1(SALU_CYCLE_1)
	s_and_b32 s2, s1, vcc_lo
	s_and_saveexec_b32 s1, s2
	s_cbranch_execz .LBB241_9
; %bb.8:
	v_ashrrev_i32_e32 v1, 31, v0
	s_delay_alu instid0(VALU_DEP_1) | instskip(NEXT) | instid1(VALU_DEP_1)
	v_lshlrev_b64 v[0:1], 4, v[0:1]
	v_add_co_u32 v0, vcc_lo, v4, v0
	s_delay_alu instid0(VALU_DEP_2)
	v_add_co_ci_u32_e32 v1, vcc_lo, v5, v1, vcc_lo
	global_load_b128 v[16:19], v[0:1], off
	s_waitcnt vmcnt(0)
	v_add_f64 v[14:15], v[14:15], -v[16:17]
	v_add_f64 v[16:17], v[10:11], -v[18:19]
	global_store_b128 v[0:1], v[14:17], off
.LBB241_9:
	s_or_b32 exec_lo, exec_lo, s1
	v_cmp_le_i32_e32 vcc_lo, v3, v2
	s_and_b32 s0, vcc_lo, s0
	s_delay_alu instid0(SALU_CYCLE_1)
	s_and_saveexec_b32 s1, s0
	s_cbranch_execz .LBB241_11
; %bb.10:
	v_ashrrev_i32_e32 v3, 31, v2
	s_delay_alu instid0(VALU_DEP_1) | instskip(NEXT) | instid1(VALU_DEP_1)
	v_lshlrev_b64 v[0:1], 4, v[2:3]
	v_add_co_u32 v4, vcc_lo, v4, v0
	s_delay_alu instid0(VALU_DEP_2)
	v_add_co_ci_u32_e32 v5, vcc_lo, v5, v1, vcc_lo
	global_load_b128 v[0:3], v[4:5], off
	s_waitcnt vmcnt(0)
	v_add_f64 v[0:1], v[12:13], -v[0:1]
	v_add_f64 v[2:3], v[8:9], -v[2:3]
	global_store_b128 v[4:5], v[0:3], off
.LBB241_11:
	s_nop 0
	s_sendmsg sendmsg(MSG_DEALLOC_VGPRS)
	s_endpgm
	.section	.rodata,"a",@progbits
	.p2align	6, 0x0
	.amdhsa_kernel _ZL37rocblas_syrkx_herkx_restricted_kernelIi19rocblas_complex_numIdELi16ELi32ELi8ELi1ELin1ELb0ELc78ELc76EKS1_S1_EviT_PT9_S3_lS5_S3_lPT10_S3_li
		.amdhsa_group_segment_fixed_size 8192
		.amdhsa_private_segment_fixed_size 0
		.amdhsa_kernarg_size 84
		.amdhsa_user_sgpr_count 13
		.amdhsa_user_sgpr_dispatch_ptr 0
		.amdhsa_user_sgpr_queue_ptr 0
		.amdhsa_user_sgpr_kernarg_segment_ptr 1
		.amdhsa_user_sgpr_dispatch_id 0
		.amdhsa_user_sgpr_private_segment_size 0
		.amdhsa_wavefront_size32 1
		.amdhsa_uses_dynamic_stack 0
		.amdhsa_enable_private_segment 0
		.amdhsa_system_sgpr_workgroup_id_x 1
		.amdhsa_system_sgpr_workgroup_id_y 1
		.amdhsa_system_sgpr_workgroup_id_z 1
		.amdhsa_system_sgpr_workgroup_info 0
		.amdhsa_system_vgpr_workitem_id 1
		.amdhsa_next_free_vgpr 52
		.amdhsa_next_free_sgpr 23
		.amdhsa_reserve_vcc 1
		.amdhsa_float_round_mode_32 0
		.amdhsa_float_round_mode_16_64 0
		.amdhsa_float_denorm_mode_32 3
		.amdhsa_float_denorm_mode_16_64 3
		.amdhsa_dx10_clamp 1
		.amdhsa_ieee_mode 1
		.amdhsa_fp16_overflow 0
		.amdhsa_workgroup_processor_mode 1
		.amdhsa_memory_ordered 1
		.amdhsa_forward_progress 0
		.amdhsa_shared_vgpr_count 0
		.amdhsa_exception_fp_ieee_invalid_op 0
		.amdhsa_exception_fp_denorm_src 0
		.amdhsa_exception_fp_ieee_div_zero 0
		.amdhsa_exception_fp_ieee_overflow 0
		.amdhsa_exception_fp_ieee_underflow 0
		.amdhsa_exception_fp_ieee_inexact 0
		.amdhsa_exception_int_div_zero 0
	.end_amdhsa_kernel
	.section	.text._ZL37rocblas_syrkx_herkx_restricted_kernelIi19rocblas_complex_numIdELi16ELi32ELi8ELi1ELin1ELb0ELc78ELc76EKS1_S1_EviT_PT9_S3_lS5_S3_lPT10_S3_li,"axG",@progbits,_ZL37rocblas_syrkx_herkx_restricted_kernelIi19rocblas_complex_numIdELi16ELi32ELi8ELi1ELin1ELb0ELc78ELc76EKS1_S1_EviT_PT9_S3_lS5_S3_lPT10_S3_li,comdat
.Lfunc_end241:
	.size	_ZL37rocblas_syrkx_herkx_restricted_kernelIi19rocblas_complex_numIdELi16ELi32ELi8ELi1ELin1ELb0ELc78ELc76EKS1_S1_EviT_PT9_S3_lS5_S3_lPT10_S3_li, .Lfunc_end241-_ZL37rocblas_syrkx_herkx_restricted_kernelIi19rocblas_complex_numIdELi16ELi32ELi8ELi1ELin1ELb0ELc78ELc76EKS1_S1_EviT_PT9_S3_lS5_S3_lPT10_S3_li
                                        ; -- End function
	.section	.AMDGPU.csdata,"",@progbits
; Kernel info:
; codeLenInByte = 3296
; NumSgprs: 25
; NumVgprs: 52
; ScratchSize: 0
; MemoryBound: 0
; FloatMode: 240
; IeeeMode: 1
; LDSByteSize: 8192 bytes/workgroup (compile time only)
; SGPRBlocks: 3
; VGPRBlocks: 6
; NumSGPRsForWavesPerEU: 25
; NumVGPRsForWavesPerEU: 52
; Occupancy: 16
; WaveLimiterHint : 0
; COMPUTE_PGM_RSRC2:SCRATCH_EN: 0
; COMPUTE_PGM_RSRC2:USER_SGPR: 13
; COMPUTE_PGM_RSRC2:TRAP_HANDLER: 0
; COMPUTE_PGM_RSRC2:TGID_X_EN: 1
; COMPUTE_PGM_RSRC2:TGID_Y_EN: 1
; COMPUTE_PGM_RSRC2:TGID_Z_EN: 1
; COMPUTE_PGM_RSRC2:TIDIG_COMP_CNT: 1
	.section	.text._ZL37rocblas_syrkx_herkx_restricted_kernelIi19rocblas_complex_numIdELi16ELi32ELi8ELi1ELin1ELb0ELc84ELc85EKS1_S1_EviT_PT9_S3_lS5_S3_lPT10_S3_li,"axG",@progbits,_ZL37rocblas_syrkx_herkx_restricted_kernelIi19rocblas_complex_numIdELi16ELi32ELi8ELi1ELin1ELb0ELc84ELc85EKS1_S1_EviT_PT9_S3_lS5_S3_lPT10_S3_li,comdat
	.globl	_ZL37rocblas_syrkx_herkx_restricted_kernelIi19rocblas_complex_numIdELi16ELi32ELi8ELi1ELin1ELb0ELc84ELc85EKS1_S1_EviT_PT9_S3_lS5_S3_lPT10_S3_li ; -- Begin function _ZL37rocblas_syrkx_herkx_restricted_kernelIi19rocblas_complex_numIdELi16ELi32ELi8ELi1ELin1ELb0ELc84ELc85EKS1_S1_EviT_PT9_S3_lS5_S3_lPT10_S3_li
	.p2align	8
	.type	_ZL37rocblas_syrkx_herkx_restricted_kernelIi19rocblas_complex_numIdELi16ELi32ELi8ELi1ELin1ELb0ELc84ELc85EKS1_S1_EviT_PT9_S3_lS5_S3_lPT10_S3_li,@function
_ZL37rocblas_syrkx_herkx_restricted_kernelIi19rocblas_complex_numIdELi16ELi32ELi8ELi1ELin1ELb0ELc84ELc85EKS1_S1_EviT_PT9_S3_lS5_S3_lPT10_S3_li: ; @_ZL37rocblas_syrkx_herkx_restricted_kernelIi19rocblas_complex_numIdELi16ELi32ELi8ELi1ELin1ELb0ELc84ELc85EKS1_S1_EviT_PT9_S3_lS5_S3_lPT10_S3_li
; %bb.0:
	s_clause 0x1
	s_load_b64 s[2:3], s[0:1], 0x0
	s_load_b128 s[4:7], s[0:1], 0x30
	v_mov_b32_e32 v16, 0
	v_dual_mov_b32 v17, 0 :: v_dual_and_b32 v20, 0x3ff, v0
	v_bfe_u32 v21, v0, 10, 10
	s_delay_alu instid0(VALU_DEP_3) | instskip(NEXT) | instid1(VALU_DEP_3)
	v_mov_b32_e32 v6, v16
	v_dual_mov_b32 v4, v16 :: v_dual_mov_b32 v5, v17
	v_dual_mov_b32 v19, v17 :: v_dual_mov_b32 v18, v16
	;; [unrolled: 1-line block ×6, first 2 shown]
	v_mov_b32_e32 v9, v17
	s_lshl_b32 s12, s13, 5
	s_lshl_b32 s13, s14, 5
	s_waitcnt lgkmcnt(0)
	s_cmp_lt_i32 s3, 1
	s_mov_b32 s14, 0
	s_cbranch_scc1 .LBB242_3
; %bb.1:
	s_clause 0x3
	s_load_b32 s18, s[0:1], 0x10
	s_load_b128 s[8:11], s[0:1], 0x18
	s_load_b64 s[16:17], s[0:1], 0x8
	s_load_b32 s19, s[0:1], 0x28
	v_lshl_add_u32 v2, v21, 4, v20
	v_dual_mov_b32 v1, 0 :: v_dual_and_b32 v0, 7, v20
	v_lshlrev_b32_e32 v22, 4, v20
	s_mul_i32 s5, s5, s15
	s_delay_alu instid0(VALU_DEP_3)
	v_lshrrev_b32_e32 v4, 3, v2
	v_and_b32_e32 v5, 31, v2
	v_lshlrev_b32_e32 v3, 4, v0
	v_lshrrev_b32_e32 v2, 5, v2
	v_lshl_add_u32 v25, v21, 7, 0x1000
	v_add_nc_u32_e32 v9, s13, v4
	v_add_nc_u32_e32 v8, s12, v5
	v_lshl_or_b32 v7, v4, 7, v3
	v_dual_mov_b32 v3, v1 :: v_dual_lshlrev_b32 v6, 4, v5
	s_waitcnt lgkmcnt(0)
	s_delay_alu instid0(VALU_DEP_1) | instskip(NEXT) | instid1(VALU_DEP_2)
	v_mad_i64_i32 v[4:5], null, s18, v8, v[2:3]
	v_lshl_or_b32 v23, v2, 9, v6
	s_mul_i32 s9, s9, s15
	s_mul_hi_u32 s18, s8, s15
	v_mad_i64_i32 v[2:3], null, s19, v9, v[0:1]
	s_mul_i32 s8, s8, s15
	s_add_i32 s9, s18, s9
	s_delay_alu instid0(VALU_DEP_3)
	v_lshlrev_b64 v[0:1], 4, v[4:5]
	s_lshl_b64 s[8:9], s[8:9], 4
	v_mov_b32_e32 v8, 0
	v_mov_b32_e32 v9, 0
	s_add_u32 s8, s16, s8
	s_mul_hi_u32 s16, s4, s15
	s_addc_u32 s9, s17, s9
	s_add_i32 s5, s16, s5
	s_mul_i32 s4, s4, s15
	v_lshlrev_b64 v[2:3], 4, v[2:3]
	s_lshl_b64 s[4:5], s[4:5], 4
	v_add_co_u32 v0, vcc_lo, s8, v0
	s_add_u32 s4, s10, s4
	v_add_co_ci_u32_e32 v1, vcc_lo, s9, v1, vcc_lo
	s_addc_u32 s5, s11, s5
	v_add_co_u32 v2, vcc_lo, s4, v2
	v_add_co_ci_u32_e32 v3, vcc_lo, s5, v3, vcc_lo
	v_add_co_u32 v0, vcc_lo, v0, 8
	v_add_co_ci_u32_e32 v1, vcc_lo, 0, v1, vcc_lo
	s_delay_alu instid0(VALU_DEP_4)
	v_add_co_u32 v2, vcc_lo, v2, 8
	v_dual_mov_b32 v13, v9 :: v_dual_add_nc_u32 v24, 0x1000, v7
	v_add_co_ci_u32_e32 v3, vcc_lo, 0, v3, vcc_lo
	v_dual_mov_b32 v12, v8 :: v_dual_mov_b32 v11, v9
	v_dual_mov_b32 v10, v8 :: v_dual_mov_b32 v15, v9
	v_mov_b32_e32 v14, v8
	v_dual_mov_b32 v4, v8 :: v_dual_mov_b32 v5, v9
	v_dual_mov_b32 v6, v8 :: v_dual_mov_b32 v7, v9
	;; [unrolled: 1-line block ×4, first 2 shown]
.LBB242_2:                              ; =>This Inner Loop Header: Depth=1
	global_load_b128 v[26:29], v[0:1], off offset:-8
	v_add_co_u32 v0, vcc_lo, 0x80, v0
	v_add_co_ci_u32_e32 v1, vcc_lo, 0, v1, vcc_lo
	s_add_i32 s14, s14, 8
	s_delay_alu instid0(SALU_CYCLE_1)
	s_cmp_ge_i32 s14, s3
	s_waitcnt vmcnt(0)
	ds_store_b128 v23, v[26:29]
	global_load_b128 v[26:29], v[2:3], off offset:-8
	v_add_co_u32 v2, vcc_lo, 0x80, v2
	v_add_co_ci_u32_e32 v3, vcc_lo, 0, v3, vcc_lo
	s_waitcnt vmcnt(0)
	ds_store_b128 v24, v[26:29]
	s_waitcnt lgkmcnt(0)
	s_barrier
	buffer_gl0_inv
	ds_load_b128 v[26:29], v25
	ds_load_b128 v[30:33], v25 offset:16
	ds_load_b128 v[34:37], v25 offset:32
	;; [unrolled: 1-line block ×3, first 2 shown]
	ds_load_b128 v[42:45], v22
	s_waitcnt lgkmcnt(0)
	v_mul_f64 v[46:47], v[28:29], v[44:45]
	v_mul_f64 v[48:49], v[26:27], v[44:45]
	s_delay_alu instid0(VALU_DEP_2) | instskip(NEXT) | instid1(VALU_DEP_2)
	v_fma_f64 v[46:47], v[26:27], v[42:43], -v[46:47]
	v_fma_f64 v[48:49], v[28:29], v[42:43], v[48:49]
	s_delay_alu instid0(VALU_DEP_2) | instskip(NEXT) | instid1(VALU_DEP_2)
	v_add_f64 v[46:47], v[16:17], v[46:47]
	v_add_f64 v[48:49], v[18:19], v[48:49]
	ds_load_b128 v[16:19], v22 offset:256
	s_waitcnt lgkmcnt(0)
	v_mul_f64 v[50:51], v[28:29], v[18:19]
	s_delay_alu instid0(VALU_DEP_1) | instskip(SKIP_1) | instid1(VALU_DEP_1)
	v_fma_f64 v[50:51], v[26:27], v[16:17], -v[50:51]
	v_mul_f64 v[26:27], v[26:27], v[18:19]
	v_fma_f64 v[26:27], v[28:29], v[16:17], v[26:27]
	s_delay_alu instid0(VALU_DEP_3) | instskip(NEXT) | instid1(VALU_DEP_2)
	v_add_f64 v[28:29], v[6:7], v[50:51]
	v_add_f64 v[26:27], v[4:5], v[26:27]
	ds_load_b128 v[4:7], v25 offset:2048
	s_waitcnt lgkmcnt(0)
	v_mul_f64 v[50:51], v[6:7], v[44:45]
	v_mul_f64 v[44:45], v[4:5], v[44:45]
	s_delay_alu instid0(VALU_DEP_2) | instskip(NEXT) | instid1(VALU_DEP_2)
	v_fma_f64 v[50:51], v[4:5], v[42:43], -v[50:51]
	v_fma_f64 v[42:43], v[6:7], v[42:43], v[44:45]
	s_delay_alu instid0(VALU_DEP_2) | instskip(NEXT) | instid1(VALU_DEP_2)
	v_add_f64 v[44:45], v[14:15], v[50:51]
	v_add_f64 v[42:43], v[10:11], v[42:43]
	v_mul_f64 v[10:11], v[6:7], v[18:19]
	s_delay_alu instid0(VALU_DEP_1) | instskip(SKIP_1) | instid1(VALU_DEP_1)
	v_fma_f64 v[10:11], v[4:5], v[16:17], -v[10:11]
	v_mul_f64 v[4:5], v[4:5], v[18:19]
	v_fma_f64 v[4:5], v[6:7], v[16:17], v[4:5]
	s_delay_alu instid0(VALU_DEP_3) | instskip(NEXT) | instid1(VALU_DEP_2)
	v_add_f64 v[16:17], v[12:13], v[10:11]
	v_add_f64 v[18:19], v[8:9], v[4:5]
	ds_load_b128 v[4:7], v22 offset:512
	s_waitcnt lgkmcnt(0)
	v_mul_f64 v[8:9], v[32:33], v[6:7]
	v_mul_f64 v[10:11], v[30:31], v[6:7]
	s_delay_alu instid0(VALU_DEP_2) | instskip(NEXT) | instid1(VALU_DEP_2)
	v_fma_f64 v[8:9], v[30:31], v[4:5], -v[8:9]
	v_fma_f64 v[10:11], v[32:33], v[4:5], v[10:11]
	s_delay_alu instid0(VALU_DEP_2) | instskip(NEXT) | instid1(VALU_DEP_2)
	v_add_f64 v[46:47], v[46:47], v[8:9]
	v_add_f64 v[48:49], v[48:49], v[10:11]
	ds_load_b128 v[8:11], v22 offset:768
	s_waitcnt lgkmcnt(0)
	v_mul_f64 v[12:13], v[32:33], v[10:11]
	v_mul_f64 v[14:15], v[30:31], v[10:11]
	s_delay_alu instid0(VALU_DEP_2) | instskip(NEXT) | instid1(VALU_DEP_2)
	v_fma_f64 v[12:13], v[30:31], v[8:9], -v[12:13]
	v_fma_f64 v[14:15], v[32:33], v[8:9], v[14:15]
	s_delay_alu instid0(VALU_DEP_2) | instskip(NEXT) | instid1(VALU_DEP_2)
	v_add_f64 v[28:29], v[28:29], v[12:13]
	v_add_f64 v[26:27], v[26:27], v[14:15]
	ds_load_b128 v[12:15], v25 offset:2064
	s_waitcnt lgkmcnt(0)
	v_mul_f64 v[30:31], v[14:15], v[6:7]
	v_mul_f64 v[6:7], v[12:13], v[6:7]
	s_delay_alu instid0(VALU_DEP_2) | instskip(NEXT) | instid1(VALU_DEP_2)
	v_fma_f64 v[30:31], v[12:13], v[4:5], -v[30:31]
	v_fma_f64 v[4:5], v[14:15], v[4:5], v[6:7]
	v_mul_f64 v[6:7], v[12:13], v[10:11]
	s_delay_alu instid0(VALU_DEP_3) | instskip(NEXT) | instid1(VALU_DEP_3)
	v_add_f64 v[30:31], v[44:45], v[30:31]
	v_add_f64 v[32:33], v[42:43], v[4:5]
	v_mul_f64 v[4:5], v[14:15], v[10:11]
	s_delay_alu instid0(VALU_DEP_4) | instskip(NEXT) | instid1(VALU_DEP_2)
	v_fma_f64 v[6:7], v[14:15], v[8:9], v[6:7]
	v_fma_f64 v[4:5], v[12:13], v[8:9], -v[4:5]
	s_delay_alu instid0(VALU_DEP_2) | instskip(NEXT) | instid1(VALU_DEP_2)
	v_add_f64 v[18:19], v[18:19], v[6:7]
	v_add_f64 v[16:17], v[16:17], v[4:5]
	ds_load_b128 v[4:7], v22 offset:1024
	s_waitcnt lgkmcnt(0)
	v_mul_f64 v[8:9], v[36:37], v[6:7]
	v_mul_f64 v[10:11], v[34:35], v[6:7]
	s_delay_alu instid0(VALU_DEP_2) | instskip(NEXT) | instid1(VALU_DEP_2)
	v_fma_f64 v[8:9], v[34:35], v[4:5], -v[8:9]
	v_fma_f64 v[10:11], v[36:37], v[4:5], v[10:11]
	s_delay_alu instid0(VALU_DEP_2) | instskip(NEXT) | instid1(VALU_DEP_2)
	v_add_f64 v[42:43], v[46:47], v[8:9]
	v_add_f64 v[44:45], v[48:49], v[10:11]
	ds_load_b128 v[8:11], v22 offset:1280
	s_waitcnt lgkmcnt(0)
	v_mul_f64 v[12:13], v[36:37], v[10:11]
	v_mul_f64 v[14:15], v[34:35], v[10:11]
	s_delay_alu instid0(VALU_DEP_2) | instskip(NEXT) | instid1(VALU_DEP_2)
	v_fma_f64 v[12:13], v[34:35], v[8:9], -v[12:13]
	v_fma_f64 v[14:15], v[36:37], v[8:9], v[14:15]
	s_delay_alu instid0(VALU_DEP_2) | instskip(NEXT) | instid1(VALU_DEP_2)
	v_add_f64 v[28:29], v[28:29], v[12:13]
	v_add_f64 v[26:27], v[26:27], v[14:15]
	ds_load_b128 v[12:15], v25 offset:2080
	s_waitcnt lgkmcnt(0)
	v_mul_f64 v[34:35], v[14:15], v[6:7]
	v_mul_f64 v[6:7], v[12:13], v[6:7]
	s_delay_alu instid0(VALU_DEP_2) | instskip(NEXT) | instid1(VALU_DEP_2)
	v_fma_f64 v[34:35], v[12:13], v[4:5], -v[34:35]
	v_fma_f64 v[4:5], v[14:15], v[4:5], v[6:7]
	v_mul_f64 v[6:7], v[12:13], v[10:11]
	s_delay_alu instid0(VALU_DEP_3) | instskip(NEXT) | instid1(VALU_DEP_3)
	v_add_f64 v[30:31], v[30:31], v[34:35]
	v_add_f64 v[32:33], v[32:33], v[4:5]
	v_mul_f64 v[4:5], v[14:15], v[10:11]
	s_delay_alu instid0(VALU_DEP_4) | instskip(NEXT) | instid1(VALU_DEP_2)
	v_fma_f64 v[6:7], v[14:15], v[8:9], v[6:7]
	v_fma_f64 v[4:5], v[12:13], v[8:9], -v[4:5]
	s_delay_alu instid0(VALU_DEP_2) | instskip(NEXT) | instid1(VALU_DEP_2)
	;; [unrolled: 38-line block ×3, first 2 shown]
	v_add_f64 v[18:19], v[18:19], v[6:7]
	v_add_f64 v[16:17], v[16:17], v[4:5]
	ds_load_b128 v[4:7], v25 offset:64
	ds_load_b128 v[8:11], v22 offset:2048
	s_waitcnt lgkmcnt(0)
	v_mul_f64 v[12:13], v[6:7], v[10:11]
	v_mul_f64 v[14:15], v[4:5], v[10:11]
	s_delay_alu instid0(VALU_DEP_2) | instskip(NEXT) | instid1(VALU_DEP_2)
	v_fma_f64 v[12:13], v[4:5], v[8:9], -v[12:13]
	v_fma_f64 v[14:15], v[6:7], v[8:9], v[14:15]
	s_delay_alu instid0(VALU_DEP_2) | instskip(NEXT) | instid1(VALU_DEP_2)
	v_add_f64 v[34:35], v[34:35], v[12:13]
	v_add_f64 v[36:37], v[36:37], v[14:15]
	ds_load_b128 v[12:15], v22 offset:2304
	s_waitcnt lgkmcnt(0)
	v_mul_f64 v[38:39], v[6:7], v[14:15]
	s_delay_alu instid0(VALU_DEP_1) | instskip(SKIP_1) | instid1(VALU_DEP_2)
	v_fma_f64 v[38:39], v[4:5], v[12:13], -v[38:39]
	v_mul_f64 v[4:5], v[4:5], v[14:15]
	v_add_f64 v[28:29], v[28:29], v[38:39]
	s_delay_alu instid0(VALU_DEP_2) | instskip(NEXT) | instid1(VALU_DEP_1)
	v_fma_f64 v[4:5], v[6:7], v[12:13], v[4:5]
	v_add_f64 v[26:27], v[26:27], v[4:5]
	ds_load_b128 v[4:7], v25 offset:2112
	s_waitcnt lgkmcnt(0)
	v_mul_f64 v[38:39], v[6:7], v[10:11]
	v_mul_f64 v[10:11], v[4:5], v[10:11]
	s_delay_alu instid0(VALU_DEP_2) | instskip(NEXT) | instid1(VALU_DEP_2)
	v_fma_f64 v[38:39], v[4:5], v[8:9], -v[38:39]
	v_fma_f64 v[8:9], v[6:7], v[8:9], v[10:11]
	s_delay_alu instid0(VALU_DEP_2) | instskip(NEXT) | instid1(VALU_DEP_2)
	v_add_f64 v[30:31], v[30:31], v[38:39]
	v_add_f64 v[32:33], v[32:33], v[8:9]
	v_mul_f64 v[8:9], v[6:7], v[14:15]
	s_delay_alu instid0(VALU_DEP_1) | instskip(SKIP_1) | instid1(VALU_DEP_2)
	v_fma_f64 v[8:9], v[4:5], v[12:13], -v[8:9]
	v_mul_f64 v[4:5], v[4:5], v[14:15]
	v_add_f64 v[16:17], v[16:17], v[8:9]
	s_delay_alu instid0(VALU_DEP_2) | instskip(NEXT) | instid1(VALU_DEP_1)
	v_fma_f64 v[4:5], v[6:7], v[12:13], v[4:5]
	v_add_f64 v[18:19], v[18:19], v[4:5]
	ds_load_b128 v[4:7], v25 offset:80
	ds_load_b128 v[8:11], v22 offset:2560
	s_waitcnt lgkmcnt(0)
	v_mul_f64 v[12:13], v[6:7], v[10:11]
	v_mul_f64 v[14:15], v[4:5], v[10:11]
	s_delay_alu instid0(VALU_DEP_2) | instskip(NEXT) | instid1(VALU_DEP_2)
	v_fma_f64 v[12:13], v[4:5], v[8:9], -v[12:13]
	v_fma_f64 v[14:15], v[6:7], v[8:9], v[14:15]
	s_delay_alu instid0(VALU_DEP_2) | instskip(NEXT) | instid1(VALU_DEP_2)
	v_add_f64 v[34:35], v[34:35], v[12:13]
	v_add_f64 v[36:37], v[36:37], v[14:15]
	ds_load_b128 v[12:15], v22 offset:2816
	s_waitcnt lgkmcnt(0)
	v_mul_f64 v[38:39], v[6:7], v[14:15]
	s_delay_alu instid0(VALU_DEP_1) | instskip(SKIP_1) | instid1(VALU_DEP_2)
	v_fma_f64 v[38:39], v[4:5], v[12:13], -v[38:39]
	v_mul_f64 v[4:5], v[4:5], v[14:15]
	v_add_f64 v[28:29], v[28:29], v[38:39]
	s_delay_alu instid0(VALU_DEP_2) | instskip(NEXT) | instid1(VALU_DEP_1)
	v_fma_f64 v[4:5], v[6:7], v[12:13], v[4:5]
	v_add_f64 v[26:27], v[26:27], v[4:5]
	ds_load_b128 v[4:7], v25 offset:2128
	s_waitcnt lgkmcnt(0)
	v_mul_f64 v[38:39], v[6:7], v[10:11]
	v_mul_f64 v[10:11], v[4:5], v[10:11]
	s_delay_alu instid0(VALU_DEP_2) | instskip(NEXT) | instid1(VALU_DEP_2)
	v_fma_f64 v[38:39], v[4:5], v[8:9], -v[38:39]
	v_fma_f64 v[8:9], v[6:7], v[8:9], v[10:11]
	s_delay_alu instid0(VALU_DEP_2) | instskip(NEXT) | instid1(VALU_DEP_2)
	v_add_f64 v[30:31], v[30:31], v[38:39]
	v_add_f64 v[32:33], v[32:33], v[8:9]
	v_mul_f64 v[8:9], v[6:7], v[14:15]
	s_delay_alu instid0(VALU_DEP_1) | instskip(SKIP_1) | instid1(VALU_DEP_2)
	v_fma_f64 v[8:9], v[4:5], v[12:13], -v[8:9]
	v_mul_f64 v[4:5], v[4:5], v[14:15]
	v_add_f64 v[16:17], v[16:17], v[8:9]
	s_delay_alu instid0(VALU_DEP_2) | instskip(NEXT) | instid1(VALU_DEP_1)
	v_fma_f64 v[4:5], v[6:7], v[12:13], v[4:5]
	v_add_f64 v[18:19], v[18:19], v[4:5]
	ds_load_b128 v[4:7], v25 offset:96
	ds_load_b128 v[8:11], v22 offset:3072
	s_waitcnt lgkmcnt(0)
	v_mul_f64 v[12:13], v[6:7], v[10:11]
	v_mul_f64 v[14:15], v[4:5], v[10:11]
	s_delay_alu instid0(VALU_DEP_2) | instskip(NEXT) | instid1(VALU_DEP_2)
	v_fma_f64 v[12:13], v[4:5], v[8:9], -v[12:13]
	v_fma_f64 v[14:15], v[6:7], v[8:9], v[14:15]
	s_delay_alu instid0(VALU_DEP_2) | instskip(NEXT) | instid1(VALU_DEP_2)
	v_add_f64 v[34:35], v[34:35], v[12:13]
	v_add_f64 v[36:37], v[36:37], v[14:15]
	ds_load_b128 v[12:15], v22 offset:3328
	s_waitcnt lgkmcnt(0)
	v_mul_f64 v[38:39], v[6:7], v[14:15]
	s_delay_alu instid0(VALU_DEP_1) | instskip(SKIP_1) | instid1(VALU_DEP_2)
	v_fma_f64 v[38:39], v[4:5], v[12:13], -v[38:39]
	v_mul_f64 v[4:5], v[4:5], v[14:15]
	v_add_f64 v[38:39], v[28:29], v[38:39]
	s_delay_alu instid0(VALU_DEP_2) | instskip(NEXT) | instid1(VALU_DEP_1)
	v_fma_f64 v[4:5], v[6:7], v[12:13], v[4:5]
	v_add_f64 v[40:41], v[26:27], v[4:5]
	ds_load_b128 v[4:7], v25 offset:2144
	s_waitcnt lgkmcnt(0)
	v_mul_f64 v[26:27], v[6:7], v[10:11]
	v_mul_f64 v[10:11], v[4:5], v[10:11]
	s_delay_alu instid0(VALU_DEP_2) | instskip(NEXT) | instid1(VALU_DEP_2)
	v_fma_f64 v[26:27], v[4:5], v[8:9], -v[26:27]
	v_fma_f64 v[8:9], v[6:7], v[8:9], v[10:11]
	s_delay_alu instid0(VALU_DEP_2) | instskip(NEXT) | instid1(VALU_DEP_2)
	v_add_f64 v[42:43], v[30:31], v[26:27]
	v_add_f64 v[44:45], v[32:33], v[8:9]
	v_mul_f64 v[8:9], v[6:7], v[14:15]
	s_delay_alu instid0(VALU_DEP_1) | instskip(SKIP_1) | instid1(VALU_DEP_1)
	v_fma_f64 v[8:9], v[4:5], v[12:13], -v[8:9]
	v_mul_f64 v[4:5], v[4:5], v[14:15]
	v_fma_f64 v[4:5], v[6:7], v[12:13], v[4:5]
	s_delay_alu instid0(VALU_DEP_3) | instskip(NEXT) | instid1(VALU_DEP_2)
	v_add_f64 v[12:13], v[16:17], v[8:9]
	v_add_f64 v[46:47], v[18:19], v[4:5]
	ds_load_b128 v[4:7], v25 offset:112
	ds_load_b128 v[8:11], v22 offset:3584
	;; [unrolled: 1-line block ×4, first 2 shown]
	s_waitcnt lgkmcnt(0)
	s_barrier
	buffer_gl0_inv
	v_mul_f64 v[14:15], v[6:7], v[10:11]
	v_mul_f64 v[16:17], v[4:5], v[10:11]
	s_delay_alu instid0(VALU_DEP_2) | instskip(NEXT) | instid1(VALU_DEP_2)
	v_fma_f64 v[14:15], v[4:5], v[8:9], -v[14:15]
	v_fma_f64 v[18:19], v[6:7], v[8:9], v[16:17]
	s_delay_alu instid0(VALU_DEP_2) | instskip(SKIP_1) | instid1(VALU_DEP_3)
	v_add_f64 v[16:17], v[34:35], v[14:15]
	v_mul_f64 v[14:15], v[6:7], v[28:29]
	v_add_f64 v[18:19], v[36:37], v[18:19]
	s_delay_alu instid0(VALU_DEP_2) | instskip(SKIP_1) | instid1(VALU_DEP_1)
	v_fma_f64 v[14:15], v[4:5], v[26:27], -v[14:15]
	v_mul_f64 v[4:5], v[4:5], v[28:29]
	v_fma_f64 v[4:5], v[6:7], v[26:27], v[4:5]
	s_delay_alu instid0(VALU_DEP_3) | instskip(SKIP_2) | instid1(VALU_DEP_4)
	v_add_f64 v[6:7], v[38:39], v[14:15]
	v_mul_f64 v[14:15], v[32:33], v[10:11]
	v_mul_f64 v[10:11], v[30:31], v[10:11]
	v_add_f64 v[4:5], v[40:41], v[4:5]
	s_delay_alu instid0(VALU_DEP_3) | instskip(NEXT) | instid1(VALU_DEP_3)
	v_fma_f64 v[14:15], v[30:31], v[8:9], -v[14:15]
	v_fma_f64 v[8:9], v[32:33], v[8:9], v[10:11]
	s_delay_alu instid0(VALU_DEP_2) | instskip(NEXT) | instid1(VALU_DEP_2)
	v_add_f64 v[14:15], v[42:43], v[14:15]
	v_add_f64 v[10:11], v[44:45], v[8:9]
	v_mul_f64 v[8:9], v[32:33], v[28:29]
	v_mul_f64 v[28:29], v[30:31], v[28:29]
	s_delay_alu instid0(VALU_DEP_2) | instskip(NEXT) | instid1(VALU_DEP_2)
	v_fma_f64 v[8:9], v[30:31], v[26:27], -v[8:9]
	v_fma_f64 v[26:27], v[32:33], v[26:27], v[28:29]
	s_delay_alu instid0(VALU_DEP_2) | instskip(NEXT) | instid1(VALU_DEP_2)
	v_add_f64 v[12:13], v[12:13], v[8:9]
	v_add_f64 v[8:9], v[46:47], v[26:27]
	s_cbranch_scc0 .LBB242_2
.LBB242_3:
	s_clause 0x1
	s_load_b32 s3, s[0:1], 0x40
	s_load_b64 s[0:1], s[0:1], 0x48
	v_add_nc_u32_e32 v21, s13, v21
	v_add_nc_u32_e32 v0, s12, v20
	s_delay_alu instid0(VALU_DEP_2)
	v_cmp_gt_i32_e32 vcc_lo, s2, v21
	s_waitcnt lgkmcnt(0)
	v_mad_i64_i32 v[1:2], null, v21, s3, 0
	s_mul_i32 s1, s15, s1
	s_mul_hi_u32 s4, s15, s0
	s_mul_i32 s0, s15, s0
	s_add_i32 s1, s4, s1
	s_delay_alu instid0(SALU_CYCLE_1) | instskip(NEXT) | instid1(VALU_DEP_1)
	s_lshl_b64 s[4:5], s[0:1], 4
	v_lshlrev_b64 v[1:2], 4, v[1:2]
	s_add_u32 s4, s6, s4
	v_cmp_le_i32_e64 s0, v0, v21
	s_addc_u32 s5, s7, s5
	s_delay_alu instid0(VALU_DEP_2) | instskip(NEXT) | instid1(VALU_DEP_1)
	v_add_co_u32 v20, s1, s4, v1
	v_add_co_ci_u32_e64 v22, s1, s5, v2, s1
	s_delay_alu instid0(VALU_DEP_3) | instskip(NEXT) | instid1(SALU_CYCLE_1)
	s_and_b32 s0, vcc_lo, s0
	s_and_saveexec_b32 s1, s0
	s_cbranch_execz .LBB242_5
; %bb.4:
	v_ashrrev_i32_e32 v1, 31, v0
	s_delay_alu instid0(VALU_DEP_1) | instskip(NEXT) | instid1(VALU_DEP_1)
	v_lshlrev_b64 v[1:2], 4, v[0:1]
	v_add_co_u32 v1, s0, v20, v1
	s_delay_alu instid0(VALU_DEP_1)
	v_add_co_ci_u32_e64 v2, s0, v22, v2, s0
	global_load_b128 v[23:26], v[1:2], off
	s_waitcnt vmcnt(0)
	v_add_f64 v[16:17], v[16:17], -v[23:24]
	v_add_f64 v[18:19], v[18:19], -v[25:26]
	global_store_b128 v[1:2], v[16:19], off
.LBB242_5:
	s_or_b32 exec_lo, exec_lo, s1
	v_add_nc_u32_e32 v2, 16, v0
	s_delay_alu instid0(VALU_DEP_1) | instskip(NEXT) | instid1(VALU_DEP_1)
	v_cmp_le_i32_e64 s0, v2, v21
	s_and_b32 s1, vcc_lo, s0
	s_delay_alu instid0(SALU_CYCLE_1)
	s_and_saveexec_b32 s0, s1
	s_cbranch_execz .LBB242_7
; %bb.6:
	v_ashrrev_i32_e32 v3, 31, v2
	s_delay_alu instid0(VALU_DEP_1) | instskip(NEXT) | instid1(VALU_DEP_1)
	v_lshlrev_b64 v[16:17], 4, v[2:3]
	v_add_co_u32 v23, vcc_lo, v20, v16
	s_delay_alu instid0(VALU_DEP_2)
	v_add_co_ci_u32_e32 v24, vcc_lo, v22, v17, vcc_lo
	global_load_b128 v[16:19], v[23:24], off
	s_waitcnt vmcnt(0)
	v_add_f64 v[16:17], v[6:7], -v[16:17]
	v_add_f64 v[18:19], v[4:5], -v[18:19]
	global_store_b128 v[23:24], v[16:19], off
.LBB242_7:
	s_or_b32 exec_lo, exec_lo, s0
	v_add_nc_u32_e32 v3, 16, v21
	s_delay_alu instid0(VALU_DEP_1) | instskip(SKIP_2) | instid1(VALU_DEP_1)
	v_mad_i64_i32 v[4:5], null, v3, s3, 0
	v_cmp_gt_i32_e32 vcc_lo, s2, v3
	v_cmp_le_i32_e64 s0, v0, v3
	s_and_b32 s0, vcc_lo, s0
	s_delay_alu instid0(VALU_DEP_3) | instskip(NEXT) | instid1(VALU_DEP_1)
	v_lshlrev_b64 v[4:5], 4, v[4:5]
	v_add_co_u32 v4, s1, s4, v4
	s_delay_alu instid0(VALU_DEP_1)
	v_add_co_ci_u32_e64 v5, s1, s5, v5, s1
	s_and_saveexec_b32 s1, s0
	s_cbranch_execz .LBB242_9
; %bb.8:
	v_ashrrev_i32_e32 v1, 31, v0
	s_delay_alu instid0(VALU_DEP_1) | instskip(NEXT) | instid1(VALU_DEP_1)
	v_lshlrev_b64 v[0:1], 4, v[0:1]
	v_add_co_u32 v0, s0, v4, v0
	s_delay_alu instid0(VALU_DEP_1)
	v_add_co_ci_u32_e64 v1, s0, v5, v1, s0
	global_load_b128 v[16:19], v[0:1], off
	s_waitcnt vmcnt(0)
	v_add_f64 v[14:15], v[14:15], -v[16:17]
	v_add_f64 v[16:17], v[10:11], -v[18:19]
	global_store_b128 v[0:1], v[14:17], off
.LBB242_9:
	s_or_b32 exec_lo, exec_lo, s1
	v_cmp_le_i32_e64 s0, v2, v3
	s_delay_alu instid0(VALU_DEP_1) | instskip(NEXT) | instid1(SALU_CYCLE_1)
	s_and_b32 s0, vcc_lo, s0
	s_and_saveexec_b32 s1, s0
	s_cbranch_execz .LBB242_11
; %bb.10:
	v_ashrrev_i32_e32 v3, 31, v2
	s_delay_alu instid0(VALU_DEP_1) | instskip(NEXT) | instid1(VALU_DEP_1)
	v_lshlrev_b64 v[0:1], 4, v[2:3]
	v_add_co_u32 v4, vcc_lo, v4, v0
	s_delay_alu instid0(VALU_DEP_2)
	v_add_co_ci_u32_e32 v5, vcc_lo, v5, v1, vcc_lo
	global_load_b128 v[0:3], v[4:5], off
	s_waitcnt vmcnt(0)
	v_add_f64 v[0:1], v[12:13], -v[0:1]
	v_add_f64 v[2:3], v[8:9], -v[2:3]
	global_store_b128 v[4:5], v[0:3], off
.LBB242_11:
	s_nop 0
	s_sendmsg sendmsg(MSG_DEALLOC_VGPRS)
	s_endpgm
	.section	.rodata,"a",@progbits
	.p2align	6, 0x0
	.amdhsa_kernel _ZL37rocblas_syrkx_herkx_restricted_kernelIi19rocblas_complex_numIdELi16ELi32ELi8ELi1ELin1ELb0ELc84ELc85EKS1_S1_EviT_PT9_S3_lS5_S3_lPT10_S3_li
		.amdhsa_group_segment_fixed_size 8192
		.amdhsa_private_segment_fixed_size 0
		.amdhsa_kernarg_size 84
		.amdhsa_user_sgpr_count 13
		.amdhsa_user_sgpr_dispatch_ptr 0
		.amdhsa_user_sgpr_queue_ptr 0
		.amdhsa_user_sgpr_kernarg_segment_ptr 1
		.amdhsa_user_sgpr_dispatch_id 0
		.amdhsa_user_sgpr_private_segment_size 0
		.amdhsa_wavefront_size32 1
		.amdhsa_uses_dynamic_stack 0
		.amdhsa_enable_private_segment 0
		.amdhsa_system_sgpr_workgroup_id_x 1
		.amdhsa_system_sgpr_workgroup_id_y 1
		.amdhsa_system_sgpr_workgroup_id_z 1
		.amdhsa_system_sgpr_workgroup_info 0
		.amdhsa_system_vgpr_workitem_id 1
		.amdhsa_next_free_vgpr 52
		.amdhsa_next_free_sgpr 20
		.amdhsa_reserve_vcc 1
		.amdhsa_float_round_mode_32 0
		.amdhsa_float_round_mode_16_64 0
		.amdhsa_float_denorm_mode_32 3
		.amdhsa_float_denorm_mode_16_64 3
		.amdhsa_dx10_clamp 1
		.amdhsa_ieee_mode 1
		.amdhsa_fp16_overflow 0
		.amdhsa_workgroup_processor_mode 1
		.amdhsa_memory_ordered 1
		.amdhsa_forward_progress 0
		.amdhsa_shared_vgpr_count 0
		.amdhsa_exception_fp_ieee_invalid_op 0
		.amdhsa_exception_fp_denorm_src 0
		.amdhsa_exception_fp_ieee_div_zero 0
		.amdhsa_exception_fp_ieee_overflow 0
		.amdhsa_exception_fp_ieee_underflow 0
		.amdhsa_exception_fp_ieee_inexact 0
		.amdhsa_exception_int_div_zero 0
	.end_amdhsa_kernel
	.section	.text._ZL37rocblas_syrkx_herkx_restricted_kernelIi19rocblas_complex_numIdELi16ELi32ELi8ELi1ELin1ELb0ELc84ELc85EKS1_S1_EviT_PT9_S3_lS5_S3_lPT10_S3_li,"axG",@progbits,_ZL37rocblas_syrkx_herkx_restricted_kernelIi19rocblas_complex_numIdELi16ELi32ELi8ELi1ELin1ELb0ELc84ELc85EKS1_S1_EviT_PT9_S3_lS5_S3_lPT10_S3_li,comdat
.Lfunc_end242:
	.size	_ZL37rocblas_syrkx_herkx_restricted_kernelIi19rocblas_complex_numIdELi16ELi32ELi8ELi1ELin1ELb0ELc84ELc85EKS1_S1_EviT_PT9_S3_lS5_S3_lPT10_S3_li, .Lfunc_end242-_ZL37rocblas_syrkx_herkx_restricted_kernelIi19rocblas_complex_numIdELi16ELi32ELi8ELi1ELin1ELb0ELc84ELc85EKS1_S1_EviT_PT9_S3_lS5_S3_lPT10_S3_li
                                        ; -- End function
	.section	.AMDGPU.csdata,"",@progbits
; Kernel info:
; codeLenInByte = 3288
; NumSgprs: 22
; NumVgprs: 52
; ScratchSize: 0
; MemoryBound: 0
; FloatMode: 240
; IeeeMode: 1
; LDSByteSize: 8192 bytes/workgroup (compile time only)
; SGPRBlocks: 2
; VGPRBlocks: 6
; NumSGPRsForWavesPerEU: 22
; NumVGPRsForWavesPerEU: 52
; Occupancy: 16
; WaveLimiterHint : 0
; COMPUTE_PGM_RSRC2:SCRATCH_EN: 0
; COMPUTE_PGM_RSRC2:USER_SGPR: 13
; COMPUTE_PGM_RSRC2:TRAP_HANDLER: 0
; COMPUTE_PGM_RSRC2:TGID_X_EN: 1
; COMPUTE_PGM_RSRC2:TGID_Y_EN: 1
; COMPUTE_PGM_RSRC2:TGID_Z_EN: 1
; COMPUTE_PGM_RSRC2:TIDIG_COMP_CNT: 1
	.section	.text._ZL37rocblas_syrkx_herkx_restricted_kernelIi19rocblas_complex_numIdELi16ELi32ELi8ELi1ELin1ELb0ELc67ELc85EKS1_S1_EviT_PT9_S3_lS5_S3_lPT10_S3_li,"axG",@progbits,_ZL37rocblas_syrkx_herkx_restricted_kernelIi19rocblas_complex_numIdELi16ELi32ELi8ELi1ELin1ELb0ELc67ELc85EKS1_S1_EviT_PT9_S3_lS5_S3_lPT10_S3_li,comdat
	.globl	_ZL37rocblas_syrkx_herkx_restricted_kernelIi19rocblas_complex_numIdELi16ELi32ELi8ELi1ELin1ELb0ELc67ELc85EKS1_S1_EviT_PT9_S3_lS5_S3_lPT10_S3_li ; -- Begin function _ZL37rocblas_syrkx_herkx_restricted_kernelIi19rocblas_complex_numIdELi16ELi32ELi8ELi1ELin1ELb0ELc67ELc85EKS1_S1_EviT_PT9_S3_lS5_S3_lPT10_S3_li
	.p2align	8
	.type	_ZL37rocblas_syrkx_herkx_restricted_kernelIi19rocblas_complex_numIdELi16ELi32ELi8ELi1ELin1ELb0ELc67ELc85EKS1_S1_EviT_PT9_S3_lS5_S3_lPT10_S3_li,@function
_ZL37rocblas_syrkx_herkx_restricted_kernelIi19rocblas_complex_numIdELi16ELi32ELi8ELi1ELin1ELb0ELc67ELc85EKS1_S1_EviT_PT9_S3_lS5_S3_lPT10_S3_li: ; @_ZL37rocblas_syrkx_herkx_restricted_kernelIi19rocblas_complex_numIdELi16ELi32ELi8ELi1ELin1ELb0ELc67ELc85EKS1_S1_EviT_PT9_S3_lS5_S3_lPT10_S3_li
; %bb.0:
	s_clause 0x1
	s_load_b64 s[2:3], s[0:1], 0x0
	s_load_b128 s[4:7], s[0:1], 0x30
	v_mov_b32_e32 v16, 0
	v_dual_mov_b32 v17, 0 :: v_dual_and_b32 v20, 0x3ff, v0
	v_bfe_u32 v21, v0, 10, 10
	s_delay_alu instid0(VALU_DEP_3) | instskip(NEXT) | instid1(VALU_DEP_3)
	v_mov_b32_e32 v6, v16
	v_dual_mov_b32 v4, v16 :: v_dual_mov_b32 v5, v17
	v_dual_mov_b32 v19, v17 :: v_dual_mov_b32 v18, v16
	;; [unrolled: 1-line block ×6, first 2 shown]
	v_mov_b32_e32 v9, v17
	s_lshl_b32 s12, s13, 5
	s_lshl_b32 s13, s14, 5
	s_waitcnt lgkmcnt(0)
	s_cmp_lt_i32 s3, 1
	s_mov_b32 s14, 0
	s_cbranch_scc1 .LBB243_3
; %bb.1:
	s_clause 0x3
	s_load_b32 s18, s[0:1], 0x10
	s_load_b128 s[8:11], s[0:1], 0x18
	s_load_b64 s[16:17], s[0:1], 0x8
	s_load_b32 s19, s[0:1], 0x28
	v_lshl_add_u32 v2, v21, 4, v20
	v_dual_mov_b32 v1, 0 :: v_dual_and_b32 v0, 7, v20
	v_lshlrev_b32_e32 v22, 4, v20
	s_mul_i32 s5, s5, s15
	s_delay_alu instid0(VALU_DEP_3)
	v_lshrrev_b32_e32 v4, 3, v2
	v_and_b32_e32 v5, 31, v2
	v_lshlrev_b32_e32 v3, 4, v0
	v_lshrrev_b32_e32 v2, 5, v2
	v_lshl_add_u32 v25, v21, 7, 0x1000
	v_add_nc_u32_e32 v9, s13, v4
	v_add_nc_u32_e32 v8, s12, v5
	v_lshl_or_b32 v7, v4, 7, v3
	v_dual_mov_b32 v3, v1 :: v_dual_lshlrev_b32 v6, 4, v5
	s_waitcnt lgkmcnt(0)
	s_delay_alu instid0(VALU_DEP_1) | instskip(NEXT) | instid1(VALU_DEP_2)
	v_mad_i64_i32 v[4:5], null, s18, v8, v[2:3]
	v_lshl_or_b32 v23, v2, 9, v6
	s_mul_i32 s9, s9, s15
	s_mul_hi_u32 s18, s8, s15
	v_mad_i64_i32 v[2:3], null, s19, v9, v[0:1]
	s_mul_i32 s8, s8, s15
	s_add_i32 s9, s18, s9
	s_delay_alu instid0(VALU_DEP_3)
	v_lshlrev_b64 v[0:1], 4, v[4:5]
	s_lshl_b64 s[8:9], s[8:9], 4
	v_mov_b32_e32 v8, 0
	v_mov_b32_e32 v9, 0
	s_add_u32 s8, s16, s8
	s_mul_hi_u32 s16, s4, s15
	s_addc_u32 s9, s17, s9
	s_add_i32 s5, s16, s5
	s_mul_i32 s4, s4, s15
	v_lshlrev_b64 v[2:3], 4, v[2:3]
	s_lshl_b64 s[4:5], s[4:5], 4
	v_add_co_u32 v0, vcc_lo, s8, v0
	s_add_u32 s4, s10, s4
	v_add_co_ci_u32_e32 v1, vcc_lo, s9, v1, vcc_lo
	s_addc_u32 s5, s11, s5
	v_add_co_u32 v2, vcc_lo, s4, v2
	v_add_co_ci_u32_e32 v3, vcc_lo, s5, v3, vcc_lo
	v_add_co_u32 v0, vcc_lo, v0, 8
	v_add_co_ci_u32_e32 v1, vcc_lo, 0, v1, vcc_lo
	s_delay_alu instid0(VALU_DEP_4)
	v_add_co_u32 v2, vcc_lo, v2, 8
	v_dual_mov_b32 v13, v9 :: v_dual_add_nc_u32 v24, 0x1000, v7
	v_add_co_ci_u32_e32 v3, vcc_lo, 0, v3, vcc_lo
	v_dual_mov_b32 v12, v8 :: v_dual_mov_b32 v11, v9
	v_dual_mov_b32 v10, v8 :: v_dual_mov_b32 v15, v9
	v_mov_b32_e32 v14, v8
	v_dual_mov_b32 v4, v8 :: v_dual_mov_b32 v5, v9
	v_dual_mov_b32 v6, v8 :: v_dual_mov_b32 v7, v9
	;; [unrolled: 1-line block ×4, first 2 shown]
.LBB243_2:                              ; =>This Inner Loop Header: Depth=1
	global_load_b128 v[26:29], v[0:1], off offset:-8
	v_add_co_u32 v0, vcc_lo, 0x80, v0
	v_add_co_ci_u32_e32 v1, vcc_lo, 0, v1, vcc_lo
	s_add_i32 s14, s14, 8
	s_delay_alu instid0(SALU_CYCLE_1)
	s_cmp_ge_i32 s14, s3
	s_waitcnt vmcnt(0)
	ds_store_b128 v23, v[26:29]
	global_load_b128 v[26:29], v[2:3], off offset:-8
	v_add_co_u32 v2, vcc_lo, 0x80, v2
	v_add_co_ci_u32_e32 v3, vcc_lo, 0, v3, vcc_lo
	s_waitcnt vmcnt(0)
	ds_store_b128 v24, v[26:29]
	s_waitcnt lgkmcnt(0)
	s_barrier
	buffer_gl0_inv
	ds_load_b128 v[26:29], v25
	ds_load_b128 v[30:33], v25 offset:16
	ds_load_b128 v[34:37], v25 offset:32
	;; [unrolled: 1-line block ×3, first 2 shown]
	ds_load_b128 v[42:45], v22
	s_waitcnt lgkmcnt(0)
	v_mul_f64 v[46:47], v[28:29], v[44:45]
	v_mul_f64 v[48:49], v[26:27], v[44:45]
	s_delay_alu instid0(VALU_DEP_2) | instskip(NEXT) | instid1(VALU_DEP_2)
	v_fma_f64 v[46:47], v[26:27], v[42:43], -v[46:47]
	v_fma_f64 v[48:49], v[28:29], v[42:43], v[48:49]
	s_delay_alu instid0(VALU_DEP_2) | instskip(NEXT) | instid1(VALU_DEP_2)
	v_add_f64 v[46:47], v[16:17], v[46:47]
	v_add_f64 v[48:49], v[18:19], v[48:49]
	ds_load_b128 v[16:19], v22 offset:256
	s_waitcnt lgkmcnt(0)
	v_mul_f64 v[50:51], v[28:29], v[18:19]
	s_delay_alu instid0(VALU_DEP_1) | instskip(SKIP_1) | instid1(VALU_DEP_1)
	v_fma_f64 v[50:51], v[26:27], v[16:17], -v[50:51]
	v_mul_f64 v[26:27], v[26:27], v[18:19]
	v_fma_f64 v[26:27], v[28:29], v[16:17], v[26:27]
	s_delay_alu instid0(VALU_DEP_3) | instskip(NEXT) | instid1(VALU_DEP_2)
	v_add_f64 v[28:29], v[6:7], v[50:51]
	v_add_f64 v[26:27], v[4:5], v[26:27]
	ds_load_b128 v[4:7], v25 offset:2048
	s_waitcnt lgkmcnt(0)
	v_mul_f64 v[50:51], v[6:7], v[44:45]
	v_mul_f64 v[44:45], v[4:5], v[44:45]
	s_delay_alu instid0(VALU_DEP_2) | instskip(NEXT) | instid1(VALU_DEP_2)
	v_fma_f64 v[50:51], v[4:5], v[42:43], -v[50:51]
	v_fma_f64 v[42:43], v[6:7], v[42:43], v[44:45]
	s_delay_alu instid0(VALU_DEP_2) | instskip(NEXT) | instid1(VALU_DEP_2)
	v_add_f64 v[44:45], v[14:15], v[50:51]
	v_add_f64 v[42:43], v[10:11], v[42:43]
	v_mul_f64 v[10:11], v[6:7], v[18:19]
	s_delay_alu instid0(VALU_DEP_1) | instskip(SKIP_1) | instid1(VALU_DEP_1)
	v_fma_f64 v[10:11], v[4:5], v[16:17], -v[10:11]
	v_mul_f64 v[4:5], v[4:5], v[18:19]
	v_fma_f64 v[4:5], v[6:7], v[16:17], v[4:5]
	s_delay_alu instid0(VALU_DEP_3) | instskip(NEXT) | instid1(VALU_DEP_2)
	v_add_f64 v[16:17], v[12:13], v[10:11]
	v_add_f64 v[18:19], v[8:9], v[4:5]
	ds_load_b128 v[4:7], v22 offset:512
	s_waitcnt lgkmcnt(0)
	v_mul_f64 v[8:9], v[32:33], v[6:7]
	v_mul_f64 v[10:11], v[30:31], v[6:7]
	s_delay_alu instid0(VALU_DEP_2) | instskip(NEXT) | instid1(VALU_DEP_2)
	v_fma_f64 v[8:9], v[30:31], v[4:5], -v[8:9]
	v_fma_f64 v[10:11], v[32:33], v[4:5], v[10:11]
	s_delay_alu instid0(VALU_DEP_2) | instskip(NEXT) | instid1(VALU_DEP_2)
	v_add_f64 v[46:47], v[46:47], v[8:9]
	v_add_f64 v[48:49], v[48:49], v[10:11]
	ds_load_b128 v[8:11], v22 offset:768
	s_waitcnt lgkmcnt(0)
	v_mul_f64 v[12:13], v[32:33], v[10:11]
	v_mul_f64 v[14:15], v[30:31], v[10:11]
	s_delay_alu instid0(VALU_DEP_2) | instskip(NEXT) | instid1(VALU_DEP_2)
	v_fma_f64 v[12:13], v[30:31], v[8:9], -v[12:13]
	v_fma_f64 v[14:15], v[32:33], v[8:9], v[14:15]
	s_delay_alu instid0(VALU_DEP_2) | instskip(NEXT) | instid1(VALU_DEP_2)
	v_add_f64 v[28:29], v[28:29], v[12:13]
	v_add_f64 v[26:27], v[26:27], v[14:15]
	ds_load_b128 v[12:15], v25 offset:2064
	s_waitcnt lgkmcnt(0)
	v_mul_f64 v[30:31], v[14:15], v[6:7]
	v_mul_f64 v[6:7], v[12:13], v[6:7]
	s_delay_alu instid0(VALU_DEP_2) | instskip(NEXT) | instid1(VALU_DEP_2)
	v_fma_f64 v[30:31], v[12:13], v[4:5], -v[30:31]
	v_fma_f64 v[4:5], v[14:15], v[4:5], v[6:7]
	v_mul_f64 v[6:7], v[12:13], v[10:11]
	s_delay_alu instid0(VALU_DEP_3) | instskip(NEXT) | instid1(VALU_DEP_3)
	v_add_f64 v[30:31], v[44:45], v[30:31]
	v_add_f64 v[32:33], v[42:43], v[4:5]
	v_mul_f64 v[4:5], v[14:15], v[10:11]
	s_delay_alu instid0(VALU_DEP_4) | instskip(NEXT) | instid1(VALU_DEP_2)
	v_fma_f64 v[6:7], v[14:15], v[8:9], v[6:7]
	v_fma_f64 v[4:5], v[12:13], v[8:9], -v[4:5]
	s_delay_alu instid0(VALU_DEP_2) | instskip(NEXT) | instid1(VALU_DEP_2)
	v_add_f64 v[18:19], v[18:19], v[6:7]
	v_add_f64 v[16:17], v[16:17], v[4:5]
	ds_load_b128 v[4:7], v22 offset:1024
	s_waitcnt lgkmcnt(0)
	v_mul_f64 v[8:9], v[36:37], v[6:7]
	v_mul_f64 v[10:11], v[34:35], v[6:7]
	s_delay_alu instid0(VALU_DEP_2) | instskip(NEXT) | instid1(VALU_DEP_2)
	v_fma_f64 v[8:9], v[34:35], v[4:5], -v[8:9]
	v_fma_f64 v[10:11], v[36:37], v[4:5], v[10:11]
	s_delay_alu instid0(VALU_DEP_2) | instskip(NEXT) | instid1(VALU_DEP_2)
	v_add_f64 v[42:43], v[46:47], v[8:9]
	v_add_f64 v[44:45], v[48:49], v[10:11]
	ds_load_b128 v[8:11], v22 offset:1280
	s_waitcnt lgkmcnt(0)
	v_mul_f64 v[12:13], v[36:37], v[10:11]
	v_mul_f64 v[14:15], v[34:35], v[10:11]
	s_delay_alu instid0(VALU_DEP_2) | instskip(NEXT) | instid1(VALU_DEP_2)
	v_fma_f64 v[12:13], v[34:35], v[8:9], -v[12:13]
	v_fma_f64 v[14:15], v[36:37], v[8:9], v[14:15]
	s_delay_alu instid0(VALU_DEP_2) | instskip(NEXT) | instid1(VALU_DEP_2)
	v_add_f64 v[28:29], v[28:29], v[12:13]
	v_add_f64 v[26:27], v[26:27], v[14:15]
	ds_load_b128 v[12:15], v25 offset:2080
	s_waitcnt lgkmcnt(0)
	v_mul_f64 v[34:35], v[14:15], v[6:7]
	v_mul_f64 v[6:7], v[12:13], v[6:7]
	s_delay_alu instid0(VALU_DEP_2) | instskip(NEXT) | instid1(VALU_DEP_2)
	v_fma_f64 v[34:35], v[12:13], v[4:5], -v[34:35]
	v_fma_f64 v[4:5], v[14:15], v[4:5], v[6:7]
	v_mul_f64 v[6:7], v[12:13], v[10:11]
	s_delay_alu instid0(VALU_DEP_3) | instskip(NEXT) | instid1(VALU_DEP_3)
	v_add_f64 v[30:31], v[30:31], v[34:35]
	v_add_f64 v[32:33], v[32:33], v[4:5]
	v_mul_f64 v[4:5], v[14:15], v[10:11]
	s_delay_alu instid0(VALU_DEP_4) | instskip(NEXT) | instid1(VALU_DEP_2)
	v_fma_f64 v[6:7], v[14:15], v[8:9], v[6:7]
	v_fma_f64 v[4:5], v[12:13], v[8:9], -v[4:5]
	s_delay_alu instid0(VALU_DEP_2) | instskip(NEXT) | instid1(VALU_DEP_2)
	;; [unrolled: 38-line block ×3, first 2 shown]
	v_add_f64 v[18:19], v[18:19], v[6:7]
	v_add_f64 v[16:17], v[16:17], v[4:5]
	ds_load_b128 v[4:7], v25 offset:64
	ds_load_b128 v[8:11], v22 offset:2048
	s_waitcnt lgkmcnt(0)
	v_mul_f64 v[12:13], v[6:7], v[10:11]
	v_mul_f64 v[14:15], v[4:5], v[10:11]
	s_delay_alu instid0(VALU_DEP_2) | instskip(NEXT) | instid1(VALU_DEP_2)
	v_fma_f64 v[12:13], v[4:5], v[8:9], -v[12:13]
	v_fma_f64 v[14:15], v[6:7], v[8:9], v[14:15]
	s_delay_alu instid0(VALU_DEP_2) | instskip(NEXT) | instid1(VALU_DEP_2)
	v_add_f64 v[34:35], v[34:35], v[12:13]
	v_add_f64 v[36:37], v[36:37], v[14:15]
	ds_load_b128 v[12:15], v22 offset:2304
	s_waitcnt lgkmcnt(0)
	v_mul_f64 v[38:39], v[6:7], v[14:15]
	s_delay_alu instid0(VALU_DEP_1) | instskip(SKIP_1) | instid1(VALU_DEP_2)
	v_fma_f64 v[38:39], v[4:5], v[12:13], -v[38:39]
	v_mul_f64 v[4:5], v[4:5], v[14:15]
	v_add_f64 v[28:29], v[28:29], v[38:39]
	s_delay_alu instid0(VALU_DEP_2) | instskip(NEXT) | instid1(VALU_DEP_1)
	v_fma_f64 v[4:5], v[6:7], v[12:13], v[4:5]
	v_add_f64 v[26:27], v[26:27], v[4:5]
	ds_load_b128 v[4:7], v25 offset:2112
	s_waitcnt lgkmcnt(0)
	v_mul_f64 v[38:39], v[6:7], v[10:11]
	v_mul_f64 v[10:11], v[4:5], v[10:11]
	s_delay_alu instid0(VALU_DEP_2) | instskip(NEXT) | instid1(VALU_DEP_2)
	v_fma_f64 v[38:39], v[4:5], v[8:9], -v[38:39]
	v_fma_f64 v[8:9], v[6:7], v[8:9], v[10:11]
	s_delay_alu instid0(VALU_DEP_2) | instskip(NEXT) | instid1(VALU_DEP_2)
	v_add_f64 v[30:31], v[30:31], v[38:39]
	v_add_f64 v[32:33], v[32:33], v[8:9]
	v_mul_f64 v[8:9], v[6:7], v[14:15]
	s_delay_alu instid0(VALU_DEP_1) | instskip(SKIP_1) | instid1(VALU_DEP_2)
	v_fma_f64 v[8:9], v[4:5], v[12:13], -v[8:9]
	v_mul_f64 v[4:5], v[4:5], v[14:15]
	v_add_f64 v[16:17], v[16:17], v[8:9]
	s_delay_alu instid0(VALU_DEP_2) | instskip(NEXT) | instid1(VALU_DEP_1)
	v_fma_f64 v[4:5], v[6:7], v[12:13], v[4:5]
	v_add_f64 v[18:19], v[18:19], v[4:5]
	ds_load_b128 v[4:7], v25 offset:80
	ds_load_b128 v[8:11], v22 offset:2560
	s_waitcnt lgkmcnt(0)
	v_mul_f64 v[12:13], v[6:7], v[10:11]
	v_mul_f64 v[14:15], v[4:5], v[10:11]
	s_delay_alu instid0(VALU_DEP_2) | instskip(NEXT) | instid1(VALU_DEP_2)
	v_fma_f64 v[12:13], v[4:5], v[8:9], -v[12:13]
	v_fma_f64 v[14:15], v[6:7], v[8:9], v[14:15]
	s_delay_alu instid0(VALU_DEP_2) | instskip(NEXT) | instid1(VALU_DEP_2)
	v_add_f64 v[34:35], v[34:35], v[12:13]
	v_add_f64 v[36:37], v[36:37], v[14:15]
	ds_load_b128 v[12:15], v22 offset:2816
	s_waitcnt lgkmcnt(0)
	v_mul_f64 v[38:39], v[6:7], v[14:15]
	s_delay_alu instid0(VALU_DEP_1) | instskip(SKIP_1) | instid1(VALU_DEP_2)
	v_fma_f64 v[38:39], v[4:5], v[12:13], -v[38:39]
	v_mul_f64 v[4:5], v[4:5], v[14:15]
	v_add_f64 v[28:29], v[28:29], v[38:39]
	s_delay_alu instid0(VALU_DEP_2) | instskip(NEXT) | instid1(VALU_DEP_1)
	v_fma_f64 v[4:5], v[6:7], v[12:13], v[4:5]
	v_add_f64 v[26:27], v[26:27], v[4:5]
	ds_load_b128 v[4:7], v25 offset:2128
	s_waitcnt lgkmcnt(0)
	v_mul_f64 v[38:39], v[6:7], v[10:11]
	v_mul_f64 v[10:11], v[4:5], v[10:11]
	s_delay_alu instid0(VALU_DEP_2) | instskip(NEXT) | instid1(VALU_DEP_2)
	v_fma_f64 v[38:39], v[4:5], v[8:9], -v[38:39]
	v_fma_f64 v[8:9], v[6:7], v[8:9], v[10:11]
	s_delay_alu instid0(VALU_DEP_2) | instskip(NEXT) | instid1(VALU_DEP_2)
	v_add_f64 v[30:31], v[30:31], v[38:39]
	v_add_f64 v[32:33], v[32:33], v[8:9]
	v_mul_f64 v[8:9], v[6:7], v[14:15]
	s_delay_alu instid0(VALU_DEP_1) | instskip(SKIP_1) | instid1(VALU_DEP_2)
	v_fma_f64 v[8:9], v[4:5], v[12:13], -v[8:9]
	v_mul_f64 v[4:5], v[4:5], v[14:15]
	v_add_f64 v[16:17], v[16:17], v[8:9]
	s_delay_alu instid0(VALU_DEP_2) | instskip(NEXT) | instid1(VALU_DEP_1)
	v_fma_f64 v[4:5], v[6:7], v[12:13], v[4:5]
	v_add_f64 v[18:19], v[18:19], v[4:5]
	ds_load_b128 v[4:7], v25 offset:96
	ds_load_b128 v[8:11], v22 offset:3072
	s_waitcnt lgkmcnt(0)
	v_mul_f64 v[12:13], v[6:7], v[10:11]
	v_mul_f64 v[14:15], v[4:5], v[10:11]
	s_delay_alu instid0(VALU_DEP_2) | instskip(NEXT) | instid1(VALU_DEP_2)
	v_fma_f64 v[12:13], v[4:5], v[8:9], -v[12:13]
	v_fma_f64 v[14:15], v[6:7], v[8:9], v[14:15]
	s_delay_alu instid0(VALU_DEP_2) | instskip(NEXT) | instid1(VALU_DEP_2)
	v_add_f64 v[34:35], v[34:35], v[12:13]
	v_add_f64 v[36:37], v[36:37], v[14:15]
	ds_load_b128 v[12:15], v22 offset:3328
	s_waitcnt lgkmcnt(0)
	v_mul_f64 v[38:39], v[6:7], v[14:15]
	s_delay_alu instid0(VALU_DEP_1) | instskip(SKIP_1) | instid1(VALU_DEP_2)
	v_fma_f64 v[38:39], v[4:5], v[12:13], -v[38:39]
	v_mul_f64 v[4:5], v[4:5], v[14:15]
	v_add_f64 v[38:39], v[28:29], v[38:39]
	s_delay_alu instid0(VALU_DEP_2) | instskip(NEXT) | instid1(VALU_DEP_1)
	v_fma_f64 v[4:5], v[6:7], v[12:13], v[4:5]
	v_add_f64 v[40:41], v[26:27], v[4:5]
	ds_load_b128 v[4:7], v25 offset:2144
	s_waitcnt lgkmcnt(0)
	v_mul_f64 v[26:27], v[6:7], v[10:11]
	v_mul_f64 v[10:11], v[4:5], v[10:11]
	s_delay_alu instid0(VALU_DEP_2) | instskip(NEXT) | instid1(VALU_DEP_2)
	v_fma_f64 v[26:27], v[4:5], v[8:9], -v[26:27]
	v_fma_f64 v[8:9], v[6:7], v[8:9], v[10:11]
	s_delay_alu instid0(VALU_DEP_2) | instskip(NEXT) | instid1(VALU_DEP_2)
	v_add_f64 v[42:43], v[30:31], v[26:27]
	v_add_f64 v[44:45], v[32:33], v[8:9]
	v_mul_f64 v[8:9], v[6:7], v[14:15]
	s_delay_alu instid0(VALU_DEP_1) | instskip(SKIP_1) | instid1(VALU_DEP_1)
	v_fma_f64 v[8:9], v[4:5], v[12:13], -v[8:9]
	v_mul_f64 v[4:5], v[4:5], v[14:15]
	v_fma_f64 v[4:5], v[6:7], v[12:13], v[4:5]
	s_delay_alu instid0(VALU_DEP_3) | instskip(NEXT) | instid1(VALU_DEP_2)
	v_add_f64 v[12:13], v[16:17], v[8:9]
	v_add_f64 v[46:47], v[18:19], v[4:5]
	ds_load_b128 v[4:7], v25 offset:112
	ds_load_b128 v[8:11], v22 offset:3584
	;; [unrolled: 1-line block ×4, first 2 shown]
	s_waitcnt lgkmcnt(0)
	s_barrier
	buffer_gl0_inv
	v_mul_f64 v[14:15], v[6:7], v[10:11]
	v_mul_f64 v[16:17], v[4:5], v[10:11]
	s_delay_alu instid0(VALU_DEP_2) | instskip(NEXT) | instid1(VALU_DEP_2)
	v_fma_f64 v[14:15], v[4:5], v[8:9], -v[14:15]
	v_fma_f64 v[18:19], v[6:7], v[8:9], v[16:17]
	s_delay_alu instid0(VALU_DEP_2) | instskip(SKIP_1) | instid1(VALU_DEP_3)
	v_add_f64 v[16:17], v[34:35], v[14:15]
	v_mul_f64 v[14:15], v[6:7], v[28:29]
	v_add_f64 v[18:19], v[36:37], v[18:19]
	s_delay_alu instid0(VALU_DEP_2) | instskip(SKIP_1) | instid1(VALU_DEP_1)
	v_fma_f64 v[14:15], v[4:5], v[26:27], -v[14:15]
	v_mul_f64 v[4:5], v[4:5], v[28:29]
	v_fma_f64 v[4:5], v[6:7], v[26:27], v[4:5]
	s_delay_alu instid0(VALU_DEP_3) | instskip(SKIP_2) | instid1(VALU_DEP_4)
	v_add_f64 v[6:7], v[38:39], v[14:15]
	v_mul_f64 v[14:15], v[32:33], v[10:11]
	v_mul_f64 v[10:11], v[30:31], v[10:11]
	v_add_f64 v[4:5], v[40:41], v[4:5]
	s_delay_alu instid0(VALU_DEP_3) | instskip(NEXT) | instid1(VALU_DEP_3)
	v_fma_f64 v[14:15], v[30:31], v[8:9], -v[14:15]
	v_fma_f64 v[8:9], v[32:33], v[8:9], v[10:11]
	s_delay_alu instid0(VALU_DEP_2) | instskip(NEXT) | instid1(VALU_DEP_2)
	v_add_f64 v[14:15], v[42:43], v[14:15]
	v_add_f64 v[10:11], v[44:45], v[8:9]
	v_mul_f64 v[8:9], v[32:33], v[28:29]
	v_mul_f64 v[28:29], v[30:31], v[28:29]
	s_delay_alu instid0(VALU_DEP_2) | instskip(NEXT) | instid1(VALU_DEP_2)
	v_fma_f64 v[8:9], v[30:31], v[26:27], -v[8:9]
	v_fma_f64 v[26:27], v[32:33], v[26:27], v[28:29]
	s_delay_alu instid0(VALU_DEP_2) | instskip(NEXT) | instid1(VALU_DEP_2)
	v_add_f64 v[12:13], v[12:13], v[8:9]
	v_add_f64 v[8:9], v[46:47], v[26:27]
	s_cbranch_scc0 .LBB243_2
.LBB243_3:
	s_clause 0x1
	s_load_b32 s3, s[0:1], 0x40
	s_load_b64 s[0:1], s[0:1], 0x48
	v_add_nc_u32_e32 v21, s13, v21
	v_add_nc_u32_e32 v0, s12, v20
	s_delay_alu instid0(VALU_DEP_2)
	v_cmp_gt_i32_e32 vcc_lo, s2, v21
	s_waitcnt lgkmcnt(0)
	v_mad_i64_i32 v[1:2], null, v21, s3, 0
	s_mul_i32 s1, s15, s1
	s_mul_hi_u32 s4, s15, s0
	s_mul_i32 s0, s15, s0
	s_add_i32 s1, s4, s1
	s_delay_alu instid0(SALU_CYCLE_1) | instskip(NEXT) | instid1(VALU_DEP_1)
	s_lshl_b64 s[4:5], s[0:1], 4
	v_lshlrev_b64 v[1:2], 4, v[1:2]
	s_add_u32 s4, s6, s4
	v_cmp_le_i32_e64 s0, v0, v21
	s_addc_u32 s5, s7, s5
	s_delay_alu instid0(VALU_DEP_2) | instskip(NEXT) | instid1(VALU_DEP_1)
	v_add_co_u32 v20, s1, s4, v1
	v_add_co_ci_u32_e64 v22, s1, s5, v2, s1
	s_delay_alu instid0(VALU_DEP_3) | instskip(NEXT) | instid1(SALU_CYCLE_1)
	s_and_b32 s0, vcc_lo, s0
	s_and_saveexec_b32 s1, s0
	s_cbranch_execz .LBB243_5
; %bb.4:
	v_ashrrev_i32_e32 v1, 31, v0
	s_delay_alu instid0(VALU_DEP_1) | instskip(NEXT) | instid1(VALU_DEP_1)
	v_lshlrev_b64 v[1:2], 4, v[0:1]
	v_add_co_u32 v1, s0, v20, v1
	s_delay_alu instid0(VALU_DEP_1)
	v_add_co_ci_u32_e64 v2, s0, v22, v2, s0
	global_load_b128 v[23:26], v[1:2], off
	s_waitcnt vmcnt(0)
	v_add_f64 v[16:17], v[16:17], -v[23:24]
	v_add_f64 v[18:19], v[18:19], -v[25:26]
	global_store_b128 v[1:2], v[16:19], off
.LBB243_5:
	s_or_b32 exec_lo, exec_lo, s1
	v_add_nc_u32_e32 v2, 16, v0
	s_delay_alu instid0(VALU_DEP_1) | instskip(NEXT) | instid1(VALU_DEP_1)
	v_cmp_le_i32_e64 s0, v2, v21
	s_and_b32 s1, vcc_lo, s0
	s_delay_alu instid0(SALU_CYCLE_1)
	s_and_saveexec_b32 s0, s1
	s_cbranch_execz .LBB243_7
; %bb.6:
	v_ashrrev_i32_e32 v3, 31, v2
	s_delay_alu instid0(VALU_DEP_1) | instskip(NEXT) | instid1(VALU_DEP_1)
	v_lshlrev_b64 v[16:17], 4, v[2:3]
	v_add_co_u32 v23, vcc_lo, v20, v16
	s_delay_alu instid0(VALU_DEP_2)
	v_add_co_ci_u32_e32 v24, vcc_lo, v22, v17, vcc_lo
	global_load_b128 v[16:19], v[23:24], off
	s_waitcnt vmcnt(0)
	v_add_f64 v[16:17], v[6:7], -v[16:17]
	v_add_f64 v[18:19], v[4:5], -v[18:19]
	global_store_b128 v[23:24], v[16:19], off
.LBB243_7:
	s_or_b32 exec_lo, exec_lo, s0
	v_add_nc_u32_e32 v3, 16, v21
	s_delay_alu instid0(VALU_DEP_1) | instskip(SKIP_2) | instid1(VALU_DEP_1)
	v_mad_i64_i32 v[4:5], null, v3, s3, 0
	v_cmp_gt_i32_e32 vcc_lo, s2, v3
	v_cmp_le_i32_e64 s0, v0, v3
	s_and_b32 s0, vcc_lo, s0
	s_delay_alu instid0(VALU_DEP_3) | instskip(NEXT) | instid1(VALU_DEP_1)
	v_lshlrev_b64 v[4:5], 4, v[4:5]
	v_add_co_u32 v4, s1, s4, v4
	s_delay_alu instid0(VALU_DEP_1)
	v_add_co_ci_u32_e64 v5, s1, s5, v5, s1
	s_and_saveexec_b32 s1, s0
	s_cbranch_execz .LBB243_9
; %bb.8:
	v_ashrrev_i32_e32 v1, 31, v0
	s_delay_alu instid0(VALU_DEP_1) | instskip(NEXT) | instid1(VALU_DEP_1)
	v_lshlrev_b64 v[0:1], 4, v[0:1]
	v_add_co_u32 v0, s0, v4, v0
	s_delay_alu instid0(VALU_DEP_1)
	v_add_co_ci_u32_e64 v1, s0, v5, v1, s0
	global_load_b128 v[16:19], v[0:1], off
	s_waitcnt vmcnt(0)
	v_add_f64 v[14:15], v[14:15], -v[16:17]
	v_add_f64 v[16:17], v[10:11], -v[18:19]
	global_store_b128 v[0:1], v[14:17], off
.LBB243_9:
	s_or_b32 exec_lo, exec_lo, s1
	v_cmp_le_i32_e64 s0, v2, v3
	s_delay_alu instid0(VALU_DEP_1) | instskip(NEXT) | instid1(SALU_CYCLE_1)
	s_and_b32 s0, vcc_lo, s0
	s_and_saveexec_b32 s1, s0
	s_cbranch_execz .LBB243_11
; %bb.10:
	v_ashrrev_i32_e32 v3, 31, v2
	s_delay_alu instid0(VALU_DEP_1) | instskip(NEXT) | instid1(VALU_DEP_1)
	v_lshlrev_b64 v[0:1], 4, v[2:3]
	v_add_co_u32 v4, vcc_lo, v4, v0
	s_delay_alu instid0(VALU_DEP_2)
	v_add_co_ci_u32_e32 v5, vcc_lo, v5, v1, vcc_lo
	global_load_b128 v[0:3], v[4:5], off
	s_waitcnt vmcnt(0)
	v_add_f64 v[0:1], v[12:13], -v[0:1]
	v_add_f64 v[2:3], v[8:9], -v[2:3]
	global_store_b128 v[4:5], v[0:3], off
.LBB243_11:
	s_nop 0
	s_sendmsg sendmsg(MSG_DEALLOC_VGPRS)
	s_endpgm
	.section	.rodata,"a",@progbits
	.p2align	6, 0x0
	.amdhsa_kernel _ZL37rocblas_syrkx_herkx_restricted_kernelIi19rocblas_complex_numIdELi16ELi32ELi8ELi1ELin1ELb0ELc67ELc85EKS1_S1_EviT_PT9_S3_lS5_S3_lPT10_S3_li
		.amdhsa_group_segment_fixed_size 8192
		.amdhsa_private_segment_fixed_size 0
		.amdhsa_kernarg_size 84
		.amdhsa_user_sgpr_count 13
		.amdhsa_user_sgpr_dispatch_ptr 0
		.amdhsa_user_sgpr_queue_ptr 0
		.amdhsa_user_sgpr_kernarg_segment_ptr 1
		.amdhsa_user_sgpr_dispatch_id 0
		.amdhsa_user_sgpr_private_segment_size 0
		.amdhsa_wavefront_size32 1
		.amdhsa_uses_dynamic_stack 0
		.amdhsa_enable_private_segment 0
		.amdhsa_system_sgpr_workgroup_id_x 1
		.amdhsa_system_sgpr_workgroup_id_y 1
		.amdhsa_system_sgpr_workgroup_id_z 1
		.amdhsa_system_sgpr_workgroup_info 0
		.amdhsa_system_vgpr_workitem_id 1
		.amdhsa_next_free_vgpr 52
		.amdhsa_next_free_sgpr 20
		.amdhsa_reserve_vcc 1
		.amdhsa_float_round_mode_32 0
		.amdhsa_float_round_mode_16_64 0
		.amdhsa_float_denorm_mode_32 3
		.amdhsa_float_denorm_mode_16_64 3
		.amdhsa_dx10_clamp 1
		.amdhsa_ieee_mode 1
		.amdhsa_fp16_overflow 0
		.amdhsa_workgroup_processor_mode 1
		.amdhsa_memory_ordered 1
		.amdhsa_forward_progress 0
		.amdhsa_shared_vgpr_count 0
		.amdhsa_exception_fp_ieee_invalid_op 0
		.amdhsa_exception_fp_denorm_src 0
		.amdhsa_exception_fp_ieee_div_zero 0
		.amdhsa_exception_fp_ieee_overflow 0
		.amdhsa_exception_fp_ieee_underflow 0
		.amdhsa_exception_fp_ieee_inexact 0
		.amdhsa_exception_int_div_zero 0
	.end_amdhsa_kernel
	.section	.text._ZL37rocblas_syrkx_herkx_restricted_kernelIi19rocblas_complex_numIdELi16ELi32ELi8ELi1ELin1ELb0ELc67ELc85EKS1_S1_EviT_PT9_S3_lS5_S3_lPT10_S3_li,"axG",@progbits,_ZL37rocblas_syrkx_herkx_restricted_kernelIi19rocblas_complex_numIdELi16ELi32ELi8ELi1ELin1ELb0ELc67ELc85EKS1_S1_EviT_PT9_S3_lS5_S3_lPT10_S3_li,comdat
.Lfunc_end243:
	.size	_ZL37rocblas_syrkx_herkx_restricted_kernelIi19rocblas_complex_numIdELi16ELi32ELi8ELi1ELin1ELb0ELc67ELc85EKS1_S1_EviT_PT9_S3_lS5_S3_lPT10_S3_li, .Lfunc_end243-_ZL37rocblas_syrkx_herkx_restricted_kernelIi19rocblas_complex_numIdELi16ELi32ELi8ELi1ELin1ELb0ELc67ELc85EKS1_S1_EviT_PT9_S3_lS5_S3_lPT10_S3_li
                                        ; -- End function
	.section	.AMDGPU.csdata,"",@progbits
; Kernel info:
; codeLenInByte = 3288
; NumSgprs: 22
; NumVgprs: 52
; ScratchSize: 0
; MemoryBound: 0
; FloatMode: 240
; IeeeMode: 1
; LDSByteSize: 8192 bytes/workgroup (compile time only)
; SGPRBlocks: 2
; VGPRBlocks: 6
; NumSGPRsForWavesPerEU: 22
; NumVGPRsForWavesPerEU: 52
; Occupancy: 16
; WaveLimiterHint : 0
; COMPUTE_PGM_RSRC2:SCRATCH_EN: 0
; COMPUTE_PGM_RSRC2:USER_SGPR: 13
; COMPUTE_PGM_RSRC2:TRAP_HANDLER: 0
; COMPUTE_PGM_RSRC2:TGID_X_EN: 1
; COMPUTE_PGM_RSRC2:TGID_Y_EN: 1
; COMPUTE_PGM_RSRC2:TGID_Z_EN: 1
; COMPUTE_PGM_RSRC2:TIDIG_COMP_CNT: 1
	.section	.text._ZL37rocblas_syrkx_herkx_restricted_kernelIi19rocblas_complex_numIdELi16ELi32ELi8ELi1ELin1ELb0ELc78ELc85EKS1_S1_EviT_PT9_S3_lS5_S3_lPT10_S3_li,"axG",@progbits,_ZL37rocblas_syrkx_herkx_restricted_kernelIi19rocblas_complex_numIdELi16ELi32ELi8ELi1ELin1ELb0ELc78ELc85EKS1_S1_EviT_PT9_S3_lS5_S3_lPT10_S3_li,comdat
	.globl	_ZL37rocblas_syrkx_herkx_restricted_kernelIi19rocblas_complex_numIdELi16ELi32ELi8ELi1ELin1ELb0ELc78ELc85EKS1_S1_EviT_PT9_S3_lS5_S3_lPT10_S3_li ; -- Begin function _ZL37rocblas_syrkx_herkx_restricted_kernelIi19rocblas_complex_numIdELi16ELi32ELi8ELi1ELin1ELb0ELc78ELc85EKS1_S1_EviT_PT9_S3_lS5_S3_lPT10_S3_li
	.p2align	8
	.type	_ZL37rocblas_syrkx_herkx_restricted_kernelIi19rocblas_complex_numIdELi16ELi32ELi8ELi1ELin1ELb0ELc78ELc85EKS1_S1_EviT_PT9_S3_lS5_S3_lPT10_S3_li,@function
_ZL37rocblas_syrkx_herkx_restricted_kernelIi19rocblas_complex_numIdELi16ELi32ELi8ELi1ELin1ELb0ELc78ELc85EKS1_S1_EviT_PT9_S3_lS5_S3_lPT10_S3_li: ; @_ZL37rocblas_syrkx_herkx_restricted_kernelIi19rocblas_complex_numIdELi16ELi32ELi8ELi1ELin1ELb0ELc78ELc85EKS1_S1_EviT_PT9_S3_lS5_S3_lPT10_S3_li
; %bb.0:
	s_clause 0x1
	s_load_b64 s[2:3], s[0:1], 0x0
	s_load_b128 s[4:7], s[0:1], 0x30
	v_mov_b32_e32 v16, 0
	v_dual_mov_b32 v17, 0 :: v_dual_and_b32 v20, 0x3ff, v0
	v_bfe_u32 v21, v0, 10, 10
	s_delay_alu instid0(VALU_DEP_3) | instskip(NEXT) | instid1(VALU_DEP_3)
	v_mov_b32_e32 v6, v16
	v_dual_mov_b32 v4, v16 :: v_dual_mov_b32 v5, v17
	v_dual_mov_b32 v19, v17 :: v_dual_mov_b32 v18, v16
	;; [unrolled: 1-line block ×6, first 2 shown]
	v_mov_b32_e32 v9, v17
	s_lshl_b32 s12, s13, 5
	s_lshl_b32 s13, s14, 5
	s_waitcnt lgkmcnt(0)
	s_cmp_lt_i32 s3, 1
	s_mov_b32 s14, 0
	s_cbranch_scc1 .LBB244_3
; %bb.1:
	v_lshl_add_u32 v0, v21, 4, v20
	v_and_b32_e32 v6, 7, v20
	s_clause 0x3
	s_load_b32 s16, s[0:1], 0x10
	s_load_b32 s18, s[0:1], 0x28
	s_load_b128 s[8:11], s[0:1], 0x18
	s_load_b64 s[20:21], s[0:1], 0x8
	v_lshrrev_b32_e32 v1, 3, v0
	v_lshlrev_b32_e32 v3, 4, v6
	v_lshrrev_b32_e32 v7, 5, v0
	s_mul_i32 s5, s5, s15
	v_lshl_add_u32 v25, v21, 7, 0x1000
	s_delay_alu instid0(VALU_DEP_3) | instskip(NEXT) | instid1(VALU_DEP_1)
	v_lshl_or_b32 v8, v1, 7, v3
	v_dual_mov_b32 v8, 0 :: v_dual_add_nc_u32 v23, 0x1000, v8
	v_dual_mov_b32 v9, 0 :: v_dual_and_b32 v2, 31, v0
	v_add_nc_u32_e32 v0, s13, v1
	s_waitcnt lgkmcnt(0)
	s_ashr_i32 s17, s16, 31
	s_ashr_i32 s19, s18, 31
	v_mov_b32_e32 v11, v9
	v_dual_mov_b32 v13, v9 :: v_dual_lshlrev_b32 v4, 4, v2
	v_dual_mov_b32 v15, v9 :: v_dual_add_nc_u32 v2, s12, v2
	v_ashrrev_i32_e32 v1, 31, v0
	s_mul_i32 s9, s9, s15
	s_delay_alu instid0(VALU_DEP_3)
	v_lshl_or_b32 v22, v7, 9, v4
	s_mul_hi_u32 s22, s8, s15
	v_ashrrev_i32_e32 v3, 31, v2
	v_mad_i64_i32 v[4:5], null, s18, v6, v[0:1]
	s_add_i32 s9, s22, s9
	s_mul_i32 s8, s8, s15
	s_delay_alu instid0(VALU_DEP_2)
	v_mad_i64_i32 v[0:1], null, s16, v7, v[2:3]
	s_lshl_b64 s[8:9], s[8:9], 4
	v_dual_mov_b32 v10, v8 :: v_dual_mov_b32 v19, v9
	s_add_u32 s8, s20, s8
	s_addc_u32 s9, s21, s9
	s_mul_hi_u32 s20, s4, s15
	s_delay_alu instid0(VALU_DEP_2) | instskip(SKIP_4) | instid1(VALU_DEP_3)
	v_lshlrev_b64 v[0:1], 4, v[0:1]
	s_add_i32 s5, s20, s5
	s_mul_i32 s4, s4, s15
	v_dual_mov_b32 v14, v8 :: v_dual_mov_b32 v17, v9
	v_mov_b32_e32 v6, v8
	v_add_co_u32 v2, vcc_lo, s8, v0
	v_add_co_ci_u32_e32 v3, vcc_lo, s9, v1, vcc_lo
	v_lshlrev_b64 v[0:1], 4, v[4:5]
	s_lshl_b64 s[8:9], s[4:5], 4
	s_lshl_b64 s[4:5], s[16:17], 7
	s_add_u32 s8, s10, s8
	s_addc_u32 s9, s11, s9
	v_dual_mov_b32 v7, v9 :: v_dual_lshlrev_b32 v24, 4, v20
	v_add_co_u32 v4, vcc_lo, s8, v0
	v_add_co_ci_u32_e32 v5, vcc_lo, s9, v1, vcc_lo
	v_add_co_u32 v0, vcc_lo, v2, 8
	v_add_co_ci_u32_e32 v1, vcc_lo, 0, v3, vcc_lo
	s_delay_alu instid0(VALU_DEP_4) | instskip(NEXT) | instid1(VALU_DEP_4)
	v_add_co_u32 v2, vcc_lo, v4, 8
	v_add_co_ci_u32_e32 v3, vcc_lo, 0, v5, vcc_lo
	v_mov_b32_e32 v4, v8
	v_dual_mov_b32 v12, v8 :: v_dual_mov_b32 v5, v9
	v_mov_b32_e32 v18, v8
	v_mov_b32_e32 v16, v8
	s_lshl_b64 s[8:9], s[18:19], 7
.LBB244_2:                              ; =>This Inner Loop Header: Depth=1
	global_load_b128 v[26:29], v[0:1], off offset:-8
	v_add_co_u32 v0, vcc_lo, v0, s4
	v_add_co_ci_u32_e32 v1, vcc_lo, s5, v1, vcc_lo
	s_add_i32 s14, s14, 8
	s_delay_alu instid0(SALU_CYCLE_1)
	s_cmp_ge_i32 s14, s3
	s_waitcnt vmcnt(0)
	ds_store_b128 v22, v[26:29]
	global_load_b128 v[26:29], v[2:3], off offset:-8
	v_add_co_u32 v2, vcc_lo, v2, s8
	v_add_co_ci_u32_e32 v3, vcc_lo, s9, v3, vcc_lo
	s_waitcnt vmcnt(0)
	ds_store_b128 v23, v[26:29]
	s_waitcnt lgkmcnt(0)
	s_barrier
	buffer_gl0_inv
	ds_load_b128 v[26:29], v25
	ds_load_b128 v[30:33], v25 offset:16
	ds_load_b128 v[34:37], v25 offset:32
	;; [unrolled: 1-line block ×3, first 2 shown]
	ds_load_b128 v[42:45], v24
	s_waitcnt lgkmcnt(0)
	v_mul_f64 v[46:47], v[28:29], v[44:45]
	v_mul_f64 v[48:49], v[26:27], v[44:45]
	s_delay_alu instid0(VALU_DEP_2) | instskip(NEXT) | instid1(VALU_DEP_2)
	v_fma_f64 v[46:47], v[26:27], v[42:43], -v[46:47]
	v_fma_f64 v[48:49], v[28:29], v[42:43], v[48:49]
	s_delay_alu instid0(VALU_DEP_2) | instskip(NEXT) | instid1(VALU_DEP_2)
	v_add_f64 v[46:47], v[16:17], v[46:47]
	v_add_f64 v[48:49], v[18:19], v[48:49]
	ds_load_b128 v[16:19], v24 offset:256
	s_waitcnt lgkmcnt(0)
	v_mul_f64 v[50:51], v[28:29], v[18:19]
	s_delay_alu instid0(VALU_DEP_1) | instskip(SKIP_1) | instid1(VALU_DEP_1)
	v_fma_f64 v[50:51], v[26:27], v[16:17], -v[50:51]
	v_mul_f64 v[26:27], v[26:27], v[18:19]
	v_fma_f64 v[26:27], v[28:29], v[16:17], v[26:27]
	s_delay_alu instid0(VALU_DEP_3) | instskip(NEXT) | instid1(VALU_DEP_2)
	v_add_f64 v[28:29], v[6:7], v[50:51]
	v_add_f64 v[26:27], v[4:5], v[26:27]
	ds_load_b128 v[4:7], v25 offset:2048
	s_waitcnt lgkmcnt(0)
	v_mul_f64 v[50:51], v[6:7], v[44:45]
	v_mul_f64 v[44:45], v[4:5], v[44:45]
	s_delay_alu instid0(VALU_DEP_2) | instskip(NEXT) | instid1(VALU_DEP_2)
	v_fma_f64 v[50:51], v[4:5], v[42:43], -v[50:51]
	v_fma_f64 v[42:43], v[6:7], v[42:43], v[44:45]
	s_delay_alu instid0(VALU_DEP_2) | instskip(NEXT) | instid1(VALU_DEP_2)
	v_add_f64 v[44:45], v[14:15], v[50:51]
	v_add_f64 v[42:43], v[10:11], v[42:43]
	v_mul_f64 v[10:11], v[6:7], v[18:19]
	s_delay_alu instid0(VALU_DEP_1) | instskip(SKIP_1) | instid1(VALU_DEP_1)
	v_fma_f64 v[10:11], v[4:5], v[16:17], -v[10:11]
	v_mul_f64 v[4:5], v[4:5], v[18:19]
	v_fma_f64 v[4:5], v[6:7], v[16:17], v[4:5]
	s_delay_alu instid0(VALU_DEP_3) | instskip(NEXT) | instid1(VALU_DEP_2)
	v_add_f64 v[16:17], v[12:13], v[10:11]
	v_add_f64 v[18:19], v[8:9], v[4:5]
	ds_load_b128 v[4:7], v24 offset:512
	s_waitcnt lgkmcnt(0)
	v_mul_f64 v[8:9], v[32:33], v[6:7]
	v_mul_f64 v[10:11], v[30:31], v[6:7]
	s_delay_alu instid0(VALU_DEP_2) | instskip(NEXT) | instid1(VALU_DEP_2)
	v_fma_f64 v[8:9], v[30:31], v[4:5], -v[8:9]
	v_fma_f64 v[10:11], v[32:33], v[4:5], v[10:11]
	s_delay_alu instid0(VALU_DEP_2) | instskip(NEXT) | instid1(VALU_DEP_2)
	v_add_f64 v[46:47], v[46:47], v[8:9]
	v_add_f64 v[48:49], v[48:49], v[10:11]
	ds_load_b128 v[8:11], v24 offset:768
	s_waitcnt lgkmcnt(0)
	v_mul_f64 v[12:13], v[32:33], v[10:11]
	v_mul_f64 v[14:15], v[30:31], v[10:11]
	s_delay_alu instid0(VALU_DEP_2) | instskip(NEXT) | instid1(VALU_DEP_2)
	v_fma_f64 v[12:13], v[30:31], v[8:9], -v[12:13]
	v_fma_f64 v[14:15], v[32:33], v[8:9], v[14:15]
	s_delay_alu instid0(VALU_DEP_2) | instskip(NEXT) | instid1(VALU_DEP_2)
	v_add_f64 v[28:29], v[28:29], v[12:13]
	v_add_f64 v[26:27], v[26:27], v[14:15]
	ds_load_b128 v[12:15], v25 offset:2064
	s_waitcnt lgkmcnt(0)
	v_mul_f64 v[30:31], v[14:15], v[6:7]
	v_mul_f64 v[6:7], v[12:13], v[6:7]
	s_delay_alu instid0(VALU_DEP_2) | instskip(NEXT) | instid1(VALU_DEP_2)
	v_fma_f64 v[30:31], v[12:13], v[4:5], -v[30:31]
	v_fma_f64 v[4:5], v[14:15], v[4:5], v[6:7]
	v_mul_f64 v[6:7], v[12:13], v[10:11]
	s_delay_alu instid0(VALU_DEP_3) | instskip(NEXT) | instid1(VALU_DEP_3)
	v_add_f64 v[30:31], v[44:45], v[30:31]
	v_add_f64 v[32:33], v[42:43], v[4:5]
	v_mul_f64 v[4:5], v[14:15], v[10:11]
	s_delay_alu instid0(VALU_DEP_4) | instskip(NEXT) | instid1(VALU_DEP_2)
	v_fma_f64 v[6:7], v[14:15], v[8:9], v[6:7]
	v_fma_f64 v[4:5], v[12:13], v[8:9], -v[4:5]
	s_delay_alu instid0(VALU_DEP_2) | instskip(NEXT) | instid1(VALU_DEP_2)
	v_add_f64 v[18:19], v[18:19], v[6:7]
	v_add_f64 v[16:17], v[16:17], v[4:5]
	ds_load_b128 v[4:7], v24 offset:1024
	s_waitcnt lgkmcnt(0)
	v_mul_f64 v[8:9], v[36:37], v[6:7]
	v_mul_f64 v[10:11], v[34:35], v[6:7]
	s_delay_alu instid0(VALU_DEP_2) | instskip(NEXT) | instid1(VALU_DEP_2)
	v_fma_f64 v[8:9], v[34:35], v[4:5], -v[8:9]
	v_fma_f64 v[10:11], v[36:37], v[4:5], v[10:11]
	s_delay_alu instid0(VALU_DEP_2) | instskip(NEXT) | instid1(VALU_DEP_2)
	v_add_f64 v[42:43], v[46:47], v[8:9]
	v_add_f64 v[44:45], v[48:49], v[10:11]
	ds_load_b128 v[8:11], v24 offset:1280
	s_waitcnt lgkmcnt(0)
	v_mul_f64 v[12:13], v[36:37], v[10:11]
	v_mul_f64 v[14:15], v[34:35], v[10:11]
	s_delay_alu instid0(VALU_DEP_2) | instskip(NEXT) | instid1(VALU_DEP_2)
	v_fma_f64 v[12:13], v[34:35], v[8:9], -v[12:13]
	v_fma_f64 v[14:15], v[36:37], v[8:9], v[14:15]
	s_delay_alu instid0(VALU_DEP_2) | instskip(NEXT) | instid1(VALU_DEP_2)
	v_add_f64 v[28:29], v[28:29], v[12:13]
	v_add_f64 v[26:27], v[26:27], v[14:15]
	ds_load_b128 v[12:15], v25 offset:2080
	s_waitcnt lgkmcnt(0)
	v_mul_f64 v[34:35], v[14:15], v[6:7]
	v_mul_f64 v[6:7], v[12:13], v[6:7]
	s_delay_alu instid0(VALU_DEP_2) | instskip(NEXT) | instid1(VALU_DEP_2)
	v_fma_f64 v[34:35], v[12:13], v[4:5], -v[34:35]
	v_fma_f64 v[4:5], v[14:15], v[4:5], v[6:7]
	v_mul_f64 v[6:7], v[12:13], v[10:11]
	s_delay_alu instid0(VALU_DEP_3) | instskip(NEXT) | instid1(VALU_DEP_3)
	v_add_f64 v[30:31], v[30:31], v[34:35]
	v_add_f64 v[32:33], v[32:33], v[4:5]
	v_mul_f64 v[4:5], v[14:15], v[10:11]
	s_delay_alu instid0(VALU_DEP_4) | instskip(NEXT) | instid1(VALU_DEP_2)
	v_fma_f64 v[6:7], v[14:15], v[8:9], v[6:7]
	v_fma_f64 v[4:5], v[12:13], v[8:9], -v[4:5]
	s_delay_alu instid0(VALU_DEP_2) | instskip(NEXT) | instid1(VALU_DEP_2)
	;; [unrolled: 38-line block ×3, first 2 shown]
	v_add_f64 v[18:19], v[18:19], v[6:7]
	v_add_f64 v[16:17], v[16:17], v[4:5]
	ds_load_b128 v[4:7], v25 offset:64
	ds_load_b128 v[8:11], v24 offset:2048
	s_waitcnt lgkmcnt(0)
	v_mul_f64 v[12:13], v[6:7], v[10:11]
	v_mul_f64 v[14:15], v[4:5], v[10:11]
	s_delay_alu instid0(VALU_DEP_2) | instskip(NEXT) | instid1(VALU_DEP_2)
	v_fma_f64 v[12:13], v[4:5], v[8:9], -v[12:13]
	v_fma_f64 v[14:15], v[6:7], v[8:9], v[14:15]
	s_delay_alu instid0(VALU_DEP_2) | instskip(NEXT) | instid1(VALU_DEP_2)
	v_add_f64 v[34:35], v[34:35], v[12:13]
	v_add_f64 v[36:37], v[36:37], v[14:15]
	ds_load_b128 v[12:15], v24 offset:2304
	s_waitcnt lgkmcnt(0)
	v_mul_f64 v[38:39], v[6:7], v[14:15]
	s_delay_alu instid0(VALU_DEP_1) | instskip(SKIP_1) | instid1(VALU_DEP_2)
	v_fma_f64 v[38:39], v[4:5], v[12:13], -v[38:39]
	v_mul_f64 v[4:5], v[4:5], v[14:15]
	v_add_f64 v[28:29], v[28:29], v[38:39]
	s_delay_alu instid0(VALU_DEP_2) | instskip(NEXT) | instid1(VALU_DEP_1)
	v_fma_f64 v[4:5], v[6:7], v[12:13], v[4:5]
	v_add_f64 v[26:27], v[26:27], v[4:5]
	ds_load_b128 v[4:7], v25 offset:2112
	s_waitcnt lgkmcnt(0)
	v_mul_f64 v[38:39], v[6:7], v[10:11]
	v_mul_f64 v[10:11], v[4:5], v[10:11]
	s_delay_alu instid0(VALU_DEP_2) | instskip(NEXT) | instid1(VALU_DEP_2)
	v_fma_f64 v[38:39], v[4:5], v[8:9], -v[38:39]
	v_fma_f64 v[8:9], v[6:7], v[8:9], v[10:11]
	s_delay_alu instid0(VALU_DEP_2) | instskip(NEXT) | instid1(VALU_DEP_2)
	v_add_f64 v[30:31], v[30:31], v[38:39]
	v_add_f64 v[32:33], v[32:33], v[8:9]
	v_mul_f64 v[8:9], v[6:7], v[14:15]
	s_delay_alu instid0(VALU_DEP_1) | instskip(SKIP_1) | instid1(VALU_DEP_2)
	v_fma_f64 v[8:9], v[4:5], v[12:13], -v[8:9]
	v_mul_f64 v[4:5], v[4:5], v[14:15]
	v_add_f64 v[16:17], v[16:17], v[8:9]
	s_delay_alu instid0(VALU_DEP_2) | instskip(NEXT) | instid1(VALU_DEP_1)
	v_fma_f64 v[4:5], v[6:7], v[12:13], v[4:5]
	v_add_f64 v[18:19], v[18:19], v[4:5]
	ds_load_b128 v[4:7], v25 offset:80
	ds_load_b128 v[8:11], v24 offset:2560
	s_waitcnt lgkmcnt(0)
	v_mul_f64 v[12:13], v[6:7], v[10:11]
	v_mul_f64 v[14:15], v[4:5], v[10:11]
	s_delay_alu instid0(VALU_DEP_2) | instskip(NEXT) | instid1(VALU_DEP_2)
	v_fma_f64 v[12:13], v[4:5], v[8:9], -v[12:13]
	v_fma_f64 v[14:15], v[6:7], v[8:9], v[14:15]
	s_delay_alu instid0(VALU_DEP_2) | instskip(NEXT) | instid1(VALU_DEP_2)
	v_add_f64 v[34:35], v[34:35], v[12:13]
	v_add_f64 v[36:37], v[36:37], v[14:15]
	ds_load_b128 v[12:15], v24 offset:2816
	s_waitcnt lgkmcnt(0)
	v_mul_f64 v[38:39], v[6:7], v[14:15]
	s_delay_alu instid0(VALU_DEP_1) | instskip(SKIP_1) | instid1(VALU_DEP_2)
	v_fma_f64 v[38:39], v[4:5], v[12:13], -v[38:39]
	v_mul_f64 v[4:5], v[4:5], v[14:15]
	v_add_f64 v[28:29], v[28:29], v[38:39]
	s_delay_alu instid0(VALU_DEP_2) | instskip(NEXT) | instid1(VALU_DEP_1)
	v_fma_f64 v[4:5], v[6:7], v[12:13], v[4:5]
	v_add_f64 v[26:27], v[26:27], v[4:5]
	ds_load_b128 v[4:7], v25 offset:2128
	s_waitcnt lgkmcnt(0)
	v_mul_f64 v[38:39], v[6:7], v[10:11]
	v_mul_f64 v[10:11], v[4:5], v[10:11]
	s_delay_alu instid0(VALU_DEP_2) | instskip(NEXT) | instid1(VALU_DEP_2)
	v_fma_f64 v[38:39], v[4:5], v[8:9], -v[38:39]
	v_fma_f64 v[8:9], v[6:7], v[8:9], v[10:11]
	s_delay_alu instid0(VALU_DEP_2) | instskip(NEXT) | instid1(VALU_DEP_2)
	v_add_f64 v[30:31], v[30:31], v[38:39]
	v_add_f64 v[32:33], v[32:33], v[8:9]
	v_mul_f64 v[8:9], v[6:7], v[14:15]
	s_delay_alu instid0(VALU_DEP_1) | instskip(SKIP_1) | instid1(VALU_DEP_2)
	v_fma_f64 v[8:9], v[4:5], v[12:13], -v[8:9]
	v_mul_f64 v[4:5], v[4:5], v[14:15]
	v_add_f64 v[16:17], v[16:17], v[8:9]
	s_delay_alu instid0(VALU_DEP_2) | instskip(NEXT) | instid1(VALU_DEP_1)
	v_fma_f64 v[4:5], v[6:7], v[12:13], v[4:5]
	v_add_f64 v[18:19], v[18:19], v[4:5]
	ds_load_b128 v[4:7], v25 offset:96
	ds_load_b128 v[8:11], v24 offset:3072
	s_waitcnt lgkmcnt(0)
	v_mul_f64 v[12:13], v[6:7], v[10:11]
	v_mul_f64 v[14:15], v[4:5], v[10:11]
	s_delay_alu instid0(VALU_DEP_2) | instskip(NEXT) | instid1(VALU_DEP_2)
	v_fma_f64 v[12:13], v[4:5], v[8:9], -v[12:13]
	v_fma_f64 v[14:15], v[6:7], v[8:9], v[14:15]
	s_delay_alu instid0(VALU_DEP_2) | instskip(NEXT) | instid1(VALU_DEP_2)
	v_add_f64 v[34:35], v[34:35], v[12:13]
	v_add_f64 v[36:37], v[36:37], v[14:15]
	ds_load_b128 v[12:15], v24 offset:3328
	s_waitcnt lgkmcnt(0)
	v_mul_f64 v[38:39], v[6:7], v[14:15]
	s_delay_alu instid0(VALU_DEP_1) | instskip(SKIP_1) | instid1(VALU_DEP_2)
	v_fma_f64 v[38:39], v[4:5], v[12:13], -v[38:39]
	v_mul_f64 v[4:5], v[4:5], v[14:15]
	v_add_f64 v[38:39], v[28:29], v[38:39]
	s_delay_alu instid0(VALU_DEP_2) | instskip(NEXT) | instid1(VALU_DEP_1)
	v_fma_f64 v[4:5], v[6:7], v[12:13], v[4:5]
	v_add_f64 v[40:41], v[26:27], v[4:5]
	ds_load_b128 v[4:7], v25 offset:2144
	s_waitcnt lgkmcnt(0)
	v_mul_f64 v[26:27], v[6:7], v[10:11]
	v_mul_f64 v[10:11], v[4:5], v[10:11]
	s_delay_alu instid0(VALU_DEP_2) | instskip(NEXT) | instid1(VALU_DEP_2)
	v_fma_f64 v[26:27], v[4:5], v[8:9], -v[26:27]
	v_fma_f64 v[8:9], v[6:7], v[8:9], v[10:11]
	s_delay_alu instid0(VALU_DEP_2) | instskip(NEXT) | instid1(VALU_DEP_2)
	v_add_f64 v[42:43], v[30:31], v[26:27]
	v_add_f64 v[44:45], v[32:33], v[8:9]
	v_mul_f64 v[8:9], v[6:7], v[14:15]
	s_delay_alu instid0(VALU_DEP_1) | instskip(SKIP_1) | instid1(VALU_DEP_1)
	v_fma_f64 v[8:9], v[4:5], v[12:13], -v[8:9]
	v_mul_f64 v[4:5], v[4:5], v[14:15]
	v_fma_f64 v[4:5], v[6:7], v[12:13], v[4:5]
	s_delay_alu instid0(VALU_DEP_3) | instskip(NEXT) | instid1(VALU_DEP_2)
	v_add_f64 v[12:13], v[16:17], v[8:9]
	v_add_f64 v[46:47], v[18:19], v[4:5]
	ds_load_b128 v[4:7], v25 offset:112
	ds_load_b128 v[8:11], v24 offset:3584
	;; [unrolled: 1-line block ×4, first 2 shown]
	s_waitcnt lgkmcnt(0)
	s_barrier
	buffer_gl0_inv
	v_mul_f64 v[14:15], v[6:7], v[10:11]
	v_mul_f64 v[16:17], v[4:5], v[10:11]
	s_delay_alu instid0(VALU_DEP_2) | instskip(NEXT) | instid1(VALU_DEP_2)
	v_fma_f64 v[14:15], v[4:5], v[8:9], -v[14:15]
	v_fma_f64 v[18:19], v[6:7], v[8:9], v[16:17]
	s_delay_alu instid0(VALU_DEP_2) | instskip(SKIP_1) | instid1(VALU_DEP_3)
	v_add_f64 v[16:17], v[34:35], v[14:15]
	v_mul_f64 v[14:15], v[6:7], v[28:29]
	v_add_f64 v[18:19], v[36:37], v[18:19]
	s_delay_alu instid0(VALU_DEP_2) | instskip(SKIP_1) | instid1(VALU_DEP_1)
	v_fma_f64 v[14:15], v[4:5], v[26:27], -v[14:15]
	v_mul_f64 v[4:5], v[4:5], v[28:29]
	v_fma_f64 v[4:5], v[6:7], v[26:27], v[4:5]
	s_delay_alu instid0(VALU_DEP_3) | instskip(SKIP_2) | instid1(VALU_DEP_4)
	v_add_f64 v[6:7], v[38:39], v[14:15]
	v_mul_f64 v[14:15], v[32:33], v[10:11]
	v_mul_f64 v[10:11], v[30:31], v[10:11]
	v_add_f64 v[4:5], v[40:41], v[4:5]
	s_delay_alu instid0(VALU_DEP_3) | instskip(NEXT) | instid1(VALU_DEP_3)
	v_fma_f64 v[14:15], v[30:31], v[8:9], -v[14:15]
	v_fma_f64 v[8:9], v[32:33], v[8:9], v[10:11]
	s_delay_alu instid0(VALU_DEP_2) | instskip(NEXT) | instid1(VALU_DEP_2)
	v_add_f64 v[14:15], v[42:43], v[14:15]
	v_add_f64 v[10:11], v[44:45], v[8:9]
	v_mul_f64 v[8:9], v[32:33], v[28:29]
	v_mul_f64 v[28:29], v[30:31], v[28:29]
	s_delay_alu instid0(VALU_DEP_2) | instskip(NEXT) | instid1(VALU_DEP_2)
	v_fma_f64 v[8:9], v[30:31], v[26:27], -v[8:9]
	v_fma_f64 v[26:27], v[32:33], v[26:27], v[28:29]
	s_delay_alu instid0(VALU_DEP_2) | instskip(NEXT) | instid1(VALU_DEP_2)
	v_add_f64 v[12:13], v[12:13], v[8:9]
	v_add_f64 v[8:9], v[46:47], v[26:27]
	s_cbranch_scc0 .LBB244_2
.LBB244_3:
	s_clause 0x1
	s_load_b32 s3, s[0:1], 0x40
	s_load_b64 s[0:1], s[0:1], 0x48
	v_add_nc_u32_e32 v21, s13, v21
	v_add_nc_u32_e32 v0, s12, v20
	s_delay_alu instid0(VALU_DEP_2)
	v_cmp_gt_i32_e32 vcc_lo, s2, v21
	s_waitcnt lgkmcnt(0)
	v_mad_i64_i32 v[1:2], null, v21, s3, 0
	s_mul_i32 s1, s15, s1
	s_mul_hi_u32 s4, s15, s0
	s_mul_i32 s0, s15, s0
	s_add_i32 s1, s4, s1
	s_delay_alu instid0(SALU_CYCLE_1) | instskip(NEXT) | instid1(VALU_DEP_1)
	s_lshl_b64 s[4:5], s[0:1], 4
	v_lshlrev_b64 v[1:2], 4, v[1:2]
	s_add_u32 s4, s6, s4
	v_cmp_le_i32_e64 s0, v0, v21
	s_addc_u32 s5, s7, s5
	s_delay_alu instid0(VALU_DEP_2) | instskip(NEXT) | instid1(VALU_DEP_1)
	v_add_co_u32 v20, s1, s4, v1
	v_add_co_ci_u32_e64 v22, s1, s5, v2, s1
	s_delay_alu instid0(VALU_DEP_3) | instskip(NEXT) | instid1(SALU_CYCLE_1)
	s_and_b32 s0, vcc_lo, s0
	s_and_saveexec_b32 s1, s0
	s_cbranch_execz .LBB244_5
; %bb.4:
	v_ashrrev_i32_e32 v1, 31, v0
	s_delay_alu instid0(VALU_DEP_1) | instskip(NEXT) | instid1(VALU_DEP_1)
	v_lshlrev_b64 v[1:2], 4, v[0:1]
	v_add_co_u32 v1, s0, v20, v1
	s_delay_alu instid0(VALU_DEP_1)
	v_add_co_ci_u32_e64 v2, s0, v22, v2, s0
	global_load_b128 v[23:26], v[1:2], off
	s_waitcnt vmcnt(0)
	v_add_f64 v[16:17], v[16:17], -v[23:24]
	v_add_f64 v[18:19], v[18:19], -v[25:26]
	global_store_b128 v[1:2], v[16:19], off
.LBB244_5:
	s_or_b32 exec_lo, exec_lo, s1
	v_add_nc_u32_e32 v2, 16, v0
	s_delay_alu instid0(VALU_DEP_1) | instskip(NEXT) | instid1(VALU_DEP_1)
	v_cmp_le_i32_e64 s0, v2, v21
	s_and_b32 s1, vcc_lo, s0
	s_delay_alu instid0(SALU_CYCLE_1)
	s_and_saveexec_b32 s0, s1
	s_cbranch_execz .LBB244_7
; %bb.6:
	v_ashrrev_i32_e32 v3, 31, v2
	s_delay_alu instid0(VALU_DEP_1) | instskip(NEXT) | instid1(VALU_DEP_1)
	v_lshlrev_b64 v[16:17], 4, v[2:3]
	v_add_co_u32 v23, vcc_lo, v20, v16
	s_delay_alu instid0(VALU_DEP_2)
	v_add_co_ci_u32_e32 v24, vcc_lo, v22, v17, vcc_lo
	global_load_b128 v[16:19], v[23:24], off
	s_waitcnt vmcnt(0)
	v_add_f64 v[16:17], v[6:7], -v[16:17]
	v_add_f64 v[18:19], v[4:5], -v[18:19]
	global_store_b128 v[23:24], v[16:19], off
.LBB244_7:
	s_or_b32 exec_lo, exec_lo, s0
	v_add_nc_u32_e32 v3, 16, v21
	s_delay_alu instid0(VALU_DEP_1) | instskip(SKIP_2) | instid1(VALU_DEP_1)
	v_mad_i64_i32 v[4:5], null, v3, s3, 0
	v_cmp_gt_i32_e32 vcc_lo, s2, v3
	v_cmp_le_i32_e64 s0, v0, v3
	s_and_b32 s0, vcc_lo, s0
	s_delay_alu instid0(VALU_DEP_3) | instskip(NEXT) | instid1(VALU_DEP_1)
	v_lshlrev_b64 v[4:5], 4, v[4:5]
	v_add_co_u32 v4, s1, s4, v4
	s_delay_alu instid0(VALU_DEP_1)
	v_add_co_ci_u32_e64 v5, s1, s5, v5, s1
	s_and_saveexec_b32 s1, s0
	s_cbranch_execz .LBB244_9
; %bb.8:
	v_ashrrev_i32_e32 v1, 31, v0
	s_delay_alu instid0(VALU_DEP_1) | instskip(NEXT) | instid1(VALU_DEP_1)
	v_lshlrev_b64 v[0:1], 4, v[0:1]
	v_add_co_u32 v0, s0, v4, v0
	s_delay_alu instid0(VALU_DEP_1)
	v_add_co_ci_u32_e64 v1, s0, v5, v1, s0
	global_load_b128 v[16:19], v[0:1], off
	s_waitcnt vmcnt(0)
	v_add_f64 v[14:15], v[14:15], -v[16:17]
	v_add_f64 v[16:17], v[10:11], -v[18:19]
	global_store_b128 v[0:1], v[14:17], off
.LBB244_9:
	s_or_b32 exec_lo, exec_lo, s1
	v_cmp_le_i32_e64 s0, v2, v3
	s_delay_alu instid0(VALU_DEP_1) | instskip(NEXT) | instid1(SALU_CYCLE_1)
	s_and_b32 s0, vcc_lo, s0
	s_and_saveexec_b32 s1, s0
	s_cbranch_execz .LBB244_11
; %bb.10:
	v_ashrrev_i32_e32 v3, 31, v2
	s_delay_alu instid0(VALU_DEP_1) | instskip(NEXT) | instid1(VALU_DEP_1)
	v_lshlrev_b64 v[0:1], 4, v[2:3]
	v_add_co_u32 v4, vcc_lo, v4, v0
	s_delay_alu instid0(VALU_DEP_2)
	v_add_co_ci_u32_e32 v5, vcc_lo, v5, v1, vcc_lo
	global_load_b128 v[0:3], v[4:5], off
	s_waitcnt vmcnt(0)
	v_add_f64 v[0:1], v[12:13], -v[0:1]
	v_add_f64 v[2:3], v[8:9], -v[2:3]
	global_store_b128 v[4:5], v[0:3], off
.LBB244_11:
	s_nop 0
	s_sendmsg sendmsg(MSG_DEALLOC_VGPRS)
	s_endpgm
	.section	.rodata,"a",@progbits
	.p2align	6, 0x0
	.amdhsa_kernel _ZL37rocblas_syrkx_herkx_restricted_kernelIi19rocblas_complex_numIdELi16ELi32ELi8ELi1ELin1ELb0ELc78ELc85EKS1_S1_EviT_PT9_S3_lS5_S3_lPT10_S3_li
		.amdhsa_group_segment_fixed_size 8192
		.amdhsa_private_segment_fixed_size 0
		.amdhsa_kernarg_size 84
		.amdhsa_user_sgpr_count 13
		.amdhsa_user_sgpr_dispatch_ptr 0
		.amdhsa_user_sgpr_queue_ptr 0
		.amdhsa_user_sgpr_kernarg_segment_ptr 1
		.amdhsa_user_sgpr_dispatch_id 0
		.amdhsa_user_sgpr_private_segment_size 0
		.amdhsa_wavefront_size32 1
		.amdhsa_uses_dynamic_stack 0
		.amdhsa_enable_private_segment 0
		.amdhsa_system_sgpr_workgroup_id_x 1
		.amdhsa_system_sgpr_workgroup_id_y 1
		.amdhsa_system_sgpr_workgroup_id_z 1
		.amdhsa_system_sgpr_workgroup_info 0
		.amdhsa_system_vgpr_workitem_id 1
		.amdhsa_next_free_vgpr 52
		.amdhsa_next_free_sgpr 23
		.amdhsa_reserve_vcc 1
		.amdhsa_float_round_mode_32 0
		.amdhsa_float_round_mode_16_64 0
		.amdhsa_float_denorm_mode_32 3
		.amdhsa_float_denorm_mode_16_64 3
		.amdhsa_dx10_clamp 1
		.amdhsa_ieee_mode 1
		.amdhsa_fp16_overflow 0
		.amdhsa_workgroup_processor_mode 1
		.amdhsa_memory_ordered 1
		.amdhsa_forward_progress 0
		.amdhsa_shared_vgpr_count 0
		.amdhsa_exception_fp_ieee_invalid_op 0
		.amdhsa_exception_fp_denorm_src 0
		.amdhsa_exception_fp_ieee_div_zero 0
		.amdhsa_exception_fp_ieee_overflow 0
		.amdhsa_exception_fp_ieee_underflow 0
		.amdhsa_exception_fp_ieee_inexact 0
		.amdhsa_exception_int_div_zero 0
	.end_amdhsa_kernel
	.section	.text._ZL37rocblas_syrkx_herkx_restricted_kernelIi19rocblas_complex_numIdELi16ELi32ELi8ELi1ELin1ELb0ELc78ELc85EKS1_S1_EviT_PT9_S3_lS5_S3_lPT10_S3_li,"axG",@progbits,_ZL37rocblas_syrkx_herkx_restricted_kernelIi19rocblas_complex_numIdELi16ELi32ELi8ELi1ELin1ELb0ELc78ELc85EKS1_S1_EviT_PT9_S3_lS5_S3_lPT10_S3_li,comdat
.Lfunc_end244:
	.size	_ZL37rocblas_syrkx_herkx_restricted_kernelIi19rocblas_complex_numIdELi16ELi32ELi8ELi1ELin1ELb0ELc78ELc85EKS1_S1_EviT_PT9_S3_lS5_S3_lPT10_S3_li, .Lfunc_end244-_ZL37rocblas_syrkx_herkx_restricted_kernelIi19rocblas_complex_numIdELi16ELi32ELi8ELi1ELin1ELb0ELc78ELc85EKS1_S1_EviT_PT9_S3_lS5_S3_lPT10_S3_li
                                        ; -- End function
	.section	.AMDGPU.csdata,"",@progbits
; Kernel info:
; codeLenInByte = 3300
; NumSgprs: 25
; NumVgprs: 52
; ScratchSize: 0
; MemoryBound: 0
; FloatMode: 240
; IeeeMode: 1
; LDSByteSize: 8192 bytes/workgroup (compile time only)
; SGPRBlocks: 3
; VGPRBlocks: 6
; NumSGPRsForWavesPerEU: 25
; NumVGPRsForWavesPerEU: 52
; Occupancy: 16
; WaveLimiterHint : 0
; COMPUTE_PGM_RSRC2:SCRATCH_EN: 0
; COMPUTE_PGM_RSRC2:USER_SGPR: 13
; COMPUTE_PGM_RSRC2:TRAP_HANDLER: 0
; COMPUTE_PGM_RSRC2:TGID_X_EN: 1
; COMPUTE_PGM_RSRC2:TGID_Y_EN: 1
; COMPUTE_PGM_RSRC2:TGID_Z_EN: 1
; COMPUTE_PGM_RSRC2:TIDIG_COMP_CNT: 1
	.section	.text._ZL37rocblas_syrkx_herkx_restricted_kernelIi19rocblas_complex_numIdELi16ELi32ELi8ELi1ELi0ELb0ELc84ELc76EKS1_S1_EviT_PT9_S3_lS5_S3_lPT10_S3_li,"axG",@progbits,_ZL37rocblas_syrkx_herkx_restricted_kernelIi19rocblas_complex_numIdELi16ELi32ELi8ELi1ELi0ELb0ELc84ELc76EKS1_S1_EviT_PT9_S3_lS5_S3_lPT10_S3_li,comdat
	.globl	_ZL37rocblas_syrkx_herkx_restricted_kernelIi19rocblas_complex_numIdELi16ELi32ELi8ELi1ELi0ELb0ELc84ELc76EKS1_S1_EviT_PT9_S3_lS5_S3_lPT10_S3_li ; -- Begin function _ZL37rocblas_syrkx_herkx_restricted_kernelIi19rocblas_complex_numIdELi16ELi32ELi8ELi1ELi0ELb0ELc84ELc76EKS1_S1_EviT_PT9_S3_lS5_S3_lPT10_S3_li
	.p2align	8
	.type	_ZL37rocblas_syrkx_herkx_restricted_kernelIi19rocblas_complex_numIdELi16ELi32ELi8ELi1ELi0ELb0ELc84ELc76EKS1_S1_EviT_PT9_S3_lS5_S3_lPT10_S3_li,@function
_ZL37rocblas_syrkx_herkx_restricted_kernelIi19rocblas_complex_numIdELi16ELi32ELi8ELi1ELi0ELb0ELc84ELc76EKS1_S1_EviT_PT9_S3_lS5_S3_lPT10_S3_li: ; @_ZL37rocblas_syrkx_herkx_restricted_kernelIi19rocblas_complex_numIdELi16ELi32ELi8ELi1ELi0ELb0ELc84ELc76EKS1_S1_EviT_PT9_S3_lS5_S3_lPT10_S3_li
; %bb.0:
	s_clause 0x1
	s_load_b64 s[2:3], s[0:1], 0x0
	s_load_b128 s[4:7], s[0:1], 0x30
	v_mov_b32_e32 v4, 0
	v_dual_mov_b32 v5, 0 :: v_dual_and_b32 v20, 0x3ff, v0
	v_bfe_u32 v21, v0, 10, 10
	s_delay_alu instid0(VALU_DEP_3) | instskip(NEXT) | instid1(VALU_DEP_3)
	v_mov_b32_e32 v0, v4
	v_dual_mov_b32 v2, v4 :: v_dual_mov_b32 v3, v5
	v_dual_mov_b32 v7, v5 :: v_dual_mov_b32 v6, v4
	v_mov_b32_e32 v1, v5
	v_dual_mov_b32 v9, v5 :: v_dual_mov_b32 v8, v4
	v_dual_mov_b32 v11, v5 :: v_dual_mov_b32 v10, v4
	;; [unrolled: 1-line block ×4, first 2 shown]
	s_lshl_b32 s12, s13, 5
	s_lshl_b32 s13, s14, 5
	s_waitcnt lgkmcnt(0)
	s_cmp_lt_i32 s3, 1
	s_mov_b32 s14, 0
	s_cbranch_scc1 .LBB245_3
; %bb.1:
	s_clause 0x1
	s_load_b32 s18, s[0:1], 0x10
	s_load_b128 s[8:11], s[0:1], 0x18
	v_lshl_add_u32 v2, v21, 4, v20
	s_clause 0x1
	s_load_b64 s[16:17], s[0:1], 0x8
	s_load_b32 s19, s[0:1], 0x28
	v_dual_mov_b32 v1, 0 :: v_dual_and_b32 v0, 7, v20
	v_dual_mov_b32 v14, 0 :: v_dual_and_b32 v5, 31, v2
	v_lshrrev_b32_e32 v4, 3, v2
	v_dual_mov_b32 v15, 0 :: v_dual_lshlrev_b32 v22, 4, v20
	s_delay_alu instid0(VALU_DEP_3) | instskip(NEXT) | instid1(VALU_DEP_4)
	v_dual_mov_b32 v12, v14 :: v_dual_lshlrev_b32 v3, 4, v0
	v_lshlrev_b32_e32 v6, 4, v5
	v_lshrrev_b32_e32 v2, 5, v2
	s_delay_alu instid0(VALU_DEP_4) | instskip(NEXT) | instid1(VALU_DEP_4)
	v_dual_mov_b32 v13, v15 :: v_dual_add_nc_u32 v8, s12, v5
	v_lshl_or_b32 v7, v4, 7, v3
	v_mov_b32_e32 v3, v1
	v_dual_mov_b32 v10, v14 :: v_dual_add_nc_u32 v9, s13, v4
	v_lshl_or_b32 v23, v2, 9, v6
	s_waitcnt lgkmcnt(0)
	s_mul_i32 s9, s9, s15
	v_mad_i64_i32 v[4:5], null, s18, v8, v[2:3]
	s_mul_hi_u32 s18, s8, s15
	v_mad_i64_i32 v[2:3], null, s19, v9, v[0:1]
	s_mul_i32 s8, s8, s15
	s_add_i32 s9, s18, s9
	s_mul_i32 s5, s5, s15
	s_lshl_b64 s[8:9], s[8:9], 4
	s_delay_alu instid0(VALU_DEP_2)
	v_lshlrev_b64 v[0:1], 4, v[4:5]
	s_add_u32 s8, s16, s8
	s_mul_hi_u32 s16, s4, s15
	s_addc_u32 s9, s17, s9
	s_add_i32 s5, s16, s5
	s_mul_i32 s4, s4, s15
	v_lshlrev_b64 v[2:3], 4, v[2:3]
	s_lshl_b64 s[4:5], s[4:5], 4
	v_add_co_u32 v0, vcc_lo, s8, v0
	s_add_u32 s4, s10, s4
	v_add_co_ci_u32_e32 v1, vcc_lo, s9, v1, vcc_lo
	s_addc_u32 s5, s11, s5
	v_add_co_u32 v2, vcc_lo, s4, v2
	v_add_co_ci_u32_e32 v3, vcc_lo, s5, v3, vcc_lo
	v_add_co_u32 v16, vcc_lo, v0, 8
	v_add_co_ci_u32_e32 v17, vcc_lo, 0, v1, vcc_lo
	s_delay_alu instid0(VALU_DEP_4)
	v_add_co_u32 v18, vcc_lo, v2, 8
	v_dual_mov_b32 v11, v15 :: v_dual_add_nc_u32 v24, 0x1000, v7
	v_lshl_add_u32 v25, v21, 7, 0x1000
	v_add_co_ci_u32_e32 v19, vcc_lo, 0, v3, vcc_lo
	v_dual_mov_b32 v8, v14 :: v_dual_mov_b32 v9, v15
	v_dual_mov_b32 v2, v14 :: v_dual_mov_b32 v3, v15
	;; [unrolled: 1-line block ×5, first 2 shown]
.LBB245_2:                              ; =>This Inner Loop Header: Depth=1
	global_load_b128 v[26:29], v[16:17], off offset:-8
	v_add_co_u32 v16, vcc_lo, 0x80, v16
	v_add_co_ci_u32_e32 v17, vcc_lo, 0, v17, vcc_lo
	s_add_i32 s14, s14, 8
	s_delay_alu instid0(SALU_CYCLE_1)
	s_cmp_ge_i32 s14, s3
	s_waitcnt vmcnt(0)
	ds_store_b128 v23, v[26:29]
	global_load_b128 v[26:29], v[18:19], off offset:-8
	v_add_co_u32 v18, vcc_lo, 0x80, v18
	v_add_co_ci_u32_e32 v19, vcc_lo, 0, v19, vcc_lo
	s_waitcnt vmcnt(0)
	ds_store_b128 v24, v[26:29]
	s_waitcnt lgkmcnt(0)
	s_barrier
	buffer_gl0_inv
	ds_load_b128 v[26:29], v25
	ds_load_b128 v[30:33], v25 offset:16
	ds_load_b128 v[34:37], v25 offset:32
	;; [unrolled: 1-line block ×3, first 2 shown]
	ds_load_b128 v[42:45], v22
	s_waitcnt lgkmcnt(0)
	v_mul_f64 v[46:47], v[28:29], v[44:45]
	v_mul_f64 v[48:49], v[26:27], v[44:45]
	s_delay_alu instid0(VALU_DEP_2) | instskip(NEXT) | instid1(VALU_DEP_2)
	v_fma_f64 v[46:47], v[26:27], v[42:43], -v[46:47]
	v_fma_f64 v[48:49], v[28:29], v[42:43], v[48:49]
	s_delay_alu instid0(VALU_DEP_2) | instskip(NEXT) | instid1(VALU_DEP_2)
	v_add_f64 v[46:47], v[4:5], v[46:47]
	v_add_f64 v[48:49], v[6:7], v[48:49]
	ds_load_b128 v[4:7], v22 offset:256
	s_waitcnt lgkmcnt(0)
	v_mul_f64 v[50:51], v[28:29], v[6:7]
	s_delay_alu instid0(VALU_DEP_1) | instskip(SKIP_1) | instid1(VALU_DEP_1)
	v_fma_f64 v[50:51], v[26:27], v[4:5], -v[50:51]
	v_mul_f64 v[26:27], v[26:27], v[6:7]
	v_fma_f64 v[26:27], v[28:29], v[4:5], v[26:27]
	s_delay_alu instid0(VALU_DEP_3) | instskip(NEXT) | instid1(VALU_DEP_2)
	v_add_f64 v[28:29], v[0:1], v[50:51]
	v_add_f64 v[26:27], v[2:3], v[26:27]
	ds_load_b128 v[0:3], v25 offset:2048
	s_waitcnt lgkmcnt(0)
	v_mul_f64 v[50:51], v[2:3], v[44:45]
	v_mul_f64 v[44:45], v[0:1], v[44:45]
	s_delay_alu instid0(VALU_DEP_2) | instskip(NEXT) | instid1(VALU_DEP_2)
	v_fma_f64 v[50:51], v[0:1], v[42:43], -v[50:51]
	v_fma_f64 v[42:43], v[2:3], v[42:43], v[44:45]
	s_delay_alu instid0(VALU_DEP_2) | instskip(SKIP_1) | instid1(VALU_DEP_3)
	v_add_f64 v[44:45], v[8:9], v[50:51]
	v_mul_f64 v[8:9], v[2:3], v[6:7]
	v_add_f64 v[42:43], v[10:11], v[42:43]
	s_delay_alu instid0(VALU_DEP_2) | instskip(SKIP_1) | instid1(VALU_DEP_2)
	v_fma_f64 v[8:9], v[0:1], v[4:5], -v[8:9]
	v_mul_f64 v[0:1], v[0:1], v[6:7]
	v_add_f64 v[12:13], v[12:13], v[8:9]
	s_delay_alu instid0(VALU_DEP_2) | instskip(NEXT) | instid1(VALU_DEP_1)
	v_fma_f64 v[0:1], v[2:3], v[4:5], v[0:1]
	v_add_f64 v[14:15], v[14:15], v[0:1]
	ds_load_b128 v[0:3], v22 offset:512
	s_waitcnt lgkmcnt(0)
	v_mul_f64 v[4:5], v[32:33], v[2:3]
	v_mul_f64 v[6:7], v[30:31], v[2:3]
	s_delay_alu instid0(VALU_DEP_2) | instskip(NEXT) | instid1(VALU_DEP_2)
	v_fma_f64 v[4:5], v[30:31], v[0:1], -v[4:5]
	v_fma_f64 v[6:7], v[32:33], v[0:1], v[6:7]
	s_delay_alu instid0(VALU_DEP_2) | instskip(NEXT) | instid1(VALU_DEP_2)
	v_add_f64 v[46:47], v[46:47], v[4:5]
	v_add_f64 v[48:49], v[48:49], v[6:7]
	ds_load_b128 v[4:7], v22 offset:768
	s_waitcnt lgkmcnt(0)
	v_mul_f64 v[8:9], v[32:33], v[6:7]
	v_mul_f64 v[10:11], v[30:31], v[6:7]
	s_delay_alu instid0(VALU_DEP_2) | instskip(NEXT) | instid1(VALU_DEP_2)
	v_fma_f64 v[8:9], v[30:31], v[4:5], -v[8:9]
	v_fma_f64 v[10:11], v[32:33], v[4:5], v[10:11]
	s_delay_alu instid0(VALU_DEP_2) | instskip(NEXT) | instid1(VALU_DEP_2)
	v_add_f64 v[28:29], v[28:29], v[8:9]
	v_add_f64 v[26:27], v[26:27], v[10:11]
	ds_load_b128 v[8:11], v25 offset:2064
	s_waitcnt lgkmcnt(0)
	v_mul_f64 v[30:31], v[10:11], v[2:3]
	v_mul_f64 v[2:3], v[8:9], v[2:3]
	s_delay_alu instid0(VALU_DEP_2) | instskip(NEXT) | instid1(VALU_DEP_2)
	v_fma_f64 v[30:31], v[8:9], v[0:1], -v[30:31]
	v_fma_f64 v[0:1], v[10:11], v[0:1], v[2:3]
	v_mul_f64 v[2:3], v[8:9], v[6:7]
	s_delay_alu instid0(VALU_DEP_3) | instskip(NEXT) | instid1(VALU_DEP_3)
	v_add_f64 v[30:31], v[44:45], v[30:31]
	v_add_f64 v[32:33], v[42:43], v[0:1]
	v_mul_f64 v[0:1], v[10:11], v[6:7]
	s_delay_alu instid0(VALU_DEP_4) | instskip(NEXT) | instid1(VALU_DEP_2)
	v_fma_f64 v[2:3], v[10:11], v[4:5], v[2:3]
	v_fma_f64 v[0:1], v[8:9], v[4:5], -v[0:1]
	s_delay_alu instid0(VALU_DEP_2) | instskip(NEXT) | instid1(VALU_DEP_2)
	v_add_f64 v[14:15], v[14:15], v[2:3]
	v_add_f64 v[12:13], v[12:13], v[0:1]
	ds_load_b128 v[0:3], v22 offset:1024
	s_waitcnt lgkmcnt(0)
	v_mul_f64 v[4:5], v[36:37], v[2:3]
	v_mul_f64 v[6:7], v[34:35], v[2:3]
	s_delay_alu instid0(VALU_DEP_2) | instskip(NEXT) | instid1(VALU_DEP_2)
	v_fma_f64 v[4:5], v[34:35], v[0:1], -v[4:5]
	v_fma_f64 v[6:7], v[36:37], v[0:1], v[6:7]
	s_delay_alu instid0(VALU_DEP_2) | instskip(NEXT) | instid1(VALU_DEP_2)
	v_add_f64 v[42:43], v[46:47], v[4:5]
	v_add_f64 v[44:45], v[48:49], v[6:7]
	ds_load_b128 v[4:7], v22 offset:1280
	s_waitcnt lgkmcnt(0)
	v_mul_f64 v[8:9], v[36:37], v[6:7]
	v_mul_f64 v[10:11], v[34:35], v[6:7]
	s_delay_alu instid0(VALU_DEP_2) | instskip(NEXT) | instid1(VALU_DEP_2)
	v_fma_f64 v[8:9], v[34:35], v[4:5], -v[8:9]
	v_fma_f64 v[10:11], v[36:37], v[4:5], v[10:11]
	s_delay_alu instid0(VALU_DEP_2) | instskip(NEXT) | instid1(VALU_DEP_2)
	v_add_f64 v[28:29], v[28:29], v[8:9]
	v_add_f64 v[26:27], v[26:27], v[10:11]
	ds_load_b128 v[8:11], v25 offset:2080
	s_waitcnt lgkmcnt(0)
	v_mul_f64 v[34:35], v[10:11], v[2:3]
	v_mul_f64 v[2:3], v[8:9], v[2:3]
	s_delay_alu instid0(VALU_DEP_2) | instskip(NEXT) | instid1(VALU_DEP_2)
	v_fma_f64 v[34:35], v[8:9], v[0:1], -v[34:35]
	v_fma_f64 v[0:1], v[10:11], v[0:1], v[2:3]
	v_mul_f64 v[2:3], v[8:9], v[6:7]
	s_delay_alu instid0(VALU_DEP_3) | instskip(NEXT) | instid1(VALU_DEP_3)
	v_add_f64 v[30:31], v[30:31], v[34:35]
	v_add_f64 v[32:33], v[32:33], v[0:1]
	v_mul_f64 v[0:1], v[10:11], v[6:7]
	s_delay_alu instid0(VALU_DEP_4) | instskip(NEXT) | instid1(VALU_DEP_2)
	v_fma_f64 v[2:3], v[10:11], v[4:5], v[2:3]
	v_fma_f64 v[0:1], v[8:9], v[4:5], -v[0:1]
	s_delay_alu instid0(VALU_DEP_2) | instskip(NEXT) | instid1(VALU_DEP_2)
	v_add_f64 v[14:15], v[14:15], v[2:3]
	;; [unrolled: 38-line block ×3, first 2 shown]
	v_add_f64 v[12:13], v[12:13], v[0:1]
	ds_load_b128 v[0:3], v25 offset:64
	ds_load_b128 v[4:7], v22 offset:2048
	s_waitcnt lgkmcnt(0)
	v_mul_f64 v[8:9], v[2:3], v[6:7]
	v_mul_f64 v[10:11], v[0:1], v[6:7]
	s_delay_alu instid0(VALU_DEP_2) | instskip(NEXT) | instid1(VALU_DEP_2)
	v_fma_f64 v[8:9], v[0:1], v[4:5], -v[8:9]
	v_fma_f64 v[10:11], v[2:3], v[4:5], v[10:11]
	s_delay_alu instid0(VALU_DEP_2) | instskip(NEXT) | instid1(VALU_DEP_2)
	v_add_f64 v[34:35], v[34:35], v[8:9]
	v_add_f64 v[36:37], v[36:37], v[10:11]
	ds_load_b128 v[8:11], v22 offset:2304
	s_waitcnt lgkmcnt(0)
	v_mul_f64 v[38:39], v[2:3], v[10:11]
	s_delay_alu instid0(VALU_DEP_1) | instskip(SKIP_1) | instid1(VALU_DEP_2)
	v_fma_f64 v[38:39], v[0:1], v[8:9], -v[38:39]
	v_mul_f64 v[0:1], v[0:1], v[10:11]
	v_add_f64 v[28:29], v[28:29], v[38:39]
	s_delay_alu instid0(VALU_DEP_2) | instskip(NEXT) | instid1(VALU_DEP_1)
	v_fma_f64 v[0:1], v[2:3], v[8:9], v[0:1]
	v_add_f64 v[26:27], v[26:27], v[0:1]
	ds_load_b128 v[0:3], v25 offset:2112
	s_waitcnt lgkmcnt(0)
	v_mul_f64 v[38:39], v[2:3], v[6:7]
	v_mul_f64 v[6:7], v[0:1], v[6:7]
	s_delay_alu instid0(VALU_DEP_2) | instskip(NEXT) | instid1(VALU_DEP_2)
	v_fma_f64 v[38:39], v[0:1], v[4:5], -v[38:39]
	v_fma_f64 v[4:5], v[2:3], v[4:5], v[6:7]
	s_delay_alu instid0(VALU_DEP_2) | instskip(NEXT) | instid1(VALU_DEP_2)
	v_add_f64 v[30:31], v[30:31], v[38:39]
	v_add_f64 v[32:33], v[32:33], v[4:5]
	v_mul_f64 v[4:5], v[2:3], v[10:11]
	s_delay_alu instid0(VALU_DEP_1) | instskip(SKIP_1) | instid1(VALU_DEP_2)
	v_fma_f64 v[4:5], v[0:1], v[8:9], -v[4:5]
	v_mul_f64 v[0:1], v[0:1], v[10:11]
	v_add_f64 v[12:13], v[12:13], v[4:5]
	s_delay_alu instid0(VALU_DEP_2) | instskip(NEXT) | instid1(VALU_DEP_1)
	v_fma_f64 v[0:1], v[2:3], v[8:9], v[0:1]
	v_add_f64 v[14:15], v[14:15], v[0:1]
	ds_load_b128 v[0:3], v25 offset:80
	ds_load_b128 v[4:7], v22 offset:2560
	s_waitcnt lgkmcnt(0)
	v_mul_f64 v[8:9], v[2:3], v[6:7]
	v_mul_f64 v[10:11], v[0:1], v[6:7]
	s_delay_alu instid0(VALU_DEP_2) | instskip(NEXT) | instid1(VALU_DEP_2)
	v_fma_f64 v[8:9], v[0:1], v[4:5], -v[8:9]
	v_fma_f64 v[10:11], v[2:3], v[4:5], v[10:11]
	s_delay_alu instid0(VALU_DEP_2) | instskip(NEXT) | instid1(VALU_DEP_2)
	v_add_f64 v[34:35], v[34:35], v[8:9]
	v_add_f64 v[36:37], v[36:37], v[10:11]
	ds_load_b128 v[8:11], v22 offset:2816
	s_waitcnt lgkmcnt(0)
	v_mul_f64 v[38:39], v[2:3], v[10:11]
	s_delay_alu instid0(VALU_DEP_1) | instskip(SKIP_1) | instid1(VALU_DEP_2)
	v_fma_f64 v[38:39], v[0:1], v[8:9], -v[38:39]
	v_mul_f64 v[0:1], v[0:1], v[10:11]
	v_add_f64 v[28:29], v[28:29], v[38:39]
	s_delay_alu instid0(VALU_DEP_2) | instskip(NEXT) | instid1(VALU_DEP_1)
	v_fma_f64 v[0:1], v[2:3], v[8:9], v[0:1]
	v_add_f64 v[26:27], v[26:27], v[0:1]
	ds_load_b128 v[0:3], v25 offset:2128
	s_waitcnt lgkmcnt(0)
	v_mul_f64 v[38:39], v[2:3], v[6:7]
	v_mul_f64 v[6:7], v[0:1], v[6:7]
	s_delay_alu instid0(VALU_DEP_2) | instskip(NEXT) | instid1(VALU_DEP_2)
	v_fma_f64 v[38:39], v[0:1], v[4:5], -v[38:39]
	v_fma_f64 v[4:5], v[2:3], v[4:5], v[6:7]
	s_delay_alu instid0(VALU_DEP_2) | instskip(NEXT) | instid1(VALU_DEP_2)
	v_add_f64 v[30:31], v[30:31], v[38:39]
	v_add_f64 v[32:33], v[32:33], v[4:5]
	v_mul_f64 v[4:5], v[2:3], v[10:11]
	s_delay_alu instid0(VALU_DEP_1) | instskip(SKIP_1) | instid1(VALU_DEP_2)
	v_fma_f64 v[4:5], v[0:1], v[8:9], -v[4:5]
	v_mul_f64 v[0:1], v[0:1], v[10:11]
	v_add_f64 v[12:13], v[12:13], v[4:5]
	s_delay_alu instid0(VALU_DEP_2) | instskip(NEXT) | instid1(VALU_DEP_1)
	v_fma_f64 v[0:1], v[2:3], v[8:9], v[0:1]
	;; [unrolled: 39-line block ×3, first 2 shown]
	v_add_f64 v[40:41], v[14:15], v[0:1]
	ds_load_b128 v[0:3], v25 offset:112
	ds_load_b128 v[8:11], v22 offset:3584
	;; [unrolled: 1-line block ×3, first 2 shown]
	s_waitcnt lgkmcnt(1)
	v_mul_f64 v[4:5], v[2:3], v[10:11]
	v_mul_f64 v[6:7], v[0:1], v[10:11]
	s_delay_alu instid0(VALU_DEP_2) | instskip(NEXT) | instid1(VALU_DEP_2)
	v_fma_f64 v[4:5], v[0:1], v[8:9], -v[4:5]
	v_fma_f64 v[6:7], v[2:3], v[8:9], v[6:7]
	s_delay_alu instid0(VALU_DEP_2) | instskip(SKIP_2) | instid1(VALU_DEP_3)
	v_add_f64 v[4:5], v[34:35], v[4:5]
	s_waitcnt lgkmcnt(0)
	v_mul_f64 v[34:35], v[2:3], v[14:15]
	v_add_f64 v[6:7], v[36:37], v[6:7]
	s_delay_alu instid0(VALU_DEP_2) | instskip(SKIP_1) | instid1(VALU_DEP_1)
	v_fma_f64 v[34:35], v[0:1], v[12:13], -v[34:35]
	v_mul_f64 v[0:1], v[0:1], v[14:15]
	v_fma_f64 v[2:3], v[2:3], v[12:13], v[0:1]
	s_delay_alu instid0(VALU_DEP_3) | instskip(NEXT) | instid1(VALU_DEP_2)
	v_add_f64 v[0:1], v[28:29], v[34:35]
	v_add_f64 v[2:3], v[26:27], v[2:3]
	ds_load_b128 v[26:29], v25 offset:2160
	s_waitcnt lgkmcnt(0)
	s_barrier
	buffer_gl0_inv
	v_mul_f64 v[34:35], v[28:29], v[10:11]
	v_mul_f64 v[10:11], v[26:27], v[10:11]
	s_delay_alu instid0(VALU_DEP_2) | instskip(NEXT) | instid1(VALU_DEP_2)
	v_fma_f64 v[34:35], v[26:27], v[8:9], -v[34:35]
	v_fma_f64 v[10:11], v[28:29], v[8:9], v[10:11]
	s_delay_alu instid0(VALU_DEP_2) | instskip(SKIP_2) | instid1(VALU_DEP_4)
	v_add_f64 v[8:9], v[30:31], v[34:35]
	v_mul_f64 v[30:31], v[28:29], v[14:15]
	v_mul_f64 v[14:15], v[26:27], v[14:15]
	v_add_f64 v[10:11], v[32:33], v[10:11]
	s_delay_alu instid0(VALU_DEP_3) | instskip(NEXT) | instid1(VALU_DEP_3)
	v_fma_f64 v[30:31], v[26:27], v[12:13], -v[30:31]
	v_fma_f64 v[14:15], v[28:29], v[12:13], v[14:15]
	s_delay_alu instid0(VALU_DEP_2) | instskip(NEXT) | instid1(VALU_DEP_2)
	v_add_f64 v[12:13], v[38:39], v[30:31]
	v_add_f64 v[14:15], v[40:41], v[14:15]
	s_cbranch_scc0 .LBB245_2
.LBB245_3:
	s_clause 0x1
	s_load_b32 s3, s[0:1], 0x40
	s_load_b64 s[4:5], s[0:1], 0x48
	v_add_nc_u32_e32 v18, s13, v21
	v_add_nc_u32_e32 v16, s12, v20
	s_delay_alu instid0(VALU_DEP_1)
	v_cmp_le_i32_e64 s0, v18, v16
	v_cmp_gt_i32_e32 vcc_lo, s2, v16
	s_waitcnt lgkmcnt(0)
	v_mad_i64_i32 v[19:20], null, v18, s3, 0
	s_mul_i32 s1, s15, s5
	s_mul_hi_u32 s5, s15, s4
	s_mul_i32 s4, s15, s4
	s_add_i32 s5, s5, s1
	s_delay_alu instid0(SALU_CYCLE_1) | instskip(NEXT) | instid1(VALU_DEP_1)
	s_lshl_b64 s[4:5], s[4:5], 4
	v_lshlrev_b64 v[19:20], 4, v[19:20]
	s_add_u32 s4, s6, s4
	s_addc_u32 s5, s7, s5
	s_and_b32 s0, s0, vcc_lo
	s_delay_alu instid0(VALU_DEP_1) | instskip(NEXT) | instid1(VALU_DEP_1)
	v_add_co_u32 v19, s1, s4, v19
	v_add_co_ci_u32_e64 v20, s1, s5, v20, s1
	s_and_saveexec_b32 s1, s0
	s_cbranch_execz .LBB245_5
; %bb.4:
	v_ashrrev_i32_e32 v17, 31, v16
	s_delay_alu instid0(VALU_DEP_1) | instskip(NEXT) | instid1(VALU_DEP_1)
	v_lshlrev_b64 v[21:22], 4, v[16:17]
	v_add_co_u32 v21, s0, v19, v21
	s_delay_alu instid0(VALU_DEP_1)
	v_add_co_ci_u32_e64 v22, s0, v20, v22, s0
	global_store_b128 v[21:22], v[4:7], off
.LBB245_5:
	s_or_b32 exec_lo, exec_lo, s1
	v_add_nc_u32_e32 v4, 16, v16
	s_delay_alu instid0(VALU_DEP_1) | instskip(SKIP_1) | instid1(VALU_DEP_1)
	v_cmp_le_i32_e64 s1, v18, v4
	v_cmp_gt_i32_e64 s0, s2, v4
	s_and_b32 s1, s1, s0
	s_delay_alu instid0(SALU_CYCLE_1)
	s_and_saveexec_b32 s2, s1
	s_cbranch_execz .LBB245_7
; %bb.6:
	v_ashrrev_i32_e32 v5, 31, v4
	s_delay_alu instid0(VALU_DEP_1) | instskip(NEXT) | instid1(VALU_DEP_1)
	v_lshlrev_b64 v[5:6], 4, v[4:5]
	v_add_co_u32 v5, s1, v19, v5
	s_delay_alu instid0(VALU_DEP_1)
	v_add_co_ci_u32_e64 v6, s1, v20, v6, s1
	global_store_b128 v[5:6], v[0:3], off
.LBB245_7:
	s_or_b32 exec_lo, exec_lo, s2
	v_add_nc_u32_e32 v2, 16, v18
	s_delay_alu instid0(VALU_DEP_1) | instskip(SKIP_1) | instid1(VALU_DEP_2)
	v_mad_i64_i32 v[0:1], null, v2, s3, 0
	v_cmp_le_i32_e64 s1, v2, v16
	v_lshlrev_b64 v[0:1], 4, v[0:1]
	s_delay_alu instid0(VALU_DEP_1) | instskip(NEXT) | instid1(VALU_DEP_1)
	v_add_co_u32 v0, s2, s4, v0
	v_add_co_ci_u32_e64 v1, s2, s5, v1, s2
	s_delay_alu instid0(VALU_DEP_4) | instskip(NEXT) | instid1(SALU_CYCLE_1)
	s_and_b32 s2, s1, vcc_lo
	s_and_saveexec_b32 s1, s2
	s_cbranch_execz .LBB245_9
; %bb.8:
	v_ashrrev_i32_e32 v17, 31, v16
	s_delay_alu instid0(VALU_DEP_1) | instskip(NEXT) | instid1(VALU_DEP_1)
	v_lshlrev_b64 v[5:6], 4, v[16:17]
	v_add_co_u32 v5, vcc_lo, v0, v5
	s_delay_alu instid0(VALU_DEP_2)
	v_add_co_ci_u32_e32 v6, vcc_lo, v1, v6, vcc_lo
	global_store_b128 v[5:6], v[8:11], off
.LBB245_9:
	s_or_b32 exec_lo, exec_lo, s1
	v_cmp_le_i32_e32 vcc_lo, v2, v4
	s_and_b32 s0, vcc_lo, s0
	s_delay_alu instid0(SALU_CYCLE_1)
	s_and_saveexec_b32 s1, s0
	s_cbranch_execz .LBB245_11
; %bb.10:
	v_ashrrev_i32_e32 v5, 31, v4
	s_delay_alu instid0(VALU_DEP_1) | instskip(NEXT) | instid1(VALU_DEP_1)
	v_lshlrev_b64 v[2:3], 4, v[4:5]
	v_add_co_u32 v0, vcc_lo, v0, v2
	s_delay_alu instid0(VALU_DEP_2)
	v_add_co_ci_u32_e32 v1, vcc_lo, v1, v3, vcc_lo
	global_store_b128 v[0:1], v[12:15], off
.LBB245_11:
	s_nop 0
	s_sendmsg sendmsg(MSG_DEALLOC_VGPRS)
	s_endpgm
	.section	.rodata,"a",@progbits
	.p2align	6, 0x0
	.amdhsa_kernel _ZL37rocblas_syrkx_herkx_restricted_kernelIi19rocblas_complex_numIdELi16ELi32ELi8ELi1ELi0ELb0ELc84ELc76EKS1_S1_EviT_PT9_S3_lS5_S3_lPT10_S3_li
		.amdhsa_group_segment_fixed_size 8192
		.amdhsa_private_segment_fixed_size 0
		.amdhsa_kernarg_size 84
		.amdhsa_user_sgpr_count 13
		.amdhsa_user_sgpr_dispatch_ptr 0
		.amdhsa_user_sgpr_queue_ptr 0
		.amdhsa_user_sgpr_kernarg_segment_ptr 1
		.amdhsa_user_sgpr_dispatch_id 0
		.amdhsa_user_sgpr_private_segment_size 0
		.amdhsa_wavefront_size32 1
		.amdhsa_uses_dynamic_stack 0
		.amdhsa_enable_private_segment 0
		.amdhsa_system_sgpr_workgroup_id_x 1
		.amdhsa_system_sgpr_workgroup_id_y 1
		.amdhsa_system_sgpr_workgroup_id_z 1
		.amdhsa_system_sgpr_workgroup_info 0
		.amdhsa_system_vgpr_workitem_id 1
		.amdhsa_next_free_vgpr 52
		.amdhsa_next_free_sgpr 20
		.amdhsa_reserve_vcc 1
		.amdhsa_float_round_mode_32 0
		.amdhsa_float_round_mode_16_64 0
		.amdhsa_float_denorm_mode_32 3
		.amdhsa_float_denorm_mode_16_64 3
		.amdhsa_dx10_clamp 1
		.amdhsa_ieee_mode 1
		.amdhsa_fp16_overflow 0
		.amdhsa_workgroup_processor_mode 1
		.amdhsa_memory_ordered 1
		.amdhsa_forward_progress 0
		.amdhsa_shared_vgpr_count 0
		.amdhsa_exception_fp_ieee_invalid_op 0
		.amdhsa_exception_fp_denorm_src 0
		.amdhsa_exception_fp_ieee_div_zero 0
		.amdhsa_exception_fp_ieee_overflow 0
		.amdhsa_exception_fp_ieee_underflow 0
		.amdhsa_exception_fp_ieee_inexact 0
		.amdhsa_exception_int_div_zero 0
	.end_amdhsa_kernel
	.section	.text._ZL37rocblas_syrkx_herkx_restricted_kernelIi19rocblas_complex_numIdELi16ELi32ELi8ELi1ELi0ELb0ELc84ELc76EKS1_S1_EviT_PT9_S3_lS5_S3_lPT10_S3_li,"axG",@progbits,_ZL37rocblas_syrkx_herkx_restricted_kernelIi19rocblas_complex_numIdELi16ELi32ELi8ELi1ELi0ELb0ELc84ELc76EKS1_S1_EviT_PT9_S3_lS5_S3_lPT10_S3_li,comdat
.Lfunc_end245:
	.size	_ZL37rocblas_syrkx_herkx_restricted_kernelIi19rocblas_complex_numIdELi16ELi32ELi8ELi1ELi0ELb0ELc84ELc76EKS1_S1_EviT_PT9_S3_lS5_S3_lPT10_S3_li, .Lfunc_end245-_ZL37rocblas_syrkx_herkx_restricted_kernelIi19rocblas_complex_numIdELi16ELi32ELi8ELi1ELi0ELb0ELc84ELc76EKS1_S1_EviT_PT9_S3_lS5_S3_lPT10_S3_li
                                        ; -- End function
	.section	.AMDGPU.csdata,"",@progbits
; Kernel info:
; codeLenInByte = 3184
; NumSgprs: 22
; NumVgprs: 52
; ScratchSize: 0
; MemoryBound: 0
; FloatMode: 240
; IeeeMode: 1
; LDSByteSize: 8192 bytes/workgroup (compile time only)
; SGPRBlocks: 2
; VGPRBlocks: 6
; NumSGPRsForWavesPerEU: 22
; NumVGPRsForWavesPerEU: 52
; Occupancy: 16
; WaveLimiterHint : 0
; COMPUTE_PGM_RSRC2:SCRATCH_EN: 0
; COMPUTE_PGM_RSRC2:USER_SGPR: 13
; COMPUTE_PGM_RSRC2:TRAP_HANDLER: 0
; COMPUTE_PGM_RSRC2:TGID_X_EN: 1
; COMPUTE_PGM_RSRC2:TGID_Y_EN: 1
; COMPUTE_PGM_RSRC2:TGID_Z_EN: 1
; COMPUTE_PGM_RSRC2:TIDIG_COMP_CNT: 1
	.section	.text._ZL37rocblas_syrkx_herkx_restricted_kernelIi19rocblas_complex_numIdELi16ELi32ELi8ELi1ELi0ELb0ELc67ELc76EKS1_S1_EviT_PT9_S3_lS5_S3_lPT10_S3_li,"axG",@progbits,_ZL37rocblas_syrkx_herkx_restricted_kernelIi19rocblas_complex_numIdELi16ELi32ELi8ELi1ELi0ELb0ELc67ELc76EKS1_S1_EviT_PT9_S3_lS5_S3_lPT10_S3_li,comdat
	.globl	_ZL37rocblas_syrkx_herkx_restricted_kernelIi19rocblas_complex_numIdELi16ELi32ELi8ELi1ELi0ELb0ELc67ELc76EKS1_S1_EviT_PT9_S3_lS5_S3_lPT10_S3_li ; -- Begin function _ZL37rocblas_syrkx_herkx_restricted_kernelIi19rocblas_complex_numIdELi16ELi32ELi8ELi1ELi0ELb0ELc67ELc76EKS1_S1_EviT_PT9_S3_lS5_S3_lPT10_S3_li
	.p2align	8
	.type	_ZL37rocblas_syrkx_herkx_restricted_kernelIi19rocblas_complex_numIdELi16ELi32ELi8ELi1ELi0ELb0ELc67ELc76EKS1_S1_EviT_PT9_S3_lS5_S3_lPT10_S3_li,@function
_ZL37rocblas_syrkx_herkx_restricted_kernelIi19rocblas_complex_numIdELi16ELi32ELi8ELi1ELi0ELb0ELc67ELc76EKS1_S1_EviT_PT9_S3_lS5_S3_lPT10_S3_li: ; @_ZL37rocblas_syrkx_herkx_restricted_kernelIi19rocblas_complex_numIdELi16ELi32ELi8ELi1ELi0ELb0ELc67ELc76EKS1_S1_EviT_PT9_S3_lS5_S3_lPT10_S3_li
; %bb.0:
	s_clause 0x1
	s_load_b64 s[2:3], s[0:1], 0x0
	s_load_b128 s[4:7], s[0:1], 0x30
	v_mov_b32_e32 v4, 0
	v_dual_mov_b32 v5, 0 :: v_dual_and_b32 v20, 0x3ff, v0
	v_bfe_u32 v21, v0, 10, 10
	s_delay_alu instid0(VALU_DEP_3) | instskip(NEXT) | instid1(VALU_DEP_3)
	v_mov_b32_e32 v0, v4
	v_dual_mov_b32 v2, v4 :: v_dual_mov_b32 v3, v5
	v_dual_mov_b32 v7, v5 :: v_dual_mov_b32 v6, v4
	v_mov_b32_e32 v1, v5
	v_dual_mov_b32 v9, v5 :: v_dual_mov_b32 v8, v4
	v_dual_mov_b32 v11, v5 :: v_dual_mov_b32 v10, v4
	v_dual_mov_b32 v13, v5 :: v_dual_mov_b32 v12, v4
	v_dual_mov_b32 v15, v5 :: v_dual_mov_b32 v14, v4
	s_lshl_b32 s12, s13, 5
	s_lshl_b32 s13, s14, 5
	s_waitcnt lgkmcnt(0)
	s_cmp_lt_i32 s3, 1
	s_mov_b32 s14, 0
	s_cbranch_scc1 .LBB246_3
; %bb.1:
	s_clause 0x1
	s_load_b32 s18, s[0:1], 0x10
	s_load_b128 s[8:11], s[0:1], 0x18
	v_lshl_add_u32 v2, v21, 4, v20
	s_clause 0x1
	s_load_b64 s[16:17], s[0:1], 0x8
	s_load_b32 s19, s[0:1], 0x28
	v_dual_mov_b32 v1, 0 :: v_dual_and_b32 v0, 7, v20
	v_dual_mov_b32 v14, 0 :: v_dual_and_b32 v5, 31, v2
	v_lshrrev_b32_e32 v4, 3, v2
	v_dual_mov_b32 v15, 0 :: v_dual_lshlrev_b32 v22, 4, v20
	s_delay_alu instid0(VALU_DEP_3) | instskip(NEXT) | instid1(VALU_DEP_4)
	v_dual_mov_b32 v12, v14 :: v_dual_lshlrev_b32 v3, 4, v0
	v_lshlrev_b32_e32 v6, 4, v5
	v_lshrrev_b32_e32 v2, 5, v2
	s_delay_alu instid0(VALU_DEP_4) | instskip(NEXT) | instid1(VALU_DEP_4)
	v_dual_mov_b32 v13, v15 :: v_dual_add_nc_u32 v8, s12, v5
	v_lshl_or_b32 v7, v4, 7, v3
	v_mov_b32_e32 v3, v1
	v_dual_mov_b32 v10, v14 :: v_dual_add_nc_u32 v9, s13, v4
	v_lshl_or_b32 v23, v2, 9, v6
	s_waitcnt lgkmcnt(0)
	s_mul_i32 s9, s9, s15
	v_mad_i64_i32 v[4:5], null, s18, v8, v[2:3]
	s_mul_hi_u32 s18, s8, s15
	v_mad_i64_i32 v[2:3], null, s19, v9, v[0:1]
	s_mul_i32 s8, s8, s15
	s_add_i32 s9, s18, s9
	s_mul_i32 s5, s5, s15
	s_lshl_b64 s[8:9], s[8:9], 4
	s_delay_alu instid0(VALU_DEP_2)
	v_lshlrev_b64 v[0:1], 4, v[4:5]
	s_add_u32 s8, s16, s8
	s_mul_hi_u32 s16, s4, s15
	s_addc_u32 s9, s17, s9
	s_add_i32 s5, s16, s5
	s_mul_i32 s4, s4, s15
	v_lshlrev_b64 v[2:3], 4, v[2:3]
	s_lshl_b64 s[4:5], s[4:5], 4
	v_add_co_u32 v0, vcc_lo, s8, v0
	s_add_u32 s4, s10, s4
	v_add_co_ci_u32_e32 v1, vcc_lo, s9, v1, vcc_lo
	s_addc_u32 s5, s11, s5
	v_add_co_u32 v2, vcc_lo, s4, v2
	v_add_co_ci_u32_e32 v3, vcc_lo, s5, v3, vcc_lo
	v_add_co_u32 v16, vcc_lo, v0, 8
	v_add_co_ci_u32_e32 v17, vcc_lo, 0, v1, vcc_lo
	s_delay_alu instid0(VALU_DEP_4)
	v_add_co_u32 v18, vcc_lo, v2, 8
	v_dual_mov_b32 v11, v15 :: v_dual_add_nc_u32 v24, 0x1000, v7
	v_lshl_add_u32 v25, v21, 7, 0x1000
	v_add_co_ci_u32_e32 v19, vcc_lo, 0, v3, vcc_lo
	v_dual_mov_b32 v8, v14 :: v_dual_mov_b32 v9, v15
	v_dual_mov_b32 v2, v14 :: v_dual_mov_b32 v3, v15
	;; [unrolled: 1-line block ×5, first 2 shown]
.LBB246_2:                              ; =>This Inner Loop Header: Depth=1
	global_load_b128 v[26:29], v[16:17], off offset:-8
	v_add_co_u32 v16, vcc_lo, 0x80, v16
	v_add_co_ci_u32_e32 v17, vcc_lo, 0, v17, vcc_lo
	s_add_i32 s14, s14, 8
	s_delay_alu instid0(SALU_CYCLE_1)
	s_cmp_ge_i32 s14, s3
	s_waitcnt vmcnt(0)
	ds_store_b128 v23, v[26:29]
	global_load_b128 v[26:29], v[18:19], off offset:-8
	v_add_co_u32 v18, vcc_lo, 0x80, v18
	v_add_co_ci_u32_e32 v19, vcc_lo, 0, v19, vcc_lo
	s_waitcnt vmcnt(0)
	ds_store_b128 v24, v[26:29]
	s_waitcnt lgkmcnt(0)
	s_barrier
	buffer_gl0_inv
	ds_load_b128 v[26:29], v25
	ds_load_b128 v[30:33], v25 offset:16
	ds_load_b128 v[34:37], v25 offset:32
	;; [unrolled: 1-line block ×3, first 2 shown]
	ds_load_b128 v[42:45], v22
	s_waitcnt lgkmcnt(0)
	v_mul_f64 v[46:47], v[28:29], v[44:45]
	v_mul_f64 v[48:49], v[26:27], v[44:45]
	s_delay_alu instid0(VALU_DEP_2) | instskip(NEXT) | instid1(VALU_DEP_2)
	v_fma_f64 v[46:47], v[26:27], v[42:43], -v[46:47]
	v_fma_f64 v[48:49], v[28:29], v[42:43], v[48:49]
	s_delay_alu instid0(VALU_DEP_2) | instskip(NEXT) | instid1(VALU_DEP_2)
	v_add_f64 v[46:47], v[4:5], v[46:47]
	v_add_f64 v[48:49], v[6:7], v[48:49]
	ds_load_b128 v[4:7], v22 offset:256
	s_waitcnt lgkmcnt(0)
	v_mul_f64 v[50:51], v[28:29], v[6:7]
	s_delay_alu instid0(VALU_DEP_1) | instskip(SKIP_1) | instid1(VALU_DEP_1)
	v_fma_f64 v[50:51], v[26:27], v[4:5], -v[50:51]
	v_mul_f64 v[26:27], v[26:27], v[6:7]
	v_fma_f64 v[26:27], v[28:29], v[4:5], v[26:27]
	s_delay_alu instid0(VALU_DEP_3) | instskip(NEXT) | instid1(VALU_DEP_2)
	v_add_f64 v[28:29], v[0:1], v[50:51]
	v_add_f64 v[26:27], v[2:3], v[26:27]
	ds_load_b128 v[0:3], v25 offset:2048
	s_waitcnt lgkmcnt(0)
	v_mul_f64 v[50:51], v[2:3], v[44:45]
	v_mul_f64 v[44:45], v[0:1], v[44:45]
	s_delay_alu instid0(VALU_DEP_2) | instskip(NEXT) | instid1(VALU_DEP_2)
	v_fma_f64 v[50:51], v[0:1], v[42:43], -v[50:51]
	v_fma_f64 v[42:43], v[2:3], v[42:43], v[44:45]
	s_delay_alu instid0(VALU_DEP_2) | instskip(SKIP_1) | instid1(VALU_DEP_3)
	v_add_f64 v[44:45], v[8:9], v[50:51]
	v_mul_f64 v[8:9], v[2:3], v[6:7]
	v_add_f64 v[42:43], v[10:11], v[42:43]
	s_delay_alu instid0(VALU_DEP_2) | instskip(SKIP_1) | instid1(VALU_DEP_2)
	v_fma_f64 v[8:9], v[0:1], v[4:5], -v[8:9]
	v_mul_f64 v[0:1], v[0:1], v[6:7]
	v_add_f64 v[12:13], v[12:13], v[8:9]
	s_delay_alu instid0(VALU_DEP_2) | instskip(NEXT) | instid1(VALU_DEP_1)
	v_fma_f64 v[0:1], v[2:3], v[4:5], v[0:1]
	v_add_f64 v[14:15], v[14:15], v[0:1]
	ds_load_b128 v[0:3], v22 offset:512
	s_waitcnt lgkmcnt(0)
	v_mul_f64 v[4:5], v[32:33], v[2:3]
	v_mul_f64 v[6:7], v[30:31], v[2:3]
	s_delay_alu instid0(VALU_DEP_2) | instskip(NEXT) | instid1(VALU_DEP_2)
	v_fma_f64 v[4:5], v[30:31], v[0:1], -v[4:5]
	v_fma_f64 v[6:7], v[32:33], v[0:1], v[6:7]
	s_delay_alu instid0(VALU_DEP_2) | instskip(NEXT) | instid1(VALU_DEP_2)
	v_add_f64 v[46:47], v[46:47], v[4:5]
	v_add_f64 v[48:49], v[48:49], v[6:7]
	ds_load_b128 v[4:7], v22 offset:768
	s_waitcnt lgkmcnt(0)
	v_mul_f64 v[8:9], v[32:33], v[6:7]
	v_mul_f64 v[10:11], v[30:31], v[6:7]
	s_delay_alu instid0(VALU_DEP_2) | instskip(NEXT) | instid1(VALU_DEP_2)
	v_fma_f64 v[8:9], v[30:31], v[4:5], -v[8:9]
	v_fma_f64 v[10:11], v[32:33], v[4:5], v[10:11]
	s_delay_alu instid0(VALU_DEP_2) | instskip(NEXT) | instid1(VALU_DEP_2)
	v_add_f64 v[28:29], v[28:29], v[8:9]
	v_add_f64 v[26:27], v[26:27], v[10:11]
	ds_load_b128 v[8:11], v25 offset:2064
	s_waitcnt lgkmcnt(0)
	v_mul_f64 v[30:31], v[10:11], v[2:3]
	v_mul_f64 v[2:3], v[8:9], v[2:3]
	s_delay_alu instid0(VALU_DEP_2) | instskip(NEXT) | instid1(VALU_DEP_2)
	v_fma_f64 v[30:31], v[8:9], v[0:1], -v[30:31]
	v_fma_f64 v[0:1], v[10:11], v[0:1], v[2:3]
	v_mul_f64 v[2:3], v[8:9], v[6:7]
	s_delay_alu instid0(VALU_DEP_3) | instskip(NEXT) | instid1(VALU_DEP_3)
	v_add_f64 v[30:31], v[44:45], v[30:31]
	v_add_f64 v[32:33], v[42:43], v[0:1]
	v_mul_f64 v[0:1], v[10:11], v[6:7]
	s_delay_alu instid0(VALU_DEP_4) | instskip(NEXT) | instid1(VALU_DEP_2)
	v_fma_f64 v[2:3], v[10:11], v[4:5], v[2:3]
	v_fma_f64 v[0:1], v[8:9], v[4:5], -v[0:1]
	s_delay_alu instid0(VALU_DEP_2) | instskip(NEXT) | instid1(VALU_DEP_2)
	v_add_f64 v[14:15], v[14:15], v[2:3]
	v_add_f64 v[12:13], v[12:13], v[0:1]
	ds_load_b128 v[0:3], v22 offset:1024
	s_waitcnt lgkmcnt(0)
	v_mul_f64 v[4:5], v[36:37], v[2:3]
	v_mul_f64 v[6:7], v[34:35], v[2:3]
	s_delay_alu instid0(VALU_DEP_2) | instskip(NEXT) | instid1(VALU_DEP_2)
	v_fma_f64 v[4:5], v[34:35], v[0:1], -v[4:5]
	v_fma_f64 v[6:7], v[36:37], v[0:1], v[6:7]
	s_delay_alu instid0(VALU_DEP_2) | instskip(NEXT) | instid1(VALU_DEP_2)
	v_add_f64 v[42:43], v[46:47], v[4:5]
	v_add_f64 v[44:45], v[48:49], v[6:7]
	ds_load_b128 v[4:7], v22 offset:1280
	s_waitcnt lgkmcnt(0)
	v_mul_f64 v[8:9], v[36:37], v[6:7]
	v_mul_f64 v[10:11], v[34:35], v[6:7]
	s_delay_alu instid0(VALU_DEP_2) | instskip(NEXT) | instid1(VALU_DEP_2)
	v_fma_f64 v[8:9], v[34:35], v[4:5], -v[8:9]
	v_fma_f64 v[10:11], v[36:37], v[4:5], v[10:11]
	s_delay_alu instid0(VALU_DEP_2) | instskip(NEXT) | instid1(VALU_DEP_2)
	v_add_f64 v[28:29], v[28:29], v[8:9]
	v_add_f64 v[26:27], v[26:27], v[10:11]
	ds_load_b128 v[8:11], v25 offset:2080
	s_waitcnt lgkmcnt(0)
	v_mul_f64 v[34:35], v[10:11], v[2:3]
	v_mul_f64 v[2:3], v[8:9], v[2:3]
	s_delay_alu instid0(VALU_DEP_2) | instskip(NEXT) | instid1(VALU_DEP_2)
	v_fma_f64 v[34:35], v[8:9], v[0:1], -v[34:35]
	v_fma_f64 v[0:1], v[10:11], v[0:1], v[2:3]
	v_mul_f64 v[2:3], v[8:9], v[6:7]
	s_delay_alu instid0(VALU_DEP_3) | instskip(NEXT) | instid1(VALU_DEP_3)
	v_add_f64 v[30:31], v[30:31], v[34:35]
	v_add_f64 v[32:33], v[32:33], v[0:1]
	v_mul_f64 v[0:1], v[10:11], v[6:7]
	s_delay_alu instid0(VALU_DEP_4) | instskip(NEXT) | instid1(VALU_DEP_2)
	v_fma_f64 v[2:3], v[10:11], v[4:5], v[2:3]
	v_fma_f64 v[0:1], v[8:9], v[4:5], -v[0:1]
	s_delay_alu instid0(VALU_DEP_2) | instskip(NEXT) | instid1(VALU_DEP_2)
	v_add_f64 v[14:15], v[14:15], v[2:3]
	;; [unrolled: 38-line block ×3, first 2 shown]
	v_add_f64 v[12:13], v[12:13], v[0:1]
	ds_load_b128 v[0:3], v25 offset:64
	ds_load_b128 v[4:7], v22 offset:2048
	s_waitcnt lgkmcnt(0)
	v_mul_f64 v[8:9], v[2:3], v[6:7]
	v_mul_f64 v[10:11], v[0:1], v[6:7]
	s_delay_alu instid0(VALU_DEP_2) | instskip(NEXT) | instid1(VALU_DEP_2)
	v_fma_f64 v[8:9], v[0:1], v[4:5], -v[8:9]
	v_fma_f64 v[10:11], v[2:3], v[4:5], v[10:11]
	s_delay_alu instid0(VALU_DEP_2) | instskip(NEXT) | instid1(VALU_DEP_2)
	v_add_f64 v[34:35], v[34:35], v[8:9]
	v_add_f64 v[36:37], v[36:37], v[10:11]
	ds_load_b128 v[8:11], v22 offset:2304
	s_waitcnt lgkmcnt(0)
	v_mul_f64 v[38:39], v[2:3], v[10:11]
	s_delay_alu instid0(VALU_DEP_1) | instskip(SKIP_1) | instid1(VALU_DEP_2)
	v_fma_f64 v[38:39], v[0:1], v[8:9], -v[38:39]
	v_mul_f64 v[0:1], v[0:1], v[10:11]
	v_add_f64 v[28:29], v[28:29], v[38:39]
	s_delay_alu instid0(VALU_DEP_2) | instskip(NEXT) | instid1(VALU_DEP_1)
	v_fma_f64 v[0:1], v[2:3], v[8:9], v[0:1]
	v_add_f64 v[26:27], v[26:27], v[0:1]
	ds_load_b128 v[0:3], v25 offset:2112
	s_waitcnt lgkmcnt(0)
	v_mul_f64 v[38:39], v[2:3], v[6:7]
	v_mul_f64 v[6:7], v[0:1], v[6:7]
	s_delay_alu instid0(VALU_DEP_2) | instskip(NEXT) | instid1(VALU_DEP_2)
	v_fma_f64 v[38:39], v[0:1], v[4:5], -v[38:39]
	v_fma_f64 v[4:5], v[2:3], v[4:5], v[6:7]
	s_delay_alu instid0(VALU_DEP_2) | instskip(NEXT) | instid1(VALU_DEP_2)
	v_add_f64 v[30:31], v[30:31], v[38:39]
	v_add_f64 v[32:33], v[32:33], v[4:5]
	v_mul_f64 v[4:5], v[2:3], v[10:11]
	s_delay_alu instid0(VALU_DEP_1) | instskip(SKIP_1) | instid1(VALU_DEP_2)
	v_fma_f64 v[4:5], v[0:1], v[8:9], -v[4:5]
	v_mul_f64 v[0:1], v[0:1], v[10:11]
	v_add_f64 v[12:13], v[12:13], v[4:5]
	s_delay_alu instid0(VALU_DEP_2) | instskip(NEXT) | instid1(VALU_DEP_1)
	v_fma_f64 v[0:1], v[2:3], v[8:9], v[0:1]
	v_add_f64 v[14:15], v[14:15], v[0:1]
	ds_load_b128 v[0:3], v25 offset:80
	ds_load_b128 v[4:7], v22 offset:2560
	s_waitcnt lgkmcnt(0)
	v_mul_f64 v[8:9], v[2:3], v[6:7]
	v_mul_f64 v[10:11], v[0:1], v[6:7]
	s_delay_alu instid0(VALU_DEP_2) | instskip(NEXT) | instid1(VALU_DEP_2)
	v_fma_f64 v[8:9], v[0:1], v[4:5], -v[8:9]
	v_fma_f64 v[10:11], v[2:3], v[4:5], v[10:11]
	s_delay_alu instid0(VALU_DEP_2) | instskip(NEXT) | instid1(VALU_DEP_2)
	v_add_f64 v[34:35], v[34:35], v[8:9]
	v_add_f64 v[36:37], v[36:37], v[10:11]
	ds_load_b128 v[8:11], v22 offset:2816
	s_waitcnt lgkmcnt(0)
	v_mul_f64 v[38:39], v[2:3], v[10:11]
	s_delay_alu instid0(VALU_DEP_1) | instskip(SKIP_1) | instid1(VALU_DEP_2)
	v_fma_f64 v[38:39], v[0:1], v[8:9], -v[38:39]
	v_mul_f64 v[0:1], v[0:1], v[10:11]
	v_add_f64 v[28:29], v[28:29], v[38:39]
	s_delay_alu instid0(VALU_DEP_2) | instskip(NEXT) | instid1(VALU_DEP_1)
	v_fma_f64 v[0:1], v[2:3], v[8:9], v[0:1]
	v_add_f64 v[26:27], v[26:27], v[0:1]
	ds_load_b128 v[0:3], v25 offset:2128
	s_waitcnt lgkmcnt(0)
	v_mul_f64 v[38:39], v[2:3], v[6:7]
	v_mul_f64 v[6:7], v[0:1], v[6:7]
	s_delay_alu instid0(VALU_DEP_2) | instskip(NEXT) | instid1(VALU_DEP_2)
	v_fma_f64 v[38:39], v[0:1], v[4:5], -v[38:39]
	v_fma_f64 v[4:5], v[2:3], v[4:5], v[6:7]
	s_delay_alu instid0(VALU_DEP_2) | instskip(NEXT) | instid1(VALU_DEP_2)
	v_add_f64 v[30:31], v[30:31], v[38:39]
	v_add_f64 v[32:33], v[32:33], v[4:5]
	v_mul_f64 v[4:5], v[2:3], v[10:11]
	s_delay_alu instid0(VALU_DEP_1) | instskip(SKIP_1) | instid1(VALU_DEP_2)
	v_fma_f64 v[4:5], v[0:1], v[8:9], -v[4:5]
	v_mul_f64 v[0:1], v[0:1], v[10:11]
	v_add_f64 v[12:13], v[12:13], v[4:5]
	s_delay_alu instid0(VALU_DEP_2) | instskip(NEXT) | instid1(VALU_DEP_1)
	v_fma_f64 v[0:1], v[2:3], v[8:9], v[0:1]
	;; [unrolled: 39-line block ×3, first 2 shown]
	v_add_f64 v[40:41], v[14:15], v[0:1]
	ds_load_b128 v[0:3], v25 offset:112
	ds_load_b128 v[8:11], v22 offset:3584
	;; [unrolled: 1-line block ×3, first 2 shown]
	s_waitcnt lgkmcnt(1)
	v_mul_f64 v[4:5], v[2:3], v[10:11]
	v_mul_f64 v[6:7], v[0:1], v[10:11]
	s_delay_alu instid0(VALU_DEP_2) | instskip(NEXT) | instid1(VALU_DEP_2)
	v_fma_f64 v[4:5], v[0:1], v[8:9], -v[4:5]
	v_fma_f64 v[6:7], v[2:3], v[8:9], v[6:7]
	s_delay_alu instid0(VALU_DEP_2) | instskip(SKIP_2) | instid1(VALU_DEP_3)
	v_add_f64 v[4:5], v[34:35], v[4:5]
	s_waitcnt lgkmcnt(0)
	v_mul_f64 v[34:35], v[2:3], v[14:15]
	v_add_f64 v[6:7], v[36:37], v[6:7]
	s_delay_alu instid0(VALU_DEP_2) | instskip(SKIP_1) | instid1(VALU_DEP_1)
	v_fma_f64 v[34:35], v[0:1], v[12:13], -v[34:35]
	v_mul_f64 v[0:1], v[0:1], v[14:15]
	v_fma_f64 v[2:3], v[2:3], v[12:13], v[0:1]
	s_delay_alu instid0(VALU_DEP_3) | instskip(NEXT) | instid1(VALU_DEP_2)
	v_add_f64 v[0:1], v[28:29], v[34:35]
	v_add_f64 v[2:3], v[26:27], v[2:3]
	ds_load_b128 v[26:29], v25 offset:2160
	s_waitcnt lgkmcnt(0)
	s_barrier
	buffer_gl0_inv
	v_mul_f64 v[34:35], v[28:29], v[10:11]
	v_mul_f64 v[10:11], v[26:27], v[10:11]
	s_delay_alu instid0(VALU_DEP_2) | instskip(NEXT) | instid1(VALU_DEP_2)
	v_fma_f64 v[34:35], v[26:27], v[8:9], -v[34:35]
	v_fma_f64 v[10:11], v[28:29], v[8:9], v[10:11]
	s_delay_alu instid0(VALU_DEP_2) | instskip(SKIP_2) | instid1(VALU_DEP_4)
	v_add_f64 v[8:9], v[30:31], v[34:35]
	v_mul_f64 v[30:31], v[28:29], v[14:15]
	v_mul_f64 v[14:15], v[26:27], v[14:15]
	v_add_f64 v[10:11], v[32:33], v[10:11]
	s_delay_alu instid0(VALU_DEP_3) | instskip(NEXT) | instid1(VALU_DEP_3)
	v_fma_f64 v[30:31], v[26:27], v[12:13], -v[30:31]
	v_fma_f64 v[14:15], v[28:29], v[12:13], v[14:15]
	s_delay_alu instid0(VALU_DEP_2) | instskip(NEXT) | instid1(VALU_DEP_2)
	v_add_f64 v[12:13], v[38:39], v[30:31]
	v_add_f64 v[14:15], v[40:41], v[14:15]
	s_cbranch_scc0 .LBB246_2
.LBB246_3:
	s_clause 0x1
	s_load_b32 s3, s[0:1], 0x40
	s_load_b64 s[4:5], s[0:1], 0x48
	v_add_nc_u32_e32 v18, s13, v21
	v_add_nc_u32_e32 v16, s12, v20
	s_delay_alu instid0(VALU_DEP_1)
	v_cmp_le_i32_e64 s0, v18, v16
	v_cmp_gt_i32_e32 vcc_lo, s2, v16
	s_waitcnt lgkmcnt(0)
	v_mad_i64_i32 v[19:20], null, v18, s3, 0
	s_mul_i32 s1, s15, s5
	s_mul_hi_u32 s5, s15, s4
	s_mul_i32 s4, s15, s4
	s_add_i32 s5, s5, s1
	s_delay_alu instid0(SALU_CYCLE_1) | instskip(NEXT) | instid1(VALU_DEP_1)
	s_lshl_b64 s[4:5], s[4:5], 4
	v_lshlrev_b64 v[19:20], 4, v[19:20]
	s_add_u32 s4, s6, s4
	s_addc_u32 s5, s7, s5
	s_and_b32 s0, s0, vcc_lo
	s_delay_alu instid0(VALU_DEP_1) | instskip(NEXT) | instid1(VALU_DEP_1)
	v_add_co_u32 v19, s1, s4, v19
	v_add_co_ci_u32_e64 v20, s1, s5, v20, s1
	s_and_saveexec_b32 s1, s0
	s_cbranch_execz .LBB246_5
; %bb.4:
	v_ashrrev_i32_e32 v17, 31, v16
	s_delay_alu instid0(VALU_DEP_1) | instskip(NEXT) | instid1(VALU_DEP_1)
	v_lshlrev_b64 v[21:22], 4, v[16:17]
	v_add_co_u32 v21, s0, v19, v21
	s_delay_alu instid0(VALU_DEP_1)
	v_add_co_ci_u32_e64 v22, s0, v20, v22, s0
	global_store_b128 v[21:22], v[4:7], off
.LBB246_5:
	s_or_b32 exec_lo, exec_lo, s1
	v_add_nc_u32_e32 v4, 16, v16
	s_delay_alu instid0(VALU_DEP_1) | instskip(SKIP_1) | instid1(VALU_DEP_1)
	v_cmp_le_i32_e64 s1, v18, v4
	v_cmp_gt_i32_e64 s0, s2, v4
	s_and_b32 s1, s1, s0
	s_delay_alu instid0(SALU_CYCLE_1)
	s_and_saveexec_b32 s2, s1
	s_cbranch_execz .LBB246_7
; %bb.6:
	v_ashrrev_i32_e32 v5, 31, v4
	s_delay_alu instid0(VALU_DEP_1) | instskip(NEXT) | instid1(VALU_DEP_1)
	v_lshlrev_b64 v[5:6], 4, v[4:5]
	v_add_co_u32 v5, s1, v19, v5
	s_delay_alu instid0(VALU_DEP_1)
	v_add_co_ci_u32_e64 v6, s1, v20, v6, s1
	global_store_b128 v[5:6], v[0:3], off
.LBB246_7:
	s_or_b32 exec_lo, exec_lo, s2
	v_add_nc_u32_e32 v2, 16, v18
	s_delay_alu instid0(VALU_DEP_1) | instskip(SKIP_1) | instid1(VALU_DEP_2)
	v_mad_i64_i32 v[0:1], null, v2, s3, 0
	v_cmp_le_i32_e64 s1, v2, v16
	v_lshlrev_b64 v[0:1], 4, v[0:1]
	s_delay_alu instid0(VALU_DEP_1) | instskip(NEXT) | instid1(VALU_DEP_1)
	v_add_co_u32 v0, s2, s4, v0
	v_add_co_ci_u32_e64 v1, s2, s5, v1, s2
	s_delay_alu instid0(VALU_DEP_4) | instskip(NEXT) | instid1(SALU_CYCLE_1)
	s_and_b32 s2, s1, vcc_lo
	s_and_saveexec_b32 s1, s2
	s_cbranch_execz .LBB246_9
; %bb.8:
	v_ashrrev_i32_e32 v17, 31, v16
	s_delay_alu instid0(VALU_DEP_1) | instskip(NEXT) | instid1(VALU_DEP_1)
	v_lshlrev_b64 v[5:6], 4, v[16:17]
	v_add_co_u32 v5, vcc_lo, v0, v5
	s_delay_alu instid0(VALU_DEP_2)
	v_add_co_ci_u32_e32 v6, vcc_lo, v1, v6, vcc_lo
	global_store_b128 v[5:6], v[8:11], off
.LBB246_9:
	s_or_b32 exec_lo, exec_lo, s1
	v_cmp_le_i32_e32 vcc_lo, v2, v4
	s_and_b32 s0, vcc_lo, s0
	s_delay_alu instid0(SALU_CYCLE_1)
	s_and_saveexec_b32 s1, s0
	s_cbranch_execz .LBB246_11
; %bb.10:
	v_ashrrev_i32_e32 v5, 31, v4
	s_delay_alu instid0(VALU_DEP_1) | instskip(NEXT) | instid1(VALU_DEP_1)
	v_lshlrev_b64 v[2:3], 4, v[4:5]
	v_add_co_u32 v0, vcc_lo, v0, v2
	s_delay_alu instid0(VALU_DEP_2)
	v_add_co_ci_u32_e32 v1, vcc_lo, v1, v3, vcc_lo
	global_store_b128 v[0:1], v[12:15], off
.LBB246_11:
	s_nop 0
	s_sendmsg sendmsg(MSG_DEALLOC_VGPRS)
	s_endpgm
	.section	.rodata,"a",@progbits
	.p2align	6, 0x0
	.amdhsa_kernel _ZL37rocblas_syrkx_herkx_restricted_kernelIi19rocblas_complex_numIdELi16ELi32ELi8ELi1ELi0ELb0ELc67ELc76EKS1_S1_EviT_PT9_S3_lS5_S3_lPT10_S3_li
		.amdhsa_group_segment_fixed_size 8192
		.amdhsa_private_segment_fixed_size 0
		.amdhsa_kernarg_size 84
		.amdhsa_user_sgpr_count 13
		.amdhsa_user_sgpr_dispatch_ptr 0
		.amdhsa_user_sgpr_queue_ptr 0
		.amdhsa_user_sgpr_kernarg_segment_ptr 1
		.amdhsa_user_sgpr_dispatch_id 0
		.amdhsa_user_sgpr_private_segment_size 0
		.amdhsa_wavefront_size32 1
		.amdhsa_uses_dynamic_stack 0
		.amdhsa_enable_private_segment 0
		.amdhsa_system_sgpr_workgroup_id_x 1
		.amdhsa_system_sgpr_workgroup_id_y 1
		.amdhsa_system_sgpr_workgroup_id_z 1
		.amdhsa_system_sgpr_workgroup_info 0
		.amdhsa_system_vgpr_workitem_id 1
		.amdhsa_next_free_vgpr 52
		.amdhsa_next_free_sgpr 20
		.amdhsa_reserve_vcc 1
		.amdhsa_float_round_mode_32 0
		.amdhsa_float_round_mode_16_64 0
		.amdhsa_float_denorm_mode_32 3
		.amdhsa_float_denorm_mode_16_64 3
		.amdhsa_dx10_clamp 1
		.amdhsa_ieee_mode 1
		.amdhsa_fp16_overflow 0
		.amdhsa_workgroup_processor_mode 1
		.amdhsa_memory_ordered 1
		.amdhsa_forward_progress 0
		.amdhsa_shared_vgpr_count 0
		.amdhsa_exception_fp_ieee_invalid_op 0
		.amdhsa_exception_fp_denorm_src 0
		.amdhsa_exception_fp_ieee_div_zero 0
		.amdhsa_exception_fp_ieee_overflow 0
		.amdhsa_exception_fp_ieee_underflow 0
		.amdhsa_exception_fp_ieee_inexact 0
		.amdhsa_exception_int_div_zero 0
	.end_amdhsa_kernel
	.section	.text._ZL37rocblas_syrkx_herkx_restricted_kernelIi19rocblas_complex_numIdELi16ELi32ELi8ELi1ELi0ELb0ELc67ELc76EKS1_S1_EviT_PT9_S3_lS5_S3_lPT10_S3_li,"axG",@progbits,_ZL37rocblas_syrkx_herkx_restricted_kernelIi19rocblas_complex_numIdELi16ELi32ELi8ELi1ELi0ELb0ELc67ELc76EKS1_S1_EviT_PT9_S3_lS5_S3_lPT10_S3_li,comdat
.Lfunc_end246:
	.size	_ZL37rocblas_syrkx_herkx_restricted_kernelIi19rocblas_complex_numIdELi16ELi32ELi8ELi1ELi0ELb0ELc67ELc76EKS1_S1_EviT_PT9_S3_lS5_S3_lPT10_S3_li, .Lfunc_end246-_ZL37rocblas_syrkx_herkx_restricted_kernelIi19rocblas_complex_numIdELi16ELi32ELi8ELi1ELi0ELb0ELc67ELc76EKS1_S1_EviT_PT9_S3_lS5_S3_lPT10_S3_li
                                        ; -- End function
	.section	.AMDGPU.csdata,"",@progbits
; Kernel info:
; codeLenInByte = 3184
; NumSgprs: 22
; NumVgprs: 52
; ScratchSize: 0
; MemoryBound: 0
; FloatMode: 240
; IeeeMode: 1
; LDSByteSize: 8192 bytes/workgroup (compile time only)
; SGPRBlocks: 2
; VGPRBlocks: 6
; NumSGPRsForWavesPerEU: 22
; NumVGPRsForWavesPerEU: 52
; Occupancy: 16
; WaveLimiterHint : 0
; COMPUTE_PGM_RSRC2:SCRATCH_EN: 0
; COMPUTE_PGM_RSRC2:USER_SGPR: 13
; COMPUTE_PGM_RSRC2:TRAP_HANDLER: 0
; COMPUTE_PGM_RSRC2:TGID_X_EN: 1
; COMPUTE_PGM_RSRC2:TGID_Y_EN: 1
; COMPUTE_PGM_RSRC2:TGID_Z_EN: 1
; COMPUTE_PGM_RSRC2:TIDIG_COMP_CNT: 1
	.section	.text._ZL37rocblas_syrkx_herkx_restricted_kernelIi19rocblas_complex_numIdELi16ELi32ELi8ELi1ELi0ELb0ELc78ELc76EKS1_S1_EviT_PT9_S3_lS5_S3_lPT10_S3_li,"axG",@progbits,_ZL37rocblas_syrkx_herkx_restricted_kernelIi19rocblas_complex_numIdELi16ELi32ELi8ELi1ELi0ELb0ELc78ELc76EKS1_S1_EviT_PT9_S3_lS5_S3_lPT10_S3_li,comdat
	.globl	_ZL37rocblas_syrkx_herkx_restricted_kernelIi19rocblas_complex_numIdELi16ELi32ELi8ELi1ELi0ELb0ELc78ELc76EKS1_S1_EviT_PT9_S3_lS5_S3_lPT10_S3_li ; -- Begin function _ZL37rocblas_syrkx_herkx_restricted_kernelIi19rocblas_complex_numIdELi16ELi32ELi8ELi1ELi0ELb0ELc78ELc76EKS1_S1_EviT_PT9_S3_lS5_S3_lPT10_S3_li
	.p2align	8
	.type	_ZL37rocblas_syrkx_herkx_restricted_kernelIi19rocblas_complex_numIdELi16ELi32ELi8ELi1ELi0ELb0ELc78ELc76EKS1_S1_EviT_PT9_S3_lS5_S3_lPT10_S3_li,@function
_ZL37rocblas_syrkx_herkx_restricted_kernelIi19rocblas_complex_numIdELi16ELi32ELi8ELi1ELi0ELb0ELc78ELc76EKS1_S1_EviT_PT9_S3_lS5_S3_lPT10_S3_li: ; @_ZL37rocblas_syrkx_herkx_restricted_kernelIi19rocblas_complex_numIdELi16ELi32ELi8ELi1ELi0ELb0ELc78ELc76EKS1_S1_EviT_PT9_S3_lS5_S3_lPT10_S3_li
; %bb.0:
	s_clause 0x1
	s_load_b64 s[2:3], s[0:1], 0x0
	s_load_b128 s[4:7], s[0:1], 0x30
	v_mov_b32_e32 v4, 0
	v_dual_mov_b32 v5, 0 :: v_dual_and_b32 v20, 0x3ff, v0
	v_bfe_u32 v21, v0, 10, 10
	s_delay_alu instid0(VALU_DEP_3) | instskip(NEXT) | instid1(VALU_DEP_3)
	v_mov_b32_e32 v0, v4
	v_dual_mov_b32 v2, v4 :: v_dual_mov_b32 v3, v5
	v_dual_mov_b32 v7, v5 :: v_dual_mov_b32 v6, v4
	v_mov_b32_e32 v1, v5
	v_dual_mov_b32 v9, v5 :: v_dual_mov_b32 v8, v4
	v_dual_mov_b32 v11, v5 :: v_dual_mov_b32 v10, v4
	;; [unrolled: 1-line block ×4, first 2 shown]
	s_lshl_b32 s12, s13, 5
	s_lshl_b32 s13, s14, 5
	s_waitcnt lgkmcnt(0)
	s_cmp_lt_i32 s3, 1
	s_mov_b32 s14, 0
	s_cbranch_scc1 .LBB247_3
; %bb.1:
	v_lshl_add_u32 v0, v21, 4, v20
	v_and_b32_e32 v6, 7, v20
	s_clause 0x1
	s_load_b32 s16, s[0:1], 0x10
	s_load_b32 s18, s[0:1], 0x28
	v_mov_b32_e32 v14, 0
	v_mov_b32_e32 v15, 0
	v_lshrrev_b32_e32 v1, 3, v0
	s_delay_alu instid0(VALU_DEP_3) | instskip(NEXT) | instid1(VALU_DEP_3)
	v_dual_mov_b32 v12, v14 :: v_dual_lshlrev_b32 v3, 4, v6
	v_dual_mov_b32 v13, v15 :: v_dual_and_b32 v2, 31, v0
	s_clause 0x1
	s_load_b128 s[8:11], s[0:1], 0x18
	s_load_b64 s[20:21], s[0:1], 0x8
	v_lshl_or_b32 v8, v1, 7, v3
	v_lshrrev_b32_e32 v7, 5, v0
	v_add_nc_u32_e32 v0, s13, v1
	v_lshlrev_b32_e32 v4, 4, v2
	v_add_nc_u32_e32 v2, s12, v2
	v_dual_mov_b32 v10, v14 :: v_dual_add_nc_u32 v23, 0x1000, v8
	v_mov_b32_e32 v11, v15
	v_ashrrev_i32_e32 v1, 31, v0
	s_delay_alu instid0(VALU_DEP_4)
	v_ashrrev_i32_e32 v3, 31, v2
	v_dual_mov_b32 v8, v14 :: v_dual_mov_b32 v9, v15
	v_lshl_or_b32 v22, v7, 9, v4
	s_waitcnt lgkmcnt(0)
	v_mad_i64_i32 v[4:5], null, s18, v6, v[0:1]
	v_mad_i64_i32 v[0:1], null, s16, v7, v[2:3]
	s_ashr_i32 s17, s16, 31
	s_mul_i32 s9, s9, s15
	s_mul_hi_u32 s22, s8, s15
	s_mul_i32 s8, s8, s15
	s_add_i32 s9, s22, s9
	s_ashr_i32 s19, s18, 31
	s_delay_alu instid0(VALU_DEP_1)
	v_lshlrev_b64 v[0:1], 4, v[0:1]
	s_lshl_b64 s[8:9], s[8:9], 4
	s_mul_i32 s5, s5, s15
	s_add_u32 s8, s20, s8
	s_addc_u32 s9, s21, s9
	s_mul_hi_u32 s20, s4, s15
	v_add_co_u32 v2, vcc_lo, s8, v0
	v_add_co_ci_u32_e32 v3, vcc_lo, s9, v1, vcc_lo
	s_add_i32 s5, s20, s5
	s_mul_i32 s4, s4, s15
	v_lshlrev_b64 v[0:1], 4, v[4:5]
	s_lshl_b64 s[8:9], s[4:5], 4
	s_lshl_b64 s[4:5], s[16:17], 7
	s_add_u32 s8, s10, s8
	s_addc_u32 s9, s11, s9
	v_dual_mov_b32 v6, v14 :: v_dual_mov_b32 v7, v15
	v_add_co_u32 v0, vcc_lo, s8, v0
	v_add_co_ci_u32_e32 v1, vcc_lo, s9, v1, vcc_lo
	v_add_co_u32 v16, vcc_lo, v2, 8
	v_add_co_ci_u32_e32 v17, vcc_lo, 0, v3, vcc_lo
	s_delay_alu instid0(VALU_DEP_4) | instskip(NEXT) | instid1(VALU_DEP_4)
	v_add_co_u32 v18, vcc_lo, v0, 8
	v_add_co_ci_u32_e32 v19, vcc_lo, 0, v1, vcc_lo
	v_mov_b32_e32 v2, v14
	v_mov_b32_e32 v0, v14
	v_dual_mov_b32 v4, v14 :: v_dual_mov_b32 v5, v15
	v_dual_mov_b32 v1, v15 :: v_dual_lshlrev_b32 v24, 4, v20
	v_lshl_add_u32 v25, v21, 7, 0x1000
	v_mov_b32_e32 v3, v15
	s_lshl_b64 s[8:9], s[18:19], 7
.LBB247_2:                              ; =>This Inner Loop Header: Depth=1
	global_load_b128 v[26:29], v[16:17], off offset:-8
	v_add_co_u32 v16, vcc_lo, v16, s4
	v_add_co_ci_u32_e32 v17, vcc_lo, s5, v17, vcc_lo
	s_add_i32 s14, s14, 8
	s_delay_alu instid0(SALU_CYCLE_1)
	s_cmp_ge_i32 s14, s3
	s_waitcnt vmcnt(0)
	ds_store_b128 v22, v[26:29]
	global_load_b128 v[26:29], v[18:19], off offset:-8
	v_add_co_u32 v18, vcc_lo, v18, s8
	v_add_co_ci_u32_e32 v19, vcc_lo, s9, v19, vcc_lo
	s_waitcnt vmcnt(0)
	ds_store_b128 v23, v[26:29]
	s_waitcnt lgkmcnt(0)
	s_barrier
	buffer_gl0_inv
	ds_load_b128 v[26:29], v25
	ds_load_b128 v[30:33], v25 offset:16
	ds_load_b128 v[34:37], v25 offset:32
	;; [unrolled: 1-line block ×3, first 2 shown]
	ds_load_b128 v[42:45], v24
	s_waitcnt lgkmcnt(0)
	v_mul_f64 v[46:47], v[28:29], v[44:45]
	v_mul_f64 v[48:49], v[26:27], v[44:45]
	s_delay_alu instid0(VALU_DEP_2) | instskip(NEXT) | instid1(VALU_DEP_2)
	v_fma_f64 v[46:47], v[26:27], v[42:43], -v[46:47]
	v_fma_f64 v[48:49], v[28:29], v[42:43], v[48:49]
	s_delay_alu instid0(VALU_DEP_2) | instskip(NEXT) | instid1(VALU_DEP_2)
	v_add_f64 v[46:47], v[4:5], v[46:47]
	v_add_f64 v[48:49], v[6:7], v[48:49]
	ds_load_b128 v[4:7], v24 offset:256
	s_waitcnt lgkmcnt(0)
	v_mul_f64 v[50:51], v[28:29], v[6:7]
	s_delay_alu instid0(VALU_DEP_1) | instskip(SKIP_1) | instid1(VALU_DEP_1)
	v_fma_f64 v[50:51], v[26:27], v[4:5], -v[50:51]
	v_mul_f64 v[26:27], v[26:27], v[6:7]
	v_fma_f64 v[26:27], v[28:29], v[4:5], v[26:27]
	s_delay_alu instid0(VALU_DEP_3) | instskip(NEXT) | instid1(VALU_DEP_2)
	v_add_f64 v[28:29], v[0:1], v[50:51]
	v_add_f64 v[26:27], v[2:3], v[26:27]
	ds_load_b128 v[0:3], v25 offset:2048
	s_waitcnt lgkmcnt(0)
	v_mul_f64 v[50:51], v[2:3], v[44:45]
	v_mul_f64 v[44:45], v[0:1], v[44:45]
	s_delay_alu instid0(VALU_DEP_2) | instskip(NEXT) | instid1(VALU_DEP_2)
	v_fma_f64 v[50:51], v[0:1], v[42:43], -v[50:51]
	v_fma_f64 v[42:43], v[2:3], v[42:43], v[44:45]
	s_delay_alu instid0(VALU_DEP_2) | instskip(SKIP_1) | instid1(VALU_DEP_3)
	v_add_f64 v[44:45], v[8:9], v[50:51]
	v_mul_f64 v[8:9], v[2:3], v[6:7]
	v_add_f64 v[42:43], v[10:11], v[42:43]
	s_delay_alu instid0(VALU_DEP_2) | instskip(SKIP_1) | instid1(VALU_DEP_2)
	v_fma_f64 v[8:9], v[0:1], v[4:5], -v[8:9]
	v_mul_f64 v[0:1], v[0:1], v[6:7]
	v_add_f64 v[12:13], v[12:13], v[8:9]
	s_delay_alu instid0(VALU_DEP_2) | instskip(NEXT) | instid1(VALU_DEP_1)
	v_fma_f64 v[0:1], v[2:3], v[4:5], v[0:1]
	v_add_f64 v[14:15], v[14:15], v[0:1]
	ds_load_b128 v[0:3], v24 offset:512
	s_waitcnt lgkmcnt(0)
	v_mul_f64 v[4:5], v[32:33], v[2:3]
	v_mul_f64 v[6:7], v[30:31], v[2:3]
	s_delay_alu instid0(VALU_DEP_2) | instskip(NEXT) | instid1(VALU_DEP_2)
	v_fma_f64 v[4:5], v[30:31], v[0:1], -v[4:5]
	v_fma_f64 v[6:7], v[32:33], v[0:1], v[6:7]
	s_delay_alu instid0(VALU_DEP_2) | instskip(NEXT) | instid1(VALU_DEP_2)
	v_add_f64 v[46:47], v[46:47], v[4:5]
	v_add_f64 v[48:49], v[48:49], v[6:7]
	ds_load_b128 v[4:7], v24 offset:768
	s_waitcnt lgkmcnt(0)
	v_mul_f64 v[8:9], v[32:33], v[6:7]
	v_mul_f64 v[10:11], v[30:31], v[6:7]
	s_delay_alu instid0(VALU_DEP_2) | instskip(NEXT) | instid1(VALU_DEP_2)
	v_fma_f64 v[8:9], v[30:31], v[4:5], -v[8:9]
	v_fma_f64 v[10:11], v[32:33], v[4:5], v[10:11]
	s_delay_alu instid0(VALU_DEP_2) | instskip(NEXT) | instid1(VALU_DEP_2)
	v_add_f64 v[28:29], v[28:29], v[8:9]
	v_add_f64 v[26:27], v[26:27], v[10:11]
	ds_load_b128 v[8:11], v25 offset:2064
	s_waitcnt lgkmcnt(0)
	v_mul_f64 v[30:31], v[10:11], v[2:3]
	v_mul_f64 v[2:3], v[8:9], v[2:3]
	s_delay_alu instid0(VALU_DEP_2) | instskip(NEXT) | instid1(VALU_DEP_2)
	v_fma_f64 v[30:31], v[8:9], v[0:1], -v[30:31]
	v_fma_f64 v[0:1], v[10:11], v[0:1], v[2:3]
	v_mul_f64 v[2:3], v[8:9], v[6:7]
	s_delay_alu instid0(VALU_DEP_3) | instskip(NEXT) | instid1(VALU_DEP_3)
	v_add_f64 v[30:31], v[44:45], v[30:31]
	v_add_f64 v[32:33], v[42:43], v[0:1]
	v_mul_f64 v[0:1], v[10:11], v[6:7]
	s_delay_alu instid0(VALU_DEP_4) | instskip(NEXT) | instid1(VALU_DEP_2)
	v_fma_f64 v[2:3], v[10:11], v[4:5], v[2:3]
	v_fma_f64 v[0:1], v[8:9], v[4:5], -v[0:1]
	s_delay_alu instid0(VALU_DEP_2) | instskip(NEXT) | instid1(VALU_DEP_2)
	v_add_f64 v[14:15], v[14:15], v[2:3]
	v_add_f64 v[12:13], v[12:13], v[0:1]
	ds_load_b128 v[0:3], v24 offset:1024
	s_waitcnt lgkmcnt(0)
	v_mul_f64 v[4:5], v[36:37], v[2:3]
	v_mul_f64 v[6:7], v[34:35], v[2:3]
	s_delay_alu instid0(VALU_DEP_2) | instskip(NEXT) | instid1(VALU_DEP_2)
	v_fma_f64 v[4:5], v[34:35], v[0:1], -v[4:5]
	v_fma_f64 v[6:7], v[36:37], v[0:1], v[6:7]
	s_delay_alu instid0(VALU_DEP_2) | instskip(NEXT) | instid1(VALU_DEP_2)
	v_add_f64 v[42:43], v[46:47], v[4:5]
	v_add_f64 v[44:45], v[48:49], v[6:7]
	ds_load_b128 v[4:7], v24 offset:1280
	s_waitcnt lgkmcnt(0)
	v_mul_f64 v[8:9], v[36:37], v[6:7]
	v_mul_f64 v[10:11], v[34:35], v[6:7]
	s_delay_alu instid0(VALU_DEP_2) | instskip(NEXT) | instid1(VALU_DEP_2)
	v_fma_f64 v[8:9], v[34:35], v[4:5], -v[8:9]
	v_fma_f64 v[10:11], v[36:37], v[4:5], v[10:11]
	s_delay_alu instid0(VALU_DEP_2) | instskip(NEXT) | instid1(VALU_DEP_2)
	v_add_f64 v[28:29], v[28:29], v[8:9]
	v_add_f64 v[26:27], v[26:27], v[10:11]
	ds_load_b128 v[8:11], v25 offset:2080
	s_waitcnt lgkmcnt(0)
	v_mul_f64 v[34:35], v[10:11], v[2:3]
	v_mul_f64 v[2:3], v[8:9], v[2:3]
	s_delay_alu instid0(VALU_DEP_2) | instskip(NEXT) | instid1(VALU_DEP_2)
	v_fma_f64 v[34:35], v[8:9], v[0:1], -v[34:35]
	v_fma_f64 v[0:1], v[10:11], v[0:1], v[2:3]
	v_mul_f64 v[2:3], v[8:9], v[6:7]
	s_delay_alu instid0(VALU_DEP_3) | instskip(NEXT) | instid1(VALU_DEP_3)
	v_add_f64 v[30:31], v[30:31], v[34:35]
	v_add_f64 v[32:33], v[32:33], v[0:1]
	v_mul_f64 v[0:1], v[10:11], v[6:7]
	s_delay_alu instid0(VALU_DEP_4) | instskip(NEXT) | instid1(VALU_DEP_2)
	v_fma_f64 v[2:3], v[10:11], v[4:5], v[2:3]
	v_fma_f64 v[0:1], v[8:9], v[4:5], -v[0:1]
	s_delay_alu instid0(VALU_DEP_2) | instskip(NEXT) | instid1(VALU_DEP_2)
	v_add_f64 v[14:15], v[14:15], v[2:3]
	;; [unrolled: 38-line block ×3, first 2 shown]
	v_add_f64 v[12:13], v[12:13], v[0:1]
	ds_load_b128 v[0:3], v25 offset:64
	ds_load_b128 v[4:7], v24 offset:2048
	s_waitcnt lgkmcnt(0)
	v_mul_f64 v[8:9], v[2:3], v[6:7]
	v_mul_f64 v[10:11], v[0:1], v[6:7]
	s_delay_alu instid0(VALU_DEP_2) | instskip(NEXT) | instid1(VALU_DEP_2)
	v_fma_f64 v[8:9], v[0:1], v[4:5], -v[8:9]
	v_fma_f64 v[10:11], v[2:3], v[4:5], v[10:11]
	s_delay_alu instid0(VALU_DEP_2) | instskip(NEXT) | instid1(VALU_DEP_2)
	v_add_f64 v[34:35], v[34:35], v[8:9]
	v_add_f64 v[36:37], v[36:37], v[10:11]
	ds_load_b128 v[8:11], v24 offset:2304
	s_waitcnt lgkmcnt(0)
	v_mul_f64 v[38:39], v[2:3], v[10:11]
	s_delay_alu instid0(VALU_DEP_1) | instskip(SKIP_1) | instid1(VALU_DEP_2)
	v_fma_f64 v[38:39], v[0:1], v[8:9], -v[38:39]
	v_mul_f64 v[0:1], v[0:1], v[10:11]
	v_add_f64 v[28:29], v[28:29], v[38:39]
	s_delay_alu instid0(VALU_DEP_2) | instskip(NEXT) | instid1(VALU_DEP_1)
	v_fma_f64 v[0:1], v[2:3], v[8:9], v[0:1]
	v_add_f64 v[26:27], v[26:27], v[0:1]
	ds_load_b128 v[0:3], v25 offset:2112
	s_waitcnt lgkmcnt(0)
	v_mul_f64 v[38:39], v[2:3], v[6:7]
	v_mul_f64 v[6:7], v[0:1], v[6:7]
	s_delay_alu instid0(VALU_DEP_2) | instskip(NEXT) | instid1(VALU_DEP_2)
	v_fma_f64 v[38:39], v[0:1], v[4:5], -v[38:39]
	v_fma_f64 v[4:5], v[2:3], v[4:5], v[6:7]
	s_delay_alu instid0(VALU_DEP_2) | instskip(NEXT) | instid1(VALU_DEP_2)
	v_add_f64 v[30:31], v[30:31], v[38:39]
	v_add_f64 v[32:33], v[32:33], v[4:5]
	v_mul_f64 v[4:5], v[2:3], v[10:11]
	s_delay_alu instid0(VALU_DEP_1) | instskip(SKIP_1) | instid1(VALU_DEP_2)
	v_fma_f64 v[4:5], v[0:1], v[8:9], -v[4:5]
	v_mul_f64 v[0:1], v[0:1], v[10:11]
	v_add_f64 v[12:13], v[12:13], v[4:5]
	s_delay_alu instid0(VALU_DEP_2) | instskip(NEXT) | instid1(VALU_DEP_1)
	v_fma_f64 v[0:1], v[2:3], v[8:9], v[0:1]
	v_add_f64 v[14:15], v[14:15], v[0:1]
	ds_load_b128 v[0:3], v25 offset:80
	ds_load_b128 v[4:7], v24 offset:2560
	s_waitcnt lgkmcnt(0)
	v_mul_f64 v[8:9], v[2:3], v[6:7]
	v_mul_f64 v[10:11], v[0:1], v[6:7]
	s_delay_alu instid0(VALU_DEP_2) | instskip(NEXT) | instid1(VALU_DEP_2)
	v_fma_f64 v[8:9], v[0:1], v[4:5], -v[8:9]
	v_fma_f64 v[10:11], v[2:3], v[4:5], v[10:11]
	s_delay_alu instid0(VALU_DEP_2) | instskip(NEXT) | instid1(VALU_DEP_2)
	v_add_f64 v[34:35], v[34:35], v[8:9]
	v_add_f64 v[36:37], v[36:37], v[10:11]
	ds_load_b128 v[8:11], v24 offset:2816
	s_waitcnt lgkmcnt(0)
	v_mul_f64 v[38:39], v[2:3], v[10:11]
	s_delay_alu instid0(VALU_DEP_1) | instskip(SKIP_1) | instid1(VALU_DEP_2)
	v_fma_f64 v[38:39], v[0:1], v[8:9], -v[38:39]
	v_mul_f64 v[0:1], v[0:1], v[10:11]
	v_add_f64 v[28:29], v[28:29], v[38:39]
	s_delay_alu instid0(VALU_DEP_2) | instskip(NEXT) | instid1(VALU_DEP_1)
	v_fma_f64 v[0:1], v[2:3], v[8:9], v[0:1]
	v_add_f64 v[26:27], v[26:27], v[0:1]
	ds_load_b128 v[0:3], v25 offset:2128
	s_waitcnt lgkmcnt(0)
	v_mul_f64 v[38:39], v[2:3], v[6:7]
	v_mul_f64 v[6:7], v[0:1], v[6:7]
	s_delay_alu instid0(VALU_DEP_2) | instskip(NEXT) | instid1(VALU_DEP_2)
	v_fma_f64 v[38:39], v[0:1], v[4:5], -v[38:39]
	v_fma_f64 v[4:5], v[2:3], v[4:5], v[6:7]
	s_delay_alu instid0(VALU_DEP_2) | instskip(NEXT) | instid1(VALU_DEP_2)
	v_add_f64 v[30:31], v[30:31], v[38:39]
	v_add_f64 v[32:33], v[32:33], v[4:5]
	v_mul_f64 v[4:5], v[2:3], v[10:11]
	s_delay_alu instid0(VALU_DEP_1) | instskip(SKIP_1) | instid1(VALU_DEP_2)
	v_fma_f64 v[4:5], v[0:1], v[8:9], -v[4:5]
	v_mul_f64 v[0:1], v[0:1], v[10:11]
	v_add_f64 v[12:13], v[12:13], v[4:5]
	s_delay_alu instid0(VALU_DEP_2) | instskip(NEXT) | instid1(VALU_DEP_1)
	v_fma_f64 v[0:1], v[2:3], v[8:9], v[0:1]
	v_add_f64 v[14:15], v[14:15], v[0:1]
	ds_load_b128 v[0:3], v25 offset:96
	ds_load_b128 v[4:7], v24 offset:3072
	s_waitcnt lgkmcnt(0)
	v_mul_f64 v[8:9], v[2:3], v[6:7]
	v_mul_f64 v[10:11], v[0:1], v[6:7]
	s_delay_alu instid0(VALU_DEP_2) | instskip(NEXT) | instid1(VALU_DEP_2)
	v_fma_f64 v[8:9], v[0:1], v[4:5], -v[8:9]
	v_fma_f64 v[10:11], v[2:3], v[4:5], v[10:11]
	s_delay_alu instid0(VALU_DEP_2) | instskip(NEXT) | instid1(VALU_DEP_2)
	v_add_f64 v[34:35], v[34:35], v[8:9]
	v_add_f64 v[36:37], v[36:37], v[10:11]
	ds_load_b128 v[8:11], v24 offset:3328
	s_waitcnt lgkmcnt(0)
	v_mul_f64 v[38:39], v[2:3], v[10:11]
	s_delay_alu instid0(VALU_DEP_1) | instskip(SKIP_1) | instid1(VALU_DEP_2)
	v_fma_f64 v[38:39], v[0:1], v[8:9], -v[38:39]
	v_mul_f64 v[0:1], v[0:1], v[10:11]
	v_add_f64 v[28:29], v[28:29], v[38:39]
	s_delay_alu instid0(VALU_DEP_2) | instskip(NEXT) | instid1(VALU_DEP_1)
	v_fma_f64 v[0:1], v[2:3], v[8:9], v[0:1]
	v_add_f64 v[26:27], v[26:27], v[0:1]
	ds_load_b128 v[0:3], v25 offset:2144
	s_waitcnt lgkmcnt(0)
	v_mul_f64 v[38:39], v[2:3], v[6:7]
	v_mul_f64 v[6:7], v[0:1], v[6:7]
	s_delay_alu instid0(VALU_DEP_2) | instskip(NEXT) | instid1(VALU_DEP_2)
	v_fma_f64 v[38:39], v[0:1], v[4:5], -v[38:39]
	v_fma_f64 v[4:5], v[2:3], v[4:5], v[6:7]
	s_delay_alu instid0(VALU_DEP_2) | instskip(NEXT) | instid1(VALU_DEP_2)
	v_add_f64 v[30:31], v[30:31], v[38:39]
	v_add_f64 v[32:33], v[32:33], v[4:5]
	v_mul_f64 v[4:5], v[2:3], v[10:11]
	s_delay_alu instid0(VALU_DEP_1) | instskip(SKIP_1) | instid1(VALU_DEP_2)
	v_fma_f64 v[4:5], v[0:1], v[8:9], -v[4:5]
	v_mul_f64 v[0:1], v[0:1], v[10:11]
	v_add_f64 v[38:39], v[12:13], v[4:5]
	s_delay_alu instid0(VALU_DEP_2) | instskip(NEXT) | instid1(VALU_DEP_1)
	v_fma_f64 v[0:1], v[2:3], v[8:9], v[0:1]
	v_add_f64 v[40:41], v[14:15], v[0:1]
	ds_load_b128 v[0:3], v25 offset:112
	ds_load_b128 v[8:11], v24 offset:3584
	ds_load_b128 v[12:15], v24 offset:3840
	s_waitcnt lgkmcnt(1)
	v_mul_f64 v[4:5], v[2:3], v[10:11]
	v_mul_f64 v[6:7], v[0:1], v[10:11]
	s_delay_alu instid0(VALU_DEP_2) | instskip(NEXT) | instid1(VALU_DEP_2)
	v_fma_f64 v[4:5], v[0:1], v[8:9], -v[4:5]
	v_fma_f64 v[6:7], v[2:3], v[8:9], v[6:7]
	s_delay_alu instid0(VALU_DEP_2) | instskip(SKIP_2) | instid1(VALU_DEP_3)
	v_add_f64 v[4:5], v[34:35], v[4:5]
	s_waitcnt lgkmcnt(0)
	v_mul_f64 v[34:35], v[2:3], v[14:15]
	v_add_f64 v[6:7], v[36:37], v[6:7]
	s_delay_alu instid0(VALU_DEP_2) | instskip(SKIP_1) | instid1(VALU_DEP_1)
	v_fma_f64 v[34:35], v[0:1], v[12:13], -v[34:35]
	v_mul_f64 v[0:1], v[0:1], v[14:15]
	v_fma_f64 v[2:3], v[2:3], v[12:13], v[0:1]
	s_delay_alu instid0(VALU_DEP_3) | instskip(NEXT) | instid1(VALU_DEP_2)
	v_add_f64 v[0:1], v[28:29], v[34:35]
	v_add_f64 v[2:3], v[26:27], v[2:3]
	ds_load_b128 v[26:29], v25 offset:2160
	s_waitcnt lgkmcnt(0)
	s_barrier
	buffer_gl0_inv
	v_mul_f64 v[34:35], v[28:29], v[10:11]
	v_mul_f64 v[10:11], v[26:27], v[10:11]
	s_delay_alu instid0(VALU_DEP_2) | instskip(NEXT) | instid1(VALU_DEP_2)
	v_fma_f64 v[34:35], v[26:27], v[8:9], -v[34:35]
	v_fma_f64 v[10:11], v[28:29], v[8:9], v[10:11]
	s_delay_alu instid0(VALU_DEP_2) | instskip(SKIP_2) | instid1(VALU_DEP_4)
	v_add_f64 v[8:9], v[30:31], v[34:35]
	v_mul_f64 v[30:31], v[28:29], v[14:15]
	v_mul_f64 v[14:15], v[26:27], v[14:15]
	v_add_f64 v[10:11], v[32:33], v[10:11]
	s_delay_alu instid0(VALU_DEP_3) | instskip(NEXT) | instid1(VALU_DEP_3)
	v_fma_f64 v[30:31], v[26:27], v[12:13], -v[30:31]
	v_fma_f64 v[14:15], v[28:29], v[12:13], v[14:15]
	s_delay_alu instid0(VALU_DEP_2) | instskip(NEXT) | instid1(VALU_DEP_2)
	v_add_f64 v[12:13], v[38:39], v[30:31]
	v_add_f64 v[14:15], v[40:41], v[14:15]
	s_cbranch_scc0 .LBB247_2
.LBB247_3:
	s_clause 0x1
	s_load_b32 s3, s[0:1], 0x40
	s_load_b64 s[4:5], s[0:1], 0x48
	v_add_nc_u32_e32 v18, s13, v21
	v_add_nc_u32_e32 v16, s12, v20
	s_delay_alu instid0(VALU_DEP_1)
	v_cmp_le_i32_e64 s0, v18, v16
	v_cmp_gt_i32_e32 vcc_lo, s2, v16
	s_waitcnt lgkmcnt(0)
	v_mad_i64_i32 v[19:20], null, v18, s3, 0
	s_mul_i32 s1, s15, s5
	s_mul_hi_u32 s5, s15, s4
	s_mul_i32 s4, s15, s4
	s_add_i32 s5, s5, s1
	s_delay_alu instid0(SALU_CYCLE_1) | instskip(NEXT) | instid1(VALU_DEP_1)
	s_lshl_b64 s[4:5], s[4:5], 4
	v_lshlrev_b64 v[19:20], 4, v[19:20]
	s_add_u32 s4, s6, s4
	s_addc_u32 s5, s7, s5
	s_and_b32 s0, s0, vcc_lo
	s_delay_alu instid0(VALU_DEP_1) | instskip(NEXT) | instid1(VALU_DEP_1)
	v_add_co_u32 v19, s1, s4, v19
	v_add_co_ci_u32_e64 v20, s1, s5, v20, s1
	s_and_saveexec_b32 s1, s0
	s_cbranch_execz .LBB247_5
; %bb.4:
	v_ashrrev_i32_e32 v17, 31, v16
	s_delay_alu instid0(VALU_DEP_1) | instskip(NEXT) | instid1(VALU_DEP_1)
	v_lshlrev_b64 v[21:22], 4, v[16:17]
	v_add_co_u32 v21, s0, v19, v21
	s_delay_alu instid0(VALU_DEP_1)
	v_add_co_ci_u32_e64 v22, s0, v20, v22, s0
	global_store_b128 v[21:22], v[4:7], off
.LBB247_5:
	s_or_b32 exec_lo, exec_lo, s1
	v_add_nc_u32_e32 v4, 16, v16
	s_delay_alu instid0(VALU_DEP_1) | instskip(SKIP_1) | instid1(VALU_DEP_1)
	v_cmp_le_i32_e64 s1, v18, v4
	v_cmp_gt_i32_e64 s0, s2, v4
	s_and_b32 s1, s1, s0
	s_delay_alu instid0(SALU_CYCLE_1)
	s_and_saveexec_b32 s2, s1
	s_cbranch_execz .LBB247_7
; %bb.6:
	v_ashrrev_i32_e32 v5, 31, v4
	s_delay_alu instid0(VALU_DEP_1) | instskip(NEXT) | instid1(VALU_DEP_1)
	v_lshlrev_b64 v[5:6], 4, v[4:5]
	v_add_co_u32 v5, s1, v19, v5
	s_delay_alu instid0(VALU_DEP_1)
	v_add_co_ci_u32_e64 v6, s1, v20, v6, s1
	global_store_b128 v[5:6], v[0:3], off
.LBB247_7:
	s_or_b32 exec_lo, exec_lo, s2
	v_add_nc_u32_e32 v2, 16, v18
	s_delay_alu instid0(VALU_DEP_1) | instskip(SKIP_1) | instid1(VALU_DEP_2)
	v_mad_i64_i32 v[0:1], null, v2, s3, 0
	v_cmp_le_i32_e64 s1, v2, v16
	v_lshlrev_b64 v[0:1], 4, v[0:1]
	s_delay_alu instid0(VALU_DEP_1) | instskip(NEXT) | instid1(VALU_DEP_1)
	v_add_co_u32 v0, s2, s4, v0
	v_add_co_ci_u32_e64 v1, s2, s5, v1, s2
	s_delay_alu instid0(VALU_DEP_4) | instskip(NEXT) | instid1(SALU_CYCLE_1)
	s_and_b32 s2, s1, vcc_lo
	s_and_saveexec_b32 s1, s2
	s_cbranch_execz .LBB247_9
; %bb.8:
	v_ashrrev_i32_e32 v17, 31, v16
	s_delay_alu instid0(VALU_DEP_1) | instskip(NEXT) | instid1(VALU_DEP_1)
	v_lshlrev_b64 v[5:6], 4, v[16:17]
	v_add_co_u32 v5, vcc_lo, v0, v5
	s_delay_alu instid0(VALU_DEP_2)
	v_add_co_ci_u32_e32 v6, vcc_lo, v1, v6, vcc_lo
	global_store_b128 v[5:6], v[8:11], off
.LBB247_9:
	s_or_b32 exec_lo, exec_lo, s1
	v_cmp_le_i32_e32 vcc_lo, v2, v4
	s_and_b32 s0, vcc_lo, s0
	s_delay_alu instid0(SALU_CYCLE_1)
	s_and_saveexec_b32 s1, s0
	s_cbranch_execz .LBB247_11
; %bb.10:
	v_ashrrev_i32_e32 v5, 31, v4
	s_delay_alu instid0(VALU_DEP_1) | instskip(NEXT) | instid1(VALU_DEP_1)
	v_lshlrev_b64 v[2:3], 4, v[4:5]
	v_add_co_u32 v0, vcc_lo, v0, v2
	s_delay_alu instid0(VALU_DEP_2)
	v_add_co_ci_u32_e32 v1, vcc_lo, v1, v3, vcc_lo
	global_store_b128 v[0:1], v[12:15], off
.LBB247_11:
	s_nop 0
	s_sendmsg sendmsg(MSG_DEALLOC_VGPRS)
	s_endpgm
	.section	.rodata,"a",@progbits
	.p2align	6, 0x0
	.amdhsa_kernel _ZL37rocblas_syrkx_herkx_restricted_kernelIi19rocblas_complex_numIdELi16ELi32ELi8ELi1ELi0ELb0ELc78ELc76EKS1_S1_EviT_PT9_S3_lS5_S3_lPT10_S3_li
		.amdhsa_group_segment_fixed_size 8192
		.amdhsa_private_segment_fixed_size 0
		.amdhsa_kernarg_size 84
		.amdhsa_user_sgpr_count 13
		.amdhsa_user_sgpr_dispatch_ptr 0
		.amdhsa_user_sgpr_queue_ptr 0
		.amdhsa_user_sgpr_kernarg_segment_ptr 1
		.amdhsa_user_sgpr_dispatch_id 0
		.amdhsa_user_sgpr_private_segment_size 0
		.amdhsa_wavefront_size32 1
		.amdhsa_uses_dynamic_stack 0
		.amdhsa_enable_private_segment 0
		.amdhsa_system_sgpr_workgroup_id_x 1
		.amdhsa_system_sgpr_workgroup_id_y 1
		.amdhsa_system_sgpr_workgroup_id_z 1
		.amdhsa_system_sgpr_workgroup_info 0
		.amdhsa_system_vgpr_workitem_id 1
		.amdhsa_next_free_vgpr 52
		.amdhsa_next_free_sgpr 23
		.amdhsa_reserve_vcc 1
		.amdhsa_float_round_mode_32 0
		.amdhsa_float_round_mode_16_64 0
		.amdhsa_float_denorm_mode_32 3
		.amdhsa_float_denorm_mode_16_64 3
		.amdhsa_dx10_clamp 1
		.amdhsa_ieee_mode 1
		.amdhsa_fp16_overflow 0
		.amdhsa_workgroup_processor_mode 1
		.amdhsa_memory_ordered 1
		.amdhsa_forward_progress 0
		.amdhsa_shared_vgpr_count 0
		.amdhsa_exception_fp_ieee_invalid_op 0
		.amdhsa_exception_fp_denorm_src 0
		.amdhsa_exception_fp_ieee_div_zero 0
		.amdhsa_exception_fp_ieee_overflow 0
		.amdhsa_exception_fp_ieee_underflow 0
		.amdhsa_exception_fp_ieee_inexact 0
		.amdhsa_exception_int_div_zero 0
	.end_amdhsa_kernel
	.section	.text._ZL37rocblas_syrkx_herkx_restricted_kernelIi19rocblas_complex_numIdELi16ELi32ELi8ELi1ELi0ELb0ELc78ELc76EKS1_S1_EviT_PT9_S3_lS5_S3_lPT10_S3_li,"axG",@progbits,_ZL37rocblas_syrkx_herkx_restricted_kernelIi19rocblas_complex_numIdELi16ELi32ELi8ELi1ELi0ELb0ELc78ELc76EKS1_S1_EviT_PT9_S3_lS5_S3_lPT10_S3_li,comdat
.Lfunc_end247:
	.size	_ZL37rocblas_syrkx_herkx_restricted_kernelIi19rocblas_complex_numIdELi16ELi32ELi8ELi1ELi0ELb0ELc78ELc76EKS1_S1_EviT_PT9_S3_lS5_S3_lPT10_S3_li, .Lfunc_end247-_ZL37rocblas_syrkx_herkx_restricted_kernelIi19rocblas_complex_numIdELi16ELi32ELi8ELi1ELi0ELb0ELc78ELc76EKS1_S1_EviT_PT9_S3_lS5_S3_lPT10_S3_li
                                        ; -- End function
	.section	.AMDGPU.csdata,"",@progbits
; Kernel info:
; codeLenInByte = 3192
; NumSgprs: 25
; NumVgprs: 52
; ScratchSize: 0
; MemoryBound: 0
; FloatMode: 240
; IeeeMode: 1
; LDSByteSize: 8192 bytes/workgroup (compile time only)
; SGPRBlocks: 3
; VGPRBlocks: 6
; NumSGPRsForWavesPerEU: 25
; NumVGPRsForWavesPerEU: 52
; Occupancy: 16
; WaveLimiterHint : 0
; COMPUTE_PGM_RSRC2:SCRATCH_EN: 0
; COMPUTE_PGM_RSRC2:USER_SGPR: 13
; COMPUTE_PGM_RSRC2:TRAP_HANDLER: 0
; COMPUTE_PGM_RSRC2:TGID_X_EN: 1
; COMPUTE_PGM_RSRC2:TGID_Y_EN: 1
; COMPUTE_PGM_RSRC2:TGID_Z_EN: 1
; COMPUTE_PGM_RSRC2:TIDIG_COMP_CNT: 1
	.section	.text._ZL37rocblas_syrkx_herkx_restricted_kernelIi19rocblas_complex_numIdELi16ELi32ELi8ELi1ELi0ELb0ELc84ELc85EKS1_S1_EviT_PT9_S3_lS5_S3_lPT10_S3_li,"axG",@progbits,_ZL37rocblas_syrkx_herkx_restricted_kernelIi19rocblas_complex_numIdELi16ELi32ELi8ELi1ELi0ELb0ELc84ELc85EKS1_S1_EviT_PT9_S3_lS5_S3_lPT10_S3_li,comdat
	.globl	_ZL37rocblas_syrkx_herkx_restricted_kernelIi19rocblas_complex_numIdELi16ELi32ELi8ELi1ELi0ELb0ELc84ELc85EKS1_S1_EviT_PT9_S3_lS5_S3_lPT10_S3_li ; -- Begin function _ZL37rocblas_syrkx_herkx_restricted_kernelIi19rocblas_complex_numIdELi16ELi32ELi8ELi1ELi0ELb0ELc84ELc85EKS1_S1_EviT_PT9_S3_lS5_S3_lPT10_S3_li
	.p2align	8
	.type	_ZL37rocblas_syrkx_herkx_restricted_kernelIi19rocblas_complex_numIdELi16ELi32ELi8ELi1ELi0ELb0ELc84ELc85EKS1_S1_EviT_PT9_S3_lS5_S3_lPT10_S3_li,@function
_ZL37rocblas_syrkx_herkx_restricted_kernelIi19rocblas_complex_numIdELi16ELi32ELi8ELi1ELi0ELb0ELc84ELc85EKS1_S1_EviT_PT9_S3_lS5_S3_lPT10_S3_li: ; @_ZL37rocblas_syrkx_herkx_restricted_kernelIi19rocblas_complex_numIdELi16ELi32ELi8ELi1ELi0ELb0ELc84ELc85EKS1_S1_EviT_PT9_S3_lS5_S3_lPT10_S3_li
; %bb.0:
	s_clause 0x1
	s_load_b64 s[2:3], s[0:1], 0x0
	s_load_b128 s[4:7], s[0:1], 0x30
	v_mov_b32_e32 v4, 0
	v_dual_mov_b32 v5, 0 :: v_dual_and_b32 v20, 0x3ff, v0
	v_bfe_u32 v21, v0, 10, 10
	s_delay_alu instid0(VALU_DEP_3) | instskip(NEXT) | instid1(VALU_DEP_3)
	v_mov_b32_e32 v0, v4
	v_dual_mov_b32 v2, v4 :: v_dual_mov_b32 v3, v5
	v_dual_mov_b32 v7, v5 :: v_dual_mov_b32 v6, v4
	v_mov_b32_e32 v1, v5
	v_dual_mov_b32 v9, v5 :: v_dual_mov_b32 v8, v4
	v_dual_mov_b32 v11, v5 :: v_dual_mov_b32 v10, v4
	;; [unrolled: 1-line block ×4, first 2 shown]
	s_lshl_b32 s12, s13, 5
	s_lshl_b32 s13, s14, 5
	s_waitcnt lgkmcnt(0)
	s_cmp_lt_i32 s3, 1
	s_mov_b32 s14, 0
	s_cbranch_scc1 .LBB248_3
; %bb.1:
	s_clause 0x1
	s_load_b32 s18, s[0:1], 0x10
	s_load_b128 s[8:11], s[0:1], 0x18
	v_lshl_add_u32 v2, v21, 4, v20
	s_clause 0x1
	s_load_b64 s[16:17], s[0:1], 0x8
	s_load_b32 s19, s[0:1], 0x28
	v_dual_mov_b32 v1, 0 :: v_dual_and_b32 v0, 7, v20
	v_dual_mov_b32 v14, 0 :: v_dual_and_b32 v5, 31, v2
	v_lshrrev_b32_e32 v4, 3, v2
	v_dual_mov_b32 v15, 0 :: v_dual_lshlrev_b32 v22, 4, v20
	s_delay_alu instid0(VALU_DEP_3) | instskip(NEXT) | instid1(VALU_DEP_4)
	v_dual_mov_b32 v12, v14 :: v_dual_lshlrev_b32 v3, 4, v0
	v_lshlrev_b32_e32 v6, 4, v5
	v_lshrrev_b32_e32 v2, 5, v2
	s_delay_alu instid0(VALU_DEP_4) | instskip(NEXT) | instid1(VALU_DEP_4)
	v_dual_mov_b32 v13, v15 :: v_dual_add_nc_u32 v8, s12, v5
	v_lshl_or_b32 v7, v4, 7, v3
	v_mov_b32_e32 v3, v1
	v_dual_mov_b32 v10, v14 :: v_dual_add_nc_u32 v9, s13, v4
	v_lshl_or_b32 v23, v2, 9, v6
	s_waitcnt lgkmcnt(0)
	s_mul_i32 s9, s9, s15
	v_mad_i64_i32 v[4:5], null, s18, v8, v[2:3]
	s_mul_hi_u32 s18, s8, s15
	v_mad_i64_i32 v[2:3], null, s19, v9, v[0:1]
	s_mul_i32 s8, s8, s15
	s_add_i32 s9, s18, s9
	s_mul_i32 s5, s5, s15
	s_lshl_b64 s[8:9], s[8:9], 4
	s_delay_alu instid0(VALU_DEP_2)
	v_lshlrev_b64 v[0:1], 4, v[4:5]
	s_add_u32 s8, s16, s8
	s_mul_hi_u32 s16, s4, s15
	s_addc_u32 s9, s17, s9
	s_add_i32 s5, s16, s5
	s_mul_i32 s4, s4, s15
	v_lshlrev_b64 v[2:3], 4, v[2:3]
	s_lshl_b64 s[4:5], s[4:5], 4
	v_add_co_u32 v0, vcc_lo, s8, v0
	s_add_u32 s4, s10, s4
	v_add_co_ci_u32_e32 v1, vcc_lo, s9, v1, vcc_lo
	s_addc_u32 s5, s11, s5
	v_add_co_u32 v2, vcc_lo, s4, v2
	v_add_co_ci_u32_e32 v3, vcc_lo, s5, v3, vcc_lo
	v_add_co_u32 v16, vcc_lo, v0, 8
	v_add_co_ci_u32_e32 v17, vcc_lo, 0, v1, vcc_lo
	s_delay_alu instid0(VALU_DEP_4)
	v_add_co_u32 v18, vcc_lo, v2, 8
	v_dual_mov_b32 v11, v15 :: v_dual_add_nc_u32 v24, 0x1000, v7
	v_lshl_add_u32 v25, v21, 7, 0x1000
	v_add_co_ci_u32_e32 v19, vcc_lo, 0, v3, vcc_lo
	v_dual_mov_b32 v8, v14 :: v_dual_mov_b32 v9, v15
	v_dual_mov_b32 v2, v14 :: v_dual_mov_b32 v3, v15
	;; [unrolled: 1-line block ×5, first 2 shown]
.LBB248_2:                              ; =>This Inner Loop Header: Depth=1
	global_load_b128 v[26:29], v[16:17], off offset:-8
	v_add_co_u32 v16, vcc_lo, 0x80, v16
	v_add_co_ci_u32_e32 v17, vcc_lo, 0, v17, vcc_lo
	s_add_i32 s14, s14, 8
	s_delay_alu instid0(SALU_CYCLE_1)
	s_cmp_ge_i32 s14, s3
	s_waitcnt vmcnt(0)
	ds_store_b128 v23, v[26:29]
	global_load_b128 v[26:29], v[18:19], off offset:-8
	v_add_co_u32 v18, vcc_lo, 0x80, v18
	v_add_co_ci_u32_e32 v19, vcc_lo, 0, v19, vcc_lo
	s_waitcnt vmcnt(0)
	ds_store_b128 v24, v[26:29]
	s_waitcnt lgkmcnt(0)
	s_barrier
	buffer_gl0_inv
	ds_load_b128 v[26:29], v25
	ds_load_b128 v[30:33], v25 offset:16
	ds_load_b128 v[34:37], v25 offset:32
	;; [unrolled: 1-line block ×3, first 2 shown]
	ds_load_b128 v[42:45], v22
	s_waitcnt lgkmcnt(0)
	v_mul_f64 v[46:47], v[28:29], v[44:45]
	v_mul_f64 v[48:49], v[26:27], v[44:45]
	s_delay_alu instid0(VALU_DEP_2) | instskip(NEXT) | instid1(VALU_DEP_2)
	v_fma_f64 v[46:47], v[26:27], v[42:43], -v[46:47]
	v_fma_f64 v[48:49], v[28:29], v[42:43], v[48:49]
	s_delay_alu instid0(VALU_DEP_2) | instskip(NEXT) | instid1(VALU_DEP_2)
	v_add_f64 v[46:47], v[4:5], v[46:47]
	v_add_f64 v[48:49], v[6:7], v[48:49]
	ds_load_b128 v[4:7], v22 offset:256
	s_waitcnt lgkmcnt(0)
	v_mul_f64 v[50:51], v[28:29], v[6:7]
	s_delay_alu instid0(VALU_DEP_1) | instskip(SKIP_1) | instid1(VALU_DEP_1)
	v_fma_f64 v[50:51], v[26:27], v[4:5], -v[50:51]
	v_mul_f64 v[26:27], v[26:27], v[6:7]
	v_fma_f64 v[26:27], v[28:29], v[4:5], v[26:27]
	s_delay_alu instid0(VALU_DEP_3) | instskip(NEXT) | instid1(VALU_DEP_2)
	v_add_f64 v[28:29], v[0:1], v[50:51]
	v_add_f64 v[26:27], v[2:3], v[26:27]
	ds_load_b128 v[0:3], v25 offset:2048
	s_waitcnt lgkmcnt(0)
	v_mul_f64 v[50:51], v[2:3], v[44:45]
	v_mul_f64 v[44:45], v[0:1], v[44:45]
	s_delay_alu instid0(VALU_DEP_2) | instskip(NEXT) | instid1(VALU_DEP_2)
	v_fma_f64 v[50:51], v[0:1], v[42:43], -v[50:51]
	v_fma_f64 v[42:43], v[2:3], v[42:43], v[44:45]
	s_delay_alu instid0(VALU_DEP_2) | instskip(SKIP_1) | instid1(VALU_DEP_3)
	v_add_f64 v[44:45], v[8:9], v[50:51]
	v_mul_f64 v[8:9], v[2:3], v[6:7]
	v_add_f64 v[42:43], v[10:11], v[42:43]
	s_delay_alu instid0(VALU_DEP_2) | instskip(SKIP_1) | instid1(VALU_DEP_2)
	v_fma_f64 v[8:9], v[0:1], v[4:5], -v[8:9]
	v_mul_f64 v[0:1], v[0:1], v[6:7]
	v_add_f64 v[12:13], v[12:13], v[8:9]
	s_delay_alu instid0(VALU_DEP_2) | instskip(NEXT) | instid1(VALU_DEP_1)
	v_fma_f64 v[0:1], v[2:3], v[4:5], v[0:1]
	v_add_f64 v[14:15], v[14:15], v[0:1]
	ds_load_b128 v[0:3], v22 offset:512
	s_waitcnt lgkmcnt(0)
	v_mul_f64 v[4:5], v[32:33], v[2:3]
	v_mul_f64 v[6:7], v[30:31], v[2:3]
	s_delay_alu instid0(VALU_DEP_2) | instskip(NEXT) | instid1(VALU_DEP_2)
	v_fma_f64 v[4:5], v[30:31], v[0:1], -v[4:5]
	v_fma_f64 v[6:7], v[32:33], v[0:1], v[6:7]
	s_delay_alu instid0(VALU_DEP_2) | instskip(NEXT) | instid1(VALU_DEP_2)
	v_add_f64 v[46:47], v[46:47], v[4:5]
	v_add_f64 v[48:49], v[48:49], v[6:7]
	ds_load_b128 v[4:7], v22 offset:768
	s_waitcnt lgkmcnt(0)
	v_mul_f64 v[8:9], v[32:33], v[6:7]
	v_mul_f64 v[10:11], v[30:31], v[6:7]
	s_delay_alu instid0(VALU_DEP_2) | instskip(NEXT) | instid1(VALU_DEP_2)
	v_fma_f64 v[8:9], v[30:31], v[4:5], -v[8:9]
	v_fma_f64 v[10:11], v[32:33], v[4:5], v[10:11]
	s_delay_alu instid0(VALU_DEP_2) | instskip(NEXT) | instid1(VALU_DEP_2)
	v_add_f64 v[28:29], v[28:29], v[8:9]
	v_add_f64 v[26:27], v[26:27], v[10:11]
	ds_load_b128 v[8:11], v25 offset:2064
	s_waitcnt lgkmcnt(0)
	v_mul_f64 v[30:31], v[10:11], v[2:3]
	v_mul_f64 v[2:3], v[8:9], v[2:3]
	s_delay_alu instid0(VALU_DEP_2) | instskip(NEXT) | instid1(VALU_DEP_2)
	v_fma_f64 v[30:31], v[8:9], v[0:1], -v[30:31]
	v_fma_f64 v[0:1], v[10:11], v[0:1], v[2:3]
	v_mul_f64 v[2:3], v[8:9], v[6:7]
	s_delay_alu instid0(VALU_DEP_3) | instskip(NEXT) | instid1(VALU_DEP_3)
	v_add_f64 v[30:31], v[44:45], v[30:31]
	v_add_f64 v[32:33], v[42:43], v[0:1]
	v_mul_f64 v[0:1], v[10:11], v[6:7]
	s_delay_alu instid0(VALU_DEP_4) | instskip(NEXT) | instid1(VALU_DEP_2)
	v_fma_f64 v[2:3], v[10:11], v[4:5], v[2:3]
	v_fma_f64 v[0:1], v[8:9], v[4:5], -v[0:1]
	s_delay_alu instid0(VALU_DEP_2) | instskip(NEXT) | instid1(VALU_DEP_2)
	v_add_f64 v[14:15], v[14:15], v[2:3]
	v_add_f64 v[12:13], v[12:13], v[0:1]
	ds_load_b128 v[0:3], v22 offset:1024
	s_waitcnt lgkmcnt(0)
	v_mul_f64 v[4:5], v[36:37], v[2:3]
	v_mul_f64 v[6:7], v[34:35], v[2:3]
	s_delay_alu instid0(VALU_DEP_2) | instskip(NEXT) | instid1(VALU_DEP_2)
	v_fma_f64 v[4:5], v[34:35], v[0:1], -v[4:5]
	v_fma_f64 v[6:7], v[36:37], v[0:1], v[6:7]
	s_delay_alu instid0(VALU_DEP_2) | instskip(NEXT) | instid1(VALU_DEP_2)
	v_add_f64 v[42:43], v[46:47], v[4:5]
	v_add_f64 v[44:45], v[48:49], v[6:7]
	ds_load_b128 v[4:7], v22 offset:1280
	s_waitcnt lgkmcnt(0)
	v_mul_f64 v[8:9], v[36:37], v[6:7]
	v_mul_f64 v[10:11], v[34:35], v[6:7]
	s_delay_alu instid0(VALU_DEP_2) | instskip(NEXT) | instid1(VALU_DEP_2)
	v_fma_f64 v[8:9], v[34:35], v[4:5], -v[8:9]
	v_fma_f64 v[10:11], v[36:37], v[4:5], v[10:11]
	s_delay_alu instid0(VALU_DEP_2) | instskip(NEXT) | instid1(VALU_DEP_2)
	v_add_f64 v[28:29], v[28:29], v[8:9]
	v_add_f64 v[26:27], v[26:27], v[10:11]
	ds_load_b128 v[8:11], v25 offset:2080
	s_waitcnt lgkmcnt(0)
	v_mul_f64 v[34:35], v[10:11], v[2:3]
	v_mul_f64 v[2:3], v[8:9], v[2:3]
	s_delay_alu instid0(VALU_DEP_2) | instskip(NEXT) | instid1(VALU_DEP_2)
	v_fma_f64 v[34:35], v[8:9], v[0:1], -v[34:35]
	v_fma_f64 v[0:1], v[10:11], v[0:1], v[2:3]
	v_mul_f64 v[2:3], v[8:9], v[6:7]
	s_delay_alu instid0(VALU_DEP_3) | instskip(NEXT) | instid1(VALU_DEP_3)
	v_add_f64 v[30:31], v[30:31], v[34:35]
	v_add_f64 v[32:33], v[32:33], v[0:1]
	v_mul_f64 v[0:1], v[10:11], v[6:7]
	s_delay_alu instid0(VALU_DEP_4) | instskip(NEXT) | instid1(VALU_DEP_2)
	v_fma_f64 v[2:3], v[10:11], v[4:5], v[2:3]
	v_fma_f64 v[0:1], v[8:9], v[4:5], -v[0:1]
	s_delay_alu instid0(VALU_DEP_2) | instskip(NEXT) | instid1(VALU_DEP_2)
	v_add_f64 v[14:15], v[14:15], v[2:3]
	v_add_f64 v[12:13], v[12:13], v[0:1]
	ds_load_b128 v[0:3], v22 offset:1536
	s_waitcnt lgkmcnt(0)
	v_mul_f64 v[4:5], v[40:41], v[2:3]
	v_mul_f64 v[6:7], v[38:39], v[2:3]
	s_delay_alu instid0(VALU_DEP_2) | instskip(NEXT) | instid1(VALU_DEP_2)
	v_fma_f64 v[4:5], v[38:39], v[0:1], -v[4:5]
	v_fma_f64 v[6:7], v[40:41], v[0:1], v[6:7]
	s_delay_alu instid0(VALU_DEP_2) | instskip(NEXT) | instid1(VALU_DEP_2)
	v_add_f64 v[34:35], v[42:43], v[4:5]
	v_add_f64 v[36:37], v[44:45], v[6:7]
	ds_load_b128 v[4:7], v22 offset:1792
	s_waitcnt lgkmcnt(0)
	v_mul_f64 v[8:9], v[40:41], v[6:7]
	v_mul_f64 v[10:11], v[38:39], v[6:7]
	s_delay_alu instid0(VALU_DEP_2) | instskip(NEXT) | instid1(VALU_DEP_2)
	v_fma_f64 v[8:9], v[38:39], v[4:5], -v[8:9]
	v_fma_f64 v[10:11], v[40:41], v[4:5], v[10:11]
	s_delay_alu instid0(VALU_DEP_2) | instskip(NEXT) | instid1(VALU_DEP_2)
	v_add_f64 v[28:29], v[28:29], v[8:9]
	v_add_f64 v[26:27], v[26:27], v[10:11]
	ds_load_b128 v[8:11], v25 offset:2096
	s_waitcnt lgkmcnt(0)
	v_mul_f64 v[38:39], v[10:11], v[2:3]
	v_mul_f64 v[2:3], v[8:9], v[2:3]
	s_delay_alu instid0(VALU_DEP_2) | instskip(NEXT) | instid1(VALU_DEP_2)
	v_fma_f64 v[38:39], v[8:9], v[0:1], -v[38:39]
	v_fma_f64 v[0:1], v[10:11], v[0:1], v[2:3]
	v_mul_f64 v[2:3], v[8:9], v[6:7]
	s_delay_alu instid0(VALU_DEP_3) | instskip(NEXT) | instid1(VALU_DEP_3)
	v_add_f64 v[30:31], v[30:31], v[38:39]
	v_add_f64 v[32:33], v[32:33], v[0:1]
	v_mul_f64 v[0:1], v[10:11], v[6:7]
	s_delay_alu instid0(VALU_DEP_4) | instskip(NEXT) | instid1(VALU_DEP_2)
	v_fma_f64 v[2:3], v[10:11], v[4:5], v[2:3]
	v_fma_f64 v[0:1], v[8:9], v[4:5], -v[0:1]
	s_delay_alu instid0(VALU_DEP_2) | instskip(NEXT) | instid1(VALU_DEP_2)
	v_add_f64 v[14:15], v[14:15], v[2:3]
	v_add_f64 v[12:13], v[12:13], v[0:1]
	ds_load_b128 v[0:3], v25 offset:64
	ds_load_b128 v[4:7], v22 offset:2048
	s_waitcnt lgkmcnt(0)
	v_mul_f64 v[8:9], v[2:3], v[6:7]
	v_mul_f64 v[10:11], v[0:1], v[6:7]
	s_delay_alu instid0(VALU_DEP_2) | instskip(NEXT) | instid1(VALU_DEP_2)
	v_fma_f64 v[8:9], v[0:1], v[4:5], -v[8:9]
	v_fma_f64 v[10:11], v[2:3], v[4:5], v[10:11]
	s_delay_alu instid0(VALU_DEP_2) | instskip(NEXT) | instid1(VALU_DEP_2)
	v_add_f64 v[34:35], v[34:35], v[8:9]
	v_add_f64 v[36:37], v[36:37], v[10:11]
	ds_load_b128 v[8:11], v22 offset:2304
	s_waitcnt lgkmcnt(0)
	v_mul_f64 v[38:39], v[2:3], v[10:11]
	s_delay_alu instid0(VALU_DEP_1) | instskip(SKIP_1) | instid1(VALU_DEP_2)
	v_fma_f64 v[38:39], v[0:1], v[8:9], -v[38:39]
	v_mul_f64 v[0:1], v[0:1], v[10:11]
	v_add_f64 v[28:29], v[28:29], v[38:39]
	s_delay_alu instid0(VALU_DEP_2) | instskip(NEXT) | instid1(VALU_DEP_1)
	v_fma_f64 v[0:1], v[2:3], v[8:9], v[0:1]
	v_add_f64 v[26:27], v[26:27], v[0:1]
	ds_load_b128 v[0:3], v25 offset:2112
	s_waitcnt lgkmcnt(0)
	v_mul_f64 v[38:39], v[2:3], v[6:7]
	v_mul_f64 v[6:7], v[0:1], v[6:7]
	s_delay_alu instid0(VALU_DEP_2) | instskip(NEXT) | instid1(VALU_DEP_2)
	v_fma_f64 v[38:39], v[0:1], v[4:5], -v[38:39]
	v_fma_f64 v[4:5], v[2:3], v[4:5], v[6:7]
	s_delay_alu instid0(VALU_DEP_2) | instskip(NEXT) | instid1(VALU_DEP_2)
	v_add_f64 v[30:31], v[30:31], v[38:39]
	v_add_f64 v[32:33], v[32:33], v[4:5]
	v_mul_f64 v[4:5], v[2:3], v[10:11]
	s_delay_alu instid0(VALU_DEP_1) | instskip(SKIP_1) | instid1(VALU_DEP_2)
	v_fma_f64 v[4:5], v[0:1], v[8:9], -v[4:5]
	v_mul_f64 v[0:1], v[0:1], v[10:11]
	v_add_f64 v[12:13], v[12:13], v[4:5]
	s_delay_alu instid0(VALU_DEP_2) | instskip(NEXT) | instid1(VALU_DEP_1)
	v_fma_f64 v[0:1], v[2:3], v[8:9], v[0:1]
	v_add_f64 v[14:15], v[14:15], v[0:1]
	ds_load_b128 v[0:3], v25 offset:80
	ds_load_b128 v[4:7], v22 offset:2560
	s_waitcnt lgkmcnt(0)
	v_mul_f64 v[8:9], v[2:3], v[6:7]
	v_mul_f64 v[10:11], v[0:1], v[6:7]
	s_delay_alu instid0(VALU_DEP_2) | instskip(NEXT) | instid1(VALU_DEP_2)
	v_fma_f64 v[8:9], v[0:1], v[4:5], -v[8:9]
	v_fma_f64 v[10:11], v[2:3], v[4:5], v[10:11]
	s_delay_alu instid0(VALU_DEP_2) | instskip(NEXT) | instid1(VALU_DEP_2)
	v_add_f64 v[34:35], v[34:35], v[8:9]
	v_add_f64 v[36:37], v[36:37], v[10:11]
	ds_load_b128 v[8:11], v22 offset:2816
	s_waitcnt lgkmcnt(0)
	v_mul_f64 v[38:39], v[2:3], v[10:11]
	s_delay_alu instid0(VALU_DEP_1) | instskip(SKIP_1) | instid1(VALU_DEP_2)
	v_fma_f64 v[38:39], v[0:1], v[8:9], -v[38:39]
	v_mul_f64 v[0:1], v[0:1], v[10:11]
	v_add_f64 v[28:29], v[28:29], v[38:39]
	s_delay_alu instid0(VALU_DEP_2) | instskip(NEXT) | instid1(VALU_DEP_1)
	v_fma_f64 v[0:1], v[2:3], v[8:9], v[0:1]
	v_add_f64 v[26:27], v[26:27], v[0:1]
	ds_load_b128 v[0:3], v25 offset:2128
	s_waitcnt lgkmcnt(0)
	v_mul_f64 v[38:39], v[2:3], v[6:7]
	v_mul_f64 v[6:7], v[0:1], v[6:7]
	s_delay_alu instid0(VALU_DEP_2) | instskip(NEXT) | instid1(VALU_DEP_2)
	v_fma_f64 v[38:39], v[0:1], v[4:5], -v[38:39]
	v_fma_f64 v[4:5], v[2:3], v[4:5], v[6:7]
	s_delay_alu instid0(VALU_DEP_2) | instskip(NEXT) | instid1(VALU_DEP_2)
	v_add_f64 v[30:31], v[30:31], v[38:39]
	v_add_f64 v[32:33], v[32:33], v[4:5]
	v_mul_f64 v[4:5], v[2:3], v[10:11]
	s_delay_alu instid0(VALU_DEP_1) | instskip(SKIP_1) | instid1(VALU_DEP_2)
	v_fma_f64 v[4:5], v[0:1], v[8:9], -v[4:5]
	v_mul_f64 v[0:1], v[0:1], v[10:11]
	v_add_f64 v[12:13], v[12:13], v[4:5]
	s_delay_alu instid0(VALU_DEP_2) | instskip(NEXT) | instid1(VALU_DEP_1)
	v_fma_f64 v[0:1], v[2:3], v[8:9], v[0:1]
	;; [unrolled: 39-line block ×3, first 2 shown]
	v_add_f64 v[40:41], v[14:15], v[0:1]
	ds_load_b128 v[0:3], v25 offset:112
	ds_load_b128 v[8:11], v22 offset:3584
	;; [unrolled: 1-line block ×3, first 2 shown]
	s_waitcnt lgkmcnt(1)
	v_mul_f64 v[4:5], v[2:3], v[10:11]
	v_mul_f64 v[6:7], v[0:1], v[10:11]
	s_delay_alu instid0(VALU_DEP_2) | instskip(NEXT) | instid1(VALU_DEP_2)
	v_fma_f64 v[4:5], v[0:1], v[8:9], -v[4:5]
	v_fma_f64 v[6:7], v[2:3], v[8:9], v[6:7]
	s_delay_alu instid0(VALU_DEP_2) | instskip(SKIP_2) | instid1(VALU_DEP_3)
	v_add_f64 v[4:5], v[34:35], v[4:5]
	s_waitcnt lgkmcnt(0)
	v_mul_f64 v[34:35], v[2:3], v[14:15]
	v_add_f64 v[6:7], v[36:37], v[6:7]
	s_delay_alu instid0(VALU_DEP_2) | instskip(SKIP_1) | instid1(VALU_DEP_1)
	v_fma_f64 v[34:35], v[0:1], v[12:13], -v[34:35]
	v_mul_f64 v[0:1], v[0:1], v[14:15]
	v_fma_f64 v[2:3], v[2:3], v[12:13], v[0:1]
	s_delay_alu instid0(VALU_DEP_3) | instskip(NEXT) | instid1(VALU_DEP_2)
	v_add_f64 v[0:1], v[28:29], v[34:35]
	v_add_f64 v[2:3], v[26:27], v[2:3]
	ds_load_b128 v[26:29], v25 offset:2160
	s_waitcnt lgkmcnt(0)
	s_barrier
	buffer_gl0_inv
	v_mul_f64 v[34:35], v[28:29], v[10:11]
	v_mul_f64 v[10:11], v[26:27], v[10:11]
	s_delay_alu instid0(VALU_DEP_2) | instskip(NEXT) | instid1(VALU_DEP_2)
	v_fma_f64 v[34:35], v[26:27], v[8:9], -v[34:35]
	v_fma_f64 v[10:11], v[28:29], v[8:9], v[10:11]
	s_delay_alu instid0(VALU_DEP_2) | instskip(SKIP_2) | instid1(VALU_DEP_4)
	v_add_f64 v[8:9], v[30:31], v[34:35]
	v_mul_f64 v[30:31], v[28:29], v[14:15]
	v_mul_f64 v[14:15], v[26:27], v[14:15]
	v_add_f64 v[10:11], v[32:33], v[10:11]
	s_delay_alu instid0(VALU_DEP_3) | instskip(NEXT) | instid1(VALU_DEP_3)
	v_fma_f64 v[30:31], v[26:27], v[12:13], -v[30:31]
	v_fma_f64 v[14:15], v[28:29], v[12:13], v[14:15]
	s_delay_alu instid0(VALU_DEP_2) | instskip(NEXT) | instid1(VALU_DEP_2)
	v_add_f64 v[12:13], v[38:39], v[30:31]
	v_add_f64 v[14:15], v[40:41], v[14:15]
	s_cbranch_scc0 .LBB248_2
.LBB248_3:
	s_clause 0x1
	s_load_b32 s3, s[0:1], 0x40
	s_load_b64 s[0:1], s[0:1], 0x48
	v_add_nc_u32_e32 v18, s13, v21
	v_add_nc_u32_e32 v16, s12, v20
	s_delay_alu instid0(VALU_DEP_2)
	v_cmp_gt_i32_e32 vcc_lo, s2, v18
	s_waitcnt lgkmcnt(0)
	v_mad_i64_i32 v[21:22], null, v18, s3, 0
	s_mul_i32 s1, s15, s1
	s_mul_hi_u32 s4, s15, s0
	s_mul_i32 s0, s15, s0
	s_add_i32 s1, s4, s1
	s_delay_alu instid0(SALU_CYCLE_1) | instskip(NEXT) | instid1(VALU_DEP_1)
	s_lshl_b64 s[4:5], s[0:1], 4
	v_lshlrev_b64 v[19:20], 4, v[21:22]
	s_add_u32 s4, s6, s4
	v_cmp_le_i32_e64 s0, v16, v18
	s_addc_u32 s5, s7, s5
	s_delay_alu instid0(VALU_DEP_2) | instskip(NEXT) | instid1(VALU_DEP_1)
	v_add_co_u32 v19, s1, s4, v19
	v_add_co_ci_u32_e64 v20, s1, s5, v20, s1
	s_delay_alu instid0(VALU_DEP_3) | instskip(NEXT) | instid1(SALU_CYCLE_1)
	s_and_b32 s0, vcc_lo, s0
	s_and_saveexec_b32 s1, s0
	s_cbranch_execz .LBB248_5
; %bb.4:
	v_ashrrev_i32_e32 v17, 31, v16
	s_delay_alu instid0(VALU_DEP_1) | instskip(NEXT) | instid1(VALU_DEP_1)
	v_lshlrev_b64 v[21:22], 4, v[16:17]
	v_add_co_u32 v21, s0, v19, v21
	s_delay_alu instid0(VALU_DEP_1)
	v_add_co_ci_u32_e64 v22, s0, v20, v22, s0
	global_store_b128 v[21:22], v[4:7], off
.LBB248_5:
	s_or_b32 exec_lo, exec_lo, s1
	v_add_nc_u32_e32 v4, 16, v16
	s_delay_alu instid0(VALU_DEP_1) | instskip(NEXT) | instid1(VALU_DEP_1)
	v_cmp_le_i32_e64 s0, v4, v18
	s_and_b32 s1, vcc_lo, s0
	s_delay_alu instid0(SALU_CYCLE_1)
	s_and_saveexec_b32 s0, s1
	s_cbranch_execz .LBB248_7
; %bb.6:
	v_ashrrev_i32_e32 v5, 31, v4
	s_delay_alu instid0(VALU_DEP_1) | instskip(NEXT) | instid1(VALU_DEP_1)
	v_lshlrev_b64 v[5:6], 4, v[4:5]
	v_add_co_u32 v5, vcc_lo, v19, v5
	s_delay_alu instid0(VALU_DEP_2)
	v_add_co_ci_u32_e32 v6, vcc_lo, v20, v6, vcc_lo
	global_store_b128 v[5:6], v[0:3], off
.LBB248_7:
	s_or_b32 exec_lo, exec_lo, s0
	v_add_nc_u32_e32 v2, 16, v18
	s_delay_alu instid0(VALU_DEP_1) | instskip(SKIP_2) | instid1(VALU_DEP_1)
	v_mad_i64_i32 v[0:1], null, v2, s3, 0
	v_cmp_gt_i32_e32 vcc_lo, s2, v2
	v_cmp_le_i32_e64 s0, v16, v2
	s_and_b32 s0, vcc_lo, s0
	s_delay_alu instid0(VALU_DEP_3) | instskip(NEXT) | instid1(VALU_DEP_1)
	v_lshlrev_b64 v[0:1], 4, v[0:1]
	v_add_co_u32 v0, s1, s4, v0
	s_delay_alu instid0(VALU_DEP_1)
	v_add_co_ci_u32_e64 v1, s1, s5, v1, s1
	s_and_saveexec_b32 s1, s0
	s_cbranch_execz .LBB248_9
; %bb.8:
	v_ashrrev_i32_e32 v17, 31, v16
	s_delay_alu instid0(VALU_DEP_1) | instskip(NEXT) | instid1(VALU_DEP_1)
	v_lshlrev_b64 v[5:6], 4, v[16:17]
	v_add_co_u32 v5, s0, v0, v5
	s_delay_alu instid0(VALU_DEP_1)
	v_add_co_ci_u32_e64 v6, s0, v1, v6, s0
	global_store_b128 v[5:6], v[8:11], off
.LBB248_9:
	s_or_b32 exec_lo, exec_lo, s1
	v_cmp_le_i32_e64 s0, v4, v2
	s_delay_alu instid0(VALU_DEP_1) | instskip(NEXT) | instid1(SALU_CYCLE_1)
	s_and_b32 s0, vcc_lo, s0
	s_and_saveexec_b32 s1, s0
	s_cbranch_execz .LBB248_11
; %bb.10:
	v_ashrrev_i32_e32 v5, 31, v4
	s_delay_alu instid0(VALU_DEP_1) | instskip(NEXT) | instid1(VALU_DEP_1)
	v_lshlrev_b64 v[2:3], 4, v[4:5]
	v_add_co_u32 v0, vcc_lo, v0, v2
	s_delay_alu instid0(VALU_DEP_2)
	v_add_co_ci_u32_e32 v1, vcc_lo, v1, v3, vcc_lo
	global_store_b128 v[0:1], v[12:15], off
.LBB248_11:
	s_nop 0
	s_sendmsg sendmsg(MSG_DEALLOC_VGPRS)
	s_endpgm
	.section	.rodata,"a",@progbits
	.p2align	6, 0x0
	.amdhsa_kernel _ZL37rocblas_syrkx_herkx_restricted_kernelIi19rocblas_complex_numIdELi16ELi32ELi8ELi1ELi0ELb0ELc84ELc85EKS1_S1_EviT_PT9_S3_lS5_S3_lPT10_S3_li
		.amdhsa_group_segment_fixed_size 8192
		.amdhsa_private_segment_fixed_size 0
		.amdhsa_kernarg_size 84
		.amdhsa_user_sgpr_count 13
		.amdhsa_user_sgpr_dispatch_ptr 0
		.amdhsa_user_sgpr_queue_ptr 0
		.amdhsa_user_sgpr_kernarg_segment_ptr 1
		.amdhsa_user_sgpr_dispatch_id 0
		.amdhsa_user_sgpr_private_segment_size 0
		.amdhsa_wavefront_size32 1
		.amdhsa_uses_dynamic_stack 0
		.amdhsa_enable_private_segment 0
		.amdhsa_system_sgpr_workgroup_id_x 1
		.amdhsa_system_sgpr_workgroup_id_y 1
		.amdhsa_system_sgpr_workgroup_id_z 1
		.amdhsa_system_sgpr_workgroup_info 0
		.amdhsa_system_vgpr_workitem_id 1
		.amdhsa_next_free_vgpr 52
		.amdhsa_next_free_sgpr 20
		.amdhsa_reserve_vcc 1
		.amdhsa_float_round_mode_32 0
		.amdhsa_float_round_mode_16_64 0
		.amdhsa_float_denorm_mode_32 3
		.amdhsa_float_denorm_mode_16_64 3
		.amdhsa_dx10_clamp 1
		.amdhsa_ieee_mode 1
		.amdhsa_fp16_overflow 0
		.amdhsa_workgroup_processor_mode 1
		.amdhsa_memory_ordered 1
		.amdhsa_forward_progress 0
		.amdhsa_shared_vgpr_count 0
		.amdhsa_exception_fp_ieee_invalid_op 0
		.amdhsa_exception_fp_denorm_src 0
		.amdhsa_exception_fp_ieee_div_zero 0
		.amdhsa_exception_fp_ieee_overflow 0
		.amdhsa_exception_fp_ieee_underflow 0
		.amdhsa_exception_fp_ieee_inexact 0
		.amdhsa_exception_int_div_zero 0
	.end_amdhsa_kernel
	.section	.text._ZL37rocblas_syrkx_herkx_restricted_kernelIi19rocblas_complex_numIdELi16ELi32ELi8ELi1ELi0ELb0ELc84ELc85EKS1_S1_EviT_PT9_S3_lS5_S3_lPT10_S3_li,"axG",@progbits,_ZL37rocblas_syrkx_herkx_restricted_kernelIi19rocblas_complex_numIdELi16ELi32ELi8ELi1ELi0ELb0ELc84ELc85EKS1_S1_EviT_PT9_S3_lS5_S3_lPT10_S3_li,comdat
.Lfunc_end248:
	.size	_ZL37rocblas_syrkx_herkx_restricted_kernelIi19rocblas_complex_numIdELi16ELi32ELi8ELi1ELi0ELb0ELc84ELc85EKS1_S1_EviT_PT9_S3_lS5_S3_lPT10_S3_li, .Lfunc_end248-_ZL37rocblas_syrkx_herkx_restricted_kernelIi19rocblas_complex_numIdELi16ELi32ELi8ELi1ELi0ELb0ELc84ELc85EKS1_S1_EviT_PT9_S3_lS5_S3_lPT10_S3_li
                                        ; -- End function
	.section	.AMDGPU.csdata,"",@progbits
; Kernel info:
; codeLenInByte = 3188
; NumSgprs: 22
; NumVgprs: 52
; ScratchSize: 0
; MemoryBound: 0
; FloatMode: 240
; IeeeMode: 1
; LDSByteSize: 8192 bytes/workgroup (compile time only)
; SGPRBlocks: 2
; VGPRBlocks: 6
; NumSGPRsForWavesPerEU: 22
; NumVGPRsForWavesPerEU: 52
; Occupancy: 16
; WaveLimiterHint : 0
; COMPUTE_PGM_RSRC2:SCRATCH_EN: 0
; COMPUTE_PGM_RSRC2:USER_SGPR: 13
; COMPUTE_PGM_RSRC2:TRAP_HANDLER: 0
; COMPUTE_PGM_RSRC2:TGID_X_EN: 1
; COMPUTE_PGM_RSRC2:TGID_Y_EN: 1
; COMPUTE_PGM_RSRC2:TGID_Z_EN: 1
; COMPUTE_PGM_RSRC2:TIDIG_COMP_CNT: 1
	.section	.text._ZL37rocblas_syrkx_herkx_restricted_kernelIi19rocblas_complex_numIdELi16ELi32ELi8ELi1ELi0ELb0ELc67ELc85EKS1_S1_EviT_PT9_S3_lS5_S3_lPT10_S3_li,"axG",@progbits,_ZL37rocblas_syrkx_herkx_restricted_kernelIi19rocblas_complex_numIdELi16ELi32ELi8ELi1ELi0ELb0ELc67ELc85EKS1_S1_EviT_PT9_S3_lS5_S3_lPT10_S3_li,comdat
	.globl	_ZL37rocblas_syrkx_herkx_restricted_kernelIi19rocblas_complex_numIdELi16ELi32ELi8ELi1ELi0ELb0ELc67ELc85EKS1_S1_EviT_PT9_S3_lS5_S3_lPT10_S3_li ; -- Begin function _ZL37rocblas_syrkx_herkx_restricted_kernelIi19rocblas_complex_numIdELi16ELi32ELi8ELi1ELi0ELb0ELc67ELc85EKS1_S1_EviT_PT9_S3_lS5_S3_lPT10_S3_li
	.p2align	8
	.type	_ZL37rocblas_syrkx_herkx_restricted_kernelIi19rocblas_complex_numIdELi16ELi32ELi8ELi1ELi0ELb0ELc67ELc85EKS1_S1_EviT_PT9_S3_lS5_S3_lPT10_S3_li,@function
_ZL37rocblas_syrkx_herkx_restricted_kernelIi19rocblas_complex_numIdELi16ELi32ELi8ELi1ELi0ELb0ELc67ELc85EKS1_S1_EviT_PT9_S3_lS5_S3_lPT10_S3_li: ; @_ZL37rocblas_syrkx_herkx_restricted_kernelIi19rocblas_complex_numIdELi16ELi32ELi8ELi1ELi0ELb0ELc67ELc85EKS1_S1_EviT_PT9_S3_lS5_S3_lPT10_S3_li
; %bb.0:
	s_clause 0x1
	s_load_b64 s[2:3], s[0:1], 0x0
	s_load_b128 s[4:7], s[0:1], 0x30
	v_mov_b32_e32 v4, 0
	v_dual_mov_b32 v5, 0 :: v_dual_and_b32 v20, 0x3ff, v0
	v_bfe_u32 v21, v0, 10, 10
	s_delay_alu instid0(VALU_DEP_3) | instskip(NEXT) | instid1(VALU_DEP_3)
	v_mov_b32_e32 v0, v4
	v_dual_mov_b32 v2, v4 :: v_dual_mov_b32 v3, v5
	v_dual_mov_b32 v7, v5 :: v_dual_mov_b32 v6, v4
	v_mov_b32_e32 v1, v5
	v_dual_mov_b32 v9, v5 :: v_dual_mov_b32 v8, v4
	v_dual_mov_b32 v11, v5 :: v_dual_mov_b32 v10, v4
	;; [unrolled: 1-line block ×4, first 2 shown]
	s_lshl_b32 s12, s13, 5
	s_lshl_b32 s13, s14, 5
	s_waitcnt lgkmcnt(0)
	s_cmp_lt_i32 s3, 1
	s_mov_b32 s14, 0
	s_cbranch_scc1 .LBB249_3
; %bb.1:
	s_clause 0x1
	s_load_b32 s18, s[0:1], 0x10
	s_load_b128 s[8:11], s[0:1], 0x18
	v_lshl_add_u32 v2, v21, 4, v20
	s_clause 0x1
	s_load_b64 s[16:17], s[0:1], 0x8
	s_load_b32 s19, s[0:1], 0x28
	v_dual_mov_b32 v1, 0 :: v_dual_and_b32 v0, 7, v20
	v_dual_mov_b32 v14, 0 :: v_dual_and_b32 v5, 31, v2
	v_lshrrev_b32_e32 v4, 3, v2
	v_dual_mov_b32 v15, 0 :: v_dual_lshlrev_b32 v22, 4, v20
	s_delay_alu instid0(VALU_DEP_3) | instskip(NEXT) | instid1(VALU_DEP_4)
	v_dual_mov_b32 v12, v14 :: v_dual_lshlrev_b32 v3, 4, v0
	v_lshlrev_b32_e32 v6, 4, v5
	v_lshrrev_b32_e32 v2, 5, v2
	s_delay_alu instid0(VALU_DEP_4) | instskip(NEXT) | instid1(VALU_DEP_4)
	v_dual_mov_b32 v13, v15 :: v_dual_add_nc_u32 v8, s12, v5
	v_lshl_or_b32 v7, v4, 7, v3
	v_mov_b32_e32 v3, v1
	v_dual_mov_b32 v10, v14 :: v_dual_add_nc_u32 v9, s13, v4
	v_lshl_or_b32 v23, v2, 9, v6
	s_waitcnt lgkmcnt(0)
	s_mul_i32 s9, s9, s15
	v_mad_i64_i32 v[4:5], null, s18, v8, v[2:3]
	s_mul_hi_u32 s18, s8, s15
	v_mad_i64_i32 v[2:3], null, s19, v9, v[0:1]
	s_mul_i32 s8, s8, s15
	s_add_i32 s9, s18, s9
	s_mul_i32 s5, s5, s15
	s_lshl_b64 s[8:9], s[8:9], 4
	s_delay_alu instid0(VALU_DEP_2)
	v_lshlrev_b64 v[0:1], 4, v[4:5]
	s_add_u32 s8, s16, s8
	s_mul_hi_u32 s16, s4, s15
	s_addc_u32 s9, s17, s9
	s_add_i32 s5, s16, s5
	s_mul_i32 s4, s4, s15
	v_lshlrev_b64 v[2:3], 4, v[2:3]
	s_lshl_b64 s[4:5], s[4:5], 4
	v_add_co_u32 v0, vcc_lo, s8, v0
	s_add_u32 s4, s10, s4
	v_add_co_ci_u32_e32 v1, vcc_lo, s9, v1, vcc_lo
	s_addc_u32 s5, s11, s5
	v_add_co_u32 v2, vcc_lo, s4, v2
	v_add_co_ci_u32_e32 v3, vcc_lo, s5, v3, vcc_lo
	v_add_co_u32 v16, vcc_lo, v0, 8
	v_add_co_ci_u32_e32 v17, vcc_lo, 0, v1, vcc_lo
	s_delay_alu instid0(VALU_DEP_4)
	v_add_co_u32 v18, vcc_lo, v2, 8
	v_dual_mov_b32 v11, v15 :: v_dual_add_nc_u32 v24, 0x1000, v7
	v_lshl_add_u32 v25, v21, 7, 0x1000
	v_add_co_ci_u32_e32 v19, vcc_lo, 0, v3, vcc_lo
	v_dual_mov_b32 v8, v14 :: v_dual_mov_b32 v9, v15
	v_dual_mov_b32 v2, v14 :: v_dual_mov_b32 v3, v15
	;; [unrolled: 1-line block ×5, first 2 shown]
.LBB249_2:                              ; =>This Inner Loop Header: Depth=1
	global_load_b128 v[26:29], v[16:17], off offset:-8
	v_add_co_u32 v16, vcc_lo, 0x80, v16
	v_add_co_ci_u32_e32 v17, vcc_lo, 0, v17, vcc_lo
	s_add_i32 s14, s14, 8
	s_delay_alu instid0(SALU_CYCLE_1)
	s_cmp_ge_i32 s14, s3
	s_waitcnt vmcnt(0)
	ds_store_b128 v23, v[26:29]
	global_load_b128 v[26:29], v[18:19], off offset:-8
	v_add_co_u32 v18, vcc_lo, 0x80, v18
	v_add_co_ci_u32_e32 v19, vcc_lo, 0, v19, vcc_lo
	s_waitcnt vmcnt(0)
	ds_store_b128 v24, v[26:29]
	s_waitcnt lgkmcnt(0)
	s_barrier
	buffer_gl0_inv
	ds_load_b128 v[26:29], v25
	ds_load_b128 v[30:33], v25 offset:16
	ds_load_b128 v[34:37], v25 offset:32
	;; [unrolled: 1-line block ×3, first 2 shown]
	ds_load_b128 v[42:45], v22
	s_waitcnt lgkmcnt(0)
	v_mul_f64 v[46:47], v[28:29], v[44:45]
	v_mul_f64 v[48:49], v[26:27], v[44:45]
	s_delay_alu instid0(VALU_DEP_2) | instskip(NEXT) | instid1(VALU_DEP_2)
	v_fma_f64 v[46:47], v[26:27], v[42:43], -v[46:47]
	v_fma_f64 v[48:49], v[28:29], v[42:43], v[48:49]
	s_delay_alu instid0(VALU_DEP_2) | instskip(NEXT) | instid1(VALU_DEP_2)
	v_add_f64 v[46:47], v[4:5], v[46:47]
	v_add_f64 v[48:49], v[6:7], v[48:49]
	ds_load_b128 v[4:7], v22 offset:256
	s_waitcnt lgkmcnt(0)
	v_mul_f64 v[50:51], v[28:29], v[6:7]
	s_delay_alu instid0(VALU_DEP_1) | instskip(SKIP_1) | instid1(VALU_DEP_1)
	v_fma_f64 v[50:51], v[26:27], v[4:5], -v[50:51]
	v_mul_f64 v[26:27], v[26:27], v[6:7]
	v_fma_f64 v[26:27], v[28:29], v[4:5], v[26:27]
	s_delay_alu instid0(VALU_DEP_3) | instskip(NEXT) | instid1(VALU_DEP_2)
	v_add_f64 v[28:29], v[0:1], v[50:51]
	v_add_f64 v[26:27], v[2:3], v[26:27]
	ds_load_b128 v[0:3], v25 offset:2048
	s_waitcnt lgkmcnt(0)
	v_mul_f64 v[50:51], v[2:3], v[44:45]
	v_mul_f64 v[44:45], v[0:1], v[44:45]
	s_delay_alu instid0(VALU_DEP_2) | instskip(NEXT) | instid1(VALU_DEP_2)
	v_fma_f64 v[50:51], v[0:1], v[42:43], -v[50:51]
	v_fma_f64 v[42:43], v[2:3], v[42:43], v[44:45]
	s_delay_alu instid0(VALU_DEP_2) | instskip(SKIP_1) | instid1(VALU_DEP_3)
	v_add_f64 v[44:45], v[8:9], v[50:51]
	v_mul_f64 v[8:9], v[2:3], v[6:7]
	v_add_f64 v[42:43], v[10:11], v[42:43]
	s_delay_alu instid0(VALU_DEP_2) | instskip(SKIP_1) | instid1(VALU_DEP_2)
	v_fma_f64 v[8:9], v[0:1], v[4:5], -v[8:9]
	v_mul_f64 v[0:1], v[0:1], v[6:7]
	v_add_f64 v[12:13], v[12:13], v[8:9]
	s_delay_alu instid0(VALU_DEP_2) | instskip(NEXT) | instid1(VALU_DEP_1)
	v_fma_f64 v[0:1], v[2:3], v[4:5], v[0:1]
	v_add_f64 v[14:15], v[14:15], v[0:1]
	ds_load_b128 v[0:3], v22 offset:512
	s_waitcnt lgkmcnt(0)
	v_mul_f64 v[4:5], v[32:33], v[2:3]
	v_mul_f64 v[6:7], v[30:31], v[2:3]
	s_delay_alu instid0(VALU_DEP_2) | instskip(NEXT) | instid1(VALU_DEP_2)
	v_fma_f64 v[4:5], v[30:31], v[0:1], -v[4:5]
	v_fma_f64 v[6:7], v[32:33], v[0:1], v[6:7]
	s_delay_alu instid0(VALU_DEP_2) | instskip(NEXT) | instid1(VALU_DEP_2)
	v_add_f64 v[46:47], v[46:47], v[4:5]
	v_add_f64 v[48:49], v[48:49], v[6:7]
	ds_load_b128 v[4:7], v22 offset:768
	s_waitcnt lgkmcnt(0)
	v_mul_f64 v[8:9], v[32:33], v[6:7]
	v_mul_f64 v[10:11], v[30:31], v[6:7]
	s_delay_alu instid0(VALU_DEP_2) | instskip(NEXT) | instid1(VALU_DEP_2)
	v_fma_f64 v[8:9], v[30:31], v[4:5], -v[8:9]
	v_fma_f64 v[10:11], v[32:33], v[4:5], v[10:11]
	s_delay_alu instid0(VALU_DEP_2) | instskip(NEXT) | instid1(VALU_DEP_2)
	v_add_f64 v[28:29], v[28:29], v[8:9]
	v_add_f64 v[26:27], v[26:27], v[10:11]
	ds_load_b128 v[8:11], v25 offset:2064
	s_waitcnt lgkmcnt(0)
	v_mul_f64 v[30:31], v[10:11], v[2:3]
	v_mul_f64 v[2:3], v[8:9], v[2:3]
	s_delay_alu instid0(VALU_DEP_2) | instskip(NEXT) | instid1(VALU_DEP_2)
	v_fma_f64 v[30:31], v[8:9], v[0:1], -v[30:31]
	v_fma_f64 v[0:1], v[10:11], v[0:1], v[2:3]
	v_mul_f64 v[2:3], v[8:9], v[6:7]
	s_delay_alu instid0(VALU_DEP_3) | instskip(NEXT) | instid1(VALU_DEP_3)
	v_add_f64 v[30:31], v[44:45], v[30:31]
	v_add_f64 v[32:33], v[42:43], v[0:1]
	v_mul_f64 v[0:1], v[10:11], v[6:7]
	s_delay_alu instid0(VALU_DEP_4) | instskip(NEXT) | instid1(VALU_DEP_2)
	v_fma_f64 v[2:3], v[10:11], v[4:5], v[2:3]
	v_fma_f64 v[0:1], v[8:9], v[4:5], -v[0:1]
	s_delay_alu instid0(VALU_DEP_2) | instskip(NEXT) | instid1(VALU_DEP_2)
	v_add_f64 v[14:15], v[14:15], v[2:3]
	v_add_f64 v[12:13], v[12:13], v[0:1]
	ds_load_b128 v[0:3], v22 offset:1024
	s_waitcnt lgkmcnt(0)
	v_mul_f64 v[4:5], v[36:37], v[2:3]
	v_mul_f64 v[6:7], v[34:35], v[2:3]
	s_delay_alu instid0(VALU_DEP_2) | instskip(NEXT) | instid1(VALU_DEP_2)
	v_fma_f64 v[4:5], v[34:35], v[0:1], -v[4:5]
	v_fma_f64 v[6:7], v[36:37], v[0:1], v[6:7]
	s_delay_alu instid0(VALU_DEP_2) | instskip(NEXT) | instid1(VALU_DEP_2)
	v_add_f64 v[42:43], v[46:47], v[4:5]
	v_add_f64 v[44:45], v[48:49], v[6:7]
	ds_load_b128 v[4:7], v22 offset:1280
	s_waitcnt lgkmcnt(0)
	v_mul_f64 v[8:9], v[36:37], v[6:7]
	v_mul_f64 v[10:11], v[34:35], v[6:7]
	s_delay_alu instid0(VALU_DEP_2) | instskip(NEXT) | instid1(VALU_DEP_2)
	v_fma_f64 v[8:9], v[34:35], v[4:5], -v[8:9]
	v_fma_f64 v[10:11], v[36:37], v[4:5], v[10:11]
	s_delay_alu instid0(VALU_DEP_2) | instskip(NEXT) | instid1(VALU_DEP_2)
	v_add_f64 v[28:29], v[28:29], v[8:9]
	v_add_f64 v[26:27], v[26:27], v[10:11]
	ds_load_b128 v[8:11], v25 offset:2080
	s_waitcnt lgkmcnt(0)
	v_mul_f64 v[34:35], v[10:11], v[2:3]
	v_mul_f64 v[2:3], v[8:9], v[2:3]
	s_delay_alu instid0(VALU_DEP_2) | instskip(NEXT) | instid1(VALU_DEP_2)
	v_fma_f64 v[34:35], v[8:9], v[0:1], -v[34:35]
	v_fma_f64 v[0:1], v[10:11], v[0:1], v[2:3]
	v_mul_f64 v[2:3], v[8:9], v[6:7]
	s_delay_alu instid0(VALU_DEP_3) | instskip(NEXT) | instid1(VALU_DEP_3)
	v_add_f64 v[30:31], v[30:31], v[34:35]
	v_add_f64 v[32:33], v[32:33], v[0:1]
	v_mul_f64 v[0:1], v[10:11], v[6:7]
	s_delay_alu instid0(VALU_DEP_4) | instskip(NEXT) | instid1(VALU_DEP_2)
	v_fma_f64 v[2:3], v[10:11], v[4:5], v[2:3]
	v_fma_f64 v[0:1], v[8:9], v[4:5], -v[0:1]
	s_delay_alu instid0(VALU_DEP_2) | instskip(NEXT) | instid1(VALU_DEP_2)
	v_add_f64 v[14:15], v[14:15], v[2:3]
	;; [unrolled: 38-line block ×3, first 2 shown]
	v_add_f64 v[12:13], v[12:13], v[0:1]
	ds_load_b128 v[0:3], v25 offset:64
	ds_load_b128 v[4:7], v22 offset:2048
	s_waitcnt lgkmcnt(0)
	v_mul_f64 v[8:9], v[2:3], v[6:7]
	v_mul_f64 v[10:11], v[0:1], v[6:7]
	s_delay_alu instid0(VALU_DEP_2) | instskip(NEXT) | instid1(VALU_DEP_2)
	v_fma_f64 v[8:9], v[0:1], v[4:5], -v[8:9]
	v_fma_f64 v[10:11], v[2:3], v[4:5], v[10:11]
	s_delay_alu instid0(VALU_DEP_2) | instskip(NEXT) | instid1(VALU_DEP_2)
	v_add_f64 v[34:35], v[34:35], v[8:9]
	v_add_f64 v[36:37], v[36:37], v[10:11]
	ds_load_b128 v[8:11], v22 offset:2304
	s_waitcnt lgkmcnt(0)
	v_mul_f64 v[38:39], v[2:3], v[10:11]
	s_delay_alu instid0(VALU_DEP_1) | instskip(SKIP_1) | instid1(VALU_DEP_2)
	v_fma_f64 v[38:39], v[0:1], v[8:9], -v[38:39]
	v_mul_f64 v[0:1], v[0:1], v[10:11]
	v_add_f64 v[28:29], v[28:29], v[38:39]
	s_delay_alu instid0(VALU_DEP_2) | instskip(NEXT) | instid1(VALU_DEP_1)
	v_fma_f64 v[0:1], v[2:3], v[8:9], v[0:1]
	v_add_f64 v[26:27], v[26:27], v[0:1]
	ds_load_b128 v[0:3], v25 offset:2112
	s_waitcnt lgkmcnt(0)
	v_mul_f64 v[38:39], v[2:3], v[6:7]
	v_mul_f64 v[6:7], v[0:1], v[6:7]
	s_delay_alu instid0(VALU_DEP_2) | instskip(NEXT) | instid1(VALU_DEP_2)
	v_fma_f64 v[38:39], v[0:1], v[4:5], -v[38:39]
	v_fma_f64 v[4:5], v[2:3], v[4:5], v[6:7]
	s_delay_alu instid0(VALU_DEP_2) | instskip(NEXT) | instid1(VALU_DEP_2)
	v_add_f64 v[30:31], v[30:31], v[38:39]
	v_add_f64 v[32:33], v[32:33], v[4:5]
	v_mul_f64 v[4:5], v[2:3], v[10:11]
	s_delay_alu instid0(VALU_DEP_1) | instskip(SKIP_1) | instid1(VALU_DEP_2)
	v_fma_f64 v[4:5], v[0:1], v[8:9], -v[4:5]
	v_mul_f64 v[0:1], v[0:1], v[10:11]
	v_add_f64 v[12:13], v[12:13], v[4:5]
	s_delay_alu instid0(VALU_DEP_2) | instskip(NEXT) | instid1(VALU_DEP_1)
	v_fma_f64 v[0:1], v[2:3], v[8:9], v[0:1]
	v_add_f64 v[14:15], v[14:15], v[0:1]
	ds_load_b128 v[0:3], v25 offset:80
	ds_load_b128 v[4:7], v22 offset:2560
	s_waitcnt lgkmcnt(0)
	v_mul_f64 v[8:9], v[2:3], v[6:7]
	v_mul_f64 v[10:11], v[0:1], v[6:7]
	s_delay_alu instid0(VALU_DEP_2) | instskip(NEXT) | instid1(VALU_DEP_2)
	v_fma_f64 v[8:9], v[0:1], v[4:5], -v[8:9]
	v_fma_f64 v[10:11], v[2:3], v[4:5], v[10:11]
	s_delay_alu instid0(VALU_DEP_2) | instskip(NEXT) | instid1(VALU_DEP_2)
	v_add_f64 v[34:35], v[34:35], v[8:9]
	v_add_f64 v[36:37], v[36:37], v[10:11]
	ds_load_b128 v[8:11], v22 offset:2816
	s_waitcnt lgkmcnt(0)
	v_mul_f64 v[38:39], v[2:3], v[10:11]
	s_delay_alu instid0(VALU_DEP_1) | instskip(SKIP_1) | instid1(VALU_DEP_2)
	v_fma_f64 v[38:39], v[0:1], v[8:9], -v[38:39]
	v_mul_f64 v[0:1], v[0:1], v[10:11]
	v_add_f64 v[28:29], v[28:29], v[38:39]
	s_delay_alu instid0(VALU_DEP_2) | instskip(NEXT) | instid1(VALU_DEP_1)
	v_fma_f64 v[0:1], v[2:3], v[8:9], v[0:1]
	v_add_f64 v[26:27], v[26:27], v[0:1]
	ds_load_b128 v[0:3], v25 offset:2128
	s_waitcnt lgkmcnt(0)
	v_mul_f64 v[38:39], v[2:3], v[6:7]
	v_mul_f64 v[6:7], v[0:1], v[6:7]
	s_delay_alu instid0(VALU_DEP_2) | instskip(NEXT) | instid1(VALU_DEP_2)
	v_fma_f64 v[38:39], v[0:1], v[4:5], -v[38:39]
	v_fma_f64 v[4:5], v[2:3], v[4:5], v[6:7]
	s_delay_alu instid0(VALU_DEP_2) | instskip(NEXT) | instid1(VALU_DEP_2)
	v_add_f64 v[30:31], v[30:31], v[38:39]
	v_add_f64 v[32:33], v[32:33], v[4:5]
	v_mul_f64 v[4:5], v[2:3], v[10:11]
	s_delay_alu instid0(VALU_DEP_1) | instskip(SKIP_1) | instid1(VALU_DEP_2)
	v_fma_f64 v[4:5], v[0:1], v[8:9], -v[4:5]
	v_mul_f64 v[0:1], v[0:1], v[10:11]
	v_add_f64 v[12:13], v[12:13], v[4:5]
	s_delay_alu instid0(VALU_DEP_2) | instskip(NEXT) | instid1(VALU_DEP_1)
	v_fma_f64 v[0:1], v[2:3], v[8:9], v[0:1]
	;; [unrolled: 39-line block ×3, first 2 shown]
	v_add_f64 v[40:41], v[14:15], v[0:1]
	ds_load_b128 v[0:3], v25 offset:112
	ds_load_b128 v[8:11], v22 offset:3584
	;; [unrolled: 1-line block ×3, first 2 shown]
	s_waitcnt lgkmcnt(1)
	v_mul_f64 v[4:5], v[2:3], v[10:11]
	v_mul_f64 v[6:7], v[0:1], v[10:11]
	s_delay_alu instid0(VALU_DEP_2) | instskip(NEXT) | instid1(VALU_DEP_2)
	v_fma_f64 v[4:5], v[0:1], v[8:9], -v[4:5]
	v_fma_f64 v[6:7], v[2:3], v[8:9], v[6:7]
	s_delay_alu instid0(VALU_DEP_2) | instskip(SKIP_2) | instid1(VALU_DEP_3)
	v_add_f64 v[4:5], v[34:35], v[4:5]
	s_waitcnt lgkmcnt(0)
	v_mul_f64 v[34:35], v[2:3], v[14:15]
	v_add_f64 v[6:7], v[36:37], v[6:7]
	s_delay_alu instid0(VALU_DEP_2) | instskip(SKIP_1) | instid1(VALU_DEP_1)
	v_fma_f64 v[34:35], v[0:1], v[12:13], -v[34:35]
	v_mul_f64 v[0:1], v[0:1], v[14:15]
	v_fma_f64 v[2:3], v[2:3], v[12:13], v[0:1]
	s_delay_alu instid0(VALU_DEP_3) | instskip(NEXT) | instid1(VALU_DEP_2)
	v_add_f64 v[0:1], v[28:29], v[34:35]
	v_add_f64 v[2:3], v[26:27], v[2:3]
	ds_load_b128 v[26:29], v25 offset:2160
	s_waitcnt lgkmcnt(0)
	s_barrier
	buffer_gl0_inv
	v_mul_f64 v[34:35], v[28:29], v[10:11]
	v_mul_f64 v[10:11], v[26:27], v[10:11]
	s_delay_alu instid0(VALU_DEP_2) | instskip(NEXT) | instid1(VALU_DEP_2)
	v_fma_f64 v[34:35], v[26:27], v[8:9], -v[34:35]
	v_fma_f64 v[10:11], v[28:29], v[8:9], v[10:11]
	s_delay_alu instid0(VALU_DEP_2) | instskip(SKIP_2) | instid1(VALU_DEP_4)
	v_add_f64 v[8:9], v[30:31], v[34:35]
	v_mul_f64 v[30:31], v[28:29], v[14:15]
	v_mul_f64 v[14:15], v[26:27], v[14:15]
	v_add_f64 v[10:11], v[32:33], v[10:11]
	s_delay_alu instid0(VALU_DEP_3) | instskip(NEXT) | instid1(VALU_DEP_3)
	v_fma_f64 v[30:31], v[26:27], v[12:13], -v[30:31]
	v_fma_f64 v[14:15], v[28:29], v[12:13], v[14:15]
	s_delay_alu instid0(VALU_DEP_2) | instskip(NEXT) | instid1(VALU_DEP_2)
	v_add_f64 v[12:13], v[38:39], v[30:31]
	v_add_f64 v[14:15], v[40:41], v[14:15]
	s_cbranch_scc0 .LBB249_2
.LBB249_3:
	s_clause 0x1
	s_load_b32 s3, s[0:1], 0x40
	s_load_b64 s[0:1], s[0:1], 0x48
	v_add_nc_u32_e32 v18, s13, v21
	v_add_nc_u32_e32 v16, s12, v20
	s_delay_alu instid0(VALU_DEP_2)
	v_cmp_gt_i32_e32 vcc_lo, s2, v18
	s_waitcnt lgkmcnt(0)
	v_mad_i64_i32 v[21:22], null, v18, s3, 0
	s_mul_i32 s1, s15, s1
	s_mul_hi_u32 s4, s15, s0
	s_mul_i32 s0, s15, s0
	s_add_i32 s1, s4, s1
	s_delay_alu instid0(SALU_CYCLE_1) | instskip(NEXT) | instid1(VALU_DEP_1)
	s_lshl_b64 s[4:5], s[0:1], 4
	v_lshlrev_b64 v[19:20], 4, v[21:22]
	s_add_u32 s4, s6, s4
	v_cmp_le_i32_e64 s0, v16, v18
	s_addc_u32 s5, s7, s5
	s_delay_alu instid0(VALU_DEP_2) | instskip(NEXT) | instid1(VALU_DEP_1)
	v_add_co_u32 v19, s1, s4, v19
	v_add_co_ci_u32_e64 v20, s1, s5, v20, s1
	s_delay_alu instid0(VALU_DEP_3) | instskip(NEXT) | instid1(SALU_CYCLE_1)
	s_and_b32 s0, vcc_lo, s0
	s_and_saveexec_b32 s1, s0
	s_cbranch_execz .LBB249_5
; %bb.4:
	v_ashrrev_i32_e32 v17, 31, v16
	s_delay_alu instid0(VALU_DEP_1) | instskip(NEXT) | instid1(VALU_DEP_1)
	v_lshlrev_b64 v[21:22], 4, v[16:17]
	v_add_co_u32 v21, s0, v19, v21
	s_delay_alu instid0(VALU_DEP_1)
	v_add_co_ci_u32_e64 v22, s0, v20, v22, s0
	global_store_b128 v[21:22], v[4:7], off
.LBB249_5:
	s_or_b32 exec_lo, exec_lo, s1
	v_add_nc_u32_e32 v4, 16, v16
	s_delay_alu instid0(VALU_DEP_1) | instskip(NEXT) | instid1(VALU_DEP_1)
	v_cmp_le_i32_e64 s0, v4, v18
	s_and_b32 s1, vcc_lo, s0
	s_delay_alu instid0(SALU_CYCLE_1)
	s_and_saveexec_b32 s0, s1
	s_cbranch_execz .LBB249_7
; %bb.6:
	v_ashrrev_i32_e32 v5, 31, v4
	s_delay_alu instid0(VALU_DEP_1) | instskip(NEXT) | instid1(VALU_DEP_1)
	v_lshlrev_b64 v[5:6], 4, v[4:5]
	v_add_co_u32 v5, vcc_lo, v19, v5
	s_delay_alu instid0(VALU_DEP_2)
	v_add_co_ci_u32_e32 v6, vcc_lo, v20, v6, vcc_lo
	global_store_b128 v[5:6], v[0:3], off
.LBB249_7:
	s_or_b32 exec_lo, exec_lo, s0
	v_add_nc_u32_e32 v2, 16, v18
	s_delay_alu instid0(VALU_DEP_1) | instskip(SKIP_2) | instid1(VALU_DEP_1)
	v_mad_i64_i32 v[0:1], null, v2, s3, 0
	v_cmp_gt_i32_e32 vcc_lo, s2, v2
	v_cmp_le_i32_e64 s0, v16, v2
	s_and_b32 s0, vcc_lo, s0
	s_delay_alu instid0(VALU_DEP_3) | instskip(NEXT) | instid1(VALU_DEP_1)
	v_lshlrev_b64 v[0:1], 4, v[0:1]
	v_add_co_u32 v0, s1, s4, v0
	s_delay_alu instid0(VALU_DEP_1)
	v_add_co_ci_u32_e64 v1, s1, s5, v1, s1
	s_and_saveexec_b32 s1, s0
	s_cbranch_execz .LBB249_9
; %bb.8:
	v_ashrrev_i32_e32 v17, 31, v16
	s_delay_alu instid0(VALU_DEP_1) | instskip(NEXT) | instid1(VALU_DEP_1)
	v_lshlrev_b64 v[5:6], 4, v[16:17]
	v_add_co_u32 v5, s0, v0, v5
	s_delay_alu instid0(VALU_DEP_1)
	v_add_co_ci_u32_e64 v6, s0, v1, v6, s0
	global_store_b128 v[5:6], v[8:11], off
.LBB249_9:
	s_or_b32 exec_lo, exec_lo, s1
	v_cmp_le_i32_e64 s0, v4, v2
	s_delay_alu instid0(VALU_DEP_1) | instskip(NEXT) | instid1(SALU_CYCLE_1)
	s_and_b32 s0, vcc_lo, s0
	s_and_saveexec_b32 s1, s0
	s_cbranch_execz .LBB249_11
; %bb.10:
	v_ashrrev_i32_e32 v5, 31, v4
	s_delay_alu instid0(VALU_DEP_1) | instskip(NEXT) | instid1(VALU_DEP_1)
	v_lshlrev_b64 v[2:3], 4, v[4:5]
	v_add_co_u32 v0, vcc_lo, v0, v2
	s_delay_alu instid0(VALU_DEP_2)
	v_add_co_ci_u32_e32 v1, vcc_lo, v1, v3, vcc_lo
	global_store_b128 v[0:1], v[12:15], off
.LBB249_11:
	s_nop 0
	s_sendmsg sendmsg(MSG_DEALLOC_VGPRS)
	s_endpgm
	.section	.rodata,"a",@progbits
	.p2align	6, 0x0
	.amdhsa_kernel _ZL37rocblas_syrkx_herkx_restricted_kernelIi19rocblas_complex_numIdELi16ELi32ELi8ELi1ELi0ELb0ELc67ELc85EKS1_S1_EviT_PT9_S3_lS5_S3_lPT10_S3_li
		.amdhsa_group_segment_fixed_size 8192
		.amdhsa_private_segment_fixed_size 0
		.amdhsa_kernarg_size 84
		.amdhsa_user_sgpr_count 13
		.amdhsa_user_sgpr_dispatch_ptr 0
		.amdhsa_user_sgpr_queue_ptr 0
		.amdhsa_user_sgpr_kernarg_segment_ptr 1
		.amdhsa_user_sgpr_dispatch_id 0
		.amdhsa_user_sgpr_private_segment_size 0
		.amdhsa_wavefront_size32 1
		.amdhsa_uses_dynamic_stack 0
		.amdhsa_enable_private_segment 0
		.amdhsa_system_sgpr_workgroup_id_x 1
		.amdhsa_system_sgpr_workgroup_id_y 1
		.amdhsa_system_sgpr_workgroup_id_z 1
		.amdhsa_system_sgpr_workgroup_info 0
		.amdhsa_system_vgpr_workitem_id 1
		.amdhsa_next_free_vgpr 52
		.amdhsa_next_free_sgpr 20
		.amdhsa_reserve_vcc 1
		.amdhsa_float_round_mode_32 0
		.amdhsa_float_round_mode_16_64 0
		.amdhsa_float_denorm_mode_32 3
		.amdhsa_float_denorm_mode_16_64 3
		.amdhsa_dx10_clamp 1
		.amdhsa_ieee_mode 1
		.amdhsa_fp16_overflow 0
		.amdhsa_workgroup_processor_mode 1
		.amdhsa_memory_ordered 1
		.amdhsa_forward_progress 0
		.amdhsa_shared_vgpr_count 0
		.amdhsa_exception_fp_ieee_invalid_op 0
		.amdhsa_exception_fp_denorm_src 0
		.amdhsa_exception_fp_ieee_div_zero 0
		.amdhsa_exception_fp_ieee_overflow 0
		.amdhsa_exception_fp_ieee_underflow 0
		.amdhsa_exception_fp_ieee_inexact 0
		.amdhsa_exception_int_div_zero 0
	.end_amdhsa_kernel
	.section	.text._ZL37rocblas_syrkx_herkx_restricted_kernelIi19rocblas_complex_numIdELi16ELi32ELi8ELi1ELi0ELb0ELc67ELc85EKS1_S1_EviT_PT9_S3_lS5_S3_lPT10_S3_li,"axG",@progbits,_ZL37rocblas_syrkx_herkx_restricted_kernelIi19rocblas_complex_numIdELi16ELi32ELi8ELi1ELi0ELb0ELc67ELc85EKS1_S1_EviT_PT9_S3_lS5_S3_lPT10_S3_li,comdat
.Lfunc_end249:
	.size	_ZL37rocblas_syrkx_herkx_restricted_kernelIi19rocblas_complex_numIdELi16ELi32ELi8ELi1ELi0ELb0ELc67ELc85EKS1_S1_EviT_PT9_S3_lS5_S3_lPT10_S3_li, .Lfunc_end249-_ZL37rocblas_syrkx_herkx_restricted_kernelIi19rocblas_complex_numIdELi16ELi32ELi8ELi1ELi0ELb0ELc67ELc85EKS1_S1_EviT_PT9_S3_lS5_S3_lPT10_S3_li
                                        ; -- End function
	.section	.AMDGPU.csdata,"",@progbits
; Kernel info:
; codeLenInByte = 3188
; NumSgprs: 22
; NumVgprs: 52
; ScratchSize: 0
; MemoryBound: 0
; FloatMode: 240
; IeeeMode: 1
; LDSByteSize: 8192 bytes/workgroup (compile time only)
; SGPRBlocks: 2
; VGPRBlocks: 6
; NumSGPRsForWavesPerEU: 22
; NumVGPRsForWavesPerEU: 52
; Occupancy: 16
; WaveLimiterHint : 0
; COMPUTE_PGM_RSRC2:SCRATCH_EN: 0
; COMPUTE_PGM_RSRC2:USER_SGPR: 13
; COMPUTE_PGM_RSRC2:TRAP_HANDLER: 0
; COMPUTE_PGM_RSRC2:TGID_X_EN: 1
; COMPUTE_PGM_RSRC2:TGID_Y_EN: 1
; COMPUTE_PGM_RSRC2:TGID_Z_EN: 1
; COMPUTE_PGM_RSRC2:TIDIG_COMP_CNT: 1
	.section	.text._ZL37rocblas_syrkx_herkx_restricted_kernelIi19rocblas_complex_numIdELi16ELi32ELi8ELi1ELi0ELb0ELc78ELc85EKS1_S1_EviT_PT9_S3_lS5_S3_lPT10_S3_li,"axG",@progbits,_ZL37rocblas_syrkx_herkx_restricted_kernelIi19rocblas_complex_numIdELi16ELi32ELi8ELi1ELi0ELb0ELc78ELc85EKS1_S1_EviT_PT9_S3_lS5_S3_lPT10_S3_li,comdat
	.globl	_ZL37rocblas_syrkx_herkx_restricted_kernelIi19rocblas_complex_numIdELi16ELi32ELi8ELi1ELi0ELb0ELc78ELc85EKS1_S1_EviT_PT9_S3_lS5_S3_lPT10_S3_li ; -- Begin function _ZL37rocblas_syrkx_herkx_restricted_kernelIi19rocblas_complex_numIdELi16ELi32ELi8ELi1ELi0ELb0ELc78ELc85EKS1_S1_EviT_PT9_S3_lS5_S3_lPT10_S3_li
	.p2align	8
	.type	_ZL37rocblas_syrkx_herkx_restricted_kernelIi19rocblas_complex_numIdELi16ELi32ELi8ELi1ELi0ELb0ELc78ELc85EKS1_S1_EviT_PT9_S3_lS5_S3_lPT10_S3_li,@function
_ZL37rocblas_syrkx_herkx_restricted_kernelIi19rocblas_complex_numIdELi16ELi32ELi8ELi1ELi0ELb0ELc78ELc85EKS1_S1_EviT_PT9_S3_lS5_S3_lPT10_S3_li: ; @_ZL37rocblas_syrkx_herkx_restricted_kernelIi19rocblas_complex_numIdELi16ELi32ELi8ELi1ELi0ELb0ELc78ELc85EKS1_S1_EviT_PT9_S3_lS5_S3_lPT10_S3_li
; %bb.0:
	s_clause 0x1
	s_load_b64 s[2:3], s[0:1], 0x0
	s_load_b128 s[4:7], s[0:1], 0x30
	v_mov_b32_e32 v4, 0
	v_dual_mov_b32 v5, 0 :: v_dual_and_b32 v20, 0x3ff, v0
	v_bfe_u32 v21, v0, 10, 10
	s_delay_alu instid0(VALU_DEP_3) | instskip(NEXT) | instid1(VALU_DEP_3)
	v_mov_b32_e32 v0, v4
	v_dual_mov_b32 v2, v4 :: v_dual_mov_b32 v3, v5
	v_dual_mov_b32 v7, v5 :: v_dual_mov_b32 v6, v4
	v_mov_b32_e32 v1, v5
	v_dual_mov_b32 v9, v5 :: v_dual_mov_b32 v8, v4
	v_dual_mov_b32 v11, v5 :: v_dual_mov_b32 v10, v4
	;; [unrolled: 1-line block ×4, first 2 shown]
	s_lshl_b32 s12, s13, 5
	s_lshl_b32 s13, s14, 5
	s_waitcnt lgkmcnt(0)
	s_cmp_lt_i32 s3, 1
	s_mov_b32 s14, 0
	s_cbranch_scc1 .LBB250_3
; %bb.1:
	v_lshl_add_u32 v0, v21, 4, v20
	v_and_b32_e32 v6, 7, v20
	s_clause 0x1
	s_load_b32 s16, s[0:1], 0x10
	s_load_b32 s18, s[0:1], 0x28
	v_mov_b32_e32 v14, 0
	v_mov_b32_e32 v15, 0
	v_lshrrev_b32_e32 v1, 3, v0
	s_delay_alu instid0(VALU_DEP_3) | instskip(NEXT) | instid1(VALU_DEP_3)
	v_dual_mov_b32 v12, v14 :: v_dual_lshlrev_b32 v3, 4, v6
	v_dual_mov_b32 v13, v15 :: v_dual_and_b32 v2, 31, v0
	s_clause 0x1
	s_load_b128 s[8:11], s[0:1], 0x18
	s_load_b64 s[20:21], s[0:1], 0x8
	v_lshl_or_b32 v8, v1, 7, v3
	v_lshrrev_b32_e32 v7, 5, v0
	v_add_nc_u32_e32 v0, s13, v1
	v_lshlrev_b32_e32 v4, 4, v2
	v_add_nc_u32_e32 v2, s12, v2
	v_dual_mov_b32 v10, v14 :: v_dual_add_nc_u32 v23, 0x1000, v8
	v_mov_b32_e32 v11, v15
	v_ashrrev_i32_e32 v1, 31, v0
	s_delay_alu instid0(VALU_DEP_4)
	v_ashrrev_i32_e32 v3, 31, v2
	v_dual_mov_b32 v8, v14 :: v_dual_mov_b32 v9, v15
	v_lshl_or_b32 v22, v7, 9, v4
	s_waitcnt lgkmcnt(0)
	v_mad_i64_i32 v[4:5], null, s18, v6, v[0:1]
	v_mad_i64_i32 v[0:1], null, s16, v7, v[2:3]
	s_ashr_i32 s17, s16, 31
	s_mul_i32 s9, s9, s15
	s_mul_hi_u32 s22, s8, s15
	s_mul_i32 s8, s8, s15
	s_add_i32 s9, s22, s9
	s_ashr_i32 s19, s18, 31
	s_delay_alu instid0(VALU_DEP_1)
	v_lshlrev_b64 v[0:1], 4, v[0:1]
	s_lshl_b64 s[8:9], s[8:9], 4
	s_mul_i32 s5, s5, s15
	s_add_u32 s8, s20, s8
	s_addc_u32 s9, s21, s9
	s_mul_hi_u32 s20, s4, s15
	v_add_co_u32 v2, vcc_lo, s8, v0
	v_add_co_ci_u32_e32 v3, vcc_lo, s9, v1, vcc_lo
	s_add_i32 s5, s20, s5
	s_mul_i32 s4, s4, s15
	v_lshlrev_b64 v[0:1], 4, v[4:5]
	s_lshl_b64 s[8:9], s[4:5], 4
	s_lshl_b64 s[4:5], s[16:17], 7
	s_add_u32 s8, s10, s8
	s_addc_u32 s9, s11, s9
	v_dual_mov_b32 v6, v14 :: v_dual_mov_b32 v7, v15
	v_add_co_u32 v0, vcc_lo, s8, v0
	v_add_co_ci_u32_e32 v1, vcc_lo, s9, v1, vcc_lo
	v_add_co_u32 v16, vcc_lo, v2, 8
	v_add_co_ci_u32_e32 v17, vcc_lo, 0, v3, vcc_lo
	s_delay_alu instid0(VALU_DEP_4) | instskip(NEXT) | instid1(VALU_DEP_4)
	v_add_co_u32 v18, vcc_lo, v0, 8
	v_add_co_ci_u32_e32 v19, vcc_lo, 0, v1, vcc_lo
	v_mov_b32_e32 v2, v14
	v_mov_b32_e32 v0, v14
	v_dual_mov_b32 v4, v14 :: v_dual_mov_b32 v5, v15
	v_dual_mov_b32 v1, v15 :: v_dual_lshlrev_b32 v24, 4, v20
	v_lshl_add_u32 v25, v21, 7, 0x1000
	v_mov_b32_e32 v3, v15
	s_lshl_b64 s[8:9], s[18:19], 7
.LBB250_2:                              ; =>This Inner Loop Header: Depth=1
	global_load_b128 v[26:29], v[16:17], off offset:-8
	v_add_co_u32 v16, vcc_lo, v16, s4
	v_add_co_ci_u32_e32 v17, vcc_lo, s5, v17, vcc_lo
	s_add_i32 s14, s14, 8
	s_delay_alu instid0(SALU_CYCLE_1)
	s_cmp_ge_i32 s14, s3
	s_waitcnt vmcnt(0)
	ds_store_b128 v22, v[26:29]
	global_load_b128 v[26:29], v[18:19], off offset:-8
	v_add_co_u32 v18, vcc_lo, v18, s8
	v_add_co_ci_u32_e32 v19, vcc_lo, s9, v19, vcc_lo
	s_waitcnt vmcnt(0)
	ds_store_b128 v23, v[26:29]
	s_waitcnt lgkmcnt(0)
	s_barrier
	buffer_gl0_inv
	ds_load_b128 v[26:29], v25
	ds_load_b128 v[30:33], v25 offset:16
	ds_load_b128 v[34:37], v25 offset:32
	;; [unrolled: 1-line block ×3, first 2 shown]
	ds_load_b128 v[42:45], v24
	s_waitcnt lgkmcnt(0)
	v_mul_f64 v[46:47], v[28:29], v[44:45]
	v_mul_f64 v[48:49], v[26:27], v[44:45]
	s_delay_alu instid0(VALU_DEP_2) | instskip(NEXT) | instid1(VALU_DEP_2)
	v_fma_f64 v[46:47], v[26:27], v[42:43], -v[46:47]
	v_fma_f64 v[48:49], v[28:29], v[42:43], v[48:49]
	s_delay_alu instid0(VALU_DEP_2) | instskip(NEXT) | instid1(VALU_DEP_2)
	v_add_f64 v[46:47], v[4:5], v[46:47]
	v_add_f64 v[48:49], v[6:7], v[48:49]
	ds_load_b128 v[4:7], v24 offset:256
	s_waitcnt lgkmcnt(0)
	v_mul_f64 v[50:51], v[28:29], v[6:7]
	s_delay_alu instid0(VALU_DEP_1) | instskip(SKIP_1) | instid1(VALU_DEP_1)
	v_fma_f64 v[50:51], v[26:27], v[4:5], -v[50:51]
	v_mul_f64 v[26:27], v[26:27], v[6:7]
	v_fma_f64 v[26:27], v[28:29], v[4:5], v[26:27]
	s_delay_alu instid0(VALU_DEP_3) | instskip(NEXT) | instid1(VALU_DEP_2)
	v_add_f64 v[28:29], v[0:1], v[50:51]
	v_add_f64 v[26:27], v[2:3], v[26:27]
	ds_load_b128 v[0:3], v25 offset:2048
	s_waitcnt lgkmcnt(0)
	v_mul_f64 v[50:51], v[2:3], v[44:45]
	v_mul_f64 v[44:45], v[0:1], v[44:45]
	s_delay_alu instid0(VALU_DEP_2) | instskip(NEXT) | instid1(VALU_DEP_2)
	v_fma_f64 v[50:51], v[0:1], v[42:43], -v[50:51]
	v_fma_f64 v[42:43], v[2:3], v[42:43], v[44:45]
	s_delay_alu instid0(VALU_DEP_2) | instskip(SKIP_1) | instid1(VALU_DEP_3)
	v_add_f64 v[44:45], v[8:9], v[50:51]
	v_mul_f64 v[8:9], v[2:3], v[6:7]
	v_add_f64 v[42:43], v[10:11], v[42:43]
	s_delay_alu instid0(VALU_DEP_2) | instskip(SKIP_1) | instid1(VALU_DEP_2)
	v_fma_f64 v[8:9], v[0:1], v[4:5], -v[8:9]
	v_mul_f64 v[0:1], v[0:1], v[6:7]
	v_add_f64 v[12:13], v[12:13], v[8:9]
	s_delay_alu instid0(VALU_DEP_2) | instskip(NEXT) | instid1(VALU_DEP_1)
	v_fma_f64 v[0:1], v[2:3], v[4:5], v[0:1]
	v_add_f64 v[14:15], v[14:15], v[0:1]
	ds_load_b128 v[0:3], v24 offset:512
	s_waitcnt lgkmcnt(0)
	v_mul_f64 v[4:5], v[32:33], v[2:3]
	v_mul_f64 v[6:7], v[30:31], v[2:3]
	s_delay_alu instid0(VALU_DEP_2) | instskip(NEXT) | instid1(VALU_DEP_2)
	v_fma_f64 v[4:5], v[30:31], v[0:1], -v[4:5]
	v_fma_f64 v[6:7], v[32:33], v[0:1], v[6:7]
	s_delay_alu instid0(VALU_DEP_2) | instskip(NEXT) | instid1(VALU_DEP_2)
	v_add_f64 v[46:47], v[46:47], v[4:5]
	v_add_f64 v[48:49], v[48:49], v[6:7]
	ds_load_b128 v[4:7], v24 offset:768
	s_waitcnt lgkmcnt(0)
	v_mul_f64 v[8:9], v[32:33], v[6:7]
	v_mul_f64 v[10:11], v[30:31], v[6:7]
	s_delay_alu instid0(VALU_DEP_2) | instskip(NEXT) | instid1(VALU_DEP_2)
	v_fma_f64 v[8:9], v[30:31], v[4:5], -v[8:9]
	v_fma_f64 v[10:11], v[32:33], v[4:5], v[10:11]
	s_delay_alu instid0(VALU_DEP_2) | instskip(NEXT) | instid1(VALU_DEP_2)
	v_add_f64 v[28:29], v[28:29], v[8:9]
	v_add_f64 v[26:27], v[26:27], v[10:11]
	ds_load_b128 v[8:11], v25 offset:2064
	s_waitcnt lgkmcnt(0)
	v_mul_f64 v[30:31], v[10:11], v[2:3]
	v_mul_f64 v[2:3], v[8:9], v[2:3]
	s_delay_alu instid0(VALU_DEP_2) | instskip(NEXT) | instid1(VALU_DEP_2)
	v_fma_f64 v[30:31], v[8:9], v[0:1], -v[30:31]
	v_fma_f64 v[0:1], v[10:11], v[0:1], v[2:3]
	v_mul_f64 v[2:3], v[8:9], v[6:7]
	s_delay_alu instid0(VALU_DEP_3) | instskip(NEXT) | instid1(VALU_DEP_3)
	v_add_f64 v[30:31], v[44:45], v[30:31]
	v_add_f64 v[32:33], v[42:43], v[0:1]
	v_mul_f64 v[0:1], v[10:11], v[6:7]
	s_delay_alu instid0(VALU_DEP_4) | instskip(NEXT) | instid1(VALU_DEP_2)
	v_fma_f64 v[2:3], v[10:11], v[4:5], v[2:3]
	v_fma_f64 v[0:1], v[8:9], v[4:5], -v[0:1]
	s_delay_alu instid0(VALU_DEP_2) | instskip(NEXT) | instid1(VALU_DEP_2)
	v_add_f64 v[14:15], v[14:15], v[2:3]
	v_add_f64 v[12:13], v[12:13], v[0:1]
	ds_load_b128 v[0:3], v24 offset:1024
	s_waitcnt lgkmcnt(0)
	v_mul_f64 v[4:5], v[36:37], v[2:3]
	v_mul_f64 v[6:7], v[34:35], v[2:3]
	s_delay_alu instid0(VALU_DEP_2) | instskip(NEXT) | instid1(VALU_DEP_2)
	v_fma_f64 v[4:5], v[34:35], v[0:1], -v[4:5]
	v_fma_f64 v[6:7], v[36:37], v[0:1], v[6:7]
	s_delay_alu instid0(VALU_DEP_2) | instskip(NEXT) | instid1(VALU_DEP_2)
	v_add_f64 v[42:43], v[46:47], v[4:5]
	v_add_f64 v[44:45], v[48:49], v[6:7]
	ds_load_b128 v[4:7], v24 offset:1280
	s_waitcnt lgkmcnt(0)
	v_mul_f64 v[8:9], v[36:37], v[6:7]
	v_mul_f64 v[10:11], v[34:35], v[6:7]
	s_delay_alu instid0(VALU_DEP_2) | instskip(NEXT) | instid1(VALU_DEP_2)
	v_fma_f64 v[8:9], v[34:35], v[4:5], -v[8:9]
	v_fma_f64 v[10:11], v[36:37], v[4:5], v[10:11]
	s_delay_alu instid0(VALU_DEP_2) | instskip(NEXT) | instid1(VALU_DEP_2)
	v_add_f64 v[28:29], v[28:29], v[8:9]
	v_add_f64 v[26:27], v[26:27], v[10:11]
	ds_load_b128 v[8:11], v25 offset:2080
	s_waitcnt lgkmcnt(0)
	v_mul_f64 v[34:35], v[10:11], v[2:3]
	v_mul_f64 v[2:3], v[8:9], v[2:3]
	s_delay_alu instid0(VALU_DEP_2) | instskip(NEXT) | instid1(VALU_DEP_2)
	v_fma_f64 v[34:35], v[8:9], v[0:1], -v[34:35]
	v_fma_f64 v[0:1], v[10:11], v[0:1], v[2:3]
	v_mul_f64 v[2:3], v[8:9], v[6:7]
	s_delay_alu instid0(VALU_DEP_3) | instskip(NEXT) | instid1(VALU_DEP_3)
	v_add_f64 v[30:31], v[30:31], v[34:35]
	v_add_f64 v[32:33], v[32:33], v[0:1]
	v_mul_f64 v[0:1], v[10:11], v[6:7]
	s_delay_alu instid0(VALU_DEP_4) | instskip(NEXT) | instid1(VALU_DEP_2)
	v_fma_f64 v[2:3], v[10:11], v[4:5], v[2:3]
	v_fma_f64 v[0:1], v[8:9], v[4:5], -v[0:1]
	s_delay_alu instid0(VALU_DEP_2) | instskip(NEXT) | instid1(VALU_DEP_2)
	v_add_f64 v[14:15], v[14:15], v[2:3]
	;; [unrolled: 38-line block ×3, first 2 shown]
	v_add_f64 v[12:13], v[12:13], v[0:1]
	ds_load_b128 v[0:3], v25 offset:64
	ds_load_b128 v[4:7], v24 offset:2048
	s_waitcnt lgkmcnt(0)
	v_mul_f64 v[8:9], v[2:3], v[6:7]
	v_mul_f64 v[10:11], v[0:1], v[6:7]
	s_delay_alu instid0(VALU_DEP_2) | instskip(NEXT) | instid1(VALU_DEP_2)
	v_fma_f64 v[8:9], v[0:1], v[4:5], -v[8:9]
	v_fma_f64 v[10:11], v[2:3], v[4:5], v[10:11]
	s_delay_alu instid0(VALU_DEP_2) | instskip(NEXT) | instid1(VALU_DEP_2)
	v_add_f64 v[34:35], v[34:35], v[8:9]
	v_add_f64 v[36:37], v[36:37], v[10:11]
	ds_load_b128 v[8:11], v24 offset:2304
	s_waitcnt lgkmcnt(0)
	v_mul_f64 v[38:39], v[2:3], v[10:11]
	s_delay_alu instid0(VALU_DEP_1) | instskip(SKIP_1) | instid1(VALU_DEP_2)
	v_fma_f64 v[38:39], v[0:1], v[8:9], -v[38:39]
	v_mul_f64 v[0:1], v[0:1], v[10:11]
	v_add_f64 v[28:29], v[28:29], v[38:39]
	s_delay_alu instid0(VALU_DEP_2) | instskip(NEXT) | instid1(VALU_DEP_1)
	v_fma_f64 v[0:1], v[2:3], v[8:9], v[0:1]
	v_add_f64 v[26:27], v[26:27], v[0:1]
	ds_load_b128 v[0:3], v25 offset:2112
	s_waitcnt lgkmcnt(0)
	v_mul_f64 v[38:39], v[2:3], v[6:7]
	v_mul_f64 v[6:7], v[0:1], v[6:7]
	s_delay_alu instid0(VALU_DEP_2) | instskip(NEXT) | instid1(VALU_DEP_2)
	v_fma_f64 v[38:39], v[0:1], v[4:5], -v[38:39]
	v_fma_f64 v[4:5], v[2:3], v[4:5], v[6:7]
	s_delay_alu instid0(VALU_DEP_2) | instskip(NEXT) | instid1(VALU_DEP_2)
	v_add_f64 v[30:31], v[30:31], v[38:39]
	v_add_f64 v[32:33], v[32:33], v[4:5]
	v_mul_f64 v[4:5], v[2:3], v[10:11]
	s_delay_alu instid0(VALU_DEP_1) | instskip(SKIP_1) | instid1(VALU_DEP_2)
	v_fma_f64 v[4:5], v[0:1], v[8:9], -v[4:5]
	v_mul_f64 v[0:1], v[0:1], v[10:11]
	v_add_f64 v[12:13], v[12:13], v[4:5]
	s_delay_alu instid0(VALU_DEP_2) | instskip(NEXT) | instid1(VALU_DEP_1)
	v_fma_f64 v[0:1], v[2:3], v[8:9], v[0:1]
	v_add_f64 v[14:15], v[14:15], v[0:1]
	ds_load_b128 v[0:3], v25 offset:80
	ds_load_b128 v[4:7], v24 offset:2560
	s_waitcnt lgkmcnt(0)
	v_mul_f64 v[8:9], v[2:3], v[6:7]
	v_mul_f64 v[10:11], v[0:1], v[6:7]
	s_delay_alu instid0(VALU_DEP_2) | instskip(NEXT) | instid1(VALU_DEP_2)
	v_fma_f64 v[8:9], v[0:1], v[4:5], -v[8:9]
	v_fma_f64 v[10:11], v[2:3], v[4:5], v[10:11]
	s_delay_alu instid0(VALU_DEP_2) | instskip(NEXT) | instid1(VALU_DEP_2)
	v_add_f64 v[34:35], v[34:35], v[8:9]
	v_add_f64 v[36:37], v[36:37], v[10:11]
	ds_load_b128 v[8:11], v24 offset:2816
	s_waitcnt lgkmcnt(0)
	v_mul_f64 v[38:39], v[2:3], v[10:11]
	s_delay_alu instid0(VALU_DEP_1) | instskip(SKIP_1) | instid1(VALU_DEP_2)
	v_fma_f64 v[38:39], v[0:1], v[8:9], -v[38:39]
	v_mul_f64 v[0:1], v[0:1], v[10:11]
	v_add_f64 v[28:29], v[28:29], v[38:39]
	s_delay_alu instid0(VALU_DEP_2) | instskip(NEXT) | instid1(VALU_DEP_1)
	v_fma_f64 v[0:1], v[2:3], v[8:9], v[0:1]
	v_add_f64 v[26:27], v[26:27], v[0:1]
	ds_load_b128 v[0:3], v25 offset:2128
	s_waitcnt lgkmcnt(0)
	v_mul_f64 v[38:39], v[2:3], v[6:7]
	v_mul_f64 v[6:7], v[0:1], v[6:7]
	s_delay_alu instid0(VALU_DEP_2) | instskip(NEXT) | instid1(VALU_DEP_2)
	v_fma_f64 v[38:39], v[0:1], v[4:5], -v[38:39]
	v_fma_f64 v[4:5], v[2:3], v[4:5], v[6:7]
	s_delay_alu instid0(VALU_DEP_2) | instskip(NEXT) | instid1(VALU_DEP_2)
	v_add_f64 v[30:31], v[30:31], v[38:39]
	v_add_f64 v[32:33], v[32:33], v[4:5]
	v_mul_f64 v[4:5], v[2:3], v[10:11]
	s_delay_alu instid0(VALU_DEP_1) | instskip(SKIP_1) | instid1(VALU_DEP_2)
	v_fma_f64 v[4:5], v[0:1], v[8:9], -v[4:5]
	v_mul_f64 v[0:1], v[0:1], v[10:11]
	v_add_f64 v[12:13], v[12:13], v[4:5]
	s_delay_alu instid0(VALU_DEP_2) | instskip(NEXT) | instid1(VALU_DEP_1)
	v_fma_f64 v[0:1], v[2:3], v[8:9], v[0:1]
	;; [unrolled: 39-line block ×3, first 2 shown]
	v_add_f64 v[40:41], v[14:15], v[0:1]
	ds_load_b128 v[0:3], v25 offset:112
	ds_load_b128 v[8:11], v24 offset:3584
	;; [unrolled: 1-line block ×3, first 2 shown]
	s_waitcnt lgkmcnt(1)
	v_mul_f64 v[4:5], v[2:3], v[10:11]
	v_mul_f64 v[6:7], v[0:1], v[10:11]
	s_delay_alu instid0(VALU_DEP_2) | instskip(NEXT) | instid1(VALU_DEP_2)
	v_fma_f64 v[4:5], v[0:1], v[8:9], -v[4:5]
	v_fma_f64 v[6:7], v[2:3], v[8:9], v[6:7]
	s_delay_alu instid0(VALU_DEP_2) | instskip(SKIP_2) | instid1(VALU_DEP_3)
	v_add_f64 v[4:5], v[34:35], v[4:5]
	s_waitcnt lgkmcnt(0)
	v_mul_f64 v[34:35], v[2:3], v[14:15]
	v_add_f64 v[6:7], v[36:37], v[6:7]
	s_delay_alu instid0(VALU_DEP_2) | instskip(SKIP_1) | instid1(VALU_DEP_1)
	v_fma_f64 v[34:35], v[0:1], v[12:13], -v[34:35]
	v_mul_f64 v[0:1], v[0:1], v[14:15]
	v_fma_f64 v[2:3], v[2:3], v[12:13], v[0:1]
	s_delay_alu instid0(VALU_DEP_3) | instskip(NEXT) | instid1(VALU_DEP_2)
	v_add_f64 v[0:1], v[28:29], v[34:35]
	v_add_f64 v[2:3], v[26:27], v[2:3]
	ds_load_b128 v[26:29], v25 offset:2160
	s_waitcnt lgkmcnt(0)
	s_barrier
	buffer_gl0_inv
	v_mul_f64 v[34:35], v[28:29], v[10:11]
	v_mul_f64 v[10:11], v[26:27], v[10:11]
	s_delay_alu instid0(VALU_DEP_2) | instskip(NEXT) | instid1(VALU_DEP_2)
	v_fma_f64 v[34:35], v[26:27], v[8:9], -v[34:35]
	v_fma_f64 v[10:11], v[28:29], v[8:9], v[10:11]
	s_delay_alu instid0(VALU_DEP_2) | instskip(SKIP_2) | instid1(VALU_DEP_4)
	v_add_f64 v[8:9], v[30:31], v[34:35]
	v_mul_f64 v[30:31], v[28:29], v[14:15]
	v_mul_f64 v[14:15], v[26:27], v[14:15]
	v_add_f64 v[10:11], v[32:33], v[10:11]
	s_delay_alu instid0(VALU_DEP_3) | instskip(NEXT) | instid1(VALU_DEP_3)
	v_fma_f64 v[30:31], v[26:27], v[12:13], -v[30:31]
	v_fma_f64 v[14:15], v[28:29], v[12:13], v[14:15]
	s_delay_alu instid0(VALU_DEP_2) | instskip(NEXT) | instid1(VALU_DEP_2)
	v_add_f64 v[12:13], v[38:39], v[30:31]
	v_add_f64 v[14:15], v[40:41], v[14:15]
	s_cbranch_scc0 .LBB250_2
.LBB250_3:
	s_clause 0x1
	s_load_b32 s3, s[0:1], 0x40
	s_load_b64 s[0:1], s[0:1], 0x48
	v_add_nc_u32_e32 v18, s13, v21
	v_add_nc_u32_e32 v16, s12, v20
	s_delay_alu instid0(VALU_DEP_2)
	v_cmp_gt_i32_e32 vcc_lo, s2, v18
	s_waitcnt lgkmcnt(0)
	v_mad_i64_i32 v[21:22], null, v18, s3, 0
	s_mul_i32 s1, s15, s1
	s_mul_hi_u32 s4, s15, s0
	s_mul_i32 s0, s15, s0
	s_add_i32 s1, s4, s1
	s_delay_alu instid0(SALU_CYCLE_1) | instskip(NEXT) | instid1(VALU_DEP_1)
	s_lshl_b64 s[4:5], s[0:1], 4
	v_lshlrev_b64 v[19:20], 4, v[21:22]
	s_add_u32 s4, s6, s4
	v_cmp_le_i32_e64 s0, v16, v18
	s_addc_u32 s5, s7, s5
	s_delay_alu instid0(VALU_DEP_2) | instskip(NEXT) | instid1(VALU_DEP_1)
	v_add_co_u32 v19, s1, s4, v19
	v_add_co_ci_u32_e64 v20, s1, s5, v20, s1
	s_delay_alu instid0(VALU_DEP_3) | instskip(NEXT) | instid1(SALU_CYCLE_1)
	s_and_b32 s0, vcc_lo, s0
	s_and_saveexec_b32 s1, s0
	s_cbranch_execz .LBB250_5
; %bb.4:
	v_ashrrev_i32_e32 v17, 31, v16
	s_delay_alu instid0(VALU_DEP_1) | instskip(NEXT) | instid1(VALU_DEP_1)
	v_lshlrev_b64 v[21:22], 4, v[16:17]
	v_add_co_u32 v21, s0, v19, v21
	s_delay_alu instid0(VALU_DEP_1)
	v_add_co_ci_u32_e64 v22, s0, v20, v22, s0
	global_store_b128 v[21:22], v[4:7], off
.LBB250_5:
	s_or_b32 exec_lo, exec_lo, s1
	v_add_nc_u32_e32 v4, 16, v16
	s_delay_alu instid0(VALU_DEP_1) | instskip(NEXT) | instid1(VALU_DEP_1)
	v_cmp_le_i32_e64 s0, v4, v18
	s_and_b32 s1, vcc_lo, s0
	s_delay_alu instid0(SALU_CYCLE_1)
	s_and_saveexec_b32 s0, s1
	s_cbranch_execz .LBB250_7
; %bb.6:
	v_ashrrev_i32_e32 v5, 31, v4
	s_delay_alu instid0(VALU_DEP_1) | instskip(NEXT) | instid1(VALU_DEP_1)
	v_lshlrev_b64 v[5:6], 4, v[4:5]
	v_add_co_u32 v5, vcc_lo, v19, v5
	s_delay_alu instid0(VALU_DEP_2)
	v_add_co_ci_u32_e32 v6, vcc_lo, v20, v6, vcc_lo
	global_store_b128 v[5:6], v[0:3], off
.LBB250_7:
	s_or_b32 exec_lo, exec_lo, s0
	v_add_nc_u32_e32 v2, 16, v18
	s_delay_alu instid0(VALU_DEP_1) | instskip(SKIP_2) | instid1(VALU_DEP_1)
	v_mad_i64_i32 v[0:1], null, v2, s3, 0
	v_cmp_gt_i32_e32 vcc_lo, s2, v2
	v_cmp_le_i32_e64 s0, v16, v2
	s_and_b32 s0, vcc_lo, s0
	s_delay_alu instid0(VALU_DEP_3) | instskip(NEXT) | instid1(VALU_DEP_1)
	v_lshlrev_b64 v[0:1], 4, v[0:1]
	v_add_co_u32 v0, s1, s4, v0
	s_delay_alu instid0(VALU_DEP_1)
	v_add_co_ci_u32_e64 v1, s1, s5, v1, s1
	s_and_saveexec_b32 s1, s0
	s_cbranch_execz .LBB250_9
; %bb.8:
	v_ashrrev_i32_e32 v17, 31, v16
	s_delay_alu instid0(VALU_DEP_1) | instskip(NEXT) | instid1(VALU_DEP_1)
	v_lshlrev_b64 v[5:6], 4, v[16:17]
	v_add_co_u32 v5, s0, v0, v5
	s_delay_alu instid0(VALU_DEP_1)
	v_add_co_ci_u32_e64 v6, s0, v1, v6, s0
	global_store_b128 v[5:6], v[8:11], off
.LBB250_9:
	s_or_b32 exec_lo, exec_lo, s1
	v_cmp_le_i32_e64 s0, v4, v2
	s_delay_alu instid0(VALU_DEP_1) | instskip(NEXT) | instid1(SALU_CYCLE_1)
	s_and_b32 s0, vcc_lo, s0
	s_and_saveexec_b32 s1, s0
	s_cbranch_execz .LBB250_11
; %bb.10:
	v_ashrrev_i32_e32 v5, 31, v4
	s_delay_alu instid0(VALU_DEP_1) | instskip(NEXT) | instid1(VALU_DEP_1)
	v_lshlrev_b64 v[2:3], 4, v[4:5]
	v_add_co_u32 v0, vcc_lo, v0, v2
	s_delay_alu instid0(VALU_DEP_2)
	v_add_co_ci_u32_e32 v1, vcc_lo, v1, v3, vcc_lo
	global_store_b128 v[0:1], v[12:15], off
.LBB250_11:
	s_nop 0
	s_sendmsg sendmsg(MSG_DEALLOC_VGPRS)
	s_endpgm
	.section	.rodata,"a",@progbits
	.p2align	6, 0x0
	.amdhsa_kernel _ZL37rocblas_syrkx_herkx_restricted_kernelIi19rocblas_complex_numIdELi16ELi32ELi8ELi1ELi0ELb0ELc78ELc85EKS1_S1_EviT_PT9_S3_lS5_S3_lPT10_S3_li
		.amdhsa_group_segment_fixed_size 8192
		.amdhsa_private_segment_fixed_size 0
		.amdhsa_kernarg_size 84
		.amdhsa_user_sgpr_count 13
		.amdhsa_user_sgpr_dispatch_ptr 0
		.amdhsa_user_sgpr_queue_ptr 0
		.amdhsa_user_sgpr_kernarg_segment_ptr 1
		.amdhsa_user_sgpr_dispatch_id 0
		.amdhsa_user_sgpr_private_segment_size 0
		.amdhsa_wavefront_size32 1
		.amdhsa_uses_dynamic_stack 0
		.amdhsa_enable_private_segment 0
		.amdhsa_system_sgpr_workgroup_id_x 1
		.amdhsa_system_sgpr_workgroup_id_y 1
		.amdhsa_system_sgpr_workgroup_id_z 1
		.amdhsa_system_sgpr_workgroup_info 0
		.amdhsa_system_vgpr_workitem_id 1
		.amdhsa_next_free_vgpr 52
		.amdhsa_next_free_sgpr 23
		.amdhsa_reserve_vcc 1
		.amdhsa_float_round_mode_32 0
		.amdhsa_float_round_mode_16_64 0
		.amdhsa_float_denorm_mode_32 3
		.amdhsa_float_denorm_mode_16_64 3
		.amdhsa_dx10_clamp 1
		.amdhsa_ieee_mode 1
		.amdhsa_fp16_overflow 0
		.amdhsa_workgroup_processor_mode 1
		.amdhsa_memory_ordered 1
		.amdhsa_forward_progress 0
		.amdhsa_shared_vgpr_count 0
		.amdhsa_exception_fp_ieee_invalid_op 0
		.amdhsa_exception_fp_denorm_src 0
		.amdhsa_exception_fp_ieee_div_zero 0
		.amdhsa_exception_fp_ieee_overflow 0
		.amdhsa_exception_fp_ieee_underflow 0
		.amdhsa_exception_fp_ieee_inexact 0
		.amdhsa_exception_int_div_zero 0
	.end_amdhsa_kernel
	.section	.text._ZL37rocblas_syrkx_herkx_restricted_kernelIi19rocblas_complex_numIdELi16ELi32ELi8ELi1ELi0ELb0ELc78ELc85EKS1_S1_EviT_PT9_S3_lS5_S3_lPT10_S3_li,"axG",@progbits,_ZL37rocblas_syrkx_herkx_restricted_kernelIi19rocblas_complex_numIdELi16ELi32ELi8ELi1ELi0ELb0ELc78ELc85EKS1_S1_EviT_PT9_S3_lS5_S3_lPT10_S3_li,comdat
.Lfunc_end250:
	.size	_ZL37rocblas_syrkx_herkx_restricted_kernelIi19rocblas_complex_numIdELi16ELi32ELi8ELi1ELi0ELb0ELc78ELc85EKS1_S1_EviT_PT9_S3_lS5_S3_lPT10_S3_li, .Lfunc_end250-_ZL37rocblas_syrkx_herkx_restricted_kernelIi19rocblas_complex_numIdELi16ELi32ELi8ELi1ELi0ELb0ELc78ELc85EKS1_S1_EviT_PT9_S3_lS5_S3_lPT10_S3_li
                                        ; -- End function
	.section	.AMDGPU.csdata,"",@progbits
; Kernel info:
; codeLenInByte = 3196
; NumSgprs: 25
; NumVgprs: 52
; ScratchSize: 0
; MemoryBound: 0
; FloatMode: 240
; IeeeMode: 1
; LDSByteSize: 8192 bytes/workgroup (compile time only)
; SGPRBlocks: 3
; VGPRBlocks: 6
; NumSGPRsForWavesPerEU: 25
; NumVGPRsForWavesPerEU: 52
; Occupancy: 16
; WaveLimiterHint : 0
; COMPUTE_PGM_RSRC2:SCRATCH_EN: 0
; COMPUTE_PGM_RSRC2:USER_SGPR: 13
; COMPUTE_PGM_RSRC2:TRAP_HANDLER: 0
; COMPUTE_PGM_RSRC2:TGID_X_EN: 1
; COMPUTE_PGM_RSRC2:TGID_Y_EN: 1
; COMPUTE_PGM_RSRC2:TGID_Z_EN: 1
; COMPUTE_PGM_RSRC2:TIDIG_COMP_CNT: 1
	.section	.text._ZL37rocblas_syrkx_herkx_restricted_kernelIi19rocblas_complex_numIdELi16ELi32ELi8ELin1ELi0ELb0ELc84ELc76EKS1_S1_EviT_PT9_S3_lS5_S3_lPT10_S3_li,"axG",@progbits,_ZL37rocblas_syrkx_herkx_restricted_kernelIi19rocblas_complex_numIdELi16ELi32ELi8ELin1ELi0ELb0ELc84ELc76EKS1_S1_EviT_PT9_S3_lS5_S3_lPT10_S3_li,comdat
	.globl	_ZL37rocblas_syrkx_herkx_restricted_kernelIi19rocblas_complex_numIdELi16ELi32ELi8ELin1ELi0ELb0ELc84ELc76EKS1_S1_EviT_PT9_S3_lS5_S3_lPT10_S3_li ; -- Begin function _ZL37rocblas_syrkx_herkx_restricted_kernelIi19rocblas_complex_numIdELi16ELi32ELi8ELin1ELi0ELb0ELc84ELc76EKS1_S1_EviT_PT9_S3_lS5_S3_lPT10_S3_li
	.p2align	8
	.type	_ZL37rocblas_syrkx_herkx_restricted_kernelIi19rocblas_complex_numIdELi16ELi32ELi8ELin1ELi0ELb0ELc84ELc76EKS1_S1_EviT_PT9_S3_lS5_S3_lPT10_S3_li,@function
_ZL37rocblas_syrkx_herkx_restricted_kernelIi19rocblas_complex_numIdELi16ELi32ELi8ELin1ELi0ELb0ELc84ELc76EKS1_S1_EviT_PT9_S3_lS5_S3_lPT10_S3_li: ; @_ZL37rocblas_syrkx_herkx_restricted_kernelIi19rocblas_complex_numIdELi16ELi32ELi8ELin1ELi0ELb0ELc84ELc76EKS1_S1_EviT_PT9_S3_lS5_S3_lPT10_S3_li
; %bb.0:
	s_clause 0x1
	s_load_b64 s[2:3], s[0:1], 0x0
	s_load_b128 s[4:7], s[0:1], 0x30
	v_mov_b32_e32 v12, 0
	v_dual_mov_b32 v13, 0 :: v_dual_and_b32 v20, 0x3ff, v0
	v_bfe_u32 v21, v0, 10, 10
	s_delay_alu instid0(VALU_DEP_3) | instskip(NEXT) | instid1(VALU_DEP_3)
	v_mov_b32_e32 v0, v12
	v_dual_mov_b32 v2, v12 :: v_dual_mov_b32 v3, v13
	v_dual_mov_b32 v15, v13 :: v_dual_mov_b32 v14, v12
	;; [unrolled: 1-line block ×6, first 2 shown]
	v_mov_b32_e32 v7, v13
	s_lshl_b32 s12, s13, 5
	s_lshl_b32 s13, s14, 5
	s_waitcnt lgkmcnt(0)
	s_cmp_lt_i32 s3, 1
	s_mov_b32 s14, 0
	s_cbranch_scc1 .LBB251_3
; %bb.1:
	s_clause 0x1
	s_load_b32 s18, s[0:1], 0x10
	s_load_b128 s[8:11], s[0:1], 0x18
	v_lshl_add_u32 v2, v21, 4, v20
	v_dual_mov_b32 v1, 0 :: v_dual_and_b32 v0, 7, v20
	s_clause 0x1
	s_load_b64 s[16:17], s[0:1], 0x8
	s_load_b32 s19, s[0:1], 0x28
	v_lshlrev_b32_e32 v22, 4, v20
	v_lshrrev_b32_e32 v4, 3, v2
	v_and_b32_e32 v5, 31, v2
	v_lshlrev_b32_e32 v3, 4, v0
	v_lshrrev_b32_e32 v2, 5, v2
	s_mul_i32 s5, s5, s15
	v_lshl_add_u32 v25, v21, 7, 0x1000
	v_lshlrev_b32_e32 v6, 4, v5
	v_lshl_or_b32 v7, v4, 7, v3
	v_mov_b32_e32 v3, v1
	s_delay_alu instid0(VALU_DEP_3) | instskip(NEXT) | instid1(VALU_DEP_3)
	v_lshl_or_b32 v23, v2, 9, v6
	v_add_nc_u32_e32 v24, 0x1000, v7
	v_mov_b32_e32 v6, 0
	v_dual_mov_b32 v7, 0 :: v_dual_add_nc_u32 v8, s12, v5
	v_add_nc_u32_e32 v9, s13, v4
	s_waitcnt lgkmcnt(0)
	s_mul_i32 s9, s9, s15
	s_delay_alu instid0(VALU_DEP_2)
	v_mad_i64_i32 v[4:5], null, s18, v8, v[2:3]
	v_mov_b32_e32 v11, v7
	s_mul_hi_u32 s18, s8, s15
	v_mov_b32_e32 v10, v6
	v_mad_i64_i32 v[2:3], null, s19, v9, v[0:1]
	s_mul_i32 s8, s8, s15
	s_add_i32 s9, s18, s9
	s_delay_alu instid0(VALU_DEP_4)
	v_lshlrev_b64 v[0:1], 4, v[4:5]
	s_lshl_b64 s[8:9], s[8:9], 4
	v_mov_b32_e32 v9, v7
	s_add_u32 s8, s16, s8
	s_mul_hi_u32 s16, s4, s15
	s_addc_u32 s9, s17, s9
	s_add_i32 s5, s16, s5
	s_mul_i32 s4, s4, s15
	v_lshlrev_b64 v[2:3], 4, v[2:3]
	s_lshl_b64 s[4:5], s[4:5], 4
	v_add_co_u32 v0, vcc_lo, s8, v0
	s_add_u32 s4, s10, s4
	v_add_co_ci_u32_e32 v1, vcc_lo, s9, v1, vcc_lo
	s_addc_u32 s5, s11, s5
	v_add_co_u32 v2, vcc_lo, s4, v2
	v_add_co_ci_u32_e32 v3, vcc_lo, s5, v3, vcc_lo
	v_add_co_u32 v16, vcc_lo, v0, 8
	v_add_co_ci_u32_e32 v17, vcc_lo, 0, v1, vcc_lo
	s_delay_alu instid0(VALU_DEP_4) | instskip(NEXT) | instid1(VALU_DEP_4)
	v_add_co_u32 v18, vcc_lo, v2, 8
	v_add_co_ci_u32_e32 v19, vcc_lo, 0, v3, vcc_lo
	v_mov_b32_e32 v2, v6
	v_dual_mov_b32 v4, v6 :: v_dual_mov_b32 v3, v7
	v_dual_mov_b32 v0, v6 :: v_dual_mov_b32 v15, v7
	;; [unrolled: 1-line block ×5, first 2 shown]
.LBB251_2:                              ; =>This Inner Loop Header: Depth=1
	global_load_b128 v[26:29], v[16:17], off offset:-8
	v_add_co_u32 v16, vcc_lo, 0x80, v16
	v_add_co_ci_u32_e32 v17, vcc_lo, 0, v17, vcc_lo
	s_add_i32 s14, s14, 8
	s_delay_alu instid0(SALU_CYCLE_1)
	s_cmp_ge_i32 s14, s3
	s_waitcnt vmcnt(0)
	ds_store_b128 v23, v[26:29]
	global_load_b128 v[26:29], v[18:19], off offset:-8
	v_add_co_u32 v18, vcc_lo, 0x80, v18
	v_add_co_ci_u32_e32 v19, vcc_lo, 0, v19, vcc_lo
	s_waitcnt vmcnt(0)
	ds_store_b128 v24, v[26:29]
	s_waitcnt lgkmcnt(0)
	s_barrier
	buffer_gl0_inv
	ds_load_b128 v[26:29], v25
	ds_load_b128 v[30:33], v25 offset:16
	ds_load_b128 v[34:37], v25 offset:32
	;; [unrolled: 1-line block ×3, first 2 shown]
	ds_load_b128 v[42:45], v22
	s_waitcnt lgkmcnt(0)
	v_mul_f64 v[46:47], v[28:29], v[44:45]
	v_mul_f64 v[48:49], v[26:27], v[44:45]
	s_delay_alu instid0(VALU_DEP_2) | instskip(NEXT) | instid1(VALU_DEP_2)
	v_fma_f64 v[46:47], v[26:27], v[42:43], -v[46:47]
	v_fma_f64 v[48:49], v[28:29], v[42:43], v[48:49]
	s_delay_alu instid0(VALU_DEP_2) | instskip(NEXT) | instid1(VALU_DEP_2)
	v_add_f64 v[46:47], v[12:13], v[46:47]
	v_add_f64 v[48:49], v[14:15], v[48:49]
	ds_load_b128 v[12:15], v22 offset:256
	s_waitcnt lgkmcnt(0)
	v_mul_f64 v[50:51], v[28:29], v[14:15]
	s_delay_alu instid0(VALU_DEP_1) | instskip(SKIP_1) | instid1(VALU_DEP_1)
	v_fma_f64 v[50:51], v[26:27], v[12:13], -v[50:51]
	v_mul_f64 v[26:27], v[26:27], v[14:15]
	v_fma_f64 v[26:27], v[28:29], v[12:13], v[26:27]
	s_delay_alu instid0(VALU_DEP_3) | instskip(NEXT) | instid1(VALU_DEP_2)
	v_add_f64 v[28:29], v[0:1], v[50:51]
	v_add_f64 v[26:27], v[2:3], v[26:27]
	ds_load_b128 v[0:3], v25 offset:2048
	s_waitcnt lgkmcnt(0)
	v_mul_f64 v[50:51], v[2:3], v[44:45]
	v_mul_f64 v[44:45], v[0:1], v[44:45]
	s_delay_alu instid0(VALU_DEP_2) | instskip(NEXT) | instid1(VALU_DEP_2)
	v_fma_f64 v[50:51], v[0:1], v[42:43], -v[50:51]
	v_fma_f64 v[42:43], v[2:3], v[42:43], v[44:45]
	s_delay_alu instid0(VALU_DEP_2) | instskip(SKIP_1) | instid1(VALU_DEP_3)
	v_add_f64 v[44:45], v[8:9], v[50:51]
	v_mul_f64 v[8:9], v[2:3], v[14:15]
	v_add_f64 v[42:43], v[10:11], v[42:43]
	s_delay_alu instid0(VALU_DEP_2) | instskip(SKIP_1) | instid1(VALU_DEP_1)
	v_fma_f64 v[8:9], v[0:1], v[12:13], -v[8:9]
	v_mul_f64 v[0:1], v[0:1], v[14:15]
	v_fma_f64 v[0:1], v[2:3], v[12:13], v[0:1]
	s_delay_alu instid0(VALU_DEP_3) | instskip(NEXT) | instid1(VALU_DEP_2)
	v_add_f64 v[12:13], v[4:5], v[8:9]
	v_add_f64 v[14:15], v[6:7], v[0:1]
	ds_load_b128 v[0:3], v22 offset:512
	s_waitcnt lgkmcnt(0)
	v_mul_f64 v[4:5], v[32:33], v[2:3]
	v_mul_f64 v[6:7], v[30:31], v[2:3]
	s_delay_alu instid0(VALU_DEP_2) | instskip(NEXT) | instid1(VALU_DEP_2)
	v_fma_f64 v[4:5], v[30:31], v[0:1], -v[4:5]
	v_fma_f64 v[6:7], v[32:33], v[0:1], v[6:7]
	s_delay_alu instid0(VALU_DEP_2) | instskip(NEXT) | instid1(VALU_DEP_2)
	v_add_f64 v[46:47], v[46:47], v[4:5]
	v_add_f64 v[48:49], v[48:49], v[6:7]
	ds_load_b128 v[4:7], v22 offset:768
	s_waitcnt lgkmcnt(0)
	v_mul_f64 v[8:9], v[32:33], v[6:7]
	v_mul_f64 v[10:11], v[30:31], v[6:7]
	s_delay_alu instid0(VALU_DEP_2) | instskip(NEXT) | instid1(VALU_DEP_2)
	v_fma_f64 v[8:9], v[30:31], v[4:5], -v[8:9]
	v_fma_f64 v[10:11], v[32:33], v[4:5], v[10:11]
	s_delay_alu instid0(VALU_DEP_2) | instskip(NEXT) | instid1(VALU_DEP_2)
	v_add_f64 v[28:29], v[28:29], v[8:9]
	v_add_f64 v[26:27], v[26:27], v[10:11]
	ds_load_b128 v[8:11], v25 offset:2064
	s_waitcnt lgkmcnt(0)
	v_mul_f64 v[30:31], v[10:11], v[2:3]
	v_mul_f64 v[2:3], v[8:9], v[2:3]
	s_delay_alu instid0(VALU_DEP_2) | instskip(NEXT) | instid1(VALU_DEP_2)
	v_fma_f64 v[30:31], v[8:9], v[0:1], -v[30:31]
	v_fma_f64 v[0:1], v[10:11], v[0:1], v[2:3]
	v_mul_f64 v[2:3], v[8:9], v[6:7]
	s_delay_alu instid0(VALU_DEP_3) | instskip(NEXT) | instid1(VALU_DEP_3)
	v_add_f64 v[30:31], v[44:45], v[30:31]
	v_add_f64 v[32:33], v[42:43], v[0:1]
	v_mul_f64 v[0:1], v[10:11], v[6:7]
	s_delay_alu instid0(VALU_DEP_4) | instskip(NEXT) | instid1(VALU_DEP_2)
	v_fma_f64 v[2:3], v[10:11], v[4:5], v[2:3]
	v_fma_f64 v[0:1], v[8:9], v[4:5], -v[0:1]
	s_delay_alu instid0(VALU_DEP_2) | instskip(NEXT) | instid1(VALU_DEP_2)
	v_add_f64 v[14:15], v[14:15], v[2:3]
	v_add_f64 v[12:13], v[12:13], v[0:1]
	ds_load_b128 v[0:3], v22 offset:1024
	s_waitcnt lgkmcnt(0)
	v_mul_f64 v[4:5], v[36:37], v[2:3]
	v_mul_f64 v[6:7], v[34:35], v[2:3]
	s_delay_alu instid0(VALU_DEP_2) | instskip(NEXT) | instid1(VALU_DEP_2)
	v_fma_f64 v[4:5], v[34:35], v[0:1], -v[4:5]
	v_fma_f64 v[6:7], v[36:37], v[0:1], v[6:7]
	s_delay_alu instid0(VALU_DEP_2) | instskip(NEXT) | instid1(VALU_DEP_2)
	v_add_f64 v[42:43], v[46:47], v[4:5]
	v_add_f64 v[44:45], v[48:49], v[6:7]
	ds_load_b128 v[4:7], v22 offset:1280
	s_waitcnt lgkmcnt(0)
	v_mul_f64 v[8:9], v[36:37], v[6:7]
	v_mul_f64 v[10:11], v[34:35], v[6:7]
	s_delay_alu instid0(VALU_DEP_2) | instskip(NEXT) | instid1(VALU_DEP_2)
	v_fma_f64 v[8:9], v[34:35], v[4:5], -v[8:9]
	v_fma_f64 v[10:11], v[36:37], v[4:5], v[10:11]
	s_delay_alu instid0(VALU_DEP_2) | instskip(NEXT) | instid1(VALU_DEP_2)
	v_add_f64 v[28:29], v[28:29], v[8:9]
	v_add_f64 v[26:27], v[26:27], v[10:11]
	ds_load_b128 v[8:11], v25 offset:2080
	s_waitcnt lgkmcnt(0)
	v_mul_f64 v[34:35], v[10:11], v[2:3]
	v_mul_f64 v[2:3], v[8:9], v[2:3]
	s_delay_alu instid0(VALU_DEP_2) | instskip(NEXT) | instid1(VALU_DEP_2)
	v_fma_f64 v[34:35], v[8:9], v[0:1], -v[34:35]
	v_fma_f64 v[0:1], v[10:11], v[0:1], v[2:3]
	v_mul_f64 v[2:3], v[8:9], v[6:7]
	s_delay_alu instid0(VALU_DEP_3) | instskip(NEXT) | instid1(VALU_DEP_3)
	v_add_f64 v[30:31], v[30:31], v[34:35]
	v_add_f64 v[32:33], v[32:33], v[0:1]
	v_mul_f64 v[0:1], v[10:11], v[6:7]
	s_delay_alu instid0(VALU_DEP_4) | instskip(NEXT) | instid1(VALU_DEP_2)
	v_fma_f64 v[2:3], v[10:11], v[4:5], v[2:3]
	v_fma_f64 v[0:1], v[8:9], v[4:5], -v[0:1]
	s_delay_alu instid0(VALU_DEP_2) | instskip(NEXT) | instid1(VALU_DEP_2)
	;; [unrolled: 38-line block ×3, first 2 shown]
	v_add_f64 v[14:15], v[14:15], v[2:3]
	v_add_f64 v[12:13], v[12:13], v[0:1]
	ds_load_b128 v[0:3], v25 offset:64
	ds_load_b128 v[4:7], v22 offset:2048
	s_waitcnt lgkmcnt(0)
	v_mul_f64 v[8:9], v[2:3], v[6:7]
	v_mul_f64 v[10:11], v[0:1], v[6:7]
	s_delay_alu instid0(VALU_DEP_2) | instskip(NEXT) | instid1(VALU_DEP_2)
	v_fma_f64 v[8:9], v[0:1], v[4:5], -v[8:9]
	v_fma_f64 v[10:11], v[2:3], v[4:5], v[10:11]
	s_delay_alu instid0(VALU_DEP_2) | instskip(NEXT) | instid1(VALU_DEP_2)
	v_add_f64 v[34:35], v[34:35], v[8:9]
	v_add_f64 v[36:37], v[36:37], v[10:11]
	ds_load_b128 v[8:11], v22 offset:2304
	s_waitcnt lgkmcnt(0)
	v_mul_f64 v[38:39], v[2:3], v[10:11]
	s_delay_alu instid0(VALU_DEP_1) | instskip(SKIP_1) | instid1(VALU_DEP_2)
	v_fma_f64 v[38:39], v[0:1], v[8:9], -v[38:39]
	v_mul_f64 v[0:1], v[0:1], v[10:11]
	v_add_f64 v[28:29], v[28:29], v[38:39]
	s_delay_alu instid0(VALU_DEP_2) | instskip(NEXT) | instid1(VALU_DEP_1)
	v_fma_f64 v[0:1], v[2:3], v[8:9], v[0:1]
	v_add_f64 v[26:27], v[26:27], v[0:1]
	ds_load_b128 v[0:3], v25 offset:2112
	s_waitcnt lgkmcnt(0)
	v_mul_f64 v[38:39], v[2:3], v[6:7]
	v_mul_f64 v[6:7], v[0:1], v[6:7]
	s_delay_alu instid0(VALU_DEP_2) | instskip(NEXT) | instid1(VALU_DEP_2)
	v_fma_f64 v[38:39], v[0:1], v[4:5], -v[38:39]
	v_fma_f64 v[4:5], v[2:3], v[4:5], v[6:7]
	s_delay_alu instid0(VALU_DEP_2) | instskip(NEXT) | instid1(VALU_DEP_2)
	v_add_f64 v[30:31], v[30:31], v[38:39]
	v_add_f64 v[32:33], v[32:33], v[4:5]
	v_mul_f64 v[4:5], v[2:3], v[10:11]
	s_delay_alu instid0(VALU_DEP_1) | instskip(SKIP_1) | instid1(VALU_DEP_2)
	v_fma_f64 v[4:5], v[0:1], v[8:9], -v[4:5]
	v_mul_f64 v[0:1], v[0:1], v[10:11]
	v_add_f64 v[12:13], v[12:13], v[4:5]
	s_delay_alu instid0(VALU_DEP_2) | instskip(NEXT) | instid1(VALU_DEP_1)
	v_fma_f64 v[0:1], v[2:3], v[8:9], v[0:1]
	v_add_f64 v[14:15], v[14:15], v[0:1]
	ds_load_b128 v[0:3], v25 offset:80
	ds_load_b128 v[4:7], v22 offset:2560
	s_waitcnt lgkmcnt(0)
	v_mul_f64 v[8:9], v[2:3], v[6:7]
	v_mul_f64 v[10:11], v[0:1], v[6:7]
	s_delay_alu instid0(VALU_DEP_2) | instskip(NEXT) | instid1(VALU_DEP_2)
	v_fma_f64 v[8:9], v[0:1], v[4:5], -v[8:9]
	v_fma_f64 v[10:11], v[2:3], v[4:5], v[10:11]
	s_delay_alu instid0(VALU_DEP_2) | instskip(NEXT) | instid1(VALU_DEP_2)
	v_add_f64 v[34:35], v[34:35], v[8:9]
	v_add_f64 v[36:37], v[36:37], v[10:11]
	ds_load_b128 v[8:11], v22 offset:2816
	s_waitcnt lgkmcnt(0)
	v_mul_f64 v[38:39], v[2:3], v[10:11]
	s_delay_alu instid0(VALU_DEP_1) | instskip(SKIP_1) | instid1(VALU_DEP_2)
	v_fma_f64 v[38:39], v[0:1], v[8:9], -v[38:39]
	v_mul_f64 v[0:1], v[0:1], v[10:11]
	v_add_f64 v[28:29], v[28:29], v[38:39]
	s_delay_alu instid0(VALU_DEP_2) | instskip(NEXT) | instid1(VALU_DEP_1)
	v_fma_f64 v[0:1], v[2:3], v[8:9], v[0:1]
	v_add_f64 v[26:27], v[26:27], v[0:1]
	ds_load_b128 v[0:3], v25 offset:2128
	s_waitcnt lgkmcnt(0)
	v_mul_f64 v[38:39], v[2:3], v[6:7]
	v_mul_f64 v[6:7], v[0:1], v[6:7]
	s_delay_alu instid0(VALU_DEP_2) | instskip(NEXT) | instid1(VALU_DEP_2)
	v_fma_f64 v[38:39], v[0:1], v[4:5], -v[38:39]
	v_fma_f64 v[4:5], v[2:3], v[4:5], v[6:7]
	s_delay_alu instid0(VALU_DEP_2) | instskip(NEXT) | instid1(VALU_DEP_2)
	v_add_f64 v[30:31], v[30:31], v[38:39]
	v_add_f64 v[32:33], v[32:33], v[4:5]
	v_mul_f64 v[4:5], v[2:3], v[10:11]
	s_delay_alu instid0(VALU_DEP_1) | instskip(SKIP_1) | instid1(VALU_DEP_2)
	v_fma_f64 v[4:5], v[0:1], v[8:9], -v[4:5]
	v_mul_f64 v[0:1], v[0:1], v[10:11]
	v_add_f64 v[12:13], v[12:13], v[4:5]
	s_delay_alu instid0(VALU_DEP_2) | instskip(NEXT) | instid1(VALU_DEP_1)
	v_fma_f64 v[0:1], v[2:3], v[8:9], v[0:1]
	;; [unrolled: 39-line block ×3, first 2 shown]
	v_add_f64 v[48:49], v[14:15], v[0:1]
	ds_load_b128 v[0:3], v25 offset:112
	ds_load_b128 v[4:7], v22 offset:3584
	;; [unrolled: 1-line block ×4, first 2 shown]
	s_waitcnt lgkmcnt(0)
	s_barrier
	buffer_gl0_inv
	v_mul_f64 v[8:9], v[2:3], v[6:7]
	v_mul_f64 v[10:11], v[0:1], v[6:7]
	s_delay_alu instid0(VALU_DEP_2) | instskip(NEXT) | instid1(VALU_DEP_2)
	v_fma_f64 v[8:9], v[0:1], v[4:5], -v[8:9]
	v_fma_f64 v[10:11], v[2:3], v[4:5], v[10:11]
	s_delay_alu instid0(VALU_DEP_2) | instskip(SKIP_1) | instid1(VALU_DEP_3)
	v_add_f64 v[12:13], v[34:35], v[8:9]
	v_mul_f64 v[8:9], v[2:3], v[28:29]
	v_add_f64 v[14:15], v[36:37], v[10:11]
	s_delay_alu instid0(VALU_DEP_2) | instskip(SKIP_1) | instid1(VALU_DEP_1)
	v_fma_f64 v[8:9], v[0:1], v[26:27], -v[8:9]
	v_mul_f64 v[0:1], v[0:1], v[28:29]
	v_fma_f64 v[2:3], v[2:3], v[26:27], v[0:1]
	s_delay_alu instid0(VALU_DEP_3) | instskip(SKIP_2) | instid1(VALU_DEP_4)
	v_add_f64 v[0:1], v[38:39], v[8:9]
	v_mul_f64 v[8:9], v[32:33], v[6:7]
	v_mul_f64 v[6:7], v[30:31], v[6:7]
	v_add_f64 v[2:3], v[40:41], v[2:3]
	s_delay_alu instid0(VALU_DEP_3) | instskip(NEXT) | instid1(VALU_DEP_3)
	v_fma_f64 v[8:9], v[30:31], v[4:5], -v[8:9]
	v_fma_f64 v[4:5], v[32:33], v[4:5], v[6:7]
	v_mul_f64 v[6:7], v[30:31], v[28:29]
	s_delay_alu instid0(VALU_DEP_3) | instskip(NEXT) | instid1(VALU_DEP_3)
	v_add_f64 v[8:9], v[42:43], v[8:9]
	v_add_f64 v[10:11], v[44:45], v[4:5]
	v_mul_f64 v[4:5], v[32:33], v[28:29]
	s_delay_alu instid0(VALU_DEP_4) | instskip(NEXT) | instid1(VALU_DEP_2)
	v_fma_f64 v[6:7], v[32:33], v[26:27], v[6:7]
	v_fma_f64 v[4:5], v[30:31], v[26:27], -v[4:5]
	s_delay_alu instid0(VALU_DEP_2) | instskip(NEXT) | instid1(VALU_DEP_2)
	v_add_f64 v[6:7], v[48:49], v[6:7]
	v_add_f64 v[4:5], v[46:47], v[4:5]
	s_cbranch_scc0 .LBB251_2
.LBB251_3:
	s_clause 0x1
	s_load_b32 s3, s[0:1], 0x40
	s_load_b64 s[4:5], s[0:1], 0x48
	v_add_nc_u32_e32 v18, s13, v21
	v_add_nc_u32_e32 v16, s12, v20
	s_delay_alu instid0(VALU_DEP_1)
	v_cmp_le_i32_e64 s0, v18, v16
	v_cmp_gt_i32_e32 vcc_lo, s2, v16
	s_waitcnt lgkmcnt(0)
	v_mad_i64_i32 v[19:20], null, v18, s3, 0
	s_mul_i32 s1, s15, s5
	s_mul_hi_u32 s5, s15, s4
	s_mul_i32 s4, s15, s4
	s_add_i32 s5, s5, s1
	s_delay_alu instid0(SALU_CYCLE_1) | instskip(NEXT) | instid1(VALU_DEP_1)
	s_lshl_b64 s[4:5], s[4:5], 4
	v_lshlrev_b64 v[19:20], 4, v[19:20]
	s_add_u32 s4, s6, s4
	s_addc_u32 s5, s7, s5
	s_and_b32 s0, s0, vcc_lo
	s_delay_alu instid0(VALU_DEP_1) | instskip(NEXT) | instid1(VALU_DEP_1)
	v_add_co_u32 v19, s1, s4, v19
	v_add_co_ci_u32_e64 v20, s1, s5, v20, s1
	s_and_saveexec_b32 s1, s0
	s_cbranch_execz .LBB251_5
; %bb.4:
	v_ashrrev_i32_e32 v17, 31, v16
	v_xor_b32_e32 v13, 0x80000000, v13
	v_xor_b32_e32 v15, 0x80000000, v15
	s_delay_alu instid0(VALU_DEP_3) | instskip(NEXT) | instid1(VALU_DEP_1)
	v_lshlrev_b64 v[21:22], 4, v[16:17]
	v_add_co_u32 v21, s0, v19, v21
	s_delay_alu instid0(VALU_DEP_1)
	v_add_co_ci_u32_e64 v22, s0, v20, v22, s0
	global_store_b128 v[21:22], v[12:15], off
.LBB251_5:
	s_or_b32 exec_lo, exec_lo, s1
	v_add_nc_u32_e32 v12, 16, v16
	s_delay_alu instid0(VALU_DEP_1) | instskip(SKIP_1) | instid1(VALU_DEP_1)
	v_cmp_le_i32_e64 s1, v18, v12
	v_cmp_gt_i32_e64 s0, s2, v12
	s_and_b32 s1, s1, s0
	s_delay_alu instid0(SALU_CYCLE_1)
	s_and_saveexec_b32 s2, s1
	s_cbranch_execz .LBB251_7
; %bb.6:
	v_ashrrev_i32_e32 v13, 31, v12
	v_xor_b32_e32 v1, 0x80000000, v1
	v_xor_b32_e32 v3, 0x80000000, v3
	s_delay_alu instid0(VALU_DEP_3) | instskip(NEXT) | instid1(VALU_DEP_1)
	v_lshlrev_b64 v[13:14], 4, v[12:13]
	v_add_co_u32 v13, s1, v19, v13
	s_delay_alu instid0(VALU_DEP_1)
	v_add_co_ci_u32_e64 v14, s1, v20, v14, s1
	global_store_b128 v[13:14], v[0:3], off
.LBB251_7:
	s_or_b32 exec_lo, exec_lo, s2
	v_add_nc_u32_e32 v2, 16, v18
	s_delay_alu instid0(VALU_DEP_1) | instskip(SKIP_1) | instid1(VALU_DEP_2)
	v_mad_i64_i32 v[0:1], null, v2, s3, 0
	v_cmp_le_i32_e64 s1, v2, v16
	v_lshlrev_b64 v[0:1], 4, v[0:1]
	s_delay_alu instid0(VALU_DEP_1) | instskip(NEXT) | instid1(VALU_DEP_1)
	v_add_co_u32 v0, s2, s4, v0
	v_add_co_ci_u32_e64 v1, s2, s5, v1, s2
	s_delay_alu instid0(VALU_DEP_4) | instskip(NEXT) | instid1(SALU_CYCLE_1)
	s_and_b32 s2, s1, vcc_lo
	s_and_saveexec_b32 s1, s2
	s_cbranch_execz .LBB251_9
; %bb.8:
	v_ashrrev_i32_e32 v17, 31, v16
	v_xor_b32_e32 v9, 0x80000000, v9
	v_xor_b32_e32 v11, 0x80000000, v11
	s_delay_alu instid0(VALU_DEP_3) | instskip(NEXT) | instid1(VALU_DEP_1)
	v_lshlrev_b64 v[13:14], 4, v[16:17]
	v_add_co_u32 v13, vcc_lo, v0, v13
	s_delay_alu instid0(VALU_DEP_2)
	v_add_co_ci_u32_e32 v14, vcc_lo, v1, v14, vcc_lo
	global_store_b128 v[13:14], v[8:11], off
.LBB251_9:
	s_or_b32 exec_lo, exec_lo, s1
	v_cmp_le_i32_e32 vcc_lo, v2, v12
	s_and_b32 s0, vcc_lo, s0
	s_delay_alu instid0(SALU_CYCLE_1)
	s_and_saveexec_b32 s1, s0
	s_cbranch_execz .LBB251_11
; %bb.10:
	v_ashrrev_i32_e32 v13, 31, v12
	v_xor_b32_e32 v5, 0x80000000, v5
	v_xor_b32_e32 v7, 0x80000000, v7
	s_delay_alu instid0(VALU_DEP_3) | instskip(NEXT) | instid1(VALU_DEP_1)
	v_lshlrev_b64 v[2:3], 4, v[12:13]
	v_add_co_u32 v0, vcc_lo, v0, v2
	s_delay_alu instid0(VALU_DEP_2)
	v_add_co_ci_u32_e32 v1, vcc_lo, v1, v3, vcc_lo
	global_store_b128 v[0:1], v[4:7], off
.LBB251_11:
	s_nop 0
	s_sendmsg sendmsg(MSG_DEALLOC_VGPRS)
	s_endpgm
	.section	.rodata,"a",@progbits
	.p2align	6, 0x0
	.amdhsa_kernel _ZL37rocblas_syrkx_herkx_restricted_kernelIi19rocblas_complex_numIdELi16ELi32ELi8ELin1ELi0ELb0ELc84ELc76EKS1_S1_EviT_PT9_S3_lS5_S3_lPT10_S3_li
		.amdhsa_group_segment_fixed_size 8192
		.amdhsa_private_segment_fixed_size 0
		.amdhsa_kernarg_size 84
		.amdhsa_user_sgpr_count 13
		.amdhsa_user_sgpr_dispatch_ptr 0
		.amdhsa_user_sgpr_queue_ptr 0
		.amdhsa_user_sgpr_kernarg_segment_ptr 1
		.amdhsa_user_sgpr_dispatch_id 0
		.amdhsa_user_sgpr_private_segment_size 0
		.amdhsa_wavefront_size32 1
		.amdhsa_uses_dynamic_stack 0
		.amdhsa_enable_private_segment 0
		.amdhsa_system_sgpr_workgroup_id_x 1
		.amdhsa_system_sgpr_workgroup_id_y 1
		.amdhsa_system_sgpr_workgroup_id_z 1
		.amdhsa_system_sgpr_workgroup_info 0
		.amdhsa_system_vgpr_workitem_id 1
		.amdhsa_next_free_vgpr 52
		.amdhsa_next_free_sgpr 20
		.amdhsa_reserve_vcc 1
		.amdhsa_float_round_mode_32 0
		.amdhsa_float_round_mode_16_64 0
		.amdhsa_float_denorm_mode_32 3
		.amdhsa_float_denorm_mode_16_64 3
		.amdhsa_dx10_clamp 1
		.amdhsa_ieee_mode 1
		.amdhsa_fp16_overflow 0
		.amdhsa_workgroup_processor_mode 1
		.amdhsa_memory_ordered 1
		.amdhsa_forward_progress 0
		.amdhsa_shared_vgpr_count 0
		.amdhsa_exception_fp_ieee_invalid_op 0
		.amdhsa_exception_fp_denorm_src 0
		.amdhsa_exception_fp_ieee_div_zero 0
		.amdhsa_exception_fp_ieee_overflow 0
		.amdhsa_exception_fp_ieee_underflow 0
		.amdhsa_exception_fp_ieee_inexact 0
		.amdhsa_exception_int_div_zero 0
	.end_amdhsa_kernel
	.section	.text._ZL37rocblas_syrkx_herkx_restricted_kernelIi19rocblas_complex_numIdELi16ELi32ELi8ELin1ELi0ELb0ELc84ELc76EKS1_S1_EviT_PT9_S3_lS5_S3_lPT10_S3_li,"axG",@progbits,_ZL37rocblas_syrkx_herkx_restricted_kernelIi19rocblas_complex_numIdELi16ELi32ELi8ELin1ELi0ELb0ELc84ELc76EKS1_S1_EviT_PT9_S3_lS5_S3_lPT10_S3_li,comdat
.Lfunc_end251:
	.size	_ZL37rocblas_syrkx_herkx_restricted_kernelIi19rocblas_complex_numIdELi16ELi32ELi8ELin1ELi0ELb0ELc84ELc76EKS1_S1_EviT_PT9_S3_lS5_S3_lPT10_S3_li, .Lfunc_end251-_ZL37rocblas_syrkx_herkx_restricted_kernelIi19rocblas_complex_numIdELi16ELi32ELi8ELin1ELi0ELb0ELc84ELc76EKS1_S1_EviT_PT9_S3_lS5_S3_lPT10_S3_li
                                        ; -- End function
	.section	.AMDGPU.csdata,"",@progbits
; Kernel info:
; codeLenInByte = 3240
; NumSgprs: 22
; NumVgprs: 52
; ScratchSize: 0
; MemoryBound: 0
; FloatMode: 240
; IeeeMode: 1
; LDSByteSize: 8192 bytes/workgroup (compile time only)
; SGPRBlocks: 2
; VGPRBlocks: 6
; NumSGPRsForWavesPerEU: 22
; NumVGPRsForWavesPerEU: 52
; Occupancy: 16
; WaveLimiterHint : 0
; COMPUTE_PGM_RSRC2:SCRATCH_EN: 0
; COMPUTE_PGM_RSRC2:USER_SGPR: 13
; COMPUTE_PGM_RSRC2:TRAP_HANDLER: 0
; COMPUTE_PGM_RSRC2:TGID_X_EN: 1
; COMPUTE_PGM_RSRC2:TGID_Y_EN: 1
; COMPUTE_PGM_RSRC2:TGID_Z_EN: 1
; COMPUTE_PGM_RSRC2:TIDIG_COMP_CNT: 1
	.section	.text._ZL37rocblas_syrkx_herkx_restricted_kernelIi19rocblas_complex_numIdELi16ELi32ELi8ELin1ELi0ELb0ELc67ELc76EKS1_S1_EviT_PT9_S3_lS5_S3_lPT10_S3_li,"axG",@progbits,_ZL37rocblas_syrkx_herkx_restricted_kernelIi19rocblas_complex_numIdELi16ELi32ELi8ELin1ELi0ELb0ELc67ELc76EKS1_S1_EviT_PT9_S3_lS5_S3_lPT10_S3_li,comdat
	.globl	_ZL37rocblas_syrkx_herkx_restricted_kernelIi19rocblas_complex_numIdELi16ELi32ELi8ELin1ELi0ELb0ELc67ELc76EKS1_S1_EviT_PT9_S3_lS5_S3_lPT10_S3_li ; -- Begin function _ZL37rocblas_syrkx_herkx_restricted_kernelIi19rocblas_complex_numIdELi16ELi32ELi8ELin1ELi0ELb0ELc67ELc76EKS1_S1_EviT_PT9_S3_lS5_S3_lPT10_S3_li
	.p2align	8
	.type	_ZL37rocblas_syrkx_herkx_restricted_kernelIi19rocblas_complex_numIdELi16ELi32ELi8ELin1ELi0ELb0ELc67ELc76EKS1_S1_EviT_PT9_S3_lS5_S3_lPT10_S3_li,@function
_ZL37rocblas_syrkx_herkx_restricted_kernelIi19rocblas_complex_numIdELi16ELi32ELi8ELin1ELi0ELb0ELc67ELc76EKS1_S1_EviT_PT9_S3_lS5_S3_lPT10_S3_li: ; @_ZL37rocblas_syrkx_herkx_restricted_kernelIi19rocblas_complex_numIdELi16ELi32ELi8ELin1ELi0ELb0ELc67ELc76EKS1_S1_EviT_PT9_S3_lS5_S3_lPT10_S3_li
; %bb.0:
	s_clause 0x1
	s_load_b64 s[2:3], s[0:1], 0x0
	s_load_b128 s[4:7], s[0:1], 0x30
	v_mov_b32_e32 v12, 0
	v_dual_mov_b32 v13, 0 :: v_dual_and_b32 v20, 0x3ff, v0
	v_bfe_u32 v21, v0, 10, 10
	s_delay_alu instid0(VALU_DEP_3) | instskip(NEXT) | instid1(VALU_DEP_3)
	v_mov_b32_e32 v0, v12
	v_dual_mov_b32 v2, v12 :: v_dual_mov_b32 v3, v13
	v_dual_mov_b32 v15, v13 :: v_dual_mov_b32 v14, v12
	;; [unrolled: 1-line block ×6, first 2 shown]
	v_mov_b32_e32 v7, v13
	s_lshl_b32 s12, s13, 5
	s_lshl_b32 s13, s14, 5
	s_waitcnt lgkmcnt(0)
	s_cmp_lt_i32 s3, 1
	s_mov_b32 s14, 0
	s_cbranch_scc1 .LBB252_3
; %bb.1:
	s_clause 0x1
	s_load_b32 s18, s[0:1], 0x10
	s_load_b128 s[8:11], s[0:1], 0x18
	v_lshl_add_u32 v2, v21, 4, v20
	v_dual_mov_b32 v1, 0 :: v_dual_and_b32 v0, 7, v20
	s_clause 0x1
	s_load_b64 s[16:17], s[0:1], 0x8
	s_load_b32 s19, s[0:1], 0x28
	v_lshlrev_b32_e32 v22, 4, v20
	v_lshrrev_b32_e32 v4, 3, v2
	v_and_b32_e32 v5, 31, v2
	v_lshlrev_b32_e32 v3, 4, v0
	v_lshrrev_b32_e32 v2, 5, v2
	s_mul_i32 s5, s5, s15
	v_lshl_add_u32 v25, v21, 7, 0x1000
	v_lshlrev_b32_e32 v6, 4, v5
	v_lshl_or_b32 v7, v4, 7, v3
	v_mov_b32_e32 v3, v1
	s_delay_alu instid0(VALU_DEP_3) | instskip(NEXT) | instid1(VALU_DEP_3)
	v_lshl_or_b32 v23, v2, 9, v6
	v_add_nc_u32_e32 v24, 0x1000, v7
	v_mov_b32_e32 v6, 0
	v_dual_mov_b32 v7, 0 :: v_dual_add_nc_u32 v8, s12, v5
	v_add_nc_u32_e32 v9, s13, v4
	s_waitcnt lgkmcnt(0)
	s_mul_i32 s9, s9, s15
	s_delay_alu instid0(VALU_DEP_2)
	v_mad_i64_i32 v[4:5], null, s18, v8, v[2:3]
	v_mov_b32_e32 v11, v7
	s_mul_hi_u32 s18, s8, s15
	v_mov_b32_e32 v10, v6
	v_mad_i64_i32 v[2:3], null, s19, v9, v[0:1]
	s_mul_i32 s8, s8, s15
	s_add_i32 s9, s18, s9
	s_delay_alu instid0(VALU_DEP_4)
	v_lshlrev_b64 v[0:1], 4, v[4:5]
	s_lshl_b64 s[8:9], s[8:9], 4
	v_mov_b32_e32 v9, v7
	s_add_u32 s8, s16, s8
	s_mul_hi_u32 s16, s4, s15
	s_addc_u32 s9, s17, s9
	s_add_i32 s5, s16, s5
	s_mul_i32 s4, s4, s15
	v_lshlrev_b64 v[2:3], 4, v[2:3]
	s_lshl_b64 s[4:5], s[4:5], 4
	v_add_co_u32 v0, vcc_lo, s8, v0
	s_add_u32 s4, s10, s4
	v_add_co_ci_u32_e32 v1, vcc_lo, s9, v1, vcc_lo
	s_addc_u32 s5, s11, s5
	v_add_co_u32 v2, vcc_lo, s4, v2
	v_add_co_ci_u32_e32 v3, vcc_lo, s5, v3, vcc_lo
	v_add_co_u32 v16, vcc_lo, v0, 8
	v_add_co_ci_u32_e32 v17, vcc_lo, 0, v1, vcc_lo
	s_delay_alu instid0(VALU_DEP_4) | instskip(NEXT) | instid1(VALU_DEP_4)
	v_add_co_u32 v18, vcc_lo, v2, 8
	v_add_co_ci_u32_e32 v19, vcc_lo, 0, v3, vcc_lo
	v_mov_b32_e32 v2, v6
	v_dual_mov_b32 v4, v6 :: v_dual_mov_b32 v3, v7
	v_dual_mov_b32 v0, v6 :: v_dual_mov_b32 v15, v7
	v_dual_mov_b32 v13, v7 :: v_dual_mov_b32 v12, v6
	v_dual_mov_b32 v5, v7 :: v_dual_mov_b32 v8, v6
	v_dual_mov_b32 v1, v7 :: v_dual_mov_b32 v14, v6
.LBB252_2:                              ; =>This Inner Loop Header: Depth=1
	global_load_b128 v[26:29], v[16:17], off offset:-8
	v_add_co_u32 v16, vcc_lo, 0x80, v16
	v_add_co_ci_u32_e32 v17, vcc_lo, 0, v17, vcc_lo
	s_add_i32 s14, s14, 8
	s_delay_alu instid0(SALU_CYCLE_1)
	s_cmp_ge_i32 s14, s3
	s_waitcnt vmcnt(0)
	ds_store_b128 v23, v[26:29]
	global_load_b128 v[26:29], v[18:19], off offset:-8
	v_add_co_u32 v18, vcc_lo, 0x80, v18
	v_add_co_ci_u32_e32 v19, vcc_lo, 0, v19, vcc_lo
	s_waitcnt vmcnt(0)
	ds_store_b128 v24, v[26:29]
	s_waitcnt lgkmcnt(0)
	s_barrier
	buffer_gl0_inv
	ds_load_b128 v[26:29], v25
	ds_load_b128 v[30:33], v25 offset:16
	ds_load_b128 v[34:37], v25 offset:32
	;; [unrolled: 1-line block ×3, first 2 shown]
	ds_load_b128 v[42:45], v22
	s_waitcnt lgkmcnt(0)
	v_mul_f64 v[46:47], v[28:29], v[44:45]
	v_mul_f64 v[48:49], v[26:27], v[44:45]
	s_delay_alu instid0(VALU_DEP_2) | instskip(NEXT) | instid1(VALU_DEP_2)
	v_fma_f64 v[46:47], v[26:27], v[42:43], -v[46:47]
	v_fma_f64 v[48:49], v[28:29], v[42:43], v[48:49]
	s_delay_alu instid0(VALU_DEP_2) | instskip(NEXT) | instid1(VALU_DEP_2)
	v_add_f64 v[46:47], v[12:13], v[46:47]
	v_add_f64 v[48:49], v[14:15], v[48:49]
	ds_load_b128 v[12:15], v22 offset:256
	s_waitcnt lgkmcnt(0)
	v_mul_f64 v[50:51], v[28:29], v[14:15]
	s_delay_alu instid0(VALU_DEP_1) | instskip(SKIP_1) | instid1(VALU_DEP_1)
	v_fma_f64 v[50:51], v[26:27], v[12:13], -v[50:51]
	v_mul_f64 v[26:27], v[26:27], v[14:15]
	v_fma_f64 v[26:27], v[28:29], v[12:13], v[26:27]
	s_delay_alu instid0(VALU_DEP_3) | instskip(NEXT) | instid1(VALU_DEP_2)
	v_add_f64 v[28:29], v[0:1], v[50:51]
	v_add_f64 v[26:27], v[2:3], v[26:27]
	ds_load_b128 v[0:3], v25 offset:2048
	s_waitcnt lgkmcnt(0)
	v_mul_f64 v[50:51], v[2:3], v[44:45]
	v_mul_f64 v[44:45], v[0:1], v[44:45]
	s_delay_alu instid0(VALU_DEP_2) | instskip(NEXT) | instid1(VALU_DEP_2)
	v_fma_f64 v[50:51], v[0:1], v[42:43], -v[50:51]
	v_fma_f64 v[42:43], v[2:3], v[42:43], v[44:45]
	s_delay_alu instid0(VALU_DEP_2) | instskip(SKIP_1) | instid1(VALU_DEP_3)
	v_add_f64 v[44:45], v[8:9], v[50:51]
	v_mul_f64 v[8:9], v[2:3], v[14:15]
	v_add_f64 v[42:43], v[10:11], v[42:43]
	s_delay_alu instid0(VALU_DEP_2) | instskip(SKIP_1) | instid1(VALU_DEP_1)
	v_fma_f64 v[8:9], v[0:1], v[12:13], -v[8:9]
	v_mul_f64 v[0:1], v[0:1], v[14:15]
	v_fma_f64 v[0:1], v[2:3], v[12:13], v[0:1]
	s_delay_alu instid0(VALU_DEP_3) | instskip(NEXT) | instid1(VALU_DEP_2)
	v_add_f64 v[12:13], v[4:5], v[8:9]
	v_add_f64 v[14:15], v[6:7], v[0:1]
	ds_load_b128 v[0:3], v22 offset:512
	s_waitcnt lgkmcnt(0)
	v_mul_f64 v[4:5], v[32:33], v[2:3]
	v_mul_f64 v[6:7], v[30:31], v[2:3]
	s_delay_alu instid0(VALU_DEP_2) | instskip(NEXT) | instid1(VALU_DEP_2)
	v_fma_f64 v[4:5], v[30:31], v[0:1], -v[4:5]
	v_fma_f64 v[6:7], v[32:33], v[0:1], v[6:7]
	s_delay_alu instid0(VALU_DEP_2) | instskip(NEXT) | instid1(VALU_DEP_2)
	v_add_f64 v[46:47], v[46:47], v[4:5]
	v_add_f64 v[48:49], v[48:49], v[6:7]
	ds_load_b128 v[4:7], v22 offset:768
	s_waitcnt lgkmcnt(0)
	v_mul_f64 v[8:9], v[32:33], v[6:7]
	v_mul_f64 v[10:11], v[30:31], v[6:7]
	s_delay_alu instid0(VALU_DEP_2) | instskip(NEXT) | instid1(VALU_DEP_2)
	v_fma_f64 v[8:9], v[30:31], v[4:5], -v[8:9]
	v_fma_f64 v[10:11], v[32:33], v[4:5], v[10:11]
	s_delay_alu instid0(VALU_DEP_2) | instskip(NEXT) | instid1(VALU_DEP_2)
	v_add_f64 v[28:29], v[28:29], v[8:9]
	v_add_f64 v[26:27], v[26:27], v[10:11]
	ds_load_b128 v[8:11], v25 offset:2064
	s_waitcnt lgkmcnt(0)
	v_mul_f64 v[30:31], v[10:11], v[2:3]
	v_mul_f64 v[2:3], v[8:9], v[2:3]
	s_delay_alu instid0(VALU_DEP_2) | instskip(NEXT) | instid1(VALU_DEP_2)
	v_fma_f64 v[30:31], v[8:9], v[0:1], -v[30:31]
	v_fma_f64 v[0:1], v[10:11], v[0:1], v[2:3]
	v_mul_f64 v[2:3], v[8:9], v[6:7]
	s_delay_alu instid0(VALU_DEP_3) | instskip(NEXT) | instid1(VALU_DEP_3)
	v_add_f64 v[30:31], v[44:45], v[30:31]
	v_add_f64 v[32:33], v[42:43], v[0:1]
	v_mul_f64 v[0:1], v[10:11], v[6:7]
	s_delay_alu instid0(VALU_DEP_4) | instskip(NEXT) | instid1(VALU_DEP_2)
	v_fma_f64 v[2:3], v[10:11], v[4:5], v[2:3]
	v_fma_f64 v[0:1], v[8:9], v[4:5], -v[0:1]
	s_delay_alu instid0(VALU_DEP_2) | instskip(NEXT) | instid1(VALU_DEP_2)
	v_add_f64 v[14:15], v[14:15], v[2:3]
	v_add_f64 v[12:13], v[12:13], v[0:1]
	ds_load_b128 v[0:3], v22 offset:1024
	s_waitcnt lgkmcnt(0)
	v_mul_f64 v[4:5], v[36:37], v[2:3]
	v_mul_f64 v[6:7], v[34:35], v[2:3]
	s_delay_alu instid0(VALU_DEP_2) | instskip(NEXT) | instid1(VALU_DEP_2)
	v_fma_f64 v[4:5], v[34:35], v[0:1], -v[4:5]
	v_fma_f64 v[6:7], v[36:37], v[0:1], v[6:7]
	s_delay_alu instid0(VALU_DEP_2) | instskip(NEXT) | instid1(VALU_DEP_2)
	v_add_f64 v[42:43], v[46:47], v[4:5]
	v_add_f64 v[44:45], v[48:49], v[6:7]
	ds_load_b128 v[4:7], v22 offset:1280
	s_waitcnt lgkmcnt(0)
	v_mul_f64 v[8:9], v[36:37], v[6:7]
	v_mul_f64 v[10:11], v[34:35], v[6:7]
	s_delay_alu instid0(VALU_DEP_2) | instskip(NEXT) | instid1(VALU_DEP_2)
	v_fma_f64 v[8:9], v[34:35], v[4:5], -v[8:9]
	v_fma_f64 v[10:11], v[36:37], v[4:5], v[10:11]
	s_delay_alu instid0(VALU_DEP_2) | instskip(NEXT) | instid1(VALU_DEP_2)
	v_add_f64 v[28:29], v[28:29], v[8:9]
	v_add_f64 v[26:27], v[26:27], v[10:11]
	ds_load_b128 v[8:11], v25 offset:2080
	s_waitcnt lgkmcnt(0)
	v_mul_f64 v[34:35], v[10:11], v[2:3]
	v_mul_f64 v[2:3], v[8:9], v[2:3]
	s_delay_alu instid0(VALU_DEP_2) | instskip(NEXT) | instid1(VALU_DEP_2)
	v_fma_f64 v[34:35], v[8:9], v[0:1], -v[34:35]
	v_fma_f64 v[0:1], v[10:11], v[0:1], v[2:3]
	v_mul_f64 v[2:3], v[8:9], v[6:7]
	s_delay_alu instid0(VALU_DEP_3) | instskip(NEXT) | instid1(VALU_DEP_3)
	v_add_f64 v[30:31], v[30:31], v[34:35]
	v_add_f64 v[32:33], v[32:33], v[0:1]
	v_mul_f64 v[0:1], v[10:11], v[6:7]
	s_delay_alu instid0(VALU_DEP_4) | instskip(NEXT) | instid1(VALU_DEP_2)
	v_fma_f64 v[2:3], v[10:11], v[4:5], v[2:3]
	v_fma_f64 v[0:1], v[8:9], v[4:5], -v[0:1]
	s_delay_alu instid0(VALU_DEP_2) | instskip(NEXT) | instid1(VALU_DEP_2)
	;; [unrolled: 38-line block ×3, first 2 shown]
	v_add_f64 v[14:15], v[14:15], v[2:3]
	v_add_f64 v[12:13], v[12:13], v[0:1]
	ds_load_b128 v[0:3], v25 offset:64
	ds_load_b128 v[4:7], v22 offset:2048
	s_waitcnt lgkmcnt(0)
	v_mul_f64 v[8:9], v[2:3], v[6:7]
	v_mul_f64 v[10:11], v[0:1], v[6:7]
	s_delay_alu instid0(VALU_DEP_2) | instskip(NEXT) | instid1(VALU_DEP_2)
	v_fma_f64 v[8:9], v[0:1], v[4:5], -v[8:9]
	v_fma_f64 v[10:11], v[2:3], v[4:5], v[10:11]
	s_delay_alu instid0(VALU_DEP_2) | instskip(NEXT) | instid1(VALU_DEP_2)
	v_add_f64 v[34:35], v[34:35], v[8:9]
	v_add_f64 v[36:37], v[36:37], v[10:11]
	ds_load_b128 v[8:11], v22 offset:2304
	s_waitcnt lgkmcnt(0)
	v_mul_f64 v[38:39], v[2:3], v[10:11]
	s_delay_alu instid0(VALU_DEP_1) | instskip(SKIP_1) | instid1(VALU_DEP_2)
	v_fma_f64 v[38:39], v[0:1], v[8:9], -v[38:39]
	v_mul_f64 v[0:1], v[0:1], v[10:11]
	v_add_f64 v[28:29], v[28:29], v[38:39]
	s_delay_alu instid0(VALU_DEP_2) | instskip(NEXT) | instid1(VALU_DEP_1)
	v_fma_f64 v[0:1], v[2:3], v[8:9], v[0:1]
	v_add_f64 v[26:27], v[26:27], v[0:1]
	ds_load_b128 v[0:3], v25 offset:2112
	s_waitcnt lgkmcnt(0)
	v_mul_f64 v[38:39], v[2:3], v[6:7]
	v_mul_f64 v[6:7], v[0:1], v[6:7]
	s_delay_alu instid0(VALU_DEP_2) | instskip(NEXT) | instid1(VALU_DEP_2)
	v_fma_f64 v[38:39], v[0:1], v[4:5], -v[38:39]
	v_fma_f64 v[4:5], v[2:3], v[4:5], v[6:7]
	s_delay_alu instid0(VALU_DEP_2) | instskip(NEXT) | instid1(VALU_DEP_2)
	v_add_f64 v[30:31], v[30:31], v[38:39]
	v_add_f64 v[32:33], v[32:33], v[4:5]
	v_mul_f64 v[4:5], v[2:3], v[10:11]
	s_delay_alu instid0(VALU_DEP_1) | instskip(SKIP_1) | instid1(VALU_DEP_2)
	v_fma_f64 v[4:5], v[0:1], v[8:9], -v[4:5]
	v_mul_f64 v[0:1], v[0:1], v[10:11]
	v_add_f64 v[12:13], v[12:13], v[4:5]
	s_delay_alu instid0(VALU_DEP_2) | instskip(NEXT) | instid1(VALU_DEP_1)
	v_fma_f64 v[0:1], v[2:3], v[8:9], v[0:1]
	v_add_f64 v[14:15], v[14:15], v[0:1]
	ds_load_b128 v[0:3], v25 offset:80
	ds_load_b128 v[4:7], v22 offset:2560
	s_waitcnt lgkmcnt(0)
	v_mul_f64 v[8:9], v[2:3], v[6:7]
	v_mul_f64 v[10:11], v[0:1], v[6:7]
	s_delay_alu instid0(VALU_DEP_2) | instskip(NEXT) | instid1(VALU_DEP_2)
	v_fma_f64 v[8:9], v[0:1], v[4:5], -v[8:9]
	v_fma_f64 v[10:11], v[2:3], v[4:5], v[10:11]
	s_delay_alu instid0(VALU_DEP_2) | instskip(NEXT) | instid1(VALU_DEP_2)
	v_add_f64 v[34:35], v[34:35], v[8:9]
	v_add_f64 v[36:37], v[36:37], v[10:11]
	ds_load_b128 v[8:11], v22 offset:2816
	s_waitcnt lgkmcnt(0)
	v_mul_f64 v[38:39], v[2:3], v[10:11]
	s_delay_alu instid0(VALU_DEP_1) | instskip(SKIP_1) | instid1(VALU_DEP_2)
	v_fma_f64 v[38:39], v[0:1], v[8:9], -v[38:39]
	v_mul_f64 v[0:1], v[0:1], v[10:11]
	v_add_f64 v[28:29], v[28:29], v[38:39]
	s_delay_alu instid0(VALU_DEP_2) | instskip(NEXT) | instid1(VALU_DEP_1)
	v_fma_f64 v[0:1], v[2:3], v[8:9], v[0:1]
	v_add_f64 v[26:27], v[26:27], v[0:1]
	ds_load_b128 v[0:3], v25 offset:2128
	s_waitcnt lgkmcnt(0)
	v_mul_f64 v[38:39], v[2:3], v[6:7]
	v_mul_f64 v[6:7], v[0:1], v[6:7]
	s_delay_alu instid0(VALU_DEP_2) | instskip(NEXT) | instid1(VALU_DEP_2)
	v_fma_f64 v[38:39], v[0:1], v[4:5], -v[38:39]
	v_fma_f64 v[4:5], v[2:3], v[4:5], v[6:7]
	s_delay_alu instid0(VALU_DEP_2) | instskip(NEXT) | instid1(VALU_DEP_2)
	v_add_f64 v[30:31], v[30:31], v[38:39]
	v_add_f64 v[32:33], v[32:33], v[4:5]
	v_mul_f64 v[4:5], v[2:3], v[10:11]
	s_delay_alu instid0(VALU_DEP_1) | instskip(SKIP_1) | instid1(VALU_DEP_2)
	v_fma_f64 v[4:5], v[0:1], v[8:9], -v[4:5]
	v_mul_f64 v[0:1], v[0:1], v[10:11]
	v_add_f64 v[12:13], v[12:13], v[4:5]
	s_delay_alu instid0(VALU_DEP_2) | instskip(NEXT) | instid1(VALU_DEP_1)
	v_fma_f64 v[0:1], v[2:3], v[8:9], v[0:1]
	;; [unrolled: 39-line block ×3, first 2 shown]
	v_add_f64 v[48:49], v[14:15], v[0:1]
	ds_load_b128 v[0:3], v25 offset:112
	ds_load_b128 v[4:7], v22 offset:3584
	;; [unrolled: 1-line block ×4, first 2 shown]
	s_waitcnt lgkmcnt(0)
	s_barrier
	buffer_gl0_inv
	v_mul_f64 v[8:9], v[2:3], v[6:7]
	v_mul_f64 v[10:11], v[0:1], v[6:7]
	s_delay_alu instid0(VALU_DEP_2) | instskip(NEXT) | instid1(VALU_DEP_2)
	v_fma_f64 v[8:9], v[0:1], v[4:5], -v[8:9]
	v_fma_f64 v[10:11], v[2:3], v[4:5], v[10:11]
	s_delay_alu instid0(VALU_DEP_2) | instskip(SKIP_1) | instid1(VALU_DEP_3)
	v_add_f64 v[12:13], v[34:35], v[8:9]
	v_mul_f64 v[8:9], v[2:3], v[28:29]
	v_add_f64 v[14:15], v[36:37], v[10:11]
	s_delay_alu instid0(VALU_DEP_2) | instskip(SKIP_1) | instid1(VALU_DEP_1)
	v_fma_f64 v[8:9], v[0:1], v[26:27], -v[8:9]
	v_mul_f64 v[0:1], v[0:1], v[28:29]
	v_fma_f64 v[2:3], v[2:3], v[26:27], v[0:1]
	s_delay_alu instid0(VALU_DEP_3) | instskip(SKIP_2) | instid1(VALU_DEP_4)
	v_add_f64 v[0:1], v[38:39], v[8:9]
	v_mul_f64 v[8:9], v[32:33], v[6:7]
	v_mul_f64 v[6:7], v[30:31], v[6:7]
	v_add_f64 v[2:3], v[40:41], v[2:3]
	s_delay_alu instid0(VALU_DEP_3) | instskip(NEXT) | instid1(VALU_DEP_3)
	v_fma_f64 v[8:9], v[30:31], v[4:5], -v[8:9]
	v_fma_f64 v[4:5], v[32:33], v[4:5], v[6:7]
	v_mul_f64 v[6:7], v[30:31], v[28:29]
	s_delay_alu instid0(VALU_DEP_3) | instskip(NEXT) | instid1(VALU_DEP_3)
	v_add_f64 v[8:9], v[42:43], v[8:9]
	v_add_f64 v[10:11], v[44:45], v[4:5]
	v_mul_f64 v[4:5], v[32:33], v[28:29]
	s_delay_alu instid0(VALU_DEP_4) | instskip(NEXT) | instid1(VALU_DEP_2)
	v_fma_f64 v[6:7], v[32:33], v[26:27], v[6:7]
	v_fma_f64 v[4:5], v[30:31], v[26:27], -v[4:5]
	s_delay_alu instid0(VALU_DEP_2) | instskip(NEXT) | instid1(VALU_DEP_2)
	v_add_f64 v[6:7], v[48:49], v[6:7]
	v_add_f64 v[4:5], v[46:47], v[4:5]
	s_cbranch_scc0 .LBB252_2
.LBB252_3:
	s_clause 0x1
	s_load_b32 s3, s[0:1], 0x40
	s_load_b64 s[4:5], s[0:1], 0x48
	v_add_nc_u32_e32 v18, s13, v21
	v_add_nc_u32_e32 v16, s12, v20
	s_delay_alu instid0(VALU_DEP_1)
	v_cmp_le_i32_e64 s0, v18, v16
	v_cmp_gt_i32_e32 vcc_lo, s2, v16
	s_waitcnt lgkmcnt(0)
	v_mad_i64_i32 v[19:20], null, v18, s3, 0
	s_mul_i32 s1, s15, s5
	s_mul_hi_u32 s5, s15, s4
	s_mul_i32 s4, s15, s4
	s_add_i32 s5, s5, s1
	s_delay_alu instid0(SALU_CYCLE_1) | instskip(NEXT) | instid1(VALU_DEP_1)
	s_lshl_b64 s[4:5], s[4:5], 4
	v_lshlrev_b64 v[19:20], 4, v[19:20]
	s_add_u32 s4, s6, s4
	s_addc_u32 s5, s7, s5
	s_and_b32 s0, s0, vcc_lo
	s_delay_alu instid0(VALU_DEP_1) | instskip(NEXT) | instid1(VALU_DEP_1)
	v_add_co_u32 v19, s1, s4, v19
	v_add_co_ci_u32_e64 v20, s1, s5, v20, s1
	s_and_saveexec_b32 s1, s0
	s_cbranch_execz .LBB252_5
; %bb.4:
	v_ashrrev_i32_e32 v17, 31, v16
	v_xor_b32_e32 v13, 0x80000000, v13
	v_xor_b32_e32 v15, 0x80000000, v15
	s_delay_alu instid0(VALU_DEP_3) | instskip(NEXT) | instid1(VALU_DEP_1)
	v_lshlrev_b64 v[21:22], 4, v[16:17]
	v_add_co_u32 v21, s0, v19, v21
	s_delay_alu instid0(VALU_DEP_1)
	v_add_co_ci_u32_e64 v22, s0, v20, v22, s0
	global_store_b128 v[21:22], v[12:15], off
.LBB252_5:
	s_or_b32 exec_lo, exec_lo, s1
	v_add_nc_u32_e32 v12, 16, v16
	s_delay_alu instid0(VALU_DEP_1) | instskip(SKIP_1) | instid1(VALU_DEP_1)
	v_cmp_le_i32_e64 s1, v18, v12
	v_cmp_gt_i32_e64 s0, s2, v12
	s_and_b32 s1, s1, s0
	s_delay_alu instid0(SALU_CYCLE_1)
	s_and_saveexec_b32 s2, s1
	s_cbranch_execz .LBB252_7
; %bb.6:
	v_ashrrev_i32_e32 v13, 31, v12
	v_xor_b32_e32 v1, 0x80000000, v1
	v_xor_b32_e32 v3, 0x80000000, v3
	s_delay_alu instid0(VALU_DEP_3) | instskip(NEXT) | instid1(VALU_DEP_1)
	v_lshlrev_b64 v[13:14], 4, v[12:13]
	v_add_co_u32 v13, s1, v19, v13
	s_delay_alu instid0(VALU_DEP_1)
	v_add_co_ci_u32_e64 v14, s1, v20, v14, s1
	global_store_b128 v[13:14], v[0:3], off
.LBB252_7:
	s_or_b32 exec_lo, exec_lo, s2
	v_add_nc_u32_e32 v2, 16, v18
	s_delay_alu instid0(VALU_DEP_1) | instskip(SKIP_1) | instid1(VALU_DEP_2)
	v_mad_i64_i32 v[0:1], null, v2, s3, 0
	v_cmp_le_i32_e64 s1, v2, v16
	v_lshlrev_b64 v[0:1], 4, v[0:1]
	s_delay_alu instid0(VALU_DEP_1) | instskip(NEXT) | instid1(VALU_DEP_1)
	v_add_co_u32 v0, s2, s4, v0
	v_add_co_ci_u32_e64 v1, s2, s5, v1, s2
	s_delay_alu instid0(VALU_DEP_4) | instskip(NEXT) | instid1(SALU_CYCLE_1)
	s_and_b32 s2, s1, vcc_lo
	s_and_saveexec_b32 s1, s2
	s_cbranch_execz .LBB252_9
; %bb.8:
	v_ashrrev_i32_e32 v17, 31, v16
	v_xor_b32_e32 v9, 0x80000000, v9
	v_xor_b32_e32 v11, 0x80000000, v11
	s_delay_alu instid0(VALU_DEP_3) | instskip(NEXT) | instid1(VALU_DEP_1)
	v_lshlrev_b64 v[13:14], 4, v[16:17]
	v_add_co_u32 v13, vcc_lo, v0, v13
	s_delay_alu instid0(VALU_DEP_2)
	v_add_co_ci_u32_e32 v14, vcc_lo, v1, v14, vcc_lo
	global_store_b128 v[13:14], v[8:11], off
.LBB252_9:
	s_or_b32 exec_lo, exec_lo, s1
	v_cmp_le_i32_e32 vcc_lo, v2, v12
	s_and_b32 s0, vcc_lo, s0
	s_delay_alu instid0(SALU_CYCLE_1)
	s_and_saveexec_b32 s1, s0
	s_cbranch_execz .LBB252_11
; %bb.10:
	v_ashrrev_i32_e32 v13, 31, v12
	v_xor_b32_e32 v5, 0x80000000, v5
	v_xor_b32_e32 v7, 0x80000000, v7
	s_delay_alu instid0(VALU_DEP_3) | instskip(NEXT) | instid1(VALU_DEP_1)
	v_lshlrev_b64 v[2:3], 4, v[12:13]
	v_add_co_u32 v0, vcc_lo, v0, v2
	s_delay_alu instid0(VALU_DEP_2)
	v_add_co_ci_u32_e32 v1, vcc_lo, v1, v3, vcc_lo
	global_store_b128 v[0:1], v[4:7], off
.LBB252_11:
	s_nop 0
	s_sendmsg sendmsg(MSG_DEALLOC_VGPRS)
	s_endpgm
	.section	.rodata,"a",@progbits
	.p2align	6, 0x0
	.amdhsa_kernel _ZL37rocblas_syrkx_herkx_restricted_kernelIi19rocblas_complex_numIdELi16ELi32ELi8ELin1ELi0ELb0ELc67ELc76EKS1_S1_EviT_PT9_S3_lS5_S3_lPT10_S3_li
		.amdhsa_group_segment_fixed_size 8192
		.amdhsa_private_segment_fixed_size 0
		.amdhsa_kernarg_size 84
		.amdhsa_user_sgpr_count 13
		.amdhsa_user_sgpr_dispatch_ptr 0
		.amdhsa_user_sgpr_queue_ptr 0
		.amdhsa_user_sgpr_kernarg_segment_ptr 1
		.amdhsa_user_sgpr_dispatch_id 0
		.amdhsa_user_sgpr_private_segment_size 0
		.amdhsa_wavefront_size32 1
		.amdhsa_uses_dynamic_stack 0
		.amdhsa_enable_private_segment 0
		.amdhsa_system_sgpr_workgroup_id_x 1
		.amdhsa_system_sgpr_workgroup_id_y 1
		.amdhsa_system_sgpr_workgroup_id_z 1
		.amdhsa_system_sgpr_workgroup_info 0
		.amdhsa_system_vgpr_workitem_id 1
		.amdhsa_next_free_vgpr 52
		.amdhsa_next_free_sgpr 20
		.amdhsa_reserve_vcc 1
		.amdhsa_float_round_mode_32 0
		.amdhsa_float_round_mode_16_64 0
		.amdhsa_float_denorm_mode_32 3
		.amdhsa_float_denorm_mode_16_64 3
		.amdhsa_dx10_clamp 1
		.amdhsa_ieee_mode 1
		.amdhsa_fp16_overflow 0
		.amdhsa_workgroup_processor_mode 1
		.amdhsa_memory_ordered 1
		.amdhsa_forward_progress 0
		.amdhsa_shared_vgpr_count 0
		.amdhsa_exception_fp_ieee_invalid_op 0
		.amdhsa_exception_fp_denorm_src 0
		.amdhsa_exception_fp_ieee_div_zero 0
		.amdhsa_exception_fp_ieee_overflow 0
		.amdhsa_exception_fp_ieee_underflow 0
		.amdhsa_exception_fp_ieee_inexact 0
		.amdhsa_exception_int_div_zero 0
	.end_amdhsa_kernel
	.section	.text._ZL37rocblas_syrkx_herkx_restricted_kernelIi19rocblas_complex_numIdELi16ELi32ELi8ELin1ELi0ELb0ELc67ELc76EKS1_S1_EviT_PT9_S3_lS5_S3_lPT10_S3_li,"axG",@progbits,_ZL37rocblas_syrkx_herkx_restricted_kernelIi19rocblas_complex_numIdELi16ELi32ELi8ELin1ELi0ELb0ELc67ELc76EKS1_S1_EviT_PT9_S3_lS5_S3_lPT10_S3_li,comdat
.Lfunc_end252:
	.size	_ZL37rocblas_syrkx_herkx_restricted_kernelIi19rocblas_complex_numIdELi16ELi32ELi8ELin1ELi0ELb0ELc67ELc76EKS1_S1_EviT_PT9_S3_lS5_S3_lPT10_S3_li, .Lfunc_end252-_ZL37rocblas_syrkx_herkx_restricted_kernelIi19rocblas_complex_numIdELi16ELi32ELi8ELin1ELi0ELb0ELc67ELc76EKS1_S1_EviT_PT9_S3_lS5_S3_lPT10_S3_li
                                        ; -- End function
	.section	.AMDGPU.csdata,"",@progbits
; Kernel info:
; codeLenInByte = 3240
; NumSgprs: 22
; NumVgprs: 52
; ScratchSize: 0
; MemoryBound: 0
; FloatMode: 240
; IeeeMode: 1
; LDSByteSize: 8192 bytes/workgroup (compile time only)
; SGPRBlocks: 2
; VGPRBlocks: 6
; NumSGPRsForWavesPerEU: 22
; NumVGPRsForWavesPerEU: 52
; Occupancy: 16
; WaveLimiterHint : 0
; COMPUTE_PGM_RSRC2:SCRATCH_EN: 0
; COMPUTE_PGM_RSRC2:USER_SGPR: 13
; COMPUTE_PGM_RSRC2:TRAP_HANDLER: 0
; COMPUTE_PGM_RSRC2:TGID_X_EN: 1
; COMPUTE_PGM_RSRC2:TGID_Y_EN: 1
; COMPUTE_PGM_RSRC2:TGID_Z_EN: 1
; COMPUTE_PGM_RSRC2:TIDIG_COMP_CNT: 1
	.section	.text._ZL37rocblas_syrkx_herkx_restricted_kernelIi19rocblas_complex_numIdELi16ELi32ELi8ELin1ELi0ELb0ELc78ELc76EKS1_S1_EviT_PT9_S3_lS5_S3_lPT10_S3_li,"axG",@progbits,_ZL37rocblas_syrkx_herkx_restricted_kernelIi19rocblas_complex_numIdELi16ELi32ELi8ELin1ELi0ELb0ELc78ELc76EKS1_S1_EviT_PT9_S3_lS5_S3_lPT10_S3_li,comdat
	.globl	_ZL37rocblas_syrkx_herkx_restricted_kernelIi19rocblas_complex_numIdELi16ELi32ELi8ELin1ELi0ELb0ELc78ELc76EKS1_S1_EviT_PT9_S3_lS5_S3_lPT10_S3_li ; -- Begin function _ZL37rocblas_syrkx_herkx_restricted_kernelIi19rocblas_complex_numIdELi16ELi32ELi8ELin1ELi0ELb0ELc78ELc76EKS1_S1_EviT_PT9_S3_lS5_S3_lPT10_S3_li
	.p2align	8
	.type	_ZL37rocblas_syrkx_herkx_restricted_kernelIi19rocblas_complex_numIdELi16ELi32ELi8ELin1ELi0ELb0ELc78ELc76EKS1_S1_EviT_PT9_S3_lS5_S3_lPT10_S3_li,@function
_ZL37rocblas_syrkx_herkx_restricted_kernelIi19rocblas_complex_numIdELi16ELi32ELi8ELin1ELi0ELb0ELc78ELc76EKS1_S1_EviT_PT9_S3_lS5_S3_lPT10_S3_li: ; @_ZL37rocblas_syrkx_herkx_restricted_kernelIi19rocblas_complex_numIdELi16ELi32ELi8ELin1ELi0ELb0ELc78ELc76EKS1_S1_EviT_PT9_S3_lS5_S3_lPT10_S3_li
; %bb.0:
	s_clause 0x1
	s_load_b64 s[2:3], s[0:1], 0x0
	s_load_b128 s[4:7], s[0:1], 0x30
	v_mov_b32_e32 v12, 0
	v_dual_mov_b32 v13, 0 :: v_dual_and_b32 v20, 0x3ff, v0
	v_bfe_u32 v21, v0, 10, 10
	s_delay_alu instid0(VALU_DEP_3) | instskip(NEXT) | instid1(VALU_DEP_3)
	v_mov_b32_e32 v0, v12
	v_dual_mov_b32 v2, v12 :: v_dual_mov_b32 v3, v13
	v_dual_mov_b32 v15, v13 :: v_dual_mov_b32 v14, v12
	;; [unrolled: 1-line block ×6, first 2 shown]
	v_mov_b32_e32 v7, v13
	s_lshl_b32 s12, s13, 5
	s_lshl_b32 s13, s14, 5
	s_waitcnt lgkmcnt(0)
	s_cmp_lt_i32 s3, 1
	s_mov_b32 s14, 0
	s_cbranch_scc1 .LBB253_3
; %bb.1:
	s_clause 0x1
	s_load_b32 s16, s[0:1], 0x10
	s_load_b32 s18, s[0:1], 0x28
	v_lshl_add_u32 v0, v21, 4, v20
	v_and_b32_e32 v6, 7, v20
	s_clause 0x1
	s_load_b128 s[8:11], s[0:1], 0x18
	s_load_b64 s[20:21], s[0:1], 0x8
	s_mul_i32 s5, s5, s15
	v_lshrrev_b32_e32 v1, 3, v0
	v_and_b32_e32 v2, 31, v0
	v_lshrrev_b32_e32 v7, 5, v0
	v_lshlrev_b32_e32 v3, 4, v6
	v_lshl_add_u32 v25, v21, 7, 0x1000
	v_add_nc_u32_e32 v0, s13, v1
	v_lshlrev_b32_e32 v4, 4, v2
	v_add_nc_u32_e32 v2, s12, v2
	v_lshl_or_b32 v8, v1, 7, v3
	s_delay_alu instid0(VALU_DEP_4) | instskip(NEXT) | instid1(VALU_DEP_4)
	v_ashrrev_i32_e32 v1, 31, v0
	v_lshl_or_b32 v22, v7, 9, v4
	s_delay_alu instid0(VALU_DEP_4)
	v_ashrrev_i32_e32 v3, 31, v2
	s_waitcnt lgkmcnt(0)
	s_ashr_i32 s17, s16, 31
	s_ashr_i32 s19, s18, 31
	v_mad_i64_i32 v[4:5], null, s18, v6, v[0:1]
	v_mad_i64_i32 v[0:1], null, s16, v7, v[2:3]
	s_mul_i32 s9, s9, s15
	s_mul_hi_u32 s22, s8, s15
	s_mul_i32 s8, s8, s15
	s_add_i32 s9, s22, s9
	v_mov_b32_e32 v6, 0
	s_lshl_b64 s[8:9], s[8:9], 4
	s_delay_alu instid0(VALU_DEP_2)
	v_lshlrev_b64 v[0:1], 4, v[0:1]
	s_add_u32 s8, s20, s8
	s_addc_u32 s9, s21, s9
	s_mul_hi_u32 s20, s4, s15
	s_mul_i32 s4, s4, s15
	s_add_i32 s5, s20, s5
	v_add_co_u32 v2, vcc_lo, s8, v0
	v_add_co_ci_u32_e32 v3, vcc_lo, s9, v1, vcc_lo
	v_lshlrev_b64 v[0:1], 4, v[4:5]
	s_lshl_b64 s[8:9], s[4:5], 4
	s_lshl_b64 s[4:5], s[16:17], 7
	s_add_u32 s8, s10, s8
	s_addc_u32 s9, s11, s9
	v_mov_b32_e32 v7, 0
	v_add_co_u32 v0, vcc_lo, s8, v0
	v_add_co_ci_u32_e32 v1, vcc_lo, s9, v1, vcc_lo
	v_add_co_u32 v16, vcc_lo, v2, 8
	v_add_co_ci_u32_e32 v17, vcc_lo, 0, v3, vcc_lo
	s_delay_alu instid0(VALU_DEP_4)
	v_add_co_u32 v18, vcc_lo, v0, 8
	v_dual_mov_b32 v4, v6 :: v_dual_add_nc_u32 v23, 0x1000, v8
	v_mov_b32_e32 v9, v7
	v_add_co_ci_u32_e32 v19, vcc_lo, 0, v1, vcc_lo
	v_dual_mov_b32 v11, v7 :: v_dual_mov_b32 v8, v6
	v_dual_mov_b32 v15, v7 :: v_dual_mov_b32 v2, v6
	;; [unrolled: 1-line block ×3, first 2 shown]
	v_dual_mov_b32 v3, v7 :: v_dual_lshlrev_b32 v24, 4, v20
	v_dual_mov_b32 v5, v7 :: v_dual_mov_b32 v10, v6
	v_dual_mov_b32 v1, v7 :: v_dual_mov_b32 v14, v6
	v_mov_b32_e32 v12, v6
	s_lshl_b64 s[8:9], s[18:19], 7
.LBB253_2:                              ; =>This Inner Loop Header: Depth=1
	global_load_b128 v[26:29], v[16:17], off offset:-8
	v_add_co_u32 v16, vcc_lo, v16, s4
	v_add_co_ci_u32_e32 v17, vcc_lo, s5, v17, vcc_lo
	s_add_i32 s14, s14, 8
	s_delay_alu instid0(SALU_CYCLE_1)
	s_cmp_ge_i32 s14, s3
	s_waitcnt vmcnt(0)
	ds_store_b128 v22, v[26:29]
	global_load_b128 v[26:29], v[18:19], off offset:-8
	v_add_co_u32 v18, vcc_lo, v18, s8
	v_add_co_ci_u32_e32 v19, vcc_lo, s9, v19, vcc_lo
	s_waitcnt vmcnt(0)
	ds_store_b128 v23, v[26:29]
	s_waitcnt lgkmcnt(0)
	s_barrier
	buffer_gl0_inv
	ds_load_b128 v[26:29], v25
	ds_load_b128 v[30:33], v25 offset:16
	ds_load_b128 v[34:37], v25 offset:32
	;; [unrolled: 1-line block ×3, first 2 shown]
	ds_load_b128 v[42:45], v24
	s_waitcnt lgkmcnt(0)
	v_mul_f64 v[46:47], v[28:29], v[44:45]
	v_mul_f64 v[48:49], v[26:27], v[44:45]
	s_delay_alu instid0(VALU_DEP_2) | instskip(NEXT) | instid1(VALU_DEP_2)
	v_fma_f64 v[46:47], v[26:27], v[42:43], -v[46:47]
	v_fma_f64 v[48:49], v[28:29], v[42:43], v[48:49]
	s_delay_alu instid0(VALU_DEP_2) | instskip(NEXT) | instid1(VALU_DEP_2)
	v_add_f64 v[46:47], v[12:13], v[46:47]
	v_add_f64 v[48:49], v[14:15], v[48:49]
	ds_load_b128 v[12:15], v24 offset:256
	s_waitcnt lgkmcnt(0)
	v_mul_f64 v[50:51], v[28:29], v[14:15]
	s_delay_alu instid0(VALU_DEP_1) | instskip(SKIP_1) | instid1(VALU_DEP_1)
	v_fma_f64 v[50:51], v[26:27], v[12:13], -v[50:51]
	v_mul_f64 v[26:27], v[26:27], v[14:15]
	v_fma_f64 v[26:27], v[28:29], v[12:13], v[26:27]
	s_delay_alu instid0(VALU_DEP_3) | instskip(NEXT) | instid1(VALU_DEP_2)
	v_add_f64 v[28:29], v[0:1], v[50:51]
	v_add_f64 v[26:27], v[2:3], v[26:27]
	ds_load_b128 v[0:3], v25 offset:2048
	s_waitcnt lgkmcnt(0)
	v_mul_f64 v[50:51], v[2:3], v[44:45]
	v_mul_f64 v[44:45], v[0:1], v[44:45]
	s_delay_alu instid0(VALU_DEP_2) | instskip(NEXT) | instid1(VALU_DEP_2)
	v_fma_f64 v[50:51], v[0:1], v[42:43], -v[50:51]
	v_fma_f64 v[42:43], v[2:3], v[42:43], v[44:45]
	s_delay_alu instid0(VALU_DEP_2) | instskip(SKIP_1) | instid1(VALU_DEP_3)
	v_add_f64 v[44:45], v[8:9], v[50:51]
	v_mul_f64 v[8:9], v[2:3], v[14:15]
	v_add_f64 v[42:43], v[10:11], v[42:43]
	s_delay_alu instid0(VALU_DEP_2) | instskip(SKIP_1) | instid1(VALU_DEP_1)
	v_fma_f64 v[8:9], v[0:1], v[12:13], -v[8:9]
	v_mul_f64 v[0:1], v[0:1], v[14:15]
	v_fma_f64 v[0:1], v[2:3], v[12:13], v[0:1]
	s_delay_alu instid0(VALU_DEP_3) | instskip(NEXT) | instid1(VALU_DEP_2)
	v_add_f64 v[12:13], v[4:5], v[8:9]
	v_add_f64 v[14:15], v[6:7], v[0:1]
	ds_load_b128 v[0:3], v24 offset:512
	s_waitcnt lgkmcnt(0)
	v_mul_f64 v[4:5], v[32:33], v[2:3]
	v_mul_f64 v[6:7], v[30:31], v[2:3]
	s_delay_alu instid0(VALU_DEP_2) | instskip(NEXT) | instid1(VALU_DEP_2)
	v_fma_f64 v[4:5], v[30:31], v[0:1], -v[4:5]
	v_fma_f64 v[6:7], v[32:33], v[0:1], v[6:7]
	s_delay_alu instid0(VALU_DEP_2) | instskip(NEXT) | instid1(VALU_DEP_2)
	v_add_f64 v[46:47], v[46:47], v[4:5]
	v_add_f64 v[48:49], v[48:49], v[6:7]
	ds_load_b128 v[4:7], v24 offset:768
	s_waitcnt lgkmcnt(0)
	v_mul_f64 v[8:9], v[32:33], v[6:7]
	v_mul_f64 v[10:11], v[30:31], v[6:7]
	s_delay_alu instid0(VALU_DEP_2) | instskip(NEXT) | instid1(VALU_DEP_2)
	v_fma_f64 v[8:9], v[30:31], v[4:5], -v[8:9]
	v_fma_f64 v[10:11], v[32:33], v[4:5], v[10:11]
	s_delay_alu instid0(VALU_DEP_2) | instskip(NEXT) | instid1(VALU_DEP_2)
	v_add_f64 v[28:29], v[28:29], v[8:9]
	v_add_f64 v[26:27], v[26:27], v[10:11]
	ds_load_b128 v[8:11], v25 offset:2064
	s_waitcnt lgkmcnt(0)
	v_mul_f64 v[30:31], v[10:11], v[2:3]
	v_mul_f64 v[2:3], v[8:9], v[2:3]
	s_delay_alu instid0(VALU_DEP_2) | instskip(NEXT) | instid1(VALU_DEP_2)
	v_fma_f64 v[30:31], v[8:9], v[0:1], -v[30:31]
	v_fma_f64 v[0:1], v[10:11], v[0:1], v[2:3]
	v_mul_f64 v[2:3], v[8:9], v[6:7]
	s_delay_alu instid0(VALU_DEP_3) | instskip(NEXT) | instid1(VALU_DEP_3)
	v_add_f64 v[30:31], v[44:45], v[30:31]
	v_add_f64 v[32:33], v[42:43], v[0:1]
	v_mul_f64 v[0:1], v[10:11], v[6:7]
	s_delay_alu instid0(VALU_DEP_4) | instskip(NEXT) | instid1(VALU_DEP_2)
	v_fma_f64 v[2:3], v[10:11], v[4:5], v[2:3]
	v_fma_f64 v[0:1], v[8:9], v[4:5], -v[0:1]
	s_delay_alu instid0(VALU_DEP_2) | instskip(NEXT) | instid1(VALU_DEP_2)
	v_add_f64 v[14:15], v[14:15], v[2:3]
	v_add_f64 v[12:13], v[12:13], v[0:1]
	ds_load_b128 v[0:3], v24 offset:1024
	s_waitcnt lgkmcnt(0)
	v_mul_f64 v[4:5], v[36:37], v[2:3]
	v_mul_f64 v[6:7], v[34:35], v[2:3]
	s_delay_alu instid0(VALU_DEP_2) | instskip(NEXT) | instid1(VALU_DEP_2)
	v_fma_f64 v[4:5], v[34:35], v[0:1], -v[4:5]
	v_fma_f64 v[6:7], v[36:37], v[0:1], v[6:7]
	s_delay_alu instid0(VALU_DEP_2) | instskip(NEXT) | instid1(VALU_DEP_2)
	v_add_f64 v[42:43], v[46:47], v[4:5]
	v_add_f64 v[44:45], v[48:49], v[6:7]
	ds_load_b128 v[4:7], v24 offset:1280
	s_waitcnt lgkmcnt(0)
	v_mul_f64 v[8:9], v[36:37], v[6:7]
	v_mul_f64 v[10:11], v[34:35], v[6:7]
	s_delay_alu instid0(VALU_DEP_2) | instskip(NEXT) | instid1(VALU_DEP_2)
	v_fma_f64 v[8:9], v[34:35], v[4:5], -v[8:9]
	v_fma_f64 v[10:11], v[36:37], v[4:5], v[10:11]
	s_delay_alu instid0(VALU_DEP_2) | instskip(NEXT) | instid1(VALU_DEP_2)
	v_add_f64 v[28:29], v[28:29], v[8:9]
	v_add_f64 v[26:27], v[26:27], v[10:11]
	ds_load_b128 v[8:11], v25 offset:2080
	s_waitcnt lgkmcnt(0)
	v_mul_f64 v[34:35], v[10:11], v[2:3]
	v_mul_f64 v[2:3], v[8:9], v[2:3]
	s_delay_alu instid0(VALU_DEP_2) | instskip(NEXT) | instid1(VALU_DEP_2)
	v_fma_f64 v[34:35], v[8:9], v[0:1], -v[34:35]
	v_fma_f64 v[0:1], v[10:11], v[0:1], v[2:3]
	v_mul_f64 v[2:3], v[8:9], v[6:7]
	s_delay_alu instid0(VALU_DEP_3) | instskip(NEXT) | instid1(VALU_DEP_3)
	v_add_f64 v[30:31], v[30:31], v[34:35]
	v_add_f64 v[32:33], v[32:33], v[0:1]
	v_mul_f64 v[0:1], v[10:11], v[6:7]
	s_delay_alu instid0(VALU_DEP_4) | instskip(NEXT) | instid1(VALU_DEP_2)
	v_fma_f64 v[2:3], v[10:11], v[4:5], v[2:3]
	v_fma_f64 v[0:1], v[8:9], v[4:5], -v[0:1]
	s_delay_alu instid0(VALU_DEP_2) | instskip(NEXT) | instid1(VALU_DEP_2)
	;; [unrolled: 38-line block ×3, first 2 shown]
	v_add_f64 v[14:15], v[14:15], v[2:3]
	v_add_f64 v[12:13], v[12:13], v[0:1]
	ds_load_b128 v[0:3], v25 offset:64
	ds_load_b128 v[4:7], v24 offset:2048
	s_waitcnt lgkmcnt(0)
	v_mul_f64 v[8:9], v[2:3], v[6:7]
	v_mul_f64 v[10:11], v[0:1], v[6:7]
	s_delay_alu instid0(VALU_DEP_2) | instskip(NEXT) | instid1(VALU_DEP_2)
	v_fma_f64 v[8:9], v[0:1], v[4:5], -v[8:9]
	v_fma_f64 v[10:11], v[2:3], v[4:5], v[10:11]
	s_delay_alu instid0(VALU_DEP_2) | instskip(NEXT) | instid1(VALU_DEP_2)
	v_add_f64 v[34:35], v[34:35], v[8:9]
	v_add_f64 v[36:37], v[36:37], v[10:11]
	ds_load_b128 v[8:11], v24 offset:2304
	s_waitcnt lgkmcnt(0)
	v_mul_f64 v[38:39], v[2:3], v[10:11]
	s_delay_alu instid0(VALU_DEP_1) | instskip(SKIP_1) | instid1(VALU_DEP_2)
	v_fma_f64 v[38:39], v[0:1], v[8:9], -v[38:39]
	v_mul_f64 v[0:1], v[0:1], v[10:11]
	v_add_f64 v[28:29], v[28:29], v[38:39]
	s_delay_alu instid0(VALU_DEP_2) | instskip(NEXT) | instid1(VALU_DEP_1)
	v_fma_f64 v[0:1], v[2:3], v[8:9], v[0:1]
	v_add_f64 v[26:27], v[26:27], v[0:1]
	ds_load_b128 v[0:3], v25 offset:2112
	s_waitcnt lgkmcnt(0)
	v_mul_f64 v[38:39], v[2:3], v[6:7]
	v_mul_f64 v[6:7], v[0:1], v[6:7]
	s_delay_alu instid0(VALU_DEP_2) | instskip(NEXT) | instid1(VALU_DEP_2)
	v_fma_f64 v[38:39], v[0:1], v[4:5], -v[38:39]
	v_fma_f64 v[4:5], v[2:3], v[4:5], v[6:7]
	s_delay_alu instid0(VALU_DEP_2) | instskip(NEXT) | instid1(VALU_DEP_2)
	v_add_f64 v[30:31], v[30:31], v[38:39]
	v_add_f64 v[32:33], v[32:33], v[4:5]
	v_mul_f64 v[4:5], v[2:3], v[10:11]
	s_delay_alu instid0(VALU_DEP_1) | instskip(SKIP_1) | instid1(VALU_DEP_2)
	v_fma_f64 v[4:5], v[0:1], v[8:9], -v[4:5]
	v_mul_f64 v[0:1], v[0:1], v[10:11]
	v_add_f64 v[12:13], v[12:13], v[4:5]
	s_delay_alu instid0(VALU_DEP_2) | instskip(NEXT) | instid1(VALU_DEP_1)
	v_fma_f64 v[0:1], v[2:3], v[8:9], v[0:1]
	v_add_f64 v[14:15], v[14:15], v[0:1]
	ds_load_b128 v[0:3], v25 offset:80
	ds_load_b128 v[4:7], v24 offset:2560
	s_waitcnt lgkmcnt(0)
	v_mul_f64 v[8:9], v[2:3], v[6:7]
	v_mul_f64 v[10:11], v[0:1], v[6:7]
	s_delay_alu instid0(VALU_DEP_2) | instskip(NEXT) | instid1(VALU_DEP_2)
	v_fma_f64 v[8:9], v[0:1], v[4:5], -v[8:9]
	v_fma_f64 v[10:11], v[2:3], v[4:5], v[10:11]
	s_delay_alu instid0(VALU_DEP_2) | instskip(NEXT) | instid1(VALU_DEP_2)
	v_add_f64 v[34:35], v[34:35], v[8:9]
	v_add_f64 v[36:37], v[36:37], v[10:11]
	ds_load_b128 v[8:11], v24 offset:2816
	s_waitcnt lgkmcnt(0)
	v_mul_f64 v[38:39], v[2:3], v[10:11]
	s_delay_alu instid0(VALU_DEP_1) | instskip(SKIP_1) | instid1(VALU_DEP_2)
	v_fma_f64 v[38:39], v[0:1], v[8:9], -v[38:39]
	v_mul_f64 v[0:1], v[0:1], v[10:11]
	v_add_f64 v[28:29], v[28:29], v[38:39]
	s_delay_alu instid0(VALU_DEP_2) | instskip(NEXT) | instid1(VALU_DEP_1)
	v_fma_f64 v[0:1], v[2:3], v[8:9], v[0:1]
	v_add_f64 v[26:27], v[26:27], v[0:1]
	ds_load_b128 v[0:3], v25 offset:2128
	s_waitcnt lgkmcnt(0)
	v_mul_f64 v[38:39], v[2:3], v[6:7]
	v_mul_f64 v[6:7], v[0:1], v[6:7]
	s_delay_alu instid0(VALU_DEP_2) | instskip(NEXT) | instid1(VALU_DEP_2)
	v_fma_f64 v[38:39], v[0:1], v[4:5], -v[38:39]
	v_fma_f64 v[4:5], v[2:3], v[4:5], v[6:7]
	s_delay_alu instid0(VALU_DEP_2) | instskip(NEXT) | instid1(VALU_DEP_2)
	v_add_f64 v[30:31], v[30:31], v[38:39]
	v_add_f64 v[32:33], v[32:33], v[4:5]
	v_mul_f64 v[4:5], v[2:3], v[10:11]
	s_delay_alu instid0(VALU_DEP_1) | instskip(SKIP_1) | instid1(VALU_DEP_2)
	v_fma_f64 v[4:5], v[0:1], v[8:9], -v[4:5]
	v_mul_f64 v[0:1], v[0:1], v[10:11]
	v_add_f64 v[12:13], v[12:13], v[4:5]
	s_delay_alu instid0(VALU_DEP_2) | instskip(NEXT) | instid1(VALU_DEP_1)
	v_fma_f64 v[0:1], v[2:3], v[8:9], v[0:1]
	;; [unrolled: 39-line block ×3, first 2 shown]
	v_add_f64 v[48:49], v[14:15], v[0:1]
	ds_load_b128 v[0:3], v25 offset:112
	ds_load_b128 v[4:7], v24 offset:3584
	;; [unrolled: 1-line block ×4, first 2 shown]
	s_waitcnt lgkmcnt(0)
	s_barrier
	buffer_gl0_inv
	v_mul_f64 v[8:9], v[2:3], v[6:7]
	v_mul_f64 v[10:11], v[0:1], v[6:7]
	s_delay_alu instid0(VALU_DEP_2) | instskip(NEXT) | instid1(VALU_DEP_2)
	v_fma_f64 v[8:9], v[0:1], v[4:5], -v[8:9]
	v_fma_f64 v[10:11], v[2:3], v[4:5], v[10:11]
	s_delay_alu instid0(VALU_DEP_2) | instskip(SKIP_1) | instid1(VALU_DEP_3)
	v_add_f64 v[12:13], v[34:35], v[8:9]
	v_mul_f64 v[8:9], v[2:3], v[28:29]
	v_add_f64 v[14:15], v[36:37], v[10:11]
	s_delay_alu instid0(VALU_DEP_2) | instskip(SKIP_1) | instid1(VALU_DEP_1)
	v_fma_f64 v[8:9], v[0:1], v[26:27], -v[8:9]
	v_mul_f64 v[0:1], v[0:1], v[28:29]
	v_fma_f64 v[2:3], v[2:3], v[26:27], v[0:1]
	s_delay_alu instid0(VALU_DEP_3) | instskip(SKIP_2) | instid1(VALU_DEP_4)
	v_add_f64 v[0:1], v[38:39], v[8:9]
	v_mul_f64 v[8:9], v[32:33], v[6:7]
	v_mul_f64 v[6:7], v[30:31], v[6:7]
	v_add_f64 v[2:3], v[40:41], v[2:3]
	s_delay_alu instid0(VALU_DEP_3) | instskip(NEXT) | instid1(VALU_DEP_3)
	v_fma_f64 v[8:9], v[30:31], v[4:5], -v[8:9]
	v_fma_f64 v[4:5], v[32:33], v[4:5], v[6:7]
	v_mul_f64 v[6:7], v[30:31], v[28:29]
	s_delay_alu instid0(VALU_DEP_3) | instskip(NEXT) | instid1(VALU_DEP_3)
	v_add_f64 v[8:9], v[42:43], v[8:9]
	v_add_f64 v[10:11], v[44:45], v[4:5]
	v_mul_f64 v[4:5], v[32:33], v[28:29]
	s_delay_alu instid0(VALU_DEP_4) | instskip(NEXT) | instid1(VALU_DEP_2)
	v_fma_f64 v[6:7], v[32:33], v[26:27], v[6:7]
	v_fma_f64 v[4:5], v[30:31], v[26:27], -v[4:5]
	s_delay_alu instid0(VALU_DEP_2) | instskip(NEXT) | instid1(VALU_DEP_2)
	v_add_f64 v[6:7], v[48:49], v[6:7]
	v_add_f64 v[4:5], v[46:47], v[4:5]
	s_cbranch_scc0 .LBB253_2
.LBB253_3:
	s_clause 0x1
	s_load_b32 s3, s[0:1], 0x40
	s_load_b64 s[4:5], s[0:1], 0x48
	v_add_nc_u32_e32 v18, s13, v21
	v_add_nc_u32_e32 v16, s12, v20
	s_delay_alu instid0(VALU_DEP_1)
	v_cmp_le_i32_e64 s0, v18, v16
	v_cmp_gt_i32_e32 vcc_lo, s2, v16
	s_waitcnt lgkmcnt(0)
	v_mad_i64_i32 v[19:20], null, v18, s3, 0
	s_mul_i32 s1, s15, s5
	s_mul_hi_u32 s5, s15, s4
	s_mul_i32 s4, s15, s4
	s_add_i32 s5, s5, s1
	s_delay_alu instid0(SALU_CYCLE_1) | instskip(NEXT) | instid1(VALU_DEP_1)
	s_lshl_b64 s[4:5], s[4:5], 4
	v_lshlrev_b64 v[19:20], 4, v[19:20]
	s_add_u32 s4, s6, s4
	s_addc_u32 s5, s7, s5
	s_and_b32 s0, s0, vcc_lo
	s_delay_alu instid0(VALU_DEP_1) | instskip(NEXT) | instid1(VALU_DEP_1)
	v_add_co_u32 v19, s1, s4, v19
	v_add_co_ci_u32_e64 v20, s1, s5, v20, s1
	s_and_saveexec_b32 s1, s0
	s_cbranch_execz .LBB253_5
; %bb.4:
	v_ashrrev_i32_e32 v17, 31, v16
	v_xor_b32_e32 v13, 0x80000000, v13
	v_xor_b32_e32 v15, 0x80000000, v15
	s_delay_alu instid0(VALU_DEP_3) | instskip(NEXT) | instid1(VALU_DEP_1)
	v_lshlrev_b64 v[21:22], 4, v[16:17]
	v_add_co_u32 v21, s0, v19, v21
	s_delay_alu instid0(VALU_DEP_1)
	v_add_co_ci_u32_e64 v22, s0, v20, v22, s0
	global_store_b128 v[21:22], v[12:15], off
.LBB253_5:
	s_or_b32 exec_lo, exec_lo, s1
	v_add_nc_u32_e32 v12, 16, v16
	s_delay_alu instid0(VALU_DEP_1) | instskip(SKIP_1) | instid1(VALU_DEP_1)
	v_cmp_le_i32_e64 s1, v18, v12
	v_cmp_gt_i32_e64 s0, s2, v12
	s_and_b32 s1, s1, s0
	s_delay_alu instid0(SALU_CYCLE_1)
	s_and_saveexec_b32 s2, s1
	s_cbranch_execz .LBB253_7
; %bb.6:
	v_ashrrev_i32_e32 v13, 31, v12
	v_xor_b32_e32 v1, 0x80000000, v1
	v_xor_b32_e32 v3, 0x80000000, v3
	s_delay_alu instid0(VALU_DEP_3) | instskip(NEXT) | instid1(VALU_DEP_1)
	v_lshlrev_b64 v[13:14], 4, v[12:13]
	v_add_co_u32 v13, s1, v19, v13
	s_delay_alu instid0(VALU_DEP_1)
	v_add_co_ci_u32_e64 v14, s1, v20, v14, s1
	global_store_b128 v[13:14], v[0:3], off
.LBB253_7:
	s_or_b32 exec_lo, exec_lo, s2
	v_add_nc_u32_e32 v2, 16, v18
	s_delay_alu instid0(VALU_DEP_1) | instskip(SKIP_1) | instid1(VALU_DEP_2)
	v_mad_i64_i32 v[0:1], null, v2, s3, 0
	v_cmp_le_i32_e64 s1, v2, v16
	v_lshlrev_b64 v[0:1], 4, v[0:1]
	s_delay_alu instid0(VALU_DEP_1) | instskip(NEXT) | instid1(VALU_DEP_1)
	v_add_co_u32 v0, s2, s4, v0
	v_add_co_ci_u32_e64 v1, s2, s5, v1, s2
	s_delay_alu instid0(VALU_DEP_4) | instskip(NEXT) | instid1(SALU_CYCLE_1)
	s_and_b32 s2, s1, vcc_lo
	s_and_saveexec_b32 s1, s2
	s_cbranch_execz .LBB253_9
; %bb.8:
	v_ashrrev_i32_e32 v17, 31, v16
	v_xor_b32_e32 v9, 0x80000000, v9
	v_xor_b32_e32 v11, 0x80000000, v11
	s_delay_alu instid0(VALU_DEP_3) | instskip(NEXT) | instid1(VALU_DEP_1)
	v_lshlrev_b64 v[13:14], 4, v[16:17]
	v_add_co_u32 v13, vcc_lo, v0, v13
	s_delay_alu instid0(VALU_DEP_2)
	v_add_co_ci_u32_e32 v14, vcc_lo, v1, v14, vcc_lo
	global_store_b128 v[13:14], v[8:11], off
.LBB253_9:
	s_or_b32 exec_lo, exec_lo, s1
	v_cmp_le_i32_e32 vcc_lo, v2, v12
	s_and_b32 s0, vcc_lo, s0
	s_delay_alu instid0(SALU_CYCLE_1)
	s_and_saveexec_b32 s1, s0
	s_cbranch_execz .LBB253_11
; %bb.10:
	v_ashrrev_i32_e32 v13, 31, v12
	v_xor_b32_e32 v5, 0x80000000, v5
	v_xor_b32_e32 v7, 0x80000000, v7
	s_delay_alu instid0(VALU_DEP_3) | instskip(NEXT) | instid1(VALU_DEP_1)
	v_lshlrev_b64 v[2:3], 4, v[12:13]
	v_add_co_u32 v0, vcc_lo, v0, v2
	s_delay_alu instid0(VALU_DEP_2)
	v_add_co_ci_u32_e32 v1, vcc_lo, v1, v3, vcc_lo
	global_store_b128 v[0:1], v[4:7], off
.LBB253_11:
	s_nop 0
	s_sendmsg sendmsg(MSG_DEALLOC_VGPRS)
	s_endpgm
	.section	.rodata,"a",@progbits
	.p2align	6, 0x0
	.amdhsa_kernel _ZL37rocblas_syrkx_herkx_restricted_kernelIi19rocblas_complex_numIdELi16ELi32ELi8ELin1ELi0ELb0ELc78ELc76EKS1_S1_EviT_PT9_S3_lS5_S3_lPT10_S3_li
		.amdhsa_group_segment_fixed_size 8192
		.amdhsa_private_segment_fixed_size 0
		.amdhsa_kernarg_size 84
		.amdhsa_user_sgpr_count 13
		.amdhsa_user_sgpr_dispatch_ptr 0
		.amdhsa_user_sgpr_queue_ptr 0
		.amdhsa_user_sgpr_kernarg_segment_ptr 1
		.amdhsa_user_sgpr_dispatch_id 0
		.amdhsa_user_sgpr_private_segment_size 0
		.amdhsa_wavefront_size32 1
		.amdhsa_uses_dynamic_stack 0
		.amdhsa_enable_private_segment 0
		.amdhsa_system_sgpr_workgroup_id_x 1
		.amdhsa_system_sgpr_workgroup_id_y 1
		.amdhsa_system_sgpr_workgroup_id_z 1
		.amdhsa_system_sgpr_workgroup_info 0
		.amdhsa_system_vgpr_workitem_id 1
		.amdhsa_next_free_vgpr 52
		.amdhsa_next_free_sgpr 23
		.amdhsa_reserve_vcc 1
		.amdhsa_float_round_mode_32 0
		.amdhsa_float_round_mode_16_64 0
		.amdhsa_float_denorm_mode_32 3
		.amdhsa_float_denorm_mode_16_64 3
		.amdhsa_dx10_clamp 1
		.amdhsa_ieee_mode 1
		.amdhsa_fp16_overflow 0
		.amdhsa_workgroup_processor_mode 1
		.amdhsa_memory_ordered 1
		.amdhsa_forward_progress 0
		.amdhsa_shared_vgpr_count 0
		.amdhsa_exception_fp_ieee_invalid_op 0
		.amdhsa_exception_fp_denorm_src 0
		.amdhsa_exception_fp_ieee_div_zero 0
		.amdhsa_exception_fp_ieee_overflow 0
		.amdhsa_exception_fp_ieee_underflow 0
		.amdhsa_exception_fp_ieee_inexact 0
		.amdhsa_exception_int_div_zero 0
	.end_amdhsa_kernel
	.section	.text._ZL37rocblas_syrkx_herkx_restricted_kernelIi19rocblas_complex_numIdELi16ELi32ELi8ELin1ELi0ELb0ELc78ELc76EKS1_S1_EviT_PT9_S3_lS5_S3_lPT10_S3_li,"axG",@progbits,_ZL37rocblas_syrkx_herkx_restricted_kernelIi19rocblas_complex_numIdELi16ELi32ELi8ELin1ELi0ELb0ELc78ELc76EKS1_S1_EviT_PT9_S3_lS5_S3_lPT10_S3_li,comdat
.Lfunc_end253:
	.size	_ZL37rocblas_syrkx_herkx_restricted_kernelIi19rocblas_complex_numIdELi16ELi32ELi8ELin1ELi0ELb0ELc78ELc76EKS1_S1_EviT_PT9_S3_lS5_S3_lPT10_S3_li, .Lfunc_end253-_ZL37rocblas_syrkx_herkx_restricted_kernelIi19rocblas_complex_numIdELi16ELi32ELi8ELin1ELi0ELb0ELc78ELc76EKS1_S1_EviT_PT9_S3_lS5_S3_lPT10_S3_li
                                        ; -- End function
	.section	.AMDGPU.csdata,"",@progbits
; Kernel info:
; codeLenInByte = 3248
; NumSgprs: 25
; NumVgprs: 52
; ScratchSize: 0
; MemoryBound: 0
; FloatMode: 240
; IeeeMode: 1
; LDSByteSize: 8192 bytes/workgroup (compile time only)
; SGPRBlocks: 3
; VGPRBlocks: 6
; NumSGPRsForWavesPerEU: 25
; NumVGPRsForWavesPerEU: 52
; Occupancy: 16
; WaveLimiterHint : 0
; COMPUTE_PGM_RSRC2:SCRATCH_EN: 0
; COMPUTE_PGM_RSRC2:USER_SGPR: 13
; COMPUTE_PGM_RSRC2:TRAP_HANDLER: 0
; COMPUTE_PGM_RSRC2:TGID_X_EN: 1
; COMPUTE_PGM_RSRC2:TGID_Y_EN: 1
; COMPUTE_PGM_RSRC2:TGID_Z_EN: 1
; COMPUTE_PGM_RSRC2:TIDIG_COMP_CNT: 1
	.section	.text._ZL37rocblas_syrkx_herkx_restricted_kernelIi19rocblas_complex_numIdELi16ELi32ELi8ELin1ELi0ELb0ELc84ELc85EKS1_S1_EviT_PT9_S3_lS5_S3_lPT10_S3_li,"axG",@progbits,_ZL37rocblas_syrkx_herkx_restricted_kernelIi19rocblas_complex_numIdELi16ELi32ELi8ELin1ELi0ELb0ELc84ELc85EKS1_S1_EviT_PT9_S3_lS5_S3_lPT10_S3_li,comdat
	.globl	_ZL37rocblas_syrkx_herkx_restricted_kernelIi19rocblas_complex_numIdELi16ELi32ELi8ELin1ELi0ELb0ELc84ELc85EKS1_S1_EviT_PT9_S3_lS5_S3_lPT10_S3_li ; -- Begin function _ZL37rocblas_syrkx_herkx_restricted_kernelIi19rocblas_complex_numIdELi16ELi32ELi8ELin1ELi0ELb0ELc84ELc85EKS1_S1_EviT_PT9_S3_lS5_S3_lPT10_S3_li
	.p2align	8
	.type	_ZL37rocblas_syrkx_herkx_restricted_kernelIi19rocblas_complex_numIdELi16ELi32ELi8ELin1ELi0ELb0ELc84ELc85EKS1_S1_EviT_PT9_S3_lS5_S3_lPT10_S3_li,@function
_ZL37rocblas_syrkx_herkx_restricted_kernelIi19rocblas_complex_numIdELi16ELi32ELi8ELin1ELi0ELb0ELc84ELc85EKS1_S1_EviT_PT9_S3_lS5_S3_lPT10_S3_li: ; @_ZL37rocblas_syrkx_herkx_restricted_kernelIi19rocblas_complex_numIdELi16ELi32ELi8ELin1ELi0ELb0ELc84ELc85EKS1_S1_EviT_PT9_S3_lS5_S3_lPT10_S3_li
; %bb.0:
	s_clause 0x1
	s_load_b64 s[2:3], s[0:1], 0x0
	s_load_b128 s[4:7], s[0:1], 0x30
	v_mov_b32_e32 v12, 0
	v_dual_mov_b32 v13, 0 :: v_dual_and_b32 v20, 0x3ff, v0
	v_bfe_u32 v21, v0, 10, 10
	s_delay_alu instid0(VALU_DEP_3) | instskip(NEXT) | instid1(VALU_DEP_3)
	v_mov_b32_e32 v0, v12
	v_dual_mov_b32 v2, v12 :: v_dual_mov_b32 v3, v13
	v_dual_mov_b32 v15, v13 :: v_dual_mov_b32 v14, v12
	;; [unrolled: 1-line block ×6, first 2 shown]
	v_mov_b32_e32 v7, v13
	s_lshl_b32 s12, s13, 5
	s_lshl_b32 s13, s14, 5
	s_waitcnt lgkmcnt(0)
	s_cmp_lt_i32 s3, 1
	s_mov_b32 s14, 0
	s_cbranch_scc1 .LBB254_3
; %bb.1:
	s_clause 0x1
	s_load_b32 s18, s[0:1], 0x10
	s_load_b128 s[8:11], s[0:1], 0x18
	v_lshl_add_u32 v2, v21, 4, v20
	v_dual_mov_b32 v1, 0 :: v_dual_and_b32 v0, 7, v20
	s_clause 0x1
	s_load_b64 s[16:17], s[0:1], 0x8
	s_load_b32 s19, s[0:1], 0x28
	v_lshlrev_b32_e32 v22, 4, v20
	v_lshrrev_b32_e32 v4, 3, v2
	v_and_b32_e32 v5, 31, v2
	v_lshlrev_b32_e32 v3, 4, v0
	v_lshrrev_b32_e32 v2, 5, v2
	s_mul_i32 s5, s5, s15
	v_lshl_add_u32 v25, v21, 7, 0x1000
	v_lshlrev_b32_e32 v6, 4, v5
	v_lshl_or_b32 v7, v4, 7, v3
	v_mov_b32_e32 v3, v1
	s_delay_alu instid0(VALU_DEP_3) | instskip(NEXT) | instid1(VALU_DEP_3)
	v_lshl_or_b32 v23, v2, 9, v6
	v_add_nc_u32_e32 v24, 0x1000, v7
	v_mov_b32_e32 v6, 0
	v_dual_mov_b32 v7, 0 :: v_dual_add_nc_u32 v8, s12, v5
	v_add_nc_u32_e32 v9, s13, v4
	s_waitcnt lgkmcnt(0)
	s_mul_i32 s9, s9, s15
	s_delay_alu instid0(VALU_DEP_2)
	v_mad_i64_i32 v[4:5], null, s18, v8, v[2:3]
	v_mov_b32_e32 v11, v7
	s_mul_hi_u32 s18, s8, s15
	v_mov_b32_e32 v10, v6
	v_mad_i64_i32 v[2:3], null, s19, v9, v[0:1]
	s_mul_i32 s8, s8, s15
	s_add_i32 s9, s18, s9
	s_delay_alu instid0(VALU_DEP_4)
	v_lshlrev_b64 v[0:1], 4, v[4:5]
	s_lshl_b64 s[8:9], s[8:9], 4
	v_mov_b32_e32 v9, v7
	s_add_u32 s8, s16, s8
	s_mul_hi_u32 s16, s4, s15
	s_addc_u32 s9, s17, s9
	s_add_i32 s5, s16, s5
	s_mul_i32 s4, s4, s15
	v_lshlrev_b64 v[2:3], 4, v[2:3]
	s_lshl_b64 s[4:5], s[4:5], 4
	v_add_co_u32 v0, vcc_lo, s8, v0
	s_add_u32 s4, s10, s4
	v_add_co_ci_u32_e32 v1, vcc_lo, s9, v1, vcc_lo
	s_addc_u32 s5, s11, s5
	v_add_co_u32 v2, vcc_lo, s4, v2
	v_add_co_ci_u32_e32 v3, vcc_lo, s5, v3, vcc_lo
	v_add_co_u32 v16, vcc_lo, v0, 8
	v_add_co_ci_u32_e32 v17, vcc_lo, 0, v1, vcc_lo
	s_delay_alu instid0(VALU_DEP_4) | instskip(NEXT) | instid1(VALU_DEP_4)
	v_add_co_u32 v18, vcc_lo, v2, 8
	v_add_co_ci_u32_e32 v19, vcc_lo, 0, v3, vcc_lo
	v_mov_b32_e32 v2, v6
	v_dual_mov_b32 v4, v6 :: v_dual_mov_b32 v3, v7
	v_dual_mov_b32 v0, v6 :: v_dual_mov_b32 v15, v7
	;; [unrolled: 1-line block ×5, first 2 shown]
.LBB254_2:                              ; =>This Inner Loop Header: Depth=1
	global_load_b128 v[26:29], v[16:17], off offset:-8
	v_add_co_u32 v16, vcc_lo, 0x80, v16
	v_add_co_ci_u32_e32 v17, vcc_lo, 0, v17, vcc_lo
	s_add_i32 s14, s14, 8
	s_delay_alu instid0(SALU_CYCLE_1)
	s_cmp_ge_i32 s14, s3
	s_waitcnt vmcnt(0)
	ds_store_b128 v23, v[26:29]
	global_load_b128 v[26:29], v[18:19], off offset:-8
	v_add_co_u32 v18, vcc_lo, 0x80, v18
	v_add_co_ci_u32_e32 v19, vcc_lo, 0, v19, vcc_lo
	s_waitcnt vmcnt(0)
	ds_store_b128 v24, v[26:29]
	s_waitcnt lgkmcnt(0)
	s_barrier
	buffer_gl0_inv
	ds_load_b128 v[26:29], v25
	ds_load_b128 v[30:33], v25 offset:16
	ds_load_b128 v[34:37], v25 offset:32
	;; [unrolled: 1-line block ×3, first 2 shown]
	ds_load_b128 v[42:45], v22
	s_waitcnt lgkmcnt(0)
	v_mul_f64 v[46:47], v[28:29], v[44:45]
	v_mul_f64 v[48:49], v[26:27], v[44:45]
	s_delay_alu instid0(VALU_DEP_2) | instskip(NEXT) | instid1(VALU_DEP_2)
	v_fma_f64 v[46:47], v[26:27], v[42:43], -v[46:47]
	v_fma_f64 v[48:49], v[28:29], v[42:43], v[48:49]
	s_delay_alu instid0(VALU_DEP_2) | instskip(NEXT) | instid1(VALU_DEP_2)
	v_add_f64 v[46:47], v[12:13], v[46:47]
	v_add_f64 v[48:49], v[14:15], v[48:49]
	ds_load_b128 v[12:15], v22 offset:256
	s_waitcnt lgkmcnt(0)
	v_mul_f64 v[50:51], v[28:29], v[14:15]
	s_delay_alu instid0(VALU_DEP_1) | instskip(SKIP_1) | instid1(VALU_DEP_1)
	v_fma_f64 v[50:51], v[26:27], v[12:13], -v[50:51]
	v_mul_f64 v[26:27], v[26:27], v[14:15]
	v_fma_f64 v[26:27], v[28:29], v[12:13], v[26:27]
	s_delay_alu instid0(VALU_DEP_3) | instskip(NEXT) | instid1(VALU_DEP_2)
	v_add_f64 v[28:29], v[0:1], v[50:51]
	v_add_f64 v[26:27], v[2:3], v[26:27]
	ds_load_b128 v[0:3], v25 offset:2048
	s_waitcnt lgkmcnt(0)
	v_mul_f64 v[50:51], v[2:3], v[44:45]
	v_mul_f64 v[44:45], v[0:1], v[44:45]
	s_delay_alu instid0(VALU_DEP_2) | instskip(NEXT) | instid1(VALU_DEP_2)
	v_fma_f64 v[50:51], v[0:1], v[42:43], -v[50:51]
	v_fma_f64 v[42:43], v[2:3], v[42:43], v[44:45]
	s_delay_alu instid0(VALU_DEP_2) | instskip(SKIP_1) | instid1(VALU_DEP_3)
	v_add_f64 v[44:45], v[8:9], v[50:51]
	v_mul_f64 v[8:9], v[2:3], v[14:15]
	v_add_f64 v[42:43], v[10:11], v[42:43]
	s_delay_alu instid0(VALU_DEP_2) | instskip(SKIP_1) | instid1(VALU_DEP_1)
	v_fma_f64 v[8:9], v[0:1], v[12:13], -v[8:9]
	v_mul_f64 v[0:1], v[0:1], v[14:15]
	v_fma_f64 v[0:1], v[2:3], v[12:13], v[0:1]
	s_delay_alu instid0(VALU_DEP_3) | instskip(NEXT) | instid1(VALU_DEP_2)
	v_add_f64 v[12:13], v[4:5], v[8:9]
	v_add_f64 v[14:15], v[6:7], v[0:1]
	ds_load_b128 v[0:3], v22 offset:512
	s_waitcnt lgkmcnt(0)
	v_mul_f64 v[4:5], v[32:33], v[2:3]
	v_mul_f64 v[6:7], v[30:31], v[2:3]
	s_delay_alu instid0(VALU_DEP_2) | instskip(NEXT) | instid1(VALU_DEP_2)
	v_fma_f64 v[4:5], v[30:31], v[0:1], -v[4:5]
	v_fma_f64 v[6:7], v[32:33], v[0:1], v[6:7]
	s_delay_alu instid0(VALU_DEP_2) | instskip(NEXT) | instid1(VALU_DEP_2)
	v_add_f64 v[46:47], v[46:47], v[4:5]
	v_add_f64 v[48:49], v[48:49], v[6:7]
	ds_load_b128 v[4:7], v22 offset:768
	s_waitcnt lgkmcnt(0)
	v_mul_f64 v[8:9], v[32:33], v[6:7]
	v_mul_f64 v[10:11], v[30:31], v[6:7]
	s_delay_alu instid0(VALU_DEP_2) | instskip(NEXT) | instid1(VALU_DEP_2)
	v_fma_f64 v[8:9], v[30:31], v[4:5], -v[8:9]
	v_fma_f64 v[10:11], v[32:33], v[4:5], v[10:11]
	s_delay_alu instid0(VALU_DEP_2) | instskip(NEXT) | instid1(VALU_DEP_2)
	v_add_f64 v[28:29], v[28:29], v[8:9]
	v_add_f64 v[26:27], v[26:27], v[10:11]
	ds_load_b128 v[8:11], v25 offset:2064
	s_waitcnt lgkmcnt(0)
	v_mul_f64 v[30:31], v[10:11], v[2:3]
	v_mul_f64 v[2:3], v[8:9], v[2:3]
	s_delay_alu instid0(VALU_DEP_2) | instskip(NEXT) | instid1(VALU_DEP_2)
	v_fma_f64 v[30:31], v[8:9], v[0:1], -v[30:31]
	v_fma_f64 v[0:1], v[10:11], v[0:1], v[2:3]
	v_mul_f64 v[2:3], v[8:9], v[6:7]
	s_delay_alu instid0(VALU_DEP_3) | instskip(NEXT) | instid1(VALU_DEP_3)
	v_add_f64 v[30:31], v[44:45], v[30:31]
	v_add_f64 v[32:33], v[42:43], v[0:1]
	v_mul_f64 v[0:1], v[10:11], v[6:7]
	s_delay_alu instid0(VALU_DEP_4) | instskip(NEXT) | instid1(VALU_DEP_2)
	v_fma_f64 v[2:3], v[10:11], v[4:5], v[2:3]
	v_fma_f64 v[0:1], v[8:9], v[4:5], -v[0:1]
	s_delay_alu instid0(VALU_DEP_2) | instskip(NEXT) | instid1(VALU_DEP_2)
	v_add_f64 v[14:15], v[14:15], v[2:3]
	v_add_f64 v[12:13], v[12:13], v[0:1]
	ds_load_b128 v[0:3], v22 offset:1024
	s_waitcnt lgkmcnt(0)
	v_mul_f64 v[4:5], v[36:37], v[2:3]
	v_mul_f64 v[6:7], v[34:35], v[2:3]
	s_delay_alu instid0(VALU_DEP_2) | instskip(NEXT) | instid1(VALU_DEP_2)
	v_fma_f64 v[4:5], v[34:35], v[0:1], -v[4:5]
	v_fma_f64 v[6:7], v[36:37], v[0:1], v[6:7]
	s_delay_alu instid0(VALU_DEP_2) | instskip(NEXT) | instid1(VALU_DEP_2)
	v_add_f64 v[42:43], v[46:47], v[4:5]
	v_add_f64 v[44:45], v[48:49], v[6:7]
	ds_load_b128 v[4:7], v22 offset:1280
	s_waitcnt lgkmcnt(0)
	v_mul_f64 v[8:9], v[36:37], v[6:7]
	v_mul_f64 v[10:11], v[34:35], v[6:7]
	s_delay_alu instid0(VALU_DEP_2) | instskip(NEXT) | instid1(VALU_DEP_2)
	v_fma_f64 v[8:9], v[34:35], v[4:5], -v[8:9]
	v_fma_f64 v[10:11], v[36:37], v[4:5], v[10:11]
	s_delay_alu instid0(VALU_DEP_2) | instskip(NEXT) | instid1(VALU_DEP_2)
	v_add_f64 v[28:29], v[28:29], v[8:9]
	v_add_f64 v[26:27], v[26:27], v[10:11]
	ds_load_b128 v[8:11], v25 offset:2080
	s_waitcnt lgkmcnt(0)
	v_mul_f64 v[34:35], v[10:11], v[2:3]
	v_mul_f64 v[2:3], v[8:9], v[2:3]
	s_delay_alu instid0(VALU_DEP_2) | instskip(NEXT) | instid1(VALU_DEP_2)
	v_fma_f64 v[34:35], v[8:9], v[0:1], -v[34:35]
	v_fma_f64 v[0:1], v[10:11], v[0:1], v[2:3]
	v_mul_f64 v[2:3], v[8:9], v[6:7]
	s_delay_alu instid0(VALU_DEP_3) | instskip(NEXT) | instid1(VALU_DEP_3)
	v_add_f64 v[30:31], v[30:31], v[34:35]
	v_add_f64 v[32:33], v[32:33], v[0:1]
	v_mul_f64 v[0:1], v[10:11], v[6:7]
	s_delay_alu instid0(VALU_DEP_4) | instskip(NEXT) | instid1(VALU_DEP_2)
	v_fma_f64 v[2:3], v[10:11], v[4:5], v[2:3]
	v_fma_f64 v[0:1], v[8:9], v[4:5], -v[0:1]
	s_delay_alu instid0(VALU_DEP_2) | instskip(NEXT) | instid1(VALU_DEP_2)
	;; [unrolled: 38-line block ×3, first 2 shown]
	v_add_f64 v[14:15], v[14:15], v[2:3]
	v_add_f64 v[12:13], v[12:13], v[0:1]
	ds_load_b128 v[0:3], v25 offset:64
	ds_load_b128 v[4:7], v22 offset:2048
	s_waitcnt lgkmcnt(0)
	v_mul_f64 v[8:9], v[2:3], v[6:7]
	v_mul_f64 v[10:11], v[0:1], v[6:7]
	s_delay_alu instid0(VALU_DEP_2) | instskip(NEXT) | instid1(VALU_DEP_2)
	v_fma_f64 v[8:9], v[0:1], v[4:5], -v[8:9]
	v_fma_f64 v[10:11], v[2:3], v[4:5], v[10:11]
	s_delay_alu instid0(VALU_DEP_2) | instskip(NEXT) | instid1(VALU_DEP_2)
	v_add_f64 v[34:35], v[34:35], v[8:9]
	v_add_f64 v[36:37], v[36:37], v[10:11]
	ds_load_b128 v[8:11], v22 offset:2304
	s_waitcnt lgkmcnt(0)
	v_mul_f64 v[38:39], v[2:3], v[10:11]
	s_delay_alu instid0(VALU_DEP_1) | instskip(SKIP_1) | instid1(VALU_DEP_2)
	v_fma_f64 v[38:39], v[0:1], v[8:9], -v[38:39]
	v_mul_f64 v[0:1], v[0:1], v[10:11]
	v_add_f64 v[28:29], v[28:29], v[38:39]
	s_delay_alu instid0(VALU_DEP_2) | instskip(NEXT) | instid1(VALU_DEP_1)
	v_fma_f64 v[0:1], v[2:3], v[8:9], v[0:1]
	v_add_f64 v[26:27], v[26:27], v[0:1]
	ds_load_b128 v[0:3], v25 offset:2112
	s_waitcnt lgkmcnt(0)
	v_mul_f64 v[38:39], v[2:3], v[6:7]
	v_mul_f64 v[6:7], v[0:1], v[6:7]
	s_delay_alu instid0(VALU_DEP_2) | instskip(NEXT) | instid1(VALU_DEP_2)
	v_fma_f64 v[38:39], v[0:1], v[4:5], -v[38:39]
	v_fma_f64 v[4:5], v[2:3], v[4:5], v[6:7]
	s_delay_alu instid0(VALU_DEP_2) | instskip(NEXT) | instid1(VALU_DEP_2)
	v_add_f64 v[30:31], v[30:31], v[38:39]
	v_add_f64 v[32:33], v[32:33], v[4:5]
	v_mul_f64 v[4:5], v[2:3], v[10:11]
	s_delay_alu instid0(VALU_DEP_1) | instskip(SKIP_1) | instid1(VALU_DEP_2)
	v_fma_f64 v[4:5], v[0:1], v[8:9], -v[4:5]
	v_mul_f64 v[0:1], v[0:1], v[10:11]
	v_add_f64 v[12:13], v[12:13], v[4:5]
	s_delay_alu instid0(VALU_DEP_2) | instskip(NEXT) | instid1(VALU_DEP_1)
	v_fma_f64 v[0:1], v[2:3], v[8:9], v[0:1]
	v_add_f64 v[14:15], v[14:15], v[0:1]
	ds_load_b128 v[0:3], v25 offset:80
	ds_load_b128 v[4:7], v22 offset:2560
	s_waitcnt lgkmcnt(0)
	v_mul_f64 v[8:9], v[2:3], v[6:7]
	v_mul_f64 v[10:11], v[0:1], v[6:7]
	s_delay_alu instid0(VALU_DEP_2) | instskip(NEXT) | instid1(VALU_DEP_2)
	v_fma_f64 v[8:9], v[0:1], v[4:5], -v[8:9]
	v_fma_f64 v[10:11], v[2:3], v[4:5], v[10:11]
	s_delay_alu instid0(VALU_DEP_2) | instskip(NEXT) | instid1(VALU_DEP_2)
	v_add_f64 v[34:35], v[34:35], v[8:9]
	v_add_f64 v[36:37], v[36:37], v[10:11]
	ds_load_b128 v[8:11], v22 offset:2816
	s_waitcnt lgkmcnt(0)
	v_mul_f64 v[38:39], v[2:3], v[10:11]
	s_delay_alu instid0(VALU_DEP_1) | instskip(SKIP_1) | instid1(VALU_DEP_2)
	v_fma_f64 v[38:39], v[0:1], v[8:9], -v[38:39]
	v_mul_f64 v[0:1], v[0:1], v[10:11]
	v_add_f64 v[28:29], v[28:29], v[38:39]
	s_delay_alu instid0(VALU_DEP_2) | instskip(NEXT) | instid1(VALU_DEP_1)
	v_fma_f64 v[0:1], v[2:3], v[8:9], v[0:1]
	v_add_f64 v[26:27], v[26:27], v[0:1]
	ds_load_b128 v[0:3], v25 offset:2128
	s_waitcnt lgkmcnt(0)
	v_mul_f64 v[38:39], v[2:3], v[6:7]
	v_mul_f64 v[6:7], v[0:1], v[6:7]
	s_delay_alu instid0(VALU_DEP_2) | instskip(NEXT) | instid1(VALU_DEP_2)
	v_fma_f64 v[38:39], v[0:1], v[4:5], -v[38:39]
	v_fma_f64 v[4:5], v[2:3], v[4:5], v[6:7]
	s_delay_alu instid0(VALU_DEP_2) | instskip(NEXT) | instid1(VALU_DEP_2)
	v_add_f64 v[30:31], v[30:31], v[38:39]
	v_add_f64 v[32:33], v[32:33], v[4:5]
	v_mul_f64 v[4:5], v[2:3], v[10:11]
	s_delay_alu instid0(VALU_DEP_1) | instskip(SKIP_1) | instid1(VALU_DEP_2)
	v_fma_f64 v[4:5], v[0:1], v[8:9], -v[4:5]
	v_mul_f64 v[0:1], v[0:1], v[10:11]
	v_add_f64 v[12:13], v[12:13], v[4:5]
	s_delay_alu instid0(VALU_DEP_2) | instskip(NEXT) | instid1(VALU_DEP_1)
	v_fma_f64 v[0:1], v[2:3], v[8:9], v[0:1]
	v_add_f64 v[14:15], v[14:15], v[0:1]
	ds_load_b128 v[0:3], v25 offset:96
	ds_load_b128 v[4:7], v22 offset:3072
	s_waitcnt lgkmcnt(0)
	v_mul_f64 v[8:9], v[2:3], v[6:7]
	v_mul_f64 v[10:11], v[0:1], v[6:7]
	s_delay_alu instid0(VALU_DEP_2) | instskip(NEXT) | instid1(VALU_DEP_2)
	v_fma_f64 v[8:9], v[0:1], v[4:5], -v[8:9]
	v_fma_f64 v[10:11], v[2:3], v[4:5], v[10:11]
	s_delay_alu instid0(VALU_DEP_2) | instskip(NEXT) | instid1(VALU_DEP_2)
	v_add_f64 v[34:35], v[34:35], v[8:9]
	v_add_f64 v[36:37], v[36:37], v[10:11]
	ds_load_b128 v[8:11], v22 offset:3328
	s_waitcnt lgkmcnt(0)
	v_mul_f64 v[38:39], v[2:3], v[10:11]
	s_delay_alu instid0(VALU_DEP_1) | instskip(SKIP_1) | instid1(VALU_DEP_2)
	v_fma_f64 v[38:39], v[0:1], v[8:9], -v[38:39]
	v_mul_f64 v[0:1], v[0:1], v[10:11]
	v_add_f64 v[38:39], v[28:29], v[38:39]
	s_delay_alu instid0(VALU_DEP_2) | instskip(NEXT) | instid1(VALU_DEP_1)
	v_fma_f64 v[0:1], v[2:3], v[8:9], v[0:1]
	v_add_f64 v[40:41], v[26:27], v[0:1]
	ds_load_b128 v[0:3], v25 offset:2144
	s_waitcnt lgkmcnt(0)
	v_mul_f64 v[26:27], v[2:3], v[6:7]
	v_mul_f64 v[6:7], v[0:1], v[6:7]
	s_delay_alu instid0(VALU_DEP_2) | instskip(NEXT) | instid1(VALU_DEP_2)
	v_fma_f64 v[26:27], v[0:1], v[4:5], -v[26:27]
	v_fma_f64 v[4:5], v[2:3], v[4:5], v[6:7]
	s_delay_alu instid0(VALU_DEP_2) | instskip(NEXT) | instid1(VALU_DEP_2)
	v_add_f64 v[42:43], v[30:31], v[26:27]
	v_add_f64 v[44:45], v[32:33], v[4:5]
	v_mul_f64 v[4:5], v[2:3], v[10:11]
	s_delay_alu instid0(VALU_DEP_1) | instskip(SKIP_1) | instid1(VALU_DEP_2)
	v_fma_f64 v[4:5], v[0:1], v[8:9], -v[4:5]
	v_mul_f64 v[0:1], v[0:1], v[10:11]
	v_add_f64 v[46:47], v[12:13], v[4:5]
	s_delay_alu instid0(VALU_DEP_2) | instskip(NEXT) | instid1(VALU_DEP_1)
	v_fma_f64 v[0:1], v[2:3], v[8:9], v[0:1]
	v_add_f64 v[48:49], v[14:15], v[0:1]
	ds_load_b128 v[0:3], v25 offset:112
	ds_load_b128 v[4:7], v22 offset:3584
	;; [unrolled: 1-line block ×4, first 2 shown]
	s_waitcnt lgkmcnt(0)
	s_barrier
	buffer_gl0_inv
	v_mul_f64 v[8:9], v[2:3], v[6:7]
	v_mul_f64 v[10:11], v[0:1], v[6:7]
	s_delay_alu instid0(VALU_DEP_2) | instskip(NEXT) | instid1(VALU_DEP_2)
	v_fma_f64 v[8:9], v[0:1], v[4:5], -v[8:9]
	v_fma_f64 v[10:11], v[2:3], v[4:5], v[10:11]
	s_delay_alu instid0(VALU_DEP_2) | instskip(SKIP_1) | instid1(VALU_DEP_3)
	v_add_f64 v[12:13], v[34:35], v[8:9]
	v_mul_f64 v[8:9], v[2:3], v[28:29]
	v_add_f64 v[14:15], v[36:37], v[10:11]
	s_delay_alu instid0(VALU_DEP_2) | instskip(SKIP_1) | instid1(VALU_DEP_1)
	v_fma_f64 v[8:9], v[0:1], v[26:27], -v[8:9]
	v_mul_f64 v[0:1], v[0:1], v[28:29]
	v_fma_f64 v[2:3], v[2:3], v[26:27], v[0:1]
	s_delay_alu instid0(VALU_DEP_3) | instskip(SKIP_2) | instid1(VALU_DEP_4)
	v_add_f64 v[0:1], v[38:39], v[8:9]
	v_mul_f64 v[8:9], v[32:33], v[6:7]
	v_mul_f64 v[6:7], v[30:31], v[6:7]
	v_add_f64 v[2:3], v[40:41], v[2:3]
	s_delay_alu instid0(VALU_DEP_3) | instskip(NEXT) | instid1(VALU_DEP_3)
	v_fma_f64 v[8:9], v[30:31], v[4:5], -v[8:9]
	v_fma_f64 v[4:5], v[32:33], v[4:5], v[6:7]
	v_mul_f64 v[6:7], v[30:31], v[28:29]
	s_delay_alu instid0(VALU_DEP_3) | instskip(NEXT) | instid1(VALU_DEP_3)
	v_add_f64 v[8:9], v[42:43], v[8:9]
	v_add_f64 v[10:11], v[44:45], v[4:5]
	v_mul_f64 v[4:5], v[32:33], v[28:29]
	s_delay_alu instid0(VALU_DEP_4) | instskip(NEXT) | instid1(VALU_DEP_2)
	v_fma_f64 v[6:7], v[32:33], v[26:27], v[6:7]
	v_fma_f64 v[4:5], v[30:31], v[26:27], -v[4:5]
	s_delay_alu instid0(VALU_DEP_2) | instskip(NEXT) | instid1(VALU_DEP_2)
	v_add_f64 v[6:7], v[48:49], v[6:7]
	v_add_f64 v[4:5], v[46:47], v[4:5]
	s_cbranch_scc0 .LBB254_2
.LBB254_3:
	s_clause 0x1
	s_load_b32 s3, s[0:1], 0x40
	s_load_b64 s[0:1], s[0:1], 0x48
	v_add_nc_u32_e32 v18, s13, v21
	v_add_nc_u32_e32 v16, s12, v20
	s_delay_alu instid0(VALU_DEP_2)
	v_cmp_gt_i32_e32 vcc_lo, s2, v18
	s_waitcnt lgkmcnt(0)
	v_mad_i64_i32 v[21:22], null, v18, s3, 0
	s_mul_i32 s1, s15, s1
	s_mul_hi_u32 s4, s15, s0
	s_mul_i32 s0, s15, s0
	s_add_i32 s1, s4, s1
	s_delay_alu instid0(SALU_CYCLE_1) | instskip(NEXT) | instid1(VALU_DEP_1)
	s_lshl_b64 s[4:5], s[0:1], 4
	v_lshlrev_b64 v[19:20], 4, v[21:22]
	s_add_u32 s4, s6, s4
	v_cmp_le_i32_e64 s0, v16, v18
	s_addc_u32 s5, s7, s5
	s_delay_alu instid0(VALU_DEP_2) | instskip(NEXT) | instid1(VALU_DEP_1)
	v_add_co_u32 v19, s1, s4, v19
	v_add_co_ci_u32_e64 v20, s1, s5, v20, s1
	s_delay_alu instid0(VALU_DEP_3) | instskip(NEXT) | instid1(SALU_CYCLE_1)
	s_and_b32 s0, vcc_lo, s0
	s_and_saveexec_b32 s1, s0
	s_cbranch_execz .LBB254_5
; %bb.4:
	v_ashrrev_i32_e32 v17, 31, v16
	v_xor_b32_e32 v13, 0x80000000, v13
	v_xor_b32_e32 v15, 0x80000000, v15
	s_delay_alu instid0(VALU_DEP_3) | instskip(NEXT) | instid1(VALU_DEP_1)
	v_lshlrev_b64 v[21:22], 4, v[16:17]
	v_add_co_u32 v21, s0, v19, v21
	s_delay_alu instid0(VALU_DEP_1)
	v_add_co_ci_u32_e64 v22, s0, v20, v22, s0
	global_store_b128 v[21:22], v[12:15], off
.LBB254_5:
	s_or_b32 exec_lo, exec_lo, s1
	v_add_nc_u32_e32 v12, 16, v16
	s_delay_alu instid0(VALU_DEP_1) | instskip(NEXT) | instid1(VALU_DEP_1)
	v_cmp_le_i32_e64 s0, v12, v18
	s_and_b32 s1, vcc_lo, s0
	s_delay_alu instid0(SALU_CYCLE_1)
	s_and_saveexec_b32 s0, s1
	s_cbranch_execz .LBB254_7
; %bb.6:
	v_ashrrev_i32_e32 v13, 31, v12
	v_xor_b32_e32 v1, 0x80000000, v1
	v_xor_b32_e32 v3, 0x80000000, v3
	s_delay_alu instid0(VALU_DEP_3) | instskip(NEXT) | instid1(VALU_DEP_1)
	v_lshlrev_b64 v[13:14], 4, v[12:13]
	v_add_co_u32 v13, vcc_lo, v19, v13
	s_delay_alu instid0(VALU_DEP_2)
	v_add_co_ci_u32_e32 v14, vcc_lo, v20, v14, vcc_lo
	global_store_b128 v[13:14], v[0:3], off
.LBB254_7:
	s_or_b32 exec_lo, exec_lo, s0
	v_add_nc_u32_e32 v2, 16, v18
	s_delay_alu instid0(VALU_DEP_1) | instskip(SKIP_2) | instid1(VALU_DEP_1)
	v_mad_i64_i32 v[0:1], null, v2, s3, 0
	v_cmp_gt_i32_e32 vcc_lo, s2, v2
	v_cmp_le_i32_e64 s0, v16, v2
	s_and_b32 s0, vcc_lo, s0
	s_delay_alu instid0(VALU_DEP_3) | instskip(NEXT) | instid1(VALU_DEP_1)
	v_lshlrev_b64 v[0:1], 4, v[0:1]
	v_add_co_u32 v0, s1, s4, v0
	s_delay_alu instid0(VALU_DEP_1)
	v_add_co_ci_u32_e64 v1, s1, s5, v1, s1
	s_and_saveexec_b32 s1, s0
	s_cbranch_execz .LBB254_9
; %bb.8:
	v_ashrrev_i32_e32 v17, 31, v16
	v_xor_b32_e32 v9, 0x80000000, v9
	v_xor_b32_e32 v11, 0x80000000, v11
	s_delay_alu instid0(VALU_DEP_3) | instskip(NEXT) | instid1(VALU_DEP_1)
	v_lshlrev_b64 v[13:14], 4, v[16:17]
	v_add_co_u32 v13, s0, v0, v13
	s_delay_alu instid0(VALU_DEP_1)
	v_add_co_ci_u32_e64 v14, s0, v1, v14, s0
	global_store_b128 v[13:14], v[8:11], off
.LBB254_9:
	s_or_b32 exec_lo, exec_lo, s1
	v_cmp_le_i32_e64 s0, v12, v2
	s_delay_alu instid0(VALU_DEP_1) | instskip(NEXT) | instid1(SALU_CYCLE_1)
	s_and_b32 s0, vcc_lo, s0
	s_and_saveexec_b32 s1, s0
	s_cbranch_execz .LBB254_11
; %bb.10:
	v_ashrrev_i32_e32 v13, 31, v12
	v_xor_b32_e32 v5, 0x80000000, v5
	v_xor_b32_e32 v7, 0x80000000, v7
	s_delay_alu instid0(VALU_DEP_3) | instskip(NEXT) | instid1(VALU_DEP_1)
	v_lshlrev_b64 v[2:3], 4, v[12:13]
	v_add_co_u32 v0, vcc_lo, v0, v2
	s_delay_alu instid0(VALU_DEP_2)
	v_add_co_ci_u32_e32 v1, vcc_lo, v1, v3, vcc_lo
	global_store_b128 v[0:1], v[4:7], off
.LBB254_11:
	s_nop 0
	s_sendmsg sendmsg(MSG_DEALLOC_VGPRS)
	s_endpgm
	.section	.rodata,"a",@progbits
	.p2align	6, 0x0
	.amdhsa_kernel _ZL37rocblas_syrkx_herkx_restricted_kernelIi19rocblas_complex_numIdELi16ELi32ELi8ELin1ELi0ELb0ELc84ELc85EKS1_S1_EviT_PT9_S3_lS5_S3_lPT10_S3_li
		.amdhsa_group_segment_fixed_size 8192
		.amdhsa_private_segment_fixed_size 0
		.amdhsa_kernarg_size 84
		.amdhsa_user_sgpr_count 13
		.amdhsa_user_sgpr_dispatch_ptr 0
		.amdhsa_user_sgpr_queue_ptr 0
		.amdhsa_user_sgpr_kernarg_segment_ptr 1
		.amdhsa_user_sgpr_dispatch_id 0
		.amdhsa_user_sgpr_private_segment_size 0
		.amdhsa_wavefront_size32 1
		.amdhsa_uses_dynamic_stack 0
		.amdhsa_enable_private_segment 0
		.amdhsa_system_sgpr_workgroup_id_x 1
		.amdhsa_system_sgpr_workgroup_id_y 1
		.amdhsa_system_sgpr_workgroup_id_z 1
		.amdhsa_system_sgpr_workgroup_info 0
		.amdhsa_system_vgpr_workitem_id 1
		.amdhsa_next_free_vgpr 52
		.amdhsa_next_free_sgpr 20
		.amdhsa_reserve_vcc 1
		.amdhsa_float_round_mode_32 0
		.amdhsa_float_round_mode_16_64 0
		.amdhsa_float_denorm_mode_32 3
		.amdhsa_float_denorm_mode_16_64 3
		.amdhsa_dx10_clamp 1
		.amdhsa_ieee_mode 1
		.amdhsa_fp16_overflow 0
		.amdhsa_workgroup_processor_mode 1
		.amdhsa_memory_ordered 1
		.amdhsa_forward_progress 0
		.amdhsa_shared_vgpr_count 0
		.amdhsa_exception_fp_ieee_invalid_op 0
		.amdhsa_exception_fp_denorm_src 0
		.amdhsa_exception_fp_ieee_div_zero 0
		.amdhsa_exception_fp_ieee_overflow 0
		.amdhsa_exception_fp_ieee_underflow 0
		.amdhsa_exception_fp_ieee_inexact 0
		.amdhsa_exception_int_div_zero 0
	.end_amdhsa_kernel
	.section	.text._ZL37rocblas_syrkx_herkx_restricted_kernelIi19rocblas_complex_numIdELi16ELi32ELi8ELin1ELi0ELb0ELc84ELc85EKS1_S1_EviT_PT9_S3_lS5_S3_lPT10_S3_li,"axG",@progbits,_ZL37rocblas_syrkx_herkx_restricted_kernelIi19rocblas_complex_numIdELi16ELi32ELi8ELin1ELi0ELb0ELc84ELc85EKS1_S1_EviT_PT9_S3_lS5_S3_lPT10_S3_li,comdat
.Lfunc_end254:
	.size	_ZL37rocblas_syrkx_herkx_restricted_kernelIi19rocblas_complex_numIdELi16ELi32ELi8ELin1ELi0ELb0ELc84ELc85EKS1_S1_EviT_PT9_S3_lS5_S3_lPT10_S3_li, .Lfunc_end254-_ZL37rocblas_syrkx_herkx_restricted_kernelIi19rocblas_complex_numIdELi16ELi32ELi8ELin1ELi0ELb0ELc84ELc85EKS1_S1_EviT_PT9_S3_lS5_S3_lPT10_S3_li
                                        ; -- End function
	.section	.AMDGPU.csdata,"",@progbits
; Kernel info:
; codeLenInByte = 3244
; NumSgprs: 22
; NumVgprs: 52
; ScratchSize: 0
; MemoryBound: 0
; FloatMode: 240
; IeeeMode: 1
; LDSByteSize: 8192 bytes/workgroup (compile time only)
; SGPRBlocks: 2
; VGPRBlocks: 6
; NumSGPRsForWavesPerEU: 22
; NumVGPRsForWavesPerEU: 52
; Occupancy: 16
; WaveLimiterHint : 0
; COMPUTE_PGM_RSRC2:SCRATCH_EN: 0
; COMPUTE_PGM_RSRC2:USER_SGPR: 13
; COMPUTE_PGM_RSRC2:TRAP_HANDLER: 0
; COMPUTE_PGM_RSRC2:TGID_X_EN: 1
; COMPUTE_PGM_RSRC2:TGID_Y_EN: 1
; COMPUTE_PGM_RSRC2:TGID_Z_EN: 1
; COMPUTE_PGM_RSRC2:TIDIG_COMP_CNT: 1
	.section	.text._ZL37rocblas_syrkx_herkx_restricted_kernelIi19rocblas_complex_numIdELi16ELi32ELi8ELin1ELi0ELb0ELc67ELc85EKS1_S1_EviT_PT9_S3_lS5_S3_lPT10_S3_li,"axG",@progbits,_ZL37rocblas_syrkx_herkx_restricted_kernelIi19rocblas_complex_numIdELi16ELi32ELi8ELin1ELi0ELb0ELc67ELc85EKS1_S1_EviT_PT9_S3_lS5_S3_lPT10_S3_li,comdat
	.globl	_ZL37rocblas_syrkx_herkx_restricted_kernelIi19rocblas_complex_numIdELi16ELi32ELi8ELin1ELi0ELb0ELc67ELc85EKS1_S1_EviT_PT9_S3_lS5_S3_lPT10_S3_li ; -- Begin function _ZL37rocblas_syrkx_herkx_restricted_kernelIi19rocblas_complex_numIdELi16ELi32ELi8ELin1ELi0ELb0ELc67ELc85EKS1_S1_EviT_PT9_S3_lS5_S3_lPT10_S3_li
	.p2align	8
	.type	_ZL37rocblas_syrkx_herkx_restricted_kernelIi19rocblas_complex_numIdELi16ELi32ELi8ELin1ELi0ELb0ELc67ELc85EKS1_S1_EviT_PT9_S3_lS5_S3_lPT10_S3_li,@function
_ZL37rocblas_syrkx_herkx_restricted_kernelIi19rocblas_complex_numIdELi16ELi32ELi8ELin1ELi0ELb0ELc67ELc85EKS1_S1_EviT_PT9_S3_lS5_S3_lPT10_S3_li: ; @_ZL37rocblas_syrkx_herkx_restricted_kernelIi19rocblas_complex_numIdELi16ELi32ELi8ELin1ELi0ELb0ELc67ELc85EKS1_S1_EviT_PT9_S3_lS5_S3_lPT10_S3_li
; %bb.0:
	s_clause 0x1
	s_load_b64 s[2:3], s[0:1], 0x0
	s_load_b128 s[4:7], s[0:1], 0x30
	v_mov_b32_e32 v12, 0
	v_dual_mov_b32 v13, 0 :: v_dual_and_b32 v20, 0x3ff, v0
	v_bfe_u32 v21, v0, 10, 10
	s_delay_alu instid0(VALU_DEP_3) | instskip(NEXT) | instid1(VALU_DEP_3)
	v_mov_b32_e32 v0, v12
	v_dual_mov_b32 v2, v12 :: v_dual_mov_b32 v3, v13
	v_dual_mov_b32 v15, v13 :: v_dual_mov_b32 v14, v12
	;; [unrolled: 1-line block ×6, first 2 shown]
	v_mov_b32_e32 v7, v13
	s_lshl_b32 s12, s13, 5
	s_lshl_b32 s13, s14, 5
	s_waitcnt lgkmcnt(0)
	s_cmp_lt_i32 s3, 1
	s_mov_b32 s14, 0
	s_cbranch_scc1 .LBB255_3
; %bb.1:
	s_clause 0x1
	s_load_b32 s18, s[0:1], 0x10
	s_load_b128 s[8:11], s[0:1], 0x18
	v_lshl_add_u32 v2, v21, 4, v20
	v_dual_mov_b32 v1, 0 :: v_dual_and_b32 v0, 7, v20
	s_clause 0x1
	s_load_b64 s[16:17], s[0:1], 0x8
	s_load_b32 s19, s[0:1], 0x28
	v_lshlrev_b32_e32 v22, 4, v20
	v_lshrrev_b32_e32 v4, 3, v2
	v_and_b32_e32 v5, 31, v2
	v_lshlrev_b32_e32 v3, 4, v0
	v_lshrrev_b32_e32 v2, 5, v2
	s_mul_i32 s5, s5, s15
	v_lshl_add_u32 v25, v21, 7, 0x1000
	v_lshlrev_b32_e32 v6, 4, v5
	v_lshl_or_b32 v7, v4, 7, v3
	v_mov_b32_e32 v3, v1
	s_delay_alu instid0(VALU_DEP_3) | instskip(NEXT) | instid1(VALU_DEP_3)
	v_lshl_or_b32 v23, v2, 9, v6
	v_add_nc_u32_e32 v24, 0x1000, v7
	v_mov_b32_e32 v6, 0
	v_dual_mov_b32 v7, 0 :: v_dual_add_nc_u32 v8, s12, v5
	v_add_nc_u32_e32 v9, s13, v4
	s_waitcnt lgkmcnt(0)
	s_mul_i32 s9, s9, s15
	s_delay_alu instid0(VALU_DEP_2)
	v_mad_i64_i32 v[4:5], null, s18, v8, v[2:3]
	v_mov_b32_e32 v11, v7
	s_mul_hi_u32 s18, s8, s15
	v_mov_b32_e32 v10, v6
	v_mad_i64_i32 v[2:3], null, s19, v9, v[0:1]
	s_mul_i32 s8, s8, s15
	s_add_i32 s9, s18, s9
	s_delay_alu instid0(VALU_DEP_4)
	v_lshlrev_b64 v[0:1], 4, v[4:5]
	s_lshl_b64 s[8:9], s[8:9], 4
	v_mov_b32_e32 v9, v7
	s_add_u32 s8, s16, s8
	s_mul_hi_u32 s16, s4, s15
	s_addc_u32 s9, s17, s9
	s_add_i32 s5, s16, s5
	s_mul_i32 s4, s4, s15
	v_lshlrev_b64 v[2:3], 4, v[2:3]
	s_lshl_b64 s[4:5], s[4:5], 4
	v_add_co_u32 v0, vcc_lo, s8, v0
	s_add_u32 s4, s10, s4
	v_add_co_ci_u32_e32 v1, vcc_lo, s9, v1, vcc_lo
	s_addc_u32 s5, s11, s5
	v_add_co_u32 v2, vcc_lo, s4, v2
	v_add_co_ci_u32_e32 v3, vcc_lo, s5, v3, vcc_lo
	v_add_co_u32 v16, vcc_lo, v0, 8
	v_add_co_ci_u32_e32 v17, vcc_lo, 0, v1, vcc_lo
	s_delay_alu instid0(VALU_DEP_4) | instskip(NEXT) | instid1(VALU_DEP_4)
	v_add_co_u32 v18, vcc_lo, v2, 8
	v_add_co_ci_u32_e32 v19, vcc_lo, 0, v3, vcc_lo
	v_mov_b32_e32 v2, v6
	v_dual_mov_b32 v4, v6 :: v_dual_mov_b32 v3, v7
	v_dual_mov_b32 v0, v6 :: v_dual_mov_b32 v15, v7
	;; [unrolled: 1-line block ×5, first 2 shown]
.LBB255_2:                              ; =>This Inner Loop Header: Depth=1
	global_load_b128 v[26:29], v[16:17], off offset:-8
	v_add_co_u32 v16, vcc_lo, 0x80, v16
	v_add_co_ci_u32_e32 v17, vcc_lo, 0, v17, vcc_lo
	s_add_i32 s14, s14, 8
	s_delay_alu instid0(SALU_CYCLE_1)
	s_cmp_ge_i32 s14, s3
	s_waitcnt vmcnt(0)
	ds_store_b128 v23, v[26:29]
	global_load_b128 v[26:29], v[18:19], off offset:-8
	v_add_co_u32 v18, vcc_lo, 0x80, v18
	v_add_co_ci_u32_e32 v19, vcc_lo, 0, v19, vcc_lo
	s_waitcnt vmcnt(0)
	ds_store_b128 v24, v[26:29]
	s_waitcnt lgkmcnt(0)
	s_barrier
	buffer_gl0_inv
	ds_load_b128 v[26:29], v25
	ds_load_b128 v[30:33], v25 offset:16
	ds_load_b128 v[34:37], v25 offset:32
	;; [unrolled: 1-line block ×3, first 2 shown]
	ds_load_b128 v[42:45], v22
	s_waitcnt lgkmcnt(0)
	v_mul_f64 v[46:47], v[28:29], v[44:45]
	v_mul_f64 v[48:49], v[26:27], v[44:45]
	s_delay_alu instid0(VALU_DEP_2) | instskip(NEXT) | instid1(VALU_DEP_2)
	v_fma_f64 v[46:47], v[26:27], v[42:43], -v[46:47]
	v_fma_f64 v[48:49], v[28:29], v[42:43], v[48:49]
	s_delay_alu instid0(VALU_DEP_2) | instskip(NEXT) | instid1(VALU_DEP_2)
	v_add_f64 v[46:47], v[12:13], v[46:47]
	v_add_f64 v[48:49], v[14:15], v[48:49]
	ds_load_b128 v[12:15], v22 offset:256
	s_waitcnt lgkmcnt(0)
	v_mul_f64 v[50:51], v[28:29], v[14:15]
	s_delay_alu instid0(VALU_DEP_1) | instskip(SKIP_1) | instid1(VALU_DEP_1)
	v_fma_f64 v[50:51], v[26:27], v[12:13], -v[50:51]
	v_mul_f64 v[26:27], v[26:27], v[14:15]
	v_fma_f64 v[26:27], v[28:29], v[12:13], v[26:27]
	s_delay_alu instid0(VALU_DEP_3) | instskip(NEXT) | instid1(VALU_DEP_2)
	v_add_f64 v[28:29], v[0:1], v[50:51]
	v_add_f64 v[26:27], v[2:3], v[26:27]
	ds_load_b128 v[0:3], v25 offset:2048
	s_waitcnt lgkmcnt(0)
	v_mul_f64 v[50:51], v[2:3], v[44:45]
	v_mul_f64 v[44:45], v[0:1], v[44:45]
	s_delay_alu instid0(VALU_DEP_2) | instskip(NEXT) | instid1(VALU_DEP_2)
	v_fma_f64 v[50:51], v[0:1], v[42:43], -v[50:51]
	v_fma_f64 v[42:43], v[2:3], v[42:43], v[44:45]
	s_delay_alu instid0(VALU_DEP_2) | instskip(SKIP_1) | instid1(VALU_DEP_3)
	v_add_f64 v[44:45], v[8:9], v[50:51]
	v_mul_f64 v[8:9], v[2:3], v[14:15]
	v_add_f64 v[42:43], v[10:11], v[42:43]
	s_delay_alu instid0(VALU_DEP_2) | instskip(SKIP_1) | instid1(VALU_DEP_1)
	v_fma_f64 v[8:9], v[0:1], v[12:13], -v[8:9]
	v_mul_f64 v[0:1], v[0:1], v[14:15]
	v_fma_f64 v[0:1], v[2:3], v[12:13], v[0:1]
	s_delay_alu instid0(VALU_DEP_3) | instskip(NEXT) | instid1(VALU_DEP_2)
	v_add_f64 v[12:13], v[4:5], v[8:9]
	v_add_f64 v[14:15], v[6:7], v[0:1]
	ds_load_b128 v[0:3], v22 offset:512
	s_waitcnt lgkmcnt(0)
	v_mul_f64 v[4:5], v[32:33], v[2:3]
	v_mul_f64 v[6:7], v[30:31], v[2:3]
	s_delay_alu instid0(VALU_DEP_2) | instskip(NEXT) | instid1(VALU_DEP_2)
	v_fma_f64 v[4:5], v[30:31], v[0:1], -v[4:5]
	v_fma_f64 v[6:7], v[32:33], v[0:1], v[6:7]
	s_delay_alu instid0(VALU_DEP_2) | instskip(NEXT) | instid1(VALU_DEP_2)
	v_add_f64 v[46:47], v[46:47], v[4:5]
	v_add_f64 v[48:49], v[48:49], v[6:7]
	ds_load_b128 v[4:7], v22 offset:768
	s_waitcnt lgkmcnt(0)
	v_mul_f64 v[8:9], v[32:33], v[6:7]
	v_mul_f64 v[10:11], v[30:31], v[6:7]
	s_delay_alu instid0(VALU_DEP_2) | instskip(NEXT) | instid1(VALU_DEP_2)
	v_fma_f64 v[8:9], v[30:31], v[4:5], -v[8:9]
	v_fma_f64 v[10:11], v[32:33], v[4:5], v[10:11]
	s_delay_alu instid0(VALU_DEP_2) | instskip(NEXT) | instid1(VALU_DEP_2)
	v_add_f64 v[28:29], v[28:29], v[8:9]
	v_add_f64 v[26:27], v[26:27], v[10:11]
	ds_load_b128 v[8:11], v25 offset:2064
	s_waitcnt lgkmcnt(0)
	v_mul_f64 v[30:31], v[10:11], v[2:3]
	v_mul_f64 v[2:3], v[8:9], v[2:3]
	s_delay_alu instid0(VALU_DEP_2) | instskip(NEXT) | instid1(VALU_DEP_2)
	v_fma_f64 v[30:31], v[8:9], v[0:1], -v[30:31]
	v_fma_f64 v[0:1], v[10:11], v[0:1], v[2:3]
	v_mul_f64 v[2:3], v[8:9], v[6:7]
	s_delay_alu instid0(VALU_DEP_3) | instskip(NEXT) | instid1(VALU_DEP_3)
	v_add_f64 v[30:31], v[44:45], v[30:31]
	v_add_f64 v[32:33], v[42:43], v[0:1]
	v_mul_f64 v[0:1], v[10:11], v[6:7]
	s_delay_alu instid0(VALU_DEP_4) | instskip(NEXT) | instid1(VALU_DEP_2)
	v_fma_f64 v[2:3], v[10:11], v[4:5], v[2:3]
	v_fma_f64 v[0:1], v[8:9], v[4:5], -v[0:1]
	s_delay_alu instid0(VALU_DEP_2) | instskip(NEXT) | instid1(VALU_DEP_2)
	v_add_f64 v[14:15], v[14:15], v[2:3]
	v_add_f64 v[12:13], v[12:13], v[0:1]
	ds_load_b128 v[0:3], v22 offset:1024
	s_waitcnt lgkmcnt(0)
	v_mul_f64 v[4:5], v[36:37], v[2:3]
	v_mul_f64 v[6:7], v[34:35], v[2:3]
	s_delay_alu instid0(VALU_DEP_2) | instskip(NEXT) | instid1(VALU_DEP_2)
	v_fma_f64 v[4:5], v[34:35], v[0:1], -v[4:5]
	v_fma_f64 v[6:7], v[36:37], v[0:1], v[6:7]
	s_delay_alu instid0(VALU_DEP_2) | instskip(NEXT) | instid1(VALU_DEP_2)
	v_add_f64 v[42:43], v[46:47], v[4:5]
	v_add_f64 v[44:45], v[48:49], v[6:7]
	ds_load_b128 v[4:7], v22 offset:1280
	s_waitcnt lgkmcnt(0)
	v_mul_f64 v[8:9], v[36:37], v[6:7]
	v_mul_f64 v[10:11], v[34:35], v[6:7]
	s_delay_alu instid0(VALU_DEP_2) | instskip(NEXT) | instid1(VALU_DEP_2)
	v_fma_f64 v[8:9], v[34:35], v[4:5], -v[8:9]
	v_fma_f64 v[10:11], v[36:37], v[4:5], v[10:11]
	s_delay_alu instid0(VALU_DEP_2) | instskip(NEXT) | instid1(VALU_DEP_2)
	v_add_f64 v[28:29], v[28:29], v[8:9]
	v_add_f64 v[26:27], v[26:27], v[10:11]
	ds_load_b128 v[8:11], v25 offset:2080
	s_waitcnt lgkmcnt(0)
	v_mul_f64 v[34:35], v[10:11], v[2:3]
	v_mul_f64 v[2:3], v[8:9], v[2:3]
	s_delay_alu instid0(VALU_DEP_2) | instskip(NEXT) | instid1(VALU_DEP_2)
	v_fma_f64 v[34:35], v[8:9], v[0:1], -v[34:35]
	v_fma_f64 v[0:1], v[10:11], v[0:1], v[2:3]
	v_mul_f64 v[2:3], v[8:9], v[6:7]
	s_delay_alu instid0(VALU_DEP_3) | instskip(NEXT) | instid1(VALU_DEP_3)
	v_add_f64 v[30:31], v[30:31], v[34:35]
	v_add_f64 v[32:33], v[32:33], v[0:1]
	v_mul_f64 v[0:1], v[10:11], v[6:7]
	s_delay_alu instid0(VALU_DEP_4) | instskip(NEXT) | instid1(VALU_DEP_2)
	v_fma_f64 v[2:3], v[10:11], v[4:5], v[2:3]
	v_fma_f64 v[0:1], v[8:9], v[4:5], -v[0:1]
	s_delay_alu instid0(VALU_DEP_2) | instskip(NEXT) | instid1(VALU_DEP_2)
	;; [unrolled: 38-line block ×3, first 2 shown]
	v_add_f64 v[14:15], v[14:15], v[2:3]
	v_add_f64 v[12:13], v[12:13], v[0:1]
	ds_load_b128 v[0:3], v25 offset:64
	ds_load_b128 v[4:7], v22 offset:2048
	s_waitcnt lgkmcnt(0)
	v_mul_f64 v[8:9], v[2:3], v[6:7]
	v_mul_f64 v[10:11], v[0:1], v[6:7]
	s_delay_alu instid0(VALU_DEP_2) | instskip(NEXT) | instid1(VALU_DEP_2)
	v_fma_f64 v[8:9], v[0:1], v[4:5], -v[8:9]
	v_fma_f64 v[10:11], v[2:3], v[4:5], v[10:11]
	s_delay_alu instid0(VALU_DEP_2) | instskip(NEXT) | instid1(VALU_DEP_2)
	v_add_f64 v[34:35], v[34:35], v[8:9]
	v_add_f64 v[36:37], v[36:37], v[10:11]
	ds_load_b128 v[8:11], v22 offset:2304
	s_waitcnt lgkmcnt(0)
	v_mul_f64 v[38:39], v[2:3], v[10:11]
	s_delay_alu instid0(VALU_DEP_1) | instskip(SKIP_1) | instid1(VALU_DEP_2)
	v_fma_f64 v[38:39], v[0:1], v[8:9], -v[38:39]
	v_mul_f64 v[0:1], v[0:1], v[10:11]
	v_add_f64 v[28:29], v[28:29], v[38:39]
	s_delay_alu instid0(VALU_DEP_2) | instskip(NEXT) | instid1(VALU_DEP_1)
	v_fma_f64 v[0:1], v[2:3], v[8:9], v[0:1]
	v_add_f64 v[26:27], v[26:27], v[0:1]
	ds_load_b128 v[0:3], v25 offset:2112
	s_waitcnt lgkmcnt(0)
	v_mul_f64 v[38:39], v[2:3], v[6:7]
	v_mul_f64 v[6:7], v[0:1], v[6:7]
	s_delay_alu instid0(VALU_DEP_2) | instskip(NEXT) | instid1(VALU_DEP_2)
	v_fma_f64 v[38:39], v[0:1], v[4:5], -v[38:39]
	v_fma_f64 v[4:5], v[2:3], v[4:5], v[6:7]
	s_delay_alu instid0(VALU_DEP_2) | instskip(NEXT) | instid1(VALU_DEP_2)
	v_add_f64 v[30:31], v[30:31], v[38:39]
	v_add_f64 v[32:33], v[32:33], v[4:5]
	v_mul_f64 v[4:5], v[2:3], v[10:11]
	s_delay_alu instid0(VALU_DEP_1) | instskip(SKIP_1) | instid1(VALU_DEP_2)
	v_fma_f64 v[4:5], v[0:1], v[8:9], -v[4:5]
	v_mul_f64 v[0:1], v[0:1], v[10:11]
	v_add_f64 v[12:13], v[12:13], v[4:5]
	s_delay_alu instid0(VALU_DEP_2) | instskip(NEXT) | instid1(VALU_DEP_1)
	v_fma_f64 v[0:1], v[2:3], v[8:9], v[0:1]
	v_add_f64 v[14:15], v[14:15], v[0:1]
	ds_load_b128 v[0:3], v25 offset:80
	ds_load_b128 v[4:7], v22 offset:2560
	s_waitcnt lgkmcnt(0)
	v_mul_f64 v[8:9], v[2:3], v[6:7]
	v_mul_f64 v[10:11], v[0:1], v[6:7]
	s_delay_alu instid0(VALU_DEP_2) | instskip(NEXT) | instid1(VALU_DEP_2)
	v_fma_f64 v[8:9], v[0:1], v[4:5], -v[8:9]
	v_fma_f64 v[10:11], v[2:3], v[4:5], v[10:11]
	s_delay_alu instid0(VALU_DEP_2) | instskip(NEXT) | instid1(VALU_DEP_2)
	v_add_f64 v[34:35], v[34:35], v[8:9]
	v_add_f64 v[36:37], v[36:37], v[10:11]
	ds_load_b128 v[8:11], v22 offset:2816
	s_waitcnt lgkmcnt(0)
	v_mul_f64 v[38:39], v[2:3], v[10:11]
	s_delay_alu instid0(VALU_DEP_1) | instskip(SKIP_1) | instid1(VALU_DEP_2)
	v_fma_f64 v[38:39], v[0:1], v[8:9], -v[38:39]
	v_mul_f64 v[0:1], v[0:1], v[10:11]
	v_add_f64 v[28:29], v[28:29], v[38:39]
	s_delay_alu instid0(VALU_DEP_2) | instskip(NEXT) | instid1(VALU_DEP_1)
	v_fma_f64 v[0:1], v[2:3], v[8:9], v[0:1]
	v_add_f64 v[26:27], v[26:27], v[0:1]
	ds_load_b128 v[0:3], v25 offset:2128
	s_waitcnt lgkmcnt(0)
	v_mul_f64 v[38:39], v[2:3], v[6:7]
	v_mul_f64 v[6:7], v[0:1], v[6:7]
	s_delay_alu instid0(VALU_DEP_2) | instskip(NEXT) | instid1(VALU_DEP_2)
	v_fma_f64 v[38:39], v[0:1], v[4:5], -v[38:39]
	v_fma_f64 v[4:5], v[2:3], v[4:5], v[6:7]
	s_delay_alu instid0(VALU_DEP_2) | instskip(NEXT) | instid1(VALU_DEP_2)
	v_add_f64 v[30:31], v[30:31], v[38:39]
	v_add_f64 v[32:33], v[32:33], v[4:5]
	v_mul_f64 v[4:5], v[2:3], v[10:11]
	s_delay_alu instid0(VALU_DEP_1) | instskip(SKIP_1) | instid1(VALU_DEP_2)
	v_fma_f64 v[4:5], v[0:1], v[8:9], -v[4:5]
	v_mul_f64 v[0:1], v[0:1], v[10:11]
	v_add_f64 v[12:13], v[12:13], v[4:5]
	s_delay_alu instid0(VALU_DEP_2) | instskip(NEXT) | instid1(VALU_DEP_1)
	v_fma_f64 v[0:1], v[2:3], v[8:9], v[0:1]
	;; [unrolled: 39-line block ×3, first 2 shown]
	v_add_f64 v[48:49], v[14:15], v[0:1]
	ds_load_b128 v[0:3], v25 offset:112
	ds_load_b128 v[4:7], v22 offset:3584
	;; [unrolled: 1-line block ×4, first 2 shown]
	s_waitcnt lgkmcnt(0)
	s_barrier
	buffer_gl0_inv
	v_mul_f64 v[8:9], v[2:3], v[6:7]
	v_mul_f64 v[10:11], v[0:1], v[6:7]
	s_delay_alu instid0(VALU_DEP_2) | instskip(NEXT) | instid1(VALU_DEP_2)
	v_fma_f64 v[8:9], v[0:1], v[4:5], -v[8:9]
	v_fma_f64 v[10:11], v[2:3], v[4:5], v[10:11]
	s_delay_alu instid0(VALU_DEP_2) | instskip(SKIP_1) | instid1(VALU_DEP_3)
	v_add_f64 v[12:13], v[34:35], v[8:9]
	v_mul_f64 v[8:9], v[2:3], v[28:29]
	v_add_f64 v[14:15], v[36:37], v[10:11]
	s_delay_alu instid0(VALU_DEP_2) | instskip(SKIP_1) | instid1(VALU_DEP_1)
	v_fma_f64 v[8:9], v[0:1], v[26:27], -v[8:9]
	v_mul_f64 v[0:1], v[0:1], v[28:29]
	v_fma_f64 v[2:3], v[2:3], v[26:27], v[0:1]
	s_delay_alu instid0(VALU_DEP_3) | instskip(SKIP_2) | instid1(VALU_DEP_4)
	v_add_f64 v[0:1], v[38:39], v[8:9]
	v_mul_f64 v[8:9], v[32:33], v[6:7]
	v_mul_f64 v[6:7], v[30:31], v[6:7]
	v_add_f64 v[2:3], v[40:41], v[2:3]
	s_delay_alu instid0(VALU_DEP_3) | instskip(NEXT) | instid1(VALU_DEP_3)
	v_fma_f64 v[8:9], v[30:31], v[4:5], -v[8:9]
	v_fma_f64 v[4:5], v[32:33], v[4:5], v[6:7]
	v_mul_f64 v[6:7], v[30:31], v[28:29]
	s_delay_alu instid0(VALU_DEP_3) | instskip(NEXT) | instid1(VALU_DEP_3)
	v_add_f64 v[8:9], v[42:43], v[8:9]
	v_add_f64 v[10:11], v[44:45], v[4:5]
	v_mul_f64 v[4:5], v[32:33], v[28:29]
	s_delay_alu instid0(VALU_DEP_4) | instskip(NEXT) | instid1(VALU_DEP_2)
	v_fma_f64 v[6:7], v[32:33], v[26:27], v[6:7]
	v_fma_f64 v[4:5], v[30:31], v[26:27], -v[4:5]
	s_delay_alu instid0(VALU_DEP_2) | instskip(NEXT) | instid1(VALU_DEP_2)
	v_add_f64 v[6:7], v[48:49], v[6:7]
	v_add_f64 v[4:5], v[46:47], v[4:5]
	s_cbranch_scc0 .LBB255_2
.LBB255_3:
	s_clause 0x1
	s_load_b32 s3, s[0:1], 0x40
	s_load_b64 s[0:1], s[0:1], 0x48
	v_add_nc_u32_e32 v18, s13, v21
	v_add_nc_u32_e32 v16, s12, v20
	s_delay_alu instid0(VALU_DEP_2)
	v_cmp_gt_i32_e32 vcc_lo, s2, v18
	s_waitcnt lgkmcnt(0)
	v_mad_i64_i32 v[21:22], null, v18, s3, 0
	s_mul_i32 s1, s15, s1
	s_mul_hi_u32 s4, s15, s0
	s_mul_i32 s0, s15, s0
	s_add_i32 s1, s4, s1
	s_delay_alu instid0(SALU_CYCLE_1) | instskip(NEXT) | instid1(VALU_DEP_1)
	s_lshl_b64 s[4:5], s[0:1], 4
	v_lshlrev_b64 v[19:20], 4, v[21:22]
	s_add_u32 s4, s6, s4
	v_cmp_le_i32_e64 s0, v16, v18
	s_addc_u32 s5, s7, s5
	s_delay_alu instid0(VALU_DEP_2) | instskip(NEXT) | instid1(VALU_DEP_1)
	v_add_co_u32 v19, s1, s4, v19
	v_add_co_ci_u32_e64 v20, s1, s5, v20, s1
	s_delay_alu instid0(VALU_DEP_3) | instskip(NEXT) | instid1(SALU_CYCLE_1)
	s_and_b32 s0, vcc_lo, s0
	s_and_saveexec_b32 s1, s0
	s_cbranch_execz .LBB255_5
; %bb.4:
	v_ashrrev_i32_e32 v17, 31, v16
	v_xor_b32_e32 v13, 0x80000000, v13
	v_xor_b32_e32 v15, 0x80000000, v15
	s_delay_alu instid0(VALU_DEP_3) | instskip(NEXT) | instid1(VALU_DEP_1)
	v_lshlrev_b64 v[21:22], 4, v[16:17]
	v_add_co_u32 v21, s0, v19, v21
	s_delay_alu instid0(VALU_DEP_1)
	v_add_co_ci_u32_e64 v22, s0, v20, v22, s0
	global_store_b128 v[21:22], v[12:15], off
.LBB255_5:
	s_or_b32 exec_lo, exec_lo, s1
	v_add_nc_u32_e32 v12, 16, v16
	s_delay_alu instid0(VALU_DEP_1) | instskip(NEXT) | instid1(VALU_DEP_1)
	v_cmp_le_i32_e64 s0, v12, v18
	s_and_b32 s1, vcc_lo, s0
	s_delay_alu instid0(SALU_CYCLE_1)
	s_and_saveexec_b32 s0, s1
	s_cbranch_execz .LBB255_7
; %bb.6:
	v_ashrrev_i32_e32 v13, 31, v12
	v_xor_b32_e32 v1, 0x80000000, v1
	v_xor_b32_e32 v3, 0x80000000, v3
	s_delay_alu instid0(VALU_DEP_3) | instskip(NEXT) | instid1(VALU_DEP_1)
	v_lshlrev_b64 v[13:14], 4, v[12:13]
	v_add_co_u32 v13, vcc_lo, v19, v13
	s_delay_alu instid0(VALU_DEP_2)
	v_add_co_ci_u32_e32 v14, vcc_lo, v20, v14, vcc_lo
	global_store_b128 v[13:14], v[0:3], off
.LBB255_7:
	s_or_b32 exec_lo, exec_lo, s0
	v_add_nc_u32_e32 v2, 16, v18
	s_delay_alu instid0(VALU_DEP_1) | instskip(SKIP_2) | instid1(VALU_DEP_1)
	v_mad_i64_i32 v[0:1], null, v2, s3, 0
	v_cmp_gt_i32_e32 vcc_lo, s2, v2
	v_cmp_le_i32_e64 s0, v16, v2
	s_and_b32 s0, vcc_lo, s0
	s_delay_alu instid0(VALU_DEP_3) | instskip(NEXT) | instid1(VALU_DEP_1)
	v_lshlrev_b64 v[0:1], 4, v[0:1]
	v_add_co_u32 v0, s1, s4, v0
	s_delay_alu instid0(VALU_DEP_1)
	v_add_co_ci_u32_e64 v1, s1, s5, v1, s1
	s_and_saveexec_b32 s1, s0
	s_cbranch_execz .LBB255_9
; %bb.8:
	v_ashrrev_i32_e32 v17, 31, v16
	v_xor_b32_e32 v9, 0x80000000, v9
	v_xor_b32_e32 v11, 0x80000000, v11
	s_delay_alu instid0(VALU_DEP_3) | instskip(NEXT) | instid1(VALU_DEP_1)
	v_lshlrev_b64 v[13:14], 4, v[16:17]
	v_add_co_u32 v13, s0, v0, v13
	s_delay_alu instid0(VALU_DEP_1)
	v_add_co_ci_u32_e64 v14, s0, v1, v14, s0
	global_store_b128 v[13:14], v[8:11], off
.LBB255_9:
	s_or_b32 exec_lo, exec_lo, s1
	v_cmp_le_i32_e64 s0, v12, v2
	s_delay_alu instid0(VALU_DEP_1) | instskip(NEXT) | instid1(SALU_CYCLE_1)
	s_and_b32 s0, vcc_lo, s0
	s_and_saveexec_b32 s1, s0
	s_cbranch_execz .LBB255_11
; %bb.10:
	v_ashrrev_i32_e32 v13, 31, v12
	v_xor_b32_e32 v5, 0x80000000, v5
	v_xor_b32_e32 v7, 0x80000000, v7
	s_delay_alu instid0(VALU_DEP_3) | instskip(NEXT) | instid1(VALU_DEP_1)
	v_lshlrev_b64 v[2:3], 4, v[12:13]
	v_add_co_u32 v0, vcc_lo, v0, v2
	s_delay_alu instid0(VALU_DEP_2)
	v_add_co_ci_u32_e32 v1, vcc_lo, v1, v3, vcc_lo
	global_store_b128 v[0:1], v[4:7], off
.LBB255_11:
	s_nop 0
	s_sendmsg sendmsg(MSG_DEALLOC_VGPRS)
	s_endpgm
	.section	.rodata,"a",@progbits
	.p2align	6, 0x0
	.amdhsa_kernel _ZL37rocblas_syrkx_herkx_restricted_kernelIi19rocblas_complex_numIdELi16ELi32ELi8ELin1ELi0ELb0ELc67ELc85EKS1_S1_EviT_PT9_S3_lS5_S3_lPT10_S3_li
		.amdhsa_group_segment_fixed_size 8192
		.amdhsa_private_segment_fixed_size 0
		.amdhsa_kernarg_size 84
		.amdhsa_user_sgpr_count 13
		.amdhsa_user_sgpr_dispatch_ptr 0
		.amdhsa_user_sgpr_queue_ptr 0
		.amdhsa_user_sgpr_kernarg_segment_ptr 1
		.amdhsa_user_sgpr_dispatch_id 0
		.amdhsa_user_sgpr_private_segment_size 0
		.amdhsa_wavefront_size32 1
		.amdhsa_uses_dynamic_stack 0
		.amdhsa_enable_private_segment 0
		.amdhsa_system_sgpr_workgroup_id_x 1
		.amdhsa_system_sgpr_workgroup_id_y 1
		.amdhsa_system_sgpr_workgroup_id_z 1
		.amdhsa_system_sgpr_workgroup_info 0
		.amdhsa_system_vgpr_workitem_id 1
		.amdhsa_next_free_vgpr 52
		.amdhsa_next_free_sgpr 20
		.amdhsa_reserve_vcc 1
		.amdhsa_float_round_mode_32 0
		.amdhsa_float_round_mode_16_64 0
		.amdhsa_float_denorm_mode_32 3
		.amdhsa_float_denorm_mode_16_64 3
		.amdhsa_dx10_clamp 1
		.amdhsa_ieee_mode 1
		.amdhsa_fp16_overflow 0
		.amdhsa_workgroup_processor_mode 1
		.amdhsa_memory_ordered 1
		.amdhsa_forward_progress 0
		.amdhsa_shared_vgpr_count 0
		.amdhsa_exception_fp_ieee_invalid_op 0
		.amdhsa_exception_fp_denorm_src 0
		.amdhsa_exception_fp_ieee_div_zero 0
		.amdhsa_exception_fp_ieee_overflow 0
		.amdhsa_exception_fp_ieee_underflow 0
		.amdhsa_exception_fp_ieee_inexact 0
		.amdhsa_exception_int_div_zero 0
	.end_amdhsa_kernel
	.section	.text._ZL37rocblas_syrkx_herkx_restricted_kernelIi19rocblas_complex_numIdELi16ELi32ELi8ELin1ELi0ELb0ELc67ELc85EKS1_S1_EviT_PT9_S3_lS5_S3_lPT10_S3_li,"axG",@progbits,_ZL37rocblas_syrkx_herkx_restricted_kernelIi19rocblas_complex_numIdELi16ELi32ELi8ELin1ELi0ELb0ELc67ELc85EKS1_S1_EviT_PT9_S3_lS5_S3_lPT10_S3_li,comdat
.Lfunc_end255:
	.size	_ZL37rocblas_syrkx_herkx_restricted_kernelIi19rocblas_complex_numIdELi16ELi32ELi8ELin1ELi0ELb0ELc67ELc85EKS1_S1_EviT_PT9_S3_lS5_S3_lPT10_S3_li, .Lfunc_end255-_ZL37rocblas_syrkx_herkx_restricted_kernelIi19rocblas_complex_numIdELi16ELi32ELi8ELin1ELi0ELb0ELc67ELc85EKS1_S1_EviT_PT9_S3_lS5_S3_lPT10_S3_li
                                        ; -- End function
	.section	.AMDGPU.csdata,"",@progbits
; Kernel info:
; codeLenInByte = 3244
; NumSgprs: 22
; NumVgprs: 52
; ScratchSize: 0
; MemoryBound: 0
; FloatMode: 240
; IeeeMode: 1
; LDSByteSize: 8192 bytes/workgroup (compile time only)
; SGPRBlocks: 2
; VGPRBlocks: 6
; NumSGPRsForWavesPerEU: 22
; NumVGPRsForWavesPerEU: 52
; Occupancy: 16
; WaveLimiterHint : 0
; COMPUTE_PGM_RSRC2:SCRATCH_EN: 0
; COMPUTE_PGM_RSRC2:USER_SGPR: 13
; COMPUTE_PGM_RSRC2:TRAP_HANDLER: 0
; COMPUTE_PGM_RSRC2:TGID_X_EN: 1
; COMPUTE_PGM_RSRC2:TGID_Y_EN: 1
; COMPUTE_PGM_RSRC2:TGID_Z_EN: 1
; COMPUTE_PGM_RSRC2:TIDIG_COMP_CNT: 1
	.section	.text._ZL37rocblas_syrkx_herkx_restricted_kernelIi19rocblas_complex_numIdELi16ELi32ELi8ELin1ELi0ELb0ELc78ELc85EKS1_S1_EviT_PT9_S3_lS5_S3_lPT10_S3_li,"axG",@progbits,_ZL37rocblas_syrkx_herkx_restricted_kernelIi19rocblas_complex_numIdELi16ELi32ELi8ELin1ELi0ELb0ELc78ELc85EKS1_S1_EviT_PT9_S3_lS5_S3_lPT10_S3_li,comdat
	.globl	_ZL37rocblas_syrkx_herkx_restricted_kernelIi19rocblas_complex_numIdELi16ELi32ELi8ELin1ELi0ELb0ELc78ELc85EKS1_S1_EviT_PT9_S3_lS5_S3_lPT10_S3_li ; -- Begin function _ZL37rocblas_syrkx_herkx_restricted_kernelIi19rocblas_complex_numIdELi16ELi32ELi8ELin1ELi0ELb0ELc78ELc85EKS1_S1_EviT_PT9_S3_lS5_S3_lPT10_S3_li
	.p2align	8
	.type	_ZL37rocblas_syrkx_herkx_restricted_kernelIi19rocblas_complex_numIdELi16ELi32ELi8ELin1ELi0ELb0ELc78ELc85EKS1_S1_EviT_PT9_S3_lS5_S3_lPT10_S3_li,@function
_ZL37rocblas_syrkx_herkx_restricted_kernelIi19rocblas_complex_numIdELi16ELi32ELi8ELin1ELi0ELb0ELc78ELc85EKS1_S1_EviT_PT9_S3_lS5_S3_lPT10_S3_li: ; @_ZL37rocblas_syrkx_herkx_restricted_kernelIi19rocblas_complex_numIdELi16ELi32ELi8ELin1ELi0ELb0ELc78ELc85EKS1_S1_EviT_PT9_S3_lS5_S3_lPT10_S3_li
; %bb.0:
	s_clause 0x1
	s_load_b64 s[2:3], s[0:1], 0x0
	s_load_b128 s[4:7], s[0:1], 0x30
	v_mov_b32_e32 v12, 0
	v_dual_mov_b32 v13, 0 :: v_dual_and_b32 v20, 0x3ff, v0
	v_bfe_u32 v21, v0, 10, 10
	s_delay_alu instid0(VALU_DEP_3) | instskip(NEXT) | instid1(VALU_DEP_3)
	v_mov_b32_e32 v0, v12
	v_dual_mov_b32 v2, v12 :: v_dual_mov_b32 v3, v13
	v_dual_mov_b32 v15, v13 :: v_dual_mov_b32 v14, v12
	;; [unrolled: 1-line block ×6, first 2 shown]
	v_mov_b32_e32 v7, v13
	s_lshl_b32 s12, s13, 5
	s_lshl_b32 s13, s14, 5
	s_waitcnt lgkmcnt(0)
	s_cmp_lt_i32 s3, 1
	s_mov_b32 s14, 0
	s_cbranch_scc1 .LBB256_3
; %bb.1:
	s_clause 0x1
	s_load_b32 s16, s[0:1], 0x10
	s_load_b32 s18, s[0:1], 0x28
	v_lshl_add_u32 v0, v21, 4, v20
	v_and_b32_e32 v6, 7, v20
	s_clause 0x1
	s_load_b128 s[8:11], s[0:1], 0x18
	s_load_b64 s[20:21], s[0:1], 0x8
	s_mul_i32 s5, s5, s15
	v_lshrrev_b32_e32 v1, 3, v0
	v_and_b32_e32 v2, 31, v0
	v_lshrrev_b32_e32 v7, 5, v0
	v_lshlrev_b32_e32 v3, 4, v6
	v_lshl_add_u32 v25, v21, 7, 0x1000
	v_add_nc_u32_e32 v0, s13, v1
	v_lshlrev_b32_e32 v4, 4, v2
	v_add_nc_u32_e32 v2, s12, v2
	v_lshl_or_b32 v8, v1, 7, v3
	s_delay_alu instid0(VALU_DEP_4) | instskip(NEXT) | instid1(VALU_DEP_4)
	v_ashrrev_i32_e32 v1, 31, v0
	v_lshl_or_b32 v22, v7, 9, v4
	s_delay_alu instid0(VALU_DEP_4)
	v_ashrrev_i32_e32 v3, 31, v2
	s_waitcnt lgkmcnt(0)
	s_ashr_i32 s17, s16, 31
	s_ashr_i32 s19, s18, 31
	v_mad_i64_i32 v[4:5], null, s18, v6, v[0:1]
	v_mad_i64_i32 v[0:1], null, s16, v7, v[2:3]
	s_mul_i32 s9, s9, s15
	s_mul_hi_u32 s22, s8, s15
	s_mul_i32 s8, s8, s15
	s_add_i32 s9, s22, s9
	v_mov_b32_e32 v6, 0
	s_lshl_b64 s[8:9], s[8:9], 4
	s_delay_alu instid0(VALU_DEP_2)
	v_lshlrev_b64 v[0:1], 4, v[0:1]
	s_add_u32 s8, s20, s8
	s_addc_u32 s9, s21, s9
	s_mul_hi_u32 s20, s4, s15
	s_mul_i32 s4, s4, s15
	s_add_i32 s5, s20, s5
	v_add_co_u32 v2, vcc_lo, s8, v0
	v_add_co_ci_u32_e32 v3, vcc_lo, s9, v1, vcc_lo
	v_lshlrev_b64 v[0:1], 4, v[4:5]
	s_lshl_b64 s[8:9], s[4:5], 4
	s_lshl_b64 s[4:5], s[16:17], 7
	s_add_u32 s8, s10, s8
	s_addc_u32 s9, s11, s9
	v_mov_b32_e32 v7, 0
	v_add_co_u32 v0, vcc_lo, s8, v0
	v_add_co_ci_u32_e32 v1, vcc_lo, s9, v1, vcc_lo
	v_add_co_u32 v16, vcc_lo, v2, 8
	v_add_co_ci_u32_e32 v17, vcc_lo, 0, v3, vcc_lo
	s_delay_alu instid0(VALU_DEP_4)
	v_add_co_u32 v18, vcc_lo, v0, 8
	v_dual_mov_b32 v4, v6 :: v_dual_add_nc_u32 v23, 0x1000, v8
	v_mov_b32_e32 v9, v7
	v_add_co_ci_u32_e32 v19, vcc_lo, 0, v1, vcc_lo
	v_dual_mov_b32 v11, v7 :: v_dual_mov_b32 v8, v6
	v_dual_mov_b32 v15, v7 :: v_dual_mov_b32 v2, v6
	;; [unrolled: 1-line block ×3, first 2 shown]
	v_dual_mov_b32 v3, v7 :: v_dual_lshlrev_b32 v24, 4, v20
	v_dual_mov_b32 v5, v7 :: v_dual_mov_b32 v10, v6
	v_dual_mov_b32 v1, v7 :: v_dual_mov_b32 v14, v6
	v_mov_b32_e32 v12, v6
	s_lshl_b64 s[8:9], s[18:19], 7
.LBB256_2:                              ; =>This Inner Loop Header: Depth=1
	global_load_b128 v[26:29], v[16:17], off offset:-8
	v_add_co_u32 v16, vcc_lo, v16, s4
	v_add_co_ci_u32_e32 v17, vcc_lo, s5, v17, vcc_lo
	s_add_i32 s14, s14, 8
	s_delay_alu instid0(SALU_CYCLE_1)
	s_cmp_ge_i32 s14, s3
	s_waitcnt vmcnt(0)
	ds_store_b128 v22, v[26:29]
	global_load_b128 v[26:29], v[18:19], off offset:-8
	v_add_co_u32 v18, vcc_lo, v18, s8
	v_add_co_ci_u32_e32 v19, vcc_lo, s9, v19, vcc_lo
	s_waitcnt vmcnt(0)
	ds_store_b128 v23, v[26:29]
	s_waitcnt lgkmcnt(0)
	s_barrier
	buffer_gl0_inv
	ds_load_b128 v[26:29], v25
	ds_load_b128 v[30:33], v25 offset:16
	ds_load_b128 v[34:37], v25 offset:32
	;; [unrolled: 1-line block ×3, first 2 shown]
	ds_load_b128 v[42:45], v24
	s_waitcnt lgkmcnt(0)
	v_mul_f64 v[46:47], v[28:29], v[44:45]
	v_mul_f64 v[48:49], v[26:27], v[44:45]
	s_delay_alu instid0(VALU_DEP_2) | instskip(NEXT) | instid1(VALU_DEP_2)
	v_fma_f64 v[46:47], v[26:27], v[42:43], -v[46:47]
	v_fma_f64 v[48:49], v[28:29], v[42:43], v[48:49]
	s_delay_alu instid0(VALU_DEP_2) | instskip(NEXT) | instid1(VALU_DEP_2)
	v_add_f64 v[46:47], v[12:13], v[46:47]
	v_add_f64 v[48:49], v[14:15], v[48:49]
	ds_load_b128 v[12:15], v24 offset:256
	s_waitcnt lgkmcnt(0)
	v_mul_f64 v[50:51], v[28:29], v[14:15]
	s_delay_alu instid0(VALU_DEP_1) | instskip(SKIP_1) | instid1(VALU_DEP_1)
	v_fma_f64 v[50:51], v[26:27], v[12:13], -v[50:51]
	v_mul_f64 v[26:27], v[26:27], v[14:15]
	v_fma_f64 v[26:27], v[28:29], v[12:13], v[26:27]
	s_delay_alu instid0(VALU_DEP_3) | instskip(NEXT) | instid1(VALU_DEP_2)
	v_add_f64 v[28:29], v[0:1], v[50:51]
	v_add_f64 v[26:27], v[2:3], v[26:27]
	ds_load_b128 v[0:3], v25 offset:2048
	s_waitcnt lgkmcnt(0)
	v_mul_f64 v[50:51], v[2:3], v[44:45]
	v_mul_f64 v[44:45], v[0:1], v[44:45]
	s_delay_alu instid0(VALU_DEP_2) | instskip(NEXT) | instid1(VALU_DEP_2)
	v_fma_f64 v[50:51], v[0:1], v[42:43], -v[50:51]
	v_fma_f64 v[42:43], v[2:3], v[42:43], v[44:45]
	s_delay_alu instid0(VALU_DEP_2) | instskip(SKIP_1) | instid1(VALU_DEP_3)
	v_add_f64 v[44:45], v[8:9], v[50:51]
	v_mul_f64 v[8:9], v[2:3], v[14:15]
	v_add_f64 v[42:43], v[10:11], v[42:43]
	s_delay_alu instid0(VALU_DEP_2) | instskip(SKIP_1) | instid1(VALU_DEP_1)
	v_fma_f64 v[8:9], v[0:1], v[12:13], -v[8:9]
	v_mul_f64 v[0:1], v[0:1], v[14:15]
	v_fma_f64 v[0:1], v[2:3], v[12:13], v[0:1]
	s_delay_alu instid0(VALU_DEP_3) | instskip(NEXT) | instid1(VALU_DEP_2)
	v_add_f64 v[12:13], v[4:5], v[8:9]
	v_add_f64 v[14:15], v[6:7], v[0:1]
	ds_load_b128 v[0:3], v24 offset:512
	s_waitcnt lgkmcnt(0)
	v_mul_f64 v[4:5], v[32:33], v[2:3]
	v_mul_f64 v[6:7], v[30:31], v[2:3]
	s_delay_alu instid0(VALU_DEP_2) | instskip(NEXT) | instid1(VALU_DEP_2)
	v_fma_f64 v[4:5], v[30:31], v[0:1], -v[4:5]
	v_fma_f64 v[6:7], v[32:33], v[0:1], v[6:7]
	s_delay_alu instid0(VALU_DEP_2) | instskip(NEXT) | instid1(VALU_DEP_2)
	v_add_f64 v[46:47], v[46:47], v[4:5]
	v_add_f64 v[48:49], v[48:49], v[6:7]
	ds_load_b128 v[4:7], v24 offset:768
	s_waitcnt lgkmcnt(0)
	v_mul_f64 v[8:9], v[32:33], v[6:7]
	v_mul_f64 v[10:11], v[30:31], v[6:7]
	s_delay_alu instid0(VALU_DEP_2) | instskip(NEXT) | instid1(VALU_DEP_2)
	v_fma_f64 v[8:9], v[30:31], v[4:5], -v[8:9]
	v_fma_f64 v[10:11], v[32:33], v[4:5], v[10:11]
	s_delay_alu instid0(VALU_DEP_2) | instskip(NEXT) | instid1(VALU_DEP_2)
	v_add_f64 v[28:29], v[28:29], v[8:9]
	v_add_f64 v[26:27], v[26:27], v[10:11]
	ds_load_b128 v[8:11], v25 offset:2064
	s_waitcnt lgkmcnt(0)
	v_mul_f64 v[30:31], v[10:11], v[2:3]
	v_mul_f64 v[2:3], v[8:9], v[2:3]
	s_delay_alu instid0(VALU_DEP_2) | instskip(NEXT) | instid1(VALU_DEP_2)
	v_fma_f64 v[30:31], v[8:9], v[0:1], -v[30:31]
	v_fma_f64 v[0:1], v[10:11], v[0:1], v[2:3]
	v_mul_f64 v[2:3], v[8:9], v[6:7]
	s_delay_alu instid0(VALU_DEP_3) | instskip(NEXT) | instid1(VALU_DEP_3)
	v_add_f64 v[30:31], v[44:45], v[30:31]
	v_add_f64 v[32:33], v[42:43], v[0:1]
	v_mul_f64 v[0:1], v[10:11], v[6:7]
	s_delay_alu instid0(VALU_DEP_4) | instskip(NEXT) | instid1(VALU_DEP_2)
	v_fma_f64 v[2:3], v[10:11], v[4:5], v[2:3]
	v_fma_f64 v[0:1], v[8:9], v[4:5], -v[0:1]
	s_delay_alu instid0(VALU_DEP_2) | instskip(NEXT) | instid1(VALU_DEP_2)
	v_add_f64 v[14:15], v[14:15], v[2:3]
	v_add_f64 v[12:13], v[12:13], v[0:1]
	ds_load_b128 v[0:3], v24 offset:1024
	s_waitcnt lgkmcnt(0)
	v_mul_f64 v[4:5], v[36:37], v[2:3]
	v_mul_f64 v[6:7], v[34:35], v[2:3]
	s_delay_alu instid0(VALU_DEP_2) | instskip(NEXT) | instid1(VALU_DEP_2)
	v_fma_f64 v[4:5], v[34:35], v[0:1], -v[4:5]
	v_fma_f64 v[6:7], v[36:37], v[0:1], v[6:7]
	s_delay_alu instid0(VALU_DEP_2) | instskip(NEXT) | instid1(VALU_DEP_2)
	v_add_f64 v[42:43], v[46:47], v[4:5]
	v_add_f64 v[44:45], v[48:49], v[6:7]
	ds_load_b128 v[4:7], v24 offset:1280
	s_waitcnt lgkmcnt(0)
	v_mul_f64 v[8:9], v[36:37], v[6:7]
	v_mul_f64 v[10:11], v[34:35], v[6:7]
	s_delay_alu instid0(VALU_DEP_2) | instskip(NEXT) | instid1(VALU_DEP_2)
	v_fma_f64 v[8:9], v[34:35], v[4:5], -v[8:9]
	v_fma_f64 v[10:11], v[36:37], v[4:5], v[10:11]
	s_delay_alu instid0(VALU_DEP_2) | instskip(NEXT) | instid1(VALU_DEP_2)
	v_add_f64 v[28:29], v[28:29], v[8:9]
	v_add_f64 v[26:27], v[26:27], v[10:11]
	ds_load_b128 v[8:11], v25 offset:2080
	s_waitcnt lgkmcnt(0)
	v_mul_f64 v[34:35], v[10:11], v[2:3]
	v_mul_f64 v[2:3], v[8:9], v[2:3]
	s_delay_alu instid0(VALU_DEP_2) | instskip(NEXT) | instid1(VALU_DEP_2)
	v_fma_f64 v[34:35], v[8:9], v[0:1], -v[34:35]
	v_fma_f64 v[0:1], v[10:11], v[0:1], v[2:3]
	v_mul_f64 v[2:3], v[8:9], v[6:7]
	s_delay_alu instid0(VALU_DEP_3) | instskip(NEXT) | instid1(VALU_DEP_3)
	v_add_f64 v[30:31], v[30:31], v[34:35]
	v_add_f64 v[32:33], v[32:33], v[0:1]
	v_mul_f64 v[0:1], v[10:11], v[6:7]
	s_delay_alu instid0(VALU_DEP_4) | instskip(NEXT) | instid1(VALU_DEP_2)
	v_fma_f64 v[2:3], v[10:11], v[4:5], v[2:3]
	v_fma_f64 v[0:1], v[8:9], v[4:5], -v[0:1]
	s_delay_alu instid0(VALU_DEP_2) | instskip(NEXT) | instid1(VALU_DEP_2)
	;; [unrolled: 38-line block ×3, first 2 shown]
	v_add_f64 v[14:15], v[14:15], v[2:3]
	v_add_f64 v[12:13], v[12:13], v[0:1]
	ds_load_b128 v[0:3], v25 offset:64
	ds_load_b128 v[4:7], v24 offset:2048
	s_waitcnt lgkmcnt(0)
	v_mul_f64 v[8:9], v[2:3], v[6:7]
	v_mul_f64 v[10:11], v[0:1], v[6:7]
	s_delay_alu instid0(VALU_DEP_2) | instskip(NEXT) | instid1(VALU_DEP_2)
	v_fma_f64 v[8:9], v[0:1], v[4:5], -v[8:9]
	v_fma_f64 v[10:11], v[2:3], v[4:5], v[10:11]
	s_delay_alu instid0(VALU_DEP_2) | instskip(NEXT) | instid1(VALU_DEP_2)
	v_add_f64 v[34:35], v[34:35], v[8:9]
	v_add_f64 v[36:37], v[36:37], v[10:11]
	ds_load_b128 v[8:11], v24 offset:2304
	s_waitcnt lgkmcnt(0)
	v_mul_f64 v[38:39], v[2:3], v[10:11]
	s_delay_alu instid0(VALU_DEP_1) | instskip(SKIP_1) | instid1(VALU_DEP_2)
	v_fma_f64 v[38:39], v[0:1], v[8:9], -v[38:39]
	v_mul_f64 v[0:1], v[0:1], v[10:11]
	v_add_f64 v[28:29], v[28:29], v[38:39]
	s_delay_alu instid0(VALU_DEP_2) | instskip(NEXT) | instid1(VALU_DEP_1)
	v_fma_f64 v[0:1], v[2:3], v[8:9], v[0:1]
	v_add_f64 v[26:27], v[26:27], v[0:1]
	ds_load_b128 v[0:3], v25 offset:2112
	s_waitcnt lgkmcnt(0)
	v_mul_f64 v[38:39], v[2:3], v[6:7]
	v_mul_f64 v[6:7], v[0:1], v[6:7]
	s_delay_alu instid0(VALU_DEP_2) | instskip(NEXT) | instid1(VALU_DEP_2)
	v_fma_f64 v[38:39], v[0:1], v[4:5], -v[38:39]
	v_fma_f64 v[4:5], v[2:3], v[4:5], v[6:7]
	s_delay_alu instid0(VALU_DEP_2) | instskip(NEXT) | instid1(VALU_DEP_2)
	v_add_f64 v[30:31], v[30:31], v[38:39]
	v_add_f64 v[32:33], v[32:33], v[4:5]
	v_mul_f64 v[4:5], v[2:3], v[10:11]
	s_delay_alu instid0(VALU_DEP_1) | instskip(SKIP_1) | instid1(VALU_DEP_2)
	v_fma_f64 v[4:5], v[0:1], v[8:9], -v[4:5]
	v_mul_f64 v[0:1], v[0:1], v[10:11]
	v_add_f64 v[12:13], v[12:13], v[4:5]
	s_delay_alu instid0(VALU_DEP_2) | instskip(NEXT) | instid1(VALU_DEP_1)
	v_fma_f64 v[0:1], v[2:3], v[8:9], v[0:1]
	v_add_f64 v[14:15], v[14:15], v[0:1]
	ds_load_b128 v[0:3], v25 offset:80
	ds_load_b128 v[4:7], v24 offset:2560
	s_waitcnt lgkmcnt(0)
	v_mul_f64 v[8:9], v[2:3], v[6:7]
	v_mul_f64 v[10:11], v[0:1], v[6:7]
	s_delay_alu instid0(VALU_DEP_2) | instskip(NEXT) | instid1(VALU_DEP_2)
	v_fma_f64 v[8:9], v[0:1], v[4:5], -v[8:9]
	v_fma_f64 v[10:11], v[2:3], v[4:5], v[10:11]
	s_delay_alu instid0(VALU_DEP_2) | instskip(NEXT) | instid1(VALU_DEP_2)
	v_add_f64 v[34:35], v[34:35], v[8:9]
	v_add_f64 v[36:37], v[36:37], v[10:11]
	ds_load_b128 v[8:11], v24 offset:2816
	s_waitcnt lgkmcnt(0)
	v_mul_f64 v[38:39], v[2:3], v[10:11]
	s_delay_alu instid0(VALU_DEP_1) | instskip(SKIP_1) | instid1(VALU_DEP_2)
	v_fma_f64 v[38:39], v[0:1], v[8:9], -v[38:39]
	v_mul_f64 v[0:1], v[0:1], v[10:11]
	v_add_f64 v[28:29], v[28:29], v[38:39]
	s_delay_alu instid0(VALU_DEP_2) | instskip(NEXT) | instid1(VALU_DEP_1)
	v_fma_f64 v[0:1], v[2:3], v[8:9], v[0:1]
	v_add_f64 v[26:27], v[26:27], v[0:1]
	ds_load_b128 v[0:3], v25 offset:2128
	s_waitcnt lgkmcnt(0)
	v_mul_f64 v[38:39], v[2:3], v[6:7]
	v_mul_f64 v[6:7], v[0:1], v[6:7]
	s_delay_alu instid0(VALU_DEP_2) | instskip(NEXT) | instid1(VALU_DEP_2)
	v_fma_f64 v[38:39], v[0:1], v[4:5], -v[38:39]
	v_fma_f64 v[4:5], v[2:3], v[4:5], v[6:7]
	s_delay_alu instid0(VALU_DEP_2) | instskip(NEXT) | instid1(VALU_DEP_2)
	v_add_f64 v[30:31], v[30:31], v[38:39]
	v_add_f64 v[32:33], v[32:33], v[4:5]
	v_mul_f64 v[4:5], v[2:3], v[10:11]
	s_delay_alu instid0(VALU_DEP_1) | instskip(SKIP_1) | instid1(VALU_DEP_2)
	v_fma_f64 v[4:5], v[0:1], v[8:9], -v[4:5]
	v_mul_f64 v[0:1], v[0:1], v[10:11]
	v_add_f64 v[12:13], v[12:13], v[4:5]
	s_delay_alu instid0(VALU_DEP_2) | instskip(NEXT) | instid1(VALU_DEP_1)
	v_fma_f64 v[0:1], v[2:3], v[8:9], v[0:1]
	;; [unrolled: 39-line block ×3, first 2 shown]
	v_add_f64 v[48:49], v[14:15], v[0:1]
	ds_load_b128 v[0:3], v25 offset:112
	ds_load_b128 v[4:7], v24 offset:3584
	;; [unrolled: 1-line block ×4, first 2 shown]
	s_waitcnt lgkmcnt(0)
	s_barrier
	buffer_gl0_inv
	v_mul_f64 v[8:9], v[2:3], v[6:7]
	v_mul_f64 v[10:11], v[0:1], v[6:7]
	s_delay_alu instid0(VALU_DEP_2) | instskip(NEXT) | instid1(VALU_DEP_2)
	v_fma_f64 v[8:9], v[0:1], v[4:5], -v[8:9]
	v_fma_f64 v[10:11], v[2:3], v[4:5], v[10:11]
	s_delay_alu instid0(VALU_DEP_2) | instskip(SKIP_1) | instid1(VALU_DEP_3)
	v_add_f64 v[12:13], v[34:35], v[8:9]
	v_mul_f64 v[8:9], v[2:3], v[28:29]
	v_add_f64 v[14:15], v[36:37], v[10:11]
	s_delay_alu instid0(VALU_DEP_2) | instskip(SKIP_1) | instid1(VALU_DEP_1)
	v_fma_f64 v[8:9], v[0:1], v[26:27], -v[8:9]
	v_mul_f64 v[0:1], v[0:1], v[28:29]
	v_fma_f64 v[2:3], v[2:3], v[26:27], v[0:1]
	s_delay_alu instid0(VALU_DEP_3) | instskip(SKIP_2) | instid1(VALU_DEP_4)
	v_add_f64 v[0:1], v[38:39], v[8:9]
	v_mul_f64 v[8:9], v[32:33], v[6:7]
	v_mul_f64 v[6:7], v[30:31], v[6:7]
	v_add_f64 v[2:3], v[40:41], v[2:3]
	s_delay_alu instid0(VALU_DEP_3) | instskip(NEXT) | instid1(VALU_DEP_3)
	v_fma_f64 v[8:9], v[30:31], v[4:5], -v[8:9]
	v_fma_f64 v[4:5], v[32:33], v[4:5], v[6:7]
	v_mul_f64 v[6:7], v[30:31], v[28:29]
	s_delay_alu instid0(VALU_DEP_3) | instskip(NEXT) | instid1(VALU_DEP_3)
	v_add_f64 v[8:9], v[42:43], v[8:9]
	v_add_f64 v[10:11], v[44:45], v[4:5]
	v_mul_f64 v[4:5], v[32:33], v[28:29]
	s_delay_alu instid0(VALU_DEP_4) | instskip(NEXT) | instid1(VALU_DEP_2)
	v_fma_f64 v[6:7], v[32:33], v[26:27], v[6:7]
	v_fma_f64 v[4:5], v[30:31], v[26:27], -v[4:5]
	s_delay_alu instid0(VALU_DEP_2) | instskip(NEXT) | instid1(VALU_DEP_2)
	v_add_f64 v[6:7], v[48:49], v[6:7]
	v_add_f64 v[4:5], v[46:47], v[4:5]
	s_cbranch_scc0 .LBB256_2
.LBB256_3:
	s_clause 0x1
	s_load_b32 s3, s[0:1], 0x40
	s_load_b64 s[0:1], s[0:1], 0x48
	v_add_nc_u32_e32 v18, s13, v21
	v_add_nc_u32_e32 v16, s12, v20
	s_delay_alu instid0(VALU_DEP_2)
	v_cmp_gt_i32_e32 vcc_lo, s2, v18
	s_waitcnt lgkmcnt(0)
	v_mad_i64_i32 v[21:22], null, v18, s3, 0
	s_mul_i32 s1, s15, s1
	s_mul_hi_u32 s4, s15, s0
	s_mul_i32 s0, s15, s0
	s_add_i32 s1, s4, s1
	s_delay_alu instid0(SALU_CYCLE_1) | instskip(NEXT) | instid1(VALU_DEP_1)
	s_lshl_b64 s[4:5], s[0:1], 4
	v_lshlrev_b64 v[19:20], 4, v[21:22]
	s_add_u32 s4, s6, s4
	v_cmp_le_i32_e64 s0, v16, v18
	s_addc_u32 s5, s7, s5
	s_delay_alu instid0(VALU_DEP_2) | instskip(NEXT) | instid1(VALU_DEP_1)
	v_add_co_u32 v19, s1, s4, v19
	v_add_co_ci_u32_e64 v20, s1, s5, v20, s1
	s_delay_alu instid0(VALU_DEP_3) | instskip(NEXT) | instid1(SALU_CYCLE_1)
	s_and_b32 s0, vcc_lo, s0
	s_and_saveexec_b32 s1, s0
	s_cbranch_execz .LBB256_5
; %bb.4:
	v_ashrrev_i32_e32 v17, 31, v16
	v_xor_b32_e32 v13, 0x80000000, v13
	v_xor_b32_e32 v15, 0x80000000, v15
	s_delay_alu instid0(VALU_DEP_3) | instskip(NEXT) | instid1(VALU_DEP_1)
	v_lshlrev_b64 v[21:22], 4, v[16:17]
	v_add_co_u32 v21, s0, v19, v21
	s_delay_alu instid0(VALU_DEP_1)
	v_add_co_ci_u32_e64 v22, s0, v20, v22, s0
	global_store_b128 v[21:22], v[12:15], off
.LBB256_5:
	s_or_b32 exec_lo, exec_lo, s1
	v_add_nc_u32_e32 v12, 16, v16
	s_delay_alu instid0(VALU_DEP_1) | instskip(NEXT) | instid1(VALU_DEP_1)
	v_cmp_le_i32_e64 s0, v12, v18
	s_and_b32 s1, vcc_lo, s0
	s_delay_alu instid0(SALU_CYCLE_1)
	s_and_saveexec_b32 s0, s1
	s_cbranch_execz .LBB256_7
; %bb.6:
	v_ashrrev_i32_e32 v13, 31, v12
	v_xor_b32_e32 v1, 0x80000000, v1
	v_xor_b32_e32 v3, 0x80000000, v3
	s_delay_alu instid0(VALU_DEP_3) | instskip(NEXT) | instid1(VALU_DEP_1)
	v_lshlrev_b64 v[13:14], 4, v[12:13]
	v_add_co_u32 v13, vcc_lo, v19, v13
	s_delay_alu instid0(VALU_DEP_2)
	v_add_co_ci_u32_e32 v14, vcc_lo, v20, v14, vcc_lo
	global_store_b128 v[13:14], v[0:3], off
.LBB256_7:
	s_or_b32 exec_lo, exec_lo, s0
	v_add_nc_u32_e32 v2, 16, v18
	s_delay_alu instid0(VALU_DEP_1) | instskip(SKIP_2) | instid1(VALU_DEP_1)
	v_mad_i64_i32 v[0:1], null, v2, s3, 0
	v_cmp_gt_i32_e32 vcc_lo, s2, v2
	v_cmp_le_i32_e64 s0, v16, v2
	s_and_b32 s0, vcc_lo, s0
	s_delay_alu instid0(VALU_DEP_3) | instskip(NEXT) | instid1(VALU_DEP_1)
	v_lshlrev_b64 v[0:1], 4, v[0:1]
	v_add_co_u32 v0, s1, s4, v0
	s_delay_alu instid0(VALU_DEP_1)
	v_add_co_ci_u32_e64 v1, s1, s5, v1, s1
	s_and_saveexec_b32 s1, s0
	s_cbranch_execz .LBB256_9
; %bb.8:
	v_ashrrev_i32_e32 v17, 31, v16
	v_xor_b32_e32 v9, 0x80000000, v9
	v_xor_b32_e32 v11, 0x80000000, v11
	s_delay_alu instid0(VALU_DEP_3) | instskip(NEXT) | instid1(VALU_DEP_1)
	v_lshlrev_b64 v[13:14], 4, v[16:17]
	v_add_co_u32 v13, s0, v0, v13
	s_delay_alu instid0(VALU_DEP_1)
	v_add_co_ci_u32_e64 v14, s0, v1, v14, s0
	global_store_b128 v[13:14], v[8:11], off
.LBB256_9:
	s_or_b32 exec_lo, exec_lo, s1
	v_cmp_le_i32_e64 s0, v12, v2
	s_delay_alu instid0(VALU_DEP_1) | instskip(NEXT) | instid1(SALU_CYCLE_1)
	s_and_b32 s0, vcc_lo, s0
	s_and_saveexec_b32 s1, s0
	s_cbranch_execz .LBB256_11
; %bb.10:
	v_ashrrev_i32_e32 v13, 31, v12
	v_xor_b32_e32 v5, 0x80000000, v5
	v_xor_b32_e32 v7, 0x80000000, v7
	s_delay_alu instid0(VALU_DEP_3) | instskip(NEXT) | instid1(VALU_DEP_1)
	v_lshlrev_b64 v[2:3], 4, v[12:13]
	v_add_co_u32 v0, vcc_lo, v0, v2
	s_delay_alu instid0(VALU_DEP_2)
	v_add_co_ci_u32_e32 v1, vcc_lo, v1, v3, vcc_lo
	global_store_b128 v[0:1], v[4:7], off
.LBB256_11:
	s_nop 0
	s_sendmsg sendmsg(MSG_DEALLOC_VGPRS)
	s_endpgm
	.section	.rodata,"a",@progbits
	.p2align	6, 0x0
	.amdhsa_kernel _ZL37rocblas_syrkx_herkx_restricted_kernelIi19rocblas_complex_numIdELi16ELi32ELi8ELin1ELi0ELb0ELc78ELc85EKS1_S1_EviT_PT9_S3_lS5_S3_lPT10_S3_li
		.amdhsa_group_segment_fixed_size 8192
		.amdhsa_private_segment_fixed_size 0
		.amdhsa_kernarg_size 84
		.amdhsa_user_sgpr_count 13
		.amdhsa_user_sgpr_dispatch_ptr 0
		.amdhsa_user_sgpr_queue_ptr 0
		.amdhsa_user_sgpr_kernarg_segment_ptr 1
		.amdhsa_user_sgpr_dispatch_id 0
		.amdhsa_user_sgpr_private_segment_size 0
		.amdhsa_wavefront_size32 1
		.amdhsa_uses_dynamic_stack 0
		.amdhsa_enable_private_segment 0
		.amdhsa_system_sgpr_workgroup_id_x 1
		.amdhsa_system_sgpr_workgroup_id_y 1
		.amdhsa_system_sgpr_workgroup_id_z 1
		.amdhsa_system_sgpr_workgroup_info 0
		.amdhsa_system_vgpr_workitem_id 1
		.amdhsa_next_free_vgpr 52
		.amdhsa_next_free_sgpr 23
		.amdhsa_reserve_vcc 1
		.amdhsa_float_round_mode_32 0
		.amdhsa_float_round_mode_16_64 0
		.amdhsa_float_denorm_mode_32 3
		.amdhsa_float_denorm_mode_16_64 3
		.amdhsa_dx10_clamp 1
		.amdhsa_ieee_mode 1
		.amdhsa_fp16_overflow 0
		.amdhsa_workgroup_processor_mode 1
		.amdhsa_memory_ordered 1
		.amdhsa_forward_progress 0
		.amdhsa_shared_vgpr_count 0
		.amdhsa_exception_fp_ieee_invalid_op 0
		.amdhsa_exception_fp_denorm_src 0
		.amdhsa_exception_fp_ieee_div_zero 0
		.amdhsa_exception_fp_ieee_overflow 0
		.amdhsa_exception_fp_ieee_underflow 0
		.amdhsa_exception_fp_ieee_inexact 0
		.amdhsa_exception_int_div_zero 0
	.end_amdhsa_kernel
	.section	.text._ZL37rocblas_syrkx_herkx_restricted_kernelIi19rocblas_complex_numIdELi16ELi32ELi8ELin1ELi0ELb0ELc78ELc85EKS1_S1_EviT_PT9_S3_lS5_S3_lPT10_S3_li,"axG",@progbits,_ZL37rocblas_syrkx_herkx_restricted_kernelIi19rocblas_complex_numIdELi16ELi32ELi8ELin1ELi0ELb0ELc78ELc85EKS1_S1_EviT_PT9_S3_lS5_S3_lPT10_S3_li,comdat
.Lfunc_end256:
	.size	_ZL37rocblas_syrkx_herkx_restricted_kernelIi19rocblas_complex_numIdELi16ELi32ELi8ELin1ELi0ELb0ELc78ELc85EKS1_S1_EviT_PT9_S3_lS5_S3_lPT10_S3_li, .Lfunc_end256-_ZL37rocblas_syrkx_herkx_restricted_kernelIi19rocblas_complex_numIdELi16ELi32ELi8ELin1ELi0ELb0ELc78ELc85EKS1_S1_EviT_PT9_S3_lS5_S3_lPT10_S3_li
                                        ; -- End function
	.section	.AMDGPU.csdata,"",@progbits
; Kernel info:
; codeLenInByte = 3252
; NumSgprs: 25
; NumVgprs: 52
; ScratchSize: 0
; MemoryBound: 0
; FloatMode: 240
; IeeeMode: 1
; LDSByteSize: 8192 bytes/workgroup (compile time only)
; SGPRBlocks: 3
; VGPRBlocks: 6
; NumSGPRsForWavesPerEU: 25
; NumVGPRsForWavesPerEU: 52
; Occupancy: 16
; WaveLimiterHint : 0
; COMPUTE_PGM_RSRC2:SCRATCH_EN: 0
; COMPUTE_PGM_RSRC2:USER_SGPR: 13
; COMPUTE_PGM_RSRC2:TRAP_HANDLER: 0
; COMPUTE_PGM_RSRC2:TGID_X_EN: 1
; COMPUTE_PGM_RSRC2:TGID_Y_EN: 1
; COMPUTE_PGM_RSRC2:TGID_Z_EN: 1
; COMPUTE_PGM_RSRC2:TIDIG_COMP_CNT: 1
	.section	.text._ZL37rocblas_syrkx_herkx_restricted_kernelIi19rocblas_complex_numIdELi16ELi32ELi8ELb1ELb0ELc84ELc76EKS1_S1_EviT_T0_PT8_S3_lS6_S3_lS4_PT9_S3_li,"axG",@progbits,_ZL37rocblas_syrkx_herkx_restricted_kernelIi19rocblas_complex_numIdELi16ELi32ELi8ELb1ELb0ELc84ELc76EKS1_S1_EviT_T0_PT8_S3_lS6_S3_lS4_PT9_S3_li,comdat
	.globl	_ZL37rocblas_syrkx_herkx_restricted_kernelIi19rocblas_complex_numIdELi16ELi32ELi8ELb1ELb0ELc84ELc76EKS1_S1_EviT_T0_PT8_S3_lS6_S3_lS4_PT9_S3_li ; -- Begin function _ZL37rocblas_syrkx_herkx_restricted_kernelIi19rocblas_complex_numIdELi16ELi32ELi8ELb1ELb0ELc84ELc76EKS1_S1_EviT_T0_PT8_S3_lS6_S3_lS4_PT9_S3_li
	.p2align	8
	.type	_ZL37rocblas_syrkx_herkx_restricted_kernelIi19rocblas_complex_numIdELi16ELi32ELi8ELb1ELb0ELc84ELc76EKS1_S1_EviT_T0_PT8_S3_lS6_S3_lS4_PT9_S3_li,@function
_ZL37rocblas_syrkx_herkx_restricted_kernelIi19rocblas_complex_numIdELi16ELi32ELi8ELb1ELb0ELc84ELc76EKS1_S1_EviT_T0_PT8_S3_lS6_S3_lS4_PT9_S3_li: ; @_ZL37rocblas_syrkx_herkx_restricted_kernelIi19rocblas_complex_numIdELi16ELi32ELi8ELb1ELb0ELc84ELc76EKS1_S1_EviT_T0_PT8_S3_lS6_S3_lS4_PT9_S3_li
; %bb.0:
	s_clause 0x2
	s_load_b64 s[2:3], s[0:1], 0x0
	s_load_b128 s[4:7], s[0:1], 0x8
	s_load_b64 s[16:17], s[0:1], 0x18
	v_mov_b32_e32 v12, 0
	v_dual_mov_b32 v13, 0 :: v_dual_and_b32 v20, 0x3ff, v0
	v_bfe_u32 v21, v0, 10, 10
	s_delay_alu instid0(VALU_DEP_3) | instskip(NEXT) | instid1(VALU_DEP_3)
	v_mov_b32_e32 v4, v12
	v_dual_mov_b32 v6, v12 :: v_dual_mov_b32 v7, v13
	v_dual_mov_b32 v19, v13 :: v_dual_mov_b32 v18, v12
	;; [unrolled: 1-line block ×3, first 2 shown]
	v_mov_b32_e32 v11, v13
	v_dual_mov_b32 v15, v13 :: v_dual_mov_b32 v14, v12
	v_dual_mov_b32 v17, v13 :: v_dual_mov_b32 v16, v12
	;; [unrolled: 1-line block ×3, first 2 shown]
	s_lshl_b32 s12, s13, 5
	s_lshl_b32 s13, s14, 5
	s_waitcnt lgkmcnt(0)
	s_cmp_lt_i32 s3, 1
	s_mov_b32 s14, 0
	s_cbranch_scc1 .LBB257_3
; %bb.1:
	s_clause 0x3
	s_load_b32 s20, s[0:1], 0x20
	s_load_b128 s[8:11], s[0:1], 0x28
	s_load_b32 s21, s[0:1], 0x38
	s_load_b64 s[18:19], s[0:1], 0x40
	v_lshl_add_u32 v2, v21, 4, v20
	v_dual_mov_b32 v1, 0 :: v_dual_and_b32 v0, 7, v20
	v_lshlrev_b32_e32 v22, 4, v20
	v_lshl_add_u32 v25, v21, 7, 0x1000
	s_delay_alu instid0(VALU_DEP_4) | instskip(SKIP_3) | instid1(VALU_DEP_4)
	v_lshrrev_b32_e32 v4, 3, v2
	v_and_b32_e32 v5, 31, v2
	v_lshlrev_b32_e32 v3, 4, v0
	v_lshrrev_b32_e32 v2, 5, v2
	v_add_nc_u32_e32 v9, s13, v4
	s_delay_alu instid0(VALU_DEP_4) | instskip(NEXT) | instid1(VALU_DEP_4)
	v_add_nc_u32_e32 v8, s12, v5
	v_lshl_or_b32 v7, v4, 7, v3
	v_dual_mov_b32 v3, v1 :: v_dual_lshlrev_b32 v6, 4, v5
	s_waitcnt lgkmcnt(0)
	s_delay_alu instid0(VALU_DEP_1) | instskip(NEXT) | instid1(VALU_DEP_2)
	v_mad_i64_i32 v[4:5], null, s20, v8, v[2:3]
	v_lshl_or_b32 v23, v2, 9, v6
	s_mul_i32 s9, s9, s15
	s_mul_hi_u32 s20, s8, s15
	v_mad_i64_i32 v[2:3], null, s21, v9, v[0:1]
	s_mul_i32 s8, s8, s15
	s_add_i32 s9, s20, s9
	s_delay_alu instid0(VALU_DEP_3)
	v_lshlrev_b64 v[0:1], 4, v[4:5]
	s_lshl_b64 s[8:9], s[8:9], 4
	v_mov_b32_e32 v8, 0
	v_mov_b32_e32 v9, 0
	s_add_u32 s16, s16, s8
	s_mul_i32 s8, s19, s15
	s_mul_hi_u32 s19, s18, s15
	s_addc_u32 s17, s17, s9
	s_add_i32 s9, s19, s8
	s_mul_i32 s8, s18, s15
	v_lshlrev_b64 v[2:3], 4, v[2:3]
	s_lshl_b64 s[8:9], s[8:9], 4
	v_add_co_u32 v0, vcc_lo, s16, v0
	s_add_u32 s8, s10, s8
	v_add_co_ci_u32_e32 v1, vcc_lo, s17, v1, vcc_lo
	s_addc_u32 s9, s11, s9
	v_add_co_u32 v2, vcc_lo, s8, v2
	v_add_co_ci_u32_e32 v3, vcc_lo, s9, v3, vcc_lo
	v_add_co_u32 v0, vcc_lo, v0, 8
	v_add_co_ci_u32_e32 v1, vcc_lo, 0, v1, vcc_lo
	s_delay_alu instid0(VALU_DEP_4)
	v_add_co_u32 v2, vcc_lo, v2, 8
	v_dual_mov_b32 v17, v9 :: v_dual_add_nc_u32 v24, 0x1000, v7
	v_add_co_ci_u32_e32 v3, vcc_lo, 0, v3, vcc_lo
	v_dual_mov_b32 v16, v8 :: v_dual_mov_b32 v15, v9
	v_dual_mov_b32 v14, v8 :: v_dual_mov_b32 v11, v9
	v_mov_b32_e32 v10, v8
	v_dual_mov_b32 v6, v8 :: v_dual_mov_b32 v7, v9
	v_dual_mov_b32 v4, v8 :: v_dual_mov_b32 v5, v9
	;; [unrolled: 1-line block ×4, first 2 shown]
.LBB257_2:                              ; =>This Inner Loop Header: Depth=1
	global_load_b128 v[26:29], v[0:1], off offset:-8
	v_add_co_u32 v0, vcc_lo, 0x80, v0
	v_add_co_ci_u32_e32 v1, vcc_lo, 0, v1, vcc_lo
	s_add_i32 s14, s14, 8
	s_delay_alu instid0(SALU_CYCLE_1)
	s_cmp_ge_i32 s14, s3
	s_waitcnt vmcnt(0)
	ds_store_b128 v23, v[26:29]
	global_load_b128 v[26:29], v[2:3], off offset:-8
	v_add_co_u32 v2, vcc_lo, 0x80, v2
	v_add_co_ci_u32_e32 v3, vcc_lo, 0, v3, vcc_lo
	s_waitcnt vmcnt(0)
	ds_store_b128 v24, v[26:29]
	s_waitcnt lgkmcnt(0)
	s_barrier
	buffer_gl0_inv
	ds_load_b128 v[26:29], v25
	ds_load_b128 v[30:33], v25 offset:16
	ds_load_b128 v[34:37], v25 offset:32
	;; [unrolled: 1-line block ×3, first 2 shown]
	ds_load_b128 v[42:45], v22
	s_waitcnt lgkmcnt(0)
	v_mul_f64 v[46:47], v[28:29], v[44:45]
	v_mul_f64 v[48:49], v[26:27], v[44:45]
	s_delay_alu instid0(VALU_DEP_2) | instskip(NEXT) | instid1(VALU_DEP_2)
	v_fma_f64 v[46:47], v[26:27], v[42:43], -v[46:47]
	v_fma_f64 v[48:49], v[28:29], v[42:43], v[48:49]
	s_delay_alu instid0(VALU_DEP_2) | instskip(NEXT) | instid1(VALU_DEP_2)
	v_add_f64 v[12:13], v[12:13], v[46:47]
	v_add_f64 v[18:19], v[18:19], v[48:49]
	ds_load_b128 v[46:49], v22 offset:256
	s_waitcnt lgkmcnt(0)
	v_mul_f64 v[50:51], v[28:29], v[48:49]
	s_delay_alu instid0(VALU_DEP_1) | instskip(SKIP_1) | instid1(VALU_DEP_1)
	v_fma_f64 v[50:51], v[26:27], v[46:47], -v[50:51]
	v_mul_f64 v[26:27], v[26:27], v[48:49]
	v_fma_f64 v[26:27], v[28:29], v[46:47], v[26:27]
	s_delay_alu instid0(VALU_DEP_3) | instskip(NEXT) | instid1(VALU_DEP_2)
	v_add_f64 v[28:29], v[4:5], v[50:51]
	v_add_f64 v[26:27], v[6:7], v[26:27]
	ds_load_b128 v[4:7], v25 offset:2048
	s_waitcnt lgkmcnt(0)
	v_mul_f64 v[50:51], v[6:7], v[44:45]
	v_mul_f64 v[44:45], v[4:5], v[44:45]
	s_delay_alu instid0(VALU_DEP_2) | instskip(NEXT) | instid1(VALU_DEP_2)
	v_fma_f64 v[50:51], v[4:5], v[42:43], -v[50:51]
	v_fma_f64 v[42:43], v[6:7], v[42:43], v[44:45]
	s_delay_alu instid0(VALU_DEP_2) | instskip(SKIP_1) | instid1(VALU_DEP_3)
	v_add_f64 v[44:45], v[10:11], v[50:51]
	v_mul_f64 v[10:11], v[6:7], v[48:49]
	v_add_f64 v[42:43], v[14:15], v[42:43]
	s_delay_alu instid0(VALU_DEP_2) | instskip(SKIP_1) | instid1(VALU_DEP_2)
	v_fma_f64 v[10:11], v[4:5], v[46:47], -v[10:11]
	v_mul_f64 v[4:5], v[4:5], v[48:49]
	v_add_f64 v[16:17], v[16:17], v[10:11]
	s_delay_alu instid0(VALU_DEP_2) | instskip(NEXT) | instid1(VALU_DEP_1)
	v_fma_f64 v[4:5], v[6:7], v[46:47], v[4:5]
	v_add_f64 v[46:47], v[8:9], v[4:5]
	ds_load_b128 v[4:7], v22 offset:512
	s_waitcnt lgkmcnt(0)
	v_mul_f64 v[8:9], v[32:33], v[6:7]
	v_mul_f64 v[10:11], v[30:31], v[6:7]
	s_delay_alu instid0(VALU_DEP_2) | instskip(NEXT) | instid1(VALU_DEP_2)
	v_fma_f64 v[8:9], v[30:31], v[4:5], -v[8:9]
	v_fma_f64 v[10:11], v[32:33], v[4:5], v[10:11]
	s_delay_alu instid0(VALU_DEP_2) | instskip(NEXT) | instid1(VALU_DEP_2)
	v_add_f64 v[48:49], v[12:13], v[8:9]
	v_add_f64 v[18:19], v[18:19], v[10:11]
	ds_load_b128 v[8:11], v22 offset:768
	s_waitcnt lgkmcnt(0)
	v_mul_f64 v[12:13], v[32:33], v[10:11]
	v_mul_f64 v[14:15], v[30:31], v[10:11]
	s_delay_alu instid0(VALU_DEP_2) | instskip(NEXT) | instid1(VALU_DEP_2)
	v_fma_f64 v[12:13], v[30:31], v[8:9], -v[12:13]
	v_fma_f64 v[14:15], v[32:33], v[8:9], v[14:15]
	s_delay_alu instid0(VALU_DEP_2) | instskip(NEXT) | instid1(VALU_DEP_2)
	v_add_f64 v[28:29], v[28:29], v[12:13]
	v_add_f64 v[26:27], v[26:27], v[14:15]
	ds_load_b128 v[12:15], v25 offset:2064
	s_waitcnt lgkmcnt(0)
	v_mul_f64 v[30:31], v[14:15], v[6:7]
	v_mul_f64 v[6:7], v[12:13], v[6:7]
	s_delay_alu instid0(VALU_DEP_2) | instskip(NEXT) | instid1(VALU_DEP_2)
	v_fma_f64 v[30:31], v[12:13], v[4:5], -v[30:31]
	v_fma_f64 v[4:5], v[14:15], v[4:5], v[6:7]
	v_mul_f64 v[6:7], v[12:13], v[10:11]
	s_delay_alu instid0(VALU_DEP_3) | instskip(NEXT) | instid1(VALU_DEP_3)
	v_add_f64 v[30:31], v[44:45], v[30:31]
	v_add_f64 v[32:33], v[42:43], v[4:5]
	v_mul_f64 v[4:5], v[14:15], v[10:11]
	s_delay_alu instid0(VALU_DEP_4) | instskip(NEXT) | instid1(VALU_DEP_2)
	v_fma_f64 v[6:7], v[14:15], v[8:9], v[6:7]
	v_fma_f64 v[4:5], v[12:13], v[8:9], -v[4:5]
	s_delay_alu instid0(VALU_DEP_2) | instskip(NEXT) | instid1(VALU_DEP_2)
	v_add_f64 v[42:43], v[46:47], v[6:7]
	v_add_f64 v[16:17], v[16:17], v[4:5]
	ds_load_b128 v[4:7], v22 offset:1024
	s_waitcnt lgkmcnt(0)
	v_mul_f64 v[8:9], v[36:37], v[6:7]
	v_mul_f64 v[10:11], v[34:35], v[6:7]
	s_delay_alu instid0(VALU_DEP_2) | instskip(NEXT) | instid1(VALU_DEP_2)
	v_fma_f64 v[8:9], v[34:35], v[4:5], -v[8:9]
	v_fma_f64 v[10:11], v[36:37], v[4:5], v[10:11]
	s_delay_alu instid0(VALU_DEP_2) | instskip(NEXT) | instid1(VALU_DEP_2)
	v_add_f64 v[44:45], v[48:49], v[8:9]
	v_add_f64 v[18:19], v[18:19], v[10:11]
	ds_load_b128 v[8:11], v22 offset:1280
	s_waitcnt lgkmcnt(0)
	v_mul_f64 v[12:13], v[36:37], v[10:11]
	v_mul_f64 v[14:15], v[34:35], v[10:11]
	s_delay_alu instid0(VALU_DEP_2) | instskip(NEXT) | instid1(VALU_DEP_2)
	v_fma_f64 v[12:13], v[34:35], v[8:9], -v[12:13]
	v_fma_f64 v[14:15], v[36:37], v[8:9], v[14:15]
	s_delay_alu instid0(VALU_DEP_2) | instskip(NEXT) | instid1(VALU_DEP_2)
	v_add_f64 v[28:29], v[28:29], v[12:13]
	v_add_f64 v[26:27], v[26:27], v[14:15]
	ds_load_b128 v[12:15], v25 offset:2080
	s_waitcnt lgkmcnt(0)
	v_mul_f64 v[34:35], v[14:15], v[6:7]
	v_mul_f64 v[6:7], v[12:13], v[6:7]
	s_delay_alu instid0(VALU_DEP_2) | instskip(NEXT) | instid1(VALU_DEP_2)
	v_fma_f64 v[34:35], v[12:13], v[4:5], -v[34:35]
	v_fma_f64 v[4:5], v[14:15], v[4:5], v[6:7]
	v_mul_f64 v[6:7], v[12:13], v[10:11]
	s_delay_alu instid0(VALU_DEP_3) | instskip(NEXT) | instid1(VALU_DEP_3)
	v_add_f64 v[30:31], v[30:31], v[34:35]
	v_add_f64 v[32:33], v[32:33], v[4:5]
	v_mul_f64 v[4:5], v[14:15], v[10:11]
	s_delay_alu instid0(VALU_DEP_4) | instskip(NEXT) | instid1(VALU_DEP_2)
	v_fma_f64 v[6:7], v[14:15], v[8:9], v[6:7]
	v_fma_f64 v[4:5], v[12:13], v[8:9], -v[4:5]
	s_delay_alu instid0(VALU_DEP_2) | instskip(NEXT) | instid1(VALU_DEP_2)
	v_add_f64 v[34:35], v[42:43], v[6:7]
	;; [unrolled: 38-line block ×3, first 2 shown]
	v_add_f64 v[16:17], v[16:17], v[4:5]
	ds_load_b128 v[4:7], v25 offset:64
	ds_load_b128 v[8:11], v22 offset:2048
	s_waitcnt lgkmcnt(0)
	v_mul_f64 v[12:13], v[6:7], v[10:11]
	v_mul_f64 v[14:15], v[4:5], v[10:11]
	s_delay_alu instid0(VALU_DEP_2) | instskip(NEXT) | instid1(VALU_DEP_2)
	v_fma_f64 v[12:13], v[4:5], v[8:9], -v[12:13]
	v_fma_f64 v[14:15], v[6:7], v[8:9], v[14:15]
	s_delay_alu instid0(VALU_DEP_2) | instskip(NEXT) | instid1(VALU_DEP_2)
	v_add_f64 v[36:37], v[36:37], v[12:13]
	v_add_f64 v[18:19], v[18:19], v[14:15]
	ds_load_b128 v[12:15], v22 offset:2304
	s_waitcnt lgkmcnt(0)
	v_mul_f64 v[38:39], v[6:7], v[14:15]
	s_delay_alu instid0(VALU_DEP_1) | instskip(SKIP_1) | instid1(VALU_DEP_2)
	v_fma_f64 v[38:39], v[4:5], v[12:13], -v[38:39]
	v_mul_f64 v[4:5], v[4:5], v[14:15]
	v_add_f64 v[28:29], v[28:29], v[38:39]
	s_delay_alu instid0(VALU_DEP_2) | instskip(NEXT) | instid1(VALU_DEP_1)
	v_fma_f64 v[4:5], v[6:7], v[12:13], v[4:5]
	v_add_f64 v[26:27], v[26:27], v[4:5]
	ds_load_b128 v[4:7], v25 offset:2112
	s_waitcnt lgkmcnt(0)
	v_mul_f64 v[38:39], v[6:7], v[10:11]
	v_mul_f64 v[10:11], v[4:5], v[10:11]
	s_delay_alu instid0(VALU_DEP_2) | instskip(NEXT) | instid1(VALU_DEP_2)
	v_fma_f64 v[38:39], v[4:5], v[8:9], -v[38:39]
	v_fma_f64 v[8:9], v[6:7], v[8:9], v[10:11]
	s_delay_alu instid0(VALU_DEP_2) | instskip(NEXT) | instid1(VALU_DEP_2)
	v_add_f64 v[30:31], v[30:31], v[38:39]
	v_add_f64 v[32:33], v[32:33], v[8:9]
	v_mul_f64 v[8:9], v[6:7], v[14:15]
	s_delay_alu instid0(VALU_DEP_1) | instskip(SKIP_1) | instid1(VALU_DEP_2)
	v_fma_f64 v[8:9], v[4:5], v[12:13], -v[8:9]
	v_mul_f64 v[4:5], v[4:5], v[14:15]
	v_add_f64 v[16:17], v[16:17], v[8:9]
	s_delay_alu instid0(VALU_DEP_2) | instskip(NEXT) | instid1(VALU_DEP_1)
	v_fma_f64 v[4:5], v[6:7], v[12:13], v[4:5]
	v_add_f64 v[34:35], v[34:35], v[4:5]
	ds_load_b128 v[4:7], v25 offset:80
	ds_load_b128 v[8:11], v22 offset:2560
	s_waitcnt lgkmcnt(0)
	v_mul_f64 v[12:13], v[6:7], v[10:11]
	v_mul_f64 v[14:15], v[4:5], v[10:11]
	s_delay_alu instid0(VALU_DEP_2) | instskip(NEXT) | instid1(VALU_DEP_2)
	v_fma_f64 v[12:13], v[4:5], v[8:9], -v[12:13]
	v_fma_f64 v[14:15], v[6:7], v[8:9], v[14:15]
	s_delay_alu instid0(VALU_DEP_2) | instskip(NEXT) | instid1(VALU_DEP_2)
	v_add_f64 v[36:37], v[36:37], v[12:13]
	v_add_f64 v[18:19], v[18:19], v[14:15]
	ds_load_b128 v[12:15], v22 offset:2816
	s_waitcnt lgkmcnt(0)
	v_mul_f64 v[38:39], v[6:7], v[14:15]
	s_delay_alu instid0(VALU_DEP_1) | instskip(SKIP_1) | instid1(VALU_DEP_2)
	v_fma_f64 v[38:39], v[4:5], v[12:13], -v[38:39]
	v_mul_f64 v[4:5], v[4:5], v[14:15]
	v_add_f64 v[28:29], v[28:29], v[38:39]
	s_delay_alu instid0(VALU_DEP_2) | instskip(NEXT) | instid1(VALU_DEP_1)
	v_fma_f64 v[4:5], v[6:7], v[12:13], v[4:5]
	v_add_f64 v[26:27], v[26:27], v[4:5]
	ds_load_b128 v[4:7], v25 offset:2128
	s_waitcnt lgkmcnt(0)
	v_mul_f64 v[38:39], v[6:7], v[10:11]
	v_mul_f64 v[10:11], v[4:5], v[10:11]
	s_delay_alu instid0(VALU_DEP_2) | instskip(NEXT) | instid1(VALU_DEP_2)
	v_fma_f64 v[38:39], v[4:5], v[8:9], -v[38:39]
	v_fma_f64 v[8:9], v[6:7], v[8:9], v[10:11]
	s_delay_alu instid0(VALU_DEP_2) | instskip(NEXT) | instid1(VALU_DEP_2)
	v_add_f64 v[30:31], v[30:31], v[38:39]
	v_add_f64 v[32:33], v[32:33], v[8:9]
	v_mul_f64 v[8:9], v[6:7], v[14:15]
	s_delay_alu instid0(VALU_DEP_1) | instskip(SKIP_1) | instid1(VALU_DEP_2)
	v_fma_f64 v[8:9], v[4:5], v[12:13], -v[8:9]
	v_mul_f64 v[4:5], v[4:5], v[14:15]
	v_add_f64 v[16:17], v[16:17], v[8:9]
	s_delay_alu instid0(VALU_DEP_2) | instskip(NEXT) | instid1(VALU_DEP_1)
	v_fma_f64 v[4:5], v[6:7], v[12:13], v[4:5]
	;; [unrolled: 39-line block ×3, first 2 shown]
	v_add_f64 v[34:35], v[34:35], v[4:5]
	ds_load_b128 v[4:7], v25 offset:112
	ds_load_b128 v[8:11], v22 offset:3584
	;; [unrolled: 1-line block ×4, first 2 shown]
	s_waitcnt lgkmcnt(0)
	s_barrier
	buffer_gl0_inv
	v_mul_f64 v[14:15], v[4:5], v[10:11]
	v_mul_f64 v[12:13], v[6:7], v[10:11]
	s_delay_alu instid0(VALU_DEP_2) | instskip(NEXT) | instid1(VALU_DEP_2)
	v_fma_f64 v[14:15], v[6:7], v[8:9], v[14:15]
	v_fma_f64 v[12:13], v[4:5], v[8:9], -v[12:13]
	s_delay_alu instid0(VALU_DEP_2) | instskip(SKIP_1) | instid1(VALU_DEP_3)
	v_add_f64 v[18:19], v[18:19], v[14:15]
	v_mul_f64 v[14:15], v[6:7], v[28:29]
	v_add_f64 v[12:13], v[36:37], v[12:13]
	s_delay_alu instid0(VALU_DEP_2) | instskip(SKIP_1) | instid1(VALU_DEP_1)
	v_fma_f64 v[14:15], v[4:5], v[26:27], -v[14:15]
	v_mul_f64 v[4:5], v[4:5], v[28:29]
	v_fma_f64 v[6:7], v[6:7], v[26:27], v[4:5]
	s_delay_alu instid0(VALU_DEP_3) | instskip(SKIP_2) | instid1(VALU_DEP_4)
	v_add_f64 v[4:5], v[38:39], v[14:15]
	v_mul_f64 v[14:15], v[32:33], v[10:11]
	v_mul_f64 v[10:11], v[30:31], v[10:11]
	v_add_f64 v[6:7], v[40:41], v[6:7]
	s_delay_alu instid0(VALU_DEP_3) | instskip(NEXT) | instid1(VALU_DEP_3)
	v_fma_f64 v[14:15], v[30:31], v[8:9], -v[14:15]
	v_fma_f64 v[8:9], v[32:33], v[8:9], v[10:11]
	s_delay_alu instid0(VALU_DEP_2) | instskip(NEXT) | instid1(VALU_DEP_2)
	v_add_f64 v[10:11], v[42:43], v[14:15]
	v_add_f64 v[14:15], v[44:45], v[8:9]
	v_mul_f64 v[8:9], v[32:33], v[28:29]
	v_mul_f64 v[28:29], v[30:31], v[28:29]
	s_delay_alu instid0(VALU_DEP_2) | instskip(NEXT) | instid1(VALU_DEP_2)
	v_fma_f64 v[8:9], v[30:31], v[26:27], -v[8:9]
	v_fma_f64 v[26:27], v[32:33], v[26:27], v[28:29]
	s_delay_alu instid0(VALU_DEP_2) | instskip(NEXT) | instid1(VALU_DEP_2)
	v_add_f64 v[16:17], v[16:17], v[8:9]
	v_add_f64 v[8:9], v[34:35], v[26:27]
	s_cbranch_scc0 .LBB257_2
.LBB257_3:
	s_clause 0x2
	s_load_b32 s3, s[0:1], 0x60
	s_load_b64 s[8:9], s[0:1], 0x68
	s_load_b64 s[10:11], s[0:1], 0x58
	v_add_nc_u32_e32 v21, s13, v21
	v_add_nc_u32_e32 v0, s12, v20
	s_delay_alu instid0(VALU_DEP_1)
	v_cmp_le_i32_e64 s0, v21, v0
	v_cmp_gt_i32_e32 vcc_lo, s2, v0
	s_waitcnt lgkmcnt(0)
	v_mad_i64_i32 v[1:2], null, v21, s3, 0
	s_mul_i32 s1, s15, s9
	s_mul_hi_u32 s9, s15, s8
	s_mul_i32 s8, s15, s8
	s_add_i32 s9, s9, s1
	s_delay_alu instid0(SALU_CYCLE_1) | instskip(NEXT) | instid1(VALU_DEP_1)
	s_lshl_b64 s[8:9], s[8:9], 4
	v_lshlrev_b64 v[1:2], 4, v[1:2]
	s_add_u32 s8, s10, s8
	s_addc_u32 s9, s11, s9
	s_and_b32 s0, s0, vcc_lo
	s_delay_alu instid0(VALU_DEP_1) | instskip(NEXT) | instid1(VALU_DEP_1)
	v_add_co_u32 v20, s1, s8, v1
	v_add_co_ci_u32_e64 v22, s1, s9, v2, s1
	s_and_saveexec_b32 s1, s0
	s_cbranch_execz .LBB257_5
; %bb.4:
	v_mul_f64 v[1:2], s[6:7], v[18:19]
	v_mul_f64 v[18:19], s[4:5], v[18:19]
	s_delay_alu instid0(VALU_DEP_2) | instskip(NEXT) | instid1(VALU_DEP_2)
	v_fma_f64 v[23:24], s[4:5], v[12:13], -v[1:2]
	v_fma_f64 v[25:26], s[6:7], v[12:13], v[18:19]
	v_ashrrev_i32_e32 v1, 31, v0
	s_delay_alu instid0(VALU_DEP_1) | instskip(NEXT) | instid1(VALU_DEP_1)
	v_lshlrev_b64 v[1:2], 4, v[0:1]
	v_add_co_u32 v1, s0, v20, v1
	s_delay_alu instid0(VALU_DEP_1)
	v_add_co_ci_u32_e64 v2, s0, v22, v2, s0
	global_store_b128 v[1:2], v[23:26], off
.LBB257_5:
	s_or_b32 exec_lo, exec_lo, s1
	v_add_nc_u32_e32 v2, 16, v0
	s_delay_alu instid0(VALU_DEP_1) | instskip(SKIP_1) | instid1(VALU_DEP_1)
	v_cmp_le_i32_e64 s1, v21, v2
	v_cmp_gt_i32_e64 s0, s2, v2
	s_and_b32 s1, s1, s0
	s_delay_alu instid0(SALU_CYCLE_1)
	s_and_saveexec_b32 s2, s1
	s_cbranch_execz .LBB257_7
; %bb.6:
	v_mul_f64 v[12:13], s[6:7], v[6:7]
	v_mul_f64 v[6:7], s[4:5], v[6:7]
	v_ashrrev_i32_e32 v3, 31, v2
	s_delay_alu instid0(VALU_DEP_3) | instskip(NEXT) | instid1(VALU_DEP_3)
	v_fma_f64 v[23:24], s[4:5], v[4:5], -v[12:13]
	v_fma_f64 v[25:26], s[6:7], v[4:5], v[6:7]
	s_delay_alu instid0(VALU_DEP_3) | instskip(NEXT) | instid1(VALU_DEP_1)
	v_lshlrev_b64 v[3:4], 4, v[2:3]
	v_add_co_u32 v3, s1, v20, v3
	s_delay_alu instid0(VALU_DEP_1)
	v_add_co_ci_u32_e64 v4, s1, v22, v4, s1
	global_store_b128 v[3:4], v[23:26], off
.LBB257_7:
	s_or_b32 exec_lo, exec_lo, s2
	v_add_nc_u32_e32 v3, 16, v21
	s_delay_alu instid0(VALU_DEP_1) | instskip(SKIP_1) | instid1(VALU_DEP_2)
	v_mad_i64_i32 v[4:5], null, v3, s3, 0
	v_cmp_le_i32_e64 s1, v3, v0
	v_lshlrev_b64 v[4:5], 4, v[4:5]
	s_delay_alu instid0(VALU_DEP_1) | instskip(NEXT) | instid1(VALU_DEP_1)
	v_add_co_u32 v4, s2, s8, v4
	v_add_co_ci_u32_e64 v5, s2, s9, v5, s2
	s_delay_alu instid0(VALU_DEP_4) | instskip(NEXT) | instid1(SALU_CYCLE_1)
	s_and_b32 s2, s1, vcc_lo
	s_and_saveexec_b32 s1, s2
	s_cbranch_execz .LBB257_9
; %bb.8:
	v_mul_f64 v[6:7], s[6:7], v[14:15]
	v_mul_f64 v[14:15], s[4:5], v[14:15]
	v_ashrrev_i32_e32 v1, 31, v0
	s_delay_alu instid0(VALU_DEP_1) | instskip(NEXT) | instid1(VALU_DEP_1)
	v_lshlrev_b64 v[0:1], 4, v[0:1]
	v_add_co_u32 v0, vcc_lo, v4, v0
	s_delay_alu instid0(VALU_DEP_2)
	v_add_co_ci_u32_e32 v1, vcc_lo, v5, v1, vcc_lo
	v_fma_f64 v[12:13], s[4:5], v[10:11], -v[6:7]
	v_fma_f64 v[14:15], s[6:7], v[10:11], v[14:15]
	global_store_b128 v[0:1], v[12:15], off
.LBB257_9:
	s_or_b32 exec_lo, exec_lo, s1
	v_cmp_le_i32_e32 vcc_lo, v3, v2
	s_and_b32 s0, vcc_lo, s0
	s_delay_alu instid0(SALU_CYCLE_1)
	s_and_saveexec_b32 s1, s0
	s_cbranch_execz .LBB257_11
; %bb.10:
	v_mul_f64 v[0:1], s[6:7], v[8:9]
	v_mul_f64 v[8:9], s[4:5], v[8:9]
	v_ashrrev_i32_e32 v3, 31, v2
	s_delay_alu instid0(VALU_DEP_3) | instskip(NEXT) | instid1(VALU_DEP_3)
	v_fma_f64 v[6:7], s[4:5], v[16:17], -v[0:1]
	v_fma_f64 v[8:9], s[6:7], v[16:17], v[8:9]
	s_delay_alu instid0(VALU_DEP_3) | instskip(NEXT) | instid1(VALU_DEP_1)
	v_lshlrev_b64 v[0:1], 4, v[2:3]
	v_add_co_u32 v0, vcc_lo, v4, v0
	s_delay_alu instid0(VALU_DEP_2)
	v_add_co_ci_u32_e32 v1, vcc_lo, v5, v1, vcc_lo
	global_store_b128 v[0:1], v[6:9], off
.LBB257_11:
	s_nop 0
	s_sendmsg sendmsg(MSG_DEALLOC_VGPRS)
	s_endpgm
	.section	.rodata,"a",@progbits
	.p2align	6, 0x0
	.amdhsa_kernel _ZL37rocblas_syrkx_herkx_restricted_kernelIi19rocblas_complex_numIdELi16ELi32ELi8ELb1ELb0ELc84ELc76EKS1_S1_EviT_T0_PT8_S3_lS6_S3_lS4_PT9_S3_li
		.amdhsa_group_segment_fixed_size 8192
		.amdhsa_private_segment_fixed_size 0
		.amdhsa_kernarg_size 116
		.amdhsa_user_sgpr_count 13
		.amdhsa_user_sgpr_dispatch_ptr 0
		.amdhsa_user_sgpr_queue_ptr 0
		.amdhsa_user_sgpr_kernarg_segment_ptr 1
		.amdhsa_user_sgpr_dispatch_id 0
		.amdhsa_user_sgpr_private_segment_size 0
		.amdhsa_wavefront_size32 1
		.amdhsa_uses_dynamic_stack 0
		.amdhsa_enable_private_segment 0
		.amdhsa_system_sgpr_workgroup_id_x 1
		.amdhsa_system_sgpr_workgroup_id_y 1
		.amdhsa_system_sgpr_workgroup_id_z 1
		.amdhsa_system_sgpr_workgroup_info 0
		.amdhsa_system_vgpr_workitem_id 1
		.amdhsa_next_free_vgpr 52
		.amdhsa_next_free_sgpr 22
		.amdhsa_reserve_vcc 1
		.amdhsa_float_round_mode_32 0
		.amdhsa_float_round_mode_16_64 0
		.amdhsa_float_denorm_mode_32 3
		.amdhsa_float_denorm_mode_16_64 3
		.amdhsa_dx10_clamp 1
		.amdhsa_ieee_mode 1
		.amdhsa_fp16_overflow 0
		.amdhsa_workgroup_processor_mode 1
		.amdhsa_memory_ordered 1
		.amdhsa_forward_progress 0
		.amdhsa_shared_vgpr_count 0
		.amdhsa_exception_fp_ieee_invalid_op 0
		.amdhsa_exception_fp_denorm_src 0
		.amdhsa_exception_fp_ieee_div_zero 0
		.amdhsa_exception_fp_ieee_overflow 0
		.amdhsa_exception_fp_ieee_underflow 0
		.amdhsa_exception_fp_ieee_inexact 0
		.amdhsa_exception_int_div_zero 0
	.end_amdhsa_kernel
	.section	.text._ZL37rocblas_syrkx_herkx_restricted_kernelIi19rocblas_complex_numIdELi16ELi32ELi8ELb1ELb0ELc84ELc76EKS1_S1_EviT_T0_PT8_S3_lS6_S3_lS4_PT9_S3_li,"axG",@progbits,_ZL37rocblas_syrkx_herkx_restricted_kernelIi19rocblas_complex_numIdELi16ELi32ELi8ELb1ELb0ELc84ELc76EKS1_S1_EviT_T0_PT8_S3_lS6_S3_lS4_PT9_S3_li,comdat
.Lfunc_end257:
	.size	_ZL37rocblas_syrkx_herkx_restricted_kernelIi19rocblas_complex_numIdELi16ELi32ELi8ELb1ELb0ELc84ELc76EKS1_S1_EviT_T0_PT8_S3_lS6_S3_lS4_PT9_S3_li, .Lfunc_end257-_ZL37rocblas_syrkx_herkx_restricted_kernelIi19rocblas_complex_numIdELi16ELi32ELi8ELb1ELb0ELc84ELc76EKS1_S1_EviT_T0_PT8_S3_lS6_S3_lS4_PT9_S3_li
                                        ; -- End function
	.section	.AMDGPU.csdata,"",@progbits
; Kernel info:
; codeLenInByte = 3332
; NumSgprs: 24
; NumVgprs: 52
; ScratchSize: 0
; MemoryBound: 0
; FloatMode: 240
; IeeeMode: 1
; LDSByteSize: 8192 bytes/workgroup (compile time only)
; SGPRBlocks: 2
; VGPRBlocks: 6
; NumSGPRsForWavesPerEU: 24
; NumVGPRsForWavesPerEU: 52
; Occupancy: 16
; WaveLimiterHint : 0
; COMPUTE_PGM_RSRC2:SCRATCH_EN: 0
; COMPUTE_PGM_RSRC2:USER_SGPR: 13
; COMPUTE_PGM_RSRC2:TRAP_HANDLER: 0
; COMPUTE_PGM_RSRC2:TGID_X_EN: 1
; COMPUTE_PGM_RSRC2:TGID_Y_EN: 1
; COMPUTE_PGM_RSRC2:TGID_Z_EN: 1
; COMPUTE_PGM_RSRC2:TIDIG_COMP_CNT: 1
	.section	.text._ZL37rocblas_syrkx_herkx_restricted_kernelIi19rocblas_complex_numIdELi16ELi32ELi8ELb1ELb0ELc67ELc76EKS1_S1_EviT_T0_PT8_S3_lS6_S3_lS4_PT9_S3_li,"axG",@progbits,_ZL37rocblas_syrkx_herkx_restricted_kernelIi19rocblas_complex_numIdELi16ELi32ELi8ELb1ELb0ELc67ELc76EKS1_S1_EviT_T0_PT8_S3_lS6_S3_lS4_PT9_S3_li,comdat
	.globl	_ZL37rocblas_syrkx_herkx_restricted_kernelIi19rocblas_complex_numIdELi16ELi32ELi8ELb1ELb0ELc67ELc76EKS1_S1_EviT_T0_PT8_S3_lS6_S3_lS4_PT9_S3_li ; -- Begin function _ZL37rocblas_syrkx_herkx_restricted_kernelIi19rocblas_complex_numIdELi16ELi32ELi8ELb1ELb0ELc67ELc76EKS1_S1_EviT_T0_PT8_S3_lS6_S3_lS4_PT9_S3_li
	.p2align	8
	.type	_ZL37rocblas_syrkx_herkx_restricted_kernelIi19rocblas_complex_numIdELi16ELi32ELi8ELb1ELb0ELc67ELc76EKS1_S1_EviT_T0_PT8_S3_lS6_S3_lS4_PT9_S3_li,@function
_ZL37rocblas_syrkx_herkx_restricted_kernelIi19rocblas_complex_numIdELi16ELi32ELi8ELb1ELb0ELc67ELc76EKS1_S1_EviT_T0_PT8_S3_lS6_S3_lS4_PT9_S3_li: ; @_ZL37rocblas_syrkx_herkx_restricted_kernelIi19rocblas_complex_numIdELi16ELi32ELi8ELb1ELb0ELc67ELc76EKS1_S1_EviT_T0_PT8_S3_lS6_S3_lS4_PT9_S3_li
; %bb.0:
	s_clause 0x2
	s_load_b64 s[2:3], s[0:1], 0x0
	s_load_b128 s[4:7], s[0:1], 0x8
	s_load_b64 s[16:17], s[0:1], 0x18
	v_mov_b32_e32 v12, 0
	v_dual_mov_b32 v13, 0 :: v_dual_and_b32 v20, 0x3ff, v0
	v_bfe_u32 v21, v0, 10, 10
	s_delay_alu instid0(VALU_DEP_3) | instskip(NEXT) | instid1(VALU_DEP_3)
	v_mov_b32_e32 v4, v12
	v_dual_mov_b32 v6, v12 :: v_dual_mov_b32 v7, v13
	v_dual_mov_b32 v19, v13 :: v_dual_mov_b32 v18, v12
	;; [unrolled: 1-line block ×3, first 2 shown]
	v_mov_b32_e32 v11, v13
	v_dual_mov_b32 v15, v13 :: v_dual_mov_b32 v14, v12
	v_dual_mov_b32 v17, v13 :: v_dual_mov_b32 v16, v12
	;; [unrolled: 1-line block ×3, first 2 shown]
	s_lshl_b32 s12, s13, 5
	s_lshl_b32 s13, s14, 5
	s_waitcnt lgkmcnt(0)
	s_cmp_lt_i32 s3, 1
	s_mov_b32 s14, 0
	s_cbranch_scc1 .LBB258_3
; %bb.1:
	s_clause 0x3
	s_load_b32 s20, s[0:1], 0x20
	s_load_b128 s[8:11], s[0:1], 0x28
	s_load_b32 s21, s[0:1], 0x38
	s_load_b64 s[18:19], s[0:1], 0x40
	v_lshl_add_u32 v2, v21, 4, v20
	v_dual_mov_b32 v1, 0 :: v_dual_and_b32 v0, 7, v20
	v_lshlrev_b32_e32 v22, 4, v20
	v_lshl_add_u32 v25, v21, 7, 0x1000
	s_delay_alu instid0(VALU_DEP_4) | instskip(SKIP_3) | instid1(VALU_DEP_4)
	v_lshrrev_b32_e32 v4, 3, v2
	v_and_b32_e32 v5, 31, v2
	v_lshlrev_b32_e32 v3, 4, v0
	v_lshrrev_b32_e32 v2, 5, v2
	v_add_nc_u32_e32 v9, s13, v4
	s_delay_alu instid0(VALU_DEP_4) | instskip(NEXT) | instid1(VALU_DEP_4)
	v_add_nc_u32_e32 v8, s12, v5
	v_lshl_or_b32 v7, v4, 7, v3
	v_dual_mov_b32 v3, v1 :: v_dual_lshlrev_b32 v6, 4, v5
	s_waitcnt lgkmcnt(0)
	s_delay_alu instid0(VALU_DEP_1) | instskip(NEXT) | instid1(VALU_DEP_2)
	v_mad_i64_i32 v[4:5], null, s20, v8, v[2:3]
	v_lshl_or_b32 v23, v2, 9, v6
	s_mul_i32 s9, s9, s15
	s_mul_hi_u32 s20, s8, s15
	v_mad_i64_i32 v[2:3], null, s21, v9, v[0:1]
	s_mul_i32 s8, s8, s15
	s_add_i32 s9, s20, s9
	s_delay_alu instid0(VALU_DEP_3)
	v_lshlrev_b64 v[0:1], 4, v[4:5]
	s_lshl_b64 s[8:9], s[8:9], 4
	v_mov_b32_e32 v8, 0
	v_mov_b32_e32 v9, 0
	s_add_u32 s16, s16, s8
	s_mul_i32 s8, s19, s15
	s_mul_hi_u32 s19, s18, s15
	s_addc_u32 s17, s17, s9
	s_add_i32 s9, s19, s8
	s_mul_i32 s8, s18, s15
	v_lshlrev_b64 v[2:3], 4, v[2:3]
	s_lshl_b64 s[8:9], s[8:9], 4
	v_add_co_u32 v0, vcc_lo, s16, v0
	s_add_u32 s8, s10, s8
	v_add_co_ci_u32_e32 v1, vcc_lo, s17, v1, vcc_lo
	s_addc_u32 s9, s11, s9
	v_add_co_u32 v2, vcc_lo, s8, v2
	v_add_co_ci_u32_e32 v3, vcc_lo, s9, v3, vcc_lo
	v_add_co_u32 v0, vcc_lo, v0, 8
	v_add_co_ci_u32_e32 v1, vcc_lo, 0, v1, vcc_lo
	s_delay_alu instid0(VALU_DEP_4)
	v_add_co_u32 v2, vcc_lo, v2, 8
	v_dual_mov_b32 v17, v9 :: v_dual_add_nc_u32 v24, 0x1000, v7
	v_add_co_ci_u32_e32 v3, vcc_lo, 0, v3, vcc_lo
	v_dual_mov_b32 v16, v8 :: v_dual_mov_b32 v15, v9
	v_dual_mov_b32 v14, v8 :: v_dual_mov_b32 v11, v9
	v_mov_b32_e32 v10, v8
	v_dual_mov_b32 v6, v8 :: v_dual_mov_b32 v7, v9
	v_dual_mov_b32 v4, v8 :: v_dual_mov_b32 v5, v9
	;; [unrolled: 1-line block ×4, first 2 shown]
.LBB258_2:                              ; =>This Inner Loop Header: Depth=1
	global_load_b128 v[26:29], v[0:1], off offset:-8
	v_add_co_u32 v0, vcc_lo, 0x80, v0
	v_add_co_ci_u32_e32 v1, vcc_lo, 0, v1, vcc_lo
	s_add_i32 s14, s14, 8
	s_delay_alu instid0(SALU_CYCLE_1)
	s_cmp_ge_i32 s14, s3
	s_waitcnt vmcnt(0)
	ds_store_b128 v23, v[26:29]
	global_load_b128 v[26:29], v[2:3], off offset:-8
	v_add_co_u32 v2, vcc_lo, 0x80, v2
	v_add_co_ci_u32_e32 v3, vcc_lo, 0, v3, vcc_lo
	s_waitcnt vmcnt(0)
	ds_store_b128 v24, v[26:29]
	s_waitcnt lgkmcnt(0)
	s_barrier
	buffer_gl0_inv
	ds_load_b128 v[26:29], v25
	ds_load_b128 v[30:33], v25 offset:16
	ds_load_b128 v[34:37], v25 offset:32
	;; [unrolled: 1-line block ×3, first 2 shown]
	ds_load_b128 v[42:45], v22
	s_waitcnt lgkmcnt(0)
	v_mul_f64 v[46:47], v[28:29], v[44:45]
	v_mul_f64 v[48:49], v[26:27], v[44:45]
	s_delay_alu instid0(VALU_DEP_2) | instskip(NEXT) | instid1(VALU_DEP_2)
	v_fma_f64 v[46:47], v[26:27], v[42:43], -v[46:47]
	v_fma_f64 v[48:49], v[28:29], v[42:43], v[48:49]
	s_delay_alu instid0(VALU_DEP_2) | instskip(NEXT) | instid1(VALU_DEP_2)
	v_add_f64 v[12:13], v[12:13], v[46:47]
	v_add_f64 v[18:19], v[18:19], v[48:49]
	ds_load_b128 v[46:49], v22 offset:256
	s_waitcnt lgkmcnt(0)
	v_mul_f64 v[50:51], v[28:29], v[48:49]
	s_delay_alu instid0(VALU_DEP_1) | instskip(SKIP_1) | instid1(VALU_DEP_1)
	v_fma_f64 v[50:51], v[26:27], v[46:47], -v[50:51]
	v_mul_f64 v[26:27], v[26:27], v[48:49]
	v_fma_f64 v[26:27], v[28:29], v[46:47], v[26:27]
	s_delay_alu instid0(VALU_DEP_3) | instskip(NEXT) | instid1(VALU_DEP_2)
	v_add_f64 v[28:29], v[4:5], v[50:51]
	v_add_f64 v[26:27], v[6:7], v[26:27]
	ds_load_b128 v[4:7], v25 offset:2048
	s_waitcnt lgkmcnt(0)
	v_mul_f64 v[50:51], v[6:7], v[44:45]
	v_mul_f64 v[44:45], v[4:5], v[44:45]
	s_delay_alu instid0(VALU_DEP_2) | instskip(NEXT) | instid1(VALU_DEP_2)
	v_fma_f64 v[50:51], v[4:5], v[42:43], -v[50:51]
	v_fma_f64 v[42:43], v[6:7], v[42:43], v[44:45]
	s_delay_alu instid0(VALU_DEP_2) | instskip(SKIP_1) | instid1(VALU_DEP_3)
	v_add_f64 v[44:45], v[10:11], v[50:51]
	v_mul_f64 v[10:11], v[6:7], v[48:49]
	v_add_f64 v[42:43], v[14:15], v[42:43]
	s_delay_alu instid0(VALU_DEP_2) | instskip(SKIP_1) | instid1(VALU_DEP_2)
	v_fma_f64 v[10:11], v[4:5], v[46:47], -v[10:11]
	v_mul_f64 v[4:5], v[4:5], v[48:49]
	v_add_f64 v[16:17], v[16:17], v[10:11]
	s_delay_alu instid0(VALU_DEP_2) | instskip(NEXT) | instid1(VALU_DEP_1)
	v_fma_f64 v[4:5], v[6:7], v[46:47], v[4:5]
	v_add_f64 v[46:47], v[8:9], v[4:5]
	ds_load_b128 v[4:7], v22 offset:512
	s_waitcnt lgkmcnt(0)
	v_mul_f64 v[8:9], v[32:33], v[6:7]
	v_mul_f64 v[10:11], v[30:31], v[6:7]
	s_delay_alu instid0(VALU_DEP_2) | instskip(NEXT) | instid1(VALU_DEP_2)
	v_fma_f64 v[8:9], v[30:31], v[4:5], -v[8:9]
	v_fma_f64 v[10:11], v[32:33], v[4:5], v[10:11]
	s_delay_alu instid0(VALU_DEP_2) | instskip(NEXT) | instid1(VALU_DEP_2)
	v_add_f64 v[48:49], v[12:13], v[8:9]
	v_add_f64 v[18:19], v[18:19], v[10:11]
	ds_load_b128 v[8:11], v22 offset:768
	s_waitcnt lgkmcnt(0)
	v_mul_f64 v[12:13], v[32:33], v[10:11]
	v_mul_f64 v[14:15], v[30:31], v[10:11]
	s_delay_alu instid0(VALU_DEP_2) | instskip(NEXT) | instid1(VALU_DEP_2)
	v_fma_f64 v[12:13], v[30:31], v[8:9], -v[12:13]
	v_fma_f64 v[14:15], v[32:33], v[8:9], v[14:15]
	s_delay_alu instid0(VALU_DEP_2) | instskip(NEXT) | instid1(VALU_DEP_2)
	v_add_f64 v[28:29], v[28:29], v[12:13]
	v_add_f64 v[26:27], v[26:27], v[14:15]
	ds_load_b128 v[12:15], v25 offset:2064
	s_waitcnt lgkmcnt(0)
	v_mul_f64 v[30:31], v[14:15], v[6:7]
	v_mul_f64 v[6:7], v[12:13], v[6:7]
	s_delay_alu instid0(VALU_DEP_2) | instskip(NEXT) | instid1(VALU_DEP_2)
	v_fma_f64 v[30:31], v[12:13], v[4:5], -v[30:31]
	v_fma_f64 v[4:5], v[14:15], v[4:5], v[6:7]
	v_mul_f64 v[6:7], v[12:13], v[10:11]
	s_delay_alu instid0(VALU_DEP_3) | instskip(NEXT) | instid1(VALU_DEP_3)
	v_add_f64 v[30:31], v[44:45], v[30:31]
	v_add_f64 v[32:33], v[42:43], v[4:5]
	v_mul_f64 v[4:5], v[14:15], v[10:11]
	s_delay_alu instid0(VALU_DEP_4) | instskip(NEXT) | instid1(VALU_DEP_2)
	v_fma_f64 v[6:7], v[14:15], v[8:9], v[6:7]
	v_fma_f64 v[4:5], v[12:13], v[8:9], -v[4:5]
	s_delay_alu instid0(VALU_DEP_2) | instskip(NEXT) | instid1(VALU_DEP_2)
	v_add_f64 v[42:43], v[46:47], v[6:7]
	v_add_f64 v[16:17], v[16:17], v[4:5]
	ds_load_b128 v[4:7], v22 offset:1024
	s_waitcnt lgkmcnt(0)
	v_mul_f64 v[8:9], v[36:37], v[6:7]
	v_mul_f64 v[10:11], v[34:35], v[6:7]
	s_delay_alu instid0(VALU_DEP_2) | instskip(NEXT) | instid1(VALU_DEP_2)
	v_fma_f64 v[8:9], v[34:35], v[4:5], -v[8:9]
	v_fma_f64 v[10:11], v[36:37], v[4:5], v[10:11]
	s_delay_alu instid0(VALU_DEP_2) | instskip(NEXT) | instid1(VALU_DEP_2)
	v_add_f64 v[44:45], v[48:49], v[8:9]
	v_add_f64 v[18:19], v[18:19], v[10:11]
	ds_load_b128 v[8:11], v22 offset:1280
	s_waitcnt lgkmcnt(0)
	v_mul_f64 v[12:13], v[36:37], v[10:11]
	v_mul_f64 v[14:15], v[34:35], v[10:11]
	s_delay_alu instid0(VALU_DEP_2) | instskip(NEXT) | instid1(VALU_DEP_2)
	v_fma_f64 v[12:13], v[34:35], v[8:9], -v[12:13]
	v_fma_f64 v[14:15], v[36:37], v[8:9], v[14:15]
	s_delay_alu instid0(VALU_DEP_2) | instskip(NEXT) | instid1(VALU_DEP_2)
	v_add_f64 v[28:29], v[28:29], v[12:13]
	v_add_f64 v[26:27], v[26:27], v[14:15]
	ds_load_b128 v[12:15], v25 offset:2080
	s_waitcnt lgkmcnt(0)
	v_mul_f64 v[34:35], v[14:15], v[6:7]
	v_mul_f64 v[6:7], v[12:13], v[6:7]
	s_delay_alu instid0(VALU_DEP_2) | instskip(NEXT) | instid1(VALU_DEP_2)
	v_fma_f64 v[34:35], v[12:13], v[4:5], -v[34:35]
	v_fma_f64 v[4:5], v[14:15], v[4:5], v[6:7]
	v_mul_f64 v[6:7], v[12:13], v[10:11]
	s_delay_alu instid0(VALU_DEP_3) | instskip(NEXT) | instid1(VALU_DEP_3)
	v_add_f64 v[30:31], v[30:31], v[34:35]
	v_add_f64 v[32:33], v[32:33], v[4:5]
	v_mul_f64 v[4:5], v[14:15], v[10:11]
	s_delay_alu instid0(VALU_DEP_4) | instskip(NEXT) | instid1(VALU_DEP_2)
	v_fma_f64 v[6:7], v[14:15], v[8:9], v[6:7]
	v_fma_f64 v[4:5], v[12:13], v[8:9], -v[4:5]
	s_delay_alu instid0(VALU_DEP_2) | instskip(NEXT) | instid1(VALU_DEP_2)
	v_add_f64 v[34:35], v[42:43], v[6:7]
	;; [unrolled: 38-line block ×3, first 2 shown]
	v_add_f64 v[16:17], v[16:17], v[4:5]
	ds_load_b128 v[4:7], v25 offset:64
	ds_load_b128 v[8:11], v22 offset:2048
	s_waitcnt lgkmcnt(0)
	v_mul_f64 v[12:13], v[6:7], v[10:11]
	v_mul_f64 v[14:15], v[4:5], v[10:11]
	s_delay_alu instid0(VALU_DEP_2) | instskip(NEXT) | instid1(VALU_DEP_2)
	v_fma_f64 v[12:13], v[4:5], v[8:9], -v[12:13]
	v_fma_f64 v[14:15], v[6:7], v[8:9], v[14:15]
	s_delay_alu instid0(VALU_DEP_2) | instskip(NEXT) | instid1(VALU_DEP_2)
	v_add_f64 v[36:37], v[36:37], v[12:13]
	v_add_f64 v[18:19], v[18:19], v[14:15]
	ds_load_b128 v[12:15], v22 offset:2304
	s_waitcnt lgkmcnt(0)
	v_mul_f64 v[38:39], v[6:7], v[14:15]
	s_delay_alu instid0(VALU_DEP_1) | instskip(SKIP_1) | instid1(VALU_DEP_2)
	v_fma_f64 v[38:39], v[4:5], v[12:13], -v[38:39]
	v_mul_f64 v[4:5], v[4:5], v[14:15]
	v_add_f64 v[28:29], v[28:29], v[38:39]
	s_delay_alu instid0(VALU_DEP_2) | instskip(NEXT) | instid1(VALU_DEP_1)
	v_fma_f64 v[4:5], v[6:7], v[12:13], v[4:5]
	v_add_f64 v[26:27], v[26:27], v[4:5]
	ds_load_b128 v[4:7], v25 offset:2112
	s_waitcnt lgkmcnt(0)
	v_mul_f64 v[38:39], v[6:7], v[10:11]
	v_mul_f64 v[10:11], v[4:5], v[10:11]
	s_delay_alu instid0(VALU_DEP_2) | instskip(NEXT) | instid1(VALU_DEP_2)
	v_fma_f64 v[38:39], v[4:5], v[8:9], -v[38:39]
	v_fma_f64 v[8:9], v[6:7], v[8:9], v[10:11]
	s_delay_alu instid0(VALU_DEP_2) | instskip(NEXT) | instid1(VALU_DEP_2)
	v_add_f64 v[30:31], v[30:31], v[38:39]
	v_add_f64 v[32:33], v[32:33], v[8:9]
	v_mul_f64 v[8:9], v[6:7], v[14:15]
	s_delay_alu instid0(VALU_DEP_1) | instskip(SKIP_1) | instid1(VALU_DEP_2)
	v_fma_f64 v[8:9], v[4:5], v[12:13], -v[8:9]
	v_mul_f64 v[4:5], v[4:5], v[14:15]
	v_add_f64 v[16:17], v[16:17], v[8:9]
	s_delay_alu instid0(VALU_DEP_2) | instskip(NEXT) | instid1(VALU_DEP_1)
	v_fma_f64 v[4:5], v[6:7], v[12:13], v[4:5]
	v_add_f64 v[34:35], v[34:35], v[4:5]
	ds_load_b128 v[4:7], v25 offset:80
	ds_load_b128 v[8:11], v22 offset:2560
	s_waitcnt lgkmcnt(0)
	v_mul_f64 v[12:13], v[6:7], v[10:11]
	v_mul_f64 v[14:15], v[4:5], v[10:11]
	s_delay_alu instid0(VALU_DEP_2) | instskip(NEXT) | instid1(VALU_DEP_2)
	v_fma_f64 v[12:13], v[4:5], v[8:9], -v[12:13]
	v_fma_f64 v[14:15], v[6:7], v[8:9], v[14:15]
	s_delay_alu instid0(VALU_DEP_2) | instskip(NEXT) | instid1(VALU_DEP_2)
	v_add_f64 v[36:37], v[36:37], v[12:13]
	v_add_f64 v[18:19], v[18:19], v[14:15]
	ds_load_b128 v[12:15], v22 offset:2816
	s_waitcnt lgkmcnt(0)
	v_mul_f64 v[38:39], v[6:7], v[14:15]
	s_delay_alu instid0(VALU_DEP_1) | instskip(SKIP_1) | instid1(VALU_DEP_2)
	v_fma_f64 v[38:39], v[4:5], v[12:13], -v[38:39]
	v_mul_f64 v[4:5], v[4:5], v[14:15]
	v_add_f64 v[28:29], v[28:29], v[38:39]
	s_delay_alu instid0(VALU_DEP_2) | instskip(NEXT) | instid1(VALU_DEP_1)
	v_fma_f64 v[4:5], v[6:7], v[12:13], v[4:5]
	v_add_f64 v[26:27], v[26:27], v[4:5]
	ds_load_b128 v[4:7], v25 offset:2128
	s_waitcnt lgkmcnt(0)
	v_mul_f64 v[38:39], v[6:7], v[10:11]
	v_mul_f64 v[10:11], v[4:5], v[10:11]
	s_delay_alu instid0(VALU_DEP_2) | instskip(NEXT) | instid1(VALU_DEP_2)
	v_fma_f64 v[38:39], v[4:5], v[8:9], -v[38:39]
	v_fma_f64 v[8:9], v[6:7], v[8:9], v[10:11]
	s_delay_alu instid0(VALU_DEP_2) | instskip(NEXT) | instid1(VALU_DEP_2)
	v_add_f64 v[30:31], v[30:31], v[38:39]
	v_add_f64 v[32:33], v[32:33], v[8:9]
	v_mul_f64 v[8:9], v[6:7], v[14:15]
	s_delay_alu instid0(VALU_DEP_1) | instskip(SKIP_1) | instid1(VALU_DEP_2)
	v_fma_f64 v[8:9], v[4:5], v[12:13], -v[8:9]
	v_mul_f64 v[4:5], v[4:5], v[14:15]
	v_add_f64 v[16:17], v[16:17], v[8:9]
	s_delay_alu instid0(VALU_DEP_2) | instskip(NEXT) | instid1(VALU_DEP_1)
	v_fma_f64 v[4:5], v[6:7], v[12:13], v[4:5]
	;; [unrolled: 39-line block ×3, first 2 shown]
	v_add_f64 v[34:35], v[34:35], v[4:5]
	ds_load_b128 v[4:7], v25 offset:112
	ds_load_b128 v[8:11], v22 offset:3584
	;; [unrolled: 1-line block ×4, first 2 shown]
	s_waitcnt lgkmcnt(0)
	s_barrier
	buffer_gl0_inv
	v_mul_f64 v[14:15], v[4:5], v[10:11]
	v_mul_f64 v[12:13], v[6:7], v[10:11]
	s_delay_alu instid0(VALU_DEP_2) | instskip(NEXT) | instid1(VALU_DEP_2)
	v_fma_f64 v[14:15], v[6:7], v[8:9], v[14:15]
	v_fma_f64 v[12:13], v[4:5], v[8:9], -v[12:13]
	s_delay_alu instid0(VALU_DEP_2) | instskip(SKIP_1) | instid1(VALU_DEP_3)
	v_add_f64 v[18:19], v[18:19], v[14:15]
	v_mul_f64 v[14:15], v[6:7], v[28:29]
	v_add_f64 v[12:13], v[36:37], v[12:13]
	s_delay_alu instid0(VALU_DEP_2) | instskip(SKIP_1) | instid1(VALU_DEP_1)
	v_fma_f64 v[14:15], v[4:5], v[26:27], -v[14:15]
	v_mul_f64 v[4:5], v[4:5], v[28:29]
	v_fma_f64 v[6:7], v[6:7], v[26:27], v[4:5]
	s_delay_alu instid0(VALU_DEP_3) | instskip(SKIP_2) | instid1(VALU_DEP_4)
	v_add_f64 v[4:5], v[38:39], v[14:15]
	v_mul_f64 v[14:15], v[32:33], v[10:11]
	v_mul_f64 v[10:11], v[30:31], v[10:11]
	v_add_f64 v[6:7], v[40:41], v[6:7]
	s_delay_alu instid0(VALU_DEP_3) | instskip(NEXT) | instid1(VALU_DEP_3)
	v_fma_f64 v[14:15], v[30:31], v[8:9], -v[14:15]
	v_fma_f64 v[8:9], v[32:33], v[8:9], v[10:11]
	s_delay_alu instid0(VALU_DEP_2) | instskip(NEXT) | instid1(VALU_DEP_2)
	v_add_f64 v[10:11], v[42:43], v[14:15]
	v_add_f64 v[14:15], v[44:45], v[8:9]
	v_mul_f64 v[8:9], v[32:33], v[28:29]
	v_mul_f64 v[28:29], v[30:31], v[28:29]
	s_delay_alu instid0(VALU_DEP_2) | instskip(NEXT) | instid1(VALU_DEP_2)
	v_fma_f64 v[8:9], v[30:31], v[26:27], -v[8:9]
	v_fma_f64 v[26:27], v[32:33], v[26:27], v[28:29]
	s_delay_alu instid0(VALU_DEP_2) | instskip(NEXT) | instid1(VALU_DEP_2)
	v_add_f64 v[16:17], v[16:17], v[8:9]
	v_add_f64 v[8:9], v[34:35], v[26:27]
	s_cbranch_scc0 .LBB258_2
.LBB258_3:
	s_clause 0x2
	s_load_b32 s3, s[0:1], 0x60
	s_load_b64 s[8:9], s[0:1], 0x68
	s_load_b64 s[10:11], s[0:1], 0x58
	v_add_nc_u32_e32 v21, s13, v21
	v_add_nc_u32_e32 v0, s12, v20
	s_delay_alu instid0(VALU_DEP_1)
	v_cmp_le_i32_e64 s0, v21, v0
	v_cmp_gt_i32_e32 vcc_lo, s2, v0
	s_waitcnt lgkmcnt(0)
	v_mad_i64_i32 v[1:2], null, v21, s3, 0
	s_mul_i32 s1, s15, s9
	s_mul_hi_u32 s9, s15, s8
	s_mul_i32 s8, s15, s8
	s_add_i32 s9, s9, s1
	s_delay_alu instid0(SALU_CYCLE_1) | instskip(NEXT) | instid1(VALU_DEP_1)
	s_lshl_b64 s[8:9], s[8:9], 4
	v_lshlrev_b64 v[1:2], 4, v[1:2]
	s_add_u32 s8, s10, s8
	s_addc_u32 s9, s11, s9
	s_and_b32 s0, s0, vcc_lo
	s_delay_alu instid0(VALU_DEP_1) | instskip(NEXT) | instid1(VALU_DEP_1)
	v_add_co_u32 v20, s1, s8, v1
	v_add_co_ci_u32_e64 v22, s1, s9, v2, s1
	s_and_saveexec_b32 s1, s0
	s_cbranch_execz .LBB258_5
; %bb.4:
	v_mul_f64 v[1:2], s[6:7], v[18:19]
	v_mul_f64 v[18:19], s[4:5], v[18:19]
	s_delay_alu instid0(VALU_DEP_2) | instskip(NEXT) | instid1(VALU_DEP_2)
	v_fma_f64 v[23:24], s[4:5], v[12:13], -v[1:2]
	v_fma_f64 v[25:26], s[6:7], v[12:13], v[18:19]
	v_ashrrev_i32_e32 v1, 31, v0
	s_delay_alu instid0(VALU_DEP_1) | instskip(NEXT) | instid1(VALU_DEP_1)
	v_lshlrev_b64 v[1:2], 4, v[0:1]
	v_add_co_u32 v1, s0, v20, v1
	s_delay_alu instid0(VALU_DEP_1)
	v_add_co_ci_u32_e64 v2, s0, v22, v2, s0
	global_store_b128 v[1:2], v[23:26], off
.LBB258_5:
	s_or_b32 exec_lo, exec_lo, s1
	v_add_nc_u32_e32 v2, 16, v0
	s_delay_alu instid0(VALU_DEP_1) | instskip(SKIP_1) | instid1(VALU_DEP_1)
	v_cmp_le_i32_e64 s1, v21, v2
	v_cmp_gt_i32_e64 s0, s2, v2
	s_and_b32 s1, s1, s0
	s_delay_alu instid0(SALU_CYCLE_1)
	s_and_saveexec_b32 s2, s1
	s_cbranch_execz .LBB258_7
; %bb.6:
	v_mul_f64 v[12:13], s[6:7], v[6:7]
	v_mul_f64 v[6:7], s[4:5], v[6:7]
	v_ashrrev_i32_e32 v3, 31, v2
	s_delay_alu instid0(VALU_DEP_3) | instskip(NEXT) | instid1(VALU_DEP_3)
	v_fma_f64 v[23:24], s[4:5], v[4:5], -v[12:13]
	v_fma_f64 v[25:26], s[6:7], v[4:5], v[6:7]
	s_delay_alu instid0(VALU_DEP_3) | instskip(NEXT) | instid1(VALU_DEP_1)
	v_lshlrev_b64 v[3:4], 4, v[2:3]
	v_add_co_u32 v3, s1, v20, v3
	s_delay_alu instid0(VALU_DEP_1)
	v_add_co_ci_u32_e64 v4, s1, v22, v4, s1
	global_store_b128 v[3:4], v[23:26], off
.LBB258_7:
	s_or_b32 exec_lo, exec_lo, s2
	v_add_nc_u32_e32 v3, 16, v21
	s_delay_alu instid0(VALU_DEP_1) | instskip(SKIP_1) | instid1(VALU_DEP_2)
	v_mad_i64_i32 v[4:5], null, v3, s3, 0
	v_cmp_le_i32_e64 s1, v3, v0
	v_lshlrev_b64 v[4:5], 4, v[4:5]
	s_delay_alu instid0(VALU_DEP_1) | instskip(NEXT) | instid1(VALU_DEP_1)
	v_add_co_u32 v4, s2, s8, v4
	v_add_co_ci_u32_e64 v5, s2, s9, v5, s2
	s_delay_alu instid0(VALU_DEP_4) | instskip(NEXT) | instid1(SALU_CYCLE_1)
	s_and_b32 s2, s1, vcc_lo
	s_and_saveexec_b32 s1, s2
	s_cbranch_execz .LBB258_9
; %bb.8:
	v_mul_f64 v[6:7], s[6:7], v[14:15]
	v_mul_f64 v[14:15], s[4:5], v[14:15]
	v_ashrrev_i32_e32 v1, 31, v0
	s_delay_alu instid0(VALU_DEP_1) | instskip(NEXT) | instid1(VALU_DEP_1)
	v_lshlrev_b64 v[0:1], 4, v[0:1]
	v_add_co_u32 v0, vcc_lo, v4, v0
	s_delay_alu instid0(VALU_DEP_2)
	v_add_co_ci_u32_e32 v1, vcc_lo, v5, v1, vcc_lo
	v_fma_f64 v[12:13], s[4:5], v[10:11], -v[6:7]
	v_fma_f64 v[14:15], s[6:7], v[10:11], v[14:15]
	global_store_b128 v[0:1], v[12:15], off
.LBB258_9:
	s_or_b32 exec_lo, exec_lo, s1
	v_cmp_le_i32_e32 vcc_lo, v3, v2
	s_and_b32 s0, vcc_lo, s0
	s_delay_alu instid0(SALU_CYCLE_1)
	s_and_saveexec_b32 s1, s0
	s_cbranch_execz .LBB258_11
; %bb.10:
	v_mul_f64 v[0:1], s[6:7], v[8:9]
	v_mul_f64 v[8:9], s[4:5], v[8:9]
	v_ashrrev_i32_e32 v3, 31, v2
	s_delay_alu instid0(VALU_DEP_3) | instskip(NEXT) | instid1(VALU_DEP_3)
	v_fma_f64 v[6:7], s[4:5], v[16:17], -v[0:1]
	v_fma_f64 v[8:9], s[6:7], v[16:17], v[8:9]
	s_delay_alu instid0(VALU_DEP_3) | instskip(NEXT) | instid1(VALU_DEP_1)
	v_lshlrev_b64 v[0:1], 4, v[2:3]
	v_add_co_u32 v0, vcc_lo, v4, v0
	s_delay_alu instid0(VALU_DEP_2)
	v_add_co_ci_u32_e32 v1, vcc_lo, v5, v1, vcc_lo
	global_store_b128 v[0:1], v[6:9], off
.LBB258_11:
	s_nop 0
	s_sendmsg sendmsg(MSG_DEALLOC_VGPRS)
	s_endpgm
	.section	.rodata,"a",@progbits
	.p2align	6, 0x0
	.amdhsa_kernel _ZL37rocblas_syrkx_herkx_restricted_kernelIi19rocblas_complex_numIdELi16ELi32ELi8ELb1ELb0ELc67ELc76EKS1_S1_EviT_T0_PT8_S3_lS6_S3_lS4_PT9_S3_li
		.amdhsa_group_segment_fixed_size 8192
		.amdhsa_private_segment_fixed_size 0
		.amdhsa_kernarg_size 116
		.amdhsa_user_sgpr_count 13
		.amdhsa_user_sgpr_dispatch_ptr 0
		.amdhsa_user_sgpr_queue_ptr 0
		.amdhsa_user_sgpr_kernarg_segment_ptr 1
		.amdhsa_user_sgpr_dispatch_id 0
		.amdhsa_user_sgpr_private_segment_size 0
		.amdhsa_wavefront_size32 1
		.amdhsa_uses_dynamic_stack 0
		.amdhsa_enable_private_segment 0
		.amdhsa_system_sgpr_workgroup_id_x 1
		.amdhsa_system_sgpr_workgroup_id_y 1
		.amdhsa_system_sgpr_workgroup_id_z 1
		.amdhsa_system_sgpr_workgroup_info 0
		.amdhsa_system_vgpr_workitem_id 1
		.amdhsa_next_free_vgpr 52
		.amdhsa_next_free_sgpr 22
		.amdhsa_reserve_vcc 1
		.amdhsa_float_round_mode_32 0
		.amdhsa_float_round_mode_16_64 0
		.amdhsa_float_denorm_mode_32 3
		.amdhsa_float_denorm_mode_16_64 3
		.amdhsa_dx10_clamp 1
		.amdhsa_ieee_mode 1
		.amdhsa_fp16_overflow 0
		.amdhsa_workgroup_processor_mode 1
		.amdhsa_memory_ordered 1
		.amdhsa_forward_progress 0
		.amdhsa_shared_vgpr_count 0
		.amdhsa_exception_fp_ieee_invalid_op 0
		.amdhsa_exception_fp_denorm_src 0
		.amdhsa_exception_fp_ieee_div_zero 0
		.amdhsa_exception_fp_ieee_overflow 0
		.amdhsa_exception_fp_ieee_underflow 0
		.amdhsa_exception_fp_ieee_inexact 0
		.amdhsa_exception_int_div_zero 0
	.end_amdhsa_kernel
	.section	.text._ZL37rocblas_syrkx_herkx_restricted_kernelIi19rocblas_complex_numIdELi16ELi32ELi8ELb1ELb0ELc67ELc76EKS1_S1_EviT_T0_PT8_S3_lS6_S3_lS4_PT9_S3_li,"axG",@progbits,_ZL37rocblas_syrkx_herkx_restricted_kernelIi19rocblas_complex_numIdELi16ELi32ELi8ELb1ELb0ELc67ELc76EKS1_S1_EviT_T0_PT8_S3_lS6_S3_lS4_PT9_S3_li,comdat
.Lfunc_end258:
	.size	_ZL37rocblas_syrkx_herkx_restricted_kernelIi19rocblas_complex_numIdELi16ELi32ELi8ELb1ELb0ELc67ELc76EKS1_S1_EviT_T0_PT8_S3_lS6_S3_lS4_PT9_S3_li, .Lfunc_end258-_ZL37rocblas_syrkx_herkx_restricted_kernelIi19rocblas_complex_numIdELi16ELi32ELi8ELb1ELb0ELc67ELc76EKS1_S1_EviT_T0_PT8_S3_lS6_S3_lS4_PT9_S3_li
                                        ; -- End function
	.section	.AMDGPU.csdata,"",@progbits
; Kernel info:
; codeLenInByte = 3332
; NumSgprs: 24
; NumVgprs: 52
; ScratchSize: 0
; MemoryBound: 0
; FloatMode: 240
; IeeeMode: 1
; LDSByteSize: 8192 bytes/workgroup (compile time only)
; SGPRBlocks: 2
; VGPRBlocks: 6
; NumSGPRsForWavesPerEU: 24
; NumVGPRsForWavesPerEU: 52
; Occupancy: 16
; WaveLimiterHint : 0
; COMPUTE_PGM_RSRC2:SCRATCH_EN: 0
; COMPUTE_PGM_RSRC2:USER_SGPR: 13
; COMPUTE_PGM_RSRC2:TRAP_HANDLER: 0
; COMPUTE_PGM_RSRC2:TGID_X_EN: 1
; COMPUTE_PGM_RSRC2:TGID_Y_EN: 1
; COMPUTE_PGM_RSRC2:TGID_Z_EN: 1
; COMPUTE_PGM_RSRC2:TIDIG_COMP_CNT: 1
	.section	.text._ZL37rocblas_syrkx_herkx_restricted_kernelIi19rocblas_complex_numIdELi16ELi32ELi8ELb1ELb0ELc78ELc76EKS1_S1_EviT_T0_PT8_S3_lS6_S3_lS4_PT9_S3_li,"axG",@progbits,_ZL37rocblas_syrkx_herkx_restricted_kernelIi19rocblas_complex_numIdELi16ELi32ELi8ELb1ELb0ELc78ELc76EKS1_S1_EviT_T0_PT8_S3_lS6_S3_lS4_PT9_S3_li,comdat
	.globl	_ZL37rocblas_syrkx_herkx_restricted_kernelIi19rocblas_complex_numIdELi16ELi32ELi8ELb1ELb0ELc78ELc76EKS1_S1_EviT_T0_PT8_S3_lS6_S3_lS4_PT9_S3_li ; -- Begin function _ZL37rocblas_syrkx_herkx_restricted_kernelIi19rocblas_complex_numIdELi16ELi32ELi8ELb1ELb0ELc78ELc76EKS1_S1_EviT_T0_PT8_S3_lS6_S3_lS4_PT9_S3_li
	.p2align	8
	.type	_ZL37rocblas_syrkx_herkx_restricted_kernelIi19rocblas_complex_numIdELi16ELi32ELi8ELb1ELb0ELc78ELc76EKS1_S1_EviT_T0_PT8_S3_lS6_S3_lS4_PT9_S3_li,@function
_ZL37rocblas_syrkx_herkx_restricted_kernelIi19rocblas_complex_numIdELi16ELi32ELi8ELb1ELb0ELc78ELc76EKS1_S1_EviT_T0_PT8_S3_lS6_S3_lS4_PT9_S3_li: ; @_ZL37rocblas_syrkx_herkx_restricted_kernelIi19rocblas_complex_numIdELi16ELi32ELi8ELb1ELb0ELc78ELc76EKS1_S1_EviT_T0_PT8_S3_lS6_S3_lS4_PT9_S3_li
; %bb.0:
	s_clause 0x2
	s_load_b64 s[2:3], s[0:1], 0x0
	s_load_b128 s[4:7], s[0:1], 0x8
	s_load_b64 s[16:17], s[0:1], 0x18
	v_mov_b32_e32 v12, 0
	v_dual_mov_b32 v13, 0 :: v_dual_and_b32 v20, 0x3ff, v0
	v_bfe_u32 v21, v0, 10, 10
	s_delay_alu instid0(VALU_DEP_3) | instskip(NEXT) | instid1(VALU_DEP_3)
	v_mov_b32_e32 v4, v12
	v_dual_mov_b32 v6, v12 :: v_dual_mov_b32 v7, v13
	v_dual_mov_b32 v19, v13 :: v_dual_mov_b32 v18, v12
	;; [unrolled: 1-line block ×3, first 2 shown]
	v_mov_b32_e32 v11, v13
	v_dual_mov_b32 v15, v13 :: v_dual_mov_b32 v14, v12
	v_dual_mov_b32 v17, v13 :: v_dual_mov_b32 v16, v12
	;; [unrolled: 1-line block ×3, first 2 shown]
	s_lshl_b32 s12, s13, 5
	s_lshl_b32 s13, s14, 5
	s_waitcnt lgkmcnt(0)
	s_cmp_lt_i32 s3, 1
	s_mov_b32 s14, 0
	s_cbranch_scc1 .LBB259_3
; %bb.1:
	v_lshl_add_u32 v0, v21, 4, v20
	v_and_b32_e32 v6, 7, v20
	s_clause 0x3
	s_load_b32 s18, s[0:1], 0x20
	s_load_b32 s20, s[0:1], 0x38
	s_load_b128 s[8:11], s[0:1], 0x28
	s_load_b64 s[22:23], s[0:1], 0x40
	v_lshrrev_b32_e32 v1, 3, v0
	v_lshlrev_b32_e32 v3, 4, v6
	v_lshrrev_b32_e32 v7, 5, v0
	v_lshl_add_u32 v25, v21, 7, 0x1000
	s_delay_alu instid0(VALU_DEP_3) | instskip(NEXT) | instid1(VALU_DEP_1)
	v_lshl_or_b32 v8, v1, 7, v3
	v_dual_mov_b32 v8, 0 :: v_dual_add_nc_u32 v23, 0x1000, v8
	v_dual_mov_b32 v9, 0 :: v_dual_and_b32 v2, 31, v0
	v_add_nc_u32_e32 v0, s13, v1
	s_waitcnt lgkmcnt(0)
	s_ashr_i32 s19, s18, 31
	s_ashr_i32 s21, s20, 31
	v_mov_b32_e32 v15, v9
	v_dual_mov_b32 v17, v9 :: v_dual_lshlrev_b32 v4, 4, v2
	v_dual_mov_b32 v11, v9 :: v_dual_add_nc_u32 v2, s12, v2
	v_ashrrev_i32_e32 v1, 31, v0
	s_mul_i32 s9, s9, s15
	s_delay_alu instid0(VALU_DEP_3)
	v_lshl_or_b32 v22, v7, 9, v4
	s_mul_hi_u32 s24, s8, s15
	v_ashrrev_i32_e32 v3, 31, v2
	v_mad_i64_i32 v[4:5], null, s20, v6, v[0:1]
	s_add_i32 s9, s24, s9
	s_mul_i32 s8, s8, s15
	s_delay_alu instid0(VALU_DEP_2)
	v_mad_i64_i32 v[0:1], null, s18, v7, v[2:3]
	s_lshl_b64 s[8:9], s[8:9], 4
	v_dual_mov_b32 v14, v8 :: v_dual_mov_b32 v19, v9
	s_add_u32 s8, s16, s8
	s_addc_u32 s9, s17, s9
	s_mul_i32 s16, s23, s15
	s_delay_alu instid0(VALU_DEP_2) | instskip(SKIP_4) | instid1(VALU_DEP_4)
	v_lshlrev_b64 v[0:1], 4, v[0:1]
	s_mul_hi_u32 s17, s22, s15
	v_dual_mov_b32 v10, v8 :: v_dual_mov_b32 v13, v9
	v_mov_b32_e32 v6, v8
	v_lshlrev_b32_e32 v24, 4, v20
	v_add_co_u32 v2, vcc_lo, s8, v0
	v_add_co_ci_u32_e32 v3, vcc_lo, s9, v1, vcc_lo
	s_add_i32 s9, s17, s16
	s_mul_i32 s8, s22, s15
	v_lshlrev_b64 v[0:1], 4, v[4:5]
	s_lshl_b64 s[16:17], s[8:9], 4
	s_lshl_b64 s[8:9], s[18:19], 7
	s_add_u32 s10, s10, s16
	s_addc_u32 s11, s11, s17
	v_mov_b32_e32 v16, v8
	v_add_co_u32 v4, vcc_lo, s10, v0
	v_add_co_ci_u32_e32 v5, vcc_lo, s11, v1, vcc_lo
	v_add_co_u32 v0, vcc_lo, v2, 8
	v_add_co_ci_u32_e32 v1, vcc_lo, 0, v3, vcc_lo
	s_delay_alu instid0(VALU_DEP_4) | instskip(NEXT) | instid1(VALU_DEP_4)
	v_add_co_u32 v2, vcc_lo, v4, 8
	v_add_co_ci_u32_e32 v3, vcc_lo, 0, v5, vcc_lo
	v_dual_mov_b32 v4, v8 :: v_dual_mov_b32 v5, v9
	v_dual_mov_b32 v7, v9 :: v_dual_mov_b32 v18, v8
	v_mov_b32_e32 v12, v8
	s_lshl_b64 s[10:11], s[20:21], 7
.LBB259_2:                              ; =>This Inner Loop Header: Depth=1
	global_load_b128 v[26:29], v[0:1], off offset:-8
	v_add_co_u32 v0, vcc_lo, v0, s8
	v_add_co_ci_u32_e32 v1, vcc_lo, s9, v1, vcc_lo
	s_add_i32 s14, s14, 8
	s_delay_alu instid0(SALU_CYCLE_1)
	s_cmp_ge_i32 s14, s3
	s_waitcnt vmcnt(0)
	ds_store_b128 v22, v[26:29]
	global_load_b128 v[26:29], v[2:3], off offset:-8
	v_add_co_u32 v2, vcc_lo, v2, s10
	v_add_co_ci_u32_e32 v3, vcc_lo, s11, v3, vcc_lo
	s_waitcnt vmcnt(0)
	ds_store_b128 v23, v[26:29]
	s_waitcnt lgkmcnt(0)
	s_barrier
	buffer_gl0_inv
	ds_load_b128 v[26:29], v25
	ds_load_b128 v[30:33], v25 offset:16
	ds_load_b128 v[34:37], v25 offset:32
	;; [unrolled: 1-line block ×3, first 2 shown]
	ds_load_b128 v[42:45], v24
	s_waitcnt lgkmcnt(0)
	v_mul_f64 v[46:47], v[28:29], v[44:45]
	v_mul_f64 v[48:49], v[26:27], v[44:45]
	s_delay_alu instid0(VALU_DEP_2) | instskip(NEXT) | instid1(VALU_DEP_2)
	v_fma_f64 v[46:47], v[26:27], v[42:43], -v[46:47]
	v_fma_f64 v[48:49], v[28:29], v[42:43], v[48:49]
	s_delay_alu instid0(VALU_DEP_2) | instskip(NEXT) | instid1(VALU_DEP_2)
	v_add_f64 v[12:13], v[12:13], v[46:47]
	v_add_f64 v[18:19], v[18:19], v[48:49]
	ds_load_b128 v[46:49], v24 offset:256
	s_waitcnt lgkmcnt(0)
	v_mul_f64 v[50:51], v[28:29], v[48:49]
	s_delay_alu instid0(VALU_DEP_1) | instskip(SKIP_1) | instid1(VALU_DEP_1)
	v_fma_f64 v[50:51], v[26:27], v[46:47], -v[50:51]
	v_mul_f64 v[26:27], v[26:27], v[48:49]
	v_fma_f64 v[26:27], v[28:29], v[46:47], v[26:27]
	s_delay_alu instid0(VALU_DEP_3) | instskip(NEXT) | instid1(VALU_DEP_2)
	v_add_f64 v[28:29], v[4:5], v[50:51]
	v_add_f64 v[26:27], v[6:7], v[26:27]
	ds_load_b128 v[4:7], v25 offset:2048
	s_waitcnt lgkmcnt(0)
	v_mul_f64 v[50:51], v[6:7], v[44:45]
	v_mul_f64 v[44:45], v[4:5], v[44:45]
	s_delay_alu instid0(VALU_DEP_2) | instskip(NEXT) | instid1(VALU_DEP_2)
	v_fma_f64 v[50:51], v[4:5], v[42:43], -v[50:51]
	v_fma_f64 v[42:43], v[6:7], v[42:43], v[44:45]
	s_delay_alu instid0(VALU_DEP_2) | instskip(SKIP_1) | instid1(VALU_DEP_3)
	v_add_f64 v[44:45], v[10:11], v[50:51]
	v_mul_f64 v[10:11], v[6:7], v[48:49]
	v_add_f64 v[42:43], v[14:15], v[42:43]
	s_delay_alu instid0(VALU_DEP_2) | instskip(SKIP_1) | instid1(VALU_DEP_2)
	v_fma_f64 v[10:11], v[4:5], v[46:47], -v[10:11]
	v_mul_f64 v[4:5], v[4:5], v[48:49]
	v_add_f64 v[16:17], v[16:17], v[10:11]
	s_delay_alu instid0(VALU_DEP_2) | instskip(NEXT) | instid1(VALU_DEP_1)
	v_fma_f64 v[4:5], v[6:7], v[46:47], v[4:5]
	v_add_f64 v[46:47], v[8:9], v[4:5]
	ds_load_b128 v[4:7], v24 offset:512
	s_waitcnt lgkmcnt(0)
	v_mul_f64 v[8:9], v[32:33], v[6:7]
	v_mul_f64 v[10:11], v[30:31], v[6:7]
	s_delay_alu instid0(VALU_DEP_2) | instskip(NEXT) | instid1(VALU_DEP_2)
	v_fma_f64 v[8:9], v[30:31], v[4:5], -v[8:9]
	v_fma_f64 v[10:11], v[32:33], v[4:5], v[10:11]
	s_delay_alu instid0(VALU_DEP_2) | instskip(NEXT) | instid1(VALU_DEP_2)
	v_add_f64 v[48:49], v[12:13], v[8:9]
	v_add_f64 v[18:19], v[18:19], v[10:11]
	ds_load_b128 v[8:11], v24 offset:768
	s_waitcnt lgkmcnt(0)
	v_mul_f64 v[12:13], v[32:33], v[10:11]
	v_mul_f64 v[14:15], v[30:31], v[10:11]
	s_delay_alu instid0(VALU_DEP_2) | instskip(NEXT) | instid1(VALU_DEP_2)
	v_fma_f64 v[12:13], v[30:31], v[8:9], -v[12:13]
	v_fma_f64 v[14:15], v[32:33], v[8:9], v[14:15]
	s_delay_alu instid0(VALU_DEP_2) | instskip(NEXT) | instid1(VALU_DEP_2)
	v_add_f64 v[28:29], v[28:29], v[12:13]
	v_add_f64 v[26:27], v[26:27], v[14:15]
	ds_load_b128 v[12:15], v25 offset:2064
	s_waitcnt lgkmcnt(0)
	v_mul_f64 v[30:31], v[14:15], v[6:7]
	v_mul_f64 v[6:7], v[12:13], v[6:7]
	s_delay_alu instid0(VALU_DEP_2) | instskip(NEXT) | instid1(VALU_DEP_2)
	v_fma_f64 v[30:31], v[12:13], v[4:5], -v[30:31]
	v_fma_f64 v[4:5], v[14:15], v[4:5], v[6:7]
	v_mul_f64 v[6:7], v[12:13], v[10:11]
	s_delay_alu instid0(VALU_DEP_3) | instskip(NEXT) | instid1(VALU_DEP_3)
	v_add_f64 v[30:31], v[44:45], v[30:31]
	v_add_f64 v[32:33], v[42:43], v[4:5]
	v_mul_f64 v[4:5], v[14:15], v[10:11]
	s_delay_alu instid0(VALU_DEP_4) | instskip(NEXT) | instid1(VALU_DEP_2)
	v_fma_f64 v[6:7], v[14:15], v[8:9], v[6:7]
	v_fma_f64 v[4:5], v[12:13], v[8:9], -v[4:5]
	s_delay_alu instid0(VALU_DEP_2) | instskip(NEXT) | instid1(VALU_DEP_2)
	v_add_f64 v[42:43], v[46:47], v[6:7]
	v_add_f64 v[16:17], v[16:17], v[4:5]
	ds_load_b128 v[4:7], v24 offset:1024
	s_waitcnt lgkmcnt(0)
	v_mul_f64 v[8:9], v[36:37], v[6:7]
	v_mul_f64 v[10:11], v[34:35], v[6:7]
	s_delay_alu instid0(VALU_DEP_2) | instskip(NEXT) | instid1(VALU_DEP_2)
	v_fma_f64 v[8:9], v[34:35], v[4:5], -v[8:9]
	v_fma_f64 v[10:11], v[36:37], v[4:5], v[10:11]
	s_delay_alu instid0(VALU_DEP_2) | instskip(NEXT) | instid1(VALU_DEP_2)
	v_add_f64 v[44:45], v[48:49], v[8:9]
	v_add_f64 v[18:19], v[18:19], v[10:11]
	ds_load_b128 v[8:11], v24 offset:1280
	s_waitcnt lgkmcnt(0)
	v_mul_f64 v[12:13], v[36:37], v[10:11]
	v_mul_f64 v[14:15], v[34:35], v[10:11]
	s_delay_alu instid0(VALU_DEP_2) | instskip(NEXT) | instid1(VALU_DEP_2)
	v_fma_f64 v[12:13], v[34:35], v[8:9], -v[12:13]
	v_fma_f64 v[14:15], v[36:37], v[8:9], v[14:15]
	s_delay_alu instid0(VALU_DEP_2) | instskip(NEXT) | instid1(VALU_DEP_2)
	v_add_f64 v[28:29], v[28:29], v[12:13]
	v_add_f64 v[26:27], v[26:27], v[14:15]
	ds_load_b128 v[12:15], v25 offset:2080
	s_waitcnt lgkmcnt(0)
	v_mul_f64 v[34:35], v[14:15], v[6:7]
	v_mul_f64 v[6:7], v[12:13], v[6:7]
	s_delay_alu instid0(VALU_DEP_2) | instskip(NEXT) | instid1(VALU_DEP_2)
	v_fma_f64 v[34:35], v[12:13], v[4:5], -v[34:35]
	v_fma_f64 v[4:5], v[14:15], v[4:5], v[6:7]
	v_mul_f64 v[6:7], v[12:13], v[10:11]
	s_delay_alu instid0(VALU_DEP_3) | instskip(NEXT) | instid1(VALU_DEP_3)
	v_add_f64 v[30:31], v[30:31], v[34:35]
	v_add_f64 v[32:33], v[32:33], v[4:5]
	v_mul_f64 v[4:5], v[14:15], v[10:11]
	s_delay_alu instid0(VALU_DEP_4) | instskip(NEXT) | instid1(VALU_DEP_2)
	v_fma_f64 v[6:7], v[14:15], v[8:9], v[6:7]
	v_fma_f64 v[4:5], v[12:13], v[8:9], -v[4:5]
	s_delay_alu instid0(VALU_DEP_2) | instskip(NEXT) | instid1(VALU_DEP_2)
	v_add_f64 v[34:35], v[42:43], v[6:7]
	;; [unrolled: 38-line block ×3, first 2 shown]
	v_add_f64 v[16:17], v[16:17], v[4:5]
	ds_load_b128 v[4:7], v25 offset:64
	ds_load_b128 v[8:11], v24 offset:2048
	s_waitcnt lgkmcnt(0)
	v_mul_f64 v[12:13], v[6:7], v[10:11]
	v_mul_f64 v[14:15], v[4:5], v[10:11]
	s_delay_alu instid0(VALU_DEP_2) | instskip(NEXT) | instid1(VALU_DEP_2)
	v_fma_f64 v[12:13], v[4:5], v[8:9], -v[12:13]
	v_fma_f64 v[14:15], v[6:7], v[8:9], v[14:15]
	s_delay_alu instid0(VALU_DEP_2) | instskip(NEXT) | instid1(VALU_DEP_2)
	v_add_f64 v[36:37], v[36:37], v[12:13]
	v_add_f64 v[18:19], v[18:19], v[14:15]
	ds_load_b128 v[12:15], v24 offset:2304
	s_waitcnt lgkmcnt(0)
	v_mul_f64 v[38:39], v[6:7], v[14:15]
	s_delay_alu instid0(VALU_DEP_1) | instskip(SKIP_1) | instid1(VALU_DEP_2)
	v_fma_f64 v[38:39], v[4:5], v[12:13], -v[38:39]
	v_mul_f64 v[4:5], v[4:5], v[14:15]
	v_add_f64 v[28:29], v[28:29], v[38:39]
	s_delay_alu instid0(VALU_DEP_2) | instskip(NEXT) | instid1(VALU_DEP_1)
	v_fma_f64 v[4:5], v[6:7], v[12:13], v[4:5]
	v_add_f64 v[26:27], v[26:27], v[4:5]
	ds_load_b128 v[4:7], v25 offset:2112
	s_waitcnt lgkmcnt(0)
	v_mul_f64 v[38:39], v[6:7], v[10:11]
	v_mul_f64 v[10:11], v[4:5], v[10:11]
	s_delay_alu instid0(VALU_DEP_2) | instskip(NEXT) | instid1(VALU_DEP_2)
	v_fma_f64 v[38:39], v[4:5], v[8:9], -v[38:39]
	v_fma_f64 v[8:9], v[6:7], v[8:9], v[10:11]
	s_delay_alu instid0(VALU_DEP_2) | instskip(NEXT) | instid1(VALU_DEP_2)
	v_add_f64 v[30:31], v[30:31], v[38:39]
	v_add_f64 v[32:33], v[32:33], v[8:9]
	v_mul_f64 v[8:9], v[6:7], v[14:15]
	s_delay_alu instid0(VALU_DEP_1) | instskip(SKIP_1) | instid1(VALU_DEP_2)
	v_fma_f64 v[8:9], v[4:5], v[12:13], -v[8:9]
	v_mul_f64 v[4:5], v[4:5], v[14:15]
	v_add_f64 v[16:17], v[16:17], v[8:9]
	s_delay_alu instid0(VALU_DEP_2) | instskip(NEXT) | instid1(VALU_DEP_1)
	v_fma_f64 v[4:5], v[6:7], v[12:13], v[4:5]
	v_add_f64 v[34:35], v[34:35], v[4:5]
	ds_load_b128 v[4:7], v25 offset:80
	ds_load_b128 v[8:11], v24 offset:2560
	s_waitcnt lgkmcnt(0)
	v_mul_f64 v[12:13], v[6:7], v[10:11]
	v_mul_f64 v[14:15], v[4:5], v[10:11]
	s_delay_alu instid0(VALU_DEP_2) | instskip(NEXT) | instid1(VALU_DEP_2)
	v_fma_f64 v[12:13], v[4:5], v[8:9], -v[12:13]
	v_fma_f64 v[14:15], v[6:7], v[8:9], v[14:15]
	s_delay_alu instid0(VALU_DEP_2) | instskip(NEXT) | instid1(VALU_DEP_2)
	v_add_f64 v[36:37], v[36:37], v[12:13]
	v_add_f64 v[18:19], v[18:19], v[14:15]
	ds_load_b128 v[12:15], v24 offset:2816
	s_waitcnt lgkmcnt(0)
	v_mul_f64 v[38:39], v[6:7], v[14:15]
	s_delay_alu instid0(VALU_DEP_1) | instskip(SKIP_1) | instid1(VALU_DEP_2)
	v_fma_f64 v[38:39], v[4:5], v[12:13], -v[38:39]
	v_mul_f64 v[4:5], v[4:5], v[14:15]
	v_add_f64 v[28:29], v[28:29], v[38:39]
	s_delay_alu instid0(VALU_DEP_2) | instskip(NEXT) | instid1(VALU_DEP_1)
	v_fma_f64 v[4:5], v[6:7], v[12:13], v[4:5]
	v_add_f64 v[26:27], v[26:27], v[4:5]
	ds_load_b128 v[4:7], v25 offset:2128
	s_waitcnt lgkmcnt(0)
	v_mul_f64 v[38:39], v[6:7], v[10:11]
	v_mul_f64 v[10:11], v[4:5], v[10:11]
	s_delay_alu instid0(VALU_DEP_2) | instskip(NEXT) | instid1(VALU_DEP_2)
	v_fma_f64 v[38:39], v[4:5], v[8:9], -v[38:39]
	v_fma_f64 v[8:9], v[6:7], v[8:9], v[10:11]
	s_delay_alu instid0(VALU_DEP_2) | instskip(NEXT) | instid1(VALU_DEP_2)
	v_add_f64 v[30:31], v[30:31], v[38:39]
	v_add_f64 v[32:33], v[32:33], v[8:9]
	v_mul_f64 v[8:9], v[6:7], v[14:15]
	s_delay_alu instid0(VALU_DEP_1) | instskip(SKIP_1) | instid1(VALU_DEP_2)
	v_fma_f64 v[8:9], v[4:5], v[12:13], -v[8:9]
	v_mul_f64 v[4:5], v[4:5], v[14:15]
	v_add_f64 v[16:17], v[16:17], v[8:9]
	s_delay_alu instid0(VALU_DEP_2) | instskip(NEXT) | instid1(VALU_DEP_1)
	v_fma_f64 v[4:5], v[6:7], v[12:13], v[4:5]
	;; [unrolled: 39-line block ×3, first 2 shown]
	v_add_f64 v[34:35], v[34:35], v[4:5]
	ds_load_b128 v[4:7], v25 offset:112
	ds_load_b128 v[8:11], v24 offset:3584
	;; [unrolled: 1-line block ×4, first 2 shown]
	s_waitcnt lgkmcnt(0)
	s_barrier
	buffer_gl0_inv
	v_mul_f64 v[14:15], v[4:5], v[10:11]
	v_mul_f64 v[12:13], v[6:7], v[10:11]
	s_delay_alu instid0(VALU_DEP_2) | instskip(NEXT) | instid1(VALU_DEP_2)
	v_fma_f64 v[14:15], v[6:7], v[8:9], v[14:15]
	v_fma_f64 v[12:13], v[4:5], v[8:9], -v[12:13]
	s_delay_alu instid0(VALU_DEP_2) | instskip(SKIP_1) | instid1(VALU_DEP_3)
	v_add_f64 v[18:19], v[18:19], v[14:15]
	v_mul_f64 v[14:15], v[6:7], v[28:29]
	v_add_f64 v[12:13], v[36:37], v[12:13]
	s_delay_alu instid0(VALU_DEP_2) | instskip(SKIP_1) | instid1(VALU_DEP_1)
	v_fma_f64 v[14:15], v[4:5], v[26:27], -v[14:15]
	v_mul_f64 v[4:5], v[4:5], v[28:29]
	v_fma_f64 v[6:7], v[6:7], v[26:27], v[4:5]
	s_delay_alu instid0(VALU_DEP_3) | instskip(SKIP_2) | instid1(VALU_DEP_4)
	v_add_f64 v[4:5], v[38:39], v[14:15]
	v_mul_f64 v[14:15], v[32:33], v[10:11]
	v_mul_f64 v[10:11], v[30:31], v[10:11]
	v_add_f64 v[6:7], v[40:41], v[6:7]
	s_delay_alu instid0(VALU_DEP_3) | instskip(NEXT) | instid1(VALU_DEP_3)
	v_fma_f64 v[14:15], v[30:31], v[8:9], -v[14:15]
	v_fma_f64 v[8:9], v[32:33], v[8:9], v[10:11]
	s_delay_alu instid0(VALU_DEP_2) | instskip(NEXT) | instid1(VALU_DEP_2)
	v_add_f64 v[10:11], v[42:43], v[14:15]
	v_add_f64 v[14:15], v[44:45], v[8:9]
	v_mul_f64 v[8:9], v[32:33], v[28:29]
	v_mul_f64 v[28:29], v[30:31], v[28:29]
	s_delay_alu instid0(VALU_DEP_2) | instskip(NEXT) | instid1(VALU_DEP_2)
	v_fma_f64 v[8:9], v[30:31], v[26:27], -v[8:9]
	v_fma_f64 v[26:27], v[32:33], v[26:27], v[28:29]
	s_delay_alu instid0(VALU_DEP_2) | instskip(NEXT) | instid1(VALU_DEP_2)
	v_add_f64 v[16:17], v[16:17], v[8:9]
	v_add_f64 v[8:9], v[34:35], v[26:27]
	s_cbranch_scc0 .LBB259_2
.LBB259_3:
	s_clause 0x2
	s_load_b32 s3, s[0:1], 0x60
	s_load_b64 s[8:9], s[0:1], 0x68
	s_load_b64 s[10:11], s[0:1], 0x58
	v_add_nc_u32_e32 v21, s13, v21
	v_add_nc_u32_e32 v0, s12, v20
	s_delay_alu instid0(VALU_DEP_1)
	v_cmp_le_i32_e64 s0, v21, v0
	v_cmp_gt_i32_e32 vcc_lo, s2, v0
	s_waitcnt lgkmcnt(0)
	v_mad_i64_i32 v[1:2], null, v21, s3, 0
	s_mul_i32 s1, s15, s9
	s_mul_hi_u32 s9, s15, s8
	s_mul_i32 s8, s15, s8
	s_add_i32 s9, s9, s1
	s_delay_alu instid0(SALU_CYCLE_1) | instskip(NEXT) | instid1(VALU_DEP_1)
	s_lshl_b64 s[8:9], s[8:9], 4
	v_lshlrev_b64 v[1:2], 4, v[1:2]
	s_add_u32 s8, s10, s8
	s_addc_u32 s9, s11, s9
	s_and_b32 s0, s0, vcc_lo
	s_delay_alu instid0(VALU_DEP_1) | instskip(NEXT) | instid1(VALU_DEP_1)
	v_add_co_u32 v20, s1, s8, v1
	v_add_co_ci_u32_e64 v22, s1, s9, v2, s1
	s_and_saveexec_b32 s1, s0
	s_cbranch_execz .LBB259_5
; %bb.4:
	v_mul_f64 v[1:2], s[6:7], v[18:19]
	v_mul_f64 v[18:19], s[4:5], v[18:19]
	s_delay_alu instid0(VALU_DEP_2) | instskip(NEXT) | instid1(VALU_DEP_2)
	v_fma_f64 v[23:24], s[4:5], v[12:13], -v[1:2]
	v_fma_f64 v[25:26], s[6:7], v[12:13], v[18:19]
	v_ashrrev_i32_e32 v1, 31, v0
	s_delay_alu instid0(VALU_DEP_1) | instskip(NEXT) | instid1(VALU_DEP_1)
	v_lshlrev_b64 v[1:2], 4, v[0:1]
	v_add_co_u32 v1, s0, v20, v1
	s_delay_alu instid0(VALU_DEP_1)
	v_add_co_ci_u32_e64 v2, s0, v22, v2, s0
	global_store_b128 v[1:2], v[23:26], off
.LBB259_5:
	s_or_b32 exec_lo, exec_lo, s1
	v_add_nc_u32_e32 v2, 16, v0
	s_delay_alu instid0(VALU_DEP_1) | instskip(SKIP_1) | instid1(VALU_DEP_1)
	v_cmp_le_i32_e64 s1, v21, v2
	v_cmp_gt_i32_e64 s0, s2, v2
	s_and_b32 s1, s1, s0
	s_delay_alu instid0(SALU_CYCLE_1)
	s_and_saveexec_b32 s2, s1
	s_cbranch_execz .LBB259_7
; %bb.6:
	v_mul_f64 v[12:13], s[6:7], v[6:7]
	v_mul_f64 v[6:7], s[4:5], v[6:7]
	v_ashrrev_i32_e32 v3, 31, v2
	s_delay_alu instid0(VALU_DEP_3) | instskip(NEXT) | instid1(VALU_DEP_3)
	v_fma_f64 v[23:24], s[4:5], v[4:5], -v[12:13]
	v_fma_f64 v[25:26], s[6:7], v[4:5], v[6:7]
	s_delay_alu instid0(VALU_DEP_3) | instskip(NEXT) | instid1(VALU_DEP_1)
	v_lshlrev_b64 v[3:4], 4, v[2:3]
	v_add_co_u32 v3, s1, v20, v3
	s_delay_alu instid0(VALU_DEP_1)
	v_add_co_ci_u32_e64 v4, s1, v22, v4, s1
	global_store_b128 v[3:4], v[23:26], off
.LBB259_7:
	s_or_b32 exec_lo, exec_lo, s2
	v_add_nc_u32_e32 v3, 16, v21
	s_delay_alu instid0(VALU_DEP_1) | instskip(SKIP_1) | instid1(VALU_DEP_2)
	v_mad_i64_i32 v[4:5], null, v3, s3, 0
	v_cmp_le_i32_e64 s1, v3, v0
	v_lshlrev_b64 v[4:5], 4, v[4:5]
	s_delay_alu instid0(VALU_DEP_1) | instskip(NEXT) | instid1(VALU_DEP_1)
	v_add_co_u32 v4, s2, s8, v4
	v_add_co_ci_u32_e64 v5, s2, s9, v5, s2
	s_delay_alu instid0(VALU_DEP_4) | instskip(NEXT) | instid1(SALU_CYCLE_1)
	s_and_b32 s2, s1, vcc_lo
	s_and_saveexec_b32 s1, s2
	s_cbranch_execz .LBB259_9
; %bb.8:
	v_mul_f64 v[6:7], s[6:7], v[14:15]
	v_mul_f64 v[14:15], s[4:5], v[14:15]
	v_ashrrev_i32_e32 v1, 31, v0
	s_delay_alu instid0(VALU_DEP_1) | instskip(NEXT) | instid1(VALU_DEP_1)
	v_lshlrev_b64 v[0:1], 4, v[0:1]
	v_add_co_u32 v0, vcc_lo, v4, v0
	s_delay_alu instid0(VALU_DEP_2)
	v_add_co_ci_u32_e32 v1, vcc_lo, v5, v1, vcc_lo
	v_fma_f64 v[12:13], s[4:5], v[10:11], -v[6:7]
	v_fma_f64 v[14:15], s[6:7], v[10:11], v[14:15]
	global_store_b128 v[0:1], v[12:15], off
.LBB259_9:
	s_or_b32 exec_lo, exec_lo, s1
	v_cmp_le_i32_e32 vcc_lo, v3, v2
	s_and_b32 s0, vcc_lo, s0
	s_delay_alu instid0(SALU_CYCLE_1)
	s_and_saveexec_b32 s1, s0
	s_cbranch_execz .LBB259_11
; %bb.10:
	v_mul_f64 v[0:1], s[6:7], v[8:9]
	v_mul_f64 v[8:9], s[4:5], v[8:9]
	v_ashrrev_i32_e32 v3, 31, v2
	s_delay_alu instid0(VALU_DEP_3) | instskip(NEXT) | instid1(VALU_DEP_3)
	v_fma_f64 v[6:7], s[4:5], v[16:17], -v[0:1]
	v_fma_f64 v[8:9], s[6:7], v[16:17], v[8:9]
	s_delay_alu instid0(VALU_DEP_3) | instskip(NEXT) | instid1(VALU_DEP_1)
	v_lshlrev_b64 v[0:1], 4, v[2:3]
	v_add_co_u32 v0, vcc_lo, v4, v0
	s_delay_alu instid0(VALU_DEP_2)
	v_add_co_ci_u32_e32 v1, vcc_lo, v5, v1, vcc_lo
	global_store_b128 v[0:1], v[6:9], off
.LBB259_11:
	s_nop 0
	s_sendmsg sendmsg(MSG_DEALLOC_VGPRS)
	s_endpgm
	.section	.rodata,"a",@progbits
	.p2align	6, 0x0
	.amdhsa_kernel _ZL37rocblas_syrkx_herkx_restricted_kernelIi19rocblas_complex_numIdELi16ELi32ELi8ELb1ELb0ELc78ELc76EKS1_S1_EviT_T0_PT8_S3_lS6_S3_lS4_PT9_S3_li
		.amdhsa_group_segment_fixed_size 8192
		.amdhsa_private_segment_fixed_size 0
		.amdhsa_kernarg_size 116
		.amdhsa_user_sgpr_count 13
		.amdhsa_user_sgpr_dispatch_ptr 0
		.amdhsa_user_sgpr_queue_ptr 0
		.amdhsa_user_sgpr_kernarg_segment_ptr 1
		.amdhsa_user_sgpr_dispatch_id 0
		.amdhsa_user_sgpr_private_segment_size 0
		.amdhsa_wavefront_size32 1
		.amdhsa_uses_dynamic_stack 0
		.amdhsa_enable_private_segment 0
		.amdhsa_system_sgpr_workgroup_id_x 1
		.amdhsa_system_sgpr_workgroup_id_y 1
		.amdhsa_system_sgpr_workgroup_id_z 1
		.amdhsa_system_sgpr_workgroup_info 0
		.amdhsa_system_vgpr_workitem_id 1
		.amdhsa_next_free_vgpr 52
		.amdhsa_next_free_sgpr 25
		.amdhsa_reserve_vcc 1
		.amdhsa_float_round_mode_32 0
		.amdhsa_float_round_mode_16_64 0
		.amdhsa_float_denorm_mode_32 3
		.amdhsa_float_denorm_mode_16_64 3
		.amdhsa_dx10_clamp 1
		.amdhsa_ieee_mode 1
		.amdhsa_fp16_overflow 0
		.amdhsa_workgroup_processor_mode 1
		.amdhsa_memory_ordered 1
		.amdhsa_forward_progress 0
		.amdhsa_shared_vgpr_count 0
		.amdhsa_exception_fp_ieee_invalid_op 0
		.amdhsa_exception_fp_denorm_src 0
		.amdhsa_exception_fp_ieee_div_zero 0
		.amdhsa_exception_fp_ieee_overflow 0
		.amdhsa_exception_fp_ieee_underflow 0
		.amdhsa_exception_fp_ieee_inexact 0
		.amdhsa_exception_int_div_zero 0
	.end_amdhsa_kernel
	.section	.text._ZL37rocblas_syrkx_herkx_restricted_kernelIi19rocblas_complex_numIdELi16ELi32ELi8ELb1ELb0ELc78ELc76EKS1_S1_EviT_T0_PT8_S3_lS6_S3_lS4_PT9_S3_li,"axG",@progbits,_ZL37rocblas_syrkx_herkx_restricted_kernelIi19rocblas_complex_numIdELi16ELi32ELi8ELb1ELb0ELc78ELc76EKS1_S1_EviT_T0_PT8_S3_lS6_S3_lS4_PT9_S3_li,comdat
.Lfunc_end259:
	.size	_ZL37rocblas_syrkx_herkx_restricted_kernelIi19rocblas_complex_numIdELi16ELi32ELi8ELb1ELb0ELc78ELc76EKS1_S1_EviT_T0_PT8_S3_lS6_S3_lS4_PT9_S3_li, .Lfunc_end259-_ZL37rocblas_syrkx_herkx_restricted_kernelIi19rocblas_complex_numIdELi16ELi32ELi8ELb1ELb0ELc78ELc76EKS1_S1_EviT_T0_PT8_S3_lS6_S3_lS4_PT9_S3_li
                                        ; -- End function
	.section	.AMDGPU.csdata,"",@progbits
; Kernel info:
; codeLenInByte = 3340
; NumSgprs: 27
; NumVgprs: 52
; ScratchSize: 0
; MemoryBound: 0
; FloatMode: 240
; IeeeMode: 1
; LDSByteSize: 8192 bytes/workgroup (compile time only)
; SGPRBlocks: 3
; VGPRBlocks: 6
; NumSGPRsForWavesPerEU: 27
; NumVGPRsForWavesPerEU: 52
; Occupancy: 16
; WaveLimiterHint : 0
; COMPUTE_PGM_RSRC2:SCRATCH_EN: 0
; COMPUTE_PGM_RSRC2:USER_SGPR: 13
; COMPUTE_PGM_RSRC2:TRAP_HANDLER: 0
; COMPUTE_PGM_RSRC2:TGID_X_EN: 1
; COMPUTE_PGM_RSRC2:TGID_Y_EN: 1
; COMPUTE_PGM_RSRC2:TGID_Z_EN: 1
; COMPUTE_PGM_RSRC2:TIDIG_COMP_CNT: 1
	.section	.text._ZL37rocblas_syrkx_herkx_restricted_kernelIi19rocblas_complex_numIdELi16ELi32ELi8ELb1ELb0ELc84ELc85EKS1_S1_EviT_T0_PT8_S3_lS6_S3_lS4_PT9_S3_li,"axG",@progbits,_ZL37rocblas_syrkx_herkx_restricted_kernelIi19rocblas_complex_numIdELi16ELi32ELi8ELb1ELb0ELc84ELc85EKS1_S1_EviT_T0_PT8_S3_lS6_S3_lS4_PT9_S3_li,comdat
	.globl	_ZL37rocblas_syrkx_herkx_restricted_kernelIi19rocblas_complex_numIdELi16ELi32ELi8ELb1ELb0ELc84ELc85EKS1_S1_EviT_T0_PT8_S3_lS6_S3_lS4_PT9_S3_li ; -- Begin function _ZL37rocblas_syrkx_herkx_restricted_kernelIi19rocblas_complex_numIdELi16ELi32ELi8ELb1ELb0ELc84ELc85EKS1_S1_EviT_T0_PT8_S3_lS6_S3_lS4_PT9_S3_li
	.p2align	8
	.type	_ZL37rocblas_syrkx_herkx_restricted_kernelIi19rocblas_complex_numIdELi16ELi32ELi8ELb1ELb0ELc84ELc85EKS1_S1_EviT_T0_PT8_S3_lS6_S3_lS4_PT9_S3_li,@function
_ZL37rocblas_syrkx_herkx_restricted_kernelIi19rocblas_complex_numIdELi16ELi32ELi8ELb1ELb0ELc84ELc85EKS1_S1_EviT_T0_PT8_S3_lS6_S3_lS4_PT9_S3_li: ; @_ZL37rocblas_syrkx_herkx_restricted_kernelIi19rocblas_complex_numIdELi16ELi32ELi8ELb1ELb0ELc84ELc85EKS1_S1_EviT_T0_PT8_S3_lS6_S3_lS4_PT9_S3_li
; %bb.0:
	s_clause 0x2
	s_load_b64 s[2:3], s[0:1], 0x0
	s_load_b128 s[4:7], s[0:1], 0x8
	s_load_b64 s[16:17], s[0:1], 0x18
	v_mov_b32_e32 v14, 0
	v_dual_mov_b32 v15, 0 :: v_dual_and_b32 v20, 0x3ff, v0
	v_bfe_u32 v21, v0, 10, 10
	s_delay_alu instid0(VALU_DEP_3) | instskip(NEXT) | instid1(VALU_DEP_3)
	v_mov_b32_e32 v4, v14
	v_dual_mov_b32 v6, v14 :: v_dual_mov_b32 v7, v15
	v_dual_mov_b32 v19, v15 :: v_dual_mov_b32 v18, v14
	;; [unrolled: 1-line block ×4, first 2 shown]
	v_mov_b32_e32 v13, v15
	v_dual_mov_b32 v17, v15 :: v_dual_mov_b32 v16, v14
	v_dual_mov_b32 v8, v14 :: v_dual_mov_b32 v9, v15
	s_lshl_b32 s12, s13, 5
	s_lshl_b32 s13, s14, 5
	s_waitcnt lgkmcnt(0)
	s_cmp_lt_i32 s3, 1
	s_mov_b32 s14, 0
	s_cbranch_scc1 .LBB260_3
; %bb.1:
	s_clause 0x3
	s_load_b32 s20, s[0:1], 0x20
	s_load_b128 s[8:11], s[0:1], 0x28
	s_load_b32 s21, s[0:1], 0x38
	s_load_b64 s[18:19], s[0:1], 0x40
	v_lshl_add_u32 v2, v21, 4, v20
	v_dual_mov_b32 v1, 0 :: v_dual_and_b32 v0, 7, v20
	v_lshlrev_b32_e32 v22, 4, v20
	v_lshl_add_u32 v25, v21, 7, 0x1000
	s_delay_alu instid0(VALU_DEP_4) | instskip(SKIP_3) | instid1(VALU_DEP_4)
	v_lshrrev_b32_e32 v4, 3, v2
	v_and_b32_e32 v5, 31, v2
	v_lshlrev_b32_e32 v3, 4, v0
	v_lshrrev_b32_e32 v2, 5, v2
	v_add_nc_u32_e32 v9, s13, v4
	s_delay_alu instid0(VALU_DEP_4) | instskip(NEXT) | instid1(VALU_DEP_4)
	v_add_nc_u32_e32 v8, s12, v5
	v_lshl_or_b32 v7, v4, 7, v3
	v_dual_mov_b32 v3, v1 :: v_dual_lshlrev_b32 v6, 4, v5
	s_waitcnt lgkmcnt(0)
	s_delay_alu instid0(VALU_DEP_1) | instskip(NEXT) | instid1(VALU_DEP_2)
	v_mad_i64_i32 v[4:5], null, s20, v8, v[2:3]
	v_lshl_or_b32 v23, v2, 9, v6
	s_mul_i32 s9, s9, s15
	s_mul_hi_u32 s20, s8, s15
	v_mad_i64_i32 v[2:3], null, s21, v9, v[0:1]
	s_mul_i32 s8, s8, s15
	s_add_i32 s9, s20, s9
	s_delay_alu instid0(VALU_DEP_3)
	v_lshlrev_b64 v[0:1], 4, v[4:5]
	s_lshl_b64 s[8:9], s[8:9], 4
	v_mov_b32_e32 v8, 0
	v_mov_b32_e32 v9, 0
	s_add_u32 s16, s16, s8
	s_mul_i32 s8, s19, s15
	s_mul_hi_u32 s19, s18, s15
	s_addc_u32 s17, s17, s9
	s_add_i32 s9, s19, s8
	s_mul_i32 s8, s18, s15
	v_lshlrev_b64 v[2:3], 4, v[2:3]
	s_lshl_b64 s[8:9], s[8:9], 4
	v_add_co_u32 v0, vcc_lo, s16, v0
	s_add_u32 s8, s10, s8
	v_add_co_ci_u32_e32 v1, vcc_lo, s17, v1, vcc_lo
	s_addc_u32 s9, s11, s9
	v_add_co_u32 v2, vcc_lo, s8, v2
	v_add_co_ci_u32_e32 v3, vcc_lo, s9, v3, vcc_lo
	v_add_co_u32 v0, vcc_lo, v0, 8
	v_add_co_ci_u32_e32 v1, vcc_lo, 0, v1, vcc_lo
	s_delay_alu instid0(VALU_DEP_4)
	v_add_co_u32 v2, vcc_lo, v2, 8
	v_dual_mov_b32 v17, v9 :: v_dual_add_nc_u32 v24, 0x1000, v7
	v_add_co_ci_u32_e32 v3, vcc_lo, 0, v3, vcc_lo
	v_dual_mov_b32 v16, v8 :: v_dual_mov_b32 v13, v9
	v_dual_mov_b32 v12, v8 :: v_dual_mov_b32 v11, v9
	v_mov_b32_e32 v10, v8
	v_dual_mov_b32 v6, v8 :: v_dual_mov_b32 v7, v9
	v_dual_mov_b32 v4, v8 :: v_dual_mov_b32 v5, v9
	v_dual_mov_b32 v19, v9 :: v_dual_mov_b32 v18, v8
	v_dual_mov_b32 v15, v9 :: v_dual_mov_b32 v14, v8
.LBB260_2:                              ; =>This Inner Loop Header: Depth=1
	global_load_b128 v[26:29], v[0:1], off offset:-8
	v_add_co_u32 v0, vcc_lo, 0x80, v0
	v_add_co_ci_u32_e32 v1, vcc_lo, 0, v1, vcc_lo
	s_add_i32 s14, s14, 8
	s_delay_alu instid0(SALU_CYCLE_1)
	s_cmp_ge_i32 s14, s3
	s_waitcnt vmcnt(0)
	ds_store_b128 v23, v[26:29]
	global_load_b128 v[26:29], v[2:3], off offset:-8
	v_add_co_u32 v2, vcc_lo, 0x80, v2
	v_add_co_ci_u32_e32 v3, vcc_lo, 0, v3, vcc_lo
	s_waitcnt vmcnt(0)
	ds_store_b128 v24, v[26:29]
	s_waitcnt lgkmcnt(0)
	s_barrier
	buffer_gl0_inv
	ds_load_b128 v[26:29], v25
	ds_load_b128 v[30:33], v25 offset:16
	ds_load_b128 v[34:37], v25 offset:32
	ds_load_b128 v[38:41], v25 offset:48
	ds_load_b128 v[42:45], v22
	s_waitcnt lgkmcnt(0)
	v_mul_f64 v[46:47], v[28:29], v[44:45]
	v_mul_f64 v[48:49], v[26:27], v[44:45]
	s_delay_alu instid0(VALU_DEP_2) | instskip(NEXT) | instid1(VALU_DEP_2)
	v_fma_f64 v[46:47], v[26:27], v[42:43], -v[46:47]
	v_fma_f64 v[48:49], v[28:29], v[42:43], v[48:49]
	s_delay_alu instid0(VALU_DEP_2) | instskip(NEXT) | instid1(VALU_DEP_2)
	v_add_f64 v[14:15], v[14:15], v[46:47]
	v_add_f64 v[18:19], v[18:19], v[48:49]
	ds_load_b128 v[46:49], v22 offset:256
	s_waitcnt lgkmcnt(0)
	v_mul_f64 v[50:51], v[28:29], v[48:49]
	s_delay_alu instid0(VALU_DEP_1) | instskip(SKIP_1) | instid1(VALU_DEP_1)
	v_fma_f64 v[50:51], v[26:27], v[46:47], -v[50:51]
	v_mul_f64 v[26:27], v[26:27], v[48:49]
	v_fma_f64 v[26:27], v[28:29], v[46:47], v[26:27]
	s_delay_alu instid0(VALU_DEP_3) | instskip(NEXT) | instid1(VALU_DEP_2)
	v_add_f64 v[28:29], v[4:5], v[50:51]
	v_add_f64 v[26:27], v[6:7], v[26:27]
	ds_load_b128 v[4:7], v25 offset:2048
	s_waitcnt lgkmcnt(0)
	v_mul_f64 v[50:51], v[6:7], v[44:45]
	v_mul_f64 v[44:45], v[4:5], v[44:45]
	s_delay_alu instid0(VALU_DEP_2) | instskip(NEXT) | instid1(VALU_DEP_2)
	v_fma_f64 v[50:51], v[4:5], v[42:43], -v[50:51]
	v_fma_f64 v[42:43], v[6:7], v[42:43], v[44:45]
	s_delay_alu instid0(VALU_DEP_2) | instskip(SKIP_1) | instid1(VALU_DEP_3)
	v_add_f64 v[44:45], v[10:11], v[50:51]
	v_mul_f64 v[10:11], v[6:7], v[48:49]
	v_add_f64 v[42:43], v[12:13], v[42:43]
	s_delay_alu instid0(VALU_DEP_2) | instskip(SKIP_1) | instid1(VALU_DEP_2)
	v_fma_f64 v[10:11], v[4:5], v[46:47], -v[10:11]
	v_mul_f64 v[4:5], v[4:5], v[48:49]
	v_add_f64 v[16:17], v[16:17], v[10:11]
	s_delay_alu instid0(VALU_DEP_2) | instskip(NEXT) | instid1(VALU_DEP_1)
	v_fma_f64 v[4:5], v[6:7], v[46:47], v[4:5]
	v_add_f64 v[46:47], v[8:9], v[4:5]
	ds_load_b128 v[4:7], v22 offset:512
	s_waitcnt lgkmcnt(0)
	v_mul_f64 v[8:9], v[32:33], v[6:7]
	v_mul_f64 v[10:11], v[30:31], v[6:7]
	s_delay_alu instid0(VALU_DEP_2) | instskip(NEXT) | instid1(VALU_DEP_2)
	v_fma_f64 v[8:9], v[30:31], v[4:5], -v[8:9]
	v_fma_f64 v[10:11], v[32:33], v[4:5], v[10:11]
	s_delay_alu instid0(VALU_DEP_2) | instskip(NEXT) | instid1(VALU_DEP_2)
	v_add_f64 v[48:49], v[14:15], v[8:9]
	v_add_f64 v[18:19], v[18:19], v[10:11]
	ds_load_b128 v[8:11], v22 offset:768
	s_waitcnt lgkmcnt(0)
	v_mul_f64 v[12:13], v[32:33], v[10:11]
	v_mul_f64 v[14:15], v[30:31], v[10:11]
	s_delay_alu instid0(VALU_DEP_2) | instskip(NEXT) | instid1(VALU_DEP_2)
	v_fma_f64 v[12:13], v[30:31], v[8:9], -v[12:13]
	v_fma_f64 v[14:15], v[32:33], v[8:9], v[14:15]
	s_delay_alu instid0(VALU_DEP_2) | instskip(NEXT) | instid1(VALU_DEP_2)
	v_add_f64 v[28:29], v[28:29], v[12:13]
	v_add_f64 v[26:27], v[26:27], v[14:15]
	ds_load_b128 v[12:15], v25 offset:2064
	s_waitcnt lgkmcnt(0)
	v_mul_f64 v[30:31], v[14:15], v[6:7]
	v_mul_f64 v[6:7], v[12:13], v[6:7]
	s_delay_alu instid0(VALU_DEP_2) | instskip(NEXT) | instid1(VALU_DEP_2)
	v_fma_f64 v[30:31], v[12:13], v[4:5], -v[30:31]
	v_fma_f64 v[4:5], v[14:15], v[4:5], v[6:7]
	v_mul_f64 v[6:7], v[12:13], v[10:11]
	s_delay_alu instid0(VALU_DEP_3) | instskip(NEXT) | instid1(VALU_DEP_3)
	v_add_f64 v[30:31], v[44:45], v[30:31]
	v_add_f64 v[32:33], v[42:43], v[4:5]
	v_mul_f64 v[4:5], v[14:15], v[10:11]
	s_delay_alu instid0(VALU_DEP_4) | instskip(NEXT) | instid1(VALU_DEP_2)
	v_fma_f64 v[6:7], v[14:15], v[8:9], v[6:7]
	v_fma_f64 v[4:5], v[12:13], v[8:9], -v[4:5]
	s_delay_alu instid0(VALU_DEP_2) | instskip(NEXT) | instid1(VALU_DEP_2)
	v_add_f64 v[42:43], v[46:47], v[6:7]
	v_add_f64 v[16:17], v[16:17], v[4:5]
	ds_load_b128 v[4:7], v22 offset:1024
	s_waitcnt lgkmcnt(0)
	v_mul_f64 v[8:9], v[36:37], v[6:7]
	v_mul_f64 v[10:11], v[34:35], v[6:7]
	s_delay_alu instid0(VALU_DEP_2) | instskip(NEXT) | instid1(VALU_DEP_2)
	v_fma_f64 v[8:9], v[34:35], v[4:5], -v[8:9]
	v_fma_f64 v[10:11], v[36:37], v[4:5], v[10:11]
	s_delay_alu instid0(VALU_DEP_2) | instskip(NEXT) | instid1(VALU_DEP_2)
	v_add_f64 v[44:45], v[48:49], v[8:9]
	v_add_f64 v[18:19], v[18:19], v[10:11]
	ds_load_b128 v[8:11], v22 offset:1280
	s_waitcnt lgkmcnt(0)
	v_mul_f64 v[12:13], v[36:37], v[10:11]
	v_mul_f64 v[14:15], v[34:35], v[10:11]
	s_delay_alu instid0(VALU_DEP_2) | instskip(NEXT) | instid1(VALU_DEP_2)
	v_fma_f64 v[12:13], v[34:35], v[8:9], -v[12:13]
	v_fma_f64 v[14:15], v[36:37], v[8:9], v[14:15]
	s_delay_alu instid0(VALU_DEP_2) | instskip(NEXT) | instid1(VALU_DEP_2)
	v_add_f64 v[28:29], v[28:29], v[12:13]
	v_add_f64 v[26:27], v[26:27], v[14:15]
	ds_load_b128 v[12:15], v25 offset:2080
	s_waitcnt lgkmcnt(0)
	v_mul_f64 v[34:35], v[14:15], v[6:7]
	v_mul_f64 v[6:7], v[12:13], v[6:7]
	s_delay_alu instid0(VALU_DEP_2) | instskip(NEXT) | instid1(VALU_DEP_2)
	v_fma_f64 v[34:35], v[12:13], v[4:5], -v[34:35]
	v_fma_f64 v[4:5], v[14:15], v[4:5], v[6:7]
	v_mul_f64 v[6:7], v[12:13], v[10:11]
	s_delay_alu instid0(VALU_DEP_3) | instskip(NEXT) | instid1(VALU_DEP_3)
	v_add_f64 v[30:31], v[30:31], v[34:35]
	v_add_f64 v[32:33], v[32:33], v[4:5]
	v_mul_f64 v[4:5], v[14:15], v[10:11]
	s_delay_alu instid0(VALU_DEP_4) | instskip(NEXT) | instid1(VALU_DEP_2)
	v_fma_f64 v[6:7], v[14:15], v[8:9], v[6:7]
	v_fma_f64 v[4:5], v[12:13], v[8:9], -v[4:5]
	s_delay_alu instid0(VALU_DEP_2) | instskip(NEXT) | instid1(VALU_DEP_2)
	v_add_f64 v[34:35], v[42:43], v[6:7]
	;; [unrolled: 38-line block ×3, first 2 shown]
	v_add_f64 v[16:17], v[16:17], v[4:5]
	ds_load_b128 v[4:7], v25 offset:64
	ds_load_b128 v[8:11], v22 offset:2048
	s_waitcnt lgkmcnt(0)
	v_mul_f64 v[12:13], v[6:7], v[10:11]
	v_mul_f64 v[14:15], v[4:5], v[10:11]
	s_delay_alu instid0(VALU_DEP_2) | instskip(NEXT) | instid1(VALU_DEP_2)
	v_fma_f64 v[12:13], v[4:5], v[8:9], -v[12:13]
	v_fma_f64 v[14:15], v[6:7], v[8:9], v[14:15]
	s_delay_alu instid0(VALU_DEP_2) | instskip(NEXT) | instid1(VALU_DEP_2)
	v_add_f64 v[36:37], v[36:37], v[12:13]
	v_add_f64 v[18:19], v[18:19], v[14:15]
	ds_load_b128 v[12:15], v22 offset:2304
	s_waitcnt lgkmcnt(0)
	v_mul_f64 v[38:39], v[6:7], v[14:15]
	s_delay_alu instid0(VALU_DEP_1) | instskip(SKIP_1) | instid1(VALU_DEP_2)
	v_fma_f64 v[38:39], v[4:5], v[12:13], -v[38:39]
	v_mul_f64 v[4:5], v[4:5], v[14:15]
	v_add_f64 v[28:29], v[28:29], v[38:39]
	s_delay_alu instid0(VALU_DEP_2) | instskip(NEXT) | instid1(VALU_DEP_1)
	v_fma_f64 v[4:5], v[6:7], v[12:13], v[4:5]
	v_add_f64 v[26:27], v[26:27], v[4:5]
	ds_load_b128 v[4:7], v25 offset:2112
	s_waitcnt lgkmcnt(0)
	v_mul_f64 v[38:39], v[6:7], v[10:11]
	v_mul_f64 v[10:11], v[4:5], v[10:11]
	s_delay_alu instid0(VALU_DEP_2) | instskip(NEXT) | instid1(VALU_DEP_2)
	v_fma_f64 v[38:39], v[4:5], v[8:9], -v[38:39]
	v_fma_f64 v[8:9], v[6:7], v[8:9], v[10:11]
	s_delay_alu instid0(VALU_DEP_2) | instskip(NEXT) | instid1(VALU_DEP_2)
	v_add_f64 v[30:31], v[30:31], v[38:39]
	v_add_f64 v[32:33], v[32:33], v[8:9]
	v_mul_f64 v[8:9], v[6:7], v[14:15]
	s_delay_alu instid0(VALU_DEP_1) | instskip(SKIP_1) | instid1(VALU_DEP_2)
	v_fma_f64 v[8:9], v[4:5], v[12:13], -v[8:9]
	v_mul_f64 v[4:5], v[4:5], v[14:15]
	v_add_f64 v[16:17], v[16:17], v[8:9]
	s_delay_alu instid0(VALU_DEP_2) | instskip(NEXT) | instid1(VALU_DEP_1)
	v_fma_f64 v[4:5], v[6:7], v[12:13], v[4:5]
	v_add_f64 v[34:35], v[34:35], v[4:5]
	ds_load_b128 v[4:7], v25 offset:80
	ds_load_b128 v[8:11], v22 offset:2560
	s_waitcnt lgkmcnt(0)
	v_mul_f64 v[12:13], v[6:7], v[10:11]
	v_mul_f64 v[14:15], v[4:5], v[10:11]
	s_delay_alu instid0(VALU_DEP_2) | instskip(NEXT) | instid1(VALU_DEP_2)
	v_fma_f64 v[12:13], v[4:5], v[8:9], -v[12:13]
	v_fma_f64 v[14:15], v[6:7], v[8:9], v[14:15]
	s_delay_alu instid0(VALU_DEP_2) | instskip(NEXT) | instid1(VALU_DEP_2)
	v_add_f64 v[36:37], v[36:37], v[12:13]
	v_add_f64 v[18:19], v[18:19], v[14:15]
	ds_load_b128 v[12:15], v22 offset:2816
	s_waitcnt lgkmcnt(0)
	v_mul_f64 v[38:39], v[6:7], v[14:15]
	s_delay_alu instid0(VALU_DEP_1) | instskip(SKIP_1) | instid1(VALU_DEP_2)
	v_fma_f64 v[38:39], v[4:5], v[12:13], -v[38:39]
	v_mul_f64 v[4:5], v[4:5], v[14:15]
	v_add_f64 v[28:29], v[28:29], v[38:39]
	s_delay_alu instid0(VALU_DEP_2) | instskip(NEXT) | instid1(VALU_DEP_1)
	v_fma_f64 v[4:5], v[6:7], v[12:13], v[4:5]
	v_add_f64 v[26:27], v[26:27], v[4:5]
	ds_load_b128 v[4:7], v25 offset:2128
	s_waitcnt lgkmcnt(0)
	v_mul_f64 v[38:39], v[6:7], v[10:11]
	v_mul_f64 v[10:11], v[4:5], v[10:11]
	s_delay_alu instid0(VALU_DEP_2) | instskip(NEXT) | instid1(VALU_DEP_2)
	v_fma_f64 v[38:39], v[4:5], v[8:9], -v[38:39]
	v_fma_f64 v[8:9], v[6:7], v[8:9], v[10:11]
	s_delay_alu instid0(VALU_DEP_2) | instskip(NEXT) | instid1(VALU_DEP_2)
	v_add_f64 v[30:31], v[30:31], v[38:39]
	v_add_f64 v[32:33], v[32:33], v[8:9]
	v_mul_f64 v[8:9], v[6:7], v[14:15]
	s_delay_alu instid0(VALU_DEP_1) | instskip(SKIP_1) | instid1(VALU_DEP_2)
	v_fma_f64 v[8:9], v[4:5], v[12:13], -v[8:9]
	v_mul_f64 v[4:5], v[4:5], v[14:15]
	v_add_f64 v[16:17], v[16:17], v[8:9]
	s_delay_alu instid0(VALU_DEP_2) | instskip(NEXT) | instid1(VALU_DEP_1)
	v_fma_f64 v[4:5], v[6:7], v[12:13], v[4:5]
	;; [unrolled: 39-line block ×3, first 2 shown]
	v_add_f64 v[34:35], v[34:35], v[4:5]
	ds_load_b128 v[4:7], v25 offset:112
	ds_load_b128 v[8:11], v22 offset:3584
	;; [unrolled: 1-line block ×3, first 2 shown]
	s_waitcnt lgkmcnt(1)
	v_mul_f64 v[14:15], v[4:5], v[10:11]
	v_mul_f64 v[12:13], v[6:7], v[10:11]
	s_delay_alu instid0(VALU_DEP_2) | instskip(NEXT) | instid1(VALU_DEP_2)
	v_fma_f64 v[26:27], v[6:7], v[8:9], v[14:15]
	v_fma_f64 v[12:13], v[4:5], v[8:9], -v[12:13]
	s_delay_alu instid0(VALU_DEP_2)
	v_add_f64 v[18:19], v[18:19], v[26:27]
	ds_load_b128 v[26:29], v22 offset:3840
	v_add_f64 v[14:15], v[36:37], v[12:13]
	s_waitcnt lgkmcnt(0)
	s_barrier
	buffer_gl0_inv
	v_mul_f64 v[12:13], v[6:7], v[28:29]
	s_delay_alu instid0(VALU_DEP_1) | instskip(SKIP_1) | instid1(VALU_DEP_1)
	v_fma_f64 v[12:13], v[4:5], v[26:27], -v[12:13]
	v_mul_f64 v[4:5], v[4:5], v[28:29]
	v_fma_f64 v[6:7], v[6:7], v[26:27], v[4:5]
	s_delay_alu instid0(VALU_DEP_3) | instskip(SKIP_2) | instid1(VALU_DEP_4)
	v_add_f64 v[4:5], v[38:39], v[12:13]
	v_mul_f64 v[12:13], v[32:33], v[10:11]
	v_mul_f64 v[10:11], v[30:31], v[10:11]
	v_add_f64 v[6:7], v[40:41], v[6:7]
	s_delay_alu instid0(VALU_DEP_3) | instskip(NEXT) | instid1(VALU_DEP_3)
	v_fma_f64 v[12:13], v[30:31], v[8:9], -v[12:13]
	v_fma_f64 v[8:9], v[32:33], v[8:9], v[10:11]
	s_delay_alu instid0(VALU_DEP_2) | instskip(NEXT) | instid1(VALU_DEP_2)
	v_add_f64 v[10:11], v[42:43], v[12:13]
	v_add_f64 v[12:13], v[44:45], v[8:9]
	v_mul_f64 v[8:9], v[32:33], v[28:29]
	v_mul_f64 v[28:29], v[30:31], v[28:29]
	s_delay_alu instid0(VALU_DEP_2) | instskip(NEXT) | instid1(VALU_DEP_2)
	v_fma_f64 v[8:9], v[30:31], v[26:27], -v[8:9]
	v_fma_f64 v[26:27], v[32:33], v[26:27], v[28:29]
	s_delay_alu instid0(VALU_DEP_2) | instskip(NEXT) | instid1(VALU_DEP_2)
	v_add_f64 v[16:17], v[16:17], v[8:9]
	v_add_f64 v[8:9], v[34:35], v[26:27]
	s_cbranch_scc0 .LBB260_2
.LBB260_3:
	s_clause 0x2
	s_load_b32 s3, s[0:1], 0x60
	s_load_b64 s[8:9], s[0:1], 0x68
	s_load_b64 s[10:11], s[0:1], 0x58
	v_add_nc_u32_e32 v21, s13, v21
	v_add_nc_u32_e32 v0, s12, v20
	s_delay_alu instid0(VALU_DEP_2)
	v_cmp_gt_i32_e32 vcc_lo, s2, v21
	s_waitcnt lgkmcnt(0)
	v_mad_i64_i32 v[1:2], null, v21, s3, 0
	s_mul_i32 s1, s15, s9
	s_mul_hi_u32 s9, s15, s8
	s_mul_i32 s0, s15, s8
	s_add_i32 s1, s9, s1
	s_delay_alu instid0(SALU_CYCLE_1) | instskip(NEXT) | instid1(VALU_DEP_1)
	s_lshl_b64 s[8:9], s[0:1], 4
	v_lshlrev_b64 v[1:2], 4, v[1:2]
	s_add_u32 s8, s10, s8
	v_cmp_le_i32_e64 s0, v0, v21
	s_addc_u32 s9, s11, s9
	s_delay_alu instid0(VALU_DEP_2) | instskip(NEXT) | instid1(VALU_DEP_1)
	v_add_co_u32 v20, s1, s8, v1
	v_add_co_ci_u32_e64 v22, s1, s9, v2, s1
	s_delay_alu instid0(VALU_DEP_3) | instskip(NEXT) | instid1(SALU_CYCLE_1)
	s_and_b32 s0, vcc_lo, s0
	s_and_saveexec_b32 s1, s0
	s_cbranch_execz .LBB260_5
; %bb.4:
	v_mul_f64 v[1:2], s[6:7], v[18:19]
	v_mul_f64 v[18:19], s[4:5], v[18:19]
	s_delay_alu instid0(VALU_DEP_2) | instskip(NEXT) | instid1(VALU_DEP_2)
	v_fma_f64 v[23:24], s[4:5], v[14:15], -v[1:2]
	v_fma_f64 v[25:26], s[6:7], v[14:15], v[18:19]
	v_ashrrev_i32_e32 v1, 31, v0
	s_delay_alu instid0(VALU_DEP_1) | instskip(NEXT) | instid1(VALU_DEP_1)
	v_lshlrev_b64 v[1:2], 4, v[0:1]
	v_add_co_u32 v1, s0, v20, v1
	s_delay_alu instid0(VALU_DEP_1)
	v_add_co_ci_u32_e64 v2, s0, v22, v2, s0
	global_store_b128 v[1:2], v[23:26], off
.LBB260_5:
	s_or_b32 exec_lo, exec_lo, s1
	v_add_nc_u32_e32 v2, 16, v0
	s_delay_alu instid0(VALU_DEP_1) | instskip(NEXT) | instid1(VALU_DEP_1)
	v_cmp_le_i32_e64 s0, v2, v21
	s_and_b32 s1, vcc_lo, s0
	s_delay_alu instid0(SALU_CYCLE_1)
	s_and_saveexec_b32 s0, s1
	s_cbranch_execz .LBB260_7
; %bb.6:
	v_mul_f64 v[14:15], s[6:7], v[6:7]
	v_mul_f64 v[6:7], s[4:5], v[6:7]
	v_ashrrev_i32_e32 v3, 31, v2
	s_delay_alu instid0(VALU_DEP_3) | instskip(NEXT) | instid1(VALU_DEP_3)
	v_fma_f64 v[23:24], s[4:5], v[4:5], -v[14:15]
	v_fma_f64 v[25:26], s[6:7], v[4:5], v[6:7]
	s_delay_alu instid0(VALU_DEP_3) | instskip(NEXT) | instid1(VALU_DEP_1)
	v_lshlrev_b64 v[3:4], 4, v[2:3]
	v_add_co_u32 v3, vcc_lo, v20, v3
	s_delay_alu instid0(VALU_DEP_2)
	v_add_co_ci_u32_e32 v4, vcc_lo, v22, v4, vcc_lo
	global_store_b128 v[3:4], v[23:26], off
.LBB260_7:
	s_or_b32 exec_lo, exec_lo, s0
	v_add_nc_u32_e32 v3, 16, v21
	s_delay_alu instid0(VALU_DEP_1) | instskip(SKIP_2) | instid1(VALU_DEP_1)
	v_mad_i64_i32 v[4:5], null, v3, s3, 0
	v_cmp_gt_i32_e32 vcc_lo, s2, v3
	v_cmp_le_i32_e64 s0, v0, v3
	s_and_b32 s0, vcc_lo, s0
	s_delay_alu instid0(VALU_DEP_3) | instskip(NEXT) | instid1(VALU_DEP_1)
	v_lshlrev_b64 v[4:5], 4, v[4:5]
	v_add_co_u32 v4, s1, s8, v4
	s_delay_alu instid0(VALU_DEP_1)
	v_add_co_ci_u32_e64 v5, s1, s9, v5, s1
	s_and_saveexec_b32 s1, s0
	s_cbranch_execz .LBB260_9
; %bb.8:
	v_mul_f64 v[6:7], s[6:7], v[12:13]
	v_mul_f64 v[14:15], s[4:5], v[12:13]
	v_ashrrev_i32_e32 v1, 31, v0
	s_delay_alu instid0(VALU_DEP_1) | instskip(NEXT) | instid1(VALU_DEP_1)
	v_lshlrev_b64 v[0:1], 4, v[0:1]
	v_add_co_u32 v0, s0, v4, v0
	s_delay_alu instid0(VALU_DEP_1)
	v_add_co_ci_u32_e64 v1, s0, v5, v1, s0
	v_fma_f64 v[12:13], s[4:5], v[10:11], -v[6:7]
	v_fma_f64 v[14:15], s[6:7], v[10:11], v[14:15]
	global_store_b128 v[0:1], v[12:15], off
.LBB260_9:
	s_or_b32 exec_lo, exec_lo, s1
	v_cmp_le_i32_e64 s0, v2, v3
	s_delay_alu instid0(VALU_DEP_1) | instskip(NEXT) | instid1(SALU_CYCLE_1)
	s_and_b32 s0, vcc_lo, s0
	s_and_saveexec_b32 s1, s0
	s_cbranch_execz .LBB260_11
; %bb.10:
	v_mul_f64 v[0:1], s[6:7], v[8:9]
	v_mul_f64 v[8:9], s[4:5], v[8:9]
	v_ashrrev_i32_e32 v3, 31, v2
	s_delay_alu instid0(VALU_DEP_3) | instskip(NEXT) | instid1(VALU_DEP_3)
	v_fma_f64 v[6:7], s[4:5], v[16:17], -v[0:1]
	v_fma_f64 v[8:9], s[6:7], v[16:17], v[8:9]
	s_delay_alu instid0(VALU_DEP_3) | instskip(NEXT) | instid1(VALU_DEP_1)
	v_lshlrev_b64 v[0:1], 4, v[2:3]
	v_add_co_u32 v0, vcc_lo, v4, v0
	s_delay_alu instid0(VALU_DEP_2)
	v_add_co_ci_u32_e32 v1, vcc_lo, v5, v1, vcc_lo
	global_store_b128 v[0:1], v[6:9], off
.LBB260_11:
	s_nop 0
	s_sendmsg sendmsg(MSG_DEALLOC_VGPRS)
	s_endpgm
	.section	.rodata,"a",@progbits
	.p2align	6, 0x0
	.amdhsa_kernel _ZL37rocblas_syrkx_herkx_restricted_kernelIi19rocblas_complex_numIdELi16ELi32ELi8ELb1ELb0ELc84ELc85EKS1_S1_EviT_T0_PT8_S3_lS6_S3_lS4_PT9_S3_li
		.amdhsa_group_segment_fixed_size 8192
		.amdhsa_private_segment_fixed_size 0
		.amdhsa_kernarg_size 116
		.amdhsa_user_sgpr_count 13
		.amdhsa_user_sgpr_dispatch_ptr 0
		.amdhsa_user_sgpr_queue_ptr 0
		.amdhsa_user_sgpr_kernarg_segment_ptr 1
		.amdhsa_user_sgpr_dispatch_id 0
		.amdhsa_user_sgpr_private_segment_size 0
		.amdhsa_wavefront_size32 1
		.amdhsa_uses_dynamic_stack 0
		.amdhsa_enable_private_segment 0
		.amdhsa_system_sgpr_workgroup_id_x 1
		.amdhsa_system_sgpr_workgroup_id_y 1
		.amdhsa_system_sgpr_workgroup_id_z 1
		.amdhsa_system_sgpr_workgroup_info 0
		.amdhsa_system_vgpr_workitem_id 1
		.amdhsa_next_free_vgpr 52
		.amdhsa_next_free_sgpr 22
		.amdhsa_reserve_vcc 1
		.amdhsa_float_round_mode_32 0
		.amdhsa_float_round_mode_16_64 0
		.amdhsa_float_denorm_mode_32 3
		.amdhsa_float_denorm_mode_16_64 3
		.amdhsa_dx10_clamp 1
		.amdhsa_ieee_mode 1
		.amdhsa_fp16_overflow 0
		.amdhsa_workgroup_processor_mode 1
		.amdhsa_memory_ordered 1
		.amdhsa_forward_progress 0
		.amdhsa_shared_vgpr_count 0
		.amdhsa_exception_fp_ieee_invalid_op 0
		.amdhsa_exception_fp_denorm_src 0
		.amdhsa_exception_fp_ieee_div_zero 0
		.amdhsa_exception_fp_ieee_overflow 0
		.amdhsa_exception_fp_ieee_underflow 0
		.amdhsa_exception_fp_ieee_inexact 0
		.amdhsa_exception_int_div_zero 0
	.end_amdhsa_kernel
	.section	.text._ZL37rocblas_syrkx_herkx_restricted_kernelIi19rocblas_complex_numIdELi16ELi32ELi8ELb1ELb0ELc84ELc85EKS1_S1_EviT_T0_PT8_S3_lS6_S3_lS4_PT9_S3_li,"axG",@progbits,_ZL37rocblas_syrkx_herkx_restricted_kernelIi19rocblas_complex_numIdELi16ELi32ELi8ELb1ELb0ELc84ELc85EKS1_S1_EviT_T0_PT8_S3_lS6_S3_lS4_PT9_S3_li,comdat
.Lfunc_end260:
	.size	_ZL37rocblas_syrkx_herkx_restricted_kernelIi19rocblas_complex_numIdELi16ELi32ELi8ELb1ELb0ELc84ELc85EKS1_S1_EviT_T0_PT8_S3_lS6_S3_lS4_PT9_S3_li, .Lfunc_end260-_ZL37rocblas_syrkx_herkx_restricted_kernelIi19rocblas_complex_numIdELi16ELi32ELi8ELb1ELb0ELc84ELc85EKS1_S1_EviT_T0_PT8_S3_lS6_S3_lS4_PT9_S3_li
                                        ; -- End function
	.section	.AMDGPU.csdata,"",@progbits
; Kernel info:
; codeLenInByte = 3340
; NumSgprs: 24
; NumVgprs: 52
; ScratchSize: 0
; MemoryBound: 0
; FloatMode: 240
; IeeeMode: 1
; LDSByteSize: 8192 bytes/workgroup (compile time only)
; SGPRBlocks: 2
; VGPRBlocks: 6
; NumSGPRsForWavesPerEU: 24
; NumVGPRsForWavesPerEU: 52
; Occupancy: 16
; WaveLimiterHint : 0
; COMPUTE_PGM_RSRC2:SCRATCH_EN: 0
; COMPUTE_PGM_RSRC2:USER_SGPR: 13
; COMPUTE_PGM_RSRC2:TRAP_HANDLER: 0
; COMPUTE_PGM_RSRC2:TGID_X_EN: 1
; COMPUTE_PGM_RSRC2:TGID_Y_EN: 1
; COMPUTE_PGM_RSRC2:TGID_Z_EN: 1
; COMPUTE_PGM_RSRC2:TIDIG_COMP_CNT: 1
	.section	.text._ZL37rocblas_syrkx_herkx_restricted_kernelIi19rocblas_complex_numIdELi16ELi32ELi8ELb1ELb0ELc67ELc85EKS1_S1_EviT_T0_PT8_S3_lS6_S3_lS4_PT9_S3_li,"axG",@progbits,_ZL37rocblas_syrkx_herkx_restricted_kernelIi19rocblas_complex_numIdELi16ELi32ELi8ELb1ELb0ELc67ELc85EKS1_S1_EviT_T0_PT8_S3_lS6_S3_lS4_PT9_S3_li,comdat
	.globl	_ZL37rocblas_syrkx_herkx_restricted_kernelIi19rocblas_complex_numIdELi16ELi32ELi8ELb1ELb0ELc67ELc85EKS1_S1_EviT_T0_PT8_S3_lS6_S3_lS4_PT9_S3_li ; -- Begin function _ZL37rocblas_syrkx_herkx_restricted_kernelIi19rocblas_complex_numIdELi16ELi32ELi8ELb1ELb0ELc67ELc85EKS1_S1_EviT_T0_PT8_S3_lS6_S3_lS4_PT9_S3_li
	.p2align	8
	.type	_ZL37rocblas_syrkx_herkx_restricted_kernelIi19rocblas_complex_numIdELi16ELi32ELi8ELb1ELb0ELc67ELc85EKS1_S1_EviT_T0_PT8_S3_lS6_S3_lS4_PT9_S3_li,@function
_ZL37rocblas_syrkx_herkx_restricted_kernelIi19rocblas_complex_numIdELi16ELi32ELi8ELb1ELb0ELc67ELc85EKS1_S1_EviT_T0_PT8_S3_lS6_S3_lS4_PT9_S3_li: ; @_ZL37rocblas_syrkx_herkx_restricted_kernelIi19rocblas_complex_numIdELi16ELi32ELi8ELb1ELb0ELc67ELc85EKS1_S1_EviT_T0_PT8_S3_lS6_S3_lS4_PT9_S3_li
; %bb.0:
	s_clause 0x2
	s_load_b64 s[2:3], s[0:1], 0x0
	s_load_b128 s[4:7], s[0:1], 0x8
	s_load_b64 s[16:17], s[0:1], 0x18
	v_mov_b32_e32 v14, 0
	v_dual_mov_b32 v15, 0 :: v_dual_and_b32 v20, 0x3ff, v0
	v_bfe_u32 v21, v0, 10, 10
	s_delay_alu instid0(VALU_DEP_3) | instskip(NEXT) | instid1(VALU_DEP_3)
	v_mov_b32_e32 v4, v14
	v_dual_mov_b32 v6, v14 :: v_dual_mov_b32 v7, v15
	v_dual_mov_b32 v19, v15 :: v_dual_mov_b32 v18, v14
	;; [unrolled: 1-line block ×4, first 2 shown]
	v_mov_b32_e32 v13, v15
	v_dual_mov_b32 v17, v15 :: v_dual_mov_b32 v16, v14
	v_dual_mov_b32 v8, v14 :: v_dual_mov_b32 v9, v15
	s_lshl_b32 s12, s13, 5
	s_lshl_b32 s13, s14, 5
	s_waitcnt lgkmcnt(0)
	s_cmp_lt_i32 s3, 1
	s_mov_b32 s14, 0
	s_cbranch_scc1 .LBB261_3
; %bb.1:
	s_clause 0x3
	s_load_b32 s20, s[0:1], 0x20
	s_load_b128 s[8:11], s[0:1], 0x28
	s_load_b32 s21, s[0:1], 0x38
	s_load_b64 s[18:19], s[0:1], 0x40
	v_lshl_add_u32 v2, v21, 4, v20
	v_dual_mov_b32 v1, 0 :: v_dual_and_b32 v0, 7, v20
	v_lshlrev_b32_e32 v22, 4, v20
	v_lshl_add_u32 v25, v21, 7, 0x1000
	s_delay_alu instid0(VALU_DEP_4) | instskip(SKIP_3) | instid1(VALU_DEP_4)
	v_lshrrev_b32_e32 v4, 3, v2
	v_and_b32_e32 v5, 31, v2
	v_lshlrev_b32_e32 v3, 4, v0
	v_lshrrev_b32_e32 v2, 5, v2
	v_add_nc_u32_e32 v9, s13, v4
	s_delay_alu instid0(VALU_DEP_4) | instskip(NEXT) | instid1(VALU_DEP_4)
	v_add_nc_u32_e32 v8, s12, v5
	v_lshl_or_b32 v7, v4, 7, v3
	v_dual_mov_b32 v3, v1 :: v_dual_lshlrev_b32 v6, 4, v5
	s_waitcnt lgkmcnt(0)
	s_delay_alu instid0(VALU_DEP_1) | instskip(NEXT) | instid1(VALU_DEP_2)
	v_mad_i64_i32 v[4:5], null, s20, v8, v[2:3]
	v_lshl_or_b32 v23, v2, 9, v6
	s_mul_i32 s9, s9, s15
	s_mul_hi_u32 s20, s8, s15
	v_mad_i64_i32 v[2:3], null, s21, v9, v[0:1]
	s_mul_i32 s8, s8, s15
	s_add_i32 s9, s20, s9
	s_delay_alu instid0(VALU_DEP_3)
	v_lshlrev_b64 v[0:1], 4, v[4:5]
	s_lshl_b64 s[8:9], s[8:9], 4
	v_mov_b32_e32 v8, 0
	v_mov_b32_e32 v9, 0
	s_add_u32 s16, s16, s8
	s_mul_i32 s8, s19, s15
	s_mul_hi_u32 s19, s18, s15
	s_addc_u32 s17, s17, s9
	s_add_i32 s9, s19, s8
	s_mul_i32 s8, s18, s15
	v_lshlrev_b64 v[2:3], 4, v[2:3]
	s_lshl_b64 s[8:9], s[8:9], 4
	v_add_co_u32 v0, vcc_lo, s16, v0
	s_add_u32 s8, s10, s8
	v_add_co_ci_u32_e32 v1, vcc_lo, s17, v1, vcc_lo
	s_addc_u32 s9, s11, s9
	v_add_co_u32 v2, vcc_lo, s8, v2
	v_add_co_ci_u32_e32 v3, vcc_lo, s9, v3, vcc_lo
	v_add_co_u32 v0, vcc_lo, v0, 8
	v_add_co_ci_u32_e32 v1, vcc_lo, 0, v1, vcc_lo
	s_delay_alu instid0(VALU_DEP_4)
	v_add_co_u32 v2, vcc_lo, v2, 8
	v_dual_mov_b32 v17, v9 :: v_dual_add_nc_u32 v24, 0x1000, v7
	v_add_co_ci_u32_e32 v3, vcc_lo, 0, v3, vcc_lo
	v_dual_mov_b32 v16, v8 :: v_dual_mov_b32 v13, v9
	v_dual_mov_b32 v12, v8 :: v_dual_mov_b32 v11, v9
	v_mov_b32_e32 v10, v8
	v_dual_mov_b32 v6, v8 :: v_dual_mov_b32 v7, v9
	v_dual_mov_b32 v4, v8 :: v_dual_mov_b32 v5, v9
	v_dual_mov_b32 v19, v9 :: v_dual_mov_b32 v18, v8
	v_dual_mov_b32 v15, v9 :: v_dual_mov_b32 v14, v8
.LBB261_2:                              ; =>This Inner Loop Header: Depth=1
	global_load_b128 v[26:29], v[0:1], off offset:-8
	v_add_co_u32 v0, vcc_lo, 0x80, v0
	v_add_co_ci_u32_e32 v1, vcc_lo, 0, v1, vcc_lo
	s_add_i32 s14, s14, 8
	s_delay_alu instid0(SALU_CYCLE_1)
	s_cmp_ge_i32 s14, s3
	s_waitcnt vmcnt(0)
	ds_store_b128 v23, v[26:29]
	global_load_b128 v[26:29], v[2:3], off offset:-8
	v_add_co_u32 v2, vcc_lo, 0x80, v2
	v_add_co_ci_u32_e32 v3, vcc_lo, 0, v3, vcc_lo
	s_waitcnt vmcnt(0)
	ds_store_b128 v24, v[26:29]
	s_waitcnt lgkmcnt(0)
	s_barrier
	buffer_gl0_inv
	ds_load_b128 v[26:29], v25
	ds_load_b128 v[30:33], v25 offset:16
	ds_load_b128 v[34:37], v25 offset:32
	;; [unrolled: 1-line block ×3, first 2 shown]
	ds_load_b128 v[42:45], v22
	s_waitcnt lgkmcnt(0)
	v_mul_f64 v[46:47], v[28:29], v[44:45]
	v_mul_f64 v[48:49], v[26:27], v[44:45]
	s_delay_alu instid0(VALU_DEP_2) | instskip(NEXT) | instid1(VALU_DEP_2)
	v_fma_f64 v[46:47], v[26:27], v[42:43], -v[46:47]
	v_fma_f64 v[48:49], v[28:29], v[42:43], v[48:49]
	s_delay_alu instid0(VALU_DEP_2) | instskip(NEXT) | instid1(VALU_DEP_2)
	v_add_f64 v[14:15], v[14:15], v[46:47]
	v_add_f64 v[18:19], v[18:19], v[48:49]
	ds_load_b128 v[46:49], v22 offset:256
	s_waitcnt lgkmcnt(0)
	v_mul_f64 v[50:51], v[28:29], v[48:49]
	s_delay_alu instid0(VALU_DEP_1) | instskip(SKIP_1) | instid1(VALU_DEP_1)
	v_fma_f64 v[50:51], v[26:27], v[46:47], -v[50:51]
	v_mul_f64 v[26:27], v[26:27], v[48:49]
	v_fma_f64 v[26:27], v[28:29], v[46:47], v[26:27]
	s_delay_alu instid0(VALU_DEP_3) | instskip(NEXT) | instid1(VALU_DEP_2)
	v_add_f64 v[28:29], v[4:5], v[50:51]
	v_add_f64 v[26:27], v[6:7], v[26:27]
	ds_load_b128 v[4:7], v25 offset:2048
	s_waitcnt lgkmcnt(0)
	v_mul_f64 v[50:51], v[6:7], v[44:45]
	v_mul_f64 v[44:45], v[4:5], v[44:45]
	s_delay_alu instid0(VALU_DEP_2) | instskip(NEXT) | instid1(VALU_DEP_2)
	v_fma_f64 v[50:51], v[4:5], v[42:43], -v[50:51]
	v_fma_f64 v[42:43], v[6:7], v[42:43], v[44:45]
	s_delay_alu instid0(VALU_DEP_2) | instskip(SKIP_1) | instid1(VALU_DEP_3)
	v_add_f64 v[44:45], v[10:11], v[50:51]
	v_mul_f64 v[10:11], v[6:7], v[48:49]
	v_add_f64 v[42:43], v[12:13], v[42:43]
	s_delay_alu instid0(VALU_DEP_2) | instskip(SKIP_1) | instid1(VALU_DEP_2)
	v_fma_f64 v[10:11], v[4:5], v[46:47], -v[10:11]
	v_mul_f64 v[4:5], v[4:5], v[48:49]
	v_add_f64 v[16:17], v[16:17], v[10:11]
	s_delay_alu instid0(VALU_DEP_2) | instskip(NEXT) | instid1(VALU_DEP_1)
	v_fma_f64 v[4:5], v[6:7], v[46:47], v[4:5]
	v_add_f64 v[46:47], v[8:9], v[4:5]
	ds_load_b128 v[4:7], v22 offset:512
	s_waitcnt lgkmcnt(0)
	v_mul_f64 v[8:9], v[32:33], v[6:7]
	v_mul_f64 v[10:11], v[30:31], v[6:7]
	s_delay_alu instid0(VALU_DEP_2) | instskip(NEXT) | instid1(VALU_DEP_2)
	v_fma_f64 v[8:9], v[30:31], v[4:5], -v[8:9]
	v_fma_f64 v[10:11], v[32:33], v[4:5], v[10:11]
	s_delay_alu instid0(VALU_DEP_2) | instskip(NEXT) | instid1(VALU_DEP_2)
	v_add_f64 v[48:49], v[14:15], v[8:9]
	v_add_f64 v[18:19], v[18:19], v[10:11]
	ds_load_b128 v[8:11], v22 offset:768
	s_waitcnt lgkmcnt(0)
	v_mul_f64 v[12:13], v[32:33], v[10:11]
	v_mul_f64 v[14:15], v[30:31], v[10:11]
	s_delay_alu instid0(VALU_DEP_2) | instskip(NEXT) | instid1(VALU_DEP_2)
	v_fma_f64 v[12:13], v[30:31], v[8:9], -v[12:13]
	v_fma_f64 v[14:15], v[32:33], v[8:9], v[14:15]
	s_delay_alu instid0(VALU_DEP_2) | instskip(NEXT) | instid1(VALU_DEP_2)
	v_add_f64 v[28:29], v[28:29], v[12:13]
	v_add_f64 v[26:27], v[26:27], v[14:15]
	ds_load_b128 v[12:15], v25 offset:2064
	s_waitcnt lgkmcnt(0)
	v_mul_f64 v[30:31], v[14:15], v[6:7]
	v_mul_f64 v[6:7], v[12:13], v[6:7]
	s_delay_alu instid0(VALU_DEP_2) | instskip(NEXT) | instid1(VALU_DEP_2)
	v_fma_f64 v[30:31], v[12:13], v[4:5], -v[30:31]
	v_fma_f64 v[4:5], v[14:15], v[4:5], v[6:7]
	v_mul_f64 v[6:7], v[12:13], v[10:11]
	s_delay_alu instid0(VALU_DEP_3) | instskip(NEXT) | instid1(VALU_DEP_3)
	v_add_f64 v[30:31], v[44:45], v[30:31]
	v_add_f64 v[32:33], v[42:43], v[4:5]
	v_mul_f64 v[4:5], v[14:15], v[10:11]
	s_delay_alu instid0(VALU_DEP_4) | instskip(NEXT) | instid1(VALU_DEP_2)
	v_fma_f64 v[6:7], v[14:15], v[8:9], v[6:7]
	v_fma_f64 v[4:5], v[12:13], v[8:9], -v[4:5]
	s_delay_alu instid0(VALU_DEP_2) | instskip(NEXT) | instid1(VALU_DEP_2)
	v_add_f64 v[42:43], v[46:47], v[6:7]
	v_add_f64 v[16:17], v[16:17], v[4:5]
	ds_load_b128 v[4:7], v22 offset:1024
	s_waitcnt lgkmcnt(0)
	v_mul_f64 v[8:9], v[36:37], v[6:7]
	v_mul_f64 v[10:11], v[34:35], v[6:7]
	s_delay_alu instid0(VALU_DEP_2) | instskip(NEXT) | instid1(VALU_DEP_2)
	v_fma_f64 v[8:9], v[34:35], v[4:5], -v[8:9]
	v_fma_f64 v[10:11], v[36:37], v[4:5], v[10:11]
	s_delay_alu instid0(VALU_DEP_2) | instskip(NEXT) | instid1(VALU_DEP_2)
	v_add_f64 v[44:45], v[48:49], v[8:9]
	v_add_f64 v[18:19], v[18:19], v[10:11]
	ds_load_b128 v[8:11], v22 offset:1280
	s_waitcnt lgkmcnt(0)
	v_mul_f64 v[12:13], v[36:37], v[10:11]
	v_mul_f64 v[14:15], v[34:35], v[10:11]
	s_delay_alu instid0(VALU_DEP_2) | instskip(NEXT) | instid1(VALU_DEP_2)
	v_fma_f64 v[12:13], v[34:35], v[8:9], -v[12:13]
	v_fma_f64 v[14:15], v[36:37], v[8:9], v[14:15]
	s_delay_alu instid0(VALU_DEP_2) | instskip(NEXT) | instid1(VALU_DEP_2)
	v_add_f64 v[28:29], v[28:29], v[12:13]
	v_add_f64 v[26:27], v[26:27], v[14:15]
	ds_load_b128 v[12:15], v25 offset:2080
	s_waitcnt lgkmcnt(0)
	v_mul_f64 v[34:35], v[14:15], v[6:7]
	v_mul_f64 v[6:7], v[12:13], v[6:7]
	s_delay_alu instid0(VALU_DEP_2) | instskip(NEXT) | instid1(VALU_DEP_2)
	v_fma_f64 v[34:35], v[12:13], v[4:5], -v[34:35]
	v_fma_f64 v[4:5], v[14:15], v[4:5], v[6:7]
	v_mul_f64 v[6:7], v[12:13], v[10:11]
	s_delay_alu instid0(VALU_DEP_3) | instskip(NEXT) | instid1(VALU_DEP_3)
	v_add_f64 v[30:31], v[30:31], v[34:35]
	v_add_f64 v[32:33], v[32:33], v[4:5]
	v_mul_f64 v[4:5], v[14:15], v[10:11]
	s_delay_alu instid0(VALU_DEP_4) | instskip(NEXT) | instid1(VALU_DEP_2)
	v_fma_f64 v[6:7], v[14:15], v[8:9], v[6:7]
	v_fma_f64 v[4:5], v[12:13], v[8:9], -v[4:5]
	s_delay_alu instid0(VALU_DEP_2) | instskip(NEXT) | instid1(VALU_DEP_2)
	v_add_f64 v[34:35], v[42:43], v[6:7]
	;; [unrolled: 38-line block ×3, first 2 shown]
	v_add_f64 v[16:17], v[16:17], v[4:5]
	ds_load_b128 v[4:7], v25 offset:64
	ds_load_b128 v[8:11], v22 offset:2048
	s_waitcnt lgkmcnt(0)
	v_mul_f64 v[12:13], v[6:7], v[10:11]
	v_mul_f64 v[14:15], v[4:5], v[10:11]
	s_delay_alu instid0(VALU_DEP_2) | instskip(NEXT) | instid1(VALU_DEP_2)
	v_fma_f64 v[12:13], v[4:5], v[8:9], -v[12:13]
	v_fma_f64 v[14:15], v[6:7], v[8:9], v[14:15]
	s_delay_alu instid0(VALU_DEP_2) | instskip(NEXT) | instid1(VALU_DEP_2)
	v_add_f64 v[36:37], v[36:37], v[12:13]
	v_add_f64 v[18:19], v[18:19], v[14:15]
	ds_load_b128 v[12:15], v22 offset:2304
	s_waitcnt lgkmcnt(0)
	v_mul_f64 v[38:39], v[6:7], v[14:15]
	s_delay_alu instid0(VALU_DEP_1) | instskip(SKIP_1) | instid1(VALU_DEP_2)
	v_fma_f64 v[38:39], v[4:5], v[12:13], -v[38:39]
	v_mul_f64 v[4:5], v[4:5], v[14:15]
	v_add_f64 v[28:29], v[28:29], v[38:39]
	s_delay_alu instid0(VALU_DEP_2) | instskip(NEXT) | instid1(VALU_DEP_1)
	v_fma_f64 v[4:5], v[6:7], v[12:13], v[4:5]
	v_add_f64 v[26:27], v[26:27], v[4:5]
	ds_load_b128 v[4:7], v25 offset:2112
	s_waitcnt lgkmcnt(0)
	v_mul_f64 v[38:39], v[6:7], v[10:11]
	v_mul_f64 v[10:11], v[4:5], v[10:11]
	s_delay_alu instid0(VALU_DEP_2) | instskip(NEXT) | instid1(VALU_DEP_2)
	v_fma_f64 v[38:39], v[4:5], v[8:9], -v[38:39]
	v_fma_f64 v[8:9], v[6:7], v[8:9], v[10:11]
	s_delay_alu instid0(VALU_DEP_2) | instskip(NEXT) | instid1(VALU_DEP_2)
	v_add_f64 v[30:31], v[30:31], v[38:39]
	v_add_f64 v[32:33], v[32:33], v[8:9]
	v_mul_f64 v[8:9], v[6:7], v[14:15]
	s_delay_alu instid0(VALU_DEP_1) | instskip(SKIP_1) | instid1(VALU_DEP_2)
	v_fma_f64 v[8:9], v[4:5], v[12:13], -v[8:9]
	v_mul_f64 v[4:5], v[4:5], v[14:15]
	v_add_f64 v[16:17], v[16:17], v[8:9]
	s_delay_alu instid0(VALU_DEP_2) | instskip(NEXT) | instid1(VALU_DEP_1)
	v_fma_f64 v[4:5], v[6:7], v[12:13], v[4:5]
	v_add_f64 v[34:35], v[34:35], v[4:5]
	ds_load_b128 v[4:7], v25 offset:80
	ds_load_b128 v[8:11], v22 offset:2560
	s_waitcnt lgkmcnt(0)
	v_mul_f64 v[12:13], v[6:7], v[10:11]
	v_mul_f64 v[14:15], v[4:5], v[10:11]
	s_delay_alu instid0(VALU_DEP_2) | instskip(NEXT) | instid1(VALU_DEP_2)
	v_fma_f64 v[12:13], v[4:5], v[8:9], -v[12:13]
	v_fma_f64 v[14:15], v[6:7], v[8:9], v[14:15]
	s_delay_alu instid0(VALU_DEP_2) | instskip(NEXT) | instid1(VALU_DEP_2)
	v_add_f64 v[36:37], v[36:37], v[12:13]
	v_add_f64 v[18:19], v[18:19], v[14:15]
	ds_load_b128 v[12:15], v22 offset:2816
	s_waitcnt lgkmcnt(0)
	v_mul_f64 v[38:39], v[6:7], v[14:15]
	s_delay_alu instid0(VALU_DEP_1) | instskip(SKIP_1) | instid1(VALU_DEP_2)
	v_fma_f64 v[38:39], v[4:5], v[12:13], -v[38:39]
	v_mul_f64 v[4:5], v[4:5], v[14:15]
	v_add_f64 v[28:29], v[28:29], v[38:39]
	s_delay_alu instid0(VALU_DEP_2) | instskip(NEXT) | instid1(VALU_DEP_1)
	v_fma_f64 v[4:5], v[6:7], v[12:13], v[4:5]
	v_add_f64 v[26:27], v[26:27], v[4:5]
	ds_load_b128 v[4:7], v25 offset:2128
	s_waitcnt lgkmcnt(0)
	v_mul_f64 v[38:39], v[6:7], v[10:11]
	v_mul_f64 v[10:11], v[4:5], v[10:11]
	s_delay_alu instid0(VALU_DEP_2) | instskip(NEXT) | instid1(VALU_DEP_2)
	v_fma_f64 v[38:39], v[4:5], v[8:9], -v[38:39]
	v_fma_f64 v[8:9], v[6:7], v[8:9], v[10:11]
	s_delay_alu instid0(VALU_DEP_2) | instskip(NEXT) | instid1(VALU_DEP_2)
	v_add_f64 v[30:31], v[30:31], v[38:39]
	v_add_f64 v[32:33], v[32:33], v[8:9]
	v_mul_f64 v[8:9], v[6:7], v[14:15]
	s_delay_alu instid0(VALU_DEP_1) | instskip(SKIP_1) | instid1(VALU_DEP_2)
	v_fma_f64 v[8:9], v[4:5], v[12:13], -v[8:9]
	v_mul_f64 v[4:5], v[4:5], v[14:15]
	v_add_f64 v[16:17], v[16:17], v[8:9]
	s_delay_alu instid0(VALU_DEP_2) | instskip(NEXT) | instid1(VALU_DEP_1)
	v_fma_f64 v[4:5], v[6:7], v[12:13], v[4:5]
	;; [unrolled: 39-line block ×3, first 2 shown]
	v_add_f64 v[34:35], v[34:35], v[4:5]
	ds_load_b128 v[4:7], v25 offset:112
	ds_load_b128 v[8:11], v22 offset:3584
	;; [unrolled: 1-line block ×3, first 2 shown]
	s_waitcnt lgkmcnt(1)
	v_mul_f64 v[14:15], v[4:5], v[10:11]
	v_mul_f64 v[12:13], v[6:7], v[10:11]
	s_delay_alu instid0(VALU_DEP_2) | instskip(NEXT) | instid1(VALU_DEP_2)
	v_fma_f64 v[26:27], v[6:7], v[8:9], v[14:15]
	v_fma_f64 v[12:13], v[4:5], v[8:9], -v[12:13]
	s_delay_alu instid0(VALU_DEP_2)
	v_add_f64 v[18:19], v[18:19], v[26:27]
	ds_load_b128 v[26:29], v22 offset:3840
	v_add_f64 v[14:15], v[36:37], v[12:13]
	s_waitcnt lgkmcnt(0)
	s_barrier
	buffer_gl0_inv
	v_mul_f64 v[12:13], v[6:7], v[28:29]
	s_delay_alu instid0(VALU_DEP_1) | instskip(SKIP_1) | instid1(VALU_DEP_1)
	v_fma_f64 v[12:13], v[4:5], v[26:27], -v[12:13]
	v_mul_f64 v[4:5], v[4:5], v[28:29]
	v_fma_f64 v[6:7], v[6:7], v[26:27], v[4:5]
	s_delay_alu instid0(VALU_DEP_3) | instskip(SKIP_2) | instid1(VALU_DEP_4)
	v_add_f64 v[4:5], v[38:39], v[12:13]
	v_mul_f64 v[12:13], v[32:33], v[10:11]
	v_mul_f64 v[10:11], v[30:31], v[10:11]
	v_add_f64 v[6:7], v[40:41], v[6:7]
	s_delay_alu instid0(VALU_DEP_3) | instskip(NEXT) | instid1(VALU_DEP_3)
	v_fma_f64 v[12:13], v[30:31], v[8:9], -v[12:13]
	v_fma_f64 v[8:9], v[32:33], v[8:9], v[10:11]
	s_delay_alu instid0(VALU_DEP_2) | instskip(NEXT) | instid1(VALU_DEP_2)
	v_add_f64 v[10:11], v[42:43], v[12:13]
	v_add_f64 v[12:13], v[44:45], v[8:9]
	v_mul_f64 v[8:9], v[32:33], v[28:29]
	v_mul_f64 v[28:29], v[30:31], v[28:29]
	s_delay_alu instid0(VALU_DEP_2) | instskip(NEXT) | instid1(VALU_DEP_2)
	v_fma_f64 v[8:9], v[30:31], v[26:27], -v[8:9]
	v_fma_f64 v[26:27], v[32:33], v[26:27], v[28:29]
	s_delay_alu instid0(VALU_DEP_2) | instskip(NEXT) | instid1(VALU_DEP_2)
	v_add_f64 v[16:17], v[16:17], v[8:9]
	v_add_f64 v[8:9], v[34:35], v[26:27]
	s_cbranch_scc0 .LBB261_2
.LBB261_3:
	s_clause 0x2
	s_load_b32 s3, s[0:1], 0x60
	s_load_b64 s[8:9], s[0:1], 0x68
	s_load_b64 s[10:11], s[0:1], 0x58
	v_add_nc_u32_e32 v21, s13, v21
	v_add_nc_u32_e32 v0, s12, v20
	s_delay_alu instid0(VALU_DEP_2)
	v_cmp_gt_i32_e32 vcc_lo, s2, v21
	s_waitcnt lgkmcnt(0)
	v_mad_i64_i32 v[1:2], null, v21, s3, 0
	s_mul_i32 s1, s15, s9
	s_mul_hi_u32 s9, s15, s8
	s_mul_i32 s0, s15, s8
	s_add_i32 s1, s9, s1
	s_delay_alu instid0(SALU_CYCLE_1) | instskip(NEXT) | instid1(VALU_DEP_1)
	s_lshl_b64 s[8:9], s[0:1], 4
	v_lshlrev_b64 v[1:2], 4, v[1:2]
	s_add_u32 s8, s10, s8
	v_cmp_le_i32_e64 s0, v0, v21
	s_addc_u32 s9, s11, s9
	s_delay_alu instid0(VALU_DEP_2) | instskip(NEXT) | instid1(VALU_DEP_1)
	v_add_co_u32 v20, s1, s8, v1
	v_add_co_ci_u32_e64 v22, s1, s9, v2, s1
	s_delay_alu instid0(VALU_DEP_3) | instskip(NEXT) | instid1(SALU_CYCLE_1)
	s_and_b32 s0, vcc_lo, s0
	s_and_saveexec_b32 s1, s0
	s_cbranch_execz .LBB261_5
; %bb.4:
	v_mul_f64 v[1:2], s[6:7], v[18:19]
	v_mul_f64 v[18:19], s[4:5], v[18:19]
	s_delay_alu instid0(VALU_DEP_2) | instskip(NEXT) | instid1(VALU_DEP_2)
	v_fma_f64 v[23:24], s[4:5], v[14:15], -v[1:2]
	v_fma_f64 v[25:26], s[6:7], v[14:15], v[18:19]
	v_ashrrev_i32_e32 v1, 31, v0
	s_delay_alu instid0(VALU_DEP_1) | instskip(NEXT) | instid1(VALU_DEP_1)
	v_lshlrev_b64 v[1:2], 4, v[0:1]
	v_add_co_u32 v1, s0, v20, v1
	s_delay_alu instid0(VALU_DEP_1)
	v_add_co_ci_u32_e64 v2, s0, v22, v2, s0
	global_store_b128 v[1:2], v[23:26], off
.LBB261_5:
	s_or_b32 exec_lo, exec_lo, s1
	v_add_nc_u32_e32 v2, 16, v0
	s_delay_alu instid0(VALU_DEP_1) | instskip(NEXT) | instid1(VALU_DEP_1)
	v_cmp_le_i32_e64 s0, v2, v21
	s_and_b32 s1, vcc_lo, s0
	s_delay_alu instid0(SALU_CYCLE_1)
	s_and_saveexec_b32 s0, s1
	s_cbranch_execz .LBB261_7
; %bb.6:
	v_mul_f64 v[14:15], s[6:7], v[6:7]
	v_mul_f64 v[6:7], s[4:5], v[6:7]
	v_ashrrev_i32_e32 v3, 31, v2
	s_delay_alu instid0(VALU_DEP_3) | instskip(NEXT) | instid1(VALU_DEP_3)
	v_fma_f64 v[23:24], s[4:5], v[4:5], -v[14:15]
	v_fma_f64 v[25:26], s[6:7], v[4:5], v[6:7]
	s_delay_alu instid0(VALU_DEP_3) | instskip(NEXT) | instid1(VALU_DEP_1)
	v_lshlrev_b64 v[3:4], 4, v[2:3]
	v_add_co_u32 v3, vcc_lo, v20, v3
	s_delay_alu instid0(VALU_DEP_2)
	v_add_co_ci_u32_e32 v4, vcc_lo, v22, v4, vcc_lo
	global_store_b128 v[3:4], v[23:26], off
.LBB261_7:
	s_or_b32 exec_lo, exec_lo, s0
	v_add_nc_u32_e32 v3, 16, v21
	s_delay_alu instid0(VALU_DEP_1) | instskip(SKIP_2) | instid1(VALU_DEP_1)
	v_mad_i64_i32 v[4:5], null, v3, s3, 0
	v_cmp_gt_i32_e32 vcc_lo, s2, v3
	v_cmp_le_i32_e64 s0, v0, v3
	s_and_b32 s0, vcc_lo, s0
	s_delay_alu instid0(VALU_DEP_3) | instskip(NEXT) | instid1(VALU_DEP_1)
	v_lshlrev_b64 v[4:5], 4, v[4:5]
	v_add_co_u32 v4, s1, s8, v4
	s_delay_alu instid0(VALU_DEP_1)
	v_add_co_ci_u32_e64 v5, s1, s9, v5, s1
	s_and_saveexec_b32 s1, s0
	s_cbranch_execz .LBB261_9
; %bb.8:
	v_mul_f64 v[6:7], s[6:7], v[12:13]
	v_mul_f64 v[14:15], s[4:5], v[12:13]
	v_ashrrev_i32_e32 v1, 31, v0
	s_delay_alu instid0(VALU_DEP_1) | instskip(NEXT) | instid1(VALU_DEP_1)
	v_lshlrev_b64 v[0:1], 4, v[0:1]
	v_add_co_u32 v0, s0, v4, v0
	s_delay_alu instid0(VALU_DEP_1)
	v_add_co_ci_u32_e64 v1, s0, v5, v1, s0
	v_fma_f64 v[12:13], s[4:5], v[10:11], -v[6:7]
	v_fma_f64 v[14:15], s[6:7], v[10:11], v[14:15]
	global_store_b128 v[0:1], v[12:15], off
.LBB261_9:
	s_or_b32 exec_lo, exec_lo, s1
	v_cmp_le_i32_e64 s0, v2, v3
	s_delay_alu instid0(VALU_DEP_1) | instskip(NEXT) | instid1(SALU_CYCLE_1)
	s_and_b32 s0, vcc_lo, s0
	s_and_saveexec_b32 s1, s0
	s_cbranch_execz .LBB261_11
; %bb.10:
	v_mul_f64 v[0:1], s[6:7], v[8:9]
	v_mul_f64 v[8:9], s[4:5], v[8:9]
	v_ashrrev_i32_e32 v3, 31, v2
	s_delay_alu instid0(VALU_DEP_3) | instskip(NEXT) | instid1(VALU_DEP_3)
	v_fma_f64 v[6:7], s[4:5], v[16:17], -v[0:1]
	v_fma_f64 v[8:9], s[6:7], v[16:17], v[8:9]
	s_delay_alu instid0(VALU_DEP_3) | instskip(NEXT) | instid1(VALU_DEP_1)
	v_lshlrev_b64 v[0:1], 4, v[2:3]
	v_add_co_u32 v0, vcc_lo, v4, v0
	s_delay_alu instid0(VALU_DEP_2)
	v_add_co_ci_u32_e32 v1, vcc_lo, v5, v1, vcc_lo
	global_store_b128 v[0:1], v[6:9], off
.LBB261_11:
	s_nop 0
	s_sendmsg sendmsg(MSG_DEALLOC_VGPRS)
	s_endpgm
	.section	.rodata,"a",@progbits
	.p2align	6, 0x0
	.amdhsa_kernel _ZL37rocblas_syrkx_herkx_restricted_kernelIi19rocblas_complex_numIdELi16ELi32ELi8ELb1ELb0ELc67ELc85EKS1_S1_EviT_T0_PT8_S3_lS6_S3_lS4_PT9_S3_li
		.amdhsa_group_segment_fixed_size 8192
		.amdhsa_private_segment_fixed_size 0
		.amdhsa_kernarg_size 116
		.amdhsa_user_sgpr_count 13
		.amdhsa_user_sgpr_dispatch_ptr 0
		.amdhsa_user_sgpr_queue_ptr 0
		.amdhsa_user_sgpr_kernarg_segment_ptr 1
		.amdhsa_user_sgpr_dispatch_id 0
		.amdhsa_user_sgpr_private_segment_size 0
		.amdhsa_wavefront_size32 1
		.amdhsa_uses_dynamic_stack 0
		.amdhsa_enable_private_segment 0
		.amdhsa_system_sgpr_workgroup_id_x 1
		.amdhsa_system_sgpr_workgroup_id_y 1
		.amdhsa_system_sgpr_workgroup_id_z 1
		.amdhsa_system_sgpr_workgroup_info 0
		.amdhsa_system_vgpr_workitem_id 1
		.amdhsa_next_free_vgpr 52
		.amdhsa_next_free_sgpr 22
		.amdhsa_reserve_vcc 1
		.amdhsa_float_round_mode_32 0
		.amdhsa_float_round_mode_16_64 0
		.amdhsa_float_denorm_mode_32 3
		.amdhsa_float_denorm_mode_16_64 3
		.amdhsa_dx10_clamp 1
		.amdhsa_ieee_mode 1
		.amdhsa_fp16_overflow 0
		.amdhsa_workgroup_processor_mode 1
		.amdhsa_memory_ordered 1
		.amdhsa_forward_progress 0
		.amdhsa_shared_vgpr_count 0
		.amdhsa_exception_fp_ieee_invalid_op 0
		.amdhsa_exception_fp_denorm_src 0
		.amdhsa_exception_fp_ieee_div_zero 0
		.amdhsa_exception_fp_ieee_overflow 0
		.amdhsa_exception_fp_ieee_underflow 0
		.amdhsa_exception_fp_ieee_inexact 0
		.amdhsa_exception_int_div_zero 0
	.end_amdhsa_kernel
	.section	.text._ZL37rocblas_syrkx_herkx_restricted_kernelIi19rocblas_complex_numIdELi16ELi32ELi8ELb1ELb0ELc67ELc85EKS1_S1_EviT_T0_PT8_S3_lS6_S3_lS4_PT9_S3_li,"axG",@progbits,_ZL37rocblas_syrkx_herkx_restricted_kernelIi19rocblas_complex_numIdELi16ELi32ELi8ELb1ELb0ELc67ELc85EKS1_S1_EviT_T0_PT8_S3_lS6_S3_lS4_PT9_S3_li,comdat
.Lfunc_end261:
	.size	_ZL37rocblas_syrkx_herkx_restricted_kernelIi19rocblas_complex_numIdELi16ELi32ELi8ELb1ELb0ELc67ELc85EKS1_S1_EviT_T0_PT8_S3_lS6_S3_lS4_PT9_S3_li, .Lfunc_end261-_ZL37rocblas_syrkx_herkx_restricted_kernelIi19rocblas_complex_numIdELi16ELi32ELi8ELb1ELb0ELc67ELc85EKS1_S1_EviT_T0_PT8_S3_lS6_S3_lS4_PT9_S3_li
                                        ; -- End function
	.section	.AMDGPU.csdata,"",@progbits
; Kernel info:
; codeLenInByte = 3340
; NumSgprs: 24
; NumVgprs: 52
; ScratchSize: 0
; MemoryBound: 0
; FloatMode: 240
; IeeeMode: 1
; LDSByteSize: 8192 bytes/workgroup (compile time only)
; SGPRBlocks: 2
; VGPRBlocks: 6
; NumSGPRsForWavesPerEU: 24
; NumVGPRsForWavesPerEU: 52
; Occupancy: 16
; WaveLimiterHint : 0
; COMPUTE_PGM_RSRC2:SCRATCH_EN: 0
; COMPUTE_PGM_RSRC2:USER_SGPR: 13
; COMPUTE_PGM_RSRC2:TRAP_HANDLER: 0
; COMPUTE_PGM_RSRC2:TGID_X_EN: 1
; COMPUTE_PGM_RSRC2:TGID_Y_EN: 1
; COMPUTE_PGM_RSRC2:TGID_Z_EN: 1
; COMPUTE_PGM_RSRC2:TIDIG_COMP_CNT: 1
	.section	.text._ZL37rocblas_syrkx_herkx_restricted_kernelIi19rocblas_complex_numIdELi16ELi32ELi8ELb1ELb0ELc78ELc85EKS1_S1_EviT_T0_PT8_S3_lS6_S3_lS4_PT9_S3_li,"axG",@progbits,_ZL37rocblas_syrkx_herkx_restricted_kernelIi19rocblas_complex_numIdELi16ELi32ELi8ELb1ELb0ELc78ELc85EKS1_S1_EviT_T0_PT8_S3_lS6_S3_lS4_PT9_S3_li,comdat
	.globl	_ZL37rocblas_syrkx_herkx_restricted_kernelIi19rocblas_complex_numIdELi16ELi32ELi8ELb1ELb0ELc78ELc85EKS1_S1_EviT_T0_PT8_S3_lS6_S3_lS4_PT9_S3_li ; -- Begin function _ZL37rocblas_syrkx_herkx_restricted_kernelIi19rocblas_complex_numIdELi16ELi32ELi8ELb1ELb0ELc78ELc85EKS1_S1_EviT_T0_PT8_S3_lS6_S3_lS4_PT9_S3_li
	.p2align	8
	.type	_ZL37rocblas_syrkx_herkx_restricted_kernelIi19rocblas_complex_numIdELi16ELi32ELi8ELb1ELb0ELc78ELc85EKS1_S1_EviT_T0_PT8_S3_lS6_S3_lS4_PT9_S3_li,@function
_ZL37rocblas_syrkx_herkx_restricted_kernelIi19rocblas_complex_numIdELi16ELi32ELi8ELb1ELb0ELc78ELc85EKS1_S1_EviT_T0_PT8_S3_lS6_S3_lS4_PT9_S3_li: ; @_ZL37rocblas_syrkx_herkx_restricted_kernelIi19rocblas_complex_numIdELi16ELi32ELi8ELb1ELb0ELc78ELc85EKS1_S1_EviT_T0_PT8_S3_lS6_S3_lS4_PT9_S3_li
; %bb.0:
	s_clause 0x2
	s_load_b64 s[2:3], s[0:1], 0x0
	s_load_b128 s[4:7], s[0:1], 0x8
	s_load_b64 s[16:17], s[0:1], 0x18
	v_mov_b32_e32 v14, 0
	v_dual_mov_b32 v15, 0 :: v_dual_and_b32 v20, 0x3ff, v0
	v_bfe_u32 v21, v0, 10, 10
	s_delay_alu instid0(VALU_DEP_3) | instskip(NEXT) | instid1(VALU_DEP_3)
	v_mov_b32_e32 v4, v14
	v_dual_mov_b32 v6, v14 :: v_dual_mov_b32 v7, v15
	v_dual_mov_b32 v19, v15 :: v_dual_mov_b32 v18, v14
	;; [unrolled: 1-line block ×4, first 2 shown]
	v_mov_b32_e32 v13, v15
	v_dual_mov_b32 v17, v15 :: v_dual_mov_b32 v16, v14
	v_dual_mov_b32 v8, v14 :: v_dual_mov_b32 v9, v15
	s_lshl_b32 s12, s13, 5
	s_lshl_b32 s13, s14, 5
	s_waitcnt lgkmcnt(0)
	s_cmp_lt_i32 s3, 1
	s_mov_b32 s14, 0
	s_cbranch_scc1 .LBB262_3
; %bb.1:
	v_lshl_add_u32 v0, v21, 4, v20
	v_and_b32_e32 v6, 7, v20
	s_clause 0x3
	s_load_b32 s18, s[0:1], 0x20
	s_load_b32 s20, s[0:1], 0x38
	s_load_b128 s[8:11], s[0:1], 0x28
	s_load_b64 s[22:23], s[0:1], 0x40
	v_lshrrev_b32_e32 v1, 3, v0
	v_lshlrev_b32_e32 v3, 4, v6
	v_lshrrev_b32_e32 v7, 5, v0
	v_lshl_add_u32 v25, v21, 7, 0x1000
	s_delay_alu instid0(VALU_DEP_3) | instskip(NEXT) | instid1(VALU_DEP_1)
	v_lshl_or_b32 v8, v1, 7, v3
	v_dual_mov_b32 v8, 0 :: v_dual_add_nc_u32 v23, 0x1000, v8
	v_dual_mov_b32 v9, 0 :: v_dual_and_b32 v2, 31, v0
	v_add_nc_u32_e32 v0, s13, v1
	s_waitcnt lgkmcnt(0)
	s_ashr_i32 s19, s18, 31
	s_ashr_i32 s21, s20, 31
	v_mov_b32_e32 v13, v9
	v_dual_mov_b32 v17, v9 :: v_dual_lshlrev_b32 v4, 4, v2
	v_dual_mov_b32 v11, v9 :: v_dual_add_nc_u32 v2, s12, v2
	v_ashrrev_i32_e32 v1, 31, v0
	s_mul_i32 s9, s9, s15
	s_delay_alu instid0(VALU_DEP_3)
	v_lshl_or_b32 v22, v7, 9, v4
	s_mul_hi_u32 s24, s8, s15
	v_ashrrev_i32_e32 v3, 31, v2
	v_mad_i64_i32 v[4:5], null, s20, v6, v[0:1]
	s_add_i32 s9, s24, s9
	s_mul_i32 s8, s8, s15
	s_delay_alu instid0(VALU_DEP_2)
	v_mad_i64_i32 v[0:1], null, s18, v7, v[2:3]
	s_lshl_b64 s[8:9], s[8:9], 4
	v_dual_mov_b32 v12, v8 :: v_dual_mov_b32 v19, v9
	s_add_u32 s8, s16, s8
	s_addc_u32 s9, s17, s9
	s_mul_i32 s16, s23, s15
	s_delay_alu instid0(VALU_DEP_2) | instskip(SKIP_4) | instid1(VALU_DEP_4)
	v_lshlrev_b64 v[0:1], 4, v[0:1]
	s_mul_hi_u32 s17, s22, s15
	v_dual_mov_b32 v10, v8 :: v_dual_mov_b32 v15, v9
	v_mov_b32_e32 v6, v8
	v_lshlrev_b32_e32 v24, 4, v20
	v_add_co_u32 v2, vcc_lo, s8, v0
	v_add_co_ci_u32_e32 v3, vcc_lo, s9, v1, vcc_lo
	s_add_i32 s9, s17, s16
	s_mul_i32 s8, s22, s15
	v_lshlrev_b64 v[0:1], 4, v[4:5]
	s_lshl_b64 s[16:17], s[8:9], 4
	s_lshl_b64 s[8:9], s[18:19], 7
	s_add_u32 s10, s10, s16
	s_addc_u32 s11, s11, s17
	v_mov_b32_e32 v16, v8
	v_add_co_u32 v4, vcc_lo, s10, v0
	v_add_co_ci_u32_e32 v5, vcc_lo, s11, v1, vcc_lo
	v_add_co_u32 v0, vcc_lo, v2, 8
	v_add_co_ci_u32_e32 v1, vcc_lo, 0, v3, vcc_lo
	s_delay_alu instid0(VALU_DEP_4) | instskip(NEXT) | instid1(VALU_DEP_4)
	v_add_co_u32 v2, vcc_lo, v4, 8
	v_add_co_ci_u32_e32 v3, vcc_lo, 0, v5, vcc_lo
	v_dual_mov_b32 v4, v8 :: v_dual_mov_b32 v5, v9
	v_dual_mov_b32 v7, v9 :: v_dual_mov_b32 v18, v8
	v_mov_b32_e32 v14, v8
	s_lshl_b64 s[10:11], s[20:21], 7
.LBB262_2:                              ; =>This Inner Loop Header: Depth=1
	global_load_b128 v[26:29], v[0:1], off offset:-8
	v_add_co_u32 v0, vcc_lo, v0, s8
	v_add_co_ci_u32_e32 v1, vcc_lo, s9, v1, vcc_lo
	s_add_i32 s14, s14, 8
	s_delay_alu instid0(SALU_CYCLE_1)
	s_cmp_ge_i32 s14, s3
	s_waitcnt vmcnt(0)
	ds_store_b128 v22, v[26:29]
	global_load_b128 v[26:29], v[2:3], off offset:-8
	v_add_co_u32 v2, vcc_lo, v2, s10
	v_add_co_ci_u32_e32 v3, vcc_lo, s11, v3, vcc_lo
	s_waitcnt vmcnt(0)
	ds_store_b128 v23, v[26:29]
	s_waitcnt lgkmcnt(0)
	s_barrier
	buffer_gl0_inv
	ds_load_b128 v[26:29], v25
	ds_load_b128 v[30:33], v25 offset:16
	ds_load_b128 v[34:37], v25 offset:32
	;; [unrolled: 1-line block ×3, first 2 shown]
	ds_load_b128 v[42:45], v24
	s_waitcnt lgkmcnt(0)
	v_mul_f64 v[46:47], v[28:29], v[44:45]
	v_mul_f64 v[48:49], v[26:27], v[44:45]
	s_delay_alu instid0(VALU_DEP_2) | instskip(NEXT) | instid1(VALU_DEP_2)
	v_fma_f64 v[46:47], v[26:27], v[42:43], -v[46:47]
	v_fma_f64 v[48:49], v[28:29], v[42:43], v[48:49]
	s_delay_alu instid0(VALU_DEP_2) | instskip(NEXT) | instid1(VALU_DEP_2)
	v_add_f64 v[14:15], v[14:15], v[46:47]
	v_add_f64 v[18:19], v[18:19], v[48:49]
	ds_load_b128 v[46:49], v24 offset:256
	s_waitcnt lgkmcnt(0)
	v_mul_f64 v[50:51], v[28:29], v[48:49]
	s_delay_alu instid0(VALU_DEP_1) | instskip(SKIP_1) | instid1(VALU_DEP_1)
	v_fma_f64 v[50:51], v[26:27], v[46:47], -v[50:51]
	v_mul_f64 v[26:27], v[26:27], v[48:49]
	v_fma_f64 v[26:27], v[28:29], v[46:47], v[26:27]
	s_delay_alu instid0(VALU_DEP_3) | instskip(NEXT) | instid1(VALU_DEP_2)
	v_add_f64 v[28:29], v[4:5], v[50:51]
	v_add_f64 v[26:27], v[6:7], v[26:27]
	ds_load_b128 v[4:7], v25 offset:2048
	s_waitcnt lgkmcnt(0)
	v_mul_f64 v[50:51], v[6:7], v[44:45]
	v_mul_f64 v[44:45], v[4:5], v[44:45]
	s_delay_alu instid0(VALU_DEP_2) | instskip(NEXT) | instid1(VALU_DEP_2)
	v_fma_f64 v[50:51], v[4:5], v[42:43], -v[50:51]
	v_fma_f64 v[42:43], v[6:7], v[42:43], v[44:45]
	s_delay_alu instid0(VALU_DEP_2) | instskip(SKIP_1) | instid1(VALU_DEP_3)
	v_add_f64 v[44:45], v[10:11], v[50:51]
	v_mul_f64 v[10:11], v[6:7], v[48:49]
	v_add_f64 v[42:43], v[12:13], v[42:43]
	s_delay_alu instid0(VALU_DEP_2) | instskip(SKIP_1) | instid1(VALU_DEP_2)
	v_fma_f64 v[10:11], v[4:5], v[46:47], -v[10:11]
	v_mul_f64 v[4:5], v[4:5], v[48:49]
	v_add_f64 v[16:17], v[16:17], v[10:11]
	s_delay_alu instid0(VALU_DEP_2) | instskip(NEXT) | instid1(VALU_DEP_1)
	v_fma_f64 v[4:5], v[6:7], v[46:47], v[4:5]
	v_add_f64 v[46:47], v[8:9], v[4:5]
	ds_load_b128 v[4:7], v24 offset:512
	s_waitcnt lgkmcnt(0)
	v_mul_f64 v[8:9], v[32:33], v[6:7]
	v_mul_f64 v[10:11], v[30:31], v[6:7]
	s_delay_alu instid0(VALU_DEP_2) | instskip(NEXT) | instid1(VALU_DEP_2)
	v_fma_f64 v[8:9], v[30:31], v[4:5], -v[8:9]
	v_fma_f64 v[10:11], v[32:33], v[4:5], v[10:11]
	s_delay_alu instid0(VALU_DEP_2) | instskip(NEXT) | instid1(VALU_DEP_2)
	v_add_f64 v[48:49], v[14:15], v[8:9]
	v_add_f64 v[18:19], v[18:19], v[10:11]
	ds_load_b128 v[8:11], v24 offset:768
	s_waitcnt lgkmcnt(0)
	v_mul_f64 v[12:13], v[32:33], v[10:11]
	v_mul_f64 v[14:15], v[30:31], v[10:11]
	s_delay_alu instid0(VALU_DEP_2) | instskip(NEXT) | instid1(VALU_DEP_2)
	v_fma_f64 v[12:13], v[30:31], v[8:9], -v[12:13]
	v_fma_f64 v[14:15], v[32:33], v[8:9], v[14:15]
	s_delay_alu instid0(VALU_DEP_2) | instskip(NEXT) | instid1(VALU_DEP_2)
	v_add_f64 v[28:29], v[28:29], v[12:13]
	v_add_f64 v[26:27], v[26:27], v[14:15]
	ds_load_b128 v[12:15], v25 offset:2064
	s_waitcnt lgkmcnt(0)
	v_mul_f64 v[30:31], v[14:15], v[6:7]
	v_mul_f64 v[6:7], v[12:13], v[6:7]
	s_delay_alu instid0(VALU_DEP_2) | instskip(NEXT) | instid1(VALU_DEP_2)
	v_fma_f64 v[30:31], v[12:13], v[4:5], -v[30:31]
	v_fma_f64 v[4:5], v[14:15], v[4:5], v[6:7]
	v_mul_f64 v[6:7], v[12:13], v[10:11]
	s_delay_alu instid0(VALU_DEP_3) | instskip(NEXT) | instid1(VALU_DEP_3)
	v_add_f64 v[30:31], v[44:45], v[30:31]
	v_add_f64 v[32:33], v[42:43], v[4:5]
	v_mul_f64 v[4:5], v[14:15], v[10:11]
	s_delay_alu instid0(VALU_DEP_4) | instskip(NEXT) | instid1(VALU_DEP_2)
	v_fma_f64 v[6:7], v[14:15], v[8:9], v[6:7]
	v_fma_f64 v[4:5], v[12:13], v[8:9], -v[4:5]
	s_delay_alu instid0(VALU_DEP_2) | instskip(NEXT) | instid1(VALU_DEP_2)
	v_add_f64 v[42:43], v[46:47], v[6:7]
	v_add_f64 v[16:17], v[16:17], v[4:5]
	ds_load_b128 v[4:7], v24 offset:1024
	s_waitcnt lgkmcnt(0)
	v_mul_f64 v[8:9], v[36:37], v[6:7]
	v_mul_f64 v[10:11], v[34:35], v[6:7]
	s_delay_alu instid0(VALU_DEP_2) | instskip(NEXT) | instid1(VALU_DEP_2)
	v_fma_f64 v[8:9], v[34:35], v[4:5], -v[8:9]
	v_fma_f64 v[10:11], v[36:37], v[4:5], v[10:11]
	s_delay_alu instid0(VALU_DEP_2) | instskip(NEXT) | instid1(VALU_DEP_2)
	v_add_f64 v[44:45], v[48:49], v[8:9]
	v_add_f64 v[18:19], v[18:19], v[10:11]
	ds_load_b128 v[8:11], v24 offset:1280
	s_waitcnt lgkmcnt(0)
	v_mul_f64 v[12:13], v[36:37], v[10:11]
	v_mul_f64 v[14:15], v[34:35], v[10:11]
	s_delay_alu instid0(VALU_DEP_2) | instskip(NEXT) | instid1(VALU_DEP_2)
	v_fma_f64 v[12:13], v[34:35], v[8:9], -v[12:13]
	v_fma_f64 v[14:15], v[36:37], v[8:9], v[14:15]
	s_delay_alu instid0(VALU_DEP_2) | instskip(NEXT) | instid1(VALU_DEP_2)
	v_add_f64 v[28:29], v[28:29], v[12:13]
	v_add_f64 v[26:27], v[26:27], v[14:15]
	ds_load_b128 v[12:15], v25 offset:2080
	s_waitcnt lgkmcnt(0)
	v_mul_f64 v[34:35], v[14:15], v[6:7]
	v_mul_f64 v[6:7], v[12:13], v[6:7]
	s_delay_alu instid0(VALU_DEP_2) | instskip(NEXT) | instid1(VALU_DEP_2)
	v_fma_f64 v[34:35], v[12:13], v[4:5], -v[34:35]
	v_fma_f64 v[4:5], v[14:15], v[4:5], v[6:7]
	v_mul_f64 v[6:7], v[12:13], v[10:11]
	s_delay_alu instid0(VALU_DEP_3) | instskip(NEXT) | instid1(VALU_DEP_3)
	v_add_f64 v[30:31], v[30:31], v[34:35]
	v_add_f64 v[32:33], v[32:33], v[4:5]
	v_mul_f64 v[4:5], v[14:15], v[10:11]
	s_delay_alu instid0(VALU_DEP_4) | instskip(NEXT) | instid1(VALU_DEP_2)
	v_fma_f64 v[6:7], v[14:15], v[8:9], v[6:7]
	v_fma_f64 v[4:5], v[12:13], v[8:9], -v[4:5]
	s_delay_alu instid0(VALU_DEP_2) | instskip(NEXT) | instid1(VALU_DEP_2)
	v_add_f64 v[34:35], v[42:43], v[6:7]
	;; [unrolled: 38-line block ×3, first 2 shown]
	v_add_f64 v[16:17], v[16:17], v[4:5]
	ds_load_b128 v[4:7], v25 offset:64
	ds_load_b128 v[8:11], v24 offset:2048
	s_waitcnt lgkmcnt(0)
	v_mul_f64 v[12:13], v[6:7], v[10:11]
	v_mul_f64 v[14:15], v[4:5], v[10:11]
	s_delay_alu instid0(VALU_DEP_2) | instskip(NEXT) | instid1(VALU_DEP_2)
	v_fma_f64 v[12:13], v[4:5], v[8:9], -v[12:13]
	v_fma_f64 v[14:15], v[6:7], v[8:9], v[14:15]
	s_delay_alu instid0(VALU_DEP_2) | instskip(NEXT) | instid1(VALU_DEP_2)
	v_add_f64 v[36:37], v[36:37], v[12:13]
	v_add_f64 v[18:19], v[18:19], v[14:15]
	ds_load_b128 v[12:15], v24 offset:2304
	s_waitcnt lgkmcnt(0)
	v_mul_f64 v[38:39], v[6:7], v[14:15]
	s_delay_alu instid0(VALU_DEP_1) | instskip(SKIP_1) | instid1(VALU_DEP_2)
	v_fma_f64 v[38:39], v[4:5], v[12:13], -v[38:39]
	v_mul_f64 v[4:5], v[4:5], v[14:15]
	v_add_f64 v[28:29], v[28:29], v[38:39]
	s_delay_alu instid0(VALU_DEP_2) | instskip(NEXT) | instid1(VALU_DEP_1)
	v_fma_f64 v[4:5], v[6:7], v[12:13], v[4:5]
	v_add_f64 v[26:27], v[26:27], v[4:5]
	ds_load_b128 v[4:7], v25 offset:2112
	s_waitcnt lgkmcnt(0)
	v_mul_f64 v[38:39], v[6:7], v[10:11]
	v_mul_f64 v[10:11], v[4:5], v[10:11]
	s_delay_alu instid0(VALU_DEP_2) | instskip(NEXT) | instid1(VALU_DEP_2)
	v_fma_f64 v[38:39], v[4:5], v[8:9], -v[38:39]
	v_fma_f64 v[8:9], v[6:7], v[8:9], v[10:11]
	s_delay_alu instid0(VALU_DEP_2) | instskip(NEXT) | instid1(VALU_DEP_2)
	v_add_f64 v[30:31], v[30:31], v[38:39]
	v_add_f64 v[32:33], v[32:33], v[8:9]
	v_mul_f64 v[8:9], v[6:7], v[14:15]
	s_delay_alu instid0(VALU_DEP_1) | instskip(SKIP_1) | instid1(VALU_DEP_2)
	v_fma_f64 v[8:9], v[4:5], v[12:13], -v[8:9]
	v_mul_f64 v[4:5], v[4:5], v[14:15]
	v_add_f64 v[16:17], v[16:17], v[8:9]
	s_delay_alu instid0(VALU_DEP_2) | instskip(NEXT) | instid1(VALU_DEP_1)
	v_fma_f64 v[4:5], v[6:7], v[12:13], v[4:5]
	v_add_f64 v[34:35], v[34:35], v[4:5]
	ds_load_b128 v[4:7], v25 offset:80
	ds_load_b128 v[8:11], v24 offset:2560
	s_waitcnt lgkmcnt(0)
	v_mul_f64 v[12:13], v[6:7], v[10:11]
	v_mul_f64 v[14:15], v[4:5], v[10:11]
	s_delay_alu instid0(VALU_DEP_2) | instskip(NEXT) | instid1(VALU_DEP_2)
	v_fma_f64 v[12:13], v[4:5], v[8:9], -v[12:13]
	v_fma_f64 v[14:15], v[6:7], v[8:9], v[14:15]
	s_delay_alu instid0(VALU_DEP_2) | instskip(NEXT) | instid1(VALU_DEP_2)
	v_add_f64 v[36:37], v[36:37], v[12:13]
	v_add_f64 v[18:19], v[18:19], v[14:15]
	ds_load_b128 v[12:15], v24 offset:2816
	s_waitcnt lgkmcnt(0)
	v_mul_f64 v[38:39], v[6:7], v[14:15]
	s_delay_alu instid0(VALU_DEP_1) | instskip(SKIP_1) | instid1(VALU_DEP_2)
	v_fma_f64 v[38:39], v[4:5], v[12:13], -v[38:39]
	v_mul_f64 v[4:5], v[4:5], v[14:15]
	v_add_f64 v[28:29], v[28:29], v[38:39]
	s_delay_alu instid0(VALU_DEP_2) | instskip(NEXT) | instid1(VALU_DEP_1)
	v_fma_f64 v[4:5], v[6:7], v[12:13], v[4:5]
	v_add_f64 v[26:27], v[26:27], v[4:5]
	ds_load_b128 v[4:7], v25 offset:2128
	s_waitcnt lgkmcnt(0)
	v_mul_f64 v[38:39], v[6:7], v[10:11]
	v_mul_f64 v[10:11], v[4:5], v[10:11]
	s_delay_alu instid0(VALU_DEP_2) | instskip(NEXT) | instid1(VALU_DEP_2)
	v_fma_f64 v[38:39], v[4:5], v[8:9], -v[38:39]
	v_fma_f64 v[8:9], v[6:7], v[8:9], v[10:11]
	s_delay_alu instid0(VALU_DEP_2) | instskip(NEXT) | instid1(VALU_DEP_2)
	v_add_f64 v[30:31], v[30:31], v[38:39]
	v_add_f64 v[32:33], v[32:33], v[8:9]
	v_mul_f64 v[8:9], v[6:7], v[14:15]
	s_delay_alu instid0(VALU_DEP_1) | instskip(SKIP_1) | instid1(VALU_DEP_2)
	v_fma_f64 v[8:9], v[4:5], v[12:13], -v[8:9]
	v_mul_f64 v[4:5], v[4:5], v[14:15]
	v_add_f64 v[16:17], v[16:17], v[8:9]
	s_delay_alu instid0(VALU_DEP_2) | instskip(NEXT) | instid1(VALU_DEP_1)
	v_fma_f64 v[4:5], v[6:7], v[12:13], v[4:5]
	;; [unrolled: 39-line block ×3, first 2 shown]
	v_add_f64 v[34:35], v[34:35], v[4:5]
	ds_load_b128 v[4:7], v25 offset:112
	ds_load_b128 v[8:11], v24 offset:3584
	;; [unrolled: 1-line block ×3, first 2 shown]
	s_waitcnt lgkmcnt(1)
	v_mul_f64 v[14:15], v[4:5], v[10:11]
	v_mul_f64 v[12:13], v[6:7], v[10:11]
	s_delay_alu instid0(VALU_DEP_2) | instskip(NEXT) | instid1(VALU_DEP_2)
	v_fma_f64 v[26:27], v[6:7], v[8:9], v[14:15]
	v_fma_f64 v[12:13], v[4:5], v[8:9], -v[12:13]
	s_delay_alu instid0(VALU_DEP_2)
	v_add_f64 v[18:19], v[18:19], v[26:27]
	ds_load_b128 v[26:29], v24 offset:3840
	v_add_f64 v[14:15], v[36:37], v[12:13]
	s_waitcnt lgkmcnt(0)
	s_barrier
	buffer_gl0_inv
	v_mul_f64 v[12:13], v[6:7], v[28:29]
	s_delay_alu instid0(VALU_DEP_1) | instskip(SKIP_1) | instid1(VALU_DEP_1)
	v_fma_f64 v[12:13], v[4:5], v[26:27], -v[12:13]
	v_mul_f64 v[4:5], v[4:5], v[28:29]
	v_fma_f64 v[6:7], v[6:7], v[26:27], v[4:5]
	s_delay_alu instid0(VALU_DEP_3) | instskip(SKIP_2) | instid1(VALU_DEP_4)
	v_add_f64 v[4:5], v[38:39], v[12:13]
	v_mul_f64 v[12:13], v[32:33], v[10:11]
	v_mul_f64 v[10:11], v[30:31], v[10:11]
	v_add_f64 v[6:7], v[40:41], v[6:7]
	s_delay_alu instid0(VALU_DEP_3) | instskip(NEXT) | instid1(VALU_DEP_3)
	v_fma_f64 v[12:13], v[30:31], v[8:9], -v[12:13]
	v_fma_f64 v[8:9], v[32:33], v[8:9], v[10:11]
	s_delay_alu instid0(VALU_DEP_2) | instskip(NEXT) | instid1(VALU_DEP_2)
	v_add_f64 v[10:11], v[42:43], v[12:13]
	v_add_f64 v[12:13], v[44:45], v[8:9]
	v_mul_f64 v[8:9], v[32:33], v[28:29]
	v_mul_f64 v[28:29], v[30:31], v[28:29]
	s_delay_alu instid0(VALU_DEP_2) | instskip(NEXT) | instid1(VALU_DEP_2)
	v_fma_f64 v[8:9], v[30:31], v[26:27], -v[8:9]
	v_fma_f64 v[26:27], v[32:33], v[26:27], v[28:29]
	s_delay_alu instid0(VALU_DEP_2) | instskip(NEXT) | instid1(VALU_DEP_2)
	v_add_f64 v[16:17], v[16:17], v[8:9]
	v_add_f64 v[8:9], v[34:35], v[26:27]
	s_cbranch_scc0 .LBB262_2
.LBB262_3:
	s_clause 0x2
	s_load_b32 s3, s[0:1], 0x60
	s_load_b64 s[8:9], s[0:1], 0x68
	s_load_b64 s[10:11], s[0:1], 0x58
	v_add_nc_u32_e32 v21, s13, v21
	v_add_nc_u32_e32 v0, s12, v20
	s_delay_alu instid0(VALU_DEP_2)
	v_cmp_gt_i32_e32 vcc_lo, s2, v21
	s_waitcnt lgkmcnt(0)
	v_mad_i64_i32 v[1:2], null, v21, s3, 0
	s_mul_i32 s1, s15, s9
	s_mul_hi_u32 s9, s15, s8
	s_mul_i32 s0, s15, s8
	s_add_i32 s1, s9, s1
	s_delay_alu instid0(SALU_CYCLE_1) | instskip(NEXT) | instid1(VALU_DEP_1)
	s_lshl_b64 s[8:9], s[0:1], 4
	v_lshlrev_b64 v[1:2], 4, v[1:2]
	s_add_u32 s8, s10, s8
	v_cmp_le_i32_e64 s0, v0, v21
	s_addc_u32 s9, s11, s9
	s_delay_alu instid0(VALU_DEP_2) | instskip(NEXT) | instid1(VALU_DEP_1)
	v_add_co_u32 v20, s1, s8, v1
	v_add_co_ci_u32_e64 v22, s1, s9, v2, s1
	s_delay_alu instid0(VALU_DEP_3) | instskip(NEXT) | instid1(SALU_CYCLE_1)
	s_and_b32 s0, vcc_lo, s0
	s_and_saveexec_b32 s1, s0
	s_cbranch_execz .LBB262_5
; %bb.4:
	v_mul_f64 v[1:2], s[6:7], v[18:19]
	v_mul_f64 v[18:19], s[4:5], v[18:19]
	s_delay_alu instid0(VALU_DEP_2) | instskip(NEXT) | instid1(VALU_DEP_2)
	v_fma_f64 v[23:24], s[4:5], v[14:15], -v[1:2]
	v_fma_f64 v[25:26], s[6:7], v[14:15], v[18:19]
	v_ashrrev_i32_e32 v1, 31, v0
	s_delay_alu instid0(VALU_DEP_1) | instskip(NEXT) | instid1(VALU_DEP_1)
	v_lshlrev_b64 v[1:2], 4, v[0:1]
	v_add_co_u32 v1, s0, v20, v1
	s_delay_alu instid0(VALU_DEP_1)
	v_add_co_ci_u32_e64 v2, s0, v22, v2, s0
	global_store_b128 v[1:2], v[23:26], off
.LBB262_5:
	s_or_b32 exec_lo, exec_lo, s1
	v_add_nc_u32_e32 v2, 16, v0
	s_delay_alu instid0(VALU_DEP_1) | instskip(NEXT) | instid1(VALU_DEP_1)
	v_cmp_le_i32_e64 s0, v2, v21
	s_and_b32 s1, vcc_lo, s0
	s_delay_alu instid0(SALU_CYCLE_1)
	s_and_saveexec_b32 s0, s1
	s_cbranch_execz .LBB262_7
; %bb.6:
	v_mul_f64 v[14:15], s[6:7], v[6:7]
	v_mul_f64 v[6:7], s[4:5], v[6:7]
	v_ashrrev_i32_e32 v3, 31, v2
	s_delay_alu instid0(VALU_DEP_3) | instskip(NEXT) | instid1(VALU_DEP_3)
	v_fma_f64 v[23:24], s[4:5], v[4:5], -v[14:15]
	v_fma_f64 v[25:26], s[6:7], v[4:5], v[6:7]
	s_delay_alu instid0(VALU_DEP_3) | instskip(NEXT) | instid1(VALU_DEP_1)
	v_lshlrev_b64 v[3:4], 4, v[2:3]
	v_add_co_u32 v3, vcc_lo, v20, v3
	s_delay_alu instid0(VALU_DEP_2)
	v_add_co_ci_u32_e32 v4, vcc_lo, v22, v4, vcc_lo
	global_store_b128 v[3:4], v[23:26], off
.LBB262_7:
	s_or_b32 exec_lo, exec_lo, s0
	v_add_nc_u32_e32 v3, 16, v21
	s_delay_alu instid0(VALU_DEP_1) | instskip(SKIP_2) | instid1(VALU_DEP_1)
	v_mad_i64_i32 v[4:5], null, v3, s3, 0
	v_cmp_gt_i32_e32 vcc_lo, s2, v3
	v_cmp_le_i32_e64 s0, v0, v3
	s_and_b32 s0, vcc_lo, s0
	s_delay_alu instid0(VALU_DEP_3) | instskip(NEXT) | instid1(VALU_DEP_1)
	v_lshlrev_b64 v[4:5], 4, v[4:5]
	v_add_co_u32 v4, s1, s8, v4
	s_delay_alu instid0(VALU_DEP_1)
	v_add_co_ci_u32_e64 v5, s1, s9, v5, s1
	s_and_saveexec_b32 s1, s0
	s_cbranch_execz .LBB262_9
; %bb.8:
	v_mul_f64 v[6:7], s[6:7], v[12:13]
	v_mul_f64 v[14:15], s[4:5], v[12:13]
	v_ashrrev_i32_e32 v1, 31, v0
	s_delay_alu instid0(VALU_DEP_1) | instskip(NEXT) | instid1(VALU_DEP_1)
	v_lshlrev_b64 v[0:1], 4, v[0:1]
	v_add_co_u32 v0, s0, v4, v0
	s_delay_alu instid0(VALU_DEP_1)
	v_add_co_ci_u32_e64 v1, s0, v5, v1, s0
	v_fma_f64 v[12:13], s[4:5], v[10:11], -v[6:7]
	v_fma_f64 v[14:15], s[6:7], v[10:11], v[14:15]
	global_store_b128 v[0:1], v[12:15], off
.LBB262_9:
	s_or_b32 exec_lo, exec_lo, s1
	v_cmp_le_i32_e64 s0, v2, v3
	s_delay_alu instid0(VALU_DEP_1) | instskip(NEXT) | instid1(SALU_CYCLE_1)
	s_and_b32 s0, vcc_lo, s0
	s_and_saveexec_b32 s1, s0
	s_cbranch_execz .LBB262_11
; %bb.10:
	v_mul_f64 v[0:1], s[6:7], v[8:9]
	v_mul_f64 v[8:9], s[4:5], v[8:9]
	v_ashrrev_i32_e32 v3, 31, v2
	s_delay_alu instid0(VALU_DEP_3) | instskip(NEXT) | instid1(VALU_DEP_3)
	v_fma_f64 v[6:7], s[4:5], v[16:17], -v[0:1]
	v_fma_f64 v[8:9], s[6:7], v[16:17], v[8:9]
	s_delay_alu instid0(VALU_DEP_3) | instskip(NEXT) | instid1(VALU_DEP_1)
	v_lshlrev_b64 v[0:1], 4, v[2:3]
	v_add_co_u32 v0, vcc_lo, v4, v0
	s_delay_alu instid0(VALU_DEP_2)
	v_add_co_ci_u32_e32 v1, vcc_lo, v5, v1, vcc_lo
	global_store_b128 v[0:1], v[6:9], off
.LBB262_11:
	s_nop 0
	s_sendmsg sendmsg(MSG_DEALLOC_VGPRS)
	s_endpgm
	.section	.rodata,"a",@progbits
	.p2align	6, 0x0
	.amdhsa_kernel _ZL37rocblas_syrkx_herkx_restricted_kernelIi19rocblas_complex_numIdELi16ELi32ELi8ELb1ELb0ELc78ELc85EKS1_S1_EviT_T0_PT8_S3_lS6_S3_lS4_PT9_S3_li
		.amdhsa_group_segment_fixed_size 8192
		.amdhsa_private_segment_fixed_size 0
		.amdhsa_kernarg_size 116
		.amdhsa_user_sgpr_count 13
		.amdhsa_user_sgpr_dispatch_ptr 0
		.amdhsa_user_sgpr_queue_ptr 0
		.amdhsa_user_sgpr_kernarg_segment_ptr 1
		.amdhsa_user_sgpr_dispatch_id 0
		.amdhsa_user_sgpr_private_segment_size 0
		.amdhsa_wavefront_size32 1
		.amdhsa_uses_dynamic_stack 0
		.amdhsa_enable_private_segment 0
		.amdhsa_system_sgpr_workgroup_id_x 1
		.amdhsa_system_sgpr_workgroup_id_y 1
		.amdhsa_system_sgpr_workgroup_id_z 1
		.amdhsa_system_sgpr_workgroup_info 0
		.amdhsa_system_vgpr_workitem_id 1
		.amdhsa_next_free_vgpr 52
		.amdhsa_next_free_sgpr 25
		.amdhsa_reserve_vcc 1
		.amdhsa_float_round_mode_32 0
		.amdhsa_float_round_mode_16_64 0
		.amdhsa_float_denorm_mode_32 3
		.amdhsa_float_denorm_mode_16_64 3
		.amdhsa_dx10_clamp 1
		.amdhsa_ieee_mode 1
		.amdhsa_fp16_overflow 0
		.amdhsa_workgroup_processor_mode 1
		.amdhsa_memory_ordered 1
		.amdhsa_forward_progress 0
		.amdhsa_shared_vgpr_count 0
		.amdhsa_exception_fp_ieee_invalid_op 0
		.amdhsa_exception_fp_denorm_src 0
		.amdhsa_exception_fp_ieee_div_zero 0
		.amdhsa_exception_fp_ieee_overflow 0
		.amdhsa_exception_fp_ieee_underflow 0
		.amdhsa_exception_fp_ieee_inexact 0
		.amdhsa_exception_int_div_zero 0
	.end_amdhsa_kernel
	.section	.text._ZL37rocblas_syrkx_herkx_restricted_kernelIi19rocblas_complex_numIdELi16ELi32ELi8ELb1ELb0ELc78ELc85EKS1_S1_EviT_T0_PT8_S3_lS6_S3_lS4_PT9_S3_li,"axG",@progbits,_ZL37rocblas_syrkx_herkx_restricted_kernelIi19rocblas_complex_numIdELi16ELi32ELi8ELb1ELb0ELc78ELc85EKS1_S1_EviT_T0_PT8_S3_lS6_S3_lS4_PT9_S3_li,comdat
.Lfunc_end262:
	.size	_ZL37rocblas_syrkx_herkx_restricted_kernelIi19rocblas_complex_numIdELi16ELi32ELi8ELb1ELb0ELc78ELc85EKS1_S1_EviT_T0_PT8_S3_lS6_S3_lS4_PT9_S3_li, .Lfunc_end262-_ZL37rocblas_syrkx_herkx_restricted_kernelIi19rocblas_complex_numIdELi16ELi32ELi8ELb1ELb0ELc78ELc85EKS1_S1_EviT_T0_PT8_S3_lS6_S3_lS4_PT9_S3_li
                                        ; -- End function
	.section	.AMDGPU.csdata,"",@progbits
; Kernel info:
; codeLenInByte = 3348
; NumSgprs: 27
; NumVgprs: 52
; ScratchSize: 0
; MemoryBound: 0
; FloatMode: 240
; IeeeMode: 1
; LDSByteSize: 8192 bytes/workgroup (compile time only)
; SGPRBlocks: 3
; VGPRBlocks: 6
; NumSGPRsForWavesPerEU: 27
; NumVGPRsForWavesPerEU: 52
; Occupancy: 16
; WaveLimiterHint : 0
; COMPUTE_PGM_RSRC2:SCRATCH_EN: 0
; COMPUTE_PGM_RSRC2:USER_SGPR: 13
; COMPUTE_PGM_RSRC2:TRAP_HANDLER: 0
; COMPUTE_PGM_RSRC2:TGID_X_EN: 1
; COMPUTE_PGM_RSRC2:TGID_Y_EN: 1
; COMPUTE_PGM_RSRC2:TGID_Z_EN: 1
; COMPUTE_PGM_RSRC2:TIDIG_COMP_CNT: 1
	.section	.text._ZL37rocblas_syrkx_herkx_restricted_kernelIi19rocblas_complex_numIdELi16ELi32ELi8ELb0ELb0ELc84ELc76EKS1_S1_EviT_T0_PT8_S3_lS6_S3_lS4_PT9_S3_li,"axG",@progbits,_ZL37rocblas_syrkx_herkx_restricted_kernelIi19rocblas_complex_numIdELi16ELi32ELi8ELb0ELb0ELc84ELc76EKS1_S1_EviT_T0_PT8_S3_lS6_S3_lS4_PT9_S3_li,comdat
	.globl	_ZL37rocblas_syrkx_herkx_restricted_kernelIi19rocblas_complex_numIdELi16ELi32ELi8ELb0ELb0ELc84ELc76EKS1_S1_EviT_T0_PT8_S3_lS6_S3_lS4_PT9_S3_li ; -- Begin function _ZL37rocblas_syrkx_herkx_restricted_kernelIi19rocblas_complex_numIdELi16ELi32ELi8ELb0ELb0ELc84ELc76EKS1_S1_EviT_T0_PT8_S3_lS6_S3_lS4_PT9_S3_li
	.p2align	8
	.type	_ZL37rocblas_syrkx_herkx_restricted_kernelIi19rocblas_complex_numIdELi16ELi32ELi8ELb0ELb0ELc84ELc76EKS1_S1_EviT_T0_PT8_S3_lS6_S3_lS4_PT9_S3_li,@function
_ZL37rocblas_syrkx_herkx_restricted_kernelIi19rocblas_complex_numIdELi16ELi32ELi8ELb0ELb0ELc84ELc76EKS1_S1_EviT_T0_PT8_S3_lS6_S3_lS4_PT9_S3_li: ; @_ZL37rocblas_syrkx_herkx_restricted_kernelIi19rocblas_complex_numIdELi16ELi32ELi8ELb0ELb0ELc84ELc76EKS1_S1_EviT_T0_PT8_S3_lS6_S3_lS4_PT9_S3_li
; %bb.0:
	s_clause 0x3
	s_load_b64 s[2:3], s[0:1], 0x0
	s_load_b128 s[16:19], s[0:1], 0x8
	s_load_b64 s[24:25], s[0:1], 0x18
	s_load_b256 s[4:11], s[0:1], 0x40
	v_mov_b32_e32 v16, 0
	v_dual_mov_b32 v17, 0 :: v_dual_and_b32 v20, 0x3ff, v0
	v_bfe_u32 v21, v0, 10, 10
	s_delay_alu instid0(VALU_DEP_3) | instskip(NEXT) | instid1(VALU_DEP_3)
	v_mov_b32_e32 v4, v16
	v_dual_mov_b32 v8, v16 :: v_dual_mov_b32 v9, v17
	v_dual_mov_b32 v19, v17 :: v_dual_mov_b32 v18, v16
	;; [unrolled: 1-line block ×6, first 2 shown]
	v_mov_b32_e32 v11, v17
	s_lshl_b32 s12, s13, 5
	s_lshl_b32 s13, s14, 5
	s_waitcnt lgkmcnt(0)
	s_cmp_lt_i32 s3, 1
	s_mov_b32 s14, 0
	s_cbranch_scc1 .LBB263_3
; %bb.1:
	v_lshl_add_u32 v2, v21, 4, v20
	s_clause 0x2
	s_load_b128 s[20:23], s[0:1], 0x28
	s_load_b32 s26, s[0:1], 0x20
	s_load_b32 s27, s[0:1], 0x38
	v_dual_mov_b32 v1, 0 :: v_dual_and_b32 v0, 7, v20
	v_and_b32_e32 v4, 31, v2
	v_lshlrev_b32_e32 v22, 4, v20
	v_lshrrev_b32_e32 v5, 3, v2
	v_lshrrev_b32_e32 v2, 5, v2
	v_mov_b32_e32 v3, v1
	v_dual_mov_b32 v10, 0 :: v_dual_lshlrev_b32 v7, 4, v4
	v_dual_mov_b32 v11, 0 :: v_dual_lshlrev_b32 v6, 4, v0
	v_add_nc_u32_e32 v9, s12, v4
	v_add_nc_u32_e32 v8, s13, v5
	s_delay_alu instid0(VALU_DEP_4) | instskip(NEXT) | instid1(VALU_DEP_4)
	v_lshl_or_b32 v23, v2, 9, v7
	v_mov_b32_e32 v15, v11
	v_lshl_or_b32 v6, v5, 7, v6
	s_mul_i32 s5, s5, s15
	s_waitcnt lgkmcnt(0)
	s_mul_i32 s21, s21, s15
	s_mul_hi_u32 s28, s20, s15
	s_mul_i32 s20, s20, s15
	v_dual_mov_b32 v13, v11 :: v_dual_add_nc_u32 v24, 0x1000, v6
	v_mov_b32_e32 v6, v10
	v_mad_i64_i32 v[4:5], null, s26, v9, v[2:3]
	v_mad_i64_i32 v[2:3], null, s27, v8, v[0:1]
	s_add_i32 s21, s28, s21
	v_dual_mov_b32 v8, v10 :: v_dual_mov_b32 v19, v11
	s_lshl_b64 s[20:21], s[20:21], 4
	s_delay_alu instid0(VALU_DEP_3)
	v_lshlrev_b64 v[0:1], 4, v[4:5]
	s_add_u32 s20, s24, s20
	s_mul_hi_u32 s24, s4, s15
	s_addc_u32 s21, s25, s21
	s_add_i32 s5, s24, s5
	s_mul_i32 s4, s4, s15
	v_lshlrev_b64 v[2:3], 4, v[2:3]
	s_lshl_b64 s[4:5], s[4:5], 4
	v_add_co_u32 v0, vcc_lo, s20, v0
	s_add_u32 s4, s22, s4
	v_add_co_ci_u32_e32 v1, vcc_lo, s21, v1, vcc_lo
	s_addc_u32 s5, s23, s5
	v_add_co_u32 v2, vcc_lo, s4, v2
	v_add_co_ci_u32_e32 v3, vcc_lo, s5, v3, vcc_lo
	v_add_co_u32 v0, vcc_lo, v0, 8
	v_add_co_ci_u32_e32 v1, vcc_lo, 0, v1, vcc_lo
	s_delay_alu instid0(VALU_DEP_4)
	v_add_co_u32 v2, vcc_lo, v2, 8
	v_dual_mov_b32 v4, v10 :: v_dual_mov_b32 v17, v11
	v_lshl_add_u32 v25, v21, 7, 0x1000
	v_add_co_ci_u32_e32 v3, vcc_lo, 0, v3, vcc_lo
	v_dual_mov_b32 v7, v11 :: v_dual_mov_b32 v14, v10
	v_dual_mov_b32 v9, v11 :: v_dual_mov_b32 v12, v10
	;; [unrolled: 1-line block ×3, first 2 shown]
	v_mov_b32_e32 v16, v10
.LBB263_2:                              ; =>This Inner Loop Header: Depth=1
	global_load_b128 v[26:29], v[0:1], off offset:-8
	v_add_co_u32 v0, vcc_lo, 0x80, v0
	v_add_co_ci_u32_e32 v1, vcc_lo, 0, v1, vcc_lo
	s_add_i32 s14, s14, 8
	s_delay_alu instid0(SALU_CYCLE_1)
	s_cmp_ge_i32 s14, s3
	s_waitcnt vmcnt(0)
	ds_store_b128 v23, v[26:29]
	global_load_b128 v[26:29], v[2:3], off offset:-8
	v_add_co_u32 v2, vcc_lo, 0x80, v2
	v_add_co_ci_u32_e32 v3, vcc_lo, 0, v3, vcc_lo
	s_waitcnt vmcnt(0)
	ds_store_b128 v24, v[26:29]
	s_waitcnt lgkmcnt(0)
	s_barrier
	buffer_gl0_inv
	ds_load_b128 v[26:29], v25
	ds_load_b128 v[30:33], v25 offset:16
	ds_load_b128 v[34:37], v25 offset:32
	;; [unrolled: 1-line block ×3, first 2 shown]
	ds_load_b128 v[42:45], v22
	s_waitcnt lgkmcnt(0)
	v_mul_f64 v[46:47], v[28:29], v[44:45]
	v_mul_f64 v[48:49], v[26:27], v[44:45]
	s_delay_alu instid0(VALU_DEP_2) | instskip(NEXT) | instid1(VALU_DEP_2)
	v_fma_f64 v[46:47], v[26:27], v[42:43], -v[46:47]
	v_fma_f64 v[48:49], v[28:29], v[42:43], v[48:49]
	s_delay_alu instid0(VALU_DEP_2) | instskip(NEXT) | instid1(VALU_DEP_2)
	v_add_f64 v[46:47], v[16:17], v[46:47]
	v_add_f64 v[48:49], v[18:19], v[48:49]
	ds_load_b128 v[16:19], v22 offset:256
	s_waitcnt lgkmcnt(0)
	v_mul_f64 v[50:51], v[28:29], v[18:19]
	s_delay_alu instid0(VALU_DEP_1) | instskip(SKIP_1) | instid1(VALU_DEP_2)
	v_fma_f64 v[50:51], v[26:27], v[16:17], -v[50:51]
	v_mul_f64 v[26:27], v[26:27], v[18:19]
	v_add_f64 v[50:51], v[4:5], v[50:51]
	s_delay_alu instid0(VALU_DEP_2) | instskip(NEXT) | instid1(VALU_DEP_1)
	v_fma_f64 v[26:27], v[28:29], v[16:17], v[26:27]
	v_add_f64 v[52:53], v[8:9], v[26:27]
	ds_load_b128 v[26:29], v25 offset:2048
	s_waitcnt lgkmcnt(0)
	v_mul_f64 v[4:5], v[28:29], v[44:45]
	v_mul_f64 v[8:9], v[26:27], v[44:45]
	s_delay_alu instid0(VALU_DEP_2) | instskip(NEXT) | instid1(VALU_DEP_2)
	v_fma_f64 v[4:5], v[26:27], v[42:43], -v[4:5]
	v_fma_f64 v[8:9], v[28:29], v[42:43], v[8:9]
	s_delay_alu instid0(VALU_DEP_2) | instskip(SKIP_1) | instid1(VALU_DEP_3)
	v_add_f64 v[42:43], v[12:13], v[4:5]
	v_mul_f64 v[4:5], v[28:29], v[18:19]
	v_add_f64 v[44:45], v[14:15], v[8:9]
	v_mul_f64 v[8:9], v[26:27], v[18:19]
	s_delay_alu instid0(VALU_DEP_3) | instskip(NEXT) | instid1(VALU_DEP_2)
	v_fma_f64 v[4:5], v[26:27], v[16:17], -v[4:5]
	v_fma_f64 v[8:9], v[28:29], v[16:17], v[8:9]
	s_delay_alu instid0(VALU_DEP_2)
	v_add_f64 v[16:17], v[6:7], v[4:5]
	ds_load_b128 v[4:7], v22 offset:512
	v_add_f64 v[18:19], v[10:11], v[8:9]
	s_waitcnt lgkmcnt(0)
	v_mul_f64 v[8:9], v[32:33], v[6:7]
	v_mul_f64 v[10:11], v[30:31], v[6:7]
	s_delay_alu instid0(VALU_DEP_2) | instskip(NEXT) | instid1(VALU_DEP_2)
	v_fma_f64 v[8:9], v[30:31], v[4:5], -v[8:9]
	v_fma_f64 v[10:11], v[32:33], v[4:5], v[10:11]
	s_delay_alu instid0(VALU_DEP_2) | instskip(NEXT) | instid1(VALU_DEP_2)
	v_add_f64 v[26:27], v[46:47], v[8:9]
	v_add_f64 v[28:29], v[48:49], v[10:11]
	ds_load_b128 v[8:11], v22 offset:768
	s_waitcnt lgkmcnt(0)
	v_mul_f64 v[12:13], v[32:33], v[10:11]
	v_mul_f64 v[14:15], v[30:31], v[10:11]
	s_delay_alu instid0(VALU_DEP_2) | instskip(NEXT) | instid1(VALU_DEP_2)
	v_fma_f64 v[12:13], v[30:31], v[8:9], -v[12:13]
	v_fma_f64 v[14:15], v[32:33], v[8:9], v[14:15]
	s_delay_alu instid0(VALU_DEP_2) | instskip(NEXT) | instid1(VALU_DEP_2)
	v_add_f64 v[30:31], v[50:51], v[12:13]
	v_add_f64 v[32:33], v[52:53], v[14:15]
	ds_load_b128 v[12:15], v25 offset:2064
	s_waitcnt lgkmcnt(0)
	v_mul_f64 v[46:47], v[14:15], v[6:7]
	v_mul_f64 v[6:7], v[12:13], v[6:7]
	s_delay_alu instid0(VALU_DEP_2) | instskip(NEXT) | instid1(VALU_DEP_2)
	v_fma_f64 v[46:47], v[12:13], v[4:5], -v[46:47]
	v_fma_f64 v[4:5], v[14:15], v[4:5], v[6:7]
	v_mul_f64 v[6:7], v[12:13], v[10:11]
	s_delay_alu instid0(VALU_DEP_3) | instskip(NEXT) | instid1(VALU_DEP_3)
	v_add_f64 v[42:43], v[42:43], v[46:47]
	v_add_f64 v[44:45], v[44:45], v[4:5]
	v_mul_f64 v[4:5], v[14:15], v[10:11]
	s_delay_alu instid0(VALU_DEP_4) | instskip(NEXT) | instid1(VALU_DEP_2)
	v_fma_f64 v[6:7], v[14:15], v[8:9], v[6:7]
	v_fma_f64 v[4:5], v[12:13], v[8:9], -v[4:5]
	s_delay_alu instid0(VALU_DEP_2) | instskip(NEXT) | instid1(VALU_DEP_2)
	v_add_f64 v[18:19], v[18:19], v[6:7]
	v_add_f64 v[16:17], v[16:17], v[4:5]
	ds_load_b128 v[4:7], v22 offset:1024
	s_waitcnt lgkmcnt(0)
	v_mul_f64 v[8:9], v[36:37], v[6:7]
	v_mul_f64 v[10:11], v[34:35], v[6:7]
	s_delay_alu instid0(VALU_DEP_2) | instskip(NEXT) | instid1(VALU_DEP_2)
	v_fma_f64 v[8:9], v[34:35], v[4:5], -v[8:9]
	v_fma_f64 v[10:11], v[36:37], v[4:5], v[10:11]
	s_delay_alu instid0(VALU_DEP_2) | instskip(NEXT) | instid1(VALU_DEP_2)
	v_add_f64 v[26:27], v[26:27], v[8:9]
	v_add_f64 v[28:29], v[28:29], v[10:11]
	ds_load_b128 v[8:11], v22 offset:1280
	s_waitcnt lgkmcnt(0)
	v_mul_f64 v[12:13], v[36:37], v[10:11]
	v_mul_f64 v[14:15], v[34:35], v[10:11]
	s_delay_alu instid0(VALU_DEP_2) | instskip(NEXT) | instid1(VALU_DEP_2)
	v_fma_f64 v[12:13], v[34:35], v[8:9], -v[12:13]
	v_fma_f64 v[14:15], v[36:37], v[8:9], v[14:15]
	s_delay_alu instid0(VALU_DEP_2) | instskip(NEXT) | instid1(VALU_DEP_2)
	v_add_f64 v[30:31], v[30:31], v[12:13]
	v_add_f64 v[32:33], v[32:33], v[14:15]
	ds_load_b128 v[12:15], v25 offset:2080
	s_waitcnt lgkmcnt(0)
	v_mul_f64 v[34:35], v[14:15], v[6:7]
	v_mul_f64 v[6:7], v[12:13], v[6:7]
	s_delay_alu instid0(VALU_DEP_2) | instskip(NEXT) | instid1(VALU_DEP_2)
	v_fma_f64 v[34:35], v[12:13], v[4:5], -v[34:35]
	v_fma_f64 v[4:5], v[14:15], v[4:5], v[6:7]
	v_mul_f64 v[6:7], v[12:13], v[10:11]
	s_delay_alu instid0(VALU_DEP_3) | instskip(NEXT) | instid1(VALU_DEP_3)
	v_add_f64 v[34:35], v[42:43], v[34:35]
	v_add_f64 v[36:37], v[44:45], v[4:5]
	v_mul_f64 v[4:5], v[14:15], v[10:11]
	s_delay_alu instid0(VALU_DEP_4) | instskip(NEXT) | instid1(VALU_DEP_2)
	v_fma_f64 v[6:7], v[14:15], v[8:9], v[6:7]
	v_fma_f64 v[4:5], v[12:13], v[8:9], -v[4:5]
	s_delay_alu instid0(VALU_DEP_2) | instskip(NEXT) | instid1(VALU_DEP_2)
	v_add_f64 v[18:19], v[18:19], v[6:7]
	v_add_f64 v[16:17], v[16:17], v[4:5]
	ds_load_b128 v[4:7], v22 offset:1536
	;; [unrolled: 38-line block ×3, first 2 shown]
	ds_load_b128 v[8:11], v22 offset:2048
	s_waitcnt lgkmcnt(0)
	v_mul_f64 v[12:13], v[6:7], v[10:11]
	v_mul_f64 v[14:15], v[4:5], v[10:11]
	s_delay_alu instid0(VALU_DEP_2) | instskip(NEXT) | instid1(VALU_DEP_2)
	v_fma_f64 v[12:13], v[4:5], v[8:9], -v[12:13]
	v_fma_f64 v[14:15], v[6:7], v[8:9], v[14:15]
	s_delay_alu instid0(VALU_DEP_2) | instskip(NEXT) | instid1(VALU_DEP_2)
	v_add_f64 v[26:27], v[26:27], v[12:13]
	v_add_f64 v[28:29], v[28:29], v[14:15]
	ds_load_b128 v[12:15], v22 offset:2304
	s_waitcnt lgkmcnt(0)
	v_mul_f64 v[38:39], v[6:7], v[14:15]
	s_delay_alu instid0(VALU_DEP_1) | instskip(SKIP_1) | instid1(VALU_DEP_2)
	v_fma_f64 v[38:39], v[4:5], v[12:13], -v[38:39]
	v_mul_f64 v[4:5], v[4:5], v[14:15]
	v_add_f64 v[30:31], v[30:31], v[38:39]
	s_delay_alu instid0(VALU_DEP_2) | instskip(NEXT) | instid1(VALU_DEP_1)
	v_fma_f64 v[4:5], v[6:7], v[12:13], v[4:5]
	v_add_f64 v[32:33], v[32:33], v[4:5]
	ds_load_b128 v[4:7], v25 offset:2112
	s_waitcnt lgkmcnt(0)
	v_mul_f64 v[38:39], v[6:7], v[10:11]
	v_mul_f64 v[10:11], v[4:5], v[10:11]
	s_delay_alu instid0(VALU_DEP_2) | instskip(NEXT) | instid1(VALU_DEP_2)
	v_fma_f64 v[38:39], v[4:5], v[8:9], -v[38:39]
	v_fma_f64 v[8:9], v[6:7], v[8:9], v[10:11]
	s_delay_alu instid0(VALU_DEP_2) | instskip(NEXT) | instid1(VALU_DEP_2)
	v_add_f64 v[34:35], v[34:35], v[38:39]
	v_add_f64 v[36:37], v[36:37], v[8:9]
	v_mul_f64 v[8:9], v[6:7], v[14:15]
	s_delay_alu instid0(VALU_DEP_1) | instskip(SKIP_1) | instid1(VALU_DEP_2)
	v_fma_f64 v[8:9], v[4:5], v[12:13], -v[8:9]
	v_mul_f64 v[4:5], v[4:5], v[14:15]
	v_add_f64 v[16:17], v[16:17], v[8:9]
	s_delay_alu instid0(VALU_DEP_2) | instskip(NEXT) | instid1(VALU_DEP_1)
	v_fma_f64 v[4:5], v[6:7], v[12:13], v[4:5]
	v_add_f64 v[18:19], v[18:19], v[4:5]
	ds_load_b128 v[4:7], v25 offset:80
	ds_load_b128 v[8:11], v22 offset:2560
	s_waitcnt lgkmcnt(0)
	v_mul_f64 v[12:13], v[6:7], v[10:11]
	v_mul_f64 v[14:15], v[4:5], v[10:11]
	s_delay_alu instid0(VALU_DEP_2) | instskip(NEXT) | instid1(VALU_DEP_2)
	v_fma_f64 v[12:13], v[4:5], v[8:9], -v[12:13]
	v_fma_f64 v[14:15], v[6:7], v[8:9], v[14:15]
	s_delay_alu instid0(VALU_DEP_2) | instskip(NEXT) | instid1(VALU_DEP_2)
	v_add_f64 v[26:27], v[26:27], v[12:13]
	v_add_f64 v[28:29], v[28:29], v[14:15]
	ds_load_b128 v[12:15], v22 offset:2816
	s_waitcnt lgkmcnt(0)
	v_mul_f64 v[38:39], v[6:7], v[14:15]
	s_delay_alu instid0(VALU_DEP_1) | instskip(SKIP_1) | instid1(VALU_DEP_2)
	v_fma_f64 v[38:39], v[4:5], v[12:13], -v[38:39]
	v_mul_f64 v[4:5], v[4:5], v[14:15]
	v_add_f64 v[30:31], v[30:31], v[38:39]
	s_delay_alu instid0(VALU_DEP_2) | instskip(NEXT) | instid1(VALU_DEP_1)
	v_fma_f64 v[4:5], v[6:7], v[12:13], v[4:5]
	v_add_f64 v[32:33], v[32:33], v[4:5]
	ds_load_b128 v[4:7], v25 offset:2128
	s_waitcnt lgkmcnt(0)
	v_mul_f64 v[38:39], v[6:7], v[10:11]
	v_mul_f64 v[10:11], v[4:5], v[10:11]
	s_delay_alu instid0(VALU_DEP_2) | instskip(NEXT) | instid1(VALU_DEP_2)
	v_fma_f64 v[38:39], v[4:5], v[8:9], -v[38:39]
	v_fma_f64 v[8:9], v[6:7], v[8:9], v[10:11]
	s_delay_alu instid0(VALU_DEP_2) | instskip(NEXT) | instid1(VALU_DEP_2)
	v_add_f64 v[34:35], v[34:35], v[38:39]
	v_add_f64 v[36:37], v[36:37], v[8:9]
	v_mul_f64 v[8:9], v[6:7], v[14:15]
	s_delay_alu instid0(VALU_DEP_1) | instskip(SKIP_1) | instid1(VALU_DEP_2)
	v_fma_f64 v[8:9], v[4:5], v[12:13], -v[8:9]
	v_mul_f64 v[4:5], v[4:5], v[14:15]
	v_add_f64 v[16:17], v[16:17], v[8:9]
	s_delay_alu instid0(VALU_DEP_2) | instskip(NEXT) | instid1(VALU_DEP_1)
	v_fma_f64 v[4:5], v[6:7], v[12:13], v[4:5]
	v_add_f64 v[18:19], v[18:19], v[4:5]
	ds_load_b128 v[4:7], v25 offset:96
	;; [unrolled: 39-line block ×3, first 2 shown]
	ds_load_b128 v[10:13], v22 offset:3584
	s_waitcnt lgkmcnt(0)
	v_mul_f64 v[8:9], v[6:7], v[12:13]
	v_mul_f64 v[14:15], v[4:5], v[12:13]
	s_delay_alu instid0(VALU_DEP_2) | instskip(NEXT) | instid1(VALU_DEP_2)
	v_fma_f64 v[8:9], v[4:5], v[10:11], -v[8:9]
	v_fma_f64 v[14:15], v[6:7], v[10:11], v[14:15]
	s_delay_alu instid0(VALU_DEP_2) | instskip(NEXT) | instid1(VALU_DEP_2)
	v_add_f64 v[16:17], v[26:27], v[8:9]
	v_add_f64 v[18:19], v[28:29], v[14:15]
	ds_load_b128 v[26:29], v22 offset:3840
	s_waitcnt lgkmcnt(0)
	v_mul_f64 v[8:9], v[6:7], v[28:29]
	s_delay_alu instid0(VALU_DEP_1) | instskip(SKIP_1) | instid1(VALU_DEP_1)
	v_fma_f64 v[8:9], v[4:5], v[26:27], -v[8:9]
	v_mul_f64 v[4:5], v[4:5], v[28:29]
	v_fma_f64 v[6:7], v[6:7], v[26:27], v[4:5]
	s_delay_alu instid0(VALU_DEP_3) | instskip(NEXT) | instid1(VALU_DEP_2)
	v_add_f64 v[4:5], v[30:31], v[8:9]
	v_add_f64 v[8:9], v[32:33], v[6:7]
	ds_load_b128 v[30:33], v25 offset:2160
	s_waitcnt lgkmcnt(0)
	s_barrier
	buffer_gl0_inv
	v_mul_f64 v[6:7], v[32:33], v[12:13]
	v_mul_f64 v[12:13], v[30:31], v[12:13]
	s_delay_alu instid0(VALU_DEP_2) | instskip(NEXT) | instid1(VALU_DEP_2)
	v_fma_f64 v[6:7], v[30:31], v[10:11], -v[6:7]
	v_fma_f64 v[10:11], v[32:33], v[10:11], v[12:13]
	s_delay_alu instid0(VALU_DEP_2) | instskip(NEXT) | instid1(VALU_DEP_2)
	v_add_f64 v[12:13], v[34:35], v[6:7]
	v_add_f64 v[14:15], v[36:37], v[10:11]
	v_mul_f64 v[6:7], v[32:33], v[28:29]
	v_mul_f64 v[10:11], v[30:31], v[28:29]
	s_delay_alu instid0(VALU_DEP_2) | instskip(NEXT) | instid1(VALU_DEP_2)
	v_fma_f64 v[6:7], v[30:31], v[26:27], -v[6:7]
	v_fma_f64 v[10:11], v[32:33], v[26:27], v[10:11]
	s_delay_alu instid0(VALU_DEP_2) | instskip(NEXT) | instid1(VALU_DEP_2)
	v_add_f64 v[6:7], v[38:39], v[6:7]
	v_add_f64 v[10:11], v[40:41], v[10:11]
	s_cbranch_scc0 .LBB263_2
.LBB263_3:
	s_clause 0x1
	s_load_b32 s3, s[0:1], 0x60
	s_load_b64 s[4:5], s[0:1], 0x68
	v_add_nc_u32_e32 v21, s13, v21
	v_add_nc_u32_e32 v0, s12, v20
	s_delay_alu instid0(VALU_DEP_1)
	v_cmp_le_i32_e64 s0, v21, v0
	v_cmp_gt_i32_e32 vcc_lo, s2, v0
	s_waitcnt lgkmcnt(0)
	v_mad_i64_i32 v[1:2], null, v21, s3, 0
	s_mul_i32 s1, s15, s5
	s_mul_hi_u32 s5, s15, s4
	s_mul_i32 s4, s15, s4
	s_add_i32 s5, s5, s1
	s_delay_alu instid0(SALU_CYCLE_1) | instskip(NEXT) | instid1(VALU_DEP_1)
	s_lshl_b64 s[4:5], s[4:5], 4
	v_lshlrev_b64 v[1:2], 4, v[1:2]
	s_add_u32 s4, s10, s4
	s_addc_u32 s5, s11, s5
	s_and_b32 s0, s0, vcc_lo
	s_delay_alu instid0(VALU_DEP_1) | instskip(NEXT) | instid1(VALU_DEP_1)
	v_add_co_u32 v20, s1, s4, v1
	v_add_co_ci_u32_e64 v22, s1, s5, v2, s1
	s_and_saveexec_b32 s1, s0
	s_cbranch_execz .LBB263_5
; %bb.4:
	v_ashrrev_i32_e32 v1, 31, v0
	v_mul_f64 v[27:28], s[18:19], v[18:19]
	v_mul_f64 v[18:19], s[16:17], v[18:19]
	s_delay_alu instid0(VALU_DEP_3) | instskip(NEXT) | instid1(VALU_DEP_1)
	v_lshlrev_b64 v[1:2], 4, v[0:1]
	v_add_co_u32 v1, s0, v20, v1
	s_delay_alu instid0(VALU_DEP_1)
	v_add_co_ci_u32_e64 v2, s0, v22, v2, s0
	global_load_b128 v[23:26], v[1:2], off
	v_fma_f64 v[27:28], s[16:17], v[16:17], -v[27:28]
	v_fma_f64 v[18:19], s[18:19], v[16:17], v[18:19]
	s_waitcnt vmcnt(0)
	v_mul_f64 v[29:30], s[8:9], v[25:26]
	v_mul_f64 v[25:26], s[6:7], v[25:26]
	s_delay_alu instid0(VALU_DEP_2) | instskip(NEXT) | instid1(VALU_DEP_2)
	v_fma_f64 v[16:17], s[6:7], v[23:24], -v[29:30]
	v_fma_f64 v[23:24], s[8:9], v[23:24], v[25:26]
	s_delay_alu instid0(VALU_DEP_2) | instskip(NEXT) | instid1(VALU_DEP_2)
	v_add_f64 v[16:17], v[27:28], v[16:17]
	v_add_f64 v[18:19], v[18:19], v[23:24]
	global_store_b128 v[1:2], v[16:19], off
.LBB263_5:
	s_or_b32 exec_lo, exec_lo, s1
	v_add_nc_u32_e32 v2, 16, v0
	s_delay_alu instid0(VALU_DEP_1) | instskip(SKIP_1) | instid1(VALU_DEP_1)
	v_cmp_le_i32_e64 s1, v21, v2
	v_cmp_gt_i32_e64 s0, s2, v2
	s_and_b32 s1, s1, s0
	s_delay_alu instid0(SALU_CYCLE_1)
	s_and_saveexec_b32 s2, s1
	s_cbranch_execz .LBB263_7
; %bb.6:
	v_ashrrev_i32_e32 v3, 31, v2
	v_mul_f64 v[25:26], s[18:19], v[8:9]
	v_mul_f64 v[8:9], s[16:17], v[8:9]
	s_delay_alu instid0(VALU_DEP_3) | instskip(NEXT) | instid1(VALU_DEP_1)
	v_lshlrev_b64 v[16:17], 4, v[2:3]
	v_add_co_u32 v23, s1, v20, v16
	s_delay_alu instid0(VALU_DEP_1)
	v_add_co_ci_u32_e64 v24, s1, v22, v17, s1
	global_load_b128 v[16:19], v[23:24], off
	v_fma_f64 v[25:26], s[16:17], v[4:5], -v[25:26]
	v_fma_f64 v[3:4], s[18:19], v[4:5], v[8:9]
	s_waitcnt vmcnt(0)
	v_mul_f64 v[27:28], s[8:9], v[18:19]
	v_mul_f64 v[18:19], s[6:7], v[18:19]
	s_delay_alu instid0(VALU_DEP_2) | instskip(NEXT) | instid1(VALU_DEP_2)
	v_fma_f64 v[8:9], s[6:7], v[16:17], -v[27:28]
	v_fma_f64 v[18:19], s[8:9], v[16:17], v[18:19]
	s_delay_alu instid0(VALU_DEP_2) | instskip(NEXT) | instid1(VALU_DEP_2)
	v_add_f64 v[16:17], v[25:26], v[8:9]
	v_add_f64 v[18:19], v[3:4], v[18:19]
	global_store_b128 v[23:24], v[16:19], off
.LBB263_7:
	s_or_b32 exec_lo, exec_lo, s2
	v_add_nc_u32_e32 v3, 16, v21
	s_delay_alu instid0(VALU_DEP_1) | instskip(SKIP_1) | instid1(VALU_DEP_2)
	v_mad_i64_i32 v[4:5], null, v3, s3, 0
	v_cmp_le_i32_e64 s1, v3, v0
	v_lshlrev_b64 v[4:5], 4, v[4:5]
	s_delay_alu instid0(VALU_DEP_1) | instskip(NEXT) | instid1(VALU_DEP_1)
	v_add_co_u32 v4, s2, s4, v4
	v_add_co_ci_u32_e64 v5, s2, s5, v5, s2
	s_delay_alu instid0(VALU_DEP_4) | instskip(NEXT) | instid1(SALU_CYCLE_1)
	s_and_b32 s2, s1, vcc_lo
	s_and_saveexec_b32 s1, s2
	s_cbranch_execz .LBB263_9
; %bb.8:
	v_ashrrev_i32_e32 v1, 31, v0
	v_mul_f64 v[8:9], s[18:19], v[14:15]
	v_mul_f64 v[14:15], s[16:17], v[14:15]
	s_delay_alu instid0(VALU_DEP_3) | instskip(NEXT) | instid1(VALU_DEP_1)
	v_lshlrev_b64 v[0:1], 4, v[0:1]
	v_add_co_u32 v0, vcc_lo, v4, v0
	s_delay_alu instid0(VALU_DEP_2)
	v_add_co_ci_u32_e32 v1, vcc_lo, v5, v1, vcc_lo
	global_load_b128 v[16:19], v[0:1], off
	v_fma_f64 v[8:9], s[16:17], v[12:13], -v[8:9]
	v_fma_f64 v[14:15], s[18:19], v[12:13], v[14:15]
	s_waitcnt vmcnt(0)
	v_mul_f64 v[20:21], s[8:9], v[18:19]
	v_mul_f64 v[18:19], s[6:7], v[18:19]
	s_delay_alu instid0(VALU_DEP_2) | instskip(NEXT) | instid1(VALU_DEP_2)
	v_fma_f64 v[12:13], s[6:7], v[16:17], -v[20:21]
	v_fma_f64 v[16:17], s[8:9], v[16:17], v[18:19]
	s_delay_alu instid0(VALU_DEP_2) | instskip(NEXT) | instid1(VALU_DEP_2)
	v_add_f64 v[12:13], v[8:9], v[12:13]
	v_add_f64 v[14:15], v[14:15], v[16:17]
	global_store_b128 v[0:1], v[12:15], off
.LBB263_9:
	s_or_b32 exec_lo, exec_lo, s1
	v_cmp_le_i32_e32 vcc_lo, v3, v2
	s_and_b32 s0, vcc_lo, s0
	s_delay_alu instid0(SALU_CYCLE_1)
	s_and_saveexec_b32 s1, s0
	s_cbranch_execz .LBB263_11
; %bb.10:
	v_ashrrev_i32_e32 v3, 31, v2
	v_mul_f64 v[8:9], s[18:19], v[10:11]
	v_mul_f64 v[10:11], s[16:17], v[10:11]
	s_delay_alu instid0(VALU_DEP_3) | instskip(NEXT) | instid1(VALU_DEP_1)
	v_lshlrev_b64 v[0:1], 4, v[2:3]
	v_add_co_u32 v4, vcc_lo, v4, v0
	s_delay_alu instid0(VALU_DEP_2)
	v_add_co_ci_u32_e32 v5, vcc_lo, v5, v1, vcc_lo
	global_load_b128 v[0:3], v[4:5], off
	v_fma_f64 v[8:9], s[16:17], v[6:7], -v[8:9]
	v_fma_f64 v[6:7], s[18:19], v[6:7], v[10:11]
	s_waitcnt vmcnt(0)
	v_mul_f64 v[12:13], s[8:9], v[2:3]
	v_mul_f64 v[2:3], s[6:7], v[2:3]
	s_delay_alu instid0(VALU_DEP_2) | instskip(NEXT) | instid1(VALU_DEP_2)
	v_fma_f64 v[10:11], s[6:7], v[0:1], -v[12:13]
	v_fma_f64 v[2:3], s[8:9], v[0:1], v[2:3]
	s_delay_alu instid0(VALU_DEP_2) | instskip(NEXT) | instid1(VALU_DEP_2)
	v_add_f64 v[0:1], v[8:9], v[10:11]
	v_add_f64 v[2:3], v[6:7], v[2:3]
	global_store_b128 v[4:5], v[0:3], off
.LBB263_11:
	s_nop 0
	s_sendmsg sendmsg(MSG_DEALLOC_VGPRS)
	s_endpgm
	.section	.rodata,"a",@progbits
	.p2align	6, 0x0
	.amdhsa_kernel _ZL37rocblas_syrkx_herkx_restricted_kernelIi19rocblas_complex_numIdELi16ELi32ELi8ELb0ELb0ELc84ELc76EKS1_S1_EviT_T0_PT8_S3_lS6_S3_lS4_PT9_S3_li
		.amdhsa_group_segment_fixed_size 8192
		.amdhsa_private_segment_fixed_size 0
		.amdhsa_kernarg_size 116
		.amdhsa_user_sgpr_count 13
		.amdhsa_user_sgpr_dispatch_ptr 0
		.amdhsa_user_sgpr_queue_ptr 0
		.amdhsa_user_sgpr_kernarg_segment_ptr 1
		.amdhsa_user_sgpr_dispatch_id 0
		.amdhsa_user_sgpr_private_segment_size 0
		.amdhsa_wavefront_size32 1
		.amdhsa_uses_dynamic_stack 0
		.amdhsa_enable_private_segment 0
		.amdhsa_system_sgpr_workgroup_id_x 1
		.amdhsa_system_sgpr_workgroup_id_y 1
		.amdhsa_system_sgpr_workgroup_id_z 1
		.amdhsa_system_sgpr_workgroup_info 0
		.amdhsa_system_vgpr_workitem_id 1
		.amdhsa_next_free_vgpr 54
		.amdhsa_next_free_sgpr 29
		.amdhsa_reserve_vcc 1
		.amdhsa_float_round_mode_32 0
		.amdhsa_float_round_mode_16_64 0
		.amdhsa_float_denorm_mode_32 3
		.amdhsa_float_denorm_mode_16_64 3
		.amdhsa_dx10_clamp 1
		.amdhsa_ieee_mode 1
		.amdhsa_fp16_overflow 0
		.amdhsa_workgroup_processor_mode 1
		.amdhsa_memory_ordered 1
		.amdhsa_forward_progress 0
		.amdhsa_shared_vgpr_count 0
		.amdhsa_exception_fp_ieee_invalid_op 0
		.amdhsa_exception_fp_denorm_src 0
		.amdhsa_exception_fp_ieee_div_zero 0
		.amdhsa_exception_fp_ieee_overflow 0
		.amdhsa_exception_fp_ieee_underflow 0
		.amdhsa_exception_fp_ieee_inexact 0
		.amdhsa_exception_int_div_zero 0
	.end_amdhsa_kernel
	.section	.text._ZL37rocblas_syrkx_herkx_restricted_kernelIi19rocblas_complex_numIdELi16ELi32ELi8ELb0ELb0ELc84ELc76EKS1_S1_EviT_T0_PT8_S3_lS6_S3_lS4_PT9_S3_li,"axG",@progbits,_ZL37rocblas_syrkx_herkx_restricted_kernelIi19rocblas_complex_numIdELi16ELi32ELi8ELb0ELb0ELc84ELc76EKS1_S1_EviT_T0_PT8_S3_lS6_S3_lS4_PT9_S3_li,comdat
.Lfunc_end263:
	.size	_ZL37rocblas_syrkx_herkx_restricted_kernelIi19rocblas_complex_numIdELi16ELi32ELi8ELb0ELb0ELc84ELc76EKS1_S1_EviT_T0_PT8_S3_lS6_S3_lS4_PT9_S3_li, .Lfunc_end263-_ZL37rocblas_syrkx_herkx_restricted_kernelIi19rocblas_complex_numIdELi16ELi32ELi8ELb0ELb0ELc84ELc76EKS1_S1_EviT_T0_PT8_S3_lS6_S3_lS4_PT9_S3_li
                                        ; -- End function
	.section	.AMDGPU.csdata,"",@progbits
; Kernel info:
; codeLenInByte = 3584
; NumSgprs: 31
; NumVgprs: 54
; ScratchSize: 0
; MemoryBound: 0
; FloatMode: 240
; IeeeMode: 1
; LDSByteSize: 8192 bytes/workgroup (compile time only)
; SGPRBlocks: 3
; VGPRBlocks: 6
; NumSGPRsForWavesPerEU: 31
; NumVGPRsForWavesPerEU: 54
; Occupancy: 16
; WaveLimiterHint : 0
; COMPUTE_PGM_RSRC2:SCRATCH_EN: 0
; COMPUTE_PGM_RSRC2:USER_SGPR: 13
; COMPUTE_PGM_RSRC2:TRAP_HANDLER: 0
; COMPUTE_PGM_RSRC2:TGID_X_EN: 1
; COMPUTE_PGM_RSRC2:TGID_Y_EN: 1
; COMPUTE_PGM_RSRC2:TGID_Z_EN: 1
; COMPUTE_PGM_RSRC2:TIDIG_COMP_CNT: 1
	.section	.text._ZL37rocblas_syrkx_herkx_restricted_kernelIi19rocblas_complex_numIdELi16ELi32ELi8ELb0ELb0ELc67ELc76EKS1_S1_EviT_T0_PT8_S3_lS6_S3_lS4_PT9_S3_li,"axG",@progbits,_ZL37rocblas_syrkx_herkx_restricted_kernelIi19rocblas_complex_numIdELi16ELi32ELi8ELb0ELb0ELc67ELc76EKS1_S1_EviT_T0_PT8_S3_lS6_S3_lS4_PT9_S3_li,comdat
	.globl	_ZL37rocblas_syrkx_herkx_restricted_kernelIi19rocblas_complex_numIdELi16ELi32ELi8ELb0ELb0ELc67ELc76EKS1_S1_EviT_T0_PT8_S3_lS6_S3_lS4_PT9_S3_li ; -- Begin function _ZL37rocblas_syrkx_herkx_restricted_kernelIi19rocblas_complex_numIdELi16ELi32ELi8ELb0ELb0ELc67ELc76EKS1_S1_EviT_T0_PT8_S3_lS6_S3_lS4_PT9_S3_li
	.p2align	8
	.type	_ZL37rocblas_syrkx_herkx_restricted_kernelIi19rocblas_complex_numIdELi16ELi32ELi8ELb0ELb0ELc67ELc76EKS1_S1_EviT_T0_PT8_S3_lS6_S3_lS4_PT9_S3_li,@function
_ZL37rocblas_syrkx_herkx_restricted_kernelIi19rocblas_complex_numIdELi16ELi32ELi8ELb0ELb0ELc67ELc76EKS1_S1_EviT_T0_PT8_S3_lS6_S3_lS4_PT9_S3_li: ; @_ZL37rocblas_syrkx_herkx_restricted_kernelIi19rocblas_complex_numIdELi16ELi32ELi8ELb0ELb0ELc67ELc76EKS1_S1_EviT_T0_PT8_S3_lS6_S3_lS4_PT9_S3_li
; %bb.0:
	s_clause 0x3
	s_load_b64 s[2:3], s[0:1], 0x0
	s_load_b128 s[16:19], s[0:1], 0x8
	s_load_b64 s[24:25], s[0:1], 0x18
	s_load_b256 s[4:11], s[0:1], 0x40
	v_mov_b32_e32 v16, 0
	v_dual_mov_b32 v17, 0 :: v_dual_and_b32 v20, 0x3ff, v0
	v_bfe_u32 v21, v0, 10, 10
	s_delay_alu instid0(VALU_DEP_3) | instskip(NEXT) | instid1(VALU_DEP_3)
	v_mov_b32_e32 v4, v16
	v_dual_mov_b32 v8, v16 :: v_dual_mov_b32 v9, v17
	v_dual_mov_b32 v19, v17 :: v_dual_mov_b32 v18, v16
	;; [unrolled: 1-line block ×6, first 2 shown]
	v_mov_b32_e32 v11, v17
	s_lshl_b32 s12, s13, 5
	s_lshl_b32 s13, s14, 5
	s_waitcnt lgkmcnt(0)
	s_cmp_lt_i32 s3, 1
	s_mov_b32 s14, 0
	s_cbranch_scc1 .LBB264_3
; %bb.1:
	v_lshl_add_u32 v2, v21, 4, v20
	s_clause 0x2
	s_load_b128 s[20:23], s[0:1], 0x28
	s_load_b32 s26, s[0:1], 0x20
	s_load_b32 s27, s[0:1], 0x38
	v_dual_mov_b32 v1, 0 :: v_dual_and_b32 v0, 7, v20
	v_and_b32_e32 v4, 31, v2
	v_lshlrev_b32_e32 v22, 4, v20
	v_lshrrev_b32_e32 v5, 3, v2
	v_lshrrev_b32_e32 v2, 5, v2
	v_mov_b32_e32 v3, v1
	v_dual_mov_b32 v10, 0 :: v_dual_lshlrev_b32 v7, 4, v4
	v_dual_mov_b32 v11, 0 :: v_dual_lshlrev_b32 v6, 4, v0
	v_add_nc_u32_e32 v9, s12, v4
	v_add_nc_u32_e32 v8, s13, v5
	s_delay_alu instid0(VALU_DEP_4) | instskip(NEXT) | instid1(VALU_DEP_4)
	v_lshl_or_b32 v23, v2, 9, v7
	v_mov_b32_e32 v15, v11
	v_lshl_or_b32 v6, v5, 7, v6
	s_mul_i32 s5, s5, s15
	s_waitcnt lgkmcnt(0)
	s_mul_i32 s21, s21, s15
	s_mul_hi_u32 s28, s20, s15
	s_mul_i32 s20, s20, s15
	v_dual_mov_b32 v13, v11 :: v_dual_add_nc_u32 v24, 0x1000, v6
	v_mov_b32_e32 v6, v10
	v_mad_i64_i32 v[4:5], null, s26, v9, v[2:3]
	v_mad_i64_i32 v[2:3], null, s27, v8, v[0:1]
	s_add_i32 s21, s28, s21
	v_dual_mov_b32 v8, v10 :: v_dual_mov_b32 v19, v11
	s_lshl_b64 s[20:21], s[20:21], 4
	s_delay_alu instid0(VALU_DEP_3)
	v_lshlrev_b64 v[0:1], 4, v[4:5]
	s_add_u32 s20, s24, s20
	s_mul_hi_u32 s24, s4, s15
	s_addc_u32 s21, s25, s21
	s_add_i32 s5, s24, s5
	s_mul_i32 s4, s4, s15
	v_lshlrev_b64 v[2:3], 4, v[2:3]
	s_lshl_b64 s[4:5], s[4:5], 4
	v_add_co_u32 v0, vcc_lo, s20, v0
	s_add_u32 s4, s22, s4
	v_add_co_ci_u32_e32 v1, vcc_lo, s21, v1, vcc_lo
	s_addc_u32 s5, s23, s5
	v_add_co_u32 v2, vcc_lo, s4, v2
	v_add_co_ci_u32_e32 v3, vcc_lo, s5, v3, vcc_lo
	v_add_co_u32 v0, vcc_lo, v0, 8
	v_add_co_ci_u32_e32 v1, vcc_lo, 0, v1, vcc_lo
	s_delay_alu instid0(VALU_DEP_4)
	v_add_co_u32 v2, vcc_lo, v2, 8
	v_dual_mov_b32 v4, v10 :: v_dual_mov_b32 v17, v11
	v_lshl_add_u32 v25, v21, 7, 0x1000
	v_add_co_ci_u32_e32 v3, vcc_lo, 0, v3, vcc_lo
	v_dual_mov_b32 v7, v11 :: v_dual_mov_b32 v14, v10
	v_dual_mov_b32 v9, v11 :: v_dual_mov_b32 v12, v10
	;; [unrolled: 1-line block ×3, first 2 shown]
	v_mov_b32_e32 v16, v10
.LBB264_2:                              ; =>This Inner Loop Header: Depth=1
	global_load_b128 v[26:29], v[0:1], off offset:-8
	v_add_co_u32 v0, vcc_lo, 0x80, v0
	v_add_co_ci_u32_e32 v1, vcc_lo, 0, v1, vcc_lo
	s_add_i32 s14, s14, 8
	s_delay_alu instid0(SALU_CYCLE_1)
	s_cmp_ge_i32 s14, s3
	s_waitcnt vmcnt(0)
	ds_store_b128 v23, v[26:29]
	global_load_b128 v[26:29], v[2:3], off offset:-8
	v_add_co_u32 v2, vcc_lo, 0x80, v2
	v_add_co_ci_u32_e32 v3, vcc_lo, 0, v3, vcc_lo
	s_waitcnt vmcnt(0)
	ds_store_b128 v24, v[26:29]
	s_waitcnt lgkmcnt(0)
	s_barrier
	buffer_gl0_inv
	ds_load_b128 v[26:29], v25
	ds_load_b128 v[30:33], v25 offset:16
	ds_load_b128 v[34:37], v25 offset:32
	;; [unrolled: 1-line block ×3, first 2 shown]
	ds_load_b128 v[42:45], v22
	s_waitcnt lgkmcnt(0)
	v_mul_f64 v[46:47], v[28:29], v[44:45]
	v_mul_f64 v[48:49], v[26:27], v[44:45]
	s_delay_alu instid0(VALU_DEP_2) | instskip(NEXT) | instid1(VALU_DEP_2)
	v_fma_f64 v[46:47], v[26:27], v[42:43], -v[46:47]
	v_fma_f64 v[48:49], v[28:29], v[42:43], v[48:49]
	s_delay_alu instid0(VALU_DEP_2) | instskip(NEXT) | instid1(VALU_DEP_2)
	v_add_f64 v[46:47], v[16:17], v[46:47]
	v_add_f64 v[48:49], v[18:19], v[48:49]
	ds_load_b128 v[16:19], v22 offset:256
	s_waitcnt lgkmcnt(0)
	v_mul_f64 v[50:51], v[28:29], v[18:19]
	s_delay_alu instid0(VALU_DEP_1) | instskip(SKIP_1) | instid1(VALU_DEP_2)
	v_fma_f64 v[50:51], v[26:27], v[16:17], -v[50:51]
	v_mul_f64 v[26:27], v[26:27], v[18:19]
	v_add_f64 v[50:51], v[4:5], v[50:51]
	s_delay_alu instid0(VALU_DEP_2) | instskip(NEXT) | instid1(VALU_DEP_1)
	v_fma_f64 v[26:27], v[28:29], v[16:17], v[26:27]
	v_add_f64 v[52:53], v[8:9], v[26:27]
	ds_load_b128 v[26:29], v25 offset:2048
	s_waitcnt lgkmcnt(0)
	v_mul_f64 v[4:5], v[28:29], v[44:45]
	v_mul_f64 v[8:9], v[26:27], v[44:45]
	s_delay_alu instid0(VALU_DEP_2) | instskip(NEXT) | instid1(VALU_DEP_2)
	v_fma_f64 v[4:5], v[26:27], v[42:43], -v[4:5]
	v_fma_f64 v[8:9], v[28:29], v[42:43], v[8:9]
	s_delay_alu instid0(VALU_DEP_2) | instskip(SKIP_1) | instid1(VALU_DEP_3)
	v_add_f64 v[42:43], v[12:13], v[4:5]
	v_mul_f64 v[4:5], v[28:29], v[18:19]
	v_add_f64 v[44:45], v[14:15], v[8:9]
	v_mul_f64 v[8:9], v[26:27], v[18:19]
	s_delay_alu instid0(VALU_DEP_3) | instskip(NEXT) | instid1(VALU_DEP_2)
	v_fma_f64 v[4:5], v[26:27], v[16:17], -v[4:5]
	v_fma_f64 v[8:9], v[28:29], v[16:17], v[8:9]
	s_delay_alu instid0(VALU_DEP_2)
	v_add_f64 v[16:17], v[6:7], v[4:5]
	ds_load_b128 v[4:7], v22 offset:512
	v_add_f64 v[18:19], v[10:11], v[8:9]
	s_waitcnt lgkmcnt(0)
	v_mul_f64 v[8:9], v[32:33], v[6:7]
	v_mul_f64 v[10:11], v[30:31], v[6:7]
	s_delay_alu instid0(VALU_DEP_2) | instskip(NEXT) | instid1(VALU_DEP_2)
	v_fma_f64 v[8:9], v[30:31], v[4:5], -v[8:9]
	v_fma_f64 v[10:11], v[32:33], v[4:5], v[10:11]
	s_delay_alu instid0(VALU_DEP_2) | instskip(NEXT) | instid1(VALU_DEP_2)
	v_add_f64 v[26:27], v[46:47], v[8:9]
	v_add_f64 v[28:29], v[48:49], v[10:11]
	ds_load_b128 v[8:11], v22 offset:768
	s_waitcnt lgkmcnt(0)
	v_mul_f64 v[12:13], v[32:33], v[10:11]
	v_mul_f64 v[14:15], v[30:31], v[10:11]
	s_delay_alu instid0(VALU_DEP_2) | instskip(NEXT) | instid1(VALU_DEP_2)
	v_fma_f64 v[12:13], v[30:31], v[8:9], -v[12:13]
	v_fma_f64 v[14:15], v[32:33], v[8:9], v[14:15]
	s_delay_alu instid0(VALU_DEP_2) | instskip(NEXT) | instid1(VALU_DEP_2)
	v_add_f64 v[30:31], v[50:51], v[12:13]
	v_add_f64 v[32:33], v[52:53], v[14:15]
	ds_load_b128 v[12:15], v25 offset:2064
	s_waitcnt lgkmcnt(0)
	v_mul_f64 v[46:47], v[14:15], v[6:7]
	v_mul_f64 v[6:7], v[12:13], v[6:7]
	s_delay_alu instid0(VALU_DEP_2) | instskip(NEXT) | instid1(VALU_DEP_2)
	v_fma_f64 v[46:47], v[12:13], v[4:5], -v[46:47]
	v_fma_f64 v[4:5], v[14:15], v[4:5], v[6:7]
	v_mul_f64 v[6:7], v[12:13], v[10:11]
	s_delay_alu instid0(VALU_DEP_3) | instskip(NEXT) | instid1(VALU_DEP_3)
	v_add_f64 v[42:43], v[42:43], v[46:47]
	v_add_f64 v[44:45], v[44:45], v[4:5]
	v_mul_f64 v[4:5], v[14:15], v[10:11]
	s_delay_alu instid0(VALU_DEP_4) | instskip(NEXT) | instid1(VALU_DEP_2)
	v_fma_f64 v[6:7], v[14:15], v[8:9], v[6:7]
	v_fma_f64 v[4:5], v[12:13], v[8:9], -v[4:5]
	s_delay_alu instid0(VALU_DEP_2) | instskip(NEXT) | instid1(VALU_DEP_2)
	v_add_f64 v[18:19], v[18:19], v[6:7]
	v_add_f64 v[16:17], v[16:17], v[4:5]
	ds_load_b128 v[4:7], v22 offset:1024
	s_waitcnt lgkmcnt(0)
	v_mul_f64 v[8:9], v[36:37], v[6:7]
	v_mul_f64 v[10:11], v[34:35], v[6:7]
	s_delay_alu instid0(VALU_DEP_2) | instskip(NEXT) | instid1(VALU_DEP_2)
	v_fma_f64 v[8:9], v[34:35], v[4:5], -v[8:9]
	v_fma_f64 v[10:11], v[36:37], v[4:5], v[10:11]
	s_delay_alu instid0(VALU_DEP_2) | instskip(NEXT) | instid1(VALU_DEP_2)
	v_add_f64 v[26:27], v[26:27], v[8:9]
	v_add_f64 v[28:29], v[28:29], v[10:11]
	ds_load_b128 v[8:11], v22 offset:1280
	s_waitcnt lgkmcnt(0)
	v_mul_f64 v[12:13], v[36:37], v[10:11]
	v_mul_f64 v[14:15], v[34:35], v[10:11]
	s_delay_alu instid0(VALU_DEP_2) | instskip(NEXT) | instid1(VALU_DEP_2)
	v_fma_f64 v[12:13], v[34:35], v[8:9], -v[12:13]
	v_fma_f64 v[14:15], v[36:37], v[8:9], v[14:15]
	s_delay_alu instid0(VALU_DEP_2) | instskip(NEXT) | instid1(VALU_DEP_2)
	v_add_f64 v[30:31], v[30:31], v[12:13]
	v_add_f64 v[32:33], v[32:33], v[14:15]
	ds_load_b128 v[12:15], v25 offset:2080
	s_waitcnt lgkmcnt(0)
	v_mul_f64 v[34:35], v[14:15], v[6:7]
	v_mul_f64 v[6:7], v[12:13], v[6:7]
	s_delay_alu instid0(VALU_DEP_2) | instskip(NEXT) | instid1(VALU_DEP_2)
	v_fma_f64 v[34:35], v[12:13], v[4:5], -v[34:35]
	v_fma_f64 v[4:5], v[14:15], v[4:5], v[6:7]
	v_mul_f64 v[6:7], v[12:13], v[10:11]
	s_delay_alu instid0(VALU_DEP_3) | instskip(NEXT) | instid1(VALU_DEP_3)
	v_add_f64 v[34:35], v[42:43], v[34:35]
	v_add_f64 v[36:37], v[44:45], v[4:5]
	v_mul_f64 v[4:5], v[14:15], v[10:11]
	s_delay_alu instid0(VALU_DEP_4) | instskip(NEXT) | instid1(VALU_DEP_2)
	v_fma_f64 v[6:7], v[14:15], v[8:9], v[6:7]
	v_fma_f64 v[4:5], v[12:13], v[8:9], -v[4:5]
	s_delay_alu instid0(VALU_DEP_2) | instskip(NEXT) | instid1(VALU_DEP_2)
	v_add_f64 v[18:19], v[18:19], v[6:7]
	v_add_f64 v[16:17], v[16:17], v[4:5]
	ds_load_b128 v[4:7], v22 offset:1536
	;; [unrolled: 38-line block ×3, first 2 shown]
	ds_load_b128 v[8:11], v22 offset:2048
	s_waitcnt lgkmcnt(0)
	v_mul_f64 v[12:13], v[6:7], v[10:11]
	v_mul_f64 v[14:15], v[4:5], v[10:11]
	s_delay_alu instid0(VALU_DEP_2) | instskip(NEXT) | instid1(VALU_DEP_2)
	v_fma_f64 v[12:13], v[4:5], v[8:9], -v[12:13]
	v_fma_f64 v[14:15], v[6:7], v[8:9], v[14:15]
	s_delay_alu instid0(VALU_DEP_2) | instskip(NEXT) | instid1(VALU_DEP_2)
	v_add_f64 v[26:27], v[26:27], v[12:13]
	v_add_f64 v[28:29], v[28:29], v[14:15]
	ds_load_b128 v[12:15], v22 offset:2304
	s_waitcnt lgkmcnt(0)
	v_mul_f64 v[38:39], v[6:7], v[14:15]
	s_delay_alu instid0(VALU_DEP_1) | instskip(SKIP_1) | instid1(VALU_DEP_2)
	v_fma_f64 v[38:39], v[4:5], v[12:13], -v[38:39]
	v_mul_f64 v[4:5], v[4:5], v[14:15]
	v_add_f64 v[30:31], v[30:31], v[38:39]
	s_delay_alu instid0(VALU_DEP_2) | instskip(NEXT) | instid1(VALU_DEP_1)
	v_fma_f64 v[4:5], v[6:7], v[12:13], v[4:5]
	v_add_f64 v[32:33], v[32:33], v[4:5]
	ds_load_b128 v[4:7], v25 offset:2112
	s_waitcnt lgkmcnt(0)
	v_mul_f64 v[38:39], v[6:7], v[10:11]
	v_mul_f64 v[10:11], v[4:5], v[10:11]
	s_delay_alu instid0(VALU_DEP_2) | instskip(NEXT) | instid1(VALU_DEP_2)
	v_fma_f64 v[38:39], v[4:5], v[8:9], -v[38:39]
	v_fma_f64 v[8:9], v[6:7], v[8:9], v[10:11]
	s_delay_alu instid0(VALU_DEP_2) | instskip(NEXT) | instid1(VALU_DEP_2)
	v_add_f64 v[34:35], v[34:35], v[38:39]
	v_add_f64 v[36:37], v[36:37], v[8:9]
	v_mul_f64 v[8:9], v[6:7], v[14:15]
	s_delay_alu instid0(VALU_DEP_1) | instskip(SKIP_1) | instid1(VALU_DEP_2)
	v_fma_f64 v[8:9], v[4:5], v[12:13], -v[8:9]
	v_mul_f64 v[4:5], v[4:5], v[14:15]
	v_add_f64 v[16:17], v[16:17], v[8:9]
	s_delay_alu instid0(VALU_DEP_2) | instskip(NEXT) | instid1(VALU_DEP_1)
	v_fma_f64 v[4:5], v[6:7], v[12:13], v[4:5]
	v_add_f64 v[18:19], v[18:19], v[4:5]
	ds_load_b128 v[4:7], v25 offset:80
	ds_load_b128 v[8:11], v22 offset:2560
	s_waitcnt lgkmcnt(0)
	v_mul_f64 v[12:13], v[6:7], v[10:11]
	v_mul_f64 v[14:15], v[4:5], v[10:11]
	s_delay_alu instid0(VALU_DEP_2) | instskip(NEXT) | instid1(VALU_DEP_2)
	v_fma_f64 v[12:13], v[4:5], v[8:9], -v[12:13]
	v_fma_f64 v[14:15], v[6:7], v[8:9], v[14:15]
	s_delay_alu instid0(VALU_DEP_2) | instskip(NEXT) | instid1(VALU_DEP_2)
	v_add_f64 v[26:27], v[26:27], v[12:13]
	v_add_f64 v[28:29], v[28:29], v[14:15]
	ds_load_b128 v[12:15], v22 offset:2816
	s_waitcnt lgkmcnt(0)
	v_mul_f64 v[38:39], v[6:7], v[14:15]
	s_delay_alu instid0(VALU_DEP_1) | instskip(SKIP_1) | instid1(VALU_DEP_2)
	v_fma_f64 v[38:39], v[4:5], v[12:13], -v[38:39]
	v_mul_f64 v[4:5], v[4:5], v[14:15]
	v_add_f64 v[30:31], v[30:31], v[38:39]
	s_delay_alu instid0(VALU_DEP_2) | instskip(NEXT) | instid1(VALU_DEP_1)
	v_fma_f64 v[4:5], v[6:7], v[12:13], v[4:5]
	v_add_f64 v[32:33], v[32:33], v[4:5]
	ds_load_b128 v[4:7], v25 offset:2128
	s_waitcnt lgkmcnt(0)
	v_mul_f64 v[38:39], v[6:7], v[10:11]
	v_mul_f64 v[10:11], v[4:5], v[10:11]
	s_delay_alu instid0(VALU_DEP_2) | instskip(NEXT) | instid1(VALU_DEP_2)
	v_fma_f64 v[38:39], v[4:5], v[8:9], -v[38:39]
	v_fma_f64 v[8:9], v[6:7], v[8:9], v[10:11]
	s_delay_alu instid0(VALU_DEP_2) | instskip(NEXT) | instid1(VALU_DEP_2)
	v_add_f64 v[34:35], v[34:35], v[38:39]
	v_add_f64 v[36:37], v[36:37], v[8:9]
	v_mul_f64 v[8:9], v[6:7], v[14:15]
	s_delay_alu instid0(VALU_DEP_1) | instskip(SKIP_1) | instid1(VALU_DEP_2)
	v_fma_f64 v[8:9], v[4:5], v[12:13], -v[8:9]
	v_mul_f64 v[4:5], v[4:5], v[14:15]
	v_add_f64 v[16:17], v[16:17], v[8:9]
	s_delay_alu instid0(VALU_DEP_2) | instskip(NEXT) | instid1(VALU_DEP_1)
	v_fma_f64 v[4:5], v[6:7], v[12:13], v[4:5]
	v_add_f64 v[18:19], v[18:19], v[4:5]
	ds_load_b128 v[4:7], v25 offset:96
	;; [unrolled: 39-line block ×3, first 2 shown]
	ds_load_b128 v[10:13], v22 offset:3584
	s_waitcnt lgkmcnt(0)
	v_mul_f64 v[8:9], v[6:7], v[12:13]
	v_mul_f64 v[14:15], v[4:5], v[12:13]
	s_delay_alu instid0(VALU_DEP_2) | instskip(NEXT) | instid1(VALU_DEP_2)
	v_fma_f64 v[8:9], v[4:5], v[10:11], -v[8:9]
	v_fma_f64 v[14:15], v[6:7], v[10:11], v[14:15]
	s_delay_alu instid0(VALU_DEP_2) | instskip(NEXT) | instid1(VALU_DEP_2)
	v_add_f64 v[16:17], v[26:27], v[8:9]
	v_add_f64 v[18:19], v[28:29], v[14:15]
	ds_load_b128 v[26:29], v22 offset:3840
	s_waitcnt lgkmcnt(0)
	v_mul_f64 v[8:9], v[6:7], v[28:29]
	s_delay_alu instid0(VALU_DEP_1) | instskip(SKIP_1) | instid1(VALU_DEP_1)
	v_fma_f64 v[8:9], v[4:5], v[26:27], -v[8:9]
	v_mul_f64 v[4:5], v[4:5], v[28:29]
	v_fma_f64 v[6:7], v[6:7], v[26:27], v[4:5]
	s_delay_alu instid0(VALU_DEP_3) | instskip(NEXT) | instid1(VALU_DEP_2)
	v_add_f64 v[4:5], v[30:31], v[8:9]
	v_add_f64 v[8:9], v[32:33], v[6:7]
	ds_load_b128 v[30:33], v25 offset:2160
	s_waitcnt lgkmcnt(0)
	s_barrier
	buffer_gl0_inv
	v_mul_f64 v[6:7], v[32:33], v[12:13]
	v_mul_f64 v[12:13], v[30:31], v[12:13]
	s_delay_alu instid0(VALU_DEP_2) | instskip(NEXT) | instid1(VALU_DEP_2)
	v_fma_f64 v[6:7], v[30:31], v[10:11], -v[6:7]
	v_fma_f64 v[10:11], v[32:33], v[10:11], v[12:13]
	s_delay_alu instid0(VALU_DEP_2) | instskip(NEXT) | instid1(VALU_DEP_2)
	v_add_f64 v[12:13], v[34:35], v[6:7]
	v_add_f64 v[14:15], v[36:37], v[10:11]
	v_mul_f64 v[6:7], v[32:33], v[28:29]
	v_mul_f64 v[10:11], v[30:31], v[28:29]
	s_delay_alu instid0(VALU_DEP_2) | instskip(NEXT) | instid1(VALU_DEP_2)
	v_fma_f64 v[6:7], v[30:31], v[26:27], -v[6:7]
	v_fma_f64 v[10:11], v[32:33], v[26:27], v[10:11]
	s_delay_alu instid0(VALU_DEP_2) | instskip(NEXT) | instid1(VALU_DEP_2)
	v_add_f64 v[6:7], v[38:39], v[6:7]
	v_add_f64 v[10:11], v[40:41], v[10:11]
	s_cbranch_scc0 .LBB264_2
.LBB264_3:
	s_clause 0x1
	s_load_b32 s3, s[0:1], 0x60
	s_load_b64 s[4:5], s[0:1], 0x68
	v_add_nc_u32_e32 v21, s13, v21
	v_add_nc_u32_e32 v0, s12, v20
	s_delay_alu instid0(VALU_DEP_1)
	v_cmp_le_i32_e64 s0, v21, v0
	v_cmp_gt_i32_e32 vcc_lo, s2, v0
	s_waitcnt lgkmcnt(0)
	v_mad_i64_i32 v[1:2], null, v21, s3, 0
	s_mul_i32 s1, s15, s5
	s_mul_hi_u32 s5, s15, s4
	s_mul_i32 s4, s15, s4
	s_add_i32 s5, s5, s1
	s_delay_alu instid0(SALU_CYCLE_1) | instskip(NEXT) | instid1(VALU_DEP_1)
	s_lshl_b64 s[4:5], s[4:5], 4
	v_lshlrev_b64 v[1:2], 4, v[1:2]
	s_add_u32 s4, s10, s4
	s_addc_u32 s5, s11, s5
	s_and_b32 s0, s0, vcc_lo
	s_delay_alu instid0(VALU_DEP_1) | instskip(NEXT) | instid1(VALU_DEP_1)
	v_add_co_u32 v20, s1, s4, v1
	v_add_co_ci_u32_e64 v22, s1, s5, v2, s1
	s_and_saveexec_b32 s1, s0
	s_cbranch_execz .LBB264_5
; %bb.4:
	v_ashrrev_i32_e32 v1, 31, v0
	v_mul_f64 v[27:28], s[18:19], v[18:19]
	v_mul_f64 v[18:19], s[16:17], v[18:19]
	s_delay_alu instid0(VALU_DEP_3) | instskip(NEXT) | instid1(VALU_DEP_1)
	v_lshlrev_b64 v[1:2], 4, v[0:1]
	v_add_co_u32 v1, s0, v20, v1
	s_delay_alu instid0(VALU_DEP_1)
	v_add_co_ci_u32_e64 v2, s0, v22, v2, s0
	global_load_b128 v[23:26], v[1:2], off
	v_fma_f64 v[27:28], s[16:17], v[16:17], -v[27:28]
	v_fma_f64 v[18:19], s[18:19], v[16:17], v[18:19]
	s_waitcnt vmcnt(0)
	v_mul_f64 v[29:30], s[8:9], v[25:26]
	v_mul_f64 v[25:26], s[6:7], v[25:26]
	s_delay_alu instid0(VALU_DEP_2) | instskip(NEXT) | instid1(VALU_DEP_2)
	v_fma_f64 v[16:17], s[6:7], v[23:24], -v[29:30]
	v_fma_f64 v[23:24], s[8:9], v[23:24], v[25:26]
	s_delay_alu instid0(VALU_DEP_2) | instskip(NEXT) | instid1(VALU_DEP_2)
	v_add_f64 v[16:17], v[27:28], v[16:17]
	v_add_f64 v[18:19], v[18:19], v[23:24]
	global_store_b128 v[1:2], v[16:19], off
.LBB264_5:
	s_or_b32 exec_lo, exec_lo, s1
	v_add_nc_u32_e32 v2, 16, v0
	s_delay_alu instid0(VALU_DEP_1) | instskip(SKIP_1) | instid1(VALU_DEP_1)
	v_cmp_le_i32_e64 s1, v21, v2
	v_cmp_gt_i32_e64 s0, s2, v2
	s_and_b32 s1, s1, s0
	s_delay_alu instid0(SALU_CYCLE_1)
	s_and_saveexec_b32 s2, s1
	s_cbranch_execz .LBB264_7
; %bb.6:
	v_ashrrev_i32_e32 v3, 31, v2
	v_mul_f64 v[25:26], s[18:19], v[8:9]
	v_mul_f64 v[8:9], s[16:17], v[8:9]
	s_delay_alu instid0(VALU_DEP_3) | instskip(NEXT) | instid1(VALU_DEP_1)
	v_lshlrev_b64 v[16:17], 4, v[2:3]
	v_add_co_u32 v23, s1, v20, v16
	s_delay_alu instid0(VALU_DEP_1)
	v_add_co_ci_u32_e64 v24, s1, v22, v17, s1
	global_load_b128 v[16:19], v[23:24], off
	v_fma_f64 v[25:26], s[16:17], v[4:5], -v[25:26]
	v_fma_f64 v[3:4], s[18:19], v[4:5], v[8:9]
	s_waitcnt vmcnt(0)
	v_mul_f64 v[27:28], s[8:9], v[18:19]
	v_mul_f64 v[18:19], s[6:7], v[18:19]
	s_delay_alu instid0(VALU_DEP_2) | instskip(NEXT) | instid1(VALU_DEP_2)
	v_fma_f64 v[8:9], s[6:7], v[16:17], -v[27:28]
	v_fma_f64 v[18:19], s[8:9], v[16:17], v[18:19]
	s_delay_alu instid0(VALU_DEP_2) | instskip(NEXT) | instid1(VALU_DEP_2)
	v_add_f64 v[16:17], v[25:26], v[8:9]
	v_add_f64 v[18:19], v[3:4], v[18:19]
	global_store_b128 v[23:24], v[16:19], off
.LBB264_7:
	s_or_b32 exec_lo, exec_lo, s2
	v_add_nc_u32_e32 v3, 16, v21
	s_delay_alu instid0(VALU_DEP_1) | instskip(SKIP_1) | instid1(VALU_DEP_2)
	v_mad_i64_i32 v[4:5], null, v3, s3, 0
	v_cmp_le_i32_e64 s1, v3, v0
	v_lshlrev_b64 v[4:5], 4, v[4:5]
	s_delay_alu instid0(VALU_DEP_1) | instskip(NEXT) | instid1(VALU_DEP_1)
	v_add_co_u32 v4, s2, s4, v4
	v_add_co_ci_u32_e64 v5, s2, s5, v5, s2
	s_delay_alu instid0(VALU_DEP_4) | instskip(NEXT) | instid1(SALU_CYCLE_1)
	s_and_b32 s2, s1, vcc_lo
	s_and_saveexec_b32 s1, s2
	s_cbranch_execz .LBB264_9
; %bb.8:
	v_ashrrev_i32_e32 v1, 31, v0
	v_mul_f64 v[8:9], s[18:19], v[14:15]
	v_mul_f64 v[14:15], s[16:17], v[14:15]
	s_delay_alu instid0(VALU_DEP_3) | instskip(NEXT) | instid1(VALU_DEP_1)
	v_lshlrev_b64 v[0:1], 4, v[0:1]
	v_add_co_u32 v0, vcc_lo, v4, v0
	s_delay_alu instid0(VALU_DEP_2)
	v_add_co_ci_u32_e32 v1, vcc_lo, v5, v1, vcc_lo
	global_load_b128 v[16:19], v[0:1], off
	v_fma_f64 v[8:9], s[16:17], v[12:13], -v[8:9]
	v_fma_f64 v[14:15], s[18:19], v[12:13], v[14:15]
	s_waitcnt vmcnt(0)
	v_mul_f64 v[20:21], s[8:9], v[18:19]
	v_mul_f64 v[18:19], s[6:7], v[18:19]
	s_delay_alu instid0(VALU_DEP_2) | instskip(NEXT) | instid1(VALU_DEP_2)
	v_fma_f64 v[12:13], s[6:7], v[16:17], -v[20:21]
	v_fma_f64 v[16:17], s[8:9], v[16:17], v[18:19]
	s_delay_alu instid0(VALU_DEP_2) | instskip(NEXT) | instid1(VALU_DEP_2)
	v_add_f64 v[12:13], v[8:9], v[12:13]
	v_add_f64 v[14:15], v[14:15], v[16:17]
	global_store_b128 v[0:1], v[12:15], off
.LBB264_9:
	s_or_b32 exec_lo, exec_lo, s1
	v_cmp_le_i32_e32 vcc_lo, v3, v2
	s_and_b32 s0, vcc_lo, s0
	s_delay_alu instid0(SALU_CYCLE_1)
	s_and_saveexec_b32 s1, s0
	s_cbranch_execz .LBB264_11
; %bb.10:
	v_ashrrev_i32_e32 v3, 31, v2
	v_mul_f64 v[8:9], s[18:19], v[10:11]
	v_mul_f64 v[10:11], s[16:17], v[10:11]
	s_delay_alu instid0(VALU_DEP_3) | instskip(NEXT) | instid1(VALU_DEP_1)
	v_lshlrev_b64 v[0:1], 4, v[2:3]
	v_add_co_u32 v4, vcc_lo, v4, v0
	s_delay_alu instid0(VALU_DEP_2)
	v_add_co_ci_u32_e32 v5, vcc_lo, v5, v1, vcc_lo
	global_load_b128 v[0:3], v[4:5], off
	v_fma_f64 v[8:9], s[16:17], v[6:7], -v[8:9]
	v_fma_f64 v[6:7], s[18:19], v[6:7], v[10:11]
	s_waitcnt vmcnt(0)
	v_mul_f64 v[12:13], s[8:9], v[2:3]
	v_mul_f64 v[2:3], s[6:7], v[2:3]
	s_delay_alu instid0(VALU_DEP_2) | instskip(NEXT) | instid1(VALU_DEP_2)
	v_fma_f64 v[10:11], s[6:7], v[0:1], -v[12:13]
	v_fma_f64 v[2:3], s[8:9], v[0:1], v[2:3]
	s_delay_alu instid0(VALU_DEP_2) | instskip(NEXT) | instid1(VALU_DEP_2)
	v_add_f64 v[0:1], v[8:9], v[10:11]
	v_add_f64 v[2:3], v[6:7], v[2:3]
	global_store_b128 v[4:5], v[0:3], off
.LBB264_11:
	s_nop 0
	s_sendmsg sendmsg(MSG_DEALLOC_VGPRS)
	s_endpgm
	.section	.rodata,"a",@progbits
	.p2align	6, 0x0
	.amdhsa_kernel _ZL37rocblas_syrkx_herkx_restricted_kernelIi19rocblas_complex_numIdELi16ELi32ELi8ELb0ELb0ELc67ELc76EKS1_S1_EviT_T0_PT8_S3_lS6_S3_lS4_PT9_S3_li
		.amdhsa_group_segment_fixed_size 8192
		.amdhsa_private_segment_fixed_size 0
		.amdhsa_kernarg_size 116
		.amdhsa_user_sgpr_count 13
		.amdhsa_user_sgpr_dispatch_ptr 0
		.amdhsa_user_sgpr_queue_ptr 0
		.amdhsa_user_sgpr_kernarg_segment_ptr 1
		.amdhsa_user_sgpr_dispatch_id 0
		.amdhsa_user_sgpr_private_segment_size 0
		.amdhsa_wavefront_size32 1
		.amdhsa_uses_dynamic_stack 0
		.amdhsa_enable_private_segment 0
		.amdhsa_system_sgpr_workgroup_id_x 1
		.amdhsa_system_sgpr_workgroup_id_y 1
		.amdhsa_system_sgpr_workgroup_id_z 1
		.amdhsa_system_sgpr_workgroup_info 0
		.amdhsa_system_vgpr_workitem_id 1
		.amdhsa_next_free_vgpr 54
		.amdhsa_next_free_sgpr 29
		.amdhsa_reserve_vcc 1
		.amdhsa_float_round_mode_32 0
		.amdhsa_float_round_mode_16_64 0
		.amdhsa_float_denorm_mode_32 3
		.amdhsa_float_denorm_mode_16_64 3
		.amdhsa_dx10_clamp 1
		.amdhsa_ieee_mode 1
		.amdhsa_fp16_overflow 0
		.amdhsa_workgroup_processor_mode 1
		.amdhsa_memory_ordered 1
		.amdhsa_forward_progress 0
		.amdhsa_shared_vgpr_count 0
		.amdhsa_exception_fp_ieee_invalid_op 0
		.amdhsa_exception_fp_denorm_src 0
		.amdhsa_exception_fp_ieee_div_zero 0
		.amdhsa_exception_fp_ieee_overflow 0
		.amdhsa_exception_fp_ieee_underflow 0
		.amdhsa_exception_fp_ieee_inexact 0
		.amdhsa_exception_int_div_zero 0
	.end_amdhsa_kernel
	.section	.text._ZL37rocblas_syrkx_herkx_restricted_kernelIi19rocblas_complex_numIdELi16ELi32ELi8ELb0ELb0ELc67ELc76EKS1_S1_EviT_T0_PT8_S3_lS6_S3_lS4_PT9_S3_li,"axG",@progbits,_ZL37rocblas_syrkx_herkx_restricted_kernelIi19rocblas_complex_numIdELi16ELi32ELi8ELb0ELb0ELc67ELc76EKS1_S1_EviT_T0_PT8_S3_lS6_S3_lS4_PT9_S3_li,comdat
.Lfunc_end264:
	.size	_ZL37rocblas_syrkx_herkx_restricted_kernelIi19rocblas_complex_numIdELi16ELi32ELi8ELb0ELb0ELc67ELc76EKS1_S1_EviT_T0_PT8_S3_lS6_S3_lS4_PT9_S3_li, .Lfunc_end264-_ZL37rocblas_syrkx_herkx_restricted_kernelIi19rocblas_complex_numIdELi16ELi32ELi8ELb0ELb0ELc67ELc76EKS1_S1_EviT_T0_PT8_S3_lS6_S3_lS4_PT9_S3_li
                                        ; -- End function
	.section	.AMDGPU.csdata,"",@progbits
; Kernel info:
; codeLenInByte = 3584
; NumSgprs: 31
; NumVgprs: 54
; ScratchSize: 0
; MemoryBound: 0
; FloatMode: 240
; IeeeMode: 1
; LDSByteSize: 8192 bytes/workgroup (compile time only)
; SGPRBlocks: 3
; VGPRBlocks: 6
; NumSGPRsForWavesPerEU: 31
; NumVGPRsForWavesPerEU: 54
; Occupancy: 16
; WaveLimiterHint : 0
; COMPUTE_PGM_RSRC2:SCRATCH_EN: 0
; COMPUTE_PGM_RSRC2:USER_SGPR: 13
; COMPUTE_PGM_RSRC2:TRAP_HANDLER: 0
; COMPUTE_PGM_RSRC2:TGID_X_EN: 1
; COMPUTE_PGM_RSRC2:TGID_Y_EN: 1
; COMPUTE_PGM_RSRC2:TGID_Z_EN: 1
; COMPUTE_PGM_RSRC2:TIDIG_COMP_CNT: 1
	.section	.text._ZL37rocblas_syrkx_herkx_restricted_kernelIi19rocblas_complex_numIdELi16ELi32ELi8ELb0ELb0ELc78ELc76EKS1_S1_EviT_T0_PT8_S3_lS6_S3_lS4_PT9_S3_li,"axG",@progbits,_ZL37rocblas_syrkx_herkx_restricted_kernelIi19rocblas_complex_numIdELi16ELi32ELi8ELb0ELb0ELc78ELc76EKS1_S1_EviT_T0_PT8_S3_lS6_S3_lS4_PT9_S3_li,comdat
	.globl	_ZL37rocblas_syrkx_herkx_restricted_kernelIi19rocblas_complex_numIdELi16ELi32ELi8ELb0ELb0ELc78ELc76EKS1_S1_EviT_T0_PT8_S3_lS6_S3_lS4_PT9_S3_li ; -- Begin function _ZL37rocblas_syrkx_herkx_restricted_kernelIi19rocblas_complex_numIdELi16ELi32ELi8ELb0ELb0ELc78ELc76EKS1_S1_EviT_T0_PT8_S3_lS6_S3_lS4_PT9_S3_li
	.p2align	8
	.type	_ZL37rocblas_syrkx_herkx_restricted_kernelIi19rocblas_complex_numIdELi16ELi32ELi8ELb0ELb0ELc78ELc76EKS1_S1_EviT_T0_PT8_S3_lS6_S3_lS4_PT9_S3_li,@function
_ZL37rocblas_syrkx_herkx_restricted_kernelIi19rocblas_complex_numIdELi16ELi32ELi8ELb0ELb0ELc78ELc76EKS1_S1_EviT_T0_PT8_S3_lS6_S3_lS4_PT9_S3_li: ; @_ZL37rocblas_syrkx_herkx_restricted_kernelIi19rocblas_complex_numIdELi16ELi32ELi8ELb0ELb0ELc78ELc76EKS1_S1_EviT_T0_PT8_S3_lS6_S3_lS4_PT9_S3_li
; %bb.0:
	s_clause 0x3
	s_load_b64 s[2:3], s[0:1], 0x0
	s_load_b128 s[16:19], s[0:1], 0x8
	s_load_b64 s[24:25], s[0:1], 0x18
	s_load_b256 s[4:11], s[0:1], 0x40
	v_mov_b32_e32 v16, 0
	v_dual_mov_b32 v17, 0 :: v_dual_and_b32 v20, 0x3ff, v0
	v_bfe_u32 v21, v0, 10, 10
	s_delay_alu instid0(VALU_DEP_3) | instskip(NEXT) | instid1(VALU_DEP_3)
	v_mov_b32_e32 v4, v16
	v_dual_mov_b32 v8, v16 :: v_dual_mov_b32 v9, v17
	v_dual_mov_b32 v19, v17 :: v_dual_mov_b32 v18, v16
	;; [unrolled: 1-line block ×6, first 2 shown]
	v_mov_b32_e32 v11, v17
	s_lshl_b32 s26, s13, 5
	s_lshl_b32 s14, s14, 5
	s_waitcnt lgkmcnt(0)
	s_cmp_lt_i32 s3, 1
	s_mov_b32 s27, 0
	s_cbranch_scc1 .LBB265_3
; %bb.1:
	s_clause 0x1
	s_load_b32 s12, s[0:1], 0x38
	s_load_b32 s28, s[0:1], 0x20
	v_lshl_add_u32 v0, v21, 4, v20
	v_and_b32_e32 v6, 7, v20
	v_mov_b32_e32 v10, 0
	v_mov_b32_e32 v11, 0
	s_load_b128 s[20:23], s[0:1], 0x28
	v_lshrrev_b32_e32 v1, 3, v0
	v_and_b32_e32 v2, 31, v0
	v_lshlrev_b32_e32 v3, 4, v6
	v_lshrrev_b32_e32 v7, 5, v0
	v_dual_mov_b32 v8, v10 :: v_dual_mov_b32 v17, v11
	v_dual_mov_b32 v15, v11 :: v_dual_add_nc_u32 v0, s14, v1
	v_dual_mov_b32 v13, v11 :: v_dual_lshlrev_b32 v4, 4, v2
	v_lshl_or_b32 v3, v1, 7, v3
	v_dual_mov_b32 v9, v11 :: v_dual_add_nc_u32 v2, s26, v2
	s_delay_alu instid0(VALU_DEP_4) | instskip(NEXT) | instid1(VALU_DEP_4)
	v_ashrrev_i32_e32 v1, 31, v0
	v_lshl_or_b32 v22, v7, 9, v4
	s_delay_alu instid0(VALU_DEP_4) | instskip(NEXT) | instid1(VALU_DEP_4)
	v_dual_mov_b32 v14, v10 :: v_dual_add_nc_u32 v23, 0x1000, v3
	v_ashrrev_i32_e32 v3, 31, v2
	s_waitcnt lgkmcnt(0)
	v_mad_i64_i32 v[4:5], null, s12, v6, v[0:1]
	s_mul_i32 s21, s21, s15
	s_mul_hi_u32 s30, s20, s15
	v_mad_i64_i32 v[0:1], null, s28, v7, v[2:3]
	s_add_i32 s21, s30, s21
	s_mul_i32 s20, s20, s15
	s_ashr_i32 s29, s28, 31
	s_lshl_b64 s[20:21], s[20:21], 4
	s_ashr_i32 s13, s12, 31
	s_add_u32 s20, s24, s20
	s_delay_alu instid0(VALU_DEP_1)
	v_lshlrev_b64 v[0:1], 4, v[0:1]
	s_addc_u32 s21, s25, s21
	s_mul_i32 s5, s5, s15
	s_mul_hi_u32 s24, s4, s15
	s_mul_i32 s4, s4, s15
	s_add_i32 s5, s24, s5
	v_add_co_u32 v2, vcc_lo, s20, v0
	v_add_co_ci_u32_e32 v3, vcc_lo, s21, v1, vcc_lo
	v_lshlrev_b64 v[0:1], 4, v[4:5]
	s_lshl_b64 s[20:21], s[4:5], 4
	s_lshl_b64 s[4:5], s[28:29], 7
	s_add_u32 s20, s22, s20
	s_addc_u32 s21, s23, s21
	v_mov_b32_e32 v6, v10
	v_add_co_u32 v4, vcc_lo, s20, v0
	v_add_co_ci_u32_e32 v5, vcc_lo, s21, v1, vcc_lo
	v_add_co_u32 v0, vcc_lo, v2, 8
	v_add_co_ci_u32_e32 v1, vcc_lo, 0, v3, vcc_lo
	s_delay_alu instid0(VALU_DEP_4) | instskip(NEXT) | instid1(VALU_DEP_4)
	v_add_co_u32 v2, vcc_lo, v4, 8
	v_add_co_ci_u32_e32 v3, vcc_lo, 0, v5, vcc_lo
	v_dual_mov_b32 v12, v10 :: v_dual_mov_b32 v19, v11
	v_mov_b32_e32 v4, v10
	v_dual_mov_b32 v5, v11 :: v_dual_lshlrev_b32 v24, 4, v20
	v_lshl_add_u32 v25, v21, 7, 0x1000
	v_dual_mov_b32 v7, v11 :: v_dual_mov_b32 v18, v10
	v_mov_b32_e32 v16, v10
	s_lshl_b64 s[12:13], s[12:13], 7
.LBB265_2:                              ; =>This Inner Loop Header: Depth=1
	global_load_b128 v[26:29], v[0:1], off offset:-8
	v_add_co_u32 v0, vcc_lo, v0, s4
	v_add_co_ci_u32_e32 v1, vcc_lo, s5, v1, vcc_lo
	s_add_i32 s27, s27, 8
	s_delay_alu instid0(SALU_CYCLE_1)
	s_cmp_ge_i32 s27, s3
	s_waitcnt vmcnt(0)
	ds_store_b128 v22, v[26:29]
	global_load_b128 v[26:29], v[2:3], off offset:-8
	v_add_co_u32 v2, vcc_lo, v2, s12
	v_add_co_ci_u32_e32 v3, vcc_lo, s13, v3, vcc_lo
	s_waitcnt vmcnt(0)
	ds_store_b128 v23, v[26:29]
	s_waitcnt lgkmcnt(0)
	s_barrier
	buffer_gl0_inv
	ds_load_b128 v[26:29], v25
	ds_load_b128 v[30:33], v25 offset:16
	ds_load_b128 v[34:37], v25 offset:32
	;; [unrolled: 1-line block ×3, first 2 shown]
	ds_load_b128 v[42:45], v24
	s_waitcnt lgkmcnt(0)
	v_mul_f64 v[46:47], v[28:29], v[44:45]
	v_mul_f64 v[48:49], v[26:27], v[44:45]
	s_delay_alu instid0(VALU_DEP_2) | instskip(NEXT) | instid1(VALU_DEP_2)
	v_fma_f64 v[46:47], v[26:27], v[42:43], -v[46:47]
	v_fma_f64 v[48:49], v[28:29], v[42:43], v[48:49]
	s_delay_alu instid0(VALU_DEP_2) | instskip(NEXT) | instid1(VALU_DEP_2)
	v_add_f64 v[46:47], v[16:17], v[46:47]
	v_add_f64 v[48:49], v[18:19], v[48:49]
	ds_load_b128 v[16:19], v24 offset:256
	s_waitcnt lgkmcnt(0)
	v_mul_f64 v[50:51], v[28:29], v[18:19]
	s_delay_alu instid0(VALU_DEP_1) | instskip(SKIP_1) | instid1(VALU_DEP_2)
	v_fma_f64 v[50:51], v[26:27], v[16:17], -v[50:51]
	v_mul_f64 v[26:27], v[26:27], v[18:19]
	v_add_f64 v[50:51], v[4:5], v[50:51]
	s_delay_alu instid0(VALU_DEP_2) | instskip(NEXT) | instid1(VALU_DEP_1)
	v_fma_f64 v[26:27], v[28:29], v[16:17], v[26:27]
	v_add_f64 v[52:53], v[8:9], v[26:27]
	ds_load_b128 v[26:29], v25 offset:2048
	s_waitcnt lgkmcnt(0)
	v_mul_f64 v[4:5], v[28:29], v[44:45]
	v_mul_f64 v[8:9], v[26:27], v[44:45]
	s_delay_alu instid0(VALU_DEP_2) | instskip(NEXT) | instid1(VALU_DEP_2)
	v_fma_f64 v[4:5], v[26:27], v[42:43], -v[4:5]
	v_fma_f64 v[8:9], v[28:29], v[42:43], v[8:9]
	s_delay_alu instid0(VALU_DEP_2) | instskip(SKIP_1) | instid1(VALU_DEP_3)
	v_add_f64 v[42:43], v[12:13], v[4:5]
	v_mul_f64 v[4:5], v[28:29], v[18:19]
	v_add_f64 v[44:45], v[14:15], v[8:9]
	v_mul_f64 v[8:9], v[26:27], v[18:19]
	s_delay_alu instid0(VALU_DEP_3) | instskip(NEXT) | instid1(VALU_DEP_2)
	v_fma_f64 v[4:5], v[26:27], v[16:17], -v[4:5]
	v_fma_f64 v[8:9], v[28:29], v[16:17], v[8:9]
	s_delay_alu instid0(VALU_DEP_2)
	v_add_f64 v[16:17], v[6:7], v[4:5]
	ds_load_b128 v[4:7], v24 offset:512
	v_add_f64 v[18:19], v[10:11], v[8:9]
	s_waitcnt lgkmcnt(0)
	v_mul_f64 v[8:9], v[32:33], v[6:7]
	v_mul_f64 v[10:11], v[30:31], v[6:7]
	s_delay_alu instid0(VALU_DEP_2) | instskip(NEXT) | instid1(VALU_DEP_2)
	v_fma_f64 v[8:9], v[30:31], v[4:5], -v[8:9]
	v_fma_f64 v[10:11], v[32:33], v[4:5], v[10:11]
	s_delay_alu instid0(VALU_DEP_2) | instskip(NEXT) | instid1(VALU_DEP_2)
	v_add_f64 v[26:27], v[46:47], v[8:9]
	v_add_f64 v[28:29], v[48:49], v[10:11]
	ds_load_b128 v[8:11], v24 offset:768
	s_waitcnt lgkmcnt(0)
	v_mul_f64 v[12:13], v[32:33], v[10:11]
	v_mul_f64 v[14:15], v[30:31], v[10:11]
	s_delay_alu instid0(VALU_DEP_2) | instskip(NEXT) | instid1(VALU_DEP_2)
	v_fma_f64 v[12:13], v[30:31], v[8:9], -v[12:13]
	v_fma_f64 v[14:15], v[32:33], v[8:9], v[14:15]
	s_delay_alu instid0(VALU_DEP_2) | instskip(NEXT) | instid1(VALU_DEP_2)
	v_add_f64 v[30:31], v[50:51], v[12:13]
	v_add_f64 v[32:33], v[52:53], v[14:15]
	ds_load_b128 v[12:15], v25 offset:2064
	s_waitcnt lgkmcnt(0)
	v_mul_f64 v[46:47], v[14:15], v[6:7]
	v_mul_f64 v[6:7], v[12:13], v[6:7]
	s_delay_alu instid0(VALU_DEP_2) | instskip(NEXT) | instid1(VALU_DEP_2)
	v_fma_f64 v[46:47], v[12:13], v[4:5], -v[46:47]
	v_fma_f64 v[4:5], v[14:15], v[4:5], v[6:7]
	v_mul_f64 v[6:7], v[12:13], v[10:11]
	s_delay_alu instid0(VALU_DEP_3) | instskip(NEXT) | instid1(VALU_DEP_3)
	v_add_f64 v[42:43], v[42:43], v[46:47]
	v_add_f64 v[44:45], v[44:45], v[4:5]
	v_mul_f64 v[4:5], v[14:15], v[10:11]
	s_delay_alu instid0(VALU_DEP_4) | instskip(NEXT) | instid1(VALU_DEP_2)
	v_fma_f64 v[6:7], v[14:15], v[8:9], v[6:7]
	v_fma_f64 v[4:5], v[12:13], v[8:9], -v[4:5]
	s_delay_alu instid0(VALU_DEP_2) | instskip(NEXT) | instid1(VALU_DEP_2)
	v_add_f64 v[18:19], v[18:19], v[6:7]
	v_add_f64 v[16:17], v[16:17], v[4:5]
	ds_load_b128 v[4:7], v24 offset:1024
	s_waitcnt lgkmcnt(0)
	v_mul_f64 v[8:9], v[36:37], v[6:7]
	v_mul_f64 v[10:11], v[34:35], v[6:7]
	s_delay_alu instid0(VALU_DEP_2) | instskip(NEXT) | instid1(VALU_DEP_2)
	v_fma_f64 v[8:9], v[34:35], v[4:5], -v[8:9]
	v_fma_f64 v[10:11], v[36:37], v[4:5], v[10:11]
	s_delay_alu instid0(VALU_DEP_2) | instskip(NEXT) | instid1(VALU_DEP_2)
	v_add_f64 v[26:27], v[26:27], v[8:9]
	v_add_f64 v[28:29], v[28:29], v[10:11]
	ds_load_b128 v[8:11], v24 offset:1280
	s_waitcnt lgkmcnt(0)
	v_mul_f64 v[12:13], v[36:37], v[10:11]
	v_mul_f64 v[14:15], v[34:35], v[10:11]
	s_delay_alu instid0(VALU_DEP_2) | instskip(NEXT) | instid1(VALU_DEP_2)
	v_fma_f64 v[12:13], v[34:35], v[8:9], -v[12:13]
	v_fma_f64 v[14:15], v[36:37], v[8:9], v[14:15]
	s_delay_alu instid0(VALU_DEP_2) | instskip(NEXT) | instid1(VALU_DEP_2)
	v_add_f64 v[30:31], v[30:31], v[12:13]
	v_add_f64 v[32:33], v[32:33], v[14:15]
	ds_load_b128 v[12:15], v25 offset:2080
	s_waitcnt lgkmcnt(0)
	v_mul_f64 v[34:35], v[14:15], v[6:7]
	v_mul_f64 v[6:7], v[12:13], v[6:7]
	s_delay_alu instid0(VALU_DEP_2) | instskip(NEXT) | instid1(VALU_DEP_2)
	v_fma_f64 v[34:35], v[12:13], v[4:5], -v[34:35]
	v_fma_f64 v[4:5], v[14:15], v[4:5], v[6:7]
	v_mul_f64 v[6:7], v[12:13], v[10:11]
	s_delay_alu instid0(VALU_DEP_3) | instskip(NEXT) | instid1(VALU_DEP_3)
	v_add_f64 v[34:35], v[42:43], v[34:35]
	v_add_f64 v[36:37], v[44:45], v[4:5]
	v_mul_f64 v[4:5], v[14:15], v[10:11]
	s_delay_alu instid0(VALU_DEP_4) | instskip(NEXT) | instid1(VALU_DEP_2)
	v_fma_f64 v[6:7], v[14:15], v[8:9], v[6:7]
	v_fma_f64 v[4:5], v[12:13], v[8:9], -v[4:5]
	s_delay_alu instid0(VALU_DEP_2) | instskip(NEXT) | instid1(VALU_DEP_2)
	v_add_f64 v[18:19], v[18:19], v[6:7]
	v_add_f64 v[16:17], v[16:17], v[4:5]
	ds_load_b128 v[4:7], v24 offset:1536
	;; [unrolled: 38-line block ×3, first 2 shown]
	ds_load_b128 v[8:11], v24 offset:2048
	s_waitcnt lgkmcnt(0)
	v_mul_f64 v[12:13], v[6:7], v[10:11]
	v_mul_f64 v[14:15], v[4:5], v[10:11]
	s_delay_alu instid0(VALU_DEP_2) | instskip(NEXT) | instid1(VALU_DEP_2)
	v_fma_f64 v[12:13], v[4:5], v[8:9], -v[12:13]
	v_fma_f64 v[14:15], v[6:7], v[8:9], v[14:15]
	s_delay_alu instid0(VALU_DEP_2) | instskip(NEXT) | instid1(VALU_DEP_2)
	v_add_f64 v[26:27], v[26:27], v[12:13]
	v_add_f64 v[28:29], v[28:29], v[14:15]
	ds_load_b128 v[12:15], v24 offset:2304
	s_waitcnt lgkmcnt(0)
	v_mul_f64 v[38:39], v[6:7], v[14:15]
	s_delay_alu instid0(VALU_DEP_1) | instskip(SKIP_1) | instid1(VALU_DEP_2)
	v_fma_f64 v[38:39], v[4:5], v[12:13], -v[38:39]
	v_mul_f64 v[4:5], v[4:5], v[14:15]
	v_add_f64 v[30:31], v[30:31], v[38:39]
	s_delay_alu instid0(VALU_DEP_2) | instskip(NEXT) | instid1(VALU_DEP_1)
	v_fma_f64 v[4:5], v[6:7], v[12:13], v[4:5]
	v_add_f64 v[32:33], v[32:33], v[4:5]
	ds_load_b128 v[4:7], v25 offset:2112
	s_waitcnt lgkmcnt(0)
	v_mul_f64 v[38:39], v[6:7], v[10:11]
	v_mul_f64 v[10:11], v[4:5], v[10:11]
	s_delay_alu instid0(VALU_DEP_2) | instskip(NEXT) | instid1(VALU_DEP_2)
	v_fma_f64 v[38:39], v[4:5], v[8:9], -v[38:39]
	v_fma_f64 v[8:9], v[6:7], v[8:9], v[10:11]
	s_delay_alu instid0(VALU_DEP_2) | instskip(NEXT) | instid1(VALU_DEP_2)
	v_add_f64 v[34:35], v[34:35], v[38:39]
	v_add_f64 v[36:37], v[36:37], v[8:9]
	v_mul_f64 v[8:9], v[6:7], v[14:15]
	s_delay_alu instid0(VALU_DEP_1) | instskip(SKIP_1) | instid1(VALU_DEP_2)
	v_fma_f64 v[8:9], v[4:5], v[12:13], -v[8:9]
	v_mul_f64 v[4:5], v[4:5], v[14:15]
	v_add_f64 v[16:17], v[16:17], v[8:9]
	s_delay_alu instid0(VALU_DEP_2) | instskip(NEXT) | instid1(VALU_DEP_1)
	v_fma_f64 v[4:5], v[6:7], v[12:13], v[4:5]
	v_add_f64 v[18:19], v[18:19], v[4:5]
	ds_load_b128 v[4:7], v25 offset:80
	ds_load_b128 v[8:11], v24 offset:2560
	s_waitcnt lgkmcnt(0)
	v_mul_f64 v[12:13], v[6:7], v[10:11]
	v_mul_f64 v[14:15], v[4:5], v[10:11]
	s_delay_alu instid0(VALU_DEP_2) | instskip(NEXT) | instid1(VALU_DEP_2)
	v_fma_f64 v[12:13], v[4:5], v[8:9], -v[12:13]
	v_fma_f64 v[14:15], v[6:7], v[8:9], v[14:15]
	s_delay_alu instid0(VALU_DEP_2) | instskip(NEXT) | instid1(VALU_DEP_2)
	v_add_f64 v[26:27], v[26:27], v[12:13]
	v_add_f64 v[28:29], v[28:29], v[14:15]
	ds_load_b128 v[12:15], v24 offset:2816
	s_waitcnt lgkmcnt(0)
	v_mul_f64 v[38:39], v[6:7], v[14:15]
	s_delay_alu instid0(VALU_DEP_1) | instskip(SKIP_1) | instid1(VALU_DEP_2)
	v_fma_f64 v[38:39], v[4:5], v[12:13], -v[38:39]
	v_mul_f64 v[4:5], v[4:5], v[14:15]
	v_add_f64 v[30:31], v[30:31], v[38:39]
	s_delay_alu instid0(VALU_DEP_2) | instskip(NEXT) | instid1(VALU_DEP_1)
	v_fma_f64 v[4:5], v[6:7], v[12:13], v[4:5]
	v_add_f64 v[32:33], v[32:33], v[4:5]
	ds_load_b128 v[4:7], v25 offset:2128
	s_waitcnt lgkmcnt(0)
	v_mul_f64 v[38:39], v[6:7], v[10:11]
	v_mul_f64 v[10:11], v[4:5], v[10:11]
	s_delay_alu instid0(VALU_DEP_2) | instskip(NEXT) | instid1(VALU_DEP_2)
	v_fma_f64 v[38:39], v[4:5], v[8:9], -v[38:39]
	v_fma_f64 v[8:9], v[6:7], v[8:9], v[10:11]
	s_delay_alu instid0(VALU_DEP_2) | instskip(NEXT) | instid1(VALU_DEP_2)
	v_add_f64 v[34:35], v[34:35], v[38:39]
	v_add_f64 v[36:37], v[36:37], v[8:9]
	v_mul_f64 v[8:9], v[6:7], v[14:15]
	s_delay_alu instid0(VALU_DEP_1) | instskip(SKIP_1) | instid1(VALU_DEP_2)
	v_fma_f64 v[8:9], v[4:5], v[12:13], -v[8:9]
	v_mul_f64 v[4:5], v[4:5], v[14:15]
	v_add_f64 v[16:17], v[16:17], v[8:9]
	s_delay_alu instid0(VALU_DEP_2) | instskip(NEXT) | instid1(VALU_DEP_1)
	v_fma_f64 v[4:5], v[6:7], v[12:13], v[4:5]
	v_add_f64 v[18:19], v[18:19], v[4:5]
	ds_load_b128 v[4:7], v25 offset:96
	;; [unrolled: 39-line block ×3, first 2 shown]
	ds_load_b128 v[10:13], v24 offset:3584
	s_waitcnt lgkmcnt(0)
	v_mul_f64 v[8:9], v[6:7], v[12:13]
	v_mul_f64 v[14:15], v[4:5], v[12:13]
	s_delay_alu instid0(VALU_DEP_2) | instskip(NEXT) | instid1(VALU_DEP_2)
	v_fma_f64 v[8:9], v[4:5], v[10:11], -v[8:9]
	v_fma_f64 v[14:15], v[6:7], v[10:11], v[14:15]
	s_delay_alu instid0(VALU_DEP_2) | instskip(NEXT) | instid1(VALU_DEP_2)
	v_add_f64 v[16:17], v[26:27], v[8:9]
	v_add_f64 v[18:19], v[28:29], v[14:15]
	ds_load_b128 v[26:29], v24 offset:3840
	s_waitcnt lgkmcnt(0)
	v_mul_f64 v[8:9], v[6:7], v[28:29]
	s_delay_alu instid0(VALU_DEP_1) | instskip(SKIP_1) | instid1(VALU_DEP_1)
	v_fma_f64 v[8:9], v[4:5], v[26:27], -v[8:9]
	v_mul_f64 v[4:5], v[4:5], v[28:29]
	v_fma_f64 v[6:7], v[6:7], v[26:27], v[4:5]
	s_delay_alu instid0(VALU_DEP_3) | instskip(NEXT) | instid1(VALU_DEP_2)
	v_add_f64 v[4:5], v[30:31], v[8:9]
	v_add_f64 v[8:9], v[32:33], v[6:7]
	ds_load_b128 v[30:33], v25 offset:2160
	s_waitcnt lgkmcnt(0)
	s_barrier
	buffer_gl0_inv
	v_mul_f64 v[6:7], v[32:33], v[12:13]
	v_mul_f64 v[12:13], v[30:31], v[12:13]
	s_delay_alu instid0(VALU_DEP_2) | instskip(NEXT) | instid1(VALU_DEP_2)
	v_fma_f64 v[6:7], v[30:31], v[10:11], -v[6:7]
	v_fma_f64 v[10:11], v[32:33], v[10:11], v[12:13]
	s_delay_alu instid0(VALU_DEP_2) | instskip(NEXT) | instid1(VALU_DEP_2)
	v_add_f64 v[12:13], v[34:35], v[6:7]
	v_add_f64 v[14:15], v[36:37], v[10:11]
	v_mul_f64 v[6:7], v[32:33], v[28:29]
	v_mul_f64 v[10:11], v[30:31], v[28:29]
	s_delay_alu instid0(VALU_DEP_2) | instskip(NEXT) | instid1(VALU_DEP_2)
	v_fma_f64 v[6:7], v[30:31], v[26:27], -v[6:7]
	v_fma_f64 v[10:11], v[32:33], v[26:27], v[10:11]
	s_delay_alu instid0(VALU_DEP_2) | instskip(NEXT) | instid1(VALU_DEP_2)
	v_add_f64 v[6:7], v[38:39], v[6:7]
	v_add_f64 v[10:11], v[40:41], v[10:11]
	s_cbranch_scc0 .LBB265_2
.LBB265_3:
	s_clause 0x1
	s_load_b32 s3, s[0:1], 0x60
	s_load_b64 s[4:5], s[0:1], 0x68
	v_add_nc_u32_e32 v21, s14, v21
	v_add_nc_u32_e32 v0, s26, v20
	s_delay_alu instid0(VALU_DEP_1)
	v_cmp_le_i32_e64 s0, v21, v0
	v_cmp_gt_i32_e32 vcc_lo, s2, v0
	s_waitcnt lgkmcnt(0)
	v_mad_i64_i32 v[1:2], null, v21, s3, 0
	s_mul_i32 s1, s15, s5
	s_mul_hi_u32 s5, s15, s4
	s_mul_i32 s4, s15, s4
	s_add_i32 s5, s5, s1
	s_delay_alu instid0(SALU_CYCLE_1) | instskip(NEXT) | instid1(VALU_DEP_1)
	s_lshl_b64 s[4:5], s[4:5], 4
	v_lshlrev_b64 v[1:2], 4, v[1:2]
	s_add_u32 s4, s10, s4
	s_addc_u32 s5, s11, s5
	s_and_b32 s0, s0, vcc_lo
	s_delay_alu instid0(VALU_DEP_1) | instskip(NEXT) | instid1(VALU_DEP_1)
	v_add_co_u32 v20, s1, s4, v1
	v_add_co_ci_u32_e64 v22, s1, s5, v2, s1
	s_and_saveexec_b32 s1, s0
	s_cbranch_execz .LBB265_5
; %bb.4:
	v_ashrrev_i32_e32 v1, 31, v0
	v_mul_f64 v[27:28], s[18:19], v[18:19]
	v_mul_f64 v[18:19], s[16:17], v[18:19]
	s_delay_alu instid0(VALU_DEP_3) | instskip(NEXT) | instid1(VALU_DEP_1)
	v_lshlrev_b64 v[1:2], 4, v[0:1]
	v_add_co_u32 v1, s0, v20, v1
	s_delay_alu instid0(VALU_DEP_1)
	v_add_co_ci_u32_e64 v2, s0, v22, v2, s0
	global_load_b128 v[23:26], v[1:2], off
	v_fma_f64 v[27:28], s[16:17], v[16:17], -v[27:28]
	v_fma_f64 v[18:19], s[18:19], v[16:17], v[18:19]
	s_waitcnt vmcnt(0)
	v_mul_f64 v[29:30], s[8:9], v[25:26]
	v_mul_f64 v[25:26], s[6:7], v[25:26]
	s_delay_alu instid0(VALU_DEP_2) | instskip(NEXT) | instid1(VALU_DEP_2)
	v_fma_f64 v[16:17], s[6:7], v[23:24], -v[29:30]
	v_fma_f64 v[23:24], s[8:9], v[23:24], v[25:26]
	s_delay_alu instid0(VALU_DEP_2) | instskip(NEXT) | instid1(VALU_DEP_2)
	v_add_f64 v[16:17], v[27:28], v[16:17]
	v_add_f64 v[18:19], v[18:19], v[23:24]
	global_store_b128 v[1:2], v[16:19], off
.LBB265_5:
	s_or_b32 exec_lo, exec_lo, s1
	v_add_nc_u32_e32 v2, 16, v0
	s_delay_alu instid0(VALU_DEP_1) | instskip(SKIP_1) | instid1(VALU_DEP_1)
	v_cmp_le_i32_e64 s1, v21, v2
	v_cmp_gt_i32_e64 s0, s2, v2
	s_and_b32 s1, s1, s0
	s_delay_alu instid0(SALU_CYCLE_1)
	s_and_saveexec_b32 s2, s1
	s_cbranch_execz .LBB265_7
; %bb.6:
	v_ashrrev_i32_e32 v3, 31, v2
	v_mul_f64 v[25:26], s[18:19], v[8:9]
	v_mul_f64 v[8:9], s[16:17], v[8:9]
	s_delay_alu instid0(VALU_DEP_3) | instskip(NEXT) | instid1(VALU_DEP_1)
	v_lshlrev_b64 v[16:17], 4, v[2:3]
	v_add_co_u32 v23, s1, v20, v16
	s_delay_alu instid0(VALU_DEP_1)
	v_add_co_ci_u32_e64 v24, s1, v22, v17, s1
	global_load_b128 v[16:19], v[23:24], off
	v_fma_f64 v[25:26], s[16:17], v[4:5], -v[25:26]
	v_fma_f64 v[3:4], s[18:19], v[4:5], v[8:9]
	s_waitcnt vmcnt(0)
	v_mul_f64 v[27:28], s[8:9], v[18:19]
	v_mul_f64 v[18:19], s[6:7], v[18:19]
	s_delay_alu instid0(VALU_DEP_2) | instskip(NEXT) | instid1(VALU_DEP_2)
	v_fma_f64 v[8:9], s[6:7], v[16:17], -v[27:28]
	v_fma_f64 v[18:19], s[8:9], v[16:17], v[18:19]
	s_delay_alu instid0(VALU_DEP_2) | instskip(NEXT) | instid1(VALU_DEP_2)
	v_add_f64 v[16:17], v[25:26], v[8:9]
	v_add_f64 v[18:19], v[3:4], v[18:19]
	global_store_b128 v[23:24], v[16:19], off
.LBB265_7:
	s_or_b32 exec_lo, exec_lo, s2
	v_add_nc_u32_e32 v3, 16, v21
	s_delay_alu instid0(VALU_DEP_1) | instskip(SKIP_1) | instid1(VALU_DEP_2)
	v_mad_i64_i32 v[4:5], null, v3, s3, 0
	v_cmp_le_i32_e64 s1, v3, v0
	v_lshlrev_b64 v[4:5], 4, v[4:5]
	s_delay_alu instid0(VALU_DEP_1) | instskip(NEXT) | instid1(VALU_DEP_1)
	v_add_co_u32 v4, s2, s4, v4
	v_add_co_ci_u32_e64 v5, s2, s5, v5, s2
	s_delay_alu instid0(VALU_DEP_4) | instskip(NEXT) | instid1(SALU_CYCLE_1)
	s_and_b32 s2, s1, vcc_lo
	s_and_saveexec_b32 s1, s2
	s_cbranch_execz .LBB265_9
; %bb.8:
	v_ashrrev_i32_e32 v1, 31, v0
	v_mul_f64 v[8:9], s[18:19], v[14:15]
	v_mul_f64 v[14:15], s[16:17], v[14:15]
	s_delay_alu instid0(VALU_DEP_3) | instskip(NEXT) | instid1(VALU_DEP_1)
	v_lshlrev_b64 v[0:1], 4, v[0:1]
	v_add_co_u32 v0, vcc_lo, v4, v0
	s_delay_alu instid0(VALU_DEP_2)
	v_add_co_ci_u32_e32 v1, vcc_lo, v5, v1, vcc_lo
	global_load_b128 v[16:19], v[0:1], off
	v_fma_f64 v[8:9], s[16:17], v[12:13], -v[8:9]
	v_fma_f64 v[14:15], s[18:19], v[12:13], v[14:15]
	s_waitcnt vmcnt(0)
	v_mul_f64 v[20:21], s[8:9], v[18:19]
	v_mul_f64 v[18:19], s[6:7], v[18:19]
	s_delay_alu instid0(VALU_DEP_2) | instskip(NEXT) | instid1(VALU_DEP_2)
	v_fma_f64 v[12:13], s[6:7], v[16:17], -v[20:21]
	v_fma_f64 v[16:17], s[8:9], v[16:17], v[18:19]
	s_delay_alu instid0(VALU_DEP_2) | instskip(NEXT) | instid1(VALU_DEP_2)
	v_add_f64 v[12:13], v[8:9], v[12:13]
	v_add_f64 v[14:15], v[14:15], v[16:17]
	global_store_b128 v[0:1], v[12:15], off
.LBB265_9:
	s_or_b32 exec_lo, exec_lo, s1
	v_cmp_le_i32_e32 vcc_lo, v3, v2
	s_and_b32 s0, vcc_lo, s0
	s_delay_alu instid0(SALU_CYCLE_1)
	s_and_saveexec_b32 s1, s0
	s_cbranch_execz .LBB265_11
; %bb.10:
	v_ashrrev_i32_e32 v3, 31, v2
	v_mul_f64 v[8:9], s[18:19], v[10:11]
	v_mul_f64 v[10:11], s[16:17], v[10:11]
	s_delay_alu instid0(VALU_DEP_3) | instskip(NEXT) | instid1(VALU_DEP_1)
	v_lshlrev_b64 v[0:1], 4, v[2:3]
	v_add_co_u32 v4, vcc_lo, v4, v0
	s_delay_alu instid0(VALU_DEP_2)
	v_add_co_ci_u32_e32 v5, vcc_lo, v5, v1, vcc_lo
	global_load_b128 v[0:3], v[4:5], off
	v_fma_f64 v[8:9], s[16:17], v[6:7], -v[8:9]
	v_fma_f64 v[6:7], s[18:19], v[6:7], v[10:11]
	s_waitcnt vmcnt(0)
	v_mul_f64 v[12:13], s[8:9], v[2:3]
	v_mul_f64 v[2:3], s[6:7], v[2:3]
	s_delay_alu instid0(VALU_DEP_2) | instskip(NEXT) | instid1(VALU_DEP_2)
	v_fma_f64 v[10:11], s[6:7], v[0:1], -v[12:13]
	v_fma_f64 v[2:3], s[8:9], v[0:1], v[2:3]
	s_delay_alu instid0(VALU_DEP_2) | instskip(NEXT) | instid1(VALU_DEP_2)
	v_add_f64 v[0:1], v[8:9], v[10:11]
	v_add_f64 v[2:3], v[6:7], v[2:3]
	global_store_b128 v[4:5], v[0:3], off
.LBB265_11:
	s_nop 0
	s_sendmsg sendmsg(MSG_DEALLOC_VGPRS)
	s_endpgm
	.section	.rodata,"a",@progbits
	.p2align	6, 0x0
	.amdhsa_kernel _ZL37rocblas_syrkx_herkx_restricted_kernelIi19rocblas_complex_numIdELi16ELi32ELi8ELb0ELb0ELc78ELc76EKS1_S1_EviT_T0_PT8_S3_lS6_S3_lS4_PT9_S3_li
		.amdhsa_group_segment_fixed_size 8192
		.amdhsa_private_segment_fixed_size 0
		.amdhsa_kernarg_size 116
		.amdhsa_user_sgpr_count 13
		.amdhsa_user_sgpr_dispatch_ptr 0
		.amdhsa_user_sgpr_queue_ptr 0
		.amdhsa_user_sgpr_kernarg_segment_ptr 1
		.amdhsa_user_sgpr_dispatch_id 0
		.amdhsa_user_sgpr_private_segment_size 0
		.amdhsa_wavefront_size32 1
		.amdhsa_uses_dynamic_stack 0
		.amdhsa_enable_private_segment 0
		.amdhsa_system_sgpr_workgroup_id_x 1
		.amdhsa_system_sgpr_workgroup_id_y 1
		.amdhsa_system_sgpr_workgroup_id_z 1
		.amdhsa_system_sgpr_workgroup_info 0
		.amdhsa_system_vgpr_workitem_id 1
		.amdhsa_next_free_vgpr 54
		.amdhsa_next_free_sgpr 31
		.amdhsa_reserve_vcc 1
		.amdhsa_float_round_mode_32 0
		.amdhsa_float_round_mode_16_64 0
		.amdhsa_float_denorm_mode_32 3
		.amdhsa_float_denorm_mode_16_64 3
		.amdhsa_dx10_clamp 1
		.amdhsa_ieee_mode 1
		.amdhsa_fp16_overflow 0
		.amdhsa_workgroup_processor_mode 1
		.amdhsa_memory_ordered 1
		.amdhsa_forward_progress 0
		.amdhsa_shared_vgpr_count 0
		.amdhsa_exception_fp_ieee_invalid_op 0
		.amdhsa_exception_fp_denorm_src 0
		.amdhsa_exception_fp_ieee_div_zero 0
		.amdhsa_exception_fp_ieee_overflow 0
		.amdhsa_exception_fp_ieee_underflow 0
		.amdhsa_exception_fp_ieee_inexact 0
		.amdhsa_exception_int_div_zero 0
	.end_amdhsa_kernel
	.section	.text._ZL37rocblas_syrkx_herkx_restricted_kernelIi19rocblas_complex_numIdELi16ELi32ELi8ELb0ELb0ELc78ELc76EKS1_S1_EviT_T0_PT8_S3_lS6_S3_lS4_PT9_S3_li,"axG",@progbits,_ZL37rocblas_syrkx_herkx_restricted_kernelIi19rocblas_complex_numIdELi16ELi32ELi8ELb0ELb0ELc78ELc76EKS1_S1_EviT_T0_PT8_S3_lS6_S3_lS4_PT9_S3_li,comdat
.Lfunc_end265:
	.size	_ZL37rocblas_syrkx_herkx_restricted_kernelIi19rocblas_complex_numIdELi16ELi32ELi8ELb0ELb0ELc78ELc76EKS1_S1_EviT_T0_PT8_S3_lS6_S3_lS4_PT9_S3_li, .Lfunc_end265-_ZL37rocblas_syrkx_herkx_restricted_kernelIi19rocblas_complex_numIdELi16ELi32ELi8ELb0ELb0ELc78ELc76EKS1_S1_EviT_T0_PT8_S3_lS6_S3_lS4_PT9_S3_li
                                        ; -- End function
	.section	.AMDGPU.csdata,"",@progbits
; Kernel info:
; codeLenInByte = 3596
; NumSgprs: 33
; NumVgprs: 54
; ScratchSize: 0
; MemoryBound: 0
; FloatMode: 240
; IeeeMode: 1
; LDSByteSize: 8192 bytes/workgroup (compile time only)
; SGPRBlocks: 4
; VGPRBlocks: 6
; NumSGPRsForWavesPerEU: 33
; NumVGPRsForWavesPerEU: 54
; Occupancy: 16
; WaveLimiterHint : 0
; COMPUTE_PGM_RSRC2:SCRATCH_EN: 0
; COMPUTE_PGM_RSRC2:USER_SGPR: 13
; COMPUTE_PGM_RSRC2:TRAP_HANDLER: 0
; COMPUTE_PGM_RSRC2:TGID_X_EN: 1
; COMPUTE_PGM_RSRC2:TGID_Y_EN: 1
; COMPUTE_PGM_RSRC2:TGID_Z_EN: 1
; COMPUTE_PGM_RSRC2:TIDIG_COMP_CNT: 1
	.section	.text._ZL37rocblas_syrkx_herkx_restricted_kernelIi19rocblas_complex_numIdELi16ELi32ELi8ELb0ELb0ELc84ELc85EKS1_S1_EviT_T0_PT8_S3_lS6_S3_lS4_PT9_S3_li,"axG",@progbits,_ZL37rocblas_syrkx_herkx_restricted_kernelIi19rocblas_complex_numIdELi16ELi32ELi8ELb0ELb0ELc84ELc85EKS1_S1_EviT_T0_PT8_S3_lS6_S3_lS4_PT9_S3_li,comdat
	.globl	_ZL37rocblas_syrkx_herkx_restricted_kernelIi19rocblas_complex_numIdELi16ELi32ELi8ELb0ELb0ELc84ELc85EKS1_S1_EviT_T0_PT8_S3_lS6_S3_lS4_PT9_S3_li ; -- Begin function _ZL37rocblas_syrkx_herkx_restricted_kernelIi19rocblas_complex_numIdELi16ELi32ELi8ELb0ELb0ELc84ELc85EKS1_S1_EviT_T0_PT8_S3_lS6_S3_lS4_PT9_S3_li
	.p2align	8
	.type	_ZL37rocblas_syrkx_herkx_restricted_kernelIi19rocblas_complex_numIdELi16ELi32ELi8ELb0ELb0ELc84ELc85EKS1_S1_EviT_T0_PT8_S3_lS6_S3_lS4_PT9_S3_li,@function
_ZL37rocblas_syrkx_herkx_restricted_kernelIi19rocblas_complex_numIdELi16ELi32ELi8ELb0ELb0ELc84ELc85EKS1_S1_EviT_T0_PT8_S3_lS6_S3_lS4_PT9_S3_li: ; @_ZL37rocblas_syrkx_herkx_restricted_kernelIi19rocblas_complex_numIdELi16ELi32ELi8ELb0ELb0ELc84ELc85EKS1_S1_EviT_T0_PT8_S3_lS6_S3_lS4_PT9_S3_li
; %bb.0:
	s_clause 0x3
	s_load_b64 s[2:3], s[0:1], 0x0
	s_load_b128 s[16:19], s[0:1], 0x8
	s_load_b64 s[24:25], s[0:1], 0x18
	s_load_b256 s[4:11], s[0:1], 0x40
	v_mov_b32_e32 v16, 0
	v_dual_mov_b32 v17, 0 :: v_dual_and_b32 v20, 0x3ff, v0
	v_bfe_u32 v21, v0, 10, 10
	s_delay_alu instid0(VALU_DEP_3) | instskip(NEXT) | instid1(VALU_DEP_3)
	v_mov_b32_e32 v4, v16
	v_dual_mov_b32 v10, v16 :: v_dual_mov_b32 v11, v17
	v_dual_mov_b32 v19, v17 :: v_dual_mov_b32 v18, v16
	v_dual_mov_b32 v5, v17 :: v_dual_mov_b32 v12, v16
	v_dual_mov_b32 v13, v17 :: v_dual_mov_b32 v14, v16
	v_dual_mov_b32 v15, v17 :: v_dual_mov_b32 v6, v16
	v_dual_mov_b32 v7, v17 :: v_dual_mov_b32 v8, v16
	v_mov_b32_e32 v9, v17
	s_lshl_b32 s12, s13, 5
	s_lshl_b32 s13, s14, 5
	s_waitcnt lgkmcnt(0)
	s_cmp_lt_i32 s3, 1
	s_mov_b32 s14, 0
	s_cbranch_scc1 .LBB266_3
; %bb.1:
	s_clause 0x2
	s_load_b128 s[20:23], s[0:1], 0x28
	s_load_b32 s26, s[0:1], 0x20
	s_load_b32 s27, s[0:1], 0x38
	v_lshl_add_u32 v2, v21, 4, v20
	v_dual_mov_b32 v1, 0 :: v_dual_and_b32 v0, 7, v20
	s_mul_i32 s5, s5, s15
	v_lshlrev_b32_e32 v22, 4, v20
	s_delay_alu instid0(VALU_DEP_3) | instskip(SKIP_3) | instid1(VALU_DEP_4)
	v_and_b32_e32 v4, 31, v2
	v_lshrrev_b32_e32 v5, 3, v2
	v_dual_mov_b32 v3, v1 :: v_dual_lshlrev_b32 v6, 4, v0
	v_lshrrev_b32_e32 v2, 5, v2
	v_add_nc_u32_e32 v9, s12, v4
	v_lshlrev_b32_e32 v7, 4, v4
	v_add_nc_u32_e32 v8, s13, v5
	v_lshl_or_b32 v6, v5, 7, v6
	v_lshl_add_u32 v25, v21, 7, 0x1000
	s_delay_alu instid0(VALU_DEP_4)
	v_lshl_or_b32 v23, v2, 9, v7
	s_waitcnt lgkmcnt(0)
	s_mul_i32 s21, s21, s15
	v_mad_i64_i32 v[4:5], null, s26, v9, v[2:3]
	s_mul_hi_u32 s28, s20, s15
	v_mad_i64_i32 v[2:3], null, s27, v8, v[0:1]
	v_mov_b32_e32 v8, 0
	s_mul_i32 s20, s20, s15
	s_add_i32 s21, s28, s21
	s_delay_alu instid0(VALU_DEP_3)
	v_lshlrev_b64 v[0:1], 4, v[4:5]
	s_lshl_b64 s[20:21], s[20:21], 4
	v_mov_b32_e32 v9, 0
	s_add_u32 s20, s24, s20
	s_mul_hi_u32 s24, s4, s15
	s_addc_u32 s21, s25, s21
	s_add_i32 s5, s24, s5
	s_mul_i32 s4, s4, s15
	v_lshlrev_b64 v[2:3], 4, v[2:3]
	s_lshl_b64 s[4:5], s[4:5], 4
	v_add_co_u32 v0, vcc_lo, s20, v0
	s_add_u32 s4, s22, s4
	v_add_co_ci_u32_e32 v1, vcc_lo, s21, v1, vcc_lo
	s_addc_u32 s5, s23, s5
	v_add_co_u32 v2, vcc_lo, s4, v2
	v_add_co_ci_u32_e32 v3, vcc_lo, s5, v3, vcc_lo
	v_add_co_u32 v0, vcc_lo, v0, 8
	v_dual_mov_b32 v15, v9 :: v_dual_add_nc_u32 v24, 0x1000, v6
	v_add_co_ci_u32_e32 v1, vcc_lo, 0, v1, vcc_lo
	v_add_co_u32 v2, vcc_lo, v2, 8
	v_dual_mov_b32 v14, v8 :: v_dual_mov_b32 v11, v9
	v_dual_mov_b32 v6, v8 :: v_dual_mov_b32 v13, v9
	;; [unrolled: 1-line block ×4, first 2 shown]
	v_add_co_ci_u32_e32 v3, vcc_lo, 0, v3, vcc_lo
	v_dual_mov_b32 v7, v9 :: v_dual_mov_b32 v12, v8
	v_dual_mov_b32 v5, v9 :: v_dual_mov_b32 v18, v8
	v_mov_b32_e32 v16, v8
.LBB266_2:                              ; =>This Inner Loop Header: Depth=1
	global_load_b128 v[26:29], v[0:1], off offset:-8
	v_add_co_u32 v0, vcc_lo, 0x80, v0
	v_add_co_ci_u32_e32 v1, vcc_lo, 0, v1, vcc_lo
	s_add_i32 s14, s14, 8
	s_delay_alu instid0(SALU_CYCLE_1)
	s_cmp_ge_i32 s14, s3
	s_waitcnt vmcnt(0)
	ds_store_b128 v23, v[26:29]
	global_load_b128 v[26:29], v[2:3], off offset:-8
	v_add_co_u32 v2, vcc_lo, 0x80, v2
	v_add_co_ci_u32_e32 v3, vcc_lo, 0, v3, vcc_lo
	s_waitcnt vmcnt(0)
	ds_store_b128 v24, v[26:29]
	s_waitcnt lgkmcnt(0)
	s_barrier
	buffer_gl0_inv
	ds_load_b128 v[26:29], v25
	ds_load_b128 v[30:33], v25 offset:16
	ds_load_b128 v[34:37], v25 offset:32
	;; [unrolled: 1-line block ×3, first 2 shown]
	ds_load_b128 v[42:45], v22
	s_waitcnt lgkmcnt(0)
	v_mul_f64 v[46:47], v[28:29], v[44:45]
	v_mul_f64 v[48:49], v[26:27], v[44:45]
	s_delay_alu instid0(VALU_DEP_2) | instskip(NEXT) | instid1(VALU_DEP_2)
	v_fma_f64 v[46:47], v[26:27], v[42:43], -v[46:47]
	v_fma_f64 v[48:49], v[28:29], v[42:43], v[48:49]
	s_delay_alu instid0(VALU_DEP_2) | instskip(NEXT) | instid1(VALU_DEP_2)
	v_add_f64 v[46:47], v[16:17], v[46:47]
	v_add_f64 v[48:49], v[18:19], v[48:49]
	ds_load_b128 v[16:19], v22 offset:256
	s_waitcnt lgkmcnt(0)
	v_mul_f64 v[50:51], v[28:29], v[18:19]
	s_delay_alu instid0(VALU_DEP_1) | instskip(SKIP_1) | instid1(VALU_DEP_2)
	v_fma_f64 v[50:51], v[26:27], v[16:17], -v[50:51]
	v_mul_f64 v[26:27], v[26:27], v[18:19]
	v_add_f64 v[50:51], v[4:5], v[50:51]
	s_delay_alu instid0(VALU_DEP_2) | instskip(NEXT) | instid1(VALU_DEP_1)
	v_fma_f64 v[26:27], v[28:29], v[16:17], v[26:27]
	v_add_f64 v[52:53], v[10:11], v[26:27]
	ds_load_b128 v[26:29], v25 offset:2048
	s_waitcnt lgkmcnt(0)
	v_mul_f64 v[4:5], v[28:29], v[44:45]
	v_mul_f64 v[10:11], v[26:27], v[44:45]
	s_delay_alu instid0(VALU_DEP_2) | instskip(NEXT) | instid1(VALU_DEP_2)
	v_fma_f64 v[4:5], v[26:27], v[42:43], -v[4:5]
	v_fma_f64 v[10:11], v[28:29], v[42:43], v[10:11]
	s_delay_alu instid0(VALU_DEP_2) | instskip(SKIP_1) | instid1(VALU_DEP_3)
	v_add_f64 v[42:43], v[12:13], v[4:5]
	v_mul_f64 v[4:5], v[28:29], v[18:19]
	v_add_f64 v[44:45], v[14:15], v[10:11]
	v_mul_f64 v[10:11], v[26:27], v[18:19]
	s_delay_alu instid0(VALU_DEP_3) | instskip(NEXT) | instid1(VALU_DEP_2)
	v_fma_f64 v[4:5], v[26:27], v[16:17], -v[4:5]
	v_fma_f64 v[10:11], v[28:29], v[16:17], v[10:11]
	s_delay_alu instid0(VALU_DEP_2)
	v_add_f64 v[16:17], v[6:7], v[4:5]
	ds_load_b128 v[4:7], v22 offset:512
	v_add_f64 v[18:19], v[8:9], v[10:11]
	s_waitcnt lgkmcnt(0)
	v_mul_f64 v[8:9], v[32:33], v[6:7]
	v_mul_f64 v[10:11], v[30:31], v[6:7]
	s_delay_alu instid0(VALU_DEP_2) | instskip(NEXT) | instid1(VALU_DEP_2)
	v_fma_f64 v[8:9], v[30:31], v[4:5], -v[8:9]
	v_fma_f64 v[10:11], v[32:33], v[4:5], v[10:11]
	s_delay_alu instid0(VALU_DEP_2) | instskip(NEXT) | instid1(VALU_DEP_2)
	v_add_f64 v[26:27], v[46:47], v[8:9]
	v_add_f64 v[28:29], v[48:49], v[10:11]
	ds_load_b128 v[8:11], v22 offset:768
	s_waitcnt lgkmcnt(0)
	v_mul_f64 v[12:13], v[32:33], v[10:11]
	v_mul_f64 v[14:15], v[30:31], v[10:11]
	s_delay_alu instid0(VALU_DEP_2) | instskip(NEXT) | instid1(VALU_DEP_2)
	v_fma_f64 v[12:13], v[30:31], v[8:9], -v[12:13]
	v_fma_f64 v[14:15], v[32:33], v[8:9], v[14:15]
	s_delay_alu instid0(VALU_DEP_2) | instskip(NEXT) | instid1(VALU_DEP_2)
	v_add_f64 v[30:31], v[50:51], v[12:13]
	v_add_f64 v[32:33], v[52:53], v[14:15]
	ds_load_b128 v[12:15], v25 offset:2064
	s_waitcnt lgkmcnt(0)
	v_mul_f64 v[46:47], v[14:15], v[6:7]
	v_mul_f64 v[6:7], v[12:13], v[6:7]
	s_delay_alu instid0(VALU_DEP_2) | instskip(NEXT) | instid1(VALU_DEP_2)
	v_fma_f64 v[46:47], v[12:13], v[4:5], -v[46:47]
	v_fma_f64 v[4:5], v[14:15], v[4:5], v[6:7]
	v_mul_f64 v[6:7], v[12:13], v[10:11]
	s_delay_alu instid0(VALU_DEP_3) | instskip(NEXT) | instid1(VALU_DEP_3)
	v_add_f64 v[42:43], v[42:43], v[46:47]
	v_add_f64 v[44:45], v[44:45], v[4:5]
	v_mul_f64 v[4:5], v[14:15], v[10:11]
	s_delay_alu instid0(VALU_DEP_4) | instskip(NEXT) | instid1(VALU_DEP_2)
	v_fma_f64 v[6:7], v[14:15], v[8:9], v[6:7]
	v_fma_f64 v[4:5], v[12:13], v[8:9], -v[4:5]
	s_delay_alu instid0(VALU_DEP_2) | instskip(NEXT) | instid1(VALU_DEP_2)
	v_add_f64 v[18:19], v[18:19], v[6:7]
	v_add_f64 v[16:17], v[16:17], v[4:5]
	ds_load_b128 v[4:7], v22 offset:1024
	s_waitcnt lgkmcnt(0)
	v_mul_f64 v[8:9], v[36:37], v[6:7]
	v_mul_f64 v[10:11], v[34:35], v[6:7]
	s_delay_alu instid0(VALU_DEP_2) | instskip(NEXT) | instid1(VALU_DEP_2)
	v_fma_f64 v[8:9], v[34:35], v[4:5], -v[8:9]
	v_fma_f64 v[10:11], v[36:37], v[4:5], v[10:11]
	s_delay_alu instid0(VALU_DEP_2) | instskip(NEXT) | instid1(VALU_DEP_2)
	v_add_f64 v[26:27], v[26:27], v[8:9]
	v_add_f64 v[28:29], v[28:29], v[10:11]
	ds_load_b128 v[8:11], v22 offset:1280
	s_waitcnt lgkmcnt(0)
	v_mul_f64 v[12:13], v[36:37], v[10:11]
	v_mul_f64 v[14:15], v[34:35], v[10:11]
	s_delay_alu instid0(VALU_DEP_2) | instskip(NEXT) | instid1(VALU_DEP_2)
	v_fma_f64 v[12:13], v[34:35], v[8:9], -v[12:13]
	v_fma_f64 v[14:15], v[36:37], v[8:9], v[14:15]
	s_delay_alu instid0(VALU_DEP_2) | instskip(NEXT) | instid1(VALU_DEP_2)
	v_add_f64 v[30:31], v[30:31], v[12:13]
	v_add_f64 v[32:33], v[32:33], v[14:15]
	ds_load_b128 v[12:15], v25 offset:2080
	s_waitcnt lgkmcnt(0)
	v_mul_f64 v[34:35], v[14:15], v[6:7]
	v_mul_f64 v[6:7], v[12:13], v[6:7]
	s_delay_alu instid0(VALU_DEP_2) | instskip(NEXT) | instid1(VALU_DEP_2)
	v_fma_f64 v[34:35], v[12:13], v[4:5], -v[34:35]
	v_fma_f64 v[4:5], v[14:15], v[4:5], v[6:7]
	v_mul_f64 v[6:7], v[12:13], v[10:11]
	s_delay_alu instid0(VALU_DEP_3) | instskip(NEXT) | instid1(VALU_DEP_3)
	v_add_f64 v[34:35], v[42:43], v[34:35]
	v_add_f64 v[36:37], v[44:45], v[4:5]
	v_mul_f64 v[4:5], v[14:15], v[10:11]
	s_delay_alu instid0(VALU_DEP_4) | instskip(NEXT) | instid1(VALU_DEP_2)
	v_fma_f64 v[6:7], v[14:15], v[8:9], v[6:7]
	v_fma_f64 v[4:5], v[12:13], v[8:9], -v[4:5]
	s_delay_alu instid0(VALU_DEP_2) | instskip(NEXT) | instid1(VALU_DEP_2)
	v_add_f64 v[18:19], v[18:19], v[6:7]
	v_add_f64 v[16:17], v[16:17], v[4:5]
	ds_load_b128 v[4:7], v22 offset:1536
	;; [unrolled: 38-line block ×3, first 2 shown]
	ds_load_b128 v[8:11], v22 offset:2048
	s_waitcnt lgkmcnt(0)
	v_mul_f64 v[12:13], v[6:7], v[10:11]
	v_mul_f64 v[14:15], v[4:5], v[10:11]
	s_delay_alu instid0(VALU_DEP_2) | instskip(NEXT) | instid1(VALU_DEP_2)
	v_fma_f64 v[12:13], v[4:5], v[8:9], -v[12:13]
	v_fma_f64 v[14:15], v[6:7], v[8:9], v[14:15]
	s_delay_alu instid0(VALU_DEP_2) | instskip(NEXT) | instid1(VALU_DEP_2)
	v_add_f64 v[26:27], v[26:27], v[12:13]
	v_add_f64 v[28:29], v[28:29], v[14:15]
	ds_load_b128 v[12:15], v22 offset:2304
	s_waitcnt lgkmcnt(0)
	v_mul_f64 v[38:39], v[6:7], v[14:15]
	s_delay_alu instid0(VALU_DEP_1) | instskip(SKIP_1) | instid1(VALU_DEP_2)
	v_fma_f64 v[38:39], v[4:5], v[12:13], -v[38:39]
	v_mul_f64 v[4:5], v[4:5], v[14:15]
	v_add_f64 v[30:31], v[30:31], v[38:39]
	s_delay_alu instid0(VALU_DEP_2) | instskip(NEXT) | instid1(VALU_DEP_1)
	v_fma_f64 v[4:5], v[6:7], v[12:13], v[4:5]
	v_add_f64 v[32:33], v[32:33], v[4:5]
	ds_load_b128 v[4:7], v25 offset:2112
	s_waitcnt lgkmcnt(0)
	v_mul_f64 v[38:39], v[6:7], v[10:11]
	v_mul_f64 v[10:11], v[4:5], v[10:11]
	s_delay_alu instid0(VALU_DEP_2) | instskip(NEXT) | instid1(VALU_DEP_2)
	v_fma_f64 v[38:39], v[4:5], v[8:9], -v[38:39]
	v_fma_f64 v[8:9], v[6:7], v[8:9], v[10:11]
	s_delay_alu instid0(VALU_DEP_2) | instskip(NEXT) | instid1(VALU_DEP_2)
	v_add_f64 v[34:35], v[34:35], v[38:39]
	v_add_f64 v[36:37], v[36:37], v[8:9]
	v_mul_f64 v[8:9], v[6:7], v[14:15]
	s_delay_alu instid0(VALU_DEP_1) | instskip(SKIP_1) | instid1(VALU_DEP_2)
	v_fma_f64 v[8:9], v[4:5], v[12:13], -v[8:9]
	v_mul_f64 v[4:5], v[4:5], v[14:15]
	v_add_f64 v[16:17], v[16:17], v[8:9]
	s_delay_alu instid0(VALU_DEP_2) | instskip(NEXT) | instid1(VALU_DEP_1)
	v_fma_f64 v[4:5], v[6:7], v[12:13], v[4:5]
	v_add_f64 v[18:19], v[18:19], v[4:5]
	ds_load_b128 v[4:7], v25 offset:80
	ds_load_b128 v[8:11], v22 offset:2560
	s_waitcnt lgkmcnt(0)
	v_mul_f64 v[12:13], v[6:7], v[10:11]
	v_mul_f64 v[14:15], v[4:5], v[10:11]
	s_delay_alu instid0(VALU_DEP_2) | instskip(NEXT) | instid1(VALU_DEP_2)
	v_fma_f64 v[12:13], v[4:5], v[8:9], -v[12:13]
	v_fma_f64 v[14:15], v[6:7], v[8:9], v[14:15]
	s_delay_alu instid0(VALU_DEP_2) | instskip(NEXT) | instid1(VALU_DEP_2)
	v_add_f64 v[26:27], v[26:27], v[12:13]
	v_add_f64 v[28:29], v[28:29], v[14:15]
	ds_load_b128 v[12:15], v22 offset:2816
	s_waitcnt lgkmcnt(0)
	v_mul_f64 v[38:39], v[6:7], v[14:15]
	s_delay_alu instid0(VALU_DEP_1) | instskip(SKIP_1) | instid1(VALU_DEP_2)
	v_fma_f64 v[38:39], v[4:5], v[12:13], -v[38:39]
	v_mul_f64 v[4:5], v[4:5], v[14:15]
	v_add_f64 v[30:31], v[30:31], v[38:39]
	s_delay_alu instid0(VALU_DEP_2) | instskip(NEXT) | instid1(VALU_DEP_1)
	v_fma_f64 v[4:5], v[6:7], v[12:13], v[4:5]
	v_add_f64 v[32:33], v[32:33], v[4:5]
	ds_load_b128 v[4:7], v25 offset:2128
	s_waitcnt lgkmcnt(0)
	v_mul_f64 v[38:39], v[6:7], v[10:11]
	v_mul_f64 v[10:11], v[4:5], v[10:11]
	s_delay_alu instid0(VALU_DEP_2) | instskip(NEXT) | instid1(VALU_DEP_2)
	v_fma_f64 v[38:39], v[4:5], v[8:9], -v[38:39]
	v_fma_f64 v[8:9], v[6:7], v[8:9], v[10:11]
	s_delay_alu instid0(VALU_DEP_2) | instskip(NEXT) | instid1(VALU_DEP_2)
	v_add_f64 v[34:35], v[34:35], v[38:39]
	v_add_f64 v[36:37], v[36:37], v[8:9]
	v_mul_f64 v[8:9], v[6:7], v[14:15]
	s_delay_alu instid0(VALU_DEP_1) | instskip(SKIP_1) | instid1(VALU_DEP_2)
	v_fma_f64 v[8:9], v[4:5], v[12:13], -v[8:9]
	v_mul_f64 v[4:5], v[4:5], v[14:15]
	v_add_f64 v[16:17], v[16:17], v[8:9]
	s_delay_alu instid0(VALU_DEP_2) | instskip(NEXT) | instid1(VALU_DEP_1)
	v_fma_f64 v[4:5], v[6:7], v[12:13], v[4:5]
	v_add_f64 v[18:19], v[18:19], v[4:5]
	ds_load_b128 v[4:7], v25 offset:96
	;; [unrolled: 39-line block ×3, first 2 shown]
	ds_load_b128 v[12:15], v22 offset:3584
	s_waitcnt lgkmcnt(0)
	v_mul_f64 v[8:9], v[6:7], v[14:15]
	v_mul_f64 v[10:11], v[4:5], v[14:15]
	s_delay_alu instid0(VALU_DEP_2) | instskip(NEXT) | instid1(VALU_DEP_2)
	v_fma_f64 v[8:9], v[4:5], v[12:13], -v[8:9]
	v_fma_f64 v[10:11], v[6:7], v[12:13], v[10:11]
	s_delay_alu instid0(VALU_DEP_2) | instskip(NEXT) | instid1(VALU_DEP_2)
	v_add_f64 v[16:17], v[26:27], v[8:9]
	v_add_f64 v[18:19], v[28:29], v[10:11]
	ds_load_b128 v[26:29], v22 offset:3840
	s_waitcnt lgkmcnt(0)
	v_mul_f64 v[8:9], v[6:7], v[28:29]
	s_delay_alu instid0(VALU_DEP_1) | instskip(SKIP_1) | instid1(VALU_DEP_1)
	v_fma_f64 v[8:9], v[4:5], v[26:27], -v[8:9]
	v_mul_f64 v[4:5], v[4:5], v[28:29]
	v_fma_f64 v[6:7], v[6:7], v[26:27], v[4:5]
	s_delay_alu instid0(VALU_DEP_3) | instskip(NEXT) | instid1(VALU_DEP_2)
	v_add_f64 v[4:5], v[30:31], v[8:9]
	v_add_f64 v[10:11], v[32:33], v[6:7]
	ds_load_b128 v[6:9], v25 offset:2160
	s_waitcnt lgkmcnt(0)
	s_barrier
	buffer_gl0_inv
	v_mul_f64 v[30:31], v[8:9], v[14:15]
	v_mul_f64 v[14:15], v[6:7], v[14:15]
	s_delay_alu instid0(VALU_DEP_2) | instskip(NEXT) | instid1(VALU_DEP_2)
	v_fma_f64 v[30:31], v[6:7], v[12:13], -v[30:31]
	v_fma_f64 v[14:15], v[8:9], v[12:13], v[14:15]
	s_delay_alu instid0(VALU_DEP_2) | instskip(SKIP_1) | instid1(VALU_DEP_3)
	v_add_f64 v[12:13], v[34:35], v[30:31]
	v_mul_f64 v[30:31], v[8:9], v[28:29]
	v_add_f64 v[14:15], v[36:37], v[14:15]
	s_delay_alu instid0(VALU_DEP_2) | instskip(SKIP_1) | instid1(VALU_DEP_1)
	v_fma_f64 v[30:31], v[6:7], v[26:27], -v[30:31]
	v_mul_f64 v[6:7], v[6:7], v[28:29]
	v_fma_f64 v[8:9], v[8:9], v[26:27], v[6:7]
	s_delay_alu instid0(VALU_DEP_3) | instskip(NEXT) | instid1(VALU_DEP_2)
	v_add_f64 v[6:7], v[38:39], v[30:31]
	v_add_f64 v[8:9], v[40:41], v[8:9]
	s_cbranch_scc0 .LBB266_2
.LBB266_3:
	s_clause 0x1
	s_load_b32 s3, s[0:1], 0x60
	s_load_b64 s[0:1], s[0:1], 0x68
	v_add_nc_u32_e32 v21, s13, v21
	v_add_nc_u32_e32 v0, s12, v20
	s_delay_alu instid0(VALU_DEP_2)
	v_cmp_gt_i32_e32 vcc_lo, s2, v21
	s_waitcnt lgkmcnt(0)
	v_mad_i64_i32 v[1:2], null, v21, s3, 0
	s_mul_i32 s1, s15, s1
	s_mul_hi_u32 s4, s15, s0
	s_mul_i32 s0, s15, s0
	s_add_i32 s1, s4, s1
	s_delay_alu instid0(SALU_CYCLE_1) | instskip(NEXT) | instid1(VALU_DEP_1)
	s_lshl_b64 s[4:5], s[0:1], 4
	v_lshlrev_b64 v[1:2], 4, v[1:2]
	s_add_u32 s4, s10, s4
	v_cmp_le_i32_e64 s0, v0, v21
	s_addc_u32 s5, s11, s5
	s_delay_alu instid0(VALU_DEP_2) | instskip(NEXT) | instid1(VALU_DEP_1)
	v_add_co_u32 v20, s1, s4, v1
	v_add_co_ci_u32_e64 v22, s1, s5, v2, s1
	s_delay_alu instid0(VALU_DEP_3) | instskip(NEXT) | instid1(SALU_CYCLE_1)
	s_and_b32 s0, vcc_lo, s0
	s_and_saveexec_b32 s1, s0
	s_cbranch_execz .LBB266_5
; %bb.4:
	v_ashrrev_i32_e32 v1, 31, v0
	v_mul_f64 v[27:28], s[18:19], v[18:19]
	v_mul_f64 v[18:19], s[16:17], v[18:19]
	s_delay_alu instid0(VALU_DEP_3) | instskip(NEXT) | instid1(VALU_DEP_1)
	v_lshlrev_b64 v[1:2], 4, v[0:1]
	v_add_co_u32 v1, s0, v20, v1
	s_delay_alu instid0(VALU_DEP_1)
	v_add_co_ci_u32_e64 v2, s0, v22, v2, s0
	global_load_b128 v[23:26], v[1:2], off
	v_fma_f64 v[27:28], s[16:17], v[16:17], -v[27:28]
	v_fma_f64 v[18:19], s[18:19], v[16:17], v[18:19]
	s_waitcnt vmcnt(0)
	v_mul_f64 v[29:30], s[8:9], v[25:26]
	v_mul_f64 v[25:26], s[6:7], v[25:26]
	s_delay_alu instid0(VALU_DEP_2) | instskip(NEXT) | instid1(VALU_DEP_2)
	v_fma_f64 v[16:17], s[6:7], v[23:24], -v[29:30]
	v_fma_f64 v[23:24], s[8:9], v[23:24], v[25:26]
	s_delay_alu instid0(VALU_DEP_2) | instskip(NEXT) | instid1(VALU_DEP_2)
	v_add_f64 v[16:17], v[27:28], v[16:17]
	v_add_f64 v[18:19], v[18:19], v[23:24]
	global_store_b128 v[1:2], v[16:19], off
.LBB266_5:
	s_or_b32 exec_lo, exec_lo, s1
	v_add_nc_u32_e32 v2, 16, v0
	s_delay_alu instid0(VALU_DEP_1) | instskip(NEXT) | instid1(VALU_DEP_1)
	v_cmp_le_i32_e64 s0, v2, v21
	s_and_b32 s1, vcc_lo, s0
	s_delay_alu instid0(SALU_CYCLE_1)
	s_and_saveexec_b32 s0, s1
	s_cbranch_execz .LBB266_7
; %bb.6:
	v_ashrrev_i32_e32 v3, 31, v2
	v_mul_f64 v[25:26], s[18:19], v[10:11]
	v_mul_f64 v[10:11], s[16:17], v[10:11]
	s_delay_alu instid0(VALU_DEP_3) | instskip(NEXT) | instid1(VALU_DEP_1)
	v_lshlrev_b64 v[16:17], 4, v[2:3]
	v_add_co_u32 v23, vcc_lo, v20, v16
	s_delay_alu instid0(VALU_DEP_2)
	v_add_co_ci_u32_e32 v24, vcc_lo, v22, v17, vcc_lo
	global_load_b128 v[16:19], v[23:24], off
	v_fma_f64 v[25:26], s[16:17], v[4:5], -v[25:26]
	v_fma_f64 v[3:4], s[18:19], v[4:5], v[10:11]
	s_waitcnt vmcnt(0)
	v_mul_f64 v[27:28], s[8:9], v[18:19]
	v_mul_f64 v[18:19], s[6:7], v[18:19]
	s_delay_alu instid0(VALU_DEP_2) | instskip(NEXT) | instid1(VALU_DEP_2)
	v_fma_f64 v[10:11], s[6:7], v[16:17], -v[27:28]
	v_fma_f64 v[18:19], s[8:9], v[16:17], v[18:19]
	s_delay_alu instid0(VALU_DEP_2) | instskip(NEXT) | instid1(VALU_DEP_2)
	v_add_f64 v[16:17], v[25:26], v[10:11]
	v_add_f64 v[18:19], v[3:4], v[18:19]
	global_store_b128 v[23:24], v[16:19], off
.LBB266_7:
	s_or_b32 exec_lo, exec_lo, s0
	v_add_nc_u32_e32 v3, 16, v21
	s_delay_alu instid0(VALU_DEP_1) | instskip(SKIP_2) | instid1(VALU_DEP_1)
	v_mad_i64_i32 v[4:5], null, v3, s3, 0
	v_cmp_gt_i32_e32 vcc_lo, s2, v3
	v_cmp_le_i32_e64 s0, v0, v3
	s_and_b32 s0, vcc_lo, s0
	s_delay_alu instid0(VALU_DEP_3) | instskip(NEXT) | instid1(VALU_DEP_1)
	v_lshlrev_b64 v[4:5], 4, v[4:5]
	v_add_co_u32 v4, s1, s4, v4
	s_delay_alu instid0(VALU_DEP_1)
	v_add_co_ci_u32_e64 v5, s1, s5, v5, s1
	s_and_saveexec_b32 s1, s0
	s_cbranch_execz .LBB266_9
; %bb.8:
	v_ashrrev_i32_e32 v1, 31, v0
	v_mul_f64 v[10:11], s[18:19], v[14:15]
	v_mul_f64 v[14:15], s[16:17], v[14:15]
	s_delay_alu instid0(VALU_DEP_3) | instskip(NEXT) | instid1(VALU_DEP_1)
	v_lshlrev_b64 v[0:1], 4, v[0:1]
	v_add_co_u32 v0, s0, v4, v0
	s_delay_alu instid0(VALU_DEP_1)
	v_add_co_ci_u32_e64 v1, s0, v5, v1, s0
	global_load_b128 v[16:19], v[0:1], off
	v_fma_f64 v[10:11], s[16:17], v[12:13], -v[10:11]
	v_fma_f64 v[12:13], s[18:19], v[12:13], v[14:15]
	s_waitcnt vmcnt(0)
	v_mul_f64 v[20:21], s[8:9], v[18:19]
	v_mul_f64 v[18:19], s[6:7], v[18:19]
	s_delay_alu instid0(VALU_DEP_2) | instskip(NEXT) | instid1(VALU_DEP_2)
	v_fma_f64 v[14:15], s[6:7], v[16:17], -v[20:21]
	v_fma_f64 v[16:17], s[8:9], v[16:17], v[18:19]
	s_delay_alu instid0(VALU_DEP_2) | instskip(NEXT) | instid1(VALU_DEP_2)
	v_add_f64 v[10:11], v[10:11], v[14:15]
	v_add_f64 v[12:13], v[12:13], v[16:17]
	global_store_b128 v[0:1], v[10:13], off
.LBB266_9:
	s_or_b32 exec_lo, exec_lo, s1
	v_cmp_le_i32_e64 s0, v2, v3
	s_delay_alu instid0(VALU_DEP_1) | instskip(NEXT) | instid1(SALU_CYCLE_1)
	s_and_b32 s0, vcc_lo, s0
	s_and_saveexec_b32 s1, s0
	s_cbranch_execz .LBB266_11
; %bb.10:
	v_ashrrev_i32_e32 v3, 31, v2
	v_mul_f64 v[10:11], s[18:19], v[8:9]
	v_mul_f64 v[8:9], s[16:17], v[8:9]
	s_delay_alu instid0(VALU_DEP_3) | instskip(NEXT) | instid1(VALU_DEP_1)
	v_lshlrev_b64 v[0:1], 4, v[2:3]
	v_add_co_u32 v4, vcc_lo, v4, v0
	s_delay_alu instid0(VALU_DEP_2)
	v_add_co_ci_u32_e32 v5, vcc_lo, v5, v1, vcc_lo
	global_load_b128 v[0:3], v[4:5], off
	v_fma_f64 v[10:11], s[16:17], v[6:7], -v[10:11]
	v_fma_f64 v[6:7], s[18:19], v[6:7], v[8:9]
	s_waitcnt vmcnt(0)
	v_mul_f64 v[12:13], s[8:9], v[2:3]
	v_mul_f64 v[2:3], s[6:7], v[2:3]
	s_delay_alu instid0(VALU_DEP_2) | instskip(NEXT) | instid1(VALU_DEP_2)
	v_fma_f64 v[8:9], s[6:7], v[0:1], -v[12:13]
	v_fma_f64 v[2:3], s[8:9], v[0:1], v[2:3]
	s_delay_alu instid0(VALU_DEP_2) | instskip(NEXT) | instid1(VALU_DEP_2)
	v_add_f64 v[0:1], v[10:11], v[8:9]
	v_add_f64 v[2:3], v[6:7], v[2:3]
	global_store_b128 v[4:5], v[0:3], off
.LBB266_11:
	s_nop 0
	s_sendmsg sendmsg(MSG_DEALLOC_VGPRS)
	s_endpgm
	.section	.rodata,"a",@progbits
	.p2align	6, 0x0
	.amdhsa_kernel _ZL37rocblas_syrkx_herkx_restricted_kernelIi19rocblas_complex_numIdELi16ELi32ELi8ELb0ELb0ELc84ELc85EKS1_S1_EviT_T0_PT8_S3_lS6_S3_lS4_PT9_S3_li
		.amdhsa_group_segment_fixed_size 8192
		.amdhsa_private_segment_fixed_size 0
		.amdhsa_kernarg_size 116
		.amdhsa_user_sgpr_count 13
		.amdhsa_user_sgpr_dispatch_ptr 0
		.amdhsa_user_sgpr_queue_ptr 0
		.amdhsa_user_sgpr_kernarg_segment_ptr 1
		.amdhsa_user_sgpr_dispatch_id 0
		.amdhsa_user_sgpr_private_segment_size 0
		.amdhsa_wavefront_size32 1
		.amdhsa_uses_dynamic_stack 0
		.amdhsa_enable_private_segment 0
		.amdhsa_system_sgpr_workgroup_id_x 1
		.amdhsa_system_sgpr_workgroup_id_y 1
		.amdhsa_system_sgpr_workgroup_id_z 1
		.amdhsa_system_sgpr_workgroup_info 0
		.amdhsa_system_vgpr_workitem_id 1
		.amdhsa_next_free_vgpr 54
		.amdhsa_next_free_sgpr 29
		.amdhsa_reserve_vcc 1
		.amdhsa_float_round_mode_32 0
		.amdhsa_float_round_mode_16_64 0
		.amdhsa_float_denorm_mode_32 3
		.amdhsa_float_denorm_mode_16_64 3
		.amdhsa_dx10_clamp 1
		.amdhsa_ieee_mode 1
		.amdhsa_fp16_overflow 0
		.amdhsa_workgroup_processor_mode 1
		.amdhsa_memory_ordered 1
		.amdhsa_forward_progress 0
		.amdhsa_shared_vgpr_count 0
		.amdhsa_exception_fp_ieee_invalid_op 0
		.amdhsa_exception_fp_denorm_src 0
		.amdhsa_exception_fp_ieee_div_zero 0
		.amdhsa_exception_fp_ieee_overflow 0
		.amdhsa_exception_fp_ieee_underflow 0
		.amdhsa_exception_fp_ieee_inexact 0
		.amdhsa_exception_int_div_zero 0
	.end_amdhsa_kernel
	.section	.text._ZL37rocblas_syrkx_herkx_restricted_kernelIi19rocblas_complex_numIdELi16ELi32ELi8ELb0ELb0ELc84ELc85EKS1_S1_EviT_T0_PT8_S3_lS6_S3_lS4_PT9_S3_li,"axG",@progbits,_ZL37rocblas_syrkx_herkx_restricted_kernelIi19rocblas_complex_numIdELi16ELi32ELi8ELb0ELb0ELc84ELc85EKS1_S1_EviT_T0_PT8_S3_lS6_S3_lS4_PT9_S3_li,comdat
.Lfunc_end266:
	.size	_ZL37rocblas_syrkx_herkx_restricted_kernelIi19rocblas_complex_numIdELi16ELi32ELi8ELb0ELb0ELc84ELc85EKS1_S1_EviT_T0_PT8_S3_lS6_S3_lS4_PT9_S3_li, .Lfunc_end266-_ZL37rocblas_syrkx_herkx_restricted_kernelIi19rocblas_complex_numIdELi16ELi32ELi8ELb0ELb0ELc84ELc85EKS1_S1_EviT_T0_PT8_S3_lS6_S3_lS4_PT9_S3_li
                                        ; -- End function
	.section	.AMDGPU.csdata,"",@progbits
; Kernel info:
; codeLenInByte = 3588
; NumSgprs: 31
; NumVgprs: 54
; ScratchSize: 0
; MemoryBound: 0
; FloatMode: 240
; IeeeMode: 1
; LDSByteSize: 8192 bytes/workgroup (compile time only)
; SGPRBlocks: 3
; VGPRBlocks: 6
; NumSGPRsForWavesPerEU: 31
; NumVGPRsForWavesPerEU: 54
; Occupancy: 16
; WaveLimiterHint : 0
; COMPUTE_PGM_RSRC2:SCRATCH_EN: 0
; COMPUTE_PGM_RSRC2:USER_SGPR: 13
; COMPUTE_PGM_RSRC2:TRAP_HANDLER: 0
; COMPUTE_PGM_RSRC2:TGID_X_EN: 1
; COMPUTE_PGM_RSRC2:TGID_Y_EN: 1
; COMPUTE_PGM_RSRC2:TGID_Z_EN: 1
; COMPUTE_PGM_RSRC2:TIDIG_COMP_CNT: 1
	.section	.text._ZL37rocblas_syrkx_herkx_restricted_kernelIi19rocblas_complex_numIdELi16ELi32ELi8ELb0ELb0ELc67ELc85EKS1_S1_EviT_T0_PT8_S3_lS6_S3_lS4_PT9_S3_li,"axG",@progbits,_ZL37rocblas_syrkx_herkx_restricted_kernelIi19rocblas_complex_numIdELi16ELi32ELi8ELb0ELb0ELc67ELc85EKS1_S1_EviT_T0_PT8_S3_lS6_S3_lS4_PT9_S3_li,comdat
	.globl	_ZL37rocblas_syrkx_herkx_restricted_kernelIi19rocblas_complex_numIdELi16ELi32ELi8ELb0ELb0ELc67ELc85EKS1_S1_EviT_T0_PT8_S3_lS6_S3_lS4_PT9_S3_li ; -- Begin function _ZL37rocblas_syrkx_herkx_restricted_kernelIi19rocblas_complex_numIdELi16ELi32ELi8ELb0ELb0ELc67ELc85EKS1_S1_EviT_T0_PT8_S3_lS6_S3_lS4_PT9_S3_li
	.p2align	8
	.type	_ZL37rocblas_syrkx_herkx_restricted_kernelIi19rocblas_complex_numIdELi16ELi32ELi8ELb0ELb0ELc67ELc85EKS1_S1_EviT_T0_PT8_S3_lS6_S3_lS4_PT9_S3_li,@function
_ZL37rocblas_syrkx_herkx_restricted_kernelIi19rocblas_complex_numIdELi16ELi32ELi8ELb0ELb0ELc67ELc85EKS1_S1_EviT_T0_PT8_S3_lS6_S3_lS4_PT9_S3_li: ; @_ZL37rocblas_syrkx_herkx_restricted_kernelIi19rocblas_complex_numIdELi16ELi32ELi8ELb0ELb0ELc67ELc85EKS1_S1_EviT_T0_PT8_S3_lS6_S3_lS4_PT9_S3_li
; %bb.0:
	s_clause 0x3
	s_load_b64 s[2:3], s[0:1], 0x0
	s_load_b128 s[16:19], s[0:1], 0x8
	s_load_b64 s[24:25], s[0:1], 0x18
	s_load_b256 s[4:11], s[0:1], 0x40
	v_mov_b32_e32 v16, 0
	v_dual_mov_b32 v17, 0 :: v_dual_and_b32 v20, 0x3ff, v0
	v_bfe_u32 v21, v0, 10, 10
	s_delay_alu instid0(VALU_DEP_3) | instskip(NEXT) | instid1(VALU_DEP_3)
	v_mov_b32_e32 v4, v16
	v_dual_mov_b32 v10, v16 :: v_dual_mov_b32 v11, v17
	v_dual_mov_b32 v19, v17 :: v_dual_mov_b32 v18, v16
	;; [unrolled: 1-line block ×6, first 2 shown]
	v_mov_b32_e32 v9, v17
	s_lshl_b32 s12, s13, 5
	s_lshl_b32 s13, s14, 5
	s_waitcnt lgkmcnt(0)
	s_cmp_lt_i32 s3, 1
	s_mov_b32 s14, 0
	s_cbranch_scc1 .LBB267_3
; %bb.1:
	s_clause 0x2
	s_load_b128 s[20:23], s[0:1], 0x28
	s_load_b32 s26, s[0:1], 0x20
	s_load_b32 s27, s[0:1], 0x38
	v_lshl_add_u32 v2, v21, 4, v20
	v_dual_mov_b32 v1, 0 :: v_dual_and_b32 v0, 7, v20
	s_mul_i32 s5, s5, s15
	v_lshlrev_b32_e32 v22, 4, v20
	s_delay_alu instid0(VALU_DEP_3) | instskip(SKIP_3) | instid1(VALU_DEP_4)
	v_and_b32_e32 v4, 31, v2
	v_lshrrev_b32_e32 v5, 3, v2
	v_dual_mov_b32 v3, v1 :: v_dual_lshlrev_b32 v6, 4, v0
	v_lshrrev_b32_e32 v2, 5, v2
	v_add_nc_u32_e32 v9, s12, v4
	v_lshlrev_b32_e32 v7, 4, v4
	v_add_nc_u32_e32 v8, s13, v5
	v_lshl_or_b32 v6, v5, 7, v6
	v_lshl_add_u32 v25, v21, 7, 0x1000
	s_delay_alu instid0(VALU_DEP_4)
	v_lshl_or_b32 v23, v2, 9, v7
	s_waitcnt lgkmcnt(0)
	s_mul_i32 s21, s21, s15
	v_mad_i64_i32 v[4:5], null, s26, v9, v[2:3]
	s_mul_hi_u32 s28, s20, s15
	v_mad_i64_i32 v[2:3], null, s27, v8, v[0:1]
	v_mov_b32_e32 v8, 0
	s_mul_i32 s20, s20, s15
	s_add_i32 s21, s28, s21
	s_delay_alu instid0(VALU_DEP_3)
	v_lshlrev_b64 v[0:1], 4, v[4:5]
	s_lshl_b64 s[20:21], s[20:21], 4
	v_mov_b32_e32 v9, 0
	s_add_u32 s20, s24, s20
	s_mul_hi_u32 s24, s4, s15
	s_addc_u32 s21, s25, s21
	s_add_i32 s5, s24, s5
	s_mul_i32 s4, s4, s15
	v_lshlrev_b64 v[2:3], 4, v[2:3]
	s_lshl_b64 s[4:5], s[4:5], 4
	v_add_co_u32 v0, vcc_lo, s20, v0
	s_add_u32 s4, s22, s4
	v_add_co_ci_u32_e32 v1, vcc_lo, s21, v1, vcc_lo
	s_addc_u32 s5, s23, s5
	v_add_co_u32 v2, vcc_lo, s4, v2
	v_add_co_ci_u32_e32 v3, vcc_lo, s5, v3, vcc_lo
	v_add_co_u32 v0, vcc_lo, v0, 8
	v_dual_mov_b32 v15, v9 :: v_dual_add_nc_u32 v24, 0x1000, v6
	v_add_co_ci_u32_e32 v1, vcc_lo, 0, v1, vcc_lo
	v_add_co_u32 v2, vcc_lo, v2, 8
	v_dual_mov_b32 v14, v8 :: v_dual_mov_b32 v11, v9
	v_dual_mov_b32 v6, v8 :: v_dual_mov_b32 v13, v9
	;; [unrolled: 1-line block ×4, first 2 shown]
	v_add_co_ci_u32_e32 v3, vcc_lo, 0, v3, vcc_lo
	v_dual_mov_b32 v7, v9 :: v_dual_mov_b32 v12, v8
	v_dual_mov_b32 v5, v9 :: v_dual_mov_b32 v18, v8
	v_mov_b32_e32 v16, v8
.LBB267_2:                              ; =>This Inner Loop Header: Depth=1
	global_load_b128 v[26:29], v[0:1], off offset:-8
	v_add_co_u32 v0, vcc_lo, 0x80, v0
	v_add_co_ci_u32_e32 v1, vcc_lo, 0, v1, vcc_lo
	s_add_i32 s14, s14, 8
	s_delay_alu instid0(SALU_CYCLE_1)
	s_cmp_ge_i32 s14, s3
	s_waitcnt vmcnt(0)
	ds_store_b128 v23, v[26:29]
	global_load_b128 v[26:29], v[2:3], off offset:-8
	v_add_co_u32 v2, vcc_lo, 0x80, v2
	v_add_co_ci_u32_e32 v3, vcc_lo, 0, v3, vcc_lo
	s_waitcnt vmcnt(0)
	ds_store_b128 v24, v[26:29]
	s_waitcnt lgkmcnt(0)
	s_barrier
	buffer_gl0_inv
	ds_load_b128 v[26:29], v25
	ds_load_b128 v[30:33], v25 offset:16
	ds_load_b128 v[34:37], v25 offset:32
	;; [unrolled: 1-line block ×3, first 2 shown]
	ds_load_b128 v[42:45], v22
	s_waitcnt lgkmcnt(0)
	v_mul_f64 v[46:47], v[28:29], v[44:45]
	v_mul_f64 v[48:49], v[26:27], v[44:45]
	s_delay_alu instid0(VALU_DEP_2) | instskip(NEXT) | instid1(VALU_DEP_2)
	v_fma_f64 v[46:47], v[26:27], v[42:43], -v[46:47]
	v_fma_f64 v[48:49], v[28:29], v[42:43], v[48:49]
	s_delay_alu instid0(VALU_DEP_2) | instskip(NEXT) | instid1(VALU_DEP_2)
	v_add_f64 v[46:47], v[16:17], v[46:47]
	v_add_f64 v[48:49], v[18:19], v[48:49]
	ds_load_b128 v[16:19], v22 offset:256
	s_waitcnt lgkmcnt(0)
	v_mul_f64 v[50:51], v[28:29], v[18:19]
	s_delay_alu instid0(VALU_DEP_1) | instskip(SKIP_1) | instid1(VALU_DEP_2)
	v_fma_f64 v[50:51], v[26:27], v[16:17], -v[50:51]
	v_mul_f64 v[26:27], v[26:27], v[18:19]
	v_add_f64 v[50:51], v[4:5], v[50:51]
	s_delay_alu instid0(VALU_DEP_2) | instskip(NEXT) | instid1(VALU_DEP_1)
	v_fma_f64 v[26:27], v[28:29], v[16:17], v[26:27]
	v_add_f64 v[52:53], v[10:11], v[26:27]
	ds_load_b128 v[26:29], v25 offset:2048
	s_waitcnt lgkmcnt(0)
	v_mul_f64 v[4:5], v[28:29], v[44:45]
	v_mul_f64 v[10:11], v[26:27], v[44:45]
	s_delay_alu instid0(VALU_DEP_2) | instskip(NEXT) | instid1(VALU_DEP_2)
	v_fma_f64 v[4:5], v[26:27], v[42:43], -v[4:5]
	v_fma_f64 v[10:11], v[28:29], v[42:43], v[10:11]
	s_delay_alu instid0(VALU_DEP_2) | instskip(SKIP_1) | instid1(VALU_DEP_3)
	v_add_f64 v[42:43], v[12:13], v[4:5]
	v_mul_f64 v[4:5], v[28:29], v[18:19]
	v_add_f64 v[44:45], v[14:15], v[10:11]
	v_mul_f64 v[10:11], v[26:27], v[18:19]
	s_delay_alu instid0(VALU_DEP_3) | instskip(NEXT) | instid1(VALU_DEP_2)
	v_fma_f64 v[4:5], v[26:27], v[16:17], -v[4:5]
	v_fma_f64 v[10:11], v[28:29], v[16:17], v[10:11]
	s_delay_alu instid0(VALU_DEP_2)
	v_add_f64 v[16:17], v[6:7], v[4:5]
	ds_load_b128 v[4:7], v22 offset:512
	v_add_f64 v[18:19], v[8:9], v[10:11]
	s_waitcnt lgkmcnt(0)
	v_mul_f64 v[8:9], v[32:33], v[6:7]
	v_mul_f64 v[10:11], v[30:31], v[6:7]
	s_delay_alu instid0(VALU_DEP_2) | instskip(NEXT) | instid1(VALU_DEP_2)
	v_fma_f64 v[8:9], v[30:31], v[4:5], -v[8:9]
	v_fma_f64 v[10:11], v[32:33], v[4:5], v[10:11]
	s_delay_alu instid0(VALU_DEP_2) | instskip(NEXT) | instid1(VALU_DEP_2)
	v_add_f64 v[26:27], v[46:47], v[8:9]
	v_add_f64 v[28:29], v[48:49], v[10:11]
	ds_load_b128 v[8:11], v22 offset:768
	s_waitcnt lgkmcnt(0)
	v_mul_f64 v[12:13], v[32:33], v[10:11]
	v_mul_f64 v[14:15], v[30:31], v[10:11]
	s_delay_alu instid0(VALU_DEP_2) | instskip(NEXT) | instid1(VALU_DEP_2)
	v_fma_f64 v[12:13], v[30:31], v[8:9], -v[12:13]
	v_fma_f64 v[14:15], v[32:33], v[8:9], v[14:15]
	s_delay_alu instid0(VALU_DEP_2) | instskip(NEXT) | instid1(VALU_DEP_2)
	v_add_f64 v[30:31], v[50:51], v[12:13]
	v_add_f64 v[32:33], v[52:53], v[14:15]
	ds_load_b128 v[12:15], v25 offset:2064
	s_waitcnt lgkmcnt(0)
	v_mul_f64 v[46:47], v[14:15], v[6:7]
	v_mul_f64 v[6:7], v[12:13], v[6:7]
	s_delay_alu instid0(VALU_DEP_2) | instskip(NEXT) | instid1(VALU_DEP_2)
	v_fma_f64 v[46:47], v[12:13], v[4:5], -v[46:47]
	v_fma_f64 v[4:5], v[14:15], v[4:5], v[6:7]
	v_mul_f64 v[6:7], v[12:13], v[10:11]
	s_delay_alu instid0(VALU_DEP_3) | instskip(NEXT) | instid1(VALU_DEP_3)
	v_add_f64 v[42:43], v[42:43], v[46:47]
	v_add_f64 v[44:45], v[44:45], v[4:5]
	v_mul_f64 v[4:5], v[14:15], v[10:11]
	s_delay_alu instid0(VALU_DEP_4) | instskip(NEXT) | instid1(VALU_DEP_2)
	v_fma_f64 v[6:7], v[14:15], v[8:9], v[6:7]
	v_fma_f64 v[4:5], v[12:13], v[8:9], -v[4:5]
	s_delay_alu instid0(VALU_DEP_2) | instskip(NEXT) | instid1(VALU_DEP_2)
	v_add_f64 v[18:19], v[18:19], v[6:7]
	v_add_f64 v[16:17], v[16:17], v[4:5]
	ds_load_b128 v[4:7], v22 offset:1024
	s_waitcnt lgkmcnt(0)
	v_mul_f64 v[8:9], v[36:37], v[6:7]
	v_mul_f64 v[10:11], v[34:35], v[6:7]
	s_delay_alu instid0(VALU_DEP_2) | instskip(NEXT) | instid1(VALU_DEP_2)
	v_fma_f64 v[8:9], v[34:35], v[4:5], -v[8:9]
	v_fma_f64 v[10:11], v[36:37], v[4:5], v[10:11]
	s_delay_alu instid0(VALU_DEP_2) | instskip(NEXT) | instid1(VALU_DEP_2)
	v_add_f64 v[26:27], v[26:27], v[8:9]
	v_add_f64 v[28:29], v[28:29], v[10:11]
	ds_load_b128 v[8:11], v22 offset:1280
	s_waitcnt lgkmcnt(0)
	v_mul_f64 v[12:13], v[36:37], v[10:11]
	v_mul_f64 v[14:15], v[34:35], v[10:11]
	s_delay_alu instid0(VALU_DEP_2) | instskip(NEXT) | instid1(VALU_DEP_2)
	v_fma_f64 v[12:13], v[34:35], v[8:9], -v[12:13]
	v_fma_f64 v[14:15], v[36:37], v[8:9], v[14:15]
	s_delay_alu instid0(VALU_DEP_2) | instskip(NEXT) | instid1(VALU_DEP_2)
	v_add_f64 v[30:31], v[30:31], v[12:13]
	v_add_f64 v[32:33], v[32:33], v[14:15]
	ds_load_b128 v[12:15], v25 offset:2080
	s_waitcnt lgkmcnt(0)
	v_mul_f64 v[34:35], v[14:15], v[6:7]
	v_mul_f64 v[6:7], v[12:13], v[6:7]
	s_delay_alu instid0(VALU_DEP_2) | instskip(NEXT) | instid1(VALU_DEP_2)
	v_fma_f64 v[34:35], v[12:13], v[4:5], -v[34:35]
	v_fma_f64 v[4:5], v[14:15], v[4:5], v[6:7]
	v_mul_f64 v[6:7], v[12:13], v[10:11]
	s_delay_alu instid0(VALU_DEP_3) | instskip(NEXT) | instid1(VALU_DEP_3)
	v_add_f64 v[34:35], v[42:43], v[34:35]
	v_add_f64 v[36:37], v[44:45], v[4:5]
	v_mul_f64 v[4:5], v[14:15], v[10:11]
	s_delay_alu instid0(VALU_DEP_4) | instskip(NEXT) | instid1(VALU_DEP_2)
	v_fma_f64 v[6:7], v[14:15], v[8:9], v[6:7]
	v_fma_f64 v[4:5], v[12:13], v[8:9], -v[4:5]
	s_delay_alu instid0(VALU_DEP_2) | instskip(NEXT) | instid1(VALU_DEP_2)
	v_add_f64 v[18:19], v[18:19], v[6:7]
	v_add_f64 v[16:17], v[16:17], v[4:5]
	ds_load_b128 v[4:7], v22 offset:1536
	;; [unrolled: 38-line block ×3, first 2 shown]
	ds_load_b128 v[8:11], v22 offset:2048
	s_waitcnt lgkmcnt(0)
	v_mul_f64 v[12:13], v[6:7], v[10:11]
	v_mul_f64 v[14:15], v[4:5], v[10:11]
	s_delay_alu instid0(VALU_DEP_2) | instskip(NEXT) | instid1(VALU_DEP_2)
	v_fma_f64 v[12:13], v[4:5], v[8:9], -v[12:13]
	v_fma_f64 v[14:15], v[6:7], v[8:9], v[14:15]
	s_delay_alu instid0(VALU_DEP_2) | instskip(NEXT) | instid1(VALU_DEP_2)
	v_add_f64 v[26:27], v[26:27], v[12:13]
	v_add_f64 v[28:29], v[28:29], v[14:15]
	ds_load_b128 v[12:15], v22 offset:2304
	s_waitcnt lgkmcnt(0)
	v_mul_f64 v[38:39], v[6:7], v[14:15]
	s_delay_alu instid0(VALU_DEP_1) | instskip(SKIP_1) | instid1(VALU_DEP_2)
	v_fma_f64 v[38:39], v[4:5], v[12:13], -v[38:39]
	v_mul_f64 v[4:5], v[4:5], v[14:15]
	v_add_f64 v[30:31], v[30:31], v[38:39]
	s_delay_alu instid0(VALU_DEP_2) | instskip(NEXT) | instid1(VALU_DEP_1)
	v_fma_f64 v[4:5], v[6:7], v[12:13], v[4:5]
	v_add_f64 v[32:33], v[32:33], v[4:5]
	ds_load_b128 v[4:7], v25 offset:2112
	s_waitcnt lgkmcnt(0)
	v_mul_f64 v[38:39], v[6:7], v[10:11]
	v_mul_f64 v[10:11], v[4:5], v[10:11]
	s_delay_alu instid0(VALU_DEP_2) | instskip(NEXT) | instid1(VALU_DEP_2)
	v_fma_f64 v[38:39], v[4:5], v[8:9], -v[38:39]
	v_fma_f64 v[8:9], v[6:7], v[8:9], v[10:11]
	s_delay_alu instid0(VALU_DEP_2) | instskip(NEXT) | instid1(VALU_DEP_2)
	v_add_f64 v[34:35], v[34:35], v[38:39]
	v_add_f64 v[36:37], v[36:37], v[8:9]
	v_mul_f64 v[8:9], v[6:7], v[14:15]
	s_delay_alu instid0(VALU_DEP_1) | instskip(SKIP_1) | instid1(VALU_DEP_2)
	v_fma_f64 v[8:9], v[4:5], v[12:13], -v[8:9]
	v_mul_f64 v[4:5], v[4:5], v[14:15]
	v_add_f64 v[16:17], v[16:17], v[8:9]
	s_delay_alu instid0(VALU_DEP_2) | instskip(NEXT) | instid1(VALU_DEP_1)
	v_fma_f64 v[4:5], v[6:7], v[12:13], v[4:5]
	v_add_f64 v[18:19], v[18:19], v[4:5]
	ds_load_b128 v[4:7], v25 offset:80
	ds_load_b128 v[8:11], v22 offset:2560
	s_waitcnt lgkmcnt(0)
	v_mul_f64 v[12:13], v[6:7], v[10:11]
	v_mul_f64 v[14:15], v[4:5], v[10:11]
	s_delay_alu instid0(VALU_DEP_2) | instskip(NEXT) | instid1(VALU_DEP_2)
	v_fma_f64 v[12:13], v[4:5], v[8:9], -v[12:13]
	v_fma_f64 v[14:15], v[6:7], v[8:9], v[14:15]
	s_delay_alu instid0(VALU_DEP_2) | instskip(NEXT) | instid1(VALU_DEP_2)
	v_add_f64 v[26:27], v[26:27], v[12:13]
	v_add_f64 v[28:29], v[28:29], v[14:15]
	ds_load_b128 v[12:15], v22 offset:2816
	s_waitcnt lgkmcnt(0)
	v_mul_f64 v[38:39], v[6:7], v[14:15]
	s_delay_alu instid0(VALU_DEP_1) | instskip(SKIP_1) | instid1(VALU_DEP_2)
	v_fma_f64 v[38:39], v[4:5], v[12:13], -v[38:39]
	v_mul_f64 v[4:5], v[4:5], v[14:15]
	v_add_f64 v[30:31], v[30:31], v[38:39]
	s_delay_alu instid0(VALU_DEP_2) | instskip(NEXT) | instid1(VALU_DEP_1)
	v_fma_f64 v[4:5], v[6:7], v[12:13], v[4:5]
	v_add_f64 v[32:33], v[32:33], v[4:5]
	ds_load_b128 v[4:7], v25 offset:2128
	s_waitcnt lgkmcnt(0)
	v_mul_f64 v[38:39], v[6:7], v[10:11]
	v_mul_f64 v[10:11], v[4:5], v[10:11]
	s_delay_alu instid0(VALU_DEP_2) | instskip(NEXT) | instid1(VALU_DEP_2)
	v_fma_f64 v[38:39], v[4:5], v[8:9], -v[38:39]
	v_fma_f64 v[8:9], v[6:7], v[8:9], v[10:11]
	s_delay_alu instid0(VALU_DEP_2) | instskip(NEXT) | instid1(VALU_DEP_2)
	v_add_f64 v[34:35], v[34:35], v[38:39]
	v_add_f64 v[36:37], v[36:37], v[8:9]
	v_mul_f64 v[8:9], v[6:7], v[14:15]
	s_delay_alu instid0(VALU_DEP_1) | instskip(SKIP_1) | instid1(VALU_DEP_2)
	v_fma_f64 v[8:9], v[4:5], v[12:13], -v[8:9]
	v_mul_f64 v[4:5], v[4:5], v[14:15]
	v_add_f64 v[16:17], v[16:17], v[8:9]
	s_delay_alu instid0(VALU_DEP_2) | instskip(NEXT) | instid1(VALU_DEP_1)
	v_fma_f64 v[4:5], v[6:7], v[12:13], v[4:5]
	v_add_f64 v[18:19], v[18:19], v[4:5]
	ds_load_b128 v[4:7], v25 offset:96
	;; [unrolled: 39-line block ×3, first 2 shown]
	ds_load_b128 v[12:15], v22 offset:3584
	s_waitcnt lgkmcnt(0)
	v_mul_f64 v[8:9], v[6:7], v[14:15]
	v_mul_f64 v[10:11], v[4:5], v[14:15]
	s_delay_alu instid0(VALU_DEP_2) | instskip(NEXT) | instid1(VALU_DEP_2)
	v_fma_f64 v[8:9], v[4:5], v[12:13], -v[8:9]
	v_fma_f64 v[10:11], v[6:7], v[12:13], v[10:11]
	s_delay_alu instid0(VALU_DEP_2) | instskip(NEXT) | instid1(VALU_DEP_2)
	v_add_f64 v[16:17], v[26:27], v[8:9]
	v_add_f64 v[18:19], v[28:29], v[10:11]
	ds_load_b128 v[26:29], v22 offset:3840
	s_waitcnt lgkmcnt(0)
	v_mul_f64 v[8:9], v[6:7], v[28:29]
	s_delay_alu instid0(VALU_DEP_1) | instskip(SKIP_1) | instid1(VALU_DEP_1)
	v_fma_f64 v[8:9], v[4:5], v[26:27], -v[8:9]
	v_mul_f64 v[4:5], v[4:5], v[28:29]
	v_fma_f64 v[6:7], v[6:7], v[26:27], v[4:5]
	s_delay_alu instid0(VALU_DEP_3) | instskip(NEXT) | instid1(VALU_DEP_2)
	v_add_f64 v[4:5], v[30:31], v[8:9]
	v_add_f64 v[10:11], v[32:33], v[6:7]
	ds_load_b128 v[6:9], v25 offset:2160
	s_waitcnt lgkmcnt(0)
	s_barrier
	buffer_gl0_inv
	v_mul_f64 v[30:31], v[8:9], v[14:15]
	v_mul_f64 v[14:15], v[6:7], v[14:15]
	s_delay_alu instid0(VALU_DEP_2) | instskip(NEXT) | instid1(VALU_DEP_2)
	v_fma_f64 v[30:31], v[6:7], v[12:13], -v[30:31]
	v_fma_f64 v[14:15], v[8:9], v[12:13], v[14:15]
	s_delay_alu instid0(VALU_DEP_2) | instskip(SKIP_1) | instid1(VALU_DEP_3)
	v_add_f64 v[12:13], v[34:35], v[30:31]
	v_mul_f64 v[30:31], v[8:9], v[28:29]
	v_add_f64 v[14:15], v[36:37], v[14:15]
	s_delay_alu instid0(VALU_DEP_2) | instskip(SKIP_1) | instid1(VALU_DEP_1)
	v_fma_f64 v[30:31], v[6:7], v[26:27], -v[30:31]
	v_mul_f64 v[6:7], v[6:7], v[28:29]
	v_fma_f64 v[8:9], v[8:9], v[26:27], v[6:7]
	s_delay_alu instid0(VALU_DEP_3) | instskip(NEXT) | instid1(VALU_DEP_2)
	v_add_f64 v[6:7], v[38:39], v[30:31]
	v_add_f64 v[8:9], v[40:41], v[8:9]
	s_cbranch_scc0 .LBB267_2
.LBB267_3:
	s_clause 0x1
	s_load_b32 s3, s[0:1], 0x60
	s_load_b64 s[0:1], s[0:1], 0x68
	v_add_nc_u32_e32 v21, s13, v21
	v_add_nc_u32_e32 v0, s12, v20
	s_delay_alu instid0(VALU_DEP_2)
	v_cmp_gt_i32_e32 vcc_lo, s2, v21
	s_waitcnt lgkmcnt(0)
	v_mad_i64_i32 v[1:2], null, v21, s3, 0
	s_mul_i32 s1, s15, s1
	s_mul_hi_u32 s4, s15, s0
	s_mul_i32 s0, s15, s0
	s_add_i32 s1, s4, s1
	s_delay_alu instid0(SALU_CYCLE_1) | instskip(NEXT) | instid1(VALU_DEP_1)
	s_lshl_b64 s[4:5], s[0:1], 4
	v_lshlrev_b64 v[1:2], 4, v[1:2]
	s_add_u32 s4, s10, s4
	v_cmp_le_i32_e64 s0, v0, v21
	s_addc_u32 s5, s11, s5
	s_delay_alu instid0(VALU_DEP_2) | instskip(NEXT) | instid1(VALU_DEP_1)
	v_add_co_u32 v20, s1, s4, v1
	v_add_co_ci_u32_e64 v22, s1, s5, v2, s1
	s_delay_alu instid0(VALU_DEP_3) | instskip(NEXT) | instid1(SALU_CYCLE_1)
	s_and_b32 s0, vcc_lo, s0
	s_and_saveexec_b32 s1, s0
	s_cbranch_execz .LBB267_5
; %bb.4:
	v_ashrrev_i32_e32 v1, 31, v0
	v_mul_f64 v[27:28], s[18:19], v[18:19]
	v_mul_f64 v[18:19], s[16:17], v[18:19]
	s_delay_alu instid0(VALU_DEP_3) | instskip(NEXT) | instid1(VALU_DEP_1)
	v_lshlrev_b64 v[1:2], 4, v[0:1]
	v_add_co_u32 v1, s0, v20, v1
	s_delay_alu instid0(VALU_DEP_1)
	v_add_co_ci_u32_e64 v2, s0, v22, v2, s0
	global_load_b128 v[23:26], v[1:2], off
	v_fma_f64 v[27:28], s[16:17], v[16:17], -v[27:28]
	v_fma_f64 v[18:19], s[18:19], v[16:17], v[18:19]
	s_waitcnt vmcnt(0)
	v_mul_f64 v[29:30], s[8:9], v[25:26]
	v_mul_f64 v[25:26], s[6:7], v[25:26]
	s_delay_alu instid0(VALU_DEP_2) | instskip(NEXT) | instid1(VALU_DEP_2)
	v_fma_f64 v[16:17], s[6:7], v[23:24], -v[29:30]
	v_fma_f64 v[23:24], s[8:9], v[23:24], v[25:26]
	s_delay_alu instid0(VALU_DEP_2) | instskip(NEXT) | instid1(VALU_DEP_2)
	v_add_f64 v[16:17], v[27:28], v[16:17]
	v_add_f64 v[18:19], v[18:19], v[23:24]
	global_store_b128 v[1:2], v[16:19], off
.LBB267_5:
	s_or_b32 exec_lo, exec_lo, s1
	v_add_nc_u32_e32 v2, 16, v0
	s_delay_alu instid0(VALU_DEP_1) | instskip(NEXT) | instid1(VALU_DEP_1)
	v_cmp_le_i32_e64 s0, v2, v21
	s_and_b32 s1, vcc_lo, s0
	s_delay_alu instid0(SALU_CYCLE_1)
	s_and_saveexec_b32 s0, s1
	s_cbranch_execz .LBB267_7
; %bb.6:
	v_ashrrev_i32_e32 v3, 31, v2
	v_mul_f64 v[25:26], s[18:19], v[10:11]
	v_mul_f64 v[10:11], s[16:17], v[10:11]
	s_delay_alu instid0(VALU_DEP_3) | instskip(NEXT) | instid1(VALU_DEP_1)
	v_lshlrev_b64 v[16:17], 4, v[2:3]
	v_add_co_u32 v23, vcc_lo, v20, v16
	s_delay_alu instid0(VALU_DEP_2)
	v_add_co_ci_u32_e32 v24, vcc_lo, v22, v17, vcc_lo
	global_load_b128 v[16:19], v[23:24], off
	v_fma_f64 v[25:26], s[16:17], v[4:5], -v[25:26]
	v_fma_f64 v[3:4], s[18:19], v[4:5], v[10:11]
	s_waitcnt vmcnt(0)
	v_mul_f64 v[27:28], s[8:9], v[18:19]
	v_mul_f64 v[18:19], s[6:7], v[18:19]
	s_delay_alu instid0(VALU_DEP_2) | instskip(NEXT) | instid1(VALU_DEP_2)
	v_fma_f64 v[10:11], s[6:7], v[16:17], -v[27:28]
	v_fma_f64 v[18:19], s[8:9], v[16:17], v[18:19]
	s_delay_alu instid0(VALU_DEP_2) | instskip(NEXT) | instid1(VALU_DEP_2)
	v_add_f64 v[16:17], v[25:26], v[10:11]
	v_add_f64 v[18:19], v[3:4], v[18:19]
	global_store_b128 v[23:24], v[16:19], off
.LBB267_7:
	s_or_b32 exec_lo, exec_lo, s0
	v_add_nc_u32_e32 v3, 16, v21
	s_delay_alu instid0(VALU_DEP_1) | instskip(SKIP_2) | instid1(VALU_DEP_1)
	v_mad_i64_i32 v[4:5], null, v3, s3, 0
	v_cmp_gt_i32_e32 vcc_lo, s2, v3
	v_cmp_le_i32_e64 s0, v0, v3
	s_and_b32 s0, vcc_lo, s0
	s_delay_alu instid0(VALU_DEP_3) | instskip(NEXT) | instid1(VALU_DEP_1)
	v_lshlrev_b64 v[4:5], 4, v[4:5]
	v_add_co_u32 v4, s1, s4, v4
	s_delay_alu instid0(VALU_DEP_1)
	v_add_co_ci_u32_e64 v5, s1, s5, v5, s1
	s_and_saveexec_b32 s1, s0
	s_cbranch_execz .LBB267_9
; %bb.8:
	v_ashrrev_i32_e32 v1, 31, v0
	v_mul_f64 v[10:11], s[18:19], v[14:15]
	v_mul_f64 v[14:15], s[16:17], v[14:15]
	s_delay_alu instid0(VALU_DEP_3) | instskip(NEXT) | instid1(VALU_DEP_1)
	v_lshlrev_b64 v[0:1], 4, v[0:1]
	v_add_co_u32 v0, s0, v4, v0
	s_delay_alu instid0(VALU_DEP_1)
	v_add_co_ci_u32_e64 v1, s0, v5, v1, s0
	global_load_b128 v[16:19], v[0:1], off
	v_fma_f64 v[10:11], s[16:17], v[12:13], -v[10:11]
	v_fma_f64 v[12:13], s[18:19], v[12:13], v[14:15]
	s_waitcnt vmcnt(0)
	v_mul_f64 v[20:21], s[8:9], v[18:19]
	v_mul_f64 v[18:19], s[6:7], v[18:19]
	s_delay_alu instid0(VALU_DEP_2) | instskip(NEXT) | instid1(VALU_DEP_2)
	v_fma_f64 v[14:15], s[6:7], v[16:17], -v[20:21]
	v_fma_f64 v[16:17], s[8:9], v[16:17], v[18:19]
	s_delay_alu instid0(VALU_DEP_2) | instskip(NEXT) | instid1(VALU_DEP_2)
	v_add_f64 v[10:11], v[10:11], v[14:15]
	v_add_f64 v[12:13], v[12:13], v[16:17]
	global_store_b128 v[0:1], v[10:13], off
.LBB267_9:
	s_or_b32 exec_lo, exec_lo, s1
	v_cmp_le_i32_e64 s0, v2, v3
	s_delay_alu instid0(VALU_DEP_1) | instskip(NEXT) | instid1(SALU_CYCLE_1)
	s_and_b32 s0, vcc_lo, s0
	s_and_saveexec_b32 s1, s0
	s_cbranch_execz .LBB267_11
; %bb.10:
	v_ashrrev_i32_e32 v3, 31, v2
	v_mul_f64 v[10:11], s[18:19], v[8:9]
	v_mul_f64 v[8:9], s[16:17], v[8:9]
	s_delay_alu instid0(VALU_DEP_3) | instskip(NEXT) | instid1(VALU_DEP_1)
	v_lshlrev_b64 v[0:1], 4, v[2:3]
	v_add_co_u32 v4, vcc_lo, v4, v0
	s_delay_alu instid0(VALU_DEP_2)
	v_add_co_ci_u32_e32 v5, vcc_lo, v5, v1, vcc_lo
	global_load_b128 v[0:3], v[4:5], off
	v_fma_f64 v[10:11], s[16:17], v[6:7], -v[10:11]
	v_fma_f64 v[6:7], s[18:19], v[6:7], v[8:9]
	s_waitcnt vmcnt(0)
	v_mul_f64 v[12:13], s[8:9], v[2:3]
	v_mul_f64 v[2:3], s[6:7], v[2:3]
	s_delay_alu instid0(VALU_DEP_2) | instskip(NEXT) | instid1(VALU_DEP_2)
	v_fma_f64 v[8:9], s[6:7], v[0:1], -v[12:13]
	v_fma_f64 v[2:3], s[8:9], v[0:1], v[2:3]
	s_delay_alu instid0(VALU_DEP_2) | instskip(NEXT) | instid1(VALU_DEP_2)
	v_add_f64 v[0:1], v[10:11], v[8:9]
	v_add_f64 v[2:3], v[6:7], v[2:3]
	global_store_b128 v[4:5], v[0:3], off
.LBB267_11:
	s_nop 0
	s_sendmsg sendmsg(MSG_DEALLOC_VGPRS)
	s_endpgm
	.section	.rodata,"a",@progbits
	.p2align	6, 0x0
	.amdhsa_kernel _ZL37rocblas_syrkx_herkx_restricted_kernelIi19rocblas_complex_numIdELi16ELi32ELi8ELb0ELb0ELc67ELc85EKS1_S1_EviT_T0_PT8_S3_lS6_S3_lS4_PT9_S3_li
		.amdhsa_group_segment_fixed_size 8192
		.amdhsa_private_segment_fixed_size 0
		.amdhsa_kernarg_size 116
		.amdhsa_user_sgpr_count 13
		.amdhsa_user_sgpr_dispatch_ptr 0
		.amdhsa_user_sgpr_queue_ptr 0
		.amdhsa_user_sgpr_kernarg_segment_ptr 1
		.amdhsa_user_sgpr_dispatch_id 0
		.amdhsa_user_sgpr_private_segment_size 0
		.amdhsa_wavefront_size32 1
		.amdhsa_uses_dynamic_stack 0
		.amdhsa_enable_private_segment 0
		.amdhsa_system_sgpr_workgroup_id_x 1
		.amdhsa_system_sgpr_workgroup_id_y 1
		.amdhsa_system_sgpr_workgroup_id_z 1
		.amdhsa_system_sgpr_workgroup_info 0
		.amdhsa_system_vgpr_workitem_id 1
		.amdhsa_next_free_vgpr 54
		.amdhsa_next_free_sgpr 29
		.amdhsa_reserve_vcc 1
		.amdhsa_float_round_mode_32 0
		.amdhsa_float_round_mode_16_64 0
		.amdhsa_float_denorm_mode_32 3
		.amdhsa_float_denorm_mode_16_64 3
		.amdhsa_dx10_clamp 1
		.amdhsa_ieee_mode 1
		.amdhsa_fp16_overflow 0
		.amdhsa_workgroup_processor_mode 1
		.amdhsa_memory_ordered 1
		.amdhsa_forward_progress 0
		.amdhsa_shared_vgpr_count 0
		.amdhsa_exception_fp_ieee_invalid_op 0
		.amdhsa_exception_fp_denorm_src 0
		.amdhsa_exception_fp_ieee_div_zero 0
		.amdhsa_exception_fp_ieee_overflow 0
		.amdhsa_exception_fp_ieee_underflow 0
		.amdhsa_exception_fp_ieee_inexact 0
		.amdhsa_exception_int_div_zero 0
	.end_amdhsa_kernel
	.section	.text._ZL37rocblas_syrkx_herkx_restricted_kernelIi19rocblas_complex_numIdELi16ELi32ELi8ELb0ELb0ELc67ELc85EKS1_S1_EviT_T0_PT8_S3_lS6_S3_lS4_PT9_S3_li,"axG",@progbits,_ZL37rocblas_syrkx_herkx_restricted_kernelIi19rocblas_complex_numIdELi16ELi32ELi8ELb0ELb0ELc67ELc85EKS1_S1_EviT_T0_PT8_S3_lS6_S3_lS4_PT9_S3_li,comdat
.Lfunc_end267:
	.size	_ZL37rocblas_syrkx_herkx_restricted_kernelIi19rocblas_complex_numIdELi16ELi32ELi8ELb0ELb0ELc67ELc85EKS1_S1_EviT_T0_PT8_S3_lS6_S3_lS4_PT9_S3_li, .Lfunc_end267-_ZL37rocblas_syrkx_herkx_restricted_kernelIi19rocblas_complex_numIdELi16ELi32ELi8ELb0ELb0ELc67ELc85EKS1_S1_EviT_T0_PT8_S3_lS6_S3_lS4_PT9_S3_li
                                        ; -- End function
	.section	.AMDGPU.csdata,"",@progbits
; Kernel info:
; codeLenInByte = 3588
; NumSgprs: 31
; NumVgprs: 54
; ScratchSize: 0
; MemoryBound: 0
; FloatMode: 240
; IeeeMode: 1
; LDSByteSize: 8192 bytes/workgroup (compile time only)
; SGPRBlocks: 3
; VGPRBlocks: 6
; NumSGPRsForWavesPerEU: 31
; NumVGPRsForWavesPerEU: 54
; Occupancy: 16
; WaveLimiterHint : 0
; COMPUTE_PGM_RSRC2:SCRATCH_EN: 0
; COMPUTE_PGM_RSRC2:USER_SGPR: 13
; COMPUTE_PGM_RSRC2:TRAP_HANDLER: 0
; COMPUTE_PGM_RSRC2:TGID_X_EN: 1
; COMPUTE_PGM_RSRC2:TGID_Y_EN: 1
; COMPUTE_PGM_RSRC2:TGID_Z_EN: 1
; COMPUTE_PGM_RSRC2:TIDIG_COMP_CNT: 1
	.section	.text._ZL37rocblas_syrkx_herkx_restricted_kernelIi19rocblas_complex_numIdELi16ELi32ELi8ELb0ELb0ELc78ELc85EKS1_S1_EviT_T0_PT8_S3_lS6_S3_lS4_PT9_S3_li,"axG",@progbits,_ZL37rocblas_syrkx_herkx_restricted_kernelIi19rocblas_complex_numIdELi16ELi32ELi8ELb0ELb0ELc78ELc85EKS1_S1_EviT_T0_PT8_S3_lS6_S3_lS4_PT9_S3_li,comdat
	.globl	_ZL37rocblas_syrkx_herkx_restricted_kernelIi19rocblas_complex_numIdELi16ELi32ELi8ELb0ELb0ELc78ELc85EKS1_S1_EviT_T0_PT8_S3_lS6_S3_lS4_PT9_S3_li ; -- Begin function _ZL37rocblas_syrkx_herkx_restricted_kernelIi19rocblas_complex_numIdELi16ELi32ELi8ELb0ELb0ELc78ELc85EKS1_S1_EviT_T0_PT8_S3_lS6_S3_lS4_PT9_S3_li
	.p2align	8
	.type	_ZL37rocblas_syrkx_herkx_restricted_kernelIi19rocblas_complex_numIdELi16ELi32ELi8ELb0ELb0ELc78ELc85EKS1_S1_EviT_T0_PT8_S3_lS6_S3_lS4_PT9_S3_li,@function
_ZL37rocblas_syrkx_herkx_restricted_kernelIi19rocblas_complex_numIdELi16ELi32ELi8ELb0ELb0ELc78ELc85EKS1_S1_EviT_T0_PT8_S3_lS6_S3_lS4_PT9_S3_li: ; @_ZL37rocblas_syrkx_herkx_restricted_kernelIi19rocblas_complex_numIdELi16ELi32ELi8ELb0ELb0ELc78ELc85EKS1_S1_EviT_T0_PT8_S3_lS6_S3_lS4_PT9_S3_li
; %bb.0:
	s_clause 0x3
	s_load_b64 s[2:3], s[0:1], 0x0
	s_load_b128 s[16:19], s[0:1], 0x8
	s_load_b64 s[24:25], s[0:1], 0x18
	s_load_b256 s[4:11], s[0:1], 0x40
	v_mov_b32_e32 v16, 0
	v_dual_mov_b32 v17, 0 :: v_dual_and_b32 v20, 0x3ff, v0
	v_bfe_u32 v21, v0, 10, 10
	s_delay_alu instid0(VALU_DEP_3) | instskip(NEXT) | instid1(VALU_DEP_3)
	v_mov_b32_e32 v4, v16
	v_dual_mov_b32 v10, v16 :: v_dual_mov_b32 v11, v17
	v_dual_mov_b32 v19, v17 :: v_dual_mov_b32 v18, v16
	;; [unrolled: 1-line block ×6, first 2 shown]
	v_mov_b32_e32 v9, v17
	s_lshl_b32 s26, s13, 5
	s_lshl_b32 s14, s14, 5
	s_waitcnt lgkmcnt(0)
	s_cmp_lt_i32 s3, 1
	s_mov_b32 s27, 0
	s_cbranch_scc1 .LBB268_3
; %bb.1:
	s_clause 0x1
	s_load_b32 s12, s[0:1], 0x38
	s_load_b32 s28, s[0:1], 0x20
	v_lshl_add_u32 v0, v21, 4, v20
	v_and_b32_e32 v6, 7, v20
	v_mov_b32_e32 v8, 0
	v_mov_b32_e32 v9, 0
	s_load_b128 s[20:23], s[0:1], 0x28
	v_lshrrev_b32_e32 v1, 3, v0
	v_and_b32_e32 v2, 31, v0
	v_lshlrev_b32_e32 v3, 4, v6
	v_lshrrev_b32_e32 v7, 5, v0
	s_delay_alu instid0(VALU_DEP_4) | instskip(NEXT) | instid1(VALU_DEP_4)
	v_dual_mov_b32 v15, v9 :: v_dual_add_nc_u32 v0, s14, v1
	v_dual_mov_b32 v13, v9 :: v_dual_lshlrev_b32 v4, 4, v2
	s_delay_alu instid0(VALU_DEP_4) | instskip(SKIP_1) | instid1(VALU_DEP_4)
	v_lshl_or_b32 v3, v1, 7, v3
	v_dual_mov_b32 v11, v9 :: v_dual_add_nc_u32 v2, s26, v2
	v_ashrrev_i32_e32 v1, 31, v0
	s_delay_alu instid0(VALU_DEP_4) | instskip(NEXT) | instid1(VALU_DEP_4)
	v_lshl_or_b32 v22, v7, 9, v4
	v_dual_mov_b32 v14, v8 :: v_dual_add_nc_u32 v23, 0x1000, v3
	s_delay_alu instid0(VALU_DEP_4)
	v_ashrrev_i32_e32 v3, 31, v2
	s_waitcnt lgkmcnt(0)
	v_mad_i64_i32 v[4:5], null, s12, v6, v[0:1]
	s_ashr_i32 s29, s28, 31
	s_mul_i32 s21, s21, s15
	v_mad_i64_i32 v[0:1], null, s28, v7, v[2:3]
	s_mul_hi_u32 s30, s20, s15
	s_mul_i32 s20, s20, s15
	s_add_i32 s21, s30, s21
	s_ashr_i32 s13, s12, 31
	s_lshl_b64 s[20:21], s[20:21], 4
	s_mul_i32 s5, s5, s15
	s_delay_alu instid0(VALU_DEP_1)
	v_lshlrev_b64 v[0:1], 4, v[0:1]
	s_add_u32 s20, s24, s20
	s_addc_u32 s21, s25, s21
	s_mul_hi_u32 s24, s4, s15
	s_mul_i32 s4, s4, s15
	s_add_i32 s5, s24, s5
	v_add_co_u32 v2, vcc_lo, s20, v0
	v_add_co_ci_u32_e32 v3, vcc_lo, s21, v1, vcc_lo
	v_lshlrev_b64 v[0:1], 4, v[4:5]
	s_lshl_b64 s[20:21], s[4:5], 4
	s_lshl_b64 s[4:5], s[28:29], 7
	s_add_u32 s20, s22, s20
	s_addc_u32 s21, s23, s21
	v_mov_b32_e32 v6, v8
	v_add_co_u32 v4, vcc_lo, s20, v0
	v_add_co_ci_u32_e32 v5, vcc_lo, s21, v1, vcc_lo
	v_add_co_u32 v0, vcc_lo, v2, 8
	v_add_co_ci_u32_e32 v1, vcc_lo, 0, v3, vcc_lo
	s_delay_alu instid0(VALU_DEP_4) | instskip(NEXT) | instid1(VALU_DEP_4)
	v_add_co_u32 v2, vcc_lo, v4, 8
	v_add_co_ci_u32_e32 v3, vcc_lo, 0, v5, vcc_lo
	v_dual_mov_b32 v12, v8 :: v_dual_mov_b32 v19, v9
	v_dual_mov_b32 v10, v8 :: v_dual_mov_b32 v17, v9
	v_mov_b32_e32 v4, v8
	v_dual_mov_b32 v5, v9 :: v_dual_lshlrev_b32 v24, 4, v20
	v_lshl_add_u32 v25, v21, 7, 0x1000
	v_dual_mov_b32 v7, v9 :: v_dual_mov_b32 v18, v8
	v_mov_b32_e32 v16, v8
	s_lshl_b64 s[12:13], s[12:13], 7
.LBB268_2:                              ; =>This Inner Loop Header: Depth=1
	global_load_b128 v[26:29], v[0:1], off offset:-8
	v_add_co_u32 v0, vcc_lo, v0, s4
	v_add_co_ci_u32_e32 v1, vcc_lo, s5, v1, vcc_lo
	s_add_i32 s27, s27, 8
	s_delay_alu instid0(SALU_CYCLE_1)
	s_cmp_ge_i32 s27, s3
	s_waitcnt vmcnt(0)
	ds_store_b128 v22, v[26:29]
	global_load_b128 v[26:29], v[2:3], off offset:-8
	v_add_co_u32 v2, vcc_lo, v2, s12
	v_add_co_ci_u32_e32 v3, vcc_lo, s13, v3, vcc_lo
	s_waitcnt vmcnt(0)
	ds_store_b128 v23, v[26:29]
	s_waitcnt lgkmcnt(0)
	s_barrier
	buffer_gl0_inv
	ds_load_b128 v[26:29], v25
	ds_load_b128 v[30:33], v25 offset:16
	ds_load_b128 v[34:37], v25 offset:32
	;; [unrolled: 1-line block ×3, first 2 shown]
	ds_load_b128 v[42:45], v24
	s_waitcnt lgkmcnt(0)
	v_mul_f64 v[46:47], v[28:29], v[44:45]
	v_mul_f64 v[48:49], v[26:27], v[44:45]
	s_delay_alu instid0(VALU_DEP_2) | instskip(NEXT) | instid1(VALU_DEP_2)
	v_fma_f64 v[46:47], v[26:27], v[42:43], -v[46:47]
	v_fma_f64 v[48:49], v[28:29], v[42:43], v[48:49]
	s_delay_alu instid0(VALU_DEP_2) | instskip(NEXT) | instid1(VALU_DEP_2)
	v_add_f64 v[46:47], v[16:17], v[46:47]
	v_add_f64 v[48:49], v[18:19], v[48:49]
	ds_load_b128 v[16:19], v24 offset:256
	s_waitcnt lgkmcnt(0)
	v_mul_f64 v[50:51], v[28:29], v[18:19]
	s_delay_alu instid0(VALU_DEP_1) | instskip(SKIP_1) | instid1(VALU_DEP_2)
	v_fma_f64 v[50:51], v[26:27], v[16:17], -v[50:51]
	v_mul_f64 v[26:27], v[26:27], v[18:19]
	v_add_f64 v[50:51], v[4:5], v[50:51]
	s_delay_alu instid0(VALU_DEP_2) | instskip(NEXT) | instid1(VALU_DEP_1)
	v_fma_f64 v[26:27], v[28:29], v[16:17], v[26:27]
	v_add_f64 v[52:53], v[10:11], v[26:27]
	ds_load_b128 v[26:29], v25 offset:2048
	s_waitcnt lgkmcnt(0)
	v_mul_f64 v[4:5], v[28:29], v[44:45]
	v_mul_f64 v[10:11], v[26:27], v[44:45]
	s_delay_alu instid0(VALU_DEP_2) | instskip(NEXT) | instid1(VALU_DEP_2)
	v_fma_f64 v[4:5], v[26:27], v[42:43], -v[4:5]
	v_fma_f64 v[10:11], v[28:29], v[42:43], v[10:11]
	s_delay_alu instid0(VALU_DEP_2) | instskip(SKIP_1) | instid1(VALU_DEP_3)
	v_add_f64 v[42:43], v[12:13], v[4:5]
	v_mul_f64 v[4:5], v[28:29], v[18:19]
	v_add_f64 v[44:45], v[14:15], v[10:11]
	v_mul_f64 v[10:11], v[26:27], v[18:19]
	s_delay_alu instid0(VALU_DEP_3) | instskip(NEXT) | instid1(VALU_DEP_2)
	v_fma_f64 v[4:5], v[26:27], v[16:17], -v[4:5]
	v_fma_f64 v[10:11], v[28:29], v[16:17], v[10:11]
	s_delay_alu instid0(VALU_DEP_2)
	v_add_f64 v[16:17], v[6:7], v[4:5]
	ds_load_b128 v[4:7], v24 offset:512
	v_add_f64 v[18:19], v[8:9], v[10:11]
	s_waitcnt lgkmcnt(0)
	v_mul_f64 v[8:9], v[32:33], v[6:7]
	v_mul_f64 v[10:11], v[30:31], v[6:7]
	s_delay_alu instid0(VALU_DEP_2) | instskip(NEXT) | instid1(VALU_DEP_2)
	v_fma_f64 v[8:9], v[30:31], v[4:5], -v[8:9]
	v_fma_f64 v[10:11], v[32:33], v[4:5], v[10:11]
	s_delay_alu instid0(VALU_DEP_2) | instskip(NEXT) | instid1(VALU_DEP_2)
	v_add_f64 v[26:27], v[46:47], v[8:9]
	v_add_f64 v[28:29], v[48:49], v[10:11]
	ds_load_b128 v[8:11], v24 offset:768
	s_waitcnt lgkmcnt(0)
	v_mul_f64 v[12:13], v[32:33], v[10:11]
	v_mul_f64 v[14:15], v[30:31], v[10:11]
	s_delay_alu instid0(VALU_DEP_2) | instskip(NEXT) | instid1(VALU_DEP_2)
	v_fma_f64 v[12:13], v[30:31], v[8:9], -v[12:13]
	v_fma_f64 v[14:15], v[32:33], v[8:9], v[14:15]
	s_delay_alu instid0(VALU_DEP_2) | instskip(NEXT) | instid1(VALU_DEP_2)
	v_add_f64 v[30:31], v[50:51], v[12:13]
	v_add_f64 v[32:33], v[52:53], v[14:15]
	ds_load_b128 v[12:15], v25 offset:2064
	s_waitcnt lgkmcnt(0)
	v_mul_f64 v[46:47], v[14:15], v[6:7]
	v_mul_f64 v[6:7], v[12:13], v[6:7]
	s_delay_alu instid0(VALU_DEP_2) | instskip(NEXT) | instid1(VALU_DEP_2)
	v_fma_f64 v[46:47], v[12:13], v[4:5], -v[46:47]
	v_fma_f64 v[4:5], v[14:15], v[4:5], v[6:7]
	v_mul_f64 v[6:7], v[12:13], v[10:11]
	s_delay_alu instid0(VALU_DEP_3) | instskip(NEXT) | instid1(VALU_DEP_3)
	v_add_f64 v[42:43], v[42:43], v[46:47]
	v_add_f64 v[44:45], v[44:45], v[4:5]
	v_mul_f64 v[4:5], v[14:15], v[10:11]
	s_delay_alu instid0(VALU_DEP_4) | instskip(NEXT) | instid1(VALU_DEP_2)
	v_fma_f64 v[6:7], v[14:15], v[8:9], v[6:7]
	v_fma_f64 v[4:5], v[12:13], v[8:9], -v[4:5]
	s_delay_alu instid0(VALU_DEP_2) | instskip(NEXT) | instid1(VALU_DEP_2)
	v_add_f64 v[18:19], v[18:19], v[6:7]
	v_add_f64 v[16:17], v[16:17], v[4:5]
	ds_load_b128 v[4:7], v24 offset:1024
	s_waitcnt lgkmcnt(0)
	v_mul_f64 v[8:9], v[36:37], v[6:7]
	v_mul_f64 v[10:11], v[34:35], v[6:7]
	s_delay_alu instid0(VALU_DEP_2) | instskip(NEXT) | instid1(VALU_DEP_2)
	v_fma_f64 v[8:9], v[34:35], v[4:5], -v[8:9]
	v_fma_f64 v[10:11], v[36:37], v[4:5], v[10:11]
	s_delay_alu instid0(VALU_DEP_2) | instskip(NEXT) | instid1(VALU_DEP_2)
	v_add_f64 v[26:27], v[26:27], v[8:9]
	v_add_f64 v[28:29], v[28:29], v[10:11]
	ds_load_b128 v[8:11], v24 offset:1280
	s_waitcnt lgkmcnt(0)
	v_mul_f64 v[12:13], v[36:37], v[10:11]
	v_mul_f64 v[14:15], v[34:35], v[10:11]
	s_delay_alu instid0(VALU_DEP_2) | instskip(NEXT) | instid1(VALU_DEP_2)
	v_fma_f64 v[12:13], v[34:35], v[8:9], -v[12:13]
	v_fma_f64 v[14:15], v[36:37], v[8:9], v[14:15]
	s_delay_alu instid0(VALU_DEP_2) | instskip(NEXT) | instid1(VALU_DEP_2)
	v_add_f64 v[30:31], v[30:31], v[12:13]
	v_add_f64 v[32:33], v[32:33], v[14:15]
	ds_load_b128 v[12:15], v25 offset:2080
	s_waitcnt lgkmcnt(0)
	v_mul_f64 v[34:35], v[14:15], v[6:7]
	v_mul_f64 v[6:7], v[12:13], v[6:7]
	s_delay_alu instid0(VALU_DEP_2) | instskip(NEXT) | instid1(VALU_DEP_2)
	v_fma_f64 v[34:35], v[12:13], v[4:5], -v[34:35]
	v_fma_f64 v[4:5], v[14:15], v[4:5], v[6:7]
	v_mul_f64 v[6:7], v[12:13], v[10:11]
	s_delay_alu instid0(VALU_DEP_3) | instskip(NEXT) | instid1(VALU_DEP_3)
	v_add_f64 v[34:35], v[42:43], v[34:35]
	v_add_f64 v[36:37], v[44:45], v[4:5]
	v_mul_f64 v[4:5], v[14:15], v[10:11]
	s_delay_alu instid0(VALU_DEP_4) | instskip(NEXT) | instid1(VALU_DEP_2)
	v_fma_f64 v[6:7], v[14:15], v[8:9], v[6:7]
	v_fma_f64 v[4:5], v[12:13], v[8:9], -v[4:5]
	s_delay_alu instid0(VALU_DEP_2) | instskip(NEXT) | instid1(VALU_DEP_2)
	v_add_f64 v[18:19], v[18:19], v[6:7]
	v_add_f64 v[16:17], v[16:17], v[4:5]
	ds_load_b128 v[4:7], v24 offset:1536
	;; [unrolled: 38-line block ×3, first 2 shown]
	ds_load_b128 v[8:11], v24 offset:2048
	s_waitcnt lgkmcnt(0)
	v_mul_f64 v[12:13], v[6:7], v[10:11]
	v_mul_f64 v[14:15], v[4:5], v[10:11]
	s_delay_alu instid0(VALU_DEP_2) | instskip(NEXT) | instid1(VALU_DEP_2)
	v_fma_f64 v[12:13], v[4:5], v[8:9], -v[12:13]
	v_fma_f64 v[14:15], v[6:7], v[8:9], v[14:15]
	s_delay_alu instid0(VALU_DEP_2) | instskip(NEXT) | instid1(VALU_DEP_2)
	v_add_f64 v[26:27], v[26:27], v[12:13]
	v_add_f64 v[28:29], v[28:29], v[14:15]
	ds_load_b128 v[12:15], v24 offset:2304
	s_waitcnt lgkmcnt(0)
	v_mul_f64 v[38:39], v[6:7], v[14:15]
	s_delay_alu instid0(VALU_DEP_1) | instskip(SKIP_1) | instid1(VALU_DEP_2)
	v_fma_f64 v[38:39], v[4:5], v[12:13], -v[38:39]
	v_mul_f64 v[4:5], v[4:5], v[14:15]
	v_add_f64 v[30:31], v[30:31], v[38:39]
	s_delay_alu instid0(VALU_DEP_2) | instskip(NEXT) | instid1(VALU_DEP_1)
	v_fma_f64 v[4:5], v[6:7], v[12:13], v[4:5]
	v_add_f64 v[32:33], v[32:33], v[4:5]
	ds_load_b128 v[4:7], v25 offset:2112
	s_waitcnt lgkmcnt(0)
	v_mul_f64 v[38:39], v[6:7], v[10:11]
	v_mul_f64 v[10:11], v[4:5], v[10:11]
	s_delay_alu instid0(VALU_DEP_2) | instskip(NEXT) | instid1(VALU_DEP_2)
	v_fma_f64 v[38:39], v[4:5], v[8:9], -v[38:39]
	v_fma_f64 v[8:9], v[6:7], v[8:9], v[10:11]
	s_delay_alu instid0(VALU_DEP_2) | instskip(NEXT) | instid1(VALU_DEP_2)
	v_add_f64 v[34:35], v[34:35], v[38:39]
	v_add_f64 v[36:37], v[36:37], v[8:9]
	v_mul_f64 v[8:9], v[6:7], v[14:15]
	s_delay_alu instid0(VALU_DEP_1) | instskip(SKIP_1) | instid1(VALU_DEP_2)
	v_fma_f64 v[8:9], v[4:5], v[12:13], -v[8:9]
	v_mul_f64 v[4:5], v[4:5], v[14:15]
	v_add_f64 v[16:17], v[16:17], v[8:9]
	s_delay_alu instid0(VALU_DEP_2) | instskip(NEXT) | instid1(VALU_DEP_1)
	v_fma_f64 v[4:5], v[6:7], v[12:13], v[4:5]
	v_add_f64 v[18:19], v[18:19], v[4:5]
	ds_load_b128 v[4:7], v25 offset:80
	ds_load_b128 v[8:11], v24 offset:2560
	s_waitcnt lgkmcnt(0)
	v_mul_f64 v[12:13], v[6:7], v[10:11]
	v_mul_f64 v[14:15], v[4:5], v[10:11]
	s_delay_alu instid0(VALU_DEP_2) | instskip(NEXT) | instid1(VALU_DEP_2)
	v_fma_f64 v[12:13], v[4:5], v[8:9], -v[12:13]
	v_fma_f64 v[14:15], v[6:7], v[8:9], v[14:15]
	s_delay_alu instid0(VALU_DEP_2) | instskip(NEXT) | instid1(VALU_DEP_2)
	v_add_f64 v[26:27], v[26:27], v[12:13]
	v_add_f64 v[28:29], v[28:29], v[14:15]
	ds_load_b128 v[12:15], v24 offset:2816
	s_waitcnt lgkmcnt(0)
	v_mul_f64 v[38:39], v[6:7], v[14:15]
	s_delay_alu instid0(VALU_DEP_1) | instskip(SKIP_1) | instid1(VALU_DEP_2)
	v_fma_f64 v[38:39], v[4:5], v[12:13], -v[38:39]
	v_mul_f64 v[4:5], v[4:5], v[14:15]
	v_add_f64 v[30:31], v[30:31], v[38:39]
	s_delay_alu instid0(VALU_DEP_2) | instskip(NEXT) | instid1(VALU_DEP_1)
	v_fma_f64 v[4:5], v[6:7], v[12:13], v[4:5]
	v_add_f64 v[32:33], v[32:33], v[4:5]
	ds_load_b128 v[4:7], v25 offset:2128
	s_waitcnt lgkmcnt(0)
	v_mul_f64 v[38:39], v[6:7], v[10:11]
	v_mul_f64 v[10:11], v[4:5], v[10:11]
	s_delay_alu instid0(VALU_DEP_2) | instskip(NEXT) | instid1(VALU_DEP_2)
	v_fma_f64 v[38:39], v[4:5], v[8:9], -v[38:39]
	v_fma_f64 v[8:9], v[6:7], v[8:9], v[10:11]
	s_delay_alu instid0(VALU_DEP_2) | instskip(NEXT) | instid1(VALU_DEP_2)
	v_add_f64 v[34:35], v[34:35], v[38:39]
	v_add_f64 v[36:37], v[36:37], v[8:9]
	v_mul_f64 v[8:9], v[6:7], v[14:15]
	s_delay_alu instid0(VALU_DEP_1) | instskip(SKIP_1) | instid1(VALU_DEP_2)
	v_fma_f64 v[8:9], v[4:5], v[12:13], -v[8:9]
	v_mul_f64 v[4:5], v[4:5], v[14:15]
	v_add_f64 v[16:17], v[16:17], v[8:9]
	s_delay_alu instid0(VALU_DEP_2) | instskip(NEXT) | instid1(VALU_DEP_1)
	v_fma_f64 v[4:5], v[6:7], v[12:13], v[4:5]
	v_add_f64 v[18:19], v[18:19], v[4:5]
	ds_load_b128 v[4:7], v25 offset:96
	;; [unrolled: 39-line block ×3, first 2 shown]
	ds_load_b128 v[12:15], v24 offset:3584
	s_waitcnt lgkmcnt(0)
	v_mul_f64 v[8:9], v[6:7], v[14:15]
	v_mul_f64 v[10:11], v[4:5], v[14:15]
	s_delay_alu instid0(VALU_DEP_2) | instskip(NEXT) | instid1(VALU_DEP_2)
	v_fma_f64 v[8:9], v[4:5], v[12:13], -v[8:9]
	v_fma_f64 v[10:11], v[6:7], v[12:13], v[10:11]
	s_delay_alu instid0(VALU_DEP_2) | instskip(NEXT) | instid1(VALU_DEP_2)
	v_add_f64 v[16:17], v[26:27], v[8:9]
	v_add_f64 v[18:19], v[28:29], v[10:11]
	ds_load_b128 v[26:29], v24 offset:3840
	s_waitcnt lgkmcnt(0)
	v_mul_f64 v[8:9], v[6:7], v[28:29]
	s_delay_alu instid0(VALU_DEP_1) | instskip(SKIP_1) | instid1(VALU_DEP_1)
	v_fma_f64 v[8:9], v[4:5], v[26:27], -v[8:9]
	v_mul_f64 v[4:5], v[4:5], v[28:29]
	v_fma_f64 v[6:7], v[6:7], v[26:27], v[4:5]
	s_delay_alu instid0(VALU_DEP_3) | instskip(NEXT) | instid1(VALU_DEP_2)
	v_add_f64 v[4:5], v[30:31], v[8:9]
	v_add_f64 v[10:11], v[32:33], v[6:7]
	ds_load_b128 v[6:9], v25 offset:2160
	s_waitcnt lgkmcnt(0)
	s_barrier
	buffer_gl0_inv
	v_mul_f64 v[30:31], v[8:9], v[14:15]
	v_mul_f64 v[14:15], v[6:7], v[14:15]
	s_delay_alu instid0(VALU_DEP_2) | instskip(NEXT) | instid1(VALU_DEP_2)
	v_fma_f64 v[30:31], v[6:7], v[12:13], -v[30:31]
	v_fma_f64 v[14:15], v[8:9], v[12:13], v[14:15]
	s_delay_alu instid0(VALU_DEP_2) | instskip(SKIP_1) | instid1(VALU_DEP_3)
	v_add_f64 v[12:13], v[34:35], v[30:31]
	v_mul_f64 v[30:31], v[8:9], v[28:29]
	v_add_f64 v[14:15], v[36:37], v[14:15]
	s_delay_alu instid0(VALU_DEP_2) | instskip(SKIP_1) | instid1(VALU_DEP_1)
	v_fma_f64 v[30:31], v[6:7], v[26:27], -v[30:31]
	v_mul_f64 v[6:7], v[6:7], v[28:29]
	v_fma_f64 v[8:9], v[8:9], v[26:27], v[6:7]
	s_delay_alu instid0(VALU_DEP_3) | instskip(NEXT) | instid1(VALU_DEP_2)
	v_add_f64 v[6:7], v[38:39], v[30:31]
	v_add_f64 v[8:9], v[40:41], v[8:9]
	s_cbranch_scc0 .LBB268_2
.LBB268_3:
	s_clause 0x1
	s_load_b32 s3, s[0:1], 0x60
	s_load_b64 s[0:1], s[0:1], 0x68
	v_add_nc_u32_e32 v21, s14, v21
	v_add_nc_u32_e32 v0, s26, v20
	s_delay_alu instid0(VALU_DEP_2)
	v_cmp_gt_i32_e32 vcc_lo, s2, v21
	s_waitcnt lgkmcnt(0)
	v_mad_i64_i32 v[1:2], null, v21, s3, 0
	s_mul_i32 s1, s15, s1
	s_mul_hi_u32 s4, s15, s0
	s_mul_i32 s0, s15, s0
	s_add_i32 s1, s4, s1
	s_delay_alu instid0(SALU_CYCLE_1) | instskip(NEXT) | instid1(VALU_DEP_1)
	s_lshl_b64 s[4:5], s[0:1], 4
	v_lshlrev_b64 v[1:2], 4, v[1:2]
	s_add_u32 s4, s10, s4
	v_cmp_le_i32_e64 s0, v0, v21
	s_addc_u32 s5, s11, s5
	s_delay_alu instid0(VALU_DEP_2) | instskip(NEXT) | instid1(VALU_DEP_1)
	v_add_co_u32 v20, s1, s4, v1
	v_add_co_ci_u32_e64 v22, s1, s5, v2, s1
	s_delay_alu instid0(VALU_DEP_3) | instskip(NEXT) | instid1(SALU_CYCLE_1)
	s_and_b32 s0, vcc_lo, s0
	s_and_saveexec_b32 s1, s0
	s_cbranch_execz .LBB268_5
; %bb.4:
	v_ashrrev_i32_e32 v1, 31, v0
	v_mul_f64 v[27:28], s[18:19], v[18:19]
	v_mul_f64 v[18:19], s[16:17], v[18:19]
	s_delay_alu instid0(VALU_DEP_3) | instskip(NEXT) | instid1(VALU_DEP_1)
	v_lshlrev_b64 v[1:2], 4, v[0:1]
	v_add_co_u32 v1, s0, v20, v1
	s_delay_alu instid0(VALU_DEP_1)
	v_add_co_ci_u32_e64 v2, s0, v22, v2, s0
	global_load_b128 v[23:26], v[1:2], off
	v_fma_f64 v[27:28], s[16:17], v[16:17], -v[27:28]
	v_fma_f64 v[18:19], s[18:19], v[16:17], v[18:19]
	s_waitcnt vmcnt(0)
	v_mul_f64 v[29:30], s[8:9], v[25:26]
	v_mul_f64 v[25:26], s[6:7], v[25:26]
	s_delay_alu instid0(VALU_DEP_2) | instskip(NEXT) | instid1(VALU_DEP_2)
	v_fma_f64 v[16:17], s[6:7], v[23:24], -v[29:30]
	v_fma_f64 v[23:24], s[8:9], v[23:24], v[25:26]
	s_delay_alu instid0(VALU_DEP_2) | instskip(NEXT) | instid1(VALU_DEP_2)
	v_add_f64 v[16:17], v[27:28], v[16:17]
	v_add_f64 v[18:19], v[18:19], v[23:24]
	global_store_b128 v[1:2], v[16:19], off
.LBB268_5:
	s_or_b32 exec_lo, exec_lo, s1
	v_add_nc_u32_e32 v2, 16, v0
	s_delay_alu instid0(VALU_DEP_1) | instskip(NEXT) | instid1(VALU_DEP_1)
	v_cmp_le_i32_e64 s0, v2, v21
	s_and_b32 s1, vcc_lo, s0
	s_delay_alu instid0(SALU_CYCLE_1)
	s_and_saveexec_b32 s0, s1
	s_cbranch_execz .LBB268_7
; %bb.6:
	v_ashrrev_i32_e32 v3, 31, v2
	v_mul_f64 v[25:26], s[18:19], v[10:11]
	v_mul_f64 v[10:11], s[16:17], v[10:11]
	s_delay_alu instid0(VALU_DEP_3) | instskip(NEXT) | instid1(VALU_DEP_1)
	v_lshlrev_b64 v[16:17], 4, v[2:3]
	v_add_co_u32 v23, vcc_lo, v20, v16
	s_delay_alu instid0(VALU_DEP_2)
	v_add_co_ci_u32_e32 v24, vcc_lo, v22, v17, vcc_lo
	global_load_b128 v[16:19], v[23:24], off
	v_fma_f64 v[25:26], s[16:17], v[4:5], -v[25:26]
	v_fma_f64 v[3:4], s[18:19], v[4:5], v[10:11]
	s_waitcnt vmcnt(0)
	v_mul_f64 v[27:28], s[8:9], v[18:19]
	v_mul_f64 v[18:19], s[6:7], v[18:19]
	s_delay_alu instid0(VALU_DEP_2) | instskip(NEXT) | instid1(VALU_DEP_2)
	v_fma_f64 v[10:11], s[6:7], v[16:17], -v[27:28]
	v_fma_f64 v[18:19], s[8:9], v[16:17], v[18:19]
	s_delay_alu instid0(VALU_DEP_2) | instskip(NEXT) | instid1(VALU_DEP_2)
	v_add_f64 v[16:17], v[25:26], v[10:11]
	v_add_f64 v[18:19], v[3:4], v[18:19]
	global_store_b128 v[23:24], v[16:19], off
.LBB268_7:
	s_or_b32 exec_lo, exec_lo, s0
	v_add_nc_u32_e32 v3, 16, v21
	s_delay_alu instid0(VALU_DEP_1) | instskip(SKIP_2) | instid1(VALU_DEP_1)
	v_mad_i64_i32 v[4:5], null, v3, s3, 0
	v_cmp_gt_i32_e32 vcc_lo, s2, v3
	v_cmp_le_i32_e64 s0, v0, v3
	s_and_b32 s0, vcc_lo, s0
	s_delay_alu instid0(VALU_DEP_3) | instskip(NEXT) | instid1(VALU_DEP_1)
	v_lshlrev_b64 v[4:5], 4, v[4:5]
	v_add_co_u32 v4, s1, s4, v4
	s_delay_alu instid0(VALU_DEP_1)
	v_add_co_ci_u32_e64 v5, s1, s5, v5, s1
	s_and_saveexec_b32 s1, s0
	s_cbranch_execz .LBB268_9
; %bb.8:
	v_ashrrev_i32_e32 v1, 31, v0
	v_mul_f64 v[10:11], s[18:19], v[14:15]
	v_mul_f64 v[14:15], s[16:17], v[14:15]
	s_delay_alu instid0(VALU_DEP_3) | instskip(NEXT) | instid1(VALU_DEP_1)
	v_lshlrev_b64 v[0:1], 4, v[0:1]
	v_add_co_u32 v0, s0, v4, v0
	s_delay_alu instid0(VALU_DEP_1)
	v_add_co_ci_u32_e64 v1, s0, v5, v1, s0
	global_load_b128 v[16:19], v[0:1], off
	v_fma_f64 v[10:11], s[16:17], v[12:13], -v[10:11]
	v_fma_f64 v[12:13], s[18:19], v[12:13], v[14:15]
	s_waitcnt vmcnt(0)
	v_mul_f64 v[20:21], s[8:9], v[18:19]
	v_mul_f64 v[18:19], s[6:7], v[18:19]
	s_delay_alu instid0(VALU_DEP_2) | instskip(NEXT) | instid1(VALU_DEP_2)
	v_fma_f64 v[14:15], s[6:7], v[16:17], -v[20:21]
	v_fma_f64 v[16:17], s[8:9], v[16:17], v[18:19]
	s_delay_alu instid0(VALU_DEP_2) | instskip(NEXT) | instid1(VALU_DEP_2)
	v_add_f64 v[10:11], v[10:11], v[14:15]
	v_add_f64 v[12:13], v[12:13], v[16:17]
	global_store_b128 v[0:1], v[10:13], off
.LBB268_9:
	s_or_b32 exec_lo, exec_lo, s1
	v_cmp_le_i32_e64 s0, v2, v3
	s_delay_alu instid0(VALU_DEP_1) | instskip(NEXT) | instid1(SALU_CYCLE_1)
	s_and_b32 s0, vcc_lo, s0
	s_and_saveexec_b32 s1, s0
	s_cbranch_execz .LBB268_11
; %bb.10:
	v_ashrrev_i32_e32 v3, 31, v2
	v_mul_f64 v[10:11], s[18:19], v[8:9]
	v_mul_f64 v[8:9], s[16:17], v[8:9]
	s_delay_alu instid0(VALU_DEP_3) | instskip(NEXT) | instid1(VALU_DEP_1)
	v_lshlrev_b64 v[0:1], 4, v[2:3]
	v_add_co_u32 v4, vcc_lo, v4, v0
	s_delay_alu instid0(VALU_DEP_2)
	v_add_co_ci_u32_e32 v5, vcc_lo, v5, v1, vcc_lo
	global_load_b128 v[0:3], v[4:5], off
	v_fma_f64 v[10:11], s[16:17], v[6:7], -v[10:11]
	v_fma_f64 v[6:7], s[18:19], v[6:7], v[8:9]
	s_waitcnt vmcnt(0)
	v_mul_f64 v[12:13], s[8:9], v[2:3]
	v_mul_f64 v[2:3], s[6:7], v[2:3]
	s_delay_alu instid0(VALU_DEP_2) | instskip(NEXT) | instid1(VALU_DEP_2)
	v_fma_f64 v[8:9], s[6:7], v[0:1], -v[12:13]
	v_fma_f64 v[2:3], s[8:9], v[0:1], v[2:3]
	s_delay_alu instid0(VALU_DEP_2) | instskip(NEXT) | instid1(VALU_DEP_2)
	v_add_f64 v[0:1], v[10:11], v[8:9]
	v_add_f64 v[2:3], v[6:7], v[2:3]
	global_store_b128 v[4:5], v[0:3], off
.LBB268_11:
	s_nop 0
	s_sendmsg sendmsg(MSG_DEALLOC_VGPRS)
	s_endpgm
	.section	.rodata,"a",@progbits
	.p2align	6, 0x0
	.amdhsa_kernel _ZL37rocblas_syrkx_herkx_restricted_kernelIi19rocblas_complex_numIdELi16ELi32ELi8ELb0ELb0ELc78ELc85EKS1_S1_EviT_T0_PT8_S3_lS6_S3_lS4_PT9_S3_li
		.amdhsa_group_segment_fixed_size 8192
		.amdhsa_private_segment_fixed_size 0
		.amdhsa_kernarg_size 116
		.amdhsa_user_sgpr_count 13
		.amdhsa_user_sgpr_dispatch_ptr 0
		.amdhsa_user_sgpr_queue_ptr 0
		.amdhsa_user_sgpr_kernarg_segment_ptr 1
		.amdhsa_user_sgpr_dispatch_id 0
		.amdhsa_user_sgpr_private_segment_size 0
		.amdhsa_wavefront_size32 1
		.amdhsa_uses_dynamic_stack 0
		.amdhsa_enable_private_segment 0
		.amdhsa_system_sgpr_workgroup_id_x 1
		.amdhsa_system_sgpr_workgroup_id_y 1
		.amdhsa_system_sgpr_workgroup_id_z 1
		.amdhsa_system_sgpr_workgroup_info 0
		.amdhsa_system_vgpr_workitem_id 1
		.amdhsa_next_free_vgpr 54
		.amdhsa_next_free_sgpr 31
		.amdhsa_reserve_vcc 1
		.amdhsa_float_round_mode_32 0
		.amdhsa_float_round_mode_16_64 0
		.amdhsa_float_denorm_mode_32 3
		.amdhsa_float_denorm_mode_16_64 3
		.amdhsa_dx10_clamp 1
		.amdhsa_ieee_mode 1
		.amdhsa_fp16_overflow 0
		.amdhsa_workgroup_processor_mode 1
		.amdhsa_memory_ordered 1
		.amdhsa_forward_progress 0
		.amdhsa_shared_vgpr_count 0
		.amdhsa_exception_fp_ieee_invalid_op 0
		.amdhsa_exception_fp_denorm_src 0
		.amdhsa_exception_fp_ieee_div_zero 0
		.amdhsa_exception_fp_ieee_overflow 0
		.amdhsa_exception_fp_ieee_underflow 0
		.amdhsa_exception_fp_ieee_inexact 0
		.amdhsa_exception_int_div_zero 0
	.end_amdhsa_kernel
	.section	.text._ZL37rocblas_syrkx_herkx_restricted_kernelIi19rocblas_complex_numIdELi16ELi32ELi8ELb0ELb0ELc78ELc85EKS1_S1_EviT_T0_PT8_S3_lS6_S3_lS4_PT9_S3_li,"axG",@progbits,_ZL37rocblas_syrkx_herkx_restricted_kernelIi19rocblas_complex_numIdELi16ELi32ELi8ELb0ELb0ELc78ELc85EKS1_S1_EviT_T0_PT8_S3_lS6_S3_lS4_PT9_S3_li,comdat
.Lfunc_end268:
	.size	_ZL37rocblas_syrkx_herkx_restricted_kernelIi19rocblas_complex_numIdELi16ELi32ELi8ELb0ELb0ELc78ELc85EKS1_S1_EviT_T0_PT8_S3_lS6_S3_lS4_PT9_S3_li, .Lfunc_end268-_ZL37rocblas_syrkx_herkx_restricted_kernelIi19rocblas_complex_numIdELi16ELi32ELi8ELb0ELb0ELc78ELc85EKS1_S1_EviT_T0_PT8_S3_lS6_S3_lS4_PT9_S3_li
                                        ; -- End function
	.section	.AMDGPU.csdata,"",@progbits
; Kernel info:
; codeLenInByte = 3608
; NumSgprs: 33
; NumVgprs: 54
; ScratchSize: 0
; MemoryBound: 0
; FloatMode: 240
; IeeeMode: 1
; LDSByteSize: 8192 bytes/workgroup (compile time only)
; SGPRBlocks: 4
; VGPRBlocks: 6
; NumSGPRsForWavesPerEU: 33
; NumVGPRsForWavesPerEU: 54
; Occupancy: 16
; WaveLimiterHint : 0
; COMPUTE_PGM_RSRC2:SCRATCH_EN: 0
; COMPUTE_PGM_RSRC2:USER_SGPR: 13
; COMPUTE_PGM_RSRC2:TRAP_HANDLER: 0
; COMPUTE_PGM_RSRC2:TGID_X_EN: 1
; COMPUTE_PGM_RSRC2:TGID_Y_EN: 1
; COMPUTE_PGM_RSRC2:TGID_Z_EN: 1
; COMPUTE_PGM_RSRC2:TIDIG_COMP_CNT: 1
	.section	.text._ZL41rocblas_syrkx_herkx_small_restrict_kernelIi19rocblas_complex_numIdELi16ELb1ELb0ELc84ELc76EKS1_S1_EviT_T0_PT6_S3_lS6_S3_lS4_PT7_S3_li,"axG",@progbits,_ZL41rocblas_syrkx_herkx_small_restrict_kernelIi19rocblas_complex_numIdELi16ELb1ELb0ELc84ELc76EKS1_S1_EviT_T0_PT6_S3_lS6_S3_lS4_PT7_S3_li,comdat
	.globl	_ZL41rocblas_syrkx_herkx_small_restrict_kernelIi19rocblas_complex_numIdELi16ELb1ELb0ELc84ELc76EKS1_S1_EviT_T0_PT6_S3_lS6_S3_lS4_PT7_S3_li ; -- Begin function _ZL41rocblas_syrkx_herkx_small_restrict_kernelIi19rocblas_complex_numIdELi16ELb1ELb0ELc84ELc76EKS1_S1_EviT_T0_PT6_S3_lS6_S3_lS4_PT7_S3_li
	.p2align	8
	.type	_ZL41rocblas_syrkx_herkx_small_restrict_kernelIi19rocblas_complex_numIdELi16ELb1ELb0ELc84ELc76EKS1_S1_EviT_T0_PT6_S3_lS6_S3_lS4_PT7_S3_li,@function
_ZL41rocblas_syrkx_herkx_small_restrict_kernelIi19rocblas_complex_numIdELi16ELb1ELb0ELc84ELc76EKS1_S1_EviT_T0_PT6_S3_lS6_S3_lS4_PT7_S3_li: ; @_ZL41rocblas_syrkx_herkx_small_restrict_kernelIi19rocblas_complex_numIdELi16ELb1ELb0ELc84ELc76EKS1_S1_EviT_T0_PT6_S3_lS6_S3_lS4_PT7_S3_li
; %bb.0:
	s_clause 0x2
	s_load_b32 s12, s[0:1], 0x4
	s_load_b128 s[4:7], s[0:1], 0x8
	s_load_b64 s[2:3], s[0:1], 0x18
	v_dual_mov_b32 v5, 0 :: v_dual_and_b32 v2, 0x3ff, v0
	v_bfe_u32 v1, v0, 10, 10
	v_mov_b32_e32 v6, 0
	s_delay_alu instid0(VALU_DEP_3) | instskip(SKIP_1) | instid1(VALU_DEP_3)
	v_lshl_add_u32 v0, s13, 4, v2
	s_mov_b32 s13, 0
	v_lshl_add_u32 v9, s14, 4, v1
	s_delay_alu instid0(VALU_DEP_3)
	v_dual_mov_b32 v8, v6 :: v_dual_mov_b32 v7, v5
	s_waitcnt lgkmcnt(0)
	s_cmp_lt_i32 s12, 1
	s_cbranch_scc1 .LBB269_3
; %bb.1:
	s_clause 0x3
	s_load_b32 s14, s[0:1], 0x38
	s_load_b64 s[16:17], s[0:1], 0x40
	s_load_b32 s18, s[0:1], 0x20
	s_load_b128 s[8:11], s[0:1], 0x28
	v_lshlrev_b32_e32 v3, 8, v1
	v_dual_mov_b32 v5, 0 :: v_dual_lshlrev_b32 v10, 4, v2
	v_dual_mov_b32 v6, 0 :: v_dual_lshlrev_b32 v7, 4, v1
	s_delay_alu instid0(VALU_DEP_3) | instskip(NEXT) | instid1(VALU_DEP_3)
	v_add_nc_u32_e32 v11, 0x1000, v3
	v_add_nc_u32_e32 v12, v10, v3
	s_waitcnt lgkmcnt(0)
	v_mad_i64_i32 v[1:2], null, s14, v9, 0
	v_mad_i64_i32 v[3:4], null, s18, v0, 0
	s_mul_i32 s14, s17, s15
	s_mul_hi_u32 s17, s16, s15
	s_mul_i32 s16, s16, s15
	s_add_i32 s17, s17, s14
	s_delay_alu instid0(VALU_DEP_2)
	v_lshlrev_b64 v[1:2], 4, v[1:2]
	s_mul_i32 s9, s9, s15
	s_mul_hi_u32 s18, s8, s15
	v_lshlrev_b64 v[3:4], 4, v[3:4]
	s_lshl_b64 s[16:17], s[16:17], 4
	s_mul_i32 s8, s8, s15
	s_add_i32 s9, s18, s9
	v_add_co_u32 v1, vcc_lo, v1, s16
	s_lshl_b64 s[8:9], s[8:9], 4
	v_add_co_ci_u32_e32 v2, vcc_lo, s17, v2, vcc_lo
	v_add_co_u32 v3, vcc_lo, v3, s8
	v_add_co_ci_u32_e32 v4, vcc_lo, s9, v4, vcc_lo
	v_add_co_u32 v1, vcc_lo, v1, v10
	s_delay_alu instid0(VALU_DEP_4) | instskip(NEXT) | instid1(VALU_DEP_4)
	v_add_co_ci_u32_e32 v2, vcc_lo, 0, v2, vcc_lo
	v_add_co_u32 v3, vcc_lo, v3, v7
	s_delay_alu instid0(VALU_DEP_4) | instskip(NEXT) | instid1(VALU_DEP_4)
	v_add_co_ci_u32_e32 v4, vcc_lo, 0, v4, vcc_lo
	v_add_co_u32 v1, vcc_lo, s10, v1
	s_delay_alu instid0(VALU_DEP_4) | instskip(NEXT) | instid1(VALU_DEP_4)
	v_add_co_ci_u32_e32 v2, vcc_lo, s11, v2, vcc_lo
	v_add_co_u32 v3, vcc_lo, s2, v3
	v_dual_mov_b32 v8, v6 :: v_dual_mov_b32 v7, v5
	v_add_nc_u32_e32 v13, v11, v10
	v_add_co_ci_u32_e32 v4, vcc_lo, s3, v4, vcc_lo
.LBB269_2:                              ; =>This Inner Loop Header: Depth=1
	global_load_b128 v[14:17], v[3:4], off
	global_load_b128 v[18:21], v[1:2], off
	v_add_co_u32 v1, vcc_lo, 0x100, v1
	v_add_co_ci_u32_e32 v2, vcc_lo, 0, v2, vcc_lo
	v_add_co_u32 v3, vcc_lo, 0x100, v3
	v_add_co_ci_u32_e32 v4, vcc_lo, 0, v4, vcc_lo
	s_add_i32 s13, s13, 16
	s_waitcnt vmcnt(1)
	ds_store_2addr_b64 v12, v[14:15], v[16:17] offset1:1
	s_waitcnt vmcnt(0)
	ds_store_2addr_b64 v13, v[18:19], v[20:21] offset1:1
	s_waitcnt lgkmcnt(0)
	s_barrier
	buffer_gl0_inv
	ds_load_b128 v[14:17], v10
	ds_load_b128 v[18:21], v11
	ds_load_b128 v[22:25], v11 offset:16
	ds_load_b128 v[26:29], v10 offset:256
	s_cmp_lt_i32 s13, s12
	s_waitcnt lgkmcnt(2)
	v_mul_f64 v[30:31], v[20:21], v[16:17]
	v_mul_f64 v[16:17], v[18:19], v[16:17]
	s_waitcnt lgkmcnt(0)
	v_mul_f64 v[36:37], v[24:25], v[28:29]
	v_mul_f64 v[38:39], v[22:23], v[28:29]
	s_delay_alu instid0(VALU_DEP_4) | instskip(NEXT) | instid1(VALU_DEP_4)
	v_fma_f64 v[40:41], v[18:19], v[14:15], -v[30:31]
	v_fma_f64 v[42:43], v[20:21], v[14:15], v[16:17]
	ds_load_b128 v[14:17], v10 offset:512
	ds_load_b128 v[18:21], v11 offset:32
	;; [unrolled: 1-line block ×4, first 2 shown]
	v_fma_f64 v[22:23], v[22:23], v[26:27], -v[36:37]
	v_fma_f64 v[24:25], v[24:25], v[26:27], v[38:39]
	s_waitcnt lgkmcnt(2)
	v_mul_f64 v[44:45], v[20:21], v[16:17]
	v_mul_f64 v[16:17], v[18:19], v[16:17]
	s_waitcnt lgkmcnt(0)
	v_mul_f64 v[26:27], v[30:31], v[34:35]
	v_mul_f64 v[34:35], v[28:29], v[34:35]
	v_add_f64 v[7:8], v[7:8], v[40:41]
	v_add_f64 v[5:6], v[5:6], v[42:43]
	v_fma_f64 v[36:37], v[18:19], v[14:15], -v[44:45]
	v_fma_f64 v[38:39], v[20:21], v[14:15], v[16:17]
	v_fma_f64 v[26:27], v[28:29], v[32:33], -v[26:27]
	v_fma_f64 v[28:29], v[30:31], v[32:33], v[34:35]
	v_add_f64 v[40:41], v[7:8], v[22:23]
	v_add_f64 v[42:43], v[5:6], v[24:25]
	ds_load_b128 v[5:8], v10 offset:1024
	ds_load_b128 v[14:17], v11 offset:64
	;; [unrolled: 1-line block ×4, first 2 shown]
	s_waitcnt lgkmcnt(2)
	v_mul_f64 v[44:45], v[16:17], v[7:8]
	v_mul_f64 v[7:8], v[14:15], v[7:8]
	s_waitcnt lgkmcnt(0)
	v_mul_f64 v[34:35], v[20:21], v[24:25]
	v_add_f64 v[30:31], v[40:41], v[36:37]
	v_add_f64 v[32:33], v[42:43], v[38:39]
	v_mul_f64 v[36:37], v[18:19], v[24:25]
	v_fma_f64 v[38:39], v[14:15], v[5:6], -v[44:45]
	v_fma_f64 v[40:41], v[16:17], v[5:6], v[7:8]
	v_fma_f64 v[18:19], v[18:19], v[22:23], -v[34:35]
	v_add_f64 v[42:43], v[30:31], v[26:27]
	v_add_f64 v[32:33], v[32:33], v[28:29]
	ds_load_b128 v[5:8], v10 offset:1536
	ds_load_b128 v[14:17], v11 offset:96
	;; [unrolled: 1-line block ×4, first 2 shown]
	v_fma_f64 v[20:21], v[20:21], v[22:23], v[36:37]
	s_waitcnt lgkmcnt(2)
	v_mul_f64 v[44:45], v[16:17], v[7:8]
	v_mul_f64 v[7:8], v[14:15], v[7:8]
	s_waitcnt lgkmcnt(0)
	v_mul_f64 v[34:35], v[26:27], v[30:31]
	v_mul_f64 v[36:37], v[24:25], v[30:31]
	v_add_f64 v[22:23], v[42:43], v[38:39]
	v_add_f64 v[32:33], v[32:33], v[40:41]
	v_fma_f64 v[38:39], v[14:15], v[5:6], -v[44:45]
	v_fma_f64 v[40:41], v[16:17], v[5:6], v[7:8]
	v_fma_f64 v[24:25], v[24:25], v[28:29], -v[34:35]
	v_fma_f64 v[26:27], v[26:27], v[28:29], v[36:37]
	v_add_f64 v[22:23], v[22:23], v[18:19]
	v_add_f64 v[42:43], v[32:33], v[20:21]
	ds_load_b128 v[5:8], v10 offset:2048
	ds_load_b128 v[14:17], v11 offset:128
	;; [unrolled: 1-line block ×4, first 2 shown]
	s_waitcnt lgkmcnt(2)
	v_mul_f64 v[44:45], v[16:17], v[7:8]
	v_mul_f64 v[7:8], v[14:15], v[7:8]
	s_waitcnt lgkmcnt(0)
	v_mul_f64 v[34:35], v[20:21], v[32:33]
	v_mul_f64 v[32:33], v[18:19], v[32:33]
	v_add_f64 v[22:23], v[22:23], v[38:39]
	v_add_f64 v[28:29], v[42:43], v[40:41]
	v_fma_f64 v[36:37], v[14:15], v[5:6], -v[44:45]
	v_fma_f64 v[38:39], v[16:17], v[5:6], v[7:8]
	v_fma_f64 v[18:19], v[18:19], v[30:31], -v[34:35]
	v_fma_f64 v[20:21], v[20:21], v[30:31], v[32:33]
	v_add_f64 v[40:41], v[22:23], v[24:25]
	v_add_f64 v[42:43], v[28:29], v[26:27]
	ds_load_b128 v[5:8], v10 offset:2560
	ds_load_b128 v[14:17], v11 offset:160
	;; [unrolled: 1-line block ×4, first 2 shown]
	s_waitcnt lgkmcnt(2)
	v_mul_f64 v[44:45], v[16:17], v[7:8]
	v_mul_f64 v[7:8], v[14:15], v[7:8]
	s_waitcnt lgkmcnt(0)
	v_mul_f64 v[34:35], v[24:25], v[28:29]
	v_add_f64 v[30:31], v[40:41], v[36:37]
	v_add_f64 v[32:33], v[42:43], v[38:39]
	v_mul_f64 v[36:37], v[22:23], v[28:29]
	v_fma_f64 v[38:39], v[14:15], v[5:6], -v[44:45]
	v_fma_f64 v[40:41], v[16:17], v[5:6], v[7:8]
	v_fma_f64 v[22:23], v[22:23], v[26:27], -v[34:35]
	v_add_f64 v[42:43], v[30:31], v[18:19]
	v_add_f64 v[32:33], v[32:33], v[20:21]
	ds_load_b128 v[5:8], v10 offset:3072
	ds_load_b128 v[14:17], v11 offset:192
	;; [unrolled: 1-line block ×4, first 2 shown]
	v_fma_f64 v[24:25], v[24:25], v[26:27], v[36:37]
	s_waitcnt lgkmcnt(2)
	v_mul_f64 v[44:45], v[16:17], v[7:8]
	v_mul_f64 v[7:8], v[14:15], v[7:8]
	s_waitcnt lgkmcnt(0)
	v_mul_f64 v[34:35], v[20:21], v[30:31]
	v_mul_f64 v[36:37], v[18:19], v[30:31]
	v_add_f64 v[26:27], v[42:43], v[38:39]
	v_add_f64 v[32:33], v[32:33], v[40:41]
	v_fma_f64 v[38:39], v[14:15], v[5:6], -v[44:45]
	v_fma_f64 v[40:41], v[16:17], v[5:6], v[7:8]
	v_fma_f64 v[18:19], v[18:19], v[28:29], -v[34:35]
	v_fma_f64 v[20:21], v[20:21], v[28:29], v[36:37]
	v_add_f64 v[26:27], v[26:27], v[22:23]
	v_add_f64 v[42:43], v[32:33], v[24:25]
	ds_load_b128 v[5:8], v10 offset:3584
	ds_load_b128 v[14:17], v11 offset:224
	;; [unrolled: 1-line block ×4, first 2 shown]
	s_waitcnt lgkmcnt(0)
	s_barrier
	buffer_gl0_inv
	v_mul_f64 v[44:45], v[16:17], v[7:8]
	v_mul_f64 v[7:8], v[14:15], v[7:8]
	;; [unrolled: 1-line block ×4, first 2 shown]
	v_add_f64 v[26:27], v[26:27], v[38:39]
	v_add_f64 v[28:29], v[42:43], v[40:41]
	v_fma_f64 v[14:15], v[14:15], v[5:6], -v[44:45]
	v_fma_f64 v[5:6], v[16:17], v[5:6], v[7:8]
	s_delay_alu instid0(VALU_DEP_4) | instskip(NEXT) | instid1(VALU_DEP_4)
	v_add_f64 v[7:8], v[26:27], v[18:19]
	v_add_f64 v[16:17], v[28:29], v[20:21]
	v_fma_f64 v[18:19], v[22:23], v[30:31], -v[34:35]
	v_fma_f64 v[20:21], v[24:25], v[30:31], v[32:33]
	s_delay_alu instid0(VALU_DEP_4) | instskip(NEXT) | instid1(VALU_DEP_4)
	v_add_f64 v[7:8], v[7:8], v[14:15]
	v_add_f64 v[5:6], v[16:17], v[5:6]
	s_delay_alu instid0(VALU_DEP_2) | instskip(NEXT) | instid1(VALU_DEP_2)
	v_add_f64 v[7:8], v[7:8], v[18:19]
	v_add_f64 v[5:6], v[5:6], v[20:21]
	s_cbranch_scc1 .LBB269_2
.LBB269_3:
	s_mov_b32 s2, exec_lo
	v_cmpx_le_i32_e64 v9, v0
	s_cbranch_execz .LBB269_5
; %bb.4:
	s_delay_alu instid0(VALU_DEP_2)
	v_mul_f64 v[1:2], s[6:7], v[5:6]
	v_mul_f64 v[4:5], s[4:5], v[5:6]
	s_clause 0x2
	s_load_b64 s[2:3], s[0:1], 0x68
	s_load_b32 s8, s[0:1], 0x60
	s_load_b64 s[0:1], s[0:1], 0x58
	s_waitcnt lgkmcnt(0)
	s_mul_i32 s3, s15, s3
	s_delay_alu instid0(VALU_DEP_2) | instskip(NEXT) | instid1(VALU_DEP_2)
	v_fma_f64 v[2:3], s[4:5], v[7:8], -v[1:2]
	v_fma_f64 v[4:5], s[6:7], v[7:8], v[4:5]
	v_mad_i64_i32 v[6:7], null, s8, v9, 0
	s_mul_hi_u32 s4, s15, s2
	s_mul_i32 s2, s15, s2
	s_add_i32 s3, s4, s3
	v_ashrrev_i32_e32 v1, 31, v0
	s_lshl_b64 s[2:3], s[2:3], 4
	s_delay_alu instid0(VALU_DEP_2) | instskip(SKIP_1) | instid1(VALU_DEP_2)
	v_lshlrev_b64 v[6:7], 4, v[6:7]
	s_add_u32 s0, s0, s2
	v_lshlrev_b64 v[0:1], 4, v[0:1]
	s_addc_u32 s1, s1, s3
	s_delay_alu instid0(VALU_DEP_2) | instskip(NEXT) | instid1(VALU_DEP_3)
	v_add_co_u32 v6, vcc_lo, s0, v6
	v_add_co_ci_u32_e32 v7, vcc_lo, s1, v7, vcc_lo
	s_delay_alu instid0(VALU_DEP_2) | instskip(NEXT) | instid1(VALU_DEP_2)
	v_add_co_u32 v0, vcc_lo, v6, v0
	v_add_co_ci_u32_e32 v1, vcc_lo, v7, v1, vcc_lo
	global_store_b128 v[0:1], v[2:5], off
.LBB269_5:
	s_nop 0
	s_sendmsg sendmsg(MSG_DEALLOC_VGPRS)
	s_endpgm
	.section	.rodata,"a",@progbits
	.p2align	6, 0x0
	.amdhsa_kernel _ZL41rocblas_syrkx_herkx_small_restrict_kernelIi19rocblas_complex_numIdELi16ELb1ELb0ELc84ELc76EKS1_S1_EviT_T0_PT6_S3_lS6_S3_lS4_PT7_S3_li
		.amdhsa_group_segment_fixed_size 8192
		.amdhsa_private_segment_fixed_size 0
		.amdhsa_kernarg_size 116
		.amdhsa_user_sgpr_count 13
		.amdhsa_user_sgpr_dispatch_ptr 0
		.amdhsa_user_sgpr_queue_ptr 0
		.amdhsa_user_sgpr_kernarg_segment_ptr 1
		.amdhsa_user_sgpr_dispatch_id 0
		.amdhsa_user_sgpr_private_segment_size 0
		.amdhsa_wavefront_size32 1
		.amdhsa_uses_dynamic_stack 0
		.amdhsa_enable_private_segment 0
		.amdhsa_system_sgpr_workgroup_id_x 1
		.amdhsa_system_sgpr_workgroup_id_y 1
		.amdhsa_system_sgpr_workgroup_id_z 1
		.amdhsa_system_sgpr_workgroup_info 0
		.amdhsa_system_vgpr_workitem_id 1
		.amdhsa_next_free_vgpr 46
		.amdhsa_next_free_sgpr 19
		.amdhsa_reserve_vcc 1
		.amdhsa_float_round_mode_32 0
		.amdhsa_float_round_mode_16_64 0
		.amdhsa_float_denorm_mode_32 3
		.amdhsa_float_denorm_mode_16_64 3
		.amdhsa_dx10_clamp 1
		.amdhsa_ieee_mode 1
		.amdhsa_fp16_overflow 0
		.amdhsa_workgroup_processor_mode 1
		.amdhsa_memory_ordered 1
		.amdhsa_forward_progress 0
		.amdhsa_shared_vgpr_count 0
		.amdhsa_exception_fp_ieee_invalid_op 0
		.amdhsa_exception_fp_denorm_src 0
		.amdhsa_exception_fp_ieee_div_zero 0
		.amdhsa_exception_fp_ieee_overflow 0
		.amdhsa_exception_fp_ieee_underflow 0
		.amdhsa_exception_fp_ieee_inexact 0
		.amdhsa_exception_int_div_zero 0
	.end_amdhsa_kernel
	.section	.text._ZL41rocblas_syrkx_herkx_small_restrict_kernelIi19rocblas_complex_numIdELi16ELb1ELb0ELc84ELc76EKS1_S1_EviT_T0_PT6_S3_lS6_S3_lS4_PT7_S3_li,"axG",@progbits,_ZL41rocblas_syrkx_herkx_small_restrict_kernelIi19rocblas_complex_numIdELi16ELb1ELb0ELc84ELc76EKS1_S1_EviT_T0_PT6_S3_lS6_S3_lS4_PT7_S3_li,comdat
.Lfunc_end269:
	.size	_ZL41rocblas_syrkx_herkx_small_restrict_kernelIi19rocblas_complex_numIdELi16ELb1ELb0ELc84ELc76EKS1_S1_EviT_T0_PT6_S3_lS6_S3_lS4_PT7_S3_li, .Lfunc_end269-_ZL41rocblas_syrkx_herkx_small_restrict_kernelIi19rocblas_complex_numIdELi16ELb1ELb0ELc84ELc76EKS1_S1_EviT_T0_PT6_S3_lS6_S3_lS4_PT7_S3_li
                                        ; -- End function
	.section	.AMDGPU.csdata,"",@progbits
; Kernel info:
; codeLenInByte = 1760
; NumSgprs: 21
; NumVgprs: 46
; ScratchSize: 0
; MemoryBound: 0
; FloatMode: 240
; IeeeMode: 1
; LDSByteSize: 8192 bytes/workgroup (compile time only)
; SGPRBlocks: 2
; VGPRBlocks: 5
; NumSGPRsForWavesPerEU: 21
; NumVGPRsForWavesPerEU: 46
; Occupancy: 16
; WaveLimiterHint : 0
; COMPUTE_PGM_RSRC2:SCRATCH_EN: 0
; COMPUTE_PGM_RSRC2:USER_SGPR: 13
; COMPUTE_PGM_RSRC2:TRAP_HANDLER: 0
; COMPUTE_PGM_RSRC2:TGID_X_EN: 1
; COMPUTE_PGM_RSRC2:TGID_Y_EN: 1
; COMPUTE_PGM_RSRC2:TGID_Z_EN: 1
; COMPUTE_PGM_RSRC2:TIDIG_COMP_CNT: 1
	.section	.text._ZL41rocblas_syrkx_herkx_small_restrict_kernelIi19rocblas_complex_numIdELi16ELb1ELb0ELc67ELc76EKS1_S1_EviT_T0_PT6_S3_lS6_S3_lS4_PT7_S3_li,"axG",@progbits,_ZL41rocblas_syrkx_herkx_small_restrict_kernelIi19rocblas_complex_numIdELi16ELb1ELb0ELc67ELc76EKS1_S1_EviT_T0_PT6_S3_lS6_S3_lS4_PT7_S3_li,comdat
	.globl	_ZL41rocblas_syrkx_herkx_small_restrict_kernelIi19rocblas_complex_numIdELi16ELb1ELb0ELc67ELc76EKS1_S1_EviT_T0_PT6_S3_lS6_S3_lS4_PT7_S3_li ; -- Begin function _ZL41rocblas_syrkx_herkx_small_restrict_kernelIi19rocblas_complex_numIdELi16ELb1ELb0ELc67ELc76EKS1_S1_EviT_T0_PT6_S3_lS6_S3_lS4_PT7_S3_li
	.p2align	8
	.type	_ZL41rocblas_syrkx_herkx_small_restrict_kernelIi19rocblas_complex_numIdELi16ELb1ELb0ELc67ELc76EKS1_S1_EviT_T0_PT6_S3_lS6_S3_lS4_PT7_S3_li,@function
_ZL41rocblas_syrkx_herkx_small_restrict_kernelIi19rocblas_complex_numIdELi16ELb1ELb0ELc67ELc76EKS1_S1_EviT_T0_PT6_S3_lS6_S3_lS4_PT7_S3_li: ; @_ZL41rocblas_syrkx_herkx_small_restrict_kernelIi19rocblas_complex_numIdELi16ELb1ELb0ELc67ELc76EKS1_S1_EviT_T0_PT6_S3_lS6_S3_lS4_PT7_S3_li
; %bb.0:
	s_clause 0x2
	s_load_b32 s12, s[0:1], 0x4
	s_load_b128 s[4:7], s[0:1], 0x8
	s_load_b64 s[2:3], s[0:1], 0x18
	v_dual_mov_b32 v5, 0 :: v_dual_and_b32 v2, 0x3ff, v0
	v_bfe_u32 v1, v0, 10, 10
	v_mov_b32_e32 v6, 0
	s_delay_alu instid0(VALU_DEP_3) | instskip(SKIP_1) | instid1(VALU_DEP_3)
	v_lshl_add_u32 v0, s13, 4, v2
	s_mov_b32 s13, 0
	v_lshl_add_u32 v9, s14, 4, v1
	s_delay_alu instid0(VALU_DEP_3)
	v_dual_mov_b32 v8, v6 :: v_dual_mov_b32 v7, v5
	s_waitcnt lgkmcnt(0)
	s_cmp_lt_i32 s12, 1
	s_cbranch_scc1 .LBB270_3
; %bb.1:
	s_clause 0x3
	s_load_b32 s14, s[0:1], 0x38
	s_load_b32 s18, s[0:1], 0x20
	s_load_b64 s[16:17], s[0:1], 0x40
	s_load_b128 s[8:11], s[0:1], 0x28
	v_lshlrev_b32_e32 v3, 8, v1
	v_lshlrev_b32_e32 v10, 4, v2
	;; [unrolled: 1-line block ×3, first 2 shown]
	s_delay_alu instid0(VALU_DEP_3) | instskip(NEXT) | instid1(VALU_DEP_3)
	v_add_nc_u32_e32 v11, 0x1000, v3
	v_add_nc_u32_e32 v12, v10, v3
	s_waitcnt lgkmcnt(0)
	v_mad_i64_i32 v[1:2], null, s14, v9, 0
	v_mad_i64_i32 v[3:4], null, s18, v0, 0
	s_mul_i32 s9, s9, s15
	s_mul_hi_u32 s18, s8, s15
	s_mul_i32 s8, s8, s15
	s_add_i32 s9, s18, s9
	s_mul_i32 s14, s17, s15
	s_mul_hi_u32 s17, s16, s15
	s_delay_alu instid0(VALU_DEP_1) | instskip(SKIP_4) | instid1(VALU_DEP_2)
	v_lshlrev_b64 v[3:4], 4, v[3:4]
	v_lshlrev_b64 v[1:2], 4, v[1:2]
	s_lshl_b64 s[8:9], s[8:9], 4
	s_mul_i32 s16, s16, s15
	s_add_i32 s17, s17, s14
	v_add_co_u32 v3, vcc_lo, v3, s8
	s_lshl_b64 s[16:17], s[16:17], 4
	v_add_co_ci_u32_e32 v4, vcc_lo, s9, v4, vcc_lo
	v_add_co_u32 v1, vcc_lo, v1, s16
	v_add_co_ci_u32_e32 v2, vcc_lo, s17, v2, vcc_lo
	v_add_co_u32 v3, vcc_lo, v3, v5
	s_delay_alu instid0(VALU_DEP_4)
	v_add_co_ci_u32_e32 v4, vcc_lo, 0, v4, vcc_lo
	v_mov_b32_e32 v5, 0
	v_add_co_u32 v1, vcc_lo, v1, v10
	v_add_co_ci_u32_e32 v2, vcc_lo, 0, v2, vcc_lo
	v_add_co_u32 v3, vcc_lo, v3, s2
	v_add_co_ci_u32_e32 v4, vcc_lo, s3, v4, vcc_lo
	v_mov_b32_e32 v6, 0
	v_add_co_u32 v1, vcc_lo, s10, v1
	v_add_co_ci_u32_e32 v2, vcc_lo, s11, v2, vcc_lo
	v_add_co_u32 v3, vcc_lo, v3, 8
	s_delay_alu instid0(VALU_DEP_4)
	v_dual_mov_b32 v8, v6 :: v_dual_mov_b32 v7, v5
	v_add_nc_u32_e32 v13, v11, v10
	v_add_co_ci_u32_e32 v4, vcc_lo, 0, v4, vcc_lo
.LBB270_2:                              ; =>This Inner Loop Header: Depth=1
	global_load_b128 v[14:17], v[3:4], off offset:-8
	global_load_b128 v[18:21], v[1:2], off
	v_add_co_u32 v1, vcc_lo, 0x100, v1
	v_add_co_ci_u32_e32 v2, vcc_lo, 0, v2, vcc_lo
	v_add_co_u32 v3, vcc_lo, 0x100, v3
	v_add_co_ci_u32_e32 v4, vcc_lo, 0, v4, vcc_lo
	s_add_i32 s13, s13, 16
	s_waitcnt vmcnt(1)
	ds_store_b128 v12, v[14:17]
	s_waitcnt vmcnt(0)
	ds_store_2addr_b64 v13, v[18:19], v[20:21] offset1:1
	s_waitcnt lgkmcnt(0)
	s_barrier
	buffer_gl0_inv
	ds_load_b128 v[14:17], v10
	ds_load_b128 v[18:21], v11
	ds_load_b128 v[22:25], v11 offset:16
	ds_load_b128 v[26:29], v10 offset:256
	s_cmp_lt_i32 s13, s12
	s_waitcnt lgkmcnt(2)
	v_mul_f64 v[30:31], v[20:21], v[16:17]
	v_mul_f64 v[16:17], v[18:19], v[16:17]
	s_waitcnt lgkmcnt(0)
	v_mul_f64 v[36:37], v[24:25], v[28:29]
	v_mul_f64 v[38:39], v[22:23], v[28:29]
	s_delay_alu instid0(VALU_DEP_4) | instskip(NEXT) | instid1(VALU_DEP_4)
	v_fma_f64 v[40:41], v[18:19], v[14:15], -v[30:31]
	v_fma_f64 v[42:43], v[20:21], v[14:15], v[16:17]
	ds_load_b128 v[14:17], v10 offset:512
	ds_load_b128 v[18:21], v11 offset:32
	ds_load_b128 v[28:31], v11 offset:48
	ds_load_b128 v[32:35], v10 offset:768
	v_fma_f64 v[22:23], v[22:23], v[26:27], -v[36:37]
	v_fma_f64 v[24:25], v[24:25], v[26:27], v[38:39]
	s_waitcnt lgkmcnt(2)
	v_mul_f64 v[44:45], v[20:21], v[16:17]
	v_mul_f64 v[16:17], v[18:19], v[16:17]
	s_waitcnt lgkmcnt(0)
	v_mul_f64 v[26:27], v[30:31], v[34:35]
	v_mul_f64 v[34:35], v[28:29], v[34:35]
	v_add_f64 v[7:8], v[7:8], v[40:41]
	v_add_f64 v[5:6], v[5:6], v[42:43]
	v_fma_f64 v[36:37], v[18:19], v[14:15], -v[44:45]
	v_fma_f64 v[38:39], v[20:21], v[14:15], v[16:17]
	v_fma_f64 v[26:27], v[28:29], v[32:33], -v[26:27]
	v_fma_f64 v[28:29], v[30:31], v[32:33], v[34:35]
	v_add_f64 v[40:41], v[7:8], v[22:23]
	v_add_f64 v[42:43], v[5:6], v[24:25]
	ds_load_b128 v[5:8], v10 offset:1024
	ds_load_b128 v[14:17], v11 offset:64
	;; [unrolled: 1-line block ×4, first 2 shown]
	s_waitcnt lgkmcnt(2)
	v_mul_f64 v[44:45], v[16:17], v[7:8]
	v_mul_f64 v[7:8], v[14:15], v[7:8]
	s_waitcnt lgkmcnt(0)
	v_mul_f64 v[34:35], v[20:21], v[24:25]
	v_add_f64 v[30:31], v[40:41], v[36:37]
	v_add_f64 v[32:33], v[42:43], v[38:39]
	v_mul_f64 v[36:37], v[18:19], v[24:25]
	v_fma_f64 v[38:39], v[14:15], v[5:6], -v[44:45]
	v_fma_f64 v[40:41], v[16:17], v[5:6], v[7:8]
	v_fma_f64 v[18:19], v[18:19], v[22:23], -v[34:35]
	v_add_f64 v[42:43], v[30:31], v[26:27]
	v_add_f64 v[32:33], v[32:33], v[28:29]
	ds_load_b128 v[5:8], v10 offset:1536
	ds_load_b128 v[14:17], v11 offset:96
	;; [unrolled: 1-line block ×4, first 2 shown]
	v_fma_f64 v[20:21], v[20:21], v[22:23], v[36:37]
	s_waitcnt lgkmcnt(2)
	v_mul_f64 v[44:45], v[16:17], v[7:8]
	v_mul_f64 v[7:8], v[14:15], v[7:8]
	s_waitcnt lgkmcnt(0)
	v_mul_f64 v[34:35], v[26:27], v[30:31]
	v_mul_f64 v[36:37], v[24:25], v[30:31]
	v_add_f64 v[22:23], v[42:43], v[38:39]
	v_add_f64 v[32:33], v[32:33], v[40:41]
	v_fma_f64 v[38:39], v[14:15], v[5:6], -v[44:45]
	v_fma_f64 v[40:41], v[16:17], v[5:6], v[7:8]
	v_fma_f64 v[24:25], v[24:25], v[28:29], -v[34:35]
	v_fma_f64 v[26:27], v[26:27], v[28:29], v[36:37]
	v_add_f64 v[22:23], v[22:23], v[18:19]
	v_add_f64 v[42:43], v[32:33], v[20:21]
	ds_load_b128 v[5:8], v10 offset:2048
	ds_load_b128 v[14:17], v11 offset:128
	;; [unrolled: 1-line block ×4, first 2 shown]
	s_waitcnt lgkmcnt(2)
	v_mul_f64 v[44:45], v[16:17], v[7:8]
	v_mul_f64 v[7:8], v[14:15], v[7:8]
	s_waitcnt lgkmcnt(0)
	v_mul_f64 v[34:35], v[20:21], v[32:33]
	v_mul_f64 v[32:33], v[18:19], v[32:33]
	v_add_f64 v[22:23], v[22:23], v[38:39]
	v_add_f64 v[28:29], v[42:43], v[40:41]
	v_fma_f64 v[36:37], v[14:15], v[5:6], -v[44:45]
	v_fma_f64 v[38:39], v[16:17], v[5:6], v[7:8]
	v_fma_f64 v[18:19], v[18:19], v[30:31], -v[34:35]
	v_fma_f64 v[20:21], v[20:21], v[30:31], v[32:33]
	v_add_f64 v[40:41], v[22:23], v[24:25]
	v_add_f64 v[42:43], v[28:29], v[26:27]
	ds_load_b128 v[5:8], v10 offset:2560
	ds_load_b128 v[14:17], v11 offset:160
	ds_load_b128 v[22:25], v11 offset:176
	ds_load_b128 v[26:29], v10 offset:2816
	s_waitcnt lgkmcnt(2)
	v_mul_f64 v[44:45], v[16:17], v[7:8]
	v_mul_f64 v[7:8], v[14:15], v[7:8]
	s_waitcnt lgkmcnt(0)
	v_mul_f64 v[34:35], v[24:25], v[28:29]
	v_add_f64 v[30:31], v[40:41], v[36:37]
	v_add_f64 v[32:33], v[42:43], v[38:39]
	v_mul_f64 v[36:37], v[22:23], v[28:29]
	v_fma_f64 v[38:39], v[14:15], v[5:6], -v[44:45]
	v_fma_f64 v[40:41], v[16:17], v[5:6], v[7:8]
	v_fma_f64 v[22:23], v[22:23], v[26:27], -v[34:35]
	v_add_f64 v[42:43], v[30:31], v[18:19]
	v_add_f64 v[32:33], v[32:33], v[20:21]
	ds_load_b128 v[5:8], v10 offset:3072
	ds_load_b128 v[14:17], v11 offset:192
	;; [unrolled: 1-line block ×4, first 2 shown]
	v_fma_f64 v[24:25], v[24:25], v[26:27], v[36:37]
	s_waitcnt lgkmcnt(2)
	v_mul_f64 v[44:45], v[16:17], v[7:8]
	v_mul_f64 v[7:8], v[14:15], v[7:8]
	s_waitcnt lgkmcnt(0)
	v_mul_f64 v[34:35], v[20:21], v[30:31]
	v_mul_f64 v[36:37], v[18:19], v[30:31]
	v_add_f64 v[26:27], v[42:43], v[38:39]
	v_add_f64 v[32:33], v[32:33], v[40:41]
	v_fma_f64 v[38:39], v[14:15], v[5:6], -v[44:45]
	v_fma_f64 v[40:41], v[16:17], v[5:6], v[7:8]
	v_fma_f64 v[18:19], v[18:19], v[28:29], -v[34:35]
	v_fma_f64 v[20:21], v[20:21], v[28:29], v[36:37]
	v_add_f64 v[26:27], v[26:27], v[22:23]
	v_add_f64 v[42:43], v[32:33], v[24:25]
	ds_load_b128 v[5:8], v10 offset:3584
	ds_load_b128 v[14:17], v11 offset:224
	;; [unrolled: 1-line block ×4, first 2 shown]
	s_waitcnt lgkmcnt(0)
	s_barrier
	buffer_gl0_inv
	v_mul_f64 v[44:45], v[16:17], v[7:8]
	v_mul_f64 v[7:8], v[14:15], v[7:8]
	;; [unrolled: 1-line block ×4, first 2 shown]
	v_add_f64 v[26:27], v[26:27], v[38:39]
	v_add_f64 v[28:29], v[42:43], v[40:41]
	v_fma_f64 v[14:15], v[14:15], v[5:6], -v[44:45]
	v_fma_f64 v[5:6], v[16:17], v[5:6], v[7:8]
	s_delay_alu instid0(VALU_DEP_4) | instskip(NEXT) | instid1(VALU_DEP_4)
	v_add_f64 v[7:8], v[26:27], v[18:19]
	v_add_f64 v[16:17], v[28:29], v[20:21]
	v_fma_f64 v[18:19], v[22:23], v[30:31], -v[34:35]
	v_fma_f64 v[20:21], v[24:25], v[30:31], v[32:33]
	s_delay_alu instid0(VALU_DEP_4) | instskip(NEXT) | instid1(VALU_DEP_4)
	v_add_f64 v[7:8], v[7:8], v[14:15]
	v_add_f64 v[5:6], v[16:17], v[5:6]
	s_delay_alu instid0(VALU_DEP_2) | instskip(NEXT) | instid1(VALU_DEP_2)
	v_add_f64 v[7:8], v[7:8], v[18:19]
	v_add_f64 v[5:6], v[5:6], v[20:21]
	s_cbranch_scc1 .LBB270_2
.LBB270_3:
	s_mov_b32 s2, exec_lo
	v_cmpx_le_i32_e64 v9, v0
	s_cbranch_execz .LBB270_5
; %bb.4:
	s_delay_alu instid0(VALU_DEP_2)
	v_mul_f64 v[1:2], s[6:7], v[5:6]
	v_mul_f64 v[4:5], s[4:5], v[5:6]
	s_clause 0x2
	s_load_b64 s[2:3], s[0:1], 0x68
	s_load_b32 s8, s[0:1], 0x60
	s_load_b64 s[0:1], s[0:1], 0x58
	s_waitcnt lgkmcnt(0)
	s_mul_i32 s3, s15, s3
	s_delay_alu instid0(VALU_DEP_2) | instskip(NEXT) | instid1(VALU_DEP_2)
	v_fma_f64 v[2:3], s[4:5], v[7:8], -v[1:2]
	v_fma_f64 v[4:5], s[6:7], v[7:8], v[4:5]
	v_mad_i64_i32 v[6:7], null, s8, v9, 0
	s_mul_hi_u32 s4, s15, s2
	s_mul_i32 s2, s15, s2
	s_add_i32 s3, s4, s3
	v_ashrrev_i32_e32 v1, 31, v0
	s_lshl_b64 s[2:3], s[2:3], 4
	s_delay_alu instid0(VALU_DEP_2) | instskip(SKIP_1) | instid1(VALU_DEP_2)
	v_lshlrev_b64 v[6:7], 4, v[6:7]
	s_add_u32 s0, s0, s2
	v_lshlrev_b64 v[0:1], 4, v[0:1]
	s_addc_u32 s1, s1, s3
	s_delay_alu instid0(VALU_DEP_2) | instskip(NEXT) | instid1(VALU_DEP_3)
	v_add_co_u32 v6, vcc_lo, s0, v6
	v_add_co_ci_u32_e32 v7, vcc_lo, s1, v7, vcc_lo
	s_delay_alu instid0(VALU_DEP_2) | instskip(NEXT) | instid1(VALU_DEP_2)
	v_add_co_u32 v0, vcc_lo, v6, v0
	v_add_co_ci_u32_e32 v1, vcc_lo, v7, v1, vcc_lo
	global_store_b128 v[0:1], v[2:5], off
.LBB270_5:
	s_nop 0
	s_sendmsg sendmsg(MSG_DEALLOC_VGPRS)
	s_endpgm
	.section	.rodata,"a",@progbits
	.p2align	6, 0x0
	.amdhsa_kernel _ZL41rocblas_syrkx_herkx_small_restrict_kernelIi19rocblas_complex_numIdELi16ELb1ELb0ELc67ELc76EKS1_S1_EviT_T0_PT6_S3_lS6_S3_lS4_PT7_S3_li
		.amdhsa_group_segment_fixed_size 8192
		.amdhsa_private_segment_fixed_size 0
		.amdhsa_kernarg_size 116
		.amdhsa_user_sgpr_count 13
		.amdhsa_user_sgpr_dispatch_ptr 0
		.amdhsa_user_sgpr_queue_ptr 0
		.amdhsa_user_sgpr_kernarg_segment_ptr 1
		.amdhsa_user_sgpr_dispatch_id 0
		.amdhsa_user_sgpr_private_segment_size 0
		.amdhsa_wavefront_size32 1
		.amdhsa_uses_dynamic_stack 0
		.amdhsa_enable_private_segment 0
		.amdhsa_system_sgpr_workgroup_id_x 1
		.amdhsa_system_sgpr_workgroup_id_y 1
		.amdhsa_system_sgpr_workgroup_id_z 1
		.amdhsa_system_sgpr_workgroup_info 0
		.amdhsa_system_vgpr_workitem_id 1
		.amdhsa_next_free_vgpr 46
		.amdhsa_next_free_sgpr 19
		.amdhsa_reserve_vcc 1
		.amdhsa_float_round_mode_32 0
		.amdhsa_float_round_mode_16_64 0
		.amdhsa_float_denorm_mode_32 3
		.amdhsa_float_denorm_mode_16_64 3
		.amdhsa_dx10_clamp 1
		.amdhsa_ieee_mode 1
		.amdhsa_fp16_overflow 0
		.amdhsa_workgroup_processor_mode 1
		.amdhsa_memory_ordered 1
		.amdhsa_forward_progress 0
		.amdhsa_shared_vgpr_count 0
		.amdhsa_exception_fp_ieee_invalid_op 0
		.amdhsa_exception_fp_denorm_src 0
		.amdhsa_exception_fp_ieee_div_zero 0
		.amdhsa_exception_fp_ieee_overflow 0
		.amdhsa_exception_fp_ieee_underflow 0
		.amdhsa_exception_fp_ieee_inexact 0
		.amdhsa_exception_int_div_zero 0
	.end_amdhsa_kernel
	.section	.text._ZL41rocblas_syrkx_herkx_small_restrict_kernelIi19rocblas_complex_numIdELi16ELb1ELb0ELc67ELc76EKS1_S1_EviT_T0_PT6_S3_lS6_S3_lS4_PT7_S3_li,"axG",@progbits,_ZL41rocblas_syrkx_herkx_small_restrict_kernelIi19rocblas_complex_numIdELi16ELb1ELb0ELc67ELc76EKS1_S1_EviT_T0_PT6_S3_lS6_S3_lS4_PT7_S3_li,comdat
.Lfunc_end270:
	.size	_ZL41rocblas_syrkx_herkx_small_restrict_kernelIi19rocblas_complex_numIdELi16ELb1ELb0ELc67ELc76EKS1_S1_EviT_T0_PT6_S3_lS6_S3_lS4_PT7_S3_li, .Lfunc_end270-_ZL41rocblas_syrkx_herkx_small_restrict_kernelIi19rocblas_complex_numIdELi16ELb1ELb0ELc67ELc76EKS1_S1_EviT_T0_PT6_S3_lS6_S3_lS4_PT7_S3_li
                                        ; -- End function
	.section	.AMDGPU.csdata,"",@progbits
; Kernel info:
; codeLenInByte = 1768
; NumSgprs: 21
; NumVgprs: 46
; ScratchSize: 0
; MemoryBound: 0
; FloatMode: 240
; IeeeMode: 1
; LDSByteSize: 8192 bytes/workgroup (compile time only)
; SGPRBlocks: 2
; VGPRBlocks: 5
; NumSGPRsForWavesPerEU: 21
; NumVGPRsForWavesPerEU: 46
; Occupancy: 16
; WaveLimiterHint : 0
; COMPUTE_PGM_RSRC2:SCRATCH_EN: 0
; COMPUTE_PGM_RSRC2:USER_SGPR: 13
; COMPUTE_PGM_RSRC2:TRAP_HANDLER: 0
; COMPUTE_PGM_RSRC2:TGID_X_EN: 1
; COMPUTE_PGM_RSRC2:TGID_Y_EN: 1
; COMPUTE_PGM_RSRC2:TGID_Z_EN: 1
; COMPUTE_PGM_RSRC2:TIDIG_COMP_CNT: 1
	.section	.text._ZL41rocblas_syrkx_herkx_small_restrict_kernelIi19rocblas_complex_numIdELi16ELb1ELb0ELc78ELc76EKS1_S1_EviT_T0_PT6_S3_lS6_S3_lS4_PT7_S3_li,"axG",@progbits,_ZL41rocblas_syrkx_herkx_small_restrict_kernelIi19rocblas_complex_numIdELi16ELb1ELb0ELc78ELc76EKS1_S1_EviT_T0_PT6_S3_lS6_S3_lS4_PT7_S3_li,comdat
	.globl	_ZL41rocblas_syrkx_herkx_small_restrict_kernelIi19rocblas_complex_numIdELi16ELb1ELb0ELc78ELc76EKS1_S1_EviT_T0_PT6_S3_lS6_S3_lS4_PT7_S3_li ; -- Begin function _ZL41rocblas_syrkx_herkx_small_restrict_kernelIi19rocblas_complex_numIdELi16ELb1ELb0ELc78ELc76EKS1_S1_EviT_T0_PT6_S3_lS6_S3_lS4_PT7_S3_li
	.p2align	8
	.type	_ZL41rocblas_syrkx_herkx_small_restrict_kernelIi19rocblas_complex_numIdELi16ELb1ELb0ELc78ELc76EKS1_S1_EviT_T0_PT6_S3_lS6_S3_lS4_PT7_S3_li,@function
_ZL41rocblas_syrkx_herkx_small_restrict_kernelIi19rocblas_complex_numIdELi16ELb1ELb0ELc78ELc76EKS1_S1_EviT_T0_PT6_S3_lS6_S3_lS4_PT7_S3_li: ; @_ZL41rocblas_syrkx_herkx_small_restrict_kernelIi19rocblas_complex_numIdELi16ELb1ELb0ELc78ELc76EKS1_S1_EviT_T0_PT6_S3_lS6_S3_lS4_PT7_S3_li
; %bb.0:
	s_clause 0x2
	s_load_b32 s12, s[0:1], 0x4
	s_load_b128 s[4:7], s[0:1], 0x8
	s_load_b64 s[2:3], s[0:1], 0x18
	v_and_b32_e32 v5, 0x3ff, v0
	v_mov_b32_e32 v7, 0
	v_mov_b32_e32 v8, 0
	v_bfe_u32 v4, v0, 10, 10
	s_delay_alu instid0(VALU_DEP_4) | instskip(SKIP_1) | instid1(VALU_DEP_3)
	v_lshl_add_u32 v0, s13, 4, v5
	s_mov_b32 s13, 0
	v_dual_mov_b32 v10, v8 :: v_dual_mov_b32 v9, v7
	s_delay_alu instid0(VALU_DEP_3) | instskip(NEXT) | instid1(VALU_DEP_3)
	v_lshl_add_u32 v2, s14, 4, v4
	v_ashrrev_i32_e32 v1, 31, v0
	s_waitcnt lgkmcnt(0)
	s_cmp_lt_i32 s12, 1
	s_cbranch_scc1 .LBB271_3
; %bb.1:
	s_clause 0x3
	s_load_b32 s16, s[0:1], 0x38
	s_load_b64 s[18:19], s[0:1], 0x40
	s_load_b128 s[8:11], s[0:1], 0x28
	s_load_b32 s20, s[0:1], 0x20
	v_lshlrev_b32_e32 v8, 8, v4
	v_lshlrev_b32_e32 v11, 4, v5
	v_ashrrev_i32_e32 v3, 31, v2
	v_lshlrev_b64 v[6:7], 4, v[0:1]
	s_delay_alu instid0(VALU_DEP_4) | instskip(NEXT) | instid1(VALU_DEP_4)
	v_add_nc_u32_e32 v12, 0x1000, v8
	v_add_nc_u32_e32 v13, v11, v8
	s_delay_alu instid0(VALU_DEP_4)
	v_lshlrev_b64 v[8:9], 4, v[2:3]
	s_waitcnt lgkmcnt(0)
	v_mad_i64_i32 v[15:16], null, s16, v5, 0
	s_mul_i32 s14, s19, s15
	s_mul_hi_u32 s19, s18, s15
	v_mad_i64_i32 v[17:18], null, s20, v4, 0
	s_mul_i32 s18, s18, s15
	s_add_i32 s19, s19, s14
	s_delay_alu instid0(VALU_DEP_2)
	v_lshlrev_b64 v[3:4], 4, v[15:16]
	s_lshl_b64 s[18:19], s[18:19], 4
	s_mul_i32 s9, s9, s15
	s_mul_hi_u32 s21, s8, s15
	s_mul_i32 s8, s8, s15
	s_add_i32 s9, s21, s9
	v_add_co_u32 v5, vcc_lo, s18, v3
	v_add_co_ci_u32_e32 v10, vcc_lo, s19, v4, vcc_lo
	v_lshlrev_b64 v[3:4], 4, v[17:18]
	s_delay_alu instid0(VALU_DEP_3) | instskip(SKIP_1) | instid1(VALU_DEP_3)
	v_add_co_u32 v5, vcc_lo, v5, v8
	s_lshl_b64 s[8:9], s[8:9], 4
	v_add_co_ci_u32_e32 v8, vcc_lo, v10, v9, vcc_lo
	s_delay_alu instid0(VALU_DEP_3) | instskip(NEXT) | instid1(VALU_DEP_4)
	v_add_co_u32 v3, vcc_lo, s8, v3
	v_add_co_ci_u32_e32 v4, vcc_lo, s9, v4, vcc_lo
	v_add_co_u32 v5, vcc_lo, v5, s10
	s_delay_alu instid0(VALU_DEP_4) | instskip(NEXT) | instid1(VALU_DEP_4)
	v_add_co_ci_u32_e32 v9, vcc_lo, s11, v8, vcc_lo
	v_add_co_u32 v6, vcc_lo, v3, v6
	s_delay_alu instid0(VALU_DEP_4)
	v_add_co_ci_u32_e32 v10, vcc_lo, v4, v7, vcc_lo
	v_mov_b32_e32 v7, 0
	v_mov_b32_e32 v8, 0
	v_add_co_u32 v3, vcc_lo, v5, 8
	v_add_co_ci_u32_e32 v4, vcc_lo, 0, v9, vcc_lo
	v_add_co_u32 v5, vcc_lo, s2, v6
	v_add_co_ci_u32_e32 v6, vcc_lo, s3, v10, vcc_lo
	v_mov_b32_e32 v10, v8
	v_dual_mov_b32 v9, v7 :: v_dual_add_nc_u32 v14, v12, v11
	s_ashr_i32 s17, s16, 31
	s_ashr_i32 s21, s20, 31
	s_lshl_b64 s[2:3], s[16:17], 8
	s_lshl_b64 s[8:9], s[20:21], 8
.LBB271_2:                              ; =>This Inner Loop Header: Depth=1
	global_load_b128 v[15:18], v[5:6], off
	global_load_b128 v[19:22], v[3:4], off offset:-8
	v_add_co_u32 v3, vcc_lo, v3, s2
	v_add_co_ci_u32_e32 v4, vcc_lo, s3, v4, vcc_lo
	v_add_co_u32 v5, vcc_lo, v5, s8
	v_add_co_ci_u32_e32 v6, vcc_lo, s9, v6, vcc_lo
	s_add_i32 s13, s13, 16
	s_waitcnt vmcnt(1)
	ds_store_2addr_b64 v13, v[15:16], v[17:18] offset1:1
	s_waitcnt vmcnt(0)
	ds_store_b128 v14, v[19:22]
	s_waitcnt lgkmcnt(0)
	s_barrier
	buffer_gl0_inv
	ds_load_b128 v[15:18], v11
	ds_load_b128 v[19:22], v12
	ds_load_b128 v[23:26], v12 offset:16
	ds_load_b128 v[27:30], v11 offset:256
	s_cmp_lt_i32 s13, s12
	s_waitcnt lgkmcnt(2)
	v_mul_f64 v[31:32], v[21:22], v[17:18]
	v_mul_f64 v[17:18], v[19:20], v[17:18]
	s_waitcnt lgkmcnt(0)
	v_mul_f64 v[37:38], v[25:26], v[29:30]
	v_mul_f64 v[39:40], v[23:24], v[29:30]
	s_delay_alu instid0(VALU_DEP_4) | instskip(NEXT) | instid1(VALU_DEP_4)
	v_fma_f64 v[41:42], v[19:20], v[15:16], -v[31:32]
	v_fma_f64 v[43:44], v[21:22], v[15:16], v[17:18]
	ds_load_b128 v[15:18], v11 offset:512
	ds_load_b128 v[19:22], v12 offset:32
	;; [unrolled: 1-line block ×4, first 2 shown]
	v_fma_f64 v[23:24], v[23:24], v[27:28], -v[37:38]
	v_fma_f64 v[25:26], v[25:26], v[27:28], v[39:40]
	s_waitcnt lgkmcnt(2)
	v_mul_f64 v[45:46], v[21:22], v[17:18]
	v_mul_f64 v[17:18], v[19:20], v[17:18]
	s_waitcnt lgkmcnt(0)
	v_mul_f64 v[27:28], v[31:32], v[35:36]
	v_mul_f64 v[35:36], v[29:30], v[35:36]
	v_add_f64 v[9:10], v[9:10], v[41:42]
	v_add_f64 v[7:8], v[7:8], v[43:44]
	v_fma_f64 v[37:38], v[19:20], v[15:16], -v[45:46]
	v_fma_f64 v[39:40], v[21:22], v[15:16], v[17:18]
	v_fma_f64 v[27:28], v[29:30], v[33:34], -v[27:28]
	v_fma_f64 v[29:30], v[31:32], v[33:34], v[35:36]
	v_add_f64 v[41:42], v[9:10], v[23:24]
	v_add_f64 v[43:44], v[7:8], v[25:26]
	ds_load_b128 v[7:10], v11 offset:1024
	ds_load_b128 v[15:18], v12 offset:64
	;; [unrolled: 1-line block ×4, first 2 shown]
	s_waitcnt lgkmcnt(2)
	v_mul_f64 v[45:46], v[17:18], v[9:10]
	v_mul_f64 v[9:10], v[15:16], v[9:10]
	s_waitcnt lgkmcnt(0)
	v_mul_f64 v[35:36], v[21:22], v[25:26]
	v_add_f64 v[31:32], v[41:42], v[37:38]
	v_add_f64 v[33:34], v[43:44], v[39:40]
	v_mul_f64 v[37:38], v[19:20], v[25:26]
	v_fma_f64 v[39:40], v[15:16], v[7:8], -v[45:46]
	v_fma_f64 v[41:42], v[17:18], v[7:8], v[9:10]
	v_fma_f64 v[19:20], v[19:20], v[23:24], -v[35:36]
	v_add_f64 v[43:44], v[31:32], v[27:28]
	v_add_f64 v[33:34], v[33:34], v[29:30]
	ds_load_b128 v[7:10], v11 offset:1536
	ds_load_b128 v[15:18], v12 offset:96
	;; [unrolled: 1-line block ×4, first 2 shown]
	v_fma_f64 v[21:22], v[21:22], v[23:24], v[37:38]
	s_waitcnt lgkmcnt(2)
	v_mul_f64 v[45:46], v[17:18], v[9:10]
	v_mul_f64 v[9:10], v[15:16], v[9:10]
	s_waitcnt lgkmcnt(0)
	v_mul_f64 v[35:36], v[27:28], v[31:32]
	v_mul_f64 v[37:38], v[25:26], v[31:32]
	v_add_f64 v[23:24], v[43:44], v[39:40]
	v_add_f64 v[33:34], v[33:34], v[41:42]
	v_fma_f64 v[39:40], v[15:16], v[7:8], -v[45:46]
	v_fma_f64 v[41:42], v[17:18], v[7:8], v[9:10]
	v_fma_f64 v[25:26], v[25:26], v[29:30], -v[35:36]
	v_fma_f64 v[27:28], v[27:28], v[29:30], v[37:38]
	v_add_f64 v[23:24], v[23:24], v[19:20]
	v_add_f64 v[43:44], v[33:34], v[21:22]
	ds_load_b128 v[7:10], v11 offset:2048
	ds_load_b128 v[15:18], v12 offset:128
	;; [unrolled: 1-line block ×4, first 2 shown]
	s_waitcnt lgkmcnt(2)
	v_mul_f64 v[45:46], v[17:18], v[9:10]
	v_mul_f64 v[9:10], v[15:16], v[9:10]
	s_waitcnt lgkmcnt(0)
	v_mul_f64 v[35:36], v[21:22], v[33:34]
	v_mul_f64 v[33:34], v[19:20], v[33:34]
	v_add_f64 v[23:24], v[23:24], v[39:40]
	v_add_f64 v[29:30], v[43:44], v[41:42]
	v_fma_f64 v[37:38], v[15:16], v[7:8], -v[45:46]
	v_fma_f64 v[39:40], v[17:18], v[7:8], v[9:10]
	v_fma_f64 v[19:20], v[19:20], v[31:32], -v[35:36]
	v_fma_f64 v[21:22], v[21:22], v[31:32], v[33:34]
	v_add_f64 v[41:42], v[23:24], v[25:26]
	v_add_f64 v[43:44], v[29:30], v[27:28]
	ds_load_b128 v[7:10], v11 offset:2560
	ds_load_b128 v[15:18], v12 offset:160
	;; [unrolled: 1-line block ×4, first 2 shown]
	s_waitcnt lgkmcnt(2)
	v_mul_f64 v[45:46], v[17:18], v[9:10]
	v_mul_f64 v[9:10], v[15:16], v[9:10]
	s_waitcnt lgkmcnt(0)
	v_mul_f64 v[35:36], v[25:26], v[29:30]
	v_add_f64 v[31:32], v[41:42], v[37:38]
	v_add_f64 v[33:34], v[43:44], v[39:40]
	v_mul_f64 v[37:38], v[23:24], v[29:30]
	v_fma_f64 v[39:40], v[15:16], v[7:8], -v[45:46]
	v_fma_f64 v[41:42], v[17:18], v[7:8], v[9:10]
	v_fma_f64 v[23:24], v[23:24], v[27:28], -v[35:36]
	v_add_f64 v[43:44], v[31:32], v[19:20]
	v_add_f64 v[33:34], v[33:34], v[21:22]
	ds_load_b128 v[7:10], v11 offset:3072
	ds_load_b128 v[15:18], v12 offset:192
	;; [unrolled: 1-line block ×4, first 2 shown]
	v_fma_f64 v[25:26], v[25:26], v[27:28], v[37:38]
	s_waitcnt lgkmcnt(2)
	v_mul_f64 v[45:46], v[17:18], v[9:10]
	v_mul_f64 v[9:10], v[15:16], v[9:10]
	s_waitcnt lgkmcnt(0)
	v_mul_f64 v[35:36], v[21:22], v[31:32]
	v_mul_f64 v[37:38], v[19:20], v[31:32]
	v_add_f64 v[27:28], v[43:44], v[39:40]
	v_add_f64 v[33:34], v[33:34], v[41:42]
	v_fma_f64 v[39:40], v[15:16], v[7:8], -v[45:46]
	v_fma_f64 v[41:42], v[17:18], v[7:8], v[9:10]
	v_fma_f64 v[19:20], v[19:20], v[29:30], -v[35:36]
	v_fma_f64 v[21:22], v[21:22], v[29:30], v[37:38]
	v_add_f64 v[27:28], v[27:28], v[23:24]
	v_add_f64 v[43:44], v[33:34], v[25:26]
	ds_load_b128 v[7:10], v11 offset:3584
	ds_load_b128 v[15:18], v12 offset:224
	;; [unrolled: 1-line block ×4, first 2 shown]
	s_waitcnt lgkmcnt(0)
	s_barrier
	buffer_gl0_inv
	v_mul_f64 v[45:46], v[17:18], v[9:10]
	v_mul_f64 v[9:10], v[15:16], v[9:10]
	;; [unrolled: 1-line block ×4, first 2 shown]
	v_add_f64 v[27:28], v[27:28], v[39:40]
	v_add_f64 v[29:30], v[43:44], v[41:42]
	v_fma_f64 v[15:16], v[15:16], v[7:8], -v[45:46]
	v_fma_f64 v[7:8], v[17:18], v[7:8], v[9:10]
	s_delay_alu instid0(VALU_DEP_4) | instskip(NEXT) | instid1(VALU_DEP_4)
	v_add_f64 v[9:10], v[27:28], v[19:20]
	v_add_f64 v[17:18], v[29:30], v[21:22]
	v_fma_f64 v[19:20], v[23:24], v[31:32], -v[35:36]
	v_fma_f64 v[21:22], v[25:26], v[31:32], v[33:34]
	s_delay_alu instid0(VALU_DEP_4) | instskip(NEXT) | instid1(VALU_DEP_4)
	v_add_f64 v[9:10], v[9:10], v[15:16]
	v_add_f64 v[7:8], v[17:18], v[7:8]
	s_delay_alu instid0(VALU_DEP_2) | instskip(NEXT) | instid1(VALU_DEP_2)
	v_add_f64 v[9:10], v[9:10], v[19:20]
	v_add_f64 v[7:8], v[7:8], v[21:22]
	s_cbranch_scc1 .LBB271_2
.LBB271_3:
	s_mov_b32 s2, exec_lo
	v_cmpx_le_i32_e64 v2, v0
	s_cbranch_execz .LBB271_5
; %bb.4:
	s_delay_alu instid0(VALU_DEP_2)
	v_mul_f64 v[3:4], s[6:7], v[7:8]
	v_mul_f64 v[5:6], s[4:5], v[7:8]
	s_clause 0x2
	s_load_b32 s8, s[0:1], 0x60
	s_load_b64 s[2:3], s[0:1], 0x68
	s_load_b64 s[0:1], s[0:1], 0x58
	v_lshlrev_b64 v[0:1], 4, v[0:1]
	s_waitcnt lgkmcnt(0)
	v_mad_i64_i32 v[7:8], null, s8, v2, 0
	s_mul_i32 s3, s15, s3
	s_delay_alu instid0(VALU_DEP_1)
	v_lshlrev_b64 v[7:8], 4, v[7:8]
	v_fma_f64 v[3:4], s[4:5], v[9:10], -v[3:4]
	v_fma_f64 v[5:6], s[6:7], v[9:10], v[5:6]
	s_mul_hi_u32 s4, s15, s2
	s_mul_i32 s2, s15, s2
	s_add_i32 s3, s4, s3
	s_delay_alu instid0(SALU_CYCLE_1) | instskip(NEXT) | instid1(SALU_CYCLE_1)
	s_lshl_b64 s[2:3], s[2:3], 4
	s_add_u32 s0, s0, s2
	s_addc_u32 s1, s1, s3
	v_add_co_u32 v2, vcc_lo, s0, v7
	v_add_co_ci_u32_e32 v7, vcc_lo, s1, v8, vcc_lo
	s_delay_alu instid0(VALU_DEP_2) | instskip(NEXT) | instid1(VALU_DEP_2)
	v_add_co_u32 v0, vcc_lo, v2, v0
	v_add_co_ci_u32_e32 v1, vcc_lo, v7, v1, vcc_lo
	global_store_b128 v[0:1], v[3:6], off
.LBB271_5:
	s_nop 0
	s_sendmsg sendmsg(MSG_DEALLOC_VGPRS)
	s_endpgm
	.section	.rodata,"a",@progbits
	.p2align	6, 0x0
	.amdhsa_kernel _ZL41rocblas_syrkx_herkx_small_restrict_kernelIi19rocblas_complex_numIdELi16ELb1ELb0ELc78ELc76EKS1_S1_EviT_T0_PT6_S3_lS6_S3_lS4_PT7_S3_li
		.amdhsa_group_segment_fixed_size 8192
		.amdhsa_private_segment_fixed_size 0
		.amdhsa_kernarg_size 116
		.amdhsa_user_sgpr_count 13
		.amdhsa_user_sgpr_dispatch_ptr 0
		.amdhsa_user_sgpr_queue_ptr 0
		.amdhsa_user_sgpr_kernarg_segment_ptr 1
		.amdhsa_user_sgpr_dispatch_id 0
		.amdhsa_user_sgpr_private_segment_size 0
		.amdhsa_wavefront_size32 1
		.amdhsa_uses_dynamic_stack 0
		.amdhsa_enable_private_segment 0
		.amdhsa_system_sgpr_workgroup_id_x 1
		.amdhsa_system_sgpr_workgroup_id_y 1
		.amdhsa_system_sgpr_workgroup_id_z 1
		.amdhsa_system_sgpr_workgroup_info 0
		.amdhsa_system_vgpr_workitem_id 1
		.amdhsa_next_free_vgpr 47
		.amdhsa_next_free_sgpr 22
		.amdhsa_reserve_vcc 1
		.amdhsa_float_round_mode_32 0
		.amdhsa_float_round_mode_16_64 0
		.amdhsa_float_denorm_mode_32 3
		.amdhsa_float_denorm_mode_16_64 3
		.amdhsa_dx10_clamp 1
		.amdhsa_ieee_mode 1
		.amdhsa_fp16_overflow 0
		.amdhsa_workgroup_processor_mode 1
		.amdhsa_memory_ordered 1
		.amdhsa_forward_progress 0
		.amdhsa_shared_vgpr_count 0
		.amdhsa_exception_fp_ieee_invalid_op 0
		.amdhsa_exception_fp_denorm_src 0
		.amdhsa_exception_fp_ieee_div_zero 0
		.amdhsa_exception_fp_ieee_overflow 0
		.amdhsa_exception_fp_ieee_underflow 0
		.amdhsa_exception_fp_ieee_inexact 0
		.amdhsa_exception_int_div_zero 0
	.end_amdhsa_kernel
	.section	.text._ZL41rocblas_syrkx_herkx_small_restrict_kernelIi19rocblas_complex_numIdELi16ELb1ELb0ELc78ELc76EKS1_S1_EviT_T0_PT6_S3_lS6_S3_lS4_PT7_S3_li,"axG",@progbits,_ZL41rocblas_syrkx_herkx_small_restrict_kernelIi19rocblas_complex_numIdELi16ELb1ELb0ELc78ELc76EKS1_S1_EviT_T0_PT6_S3_lS6_S3_lS4_PT7_S3_li,comdat
.Lfunc_end271:
	.size	_ZL41rocblas_syrkx_herkx_small_restrict_kernelIi19rocblas_complex_numIdELi16ELb1ELb0ELc78ELc76EKS1_S1_EviT_T0_PT6_S3_lS6_S3_lS4_PT7_S3_li, .Lfunc_end271-_ZL41rocblas_syrkx_herkx_small_restrict_kernelIi19rocblas_complex_numIdELi16ELb1ELb0ELc78ELc76EKS1_S1_EviT_T0_PT6_S3_lS6_S3_lS4_PT7_S3_li
                                        ; -- End function
	.section	.AMDGPU.csdata,"",@progbits
; Kernel info:
; codeLenInByte = 1800
; NumSgprs: 24
; NumVgprs: 47
; ScratchSize: 0
; MemoryBound: 0
; FloatMode: 240
; IeeeMode: 1
; LDSByteSize: 8192 bytes/workgroup (compile time only)
; SGPRBlocks: 2
; VGPRBlocks: 5
; NumSGPRsForWavesPerEU: 24
; NumVGPRsForWavesPerEU: 47
; Occupancy: 16
; WaveLimiterHint : 0
; COMPUTE_PGM_RSRC2:SCRATCH_EN: 0
; COMPUTE_PGM_RSRC2:USER_SGPR: 13
; COMPUTE_PGM_RSRC2:TRAP_HANDLER: 0
; COMPUTE_PGM_RSRC2:TGID_X_EN: 1
; COMPUTE_PGM_RSRC2:TGID_Y_EN: 1
; COMPUTE_PGM_RSRC2:TGID_Z_EN: 1
; COMPUTE_PGM_RSRC2:TIDIG_COMP_CNT: 1
	.section	.text._ZL41rocblas_syrkx_herkx_small_restrict_kernelIi19rocblas_complex_numIdELi16ELb1ELb0ELc84ELc85EKS1_S1_EviT_T0_PT6_S3_lS6_S3_lS4_PT7_S3_li,"axG",@progbits,_ZL41rocblas_syrkx_herkx_small_restrict_kernelIi19rocblas_complex_numIdELi16ELb1ELb0ELc84ELc85EKS1_S1_EviT_T0_PT6_S3_lS6_S3_lS4_PT7_S3_li,comdat
	.globl	_ZL41rocblas_syrkx_herkx_small_restrict_kernelIi19rocblas_complex_numIdELi16ELb1ELb0ELc84ELc85EKS1_S1_EviT_T0_PT6_S3_lS6_S3_lS4_PT7_S3_li ; -- Begin function _ZL41rocblas_syrkx_herkx_small_restrict_kernelIi19rocblas_complex_numIdELi16ELb1ELb0ELc84ELc85EKS1_S1_EviT_T0_PT6_S3_lS6_S3_lS4_PT7_S3_li
	.p2align	8
	.type	_ZL41rocblas_syrkx_herkx_small_restrict_kernelIi19rocblas_complex_numIdELi16ELb1ELb0ELc84ELc85EKS1_S1_EviT_T0_PT6_S3_lS6_S3_lS4_PT7_S3_li,@function
_ZL41rocblas_syrkx_herkx_small_restrict_kernelIi19rocblas_complex_numIdELi16ELb1ELb0ELc84ELc85EKS1_S1_EviT_T0_PT6_S3_lS6_S3_lS4_PT7_S3_li: ; @_ZL41rocblas_syrkx_herkx_small_restrict_kernelIi19rocblas_complex_numIdELi16ELb1ELb0ELc84ELc85EKS1_S1_EviT_T0_PT6_S3_lS6_S3_lS4_PT7_S3_li
; %bb.0:
	s_clause 0x2
	s_load_b32 s12, s[0:1], 0x4
	s_load_b128 s[4:7], s[0:1], 0x8
	s_load_b64 s[2:3], s[0:1], 0x18
	v_dual_mov_b32 v5, 0 :: v_dual_and_b32 v2, 0x3ff, v0
	v_bfe_u32 v1, v0, 10, 10
	v_mov_b32_e32 v6, 0
	s_delay_alu instid0(VALU_DEP_3) | instskip(SKIP_1) | instid1(VALU_DEP_3)
	v_lshl_add_u32 v0, s13, 4, v2
	s_mov_b32 s13, 0
	v_lshl_add_u32 v9, s14, 4, v1
	s_delay_alu instid0(VALU_DEP_3)
	v_dual_mov_b32 v8, v6 :: v_dual_mov_b32 v7, v5
	s_waitcnt lgkmcnt(0)
	s_cmp_lt_i32 s12, 1
	s_cbranch_scc1 .LBB272_3
; %bb.1:
	s_clause 0x3
	s_load_b32 s14, s[0:1], 0x38
	s_load_b64 s[16:17], s[0:1], 0x40
	s_load_b32 s18, s[0:1], 0x20
	s_load_b128 s[8:11], s[0:1], 0x28
	v_lshlrev_b32_e32 v3, 8, v1
	v_dual_mov_b32 v5, 0 :: v_dual_lshlrev_b32 v10, 4, v2
	v_dual_mov_b32 v6, 0 :: v_dual_lshlrev_b32 v7, 4, v1
	s_delay_alu instid0(VALU_DEP_3) | instskip(NEXT) | instid1(VALU_DEP_3)
	v_add_nc_u32_e32 v11, 0x1000, v3
	v_add_nc_u32_e32 v12, v10, v3
	s_waitcnt lgkmcnt(0)
	v_mad_i64_i32 v[1:2], null, s14, v9, 0
	v_mad_i64_i32 v[3:4], null, s18, v0, 0
	s_mul_i32 s14, s17, s15
	s_mul_hi_u32 s17, s16, s15
	s_mul_i32 s16, s16, s15
	s_add_i32 s17, s17, s14
	s_delay_alu instid0(VALU_DEP_2)
	v_lshlrev_b64 v[1:2], 4, v[1:2]
	s_mul_i32 s9, s9, s15
	s_mul_hi_u32 s18, s8, s15
	v_lshlrev_b64 v[3:4], 4, v[3:4]
	s_lshl_b64 s[16:17], s[16:17], 4
	s_mul_i32 s8, s8, s15
	s_add_i32 s9, s18, s9
	v_add_co_u32 v1, vcc_lo, v1, s16
	s_lshl_b64 s[8:9], s[8:9], 4
	v_add_co_ci_u32_e32 v2, vcc_lo, s17, v2, vcc_lo
	v_add_co_u32 v3, vcc_lo, v3, s8
	v_add_co_ci_u32_e32 v4, vcc_lo, s9, v4, vcc_lo
	v_add_co_u32 v1, vcc_lo, v1, v10
	s_delay_alu instid0(VALU_DEP_4) | instskip(NEXT) | instid1(VALU_DEP_4)
	v_add_co_ci_u32_e32 v2, vcc_lo, 0, v2, vcc_lo
	v_add_co_u32 v3, vcc_lo, v3, v7
	s_delay_alu instid0(VALU_DEP_4) | instskip(NEXT) | instid1(VALU_DEP_4)
	;; [unrolled: 3-line block ×3, first 2 shown]
	v_add_co_ci_u32_e32 v2, vcc_lo, s11, v2, vcc_lo
	v_add_co_u32 v3, vcc_lo, s2, v3
	v_dual_mov_b32 v8, v6 :: v_dual_mov_b32 v7, v5
	v_add_nc_u32_e32 v13, v11, v10
	v_add_co_ci_u32_e32 v4, vcc_lo, s3, v4, vcc_lo
.LBB272_2:                              ; =>This Inner Loop Header: Depth=1
	global_load_b128 v[14:17], v[3:4], off
	global_load_b128 v[18:21], v[1:2], off
	v_add_co_u32 v1, vcc_lo, 0x100, v1
	v_add_co_ci_u32_e32 v2, vcc_lo, 0, v2, vcc_lo
	v_add_co_u32 v3, vcc_lo, 0x100, v3
	v_add_co_ci_u32_e32 v4, vcc_lo, 0, v4, vcc_lo
	s_add_i32 s13, s13, 16
	s_waitcnt vmcnt(1)
	ds_store_2addr_b64 v12, v[14:15], v[16:17] offset1:1
	s_waitcnt vmcnt(0)
	ds_store_2addr_b64 v13, v[18:19], v[20:21] offset1:1
	s_waitcnt lgkmcnt(0)
	s_barrier
	buffer_gl0_inv
	ds_load_b128 v[14:17], v10
	ds_load_b128 v[18:21], v11
	ds_load_b128 v[22:25], v11 offset:16
	ds_load_b128 v[26:29], v10 offset:256
	s_cmp_lt_i32 s13, s12
	s_waitcnt lgkmcnt(2)
	v_mul_f64 v[30:31], v[20:21], v[16:17]
	v_mul_f64 v[16:17], v[18:19], v[16:17]
	s_waitcnt lgkmcnt(0)
	v_mul_f64 v[36:37], v[24:25], v[28:29]
	v_mul_f64 v[38:39], v[22:23], v[28:29]
	s_delay_alu instid0(VALU_DEP_4) | instskip(NEXT) | instid1(VALU_DEP_4)
	v_fma_f64 v[40:41], v[18:19], v[14:15], -v[30:31]
	v_fma_f64 v[42:43], v[20:21], v[14:15], v[16:17]
	ds_load_b128 v[14:17], v10 offset:512
	ds_load_b128 v[18:21], v11 offset:32
	;; [unrolled: 1-line block ×4, first 2 shown]
	v_fma_f64 v[22:23], v[22:23], v[26:27], -v[36:37]
	v_fma_f64 v[24:25], v[24:25], v[26:27], v[38:39]
	s_waitcnt lgkmcnt(2)
	v_mul_f64 v[44:45], v[20:21], v[16:17]
	v_mul_f64 v[16:17], v[18:19], v[16:17]
	s_waitcnt lgkmcnt(0)
	v_mul_f64 v[26:27], v[30:31], v[34:35]
	v_mul_f64 v[34:35], v[28:29], v[34:35]
	v_add_f64 v[7:8], v[7:8], v[40:41]
	v_add_f64 v[5:6], v[5:6], v[42:43]
	v_fma_f64 v[36:37], v[18:19], v[14:15], -v[44:45]
	v_fma_f64 v[38:39], v[20:21], v[14:15], v[16:17]
	v_fma_f64 v[26:27], v[28:29], v[32:33], -v[26:27]
	v_fma_f64 v[28:29], v[30:31], v[32:33], v[34:35]
	v_add_f64 v[40:41], v[7:8], v[22:23]
	v_add_f64 v[42:43], v[5:6], v[24:25]
	ds_load_b128 v[5:8], v10 offset:1024
	ds_load_b128 v[14:17], v11 offset:64
	ds_load_b128 v[18:21], v11 offset:80
	ds_load_b128 v[22:25], v10 offset:1280
	s_waitcnt lgkmcnt(2)
	v_mul_f64 v[44:45], v[16:17], v[7:8]
	v_mul_f64 v[7:8], v[14:15], v[7:8]
	s_waitcnt lgkmcnt(0)
	v_mul_f64 v[34:35], v[20:21], v[24:25]
	v_add_f64 v[30:31], v[40:41], v[36:37]
	v_add_f64 v[32:33], v[42:43], v[38:39]
	v_mul_f64 v[36:37], v[18:19], v[24:25]
	v_fma_f64 v[38:39], v[14:15], v[5:6], -v[44:45]
	v_fma_f64 v[40:41], v[16:17], v[5:6], v[7:8]
	v_fma_f64 v[18:19], v[18:19], v[22:23], -v[34:35]
	v_add_f64 v[42:43], v[30:31], v[26:27]
	v_add_f64 v[32:33], v[32:33], v[28:29]
	ds_load_b128 v[5:8], v10 offset:1536
	ds_load_b128 v[14:17], v11 offset:96
	;; [unrolled: 1-line block ×4, first 2 shown]
	v_fma_f64 v[20:21], v[20:21], v[22:23], v[36:37]
	s_waitcnt lgkmcnt(2)
	v_mul_f64 v[44:45], v[16:17], v[7:8]
	v_mul_f64 v[7:8], v[14:15], v[7:8]
	s_waitcnt lgkmcnt(0)
	v_mul_f64 v[34:35], v[26:27], v[30:31]
	v_mul_f64 v[36:37], v[24:25], v[30:31]
	v_add_f64 v[22:23], v[42:43], v[38:39]
	v_add_f64 v[32:33], v[32:33], v[40:41]
	v_fma_f64 v[38:39], v[14:15], v[5:6], -v[44:45]
	v_fma_f64 v[40:41], v[16:17], v[5:6], v[7:8]
	v_fma_f64 v[24:25], v[24:25], v[28:29], -v[34:35]
	v_fma_f64 v[26:27], v[26:27], v[28:29], v[36:37]
	v_add_f64 v[22:23], v[22:23], v[18:19]
	v_add_f64 v[42:43], v[32:33], v[20:21]
	ds_load_b128 v[5:8], v10 offset:2048
	ds_load_b128 v[14:17], v11 offset:128
	;; [unrolled: 1-line block ×4, first 2 shown]
	s_waitcnt lgkmcnt(2)
	v_mul_f64 v[44:45], v[16:17], v[7:8]
	v_mul_f64 v[7:8], v[14:15], v[7:8]
	s_waitcnt lgkmcnt(0)
	v_mul_f64 v[34:35], v[20:21], v[32:33]
	v_mul_f64 v[32:33], v[18:19], v[32:33]
	v_add_f64 v[22:23], v[22:23], v[38:39]
	v_add_f64 v[28:29], v[42:43], v[40:41]
	v_fma_f64 v[36:37], v[14:15], v[5:6], -v[44:45]
	v_fma_f64 v[38:39], v[16:17], v[5:6], v[7:8]
	v_fma_f64 v[18:19], v[18:19], v[30:31], -v[34:35]
	v_fma_f64 v[20:21], v[20:21], v[30:31], v[32:33]
	v_add_f64 v[40:41], v[22:23], v[24:25]
	v_add_f64 v[42:43], v[28:29], v[26:27]
	ds_load_b128 v[5:8], v10 offset:2560
	ds_load_b128 v[14:17], v11 offset:160
	;; [unrolled: 1-line block ×4, first 2 shown]
	s_waitcnt lgkmcnt(2)
	v_mul_f64 v[44:45], v[16:17], v[7:8]
	v_mul_f64 v[7:8], v[14:15], v[7:8]
	s_waitcnt lgkmcnt(0)
	v_mul_f64 v[34:35], v[24:25], v[28:29]
	v_add_f64 v[30:31], v[40:41], v[36:37]
	v_add_f64 v[32:33], v[42:43], v[38:39]
	v_mul_f64 v[36:37], v[22:23], v[28:29]
	v_fma_f64 v[38:39], v[14:15], v[5:6], -v[44:45]
	v_fma_f64 v[40:41], v[16:17], v[5:6], v[7:8]
	v_fma_f64 v[22:23], v[22:23], v[26:27], -v[34:35]
	v_add_f64 v[42:43], v[30:31], v[18:19]
	v_add_f64 v[32:33], v[32:33], v[20:21]
	ds_load_b128 v[5:8], v10 offset:3072
	ds_load_b128 v[14:17], v11 offset:192
	;; [unrolled: 1-line block ×4, first 2 shown]
	v_fma_f64 v[24:25], v[24:25], v[26:27], v[36:37]
	s_waitcnt lgkmcnt(2)
	v_mul_f64 v[44:45], v[16:17], v[7:8]
	v_mul_f64 v[7:8], v[14:15], v[7:8]
	s_waitcnt lgkmcnt(0)
	v_mul_f64 v[34:35], v[20:21], v[30:31]
	v_mul_f64 v[36:37], v[18:19], v[30:31]
	v_add_f64 v[26:27], v[42:43], v[38:39]
	v_add_f64 v[32:33], v[32:33], v[40:41]
	v_fma_f64 v[38:39], v[14:15], v[5:6], -v[44:45]
	v_fma_f64 v[40:41], v[16:17], v[5:6], v[7:8]
	v_fma_f64 v[18:19], v[18:19], v[28:29], -v[34:35]
	v_fma_f64 v[20:21], v[20:21], v[28:29], v[36:37]
	v_add_f64 v[26:27], v[26:27], v[22:23]
	v_add_f64 v[42:43], v[32:33], v[24:25]
	ds_load_b128 v[5:8], v10 offset:3584
	ds_load_b128 v[14:17], v11 offset:224
	;; [unrolled: 1-line block ×4, first 2 shown]
	s_waitcnt lgkmcnt(0)
	s_barrier
	buffer_gl0_inv
	v_mul_f64 v[44:45], v[16:17], v[7:8]
	v_mul_f64 v[7:8], v[14:15], v[7:8]
	;; [unrolled: 1-line block ×4, first 2 shown]
	v_add_f64 v[26:27], v[26:27], v[38:39]
	v_add_f64 v[28:29], v[42:43], v[40:41]
	v_fma_f64 v[14:15], v[14:15], v[5:6], -v[44:45]
	v_fma_f64 v[5:6], v[16:17], v[5:6], v[7:8]
	s_delay_alu instid0(VALU_DEP_4) | instskip(NEXT) | instid1(VALU_DEP_4)
	v_add_f64 v[7:8], v[26:27], v[18:19]
	v_add_f64 v[16:17], v[28:29], v[20:21]
	v_fma_f64 v[18:19], v[22:23], v[30:31], -v[34:35]
	v_fma_f64 v[20:21], v[24:25], v[30:31], v[32:33]
	s_delay_alu instid0(VALU_DEP_4) | instskip(NEXT) | instid1(VALU_DEP_4)
	v_add_f64 v[7:8], v[7:8], v[14:15]
	v_add_f64 v[5:6], v[16:17], v[5:6]
	s_delay_alu instid0(VALU_DEP_2) | instskip(NEXT) | instid1(VALU_DEP_2)
	v_add_f64 v[7:8], v[7:8], v[18:19]
	v_add_f64 v[5:6], v[5:6], v[20:21]
	s_cbranch_scc1 .LBB272_2
.LBB272_3:
	s_mov_b32 s2, exec_lo
	v_cmpx_le_i32_e64 v0, v9
	s_cbranch_execz .LBB272_5
; %bb.4:
	s_delay_alu instid0(VALU_DEP_2)
	v_mul_f64 v[1:2], s[6:7], v[5:6]
	v_mul_f64 v[4:5], s[4:5], v[5:6]
	s_clause 0x2
	s_load_b64 s[2:3], s[0:1], 0x68
	s_load_b32 s8, s[0:1], 0x60
	s_load_b64 s[0:1], s[0:1], 0x58
	s_waitcnt lgkmcnt(0)
	s_mul_i32 s3, s15, s3
	s_delay_alu instid0(VALU_DEP_2) | instskip(NEXT) | instid1(VALU_DEP_2)
	v_fma_f64 v[2:3], s[4:5], v[7:8], -v[1:2]
	v_fma_f64 v[4:5], s[6:7], v[7:8], v[4:5]
	v_mad_i64_i32 v[6:7], null, s8, v9, 0
	s_mul_hi_u32 s4, s15, s2
	s_mul_i32 s2, s15, s2
	s_add_i32 s3, s4, s3
	v_ashrrev_i32_e32 v1, 31, v0
	s_lshl_b64 s[2:3], s[2:3], 4
	s_delay_alu instid0(VALU_DEP_2) | instskip(SKIP_1) | instid1(VALU_DEP_2)
	v_lshlrev_b64 v[6:7], 4, v[6:7]
	s_add_u32 s0, s0, s2
	v_lshlrev_b64 v[0:1], 4, v[0:1]
	s_addc_u32 s1, s1, s3
	s_delay_alu instid0(VALU_DEP_2) | instskip(NEXT) | instid1(VALU_DEP_3)
	v_add_co_u32 v6, vcc_lo, s0, v6
	v_add_co_ci_u32_e32 v7, vcc_lo, s1, v7, vcc_lo
	s_delay_alu instid0(VALU_DEP_2) | instskip(NEXT) | instid1(VALU_DEP_2)
	v_add_co_u32 v0, vcc_lo, v6, v0
	v_add_co_ci_u32_e32 v1, vcc_lo, v7, v1, vcc_lo
	global_store_b128 v[0:1], v[2:5], off
.LBB272_5:
	s_nop 0
	s_sendmsg sendmsg(MSG_DEALLOC_VGPRS)
	s_endpgm
	.section	.rodata,"a",@progbits
	.p2align	6, 0x0
	.amdhsa_kernel _ZL41rocblas_syrkx_herkx_small_restrict_kernelIi19rocblas_complex_numIdELi16ELb1ELb0ELc84ELc85EKS1_S1_EviT_T0_PT6_S3_lS6_S3_lS4_PT7_S3_li
		.amdhsa_group_segment_fixed_size 8192
		.amdhsa_private_segment_fixed_size 0
		.amdhsa_kernarg_size 116
		.amdhsa_user_sgpr_count 13
		.amdhsa_user_sgpr_dispatch_ptr 0
		.amdhsa_user_sgpr_queue_ptr 0
		.amdhsa_user_sgpr_kernarg_segment_ptr 1
		.amdhsa_user_sgpr_dispatch_id 0
		.amdhsa_user_sgpr_private_segment_size 0
		.amdhsa_wavefront_size32 1
		.amdhsa_uses_dynamic_stack 0
		.amdhsa_enable_private_segment 0
		.amdhsa_system_sgpr_workgroup_id_x 1
		.amdhsa_system_sgpr_workgroup_id_y 1
		.amdhsa_system_sgpr_workgroup_id_z 1
		.amdhsa_system_sgpr_workgroup_info 0
		.amdhsa_system_vgpr_workitem_id 1
		.amdhsa_next_free_vgpr 46
		.amdhsa_next_free_sgpr 19
		.amdhsa_reserve_vcc 1
		.amdhsa_float_round_mode_32 0
		.amdhsa_float_round_mode_16_64 0
		.amdhsa_float_denorm_mode_32 3
		.amdhsa_float_denorm_mode_16_64 3
		.amdhsa_dx10_clamp 1
		.amdhsa_ieee_mode 1
		.amdhsa_fp16_overflow 0
		.amdhsa_workgroup_processor_mode 1
		.amdhsa_memory_ordered 1
		.amdhsa_forward_progress 0
		.amdhsa_shared_vgpr_count 0
		.amdhsa_exception_fp_ieee_invalid_op 0
		.amdhsa_exception_fp_denorm_src 0
		.amdhsa_exception_fp_ieee_div_zero 0
		.amdhsa_exception_fp_ieee_overflow 0
		.amdhsa_exception_fp_ieee_underflow 0
		.amdhsa_exception_fp_ieee_inexact 0
		.amdhsa_exception_int_div_zero 0
	.end_amdhsa_kernel
	.section	.text._ZL41rocblas_syrkx_herkx_small_restrict_kernelIi19rocblas_complex_numIdELi16ELb1ELb0ELc84ELc85EKS1_S1_EviT_T0_PT6_S3_lS6_S3_lS4_PT7_S3_li,"axG",@progbits,_ZL41rocblas_syrkx_herkx_small_restrict_kernelIi19rocblas_complex_numIdELi16ELb1ELb0ELc84ELc85EKS1_S1_EviT_T0_PT6_S3_lS6_S3_lS4_PT7_S3_li,comdat
.Lfunc_end272:
	.size	_ZL41rocblas_syrkx_herkx_small_restrict_kernelIi19rocblas_complex_numIdELi16ELb1ELb0ELc84ELc85EKS1_S1_EviT_T0_PT6_S3_lS6_S3_lS4_PT7_S3_li, .Lfunc_end272-_ZL41rocblas_syrkx_herkx_small_restrict_kernelIi19rocblas_complex_numIdELi16ELb1ELb0ELc84ELc85EKS1_S1_EviT_T0_PT6_S3_lS6_S3_lS4_PT7_S3_li
                                        ; -- End function
	.section	.AMDGPU.csdata,"",@progbits
; Kernel info:
; codeLenInByte = 1760
; NumSgprs: 21
; NumVgprs: 46
; ScratchSize: 0
; MemoryBound: 0
; FloatMode: 240
; IeeeMode: 1
; LDSByteSize: 8192 bytes/workgroup (compile time only)
; SGPRBlocks: 2
; VGPRBlocks: 5
; NumSGPRsForWavesPerEU: 21
; NumVGPRsForWavesPerEU: 46
; Occupancy: 16
; WaveLimiterHint : 0
; COMPUTE_PGM_RSRC2:SCRATCH_EN: 0
; COMPUTE_PGM_RSRC2:USER_SGPR: 13
; COMPUTE_PGM_RSRC2:TRAP_HANDLER: 0
; COMPUTE_PGM_RSRC2:TGID_X_EN: 1
; COMPUTE_PGM_RSRC2:TGID_Y_EN: 1
; COMPUTE_PGM_RSRC2:TGID_Z_EN: 1
; COMPUTE_PGM_RSRC2:TIDIG_COMP_CNT: 1
	.section	.text._ZL41rocblas_syrkx_herkx_small_restrict_kernelIi19rocblas_complex_numIdELi16ELb1ELb0ELc67ELc85EKS1_S1_EviT_T0_PT6_S3_lS6_S3_lS4_PT7_S3_li,"axG",@progbits,_ZL41rocblas_syrkx_herkx_small_restrict_kernelIi19rocblas_complex_numIdELi16ELb1ELb0ELc67ELc85EKS1_S1_EviT_T0_PT6_S3_lS6_S3_lS4_PT7_S3_li,comdat
	.globl	_ZL41rocblas_syrkx_herkx_small_restrict_kernelIi19rocblas_complex_numIdELi16ELb1ELb0ELc67ELc85EKS1_S1_EviT_T0_PT6_S3_lS6_S3_lS4_PT7_S3_li ; -- Begin function _ZL41rocblas_syrkx_herkx_small_restrict_kernelIi19rocblas_complex_numIdELi16ELb1ELb0ELc67ELc85EKS1_S1_EviT_T0_PT6_S3_lS6_S3_lS4_PT7_S3_li
	.p2align	8
	.type	_ZL41rocblas_syrkx_herkx_small_restrict_kernelIi19rocblas_complex_numIdELi16ELb1ELb0ELc67ELc85EKS1_S1_EviT_T0_PT6_S3_lS6_S3_lS4_PT7_S3_li,@function
_ZL41rocblas_syrkx_herkx_small_restrict_kernelIi19rocblas_complex_numIdELi16ELb1ELb0ELc67ELc85EKS1_S1_EviT_T0_PT6_S3_lS6_S3_lS4_PT7_S3_li: ; @_ZL41rocblas_syrkx_herkx_small_restrict_kernelIi19rocblas_complex_numIdELi16ELb1ELb0ELc67ELc85EKS1_S1_EviT_T0_PT6_S3_lS6_S3_lS4_PT7_S3_li
; %bb.0:
	s_clause 0x2
	s_load_b32 s12, s[0:1], 0x4
	s_load_b128 s[4:7], s[0:1], 0x8
	s_load_b64 s[2:3], s[0:1], 0x18
	v_dual_mov_b32 v5, 0 :: v_dual_and_b32 v2, 0x3ff, v0
	v_bfe_u32 v1, v0, 10, 10
	v_mov_b32_e32 v6, 0
	s_delay_alu instid0(VALU_DEP_3) | instskip(SKIP_1) | instid1(VALU_DEP_3)
	v_lshl_add_u32 v0, s13, 4, v2
	s_mov_b32 s13, 0
	v_lshl_add_u32 v9, s14, 4, v1
	s_delay_alu instid0(VALU_DEP_3)
	v_dual_mov_b32 v8, v6 :: v_dual_mov_b32 v7, v5
	s_waitcnt lgkmcnt(0)
	s_cmp_lt_i32 s12, 1
	s_cbranch_scc1 .LBB273_3
; %bb.1:
	s_clause 0x3
	s_load_b32 s14, s[0:1], 0x38
	s_load_b32 s18, s[0:1], 0x20
	s_load_b64 s[16:17], s[0:1], 0x40
	s_load_b128 s[8:11], s[0:1], 0x28
	v_lshlrev_b32_e32 v3, 8, v1
	v_lshlrev_b32_e32 v10, 4, v2
	;; [unrolled: 1-line block ×3, first 2 shown]
	s_delay_alu instid0(VALU_DEP_3) | instskip(NEXT) | instid1(VALU_DEP_3)
	v_add_nc_u32_e32 v11, 0x1000, v3
	v_add_nc_u32_e32 v12, v10, v3
	s_waitcnt lgkmcnt(0)
	v_mad_i64_i32 v[1:2], null, s14, v9, 0
	v_mad_i64_i32 v[3:4], null, s18, v0, 0
	s_mul_i32 s9, s9, s15
	s_mul_hi_u32 s18, s8, s15
	s_mul_i32 s8, s8, s15
	s_add_i32 s9, s18, s9
	s_mul_i32 s14, s17, s15
	s_mul_hi_u32 s17, s16, s15
	s_delay_alu instid0(VALU_DEP_1) | instskip(SKIP_4) | instid1(VALU_DEP_2)
	v_lshlrev_b64 v[3:4], 4, v[3:4]
	v_lshlrev_b64 v[1:2], 4, v[1:2]
	s_lshl_b64 s[8:9], s[8:9], 4
	s_mul_i32 s16, s16, s15
	s_add_i32 s17, s17, s14
	v_add_co_u32 v3, vcc_lo, v3, s8
	s_lshl_b64 s[16:17], s[16:17], 4
	v_add_co_ci_u32_e32 v4, vcc_lo, s9, v4, vcc_lo
	v_add_co_u32 v1, vcc_lo, v1, s16
	v_add_co_ci_u32_e32 v2, vcc_lo, s17, v2, vcc_lo
	v_add_co_u32 v3, vcc_lo, v3, v5
	s_delay_alu instid0(VALU_DEP_4)
	v_add_co_ci_u32_e32 v4, vcc_lo, 0, v4, vcc_lo
	v_mov_b32_e32 v5, 0
	v_add_co_u32 v1, vcc_lo, v1, v10
	v_add_co_ci_u32_e32 v2, vcc_lo, 0, v2, vcc_lo
	v_add_co_u32 v3, vcc_lo, v3, s2
	v_add_co_ci_u32_e32 v4, vcc_lo, s3, v4, vcc_lo
	v_mov_b32_e32 v6, 0
	v_add_co_u32 v1, vcc_lo, s10, v1
	v_add_co_ci_u32_e32 v2, vcc_lo, s11, v2, vcc_lo
	v_add_co_u32 v3, vcc_lo, v3, 8
	s_delay_alu instid0(VALU_DEP_4)
	v_dual_mov_b32 v8, v6 :: v_dual_mov_b32 v7, v5
	v_add_nc_u32_e32 v13, v11, v10
	v_add_co_ci_u32_e32 v4, vcc_lo, 0, v4, vcc_lo
.LBB273_2:                              ; =>This Inner Loop Header: Depth=1
	global_load_b128 v[14:17], v[3:4], off offset:-8
	global_load_b128 v[18:21], v[1:2], off
	v_add_co_u32 v1, vcc_lo, 0x100, v1
	v_add_co_ci_u32_e32 v2, vcc_lo, 0, v2, vcc_lo
	v_add_co_u32 v3, vcc_lo, 0x100, v3
	v_add_co_ci_u32_e32 v4, vcc_lo, 0, v4, vcc_lo
	s_add_i32 s13, s13, 16
	s_waitcnt vmcnt(1)
	ds_store_b128 v12, v[14:17]
	s_waitcnt vmcnt(0)
	ds_store_2addr_b64 v13, v[18:19], v[20:21] offset1:1
	s_waitcnt lgkmcnt(0)
	s_barrier
	buffer_gl0_inv
	ds_load_b128 v[14:17], v10
	ds_load_b128 v[18:21], v11
	ds_load_b128 v[22:25], v11 offset:16
	ds_load_b128 v[26:29], v10 offset:256
	s_cmp_lt_i32 s13, s12
	s_waitcnt lgkmcnt(2)
	v_mul_f64 v[30:31], v[20:21], v[16:17]
	v_mul_f64 v[16:17], v[18:19], v[16:17]
	s_waitcnt lgkmcnt(0)
	v_mul_f64 v[36:37], v[24:25], v[28:29]
	v_mul_f64 v[38:39], v[22:23], v[28:29]
	s_delay_alu instid0(VALU_DEP_4) | instskip(NEXT) | instid1(VALU_DEP_4)
	v_fma_f64 v[40:41], v[18:19], v[14:15], -v[30:31]
	v_fma_f64 v[42:43], v[20:21], v[14:15], v[16:17]
	ds_load_b128 v[14:17], v10 offset:512
	ds_load_b128 v[18:21], v11 offset:32
	;; [unrolled: 1-line block ×4, first 2 shown]
	v_fma_f64 v[22:23], v[22:23], v[26:27], -v[36:37]
	v_fma_f64 v[24:25], v[24:25], v[26:27], v[38:39]
	s_waitcnt lgkmcnt(2)
	v_mul_f64 v[44:45], v[20:21], v[16:17]
	v_mul_f64 v[16:17], v[18:19], v[16:17]
	s_waitcnt lgkmcnt(0)
	v_mul_f64 v[26:27], v[30:31], v[34:35]
	v_mul_f64 v[34:35], v[28:29], v[34:35]
	v_add_f64 v[7:8], v[7:8], v[40:41]
	v_add_f64 v[5:6], v[5:6], v[42:43]
	v_fma_f64 v[36:37], v[18:19], v[14:15], -v[44:45]
	v_fma_f64 v[38:39], v[20:21], v[14:15], v[16:17]
	v_fma_f64 v[26:27], v[28:29], v[32:33], -v[26:27]
	v_fma_f64 v[28:29], v[30:31], v[32:33], v[34:35]
	v_add_f64 v[40:41], v[7:8], v[22:23]
	v_add_f64 v[42:43], v[5:6], v[24:25]
	ds_load_b128 v[5:8], v10 offset:1024
	ds_load_b128 v[14:17], v11 offset:64
	;; [unrolled: 1-line block ×4, first 2 shown]
	s_waitcnt lgkmcnt(2)
	v_mul_f64 v[44:45], v[16:17], v[7:8]
	v_mul_f64 v[7:8], v[14:15], v[7:8]
	s_waitcnt lgkmcnt(0)
	v_mul_f64 v[34:35], v[20:21], v[24:25]
	v_add_f64 v[30:31], v[40:41], v[36:37]
	v_add_f64 v[32:33], v[42:43], v[38:39]
	v_mul_f64 v[36:37], v[18:19], v[24:25]
	v_fma_f64 v[38:39], v[14:15], v[5:6], -v[44:45]
	v_fma_f64 v[40:41], v[16:17], v[5:6], v[7:8]
	v_fma_f64 v[18:19], v[18:19], v[22:23], -v[34:35]
	v_add_f64 v[42:43], v[30:31], v[26:27]
	v_add_f64 v[32:33], v[32:33], v[28:29]
	ds_load_b128 v[5:8], v10 offset:1536
	ds_load_b128 v[14:17], v11 offset:96
	;; [unrolled: 1-line block ×4, first 2 shown]
	v_fma_f64 v[20:21], v[20:21], v[22:23], v[36:37]
	s_waitcnt lgkmcnt(2)
	v_mul_f64 v[44:45], v[16:17], v[7:8]
	v_mul_f64 v[7:8], v[14:15], v[7:8]
	s_waitcnt lgkmcnt(0)
	v_mul_f64 v[34:35], v[26:27], v[30:31]
	v_mul_f64 v[36:37], v[24:25], v[30:31]
	v_add_f64 v[22:23], v[42:43], v[38:39]
	v_add_f64 v[32:33], v[32:33], v[40:41]
	v_fma_f64 v[38:39], v[14:15], v[5:6], -v[44:45]
	v_fma_f64 v[40:41], v[16:17], v[5:6], v[7:8]
	v_fma_f64 v[24:25], v[24:25], v[28:29], -v[34:35]
	v_fma_f64 v[26:27], v[26:27], v[28:29], v[36:37]
	v_add_f64 v[22:23], v[22:23], v[18:19]
	v_add_f64 v[42:43], v[32:33], v[20:21]
	ds_load_b128 v[5:8], v10 offset:2048
	ds_load_b128 v[14:17], v11 offset:128
	;; [unrolled: 1-line block ×4, first 2 shown]
	s_waitcnt lgkmcnt(2)
	v_mul_f64 v[44:45], v[16:17], v[7:8]
	v_mul_f64 v[7:8], v[14:15], v[7:8]
	s_waitcnt lgkmcnt(0)
	v_mul_f64 v[34:35], v[20:21], v[32:33]
	v_mul_f64 v[32:33], v[18:19], v[32:33]
	v_add_f64 v[22:23], v[22:23], v[38:39]
	v_add_f64 v[28:29], v[42:43], v[40:41]
	v_fma_f64 v[36:37], v[14:15], v[5:6], -v[44:45]
	v_fma_f64 v[38:39], v[16:17], v[5:6], v[7:8]
	v_fma_f64 v[18:19], v[18:19], v[30:31], -v[34:35]
	v_fma_f64 v[20:21], v[20:21], v[30:31], v[32:33]
	v_add_f64 v[40:41], v[22:23], v[24:25]
	v_add_f64 v[42:43], v[28:29], v[26:27]
	ds_load_b128 v[5:8], v10 offset:2560
	ds_load_b128 v[14:17], v11 offset:160
	;; [unrolled: 1-line block ×4, first 2 shown]
	s_waitcnt lgkmcnt(2)
	v_mul_f64 v[44:45], v[16:17], v[7:8]
	v_mul_f64 v[7:8], v[14:15], v[7:8]
	s_waitcnt lgkmcnt(0)
	v_mul_f64 v[34:35], v[24:25], v[28:29]
	v_add_f64 v[30:31], v[40:41], v[36:37]
	v_add_f64 v[32:33], v[42:43], v[38:39]
	v_mul_f64 v[36:37], v[22:23], v[28:29]
	v_fma_f64 v[38:39], v[14:15], v[5:6], -v[44:45]
	v_fma_f64 v[40:41], v[16:17], v[5:6], v[7:8]
	v_fma_f64 v[22:23], v[22:23], v[26:27], -v[34:35]
	v_add_f64 v[42:43], v[30:31], v[18:19]
	v_add_f64 v[32:33], v[32:33], v[20:21]
	ds_load_b128 v[5:8], v10 offset:3072
	ds_load_b128 v[14:17], v11 offset:192
	;; [unrolled: 1-line block ×4, first 2 shown]
	v_fma_f64 v[24:25], v[24:25], v[26:27], v[36:37]
	s_waitcnt lgkmcnt(2)
	v_mul_f64 v[44:45], v[16:17], v[7:8]
	v_mul_f64 v[7:8], v[14:15], v[7:8]
	s_waitcnt lgkmcnt(0)
	v_mul_f64 v[34:35], v[20:21], v[30:31]
	v_mul_f64 v[36:37], v[18:19], v[30:31]
	v_add_f64 v[26:27], v[42:43], v[38:39]
	v_add_f64 v[32:33], v[32:33], v[40:41]
	v_fma_f64 v[38:39], v[14:15], v[5:6], -v[44:45]
	v_fma_f64 v[40:41], v[16:17], v[5:6], v[7:8]
	v_fma_f64 v[18:19], v[18:19], v[28:29], -v[34:35]
	v_fma_f64 v[20:21], v[20:21], v[28:29], v[36:37]
	v_add_f64 v[26:27], v[26:27], v[22:23]
	v_add_f64 v[42:43], v[32:33], v[24:25]
	ds_load_b128 v[5:8], v10 offset:3584
	ds_load_b128 v[14:17], v11 offset:224
	ds_load_b128 v[22:25], v11 offset:240
	ds_load_b128 v[30:33], v10 offset:3840
	s_waitcnt lgkmcnt(0)
	s_barrier
	buffer_gl0_inv
	v_mul_f64 v[44:45], v[16:17], v[7:8]
	v_mul_f64 v[7:8], v[14:15], v[7:8]
	;; [unrolled: 1-line block ×4, first 2 shown]
	v_add_f64 v[26:27], v[26:27], v[38:39]
	v_add_f64 v[28:29], v[42:43], v[40:41]
	v_fma_f64 v[14:15], v[14:15], v[5:6], -v[44:45]
	v_fma_f64 v[5:6], v[16:17], v[5:6], v[7:8]
	s_delay_alu instid0(VALU_DEP_4) | instskip(NEXT) | instid1(VALU_DEP_4)
	v_add_f64 v[7:8], v[26:27], v[18:19]
	v_add_f64 v[16:17], v[28:29], v[20:21]
	v_fma_f64 v[18:19], v[22:23], v[30:31], -v[34:35]
	v_fma_f64 v[20:21], v[24:25], v[30:31], v[32:33]
	s_delay_alu instid0(VALU_DEP_4) | instskip(NEXT) | instid1(VALU_DEP_4)
	v_add_f64 v[7:8], v[7:8], v[14:15]
	v_add_f64 v[5:6], v[16:17], v[5:6]
	s_delay_alu instid0(VALU_DEP_2) | instskip(NEXT) | instid1(VALU_DEP_2)
	v_add_f64 v[7:8], v[7:8], v[18:19]
	v_add_f64 v[5:6], v[5:6], v[20:21]
	s_cbranch_scc1 .LBB273_2
.LBB273_3:
	s_mov_b32 s2, exec_lo
	v_cmpx_le_i32_e64 v0, v9
	s_cbranch_execz .LBB273_5
; %bb.4:
	s_delay_alu instid0(VALU_DEP_2)
	v_mul_f64 v[1:2], s[6:7], v[5:6]
	v_mul_f64 v[4:5], s[4:5], v[5:6]
	s_clause 0x2
	s_load_b64 s[2:3], s[0:1], 0x68
	s_load_b32 s8, s[0:1], 0x60
	s_load_b64 s[0:1], s[0:1], 0x58
	s_waitcnt lgkmcnt(0)
	s_mul_i32 s3, s15, s3
	s_delay_alu instid0(VALU_DEP_2) | instskip(NEXT) | instid1(VALU_DEP_2)
	v_fma_f64 v[2:3], s[4:5], v[7:8], -v[1:2]
	v_fma_f64 v[4:5], s[6:7], v[7:8], v[4:5]
	v_mad_i64_i32 v[6:7], null, s8, v9, 0
	s_mul_hi_u32 s4, s15, s2
	s_mul_i32 s2, s15, s2
	s_add_i32 s3, s4, s3
	v_ashrrev_i32_e32 v1, 31, v0
	s_lshl_b64 s[2:3], s[2:3], 4
	s_delay_alu instid0(VALU_DEP_2) | instskip(SKIP_1) | instid1(VALU_DEP_2)
	v_lshlrev_b64 v[6:7], 4, v[6:7]
	s_add_u32 s0, s0, s2
	v_lshlrev_b64 v[0:1], 4, v[0:1]
	s_addc_u32 s1, s1, s3
	s_delay_alu instid0(VALU_DEP_2) | instskip(NEXT) | instid1(VALU_DEP_3)
	v_add_co_u32 v6, vcc_lo, s0, v6
	v_add_co_ci_u32_e32 v7, vcc_lo, s1, v7, vcc_lo
	s_delay_alu instid0(VALU_DEP_2) | instskip(NEXT) | instid1(VALU_DEP_2)
	v_add_co_u32 v0, vcc_lo, v6, v0
	v_add_co_ci_u32_e32 v1, vcc_lo, v7, v1, vcc_lo
	global_store_b128 v[0:1], v[2:5], off
.LBB273_5:
	s_nop 0
	s_sendmsg sendmsg(MSG_DEALLOC_VGPRS)
	s_endpgm
	.section	.rodata,"a",@progbits
	.p2align	6, 0x0
	.amdhsa_kernel _ZL41rocblas_syrkx_herkx_small_restrict_kernelIi19rocblas_complex_numIdELi16ELb1ELb0ELc67ELc85EKS1_S1_EviT_T0_PT6_S3_lS6_S3_lS4_PT7_S3_li
		.amdhsa_group_segment_fixed_size 8192
		.amdhsa_private_segment_fixed_size 0
		.amdhsa_kernarg_size 116
		.amdhsa_user_sgpr_count 13
		.amdhsa_user_sgpr_dispatch_ptr 0
		.amdhsa_user_sgpr_queue_ptr 0
		.amdhsa_user_sgpr_kernarg_segment_ptr 1
		.amdhsa_user_sgpr_dispatch_id 0
		.amdhsa_user_sgpr_private_segment_size 0
		.amdhsa_wavefront_size32 1
		.amdhsa_uses_dynamic_stack 0
		.amdhsa_enable_private_segment 0
		.amdhsa_system_sgpr_workgroup_id_x 1
		.amdhsa_system_sgpr_workgroup_id_y 1
		.amdhsa_system_sgpr_workgroup_id_z 1
		.amdhsa_system_sgpr_workgroup_info 0
		.amdhsa_system_vgpr_workitem_id 1
		.amdhsa_next_free_vgpr 46
		.amdhsa_next_free_sgpr 19
		.amdhsa_reserve_vcc 1
		.amdhsa_float_round_mode_32 0
		.amdhsa_float_round_mode_16_64 0
		.amdhsa_float_denorm_mode_32 3
		.amdhsa_float_denorm_mode_16_64 3
		.amdhsa_dx10_clamp 1
		.amdhsa_ieee_mode 1
		.amdhsa_fp16_overflow 0
		.amdhsa_workgroup_processor_mode 1
		.amdhsa_memory_ordered 1
		.amdhsa_forward_progress 0
		.amdhsa_shared_vgpr_count 0
		.amdhsa_exception_fp_ieee_invalid_op 0
		.amdhsa_exception_fp_denorm_src 0
		.amdhsa_exception_fp_ieee_div_zero 0
		.amdhsa_exception_fp_ieee_overflow 0
		.amdhsa_exception_fp_ieee_underflow 0
		.amdhsa_exception_fp_ieee_inexact 0
		.amdhsa_exception_int_div_zero 0
	.end_amdhsa_kernel
	.section	.text._ZL41rocblas_syrkx_herkx_small_restrict_kernelIi19rocblas_complex_numIdELi16ELb1ELb0ELc67ELc85EKS1_S1_EviT_T0_PT6_S3_lS6_S3_lS4_PT7_S3_li,"axG",@progbits,_ZL41rocblas_syrkx_herkx_small_restrict_kernelIi19rocblas_complex_numIdELi16ELb1ELb0ELc67ELc85EKS1_S1_EviT_T0_PT6_S3_lS6_S3_lS4_PT7_S3_li,comdat
.Lfunc_end273:
	.size	_ZL41rocblas_syrkx_herkx_small_restrict_kernelIi19rocblas_complex_numIdELi16ELb1ELb0ELc67ELc85EKS1_S1_EviT_T0_PT6_S3_lS6_S3_lS4_PT7_S3_li, .Lfunc_end273-_ZL41rocblas_syrkx_herkx_small_restrict_kernelIi19rocblas_complex_numIdELi16ELb1ELb0ELc67ELc85EKS1_S1_EviT_T0_PT6_S3_lS6_S3_lS4_PT7_S3_li
                                        ; -- End function
	.section	.AMDGPU.csdata,"",@progbits
; Kernel info:
; codeLenInByte = 1768
; NumSgprs: 21
; NumVgprs: 46
; ScratchSize: 0
; MemoryBound: 0
; FloatMode: 240
; IeeeMode: 1
; LDSByteSize: 8192 bytes/workgroup (compile time only)
; SGPRBlocks: 2
; VGPRBlocks: 5
; NumSGPRsForWavesPerEU: 21
; NumVGPRsForWavesPerEU: 46
; Occupancy: 16
; WaveLimiterHint : 0
; COMPUTE_PGM_RSRC2:SCRATCH_EN: 0
; COMPUTE_PGM_RSRC2:USER_SGPR: 13
; COMPUTE_PGM_RSRC2:TRAP_HANDLER: 0
; COMPUTE_PGM_RSRC2:TGID_X_EN: 1
; COMPUTE_PGM_RSRC2:TGID_Y_EN: 1
; COMPUTE_PGM_RSRC2:TGID_Z_EN: 1
; COMPUTE_PGM_RSRC2:TIDIG_COMP_CNT: 1
	.section	.text._ZL41rocblas_syrkx_herkx_small_restrict_kernelIi19rocblas_complex_numIdELi16ELb1ELb0ELc78ELc85EKS1_S1_EviT_T0_PT6_S3_lS6_S3_lS4_PT7_S3_li,"axG",@progbits,_ZL41rocblas_syrkx_herkx_small_restrict_kernelIi19rocblas_complex_numIdELi16ELb1ELb0ELc78ELc85EKS1_S1_EviT_T0_PT6_S3_lS6_S3_lS4_PT7_S3_li,comdat
	.globl	_ZL41rocblas_syrkx_herkx_small_restrict_kernelIi19rocblas_complex_numIdELi16ELb1ELb0ELc78ELc85EKS1_S1_EviT_T0_PT6_S3_lS6_S3_lS4_PT7_S3_li ; -- Begin function _ZL41rocblas_syrkx_herkx_small_restrict_kernelIi19rocblas_complex_numIdELi16ELb1ELb0ELc78ELc85EKS1_S1_EviT_T0_PT6_S3_lS6_S3_lS4_PT7_S3_li
	.p2align	8
	.type	_ZL41rocblas_syrkx_herkx_small_restrict_kernelIi19rocblas_complex_numIdELi16ELb1ELb0ELc78ELc85EKS1_S1_EviT_T0_PT6_S3_lS6_S3_lS4_PT7_S3_li,@function
_ZL41rocblas_syrkx_herkx_small_restrict_kernelIi19rocblas_complex_numIdELi16ELb1ELb0ELc78ELc85EKS1_S1_EviT_T0_PT6_S3_lS6_S3_lS4_PT7_S3_li: ; @_ZL41rocblas_syrkx_herkx_small_restrict_kernelIi19rocblas_complex_numIdELi16ELb1ELb0ELc78ELc85EKS1_S1_EviT_T0_PT6_S3_lS6_S3_lS4_PT7_S3_li
; %bb.0:
	s_clause 0x2
	s_load_b32 s12, s[0:1], 0x4
	s_load_b128 s[4:7], s[0:1], 0x8
	s_load_b64 s[2:3], s[0:1], 0x18
	v_and_b32_e32 v5, 0x3ff, v0
	v_mov_b32_e32 v7, 0
	v_mov_b32_e32 v8, 0
	v_bfe_u32 v4, v0, 10, 10
	s_delay_alu instid0(VALU_DEP_4) | instskip(SKIP_1) | instid1(VALU_DEP_3)
	v_lshl_add_u32 v0, s13, 4, v5
	s_mov_b32 s13, 0
	v_dual_mov_b32 v10, v8 :: v_dual_mov_b32 v9, v7
	s_delay_alu instid0(VALU_DEP_3) | instskip(NEXT) | instid1(VALU_DEP_3)
	v_lshl_add_u32 v2, s14, 4, v4
	v_ashrrev_i32_e32 v1, 31, v0
	s_waitcnt lgkmcnt(0)
	s_cmp_lt_i32 s12, 1
	s_cbranch_scc1 .LBB274_3
; %bb.1:
	s_clause 0x3
	s_load_b32 s16, s[0:1], 0x38
	s_load_b64 s[18:19], s[0:1], 0x40
	s_load_b128 s[8:11], s[0:1], 0x28
	s_load_b32 s20, s[0:1], 0x20
	v_lshlrev_b32_e32 v8, 8, v4
	v_lshlrev_b32_e32 v11, 4, v5
	v_ashrrev_i32_e32 v3, 31, v2
	v_lshlrev_b64 v[6:7], 4, v[0:1]
	s_delay_alu instid0(VALU_DEP_4) | instskip(NEXT) | instid1(VALU_DEP_4)
	v_add_nc_u32_e32 v12, 0x1000, v8
	v_add_nc_u32_e32 v13, v11, v8
	s_delay_alu instid0(VALU_DEP_4)
	v_lshlrev_b64 v[8:9], 4, v[2:3]
	s_waitcnt lgkmcnt(0)
	v_mad_i64_i32 v[15:16], null, s16, v5, 0
	s_mul_i32 s14, s19, s15
	s_mul_hi_u32 s19, s18, s15
	v_mad_i64_i32 v[17:18], null, s20, v4, 0
	s_mul_i32 s18, s18, s15
	s_add_i32 s19, s19, s14
	s_delay_alu instid0(VALU_DEP_2)
	v_lshlrev_b64 v[3:4], 4, v[15:16]
	s_lshl_b64 s[18:19], s[18:19], 4
	s_mul_i32 s9, s9, s15
	s_mul_hi_u32 s21, s8, s15
	s_mul_i32 s8, s8, s15
	s_add_i32 s9, s21, s9
	v_add_co_u32 v5, vcc_lo, s18, v3
	v_add_co_ci_u32_e32 v10, vcc_lo, s19, v4, vcc_lo
	v_lshlrev_b64 v[3:4], 4, v[17:18]
	s_delay_alu instid0(VALU_DEP_3) | instskip(SKIP_1) | instid1(VALU_DEP_3)
	v_add_co_u32 v5, vcc_lo, v5, v8
	s_lshl_b64 s[8:9], s[8:9], 4
	v_add_co_ci_u32_e32 v8, vcc_lo, v10, v9, vcc_lo
	s_delay_alu instid0(VALU_DEP_3) | instskip(NEXT) | instid1(VALU_DEP_4)
	v_add_co_u32 v3, vcc_lo, s8, v3
	v_add_co_ci_u32_e32 v4, vcc_lo, s9, v4, vcc_lo
	v_add_co_u32 v5, vcc_lo, v5, s10
	s_delay_alu instid0(VALU_DEP_4) | instskip(NEXT) | instid1(VALU_DEP_4)
	v_add_co_ci_u32_e32 v9, vcc_lo, s11, v8, vcc_lo
	v_add_co_u32 v6, vcc_lo, v3, v6
	s_delay_alu instid0(VALU_DEP_4)
	v_add_co_ci_u32_e32 v10, vcc_lo, v4, v7, vcc_lo
	v_mov_b32_e32 v7, 0
	v_mov_b32_e32 v8, 0
	v_add_co_u32 v3, vcc_lo, v5, 8
	v_add_co_ci_u32_e32 v4, vcc_lo, 0, v9, vcc_lo
	v_add_co_u32 v5, vcc_lo, s2, v6
	v_add_co_ci_u32_e32 v6, vcc_lo, s3, v10, vcc_lo
	v_mov_b32_e32 v10, v8
	v_dual_mov_b32 v9, v7 :: v_dual_add_nc_u32 v14, v12, v11
	s_ashr_i32 s17, s16, 31
	s_ashr_i32 s21, s20, 31
	s_lshl_b64 s[2:3], s[16:17], 8
	s_lshl_b64 s[8:9], s[20:21], 8
.LBB274_2:                              ; =>This Inner Loop Header: Depth=1
	global_load_b128 v[15:18], v[5:6], off
	global_load_b128 v[19:22], v[3:4], off offset:-8
	v_add_co_u32 v3, vcc_lo, v3, s2
	v_add_co_ci_u32_e32 v4, vcc_lo, s3, v4, vcc_lo
	v_add_co_u32 v5, vcc_lo, v5, s8
	v_add_co_ci_u32_e32 v6, vcc_lo, s9, v6, vcc_lo
	s_add_i32 s13, s13, 16
	s_waitcnt vmcnt(1)
	ds_store_2addr_b64 v13, v[15:16], v[17:18] offset1:1
	s_waitcnt vmcnt(0)
	ds_store_b128 v14, v[19:22]
	s_waitcnt lgkmcnt(0)
	s_barrier
	buffer_gl0_inv
	ds_load_b128 v[15:18], v11
	ds_load_b128 v[19:22], v12
	ds_load_b128 v[23:26], v12 offset:16
	ds_load_b128 v[27:30], v11 offset:256
	s_cmp_lt_i32 s13, s12
	s_waitcnt lgkmcnt(2)
	v_mul_f64 v[31:32], v[21:22], v[17:18]
	v_mul_f64 v[17:18], v[19:20], v[17:18]
	s_waitcnt lgkmcnt(0)
	v_mul_f64 v[37:38], v[25:26], v[29:30]
	v_mul_f64 v[39:40], v[23:24], v[29:30]
	s_delay_alu instid0(VALU_DEP_4) | instskip(NEXT) | instid1(VALU_DEP_4)
	v_fma_f64 v[41:42], v[19:20], v[15:16], -v[31:32]
	v_fma_f64 v[43:44], v[21:22], v[15:16], v[17:18]
	ds_load_b128 v[15:18], v11 offset:512
	ds_load_b128 v[19:22], v12 offset:32
	;; [unrolled: 1-line block ×4, first 2 shown]
	v_fma_f64 v[23:24], v[23:24], v[27:28], -v[37:38]
	v_fma_f64 v[25:26], v[25:26], v[27:28], v[39:40]
	s_waitcnt lgkmcnt(2)
	v_mul_f64 v[45:46], v[21:22], v[17:18]
	v_mul_f64 v[17:18], v[19:20], v[17:18]
	s_waitcnt lgkmcnt(0)
	v_mul_f64 v[27:28], v[31:32], v[35:36]
	v_mul_f64 v[35:36], v[29:30], v[35:36]
	v_add_f64 v[9:10], v[9:10], v[41:42]
	v_add_f64 v[7:8], v[7:8], v[43:44]
	v_fma_f64 v[37:38], v[19:20], v[15:16], -v[45:46]
	v_fma_f64 v[39:40], v[21:22], v[15:16], v[17:18]
	v_fma_f64 v[27:28], v[29:30], v[33:34], -v[27:28]
	v_fma_f64 v[29:30], v[31:32], v[33:34], v[35:36]
	v_add_f64 v[41:42], v[9:10], v[23:24]
	v_add_f64 v[43:44], v[7:8], v[25:26]
	ds_load_b128 v[7:10], v11 offset:1024
	ds_load_b128 v[15:18], v12 offset:64
	;; [unrolled: 1-line block ×4, first 2 shown]
	s_waitcnt lgkmcnt(2)
	v_mul_f64 v[45:46], v[17:18], v[9:10]
	v_mul_f64 v[9:10], v[15:16], v[9:10]
	s_waitcnt lgkmcnt(0)
	v_mul_f64 v[35:36], v[21:22], v[25:26]
	v_add_f64 v[31:32], v[41:42], v[37:38]
	v_add_f64 v[33:34], v[43:44], v[39:40]
	v_mul_f64 v[37:38], v[19:20], v[25:26]
	v_fma_f64 v[39:40], v[15:16], v[7:8], -v[45:46]
	v_fma_f64 v[41:42], v[17:18], v[7:8], v[9:10]
	v_fma_f64 v[19:20], v[19:20], v[23:24], -v[35:36]
	v_add_f64 v[43:44], v[31:32], v[27:28]
	v_add_f64 v[33:34], v[33:34], v[29:30]
	ds_load_b128 v[7:10], v11 offset:1536
	ds_load_b128 v[15:18], v12 offset:96
	;; [unrolled: 1-line block ×4, first 2 shown]
	v_fma_f64 v[21:22], v[21:22], v[23:24], v[37:38]
	s_waitcnt lgkmcnt(2)
	v_mul_f64 v[45:46], v[17:18], v[9:10]
	v_mul_f64 v[9:10], v[15:16], v[9:10]
	s_waitcnt lgkmcnt(0)
	v_mul_f64 v[35:36], v[27:28], v[31:32]
	v_mul_f64 v[37:38], v[25:26], v[31:32]
	v_add_f64 v[23:24], v[43:44], v[39:40]
	v_add_f64 v[33:34], v[33:34], v[41:42]
	v_fma_f64 v[39:40], v[15:16], v[7:8], -v[45:46]
	v_fma_f64 v[41:42], v[17:18], v[7:8], v[9:10]
	v_fma_f64 v[25:26], v[25:26], v[29:30], -v[35:36]
	v_fma_f64 v[27:28], v[27:28], v[29:30], v[37:38]
	v_add_f64 v[23:24], v[23:24], v[19:20]
	v_add_f64 v[43:44], v[33:34], v[21:22]
	ds_load_b128 v[7:10], v11 offset:2048
	ds_load_b128 v[15:18], v12 offset:128
	;; [unrolled: 1-line block ×4, first 2 shown]
	s_waitcnt lgkmcnt(2)
	v_mul_f64 v[45:46], v[17:18], v[9:10]
	v_mul_f64 v[9:10], v[15:16], v[9:10]
	s_waitcnt lgkmcnt(0)
	v_mul_f64 v[35:36], v[21:22], v[33:34]
	v_mul_f64 v[33:34], v[19:20], v[33:34]
	v_add_f64 v[23:24], v[23:24], v[39:40]
	v_add_f64 v[29:30], v[43:44], v[41:42]
	v_fma_f64 v[37:38], v[15:16], v[7:8], -v[45:46]
	v_fma_f64 v[39:40], v[17:18], v[7:8], v[9:10]
	v_fma_f64 v[19:20], v[19:20], v[31:32], -v[35:36]
	v_fma_f64 v[21:22], v[21:22], v[31:32], v[33:34]
	v_add_f64 v[41:42], v[23:24], v[25:26]
	v_add_f64 v[43:44], v[29:30], v[27:28]
	ds_load_b128 v[7:10], v11 offset:2560
	ds_load_b128 v[15:18], v12 offset:160
	;; [unrolled: 1-line block ×4, first 2 shown]
	s_waitcnt lgkmcnt(2)
	v_mul_f64 v[45:46], v[17:18], v[9:10]
	v_mul_f64 v[9:10], v[15:16], v[9:10]
	s_waitcnt lgkmcnt(0)
	v_mul_f64 v[35:36], v[25:26], v[29:30]
	v_add_f64 v[31:32], v[41:42], v[37:38]
	v_add_f64 v[33:34], v[43:44], v[39:40]
	v_mul_f64 v[37:38], v[23:24], v[29:30]
	v_fma_f64 v[39:40], v[15:16], v[7:8], -v[45:46]
	v_fma_f64 v[41:42], v[17:18], v[7:8], v[9:10]
	v_fma_f64 v[23:24], v[23:24], v[27:28], -v[35:36]
	v_add_f64 v[43:44], v[31:32], v[19:20]
	v_add_f64 v[33:34], v[33:34], v[21:22]
	ds_load_b128 v[7:10], v11 offset:3072
	ds_load_b128 v[15:18], v12 offset:192
	;; [unrolled: 1-line block ×4, first 2 shown]
	v_fma_f64 v[25:26], v[25:26], v[27:28], v[37:38]
	s_waitcnt lgkmcnt(2)
	v_mul_f64 v[45:46], v[17:18], v[9:10]
	v_mul_f64 v[9:10], v[15:16], v[9:10]
	s_waitcnt lgkmcnt(0)
	v_mul_f64 v[35:36], v[21:22], v[31:32]
	v_mul_f64 v[37:38], v[19:20], v[31:32]
	v_add_f64 v[27:28], v[43:44], v[39:40]
	v_add_f64 v[33:34], v[33:34], v[41:42]
	v_fma_f64 v[39:40], v[15:16], v[7:8], -v[45:46]
	v_fma_f64 v[41:42], v[17:18], v[7:8], v[9:10]
	v_fma_f64 v[19:20], v[19:20], v[29:30], -v[35:36]
	v_fma_f64 v[21:22], v[21:22], v[29:30], v[37:38]
	v_add_f64 v[27:28], v[27:28], v[23:24]
	v_add_f64 v[43:44], v[33:34], v[25:26]
	ds_load_b128 v[7:10], v11 offset:3584
	ds_load_b128 v[15:18], v12 offset:224
	;; [unrolled: 1-line block ×4, first 2 shown]
	s_waitcnt lgkmcnt(0)
	s_barrier
	buffer_gl0_inv
	v_mul_f64 v[45:46], v[17:18], v[9:10]
	v_mul_f64 v[9:10], v[15:16], v[9:10]
	;; [unrolled: 1-line block ×4, first 2 shown]
	v_add_f64 v[27:28], v[27:28], v[39:40]
	v_add_f64 v[29:30], v[43:44], v[41:42]
	v_fma_f64 v[15:16], v[15:16], v[7:8], -v[45:46]
	v_fma_f64 v[7:8], v[17:18], v[7:8], v[9:10]
	s_delay_alu instid0(VALU_DEP_4) | instskip(NEXT) | instid1(VALU_DEP_4)
	v_add_f64 v[9:10], v[27:28], v[19:20]
	v_add_f64 v[17:18], v[29:30], v[21:22]
	v_fma_f64 v[19:20], v[23:24], v[31:32], -v[35:36]
	v_fma_f64 v[21:22], v[25:26], v[31:32], v[33:34]
	s_delay_alu instid0(VALU_DEP_4) | instskip(NEXT) | instid1(VALU_DEP_4)
	v_add_f64 v[9:10], v[9:10], v[15:16]
	v_add_f64 v[7:8], v[17:18], v[7:8]
	s_delay_alu instid0(VALU_DEP_2) | instskip(NEXT) | instid1(VALU_DEP_2)
	v_add_f64 v[9:10], v[9:10], v[19:20]
	v_add_f64 v[7:8], v[7:8], v[21:22]
	s_cbranch_scc1 .LBB274_2
.LBB274_3:
	s_mov_b32 s2, exec_lo
	v_cmpx_le_i32_e64 v0, v2
	s_cbranch_execz .LBB274_5
; %bb.4:
	s_delay_alu instid0(VALU_DEP_2)
	v_mul_f64 v[3:4], s[6:7], v[7:8]
	v_mul_f64 v[5:6], s[4:5], v[7:8]
	s_clause 0x2
	s_load_b32 s8, s[0:1], 0x60
	s_load_b64 s[2:3], s[0:1], 0x68
	s_load_b64 s[0:1], s[0:1], 0x58
	v_lshlrev_b64 v[0:1], 4, v[0:1]
	s_waitcnt lgkmcnt(0)
	v_mad_i64_i32 v[7:8], null, s8, v2, 0
	s_mul_i32 s3, s15, s3
	s_delay_alu instid0(VALU_DEP_1)
	v_lshlrev_b64 v[7:8], 4, v[7:8]
	v_fma_f64 v[3:4], s[4:5], v[9:10], -v[3:4]
	v_fma_f64 v[5:6], s[6:7], v[9:10], v[5:6]
	s_mul_hi_u32 s4, s15, s2
	s_mul_i32 s2, s15, s2
	s_add_i32 s3, s4, s3
	s_delay_alu instid0(SALU_CYCLE_1) | instskip(NEXT) | instid1(SALU_CYCLE_1)
	s_lshl_b64 s[2:3], s[2:3], 4
	s_add_u32 s0, s0, s2
	s_addc_u32 s1, s1, s3
	v_add_co_u32 v2, vcc_lo, s0, v7
	v_add_co_ci_u32_e32 v7, vcc_lo, s1, v8, vcc_lo
	s_delay_alu instid0(VALU_DEP_2) | instskip(NEXT) | instid1(VALU_DEP_2)
	v_add_co_u32 v0, vcc_lo, v2, v0
	v_add_co_ci_u32_e32 v1, vcc_lo, v7, v1, vcc_lo
	global_store_b128 v[0:1], v[3:6], off
.LBB274_5:
	s_nop 0
	s_sendmsg sendmsg(MSG_DEALLOC_VGPRS)
	s_endpgm
	.section	.rodata,"a",@progbits
	.p2align	6, 0x0
	.amdhsa_kernel _ZL41rocblas_syrkx_herkx_small_restrict_kernelIi19rocblas_complex_numIdELi16ELb1ELb0ELc78ELc85EKS1_S1_EviT_T0_PT6_S3_lS6_S3_lS4_PT7_S3_li
		.amdhsa_group_segment_fixed_size 8192
		.amdhsa_private_segment_fixed_size 0
		.amdhsa_kernarg_size 116
		.amdhsa_user_sgpr_count 13
		.amdhsa_user_sgpr_dispatch_ptr 0
		.amdhsa_user_sgpr_queue_ptr 0
		.amdhsa_user_sgpr_kernarg_segment_ptr 1
		.amdhsa_user_sgpr_dispatch_id 0
		.amdhsa_user_sgpr_private_segment_size 0
		.amdhsa_wavefront_size32 1
		.amdhsa_uses_dynamic_stack 0
		.amdhsa_enable_private_segment 0
		.amdhsa_system_sgpr_workgroup_id_x 1
		.amdhsa_system_sgpr_workgroup_id_y 1
		.amdhsa_system_sgpr_workgroup_id_z 1
		.amdhsa_system_sgpr_workgroup_info 0
		.amdhsa_system_vgpr_workitem_id 1
		.amdhsa_next_free_vgpr 47
		.amdhsa_next_free_sgpr 22
		.amdhsa_reserve_vcc 1
		.amdhsa_float_round_mode_32 0
		.amdhsa_float_round_mode_16_64 0
		.amdhsa_float_denorm_mode_32 3
		.amdhsa_float_denorm_mode_16_64 3
		.amdhsa_dx10_clamp 1
		.amdhsa_ieee_mode 1
		.amdhsa_fp16_overflow 0
		.amdhsa_workgroup_processor_mode 1
		.amdhsa_memory_ordered 1
		.amdhsa_forward_progress 0
		.amdhsa_shared_vgpr_count 0
		.amdhsa_exception_fp_ieee_invalid_op 0
		.amdhsa_exception_fp_denorm_src 0
		.amdhsa_exception_fp_ieee_div_zero 0
		.amdhsa_exception_fp_ieee_overflow 0
		.amdhsa_exception_fp_ieee_underflow 0
		.amdhsa_exception_fp_ieee_inexact 0
		.amdhsa_exception_int_div_zero 0
	.end_amdhsa_kernel
	.section	.text._ZL41rocblas_syrkx_herkx_small_restrict_kernelIi19rocblas_complex_numIdELi16ELb1ELb0ELc78ELc85EKS1_S1_EviT_T0_PT6_S3_lS6_S3_lS4_PT7_S3_li,"axG",@progbits,_ZL41rocblas_syrkx_herkx_small_restrict_kernelIi19rocblas_complex_numIdELi16ELb1ELb0ELc78ELc85EKS1_S1_EviT_T0_PT6_S3_lS6_S3_lS4_PT7_S3_li,comdat
.Lfunc_end274:
	.size	_ZL41rocblas_syrkx_herkx_small_restrict_kernelIi19rocblas_complex_numIdELi16ELb1ELb0ELc78ELc85EKS1_S1_EviT_T0_PT6_S3_lS6_S3_lS4_PT7_S3_li, .Lfunc_end274-_ZL41rocblas_syrkx_herkx_small_restrict_kernelIi19rocblas_complex_numIdELi16ELb1ELb0ELc78ELc85EKS1_S1_EviT_T0_PT6_S3_lS6_S3_lS4_PT7_S3_li
                                        ; -- End function
	.section	.AMDGPU.csdata,"",@progbits
; Kernel info:
; codeLenInByte = 1800
; NumSgprs: 24
; NumVgprs: 47
; ScratchSize: 0
; MemoryBound: 0
; FloatMode: 240
; IeeeMode: 1
; LDSByteSize: 8192 bytes/workgroup (compile time only)
; SGPRBlocks: 2
; VGPRBlocks: 5
; NumSGPRsForWavesPerEU: 24
; NumVGPRsForWavesPerEU: 47
; Occupancy: 16
; WaveLimiterHint : 0
; COMPUTE_PGM_RSRC2:SCRATCH_EN: 0
; COMPUTE_PGM_RSRC2:USER_SGPR: 13
; COMPUTE_PGM_RSRC2:TRAP_HANDLER: 0
; COMPUTE_PGM_RSRC2:TGID_X_EN: 1
; COMPUTE_PGM_RSRC2:TGID_Y_EN: 1
; COMPUTE_PGM_RSRC2:TGID_Z_EN: 1
; COMPUTE_PGM_RSRC2:TIDIG_COMP_CNT: 1
	.section	.text._ZL41rocblas_syrkx_herkx_small_restrict_kernelIi19rocblas_complex_numIdELi16ELb0ELb0ELc84ELc76EKS1_S1_EviT_T0_PT6_S3_lS6_S3_lS4_PT7_S3_li,"axG",@progbits,_ZL41rocblas_syrkx_herkx_small_restrict_kernelIi19rocblas_complex_numIdELi16ELb0ELb0ELc84ELc76EKS1_S1_EviT_T0_PT6_S3_lS6_S3_lS4_PT7_S3_li,comdat
	.globl	_ZL41rocblas_syrkx_herkx_small_restrict_kernelIi19rocblas_complex_numIdELi16ELb0ELb0ELc84ELc76EKS1_S1_EviT_T0_PT6_S3_lS6_S3_lS4_PT7_S3_li ; -- Begin function _ZL41rocblas_syrkx_herkx_small_restrict_kernelIi19rocblas_complex_numIdELi16ELb0ELb0ELc84ELc76EKS1_S1_EviT_T0_PT6_S3_lS6_S3_lS4_PT7_S3_li
	.p2align	8
	.type	_ZL41rocblas_syrkx_herkx_small_restrict_kernelIi19rocblas_complex_numIdELi16ELb0ELb0ELc84ELc76EKS1_S1_EviT_T0_PT6_S3_lS6_S3_lS4_PT7_S3_li,@function
_ZL41rocblas_syrkx_herkx_small_restrict_kernelIi19rocblas_complex_numIdELi16ELb0ELb0ELc84ELc76EKS1_S1_EviT_T0_PT6_S3_lS6_S3_lS4_PT7_S3_li: ; @_ZL41rocblas_syrkx_herkx_small_restrict_kernelIi19rocblas_complex_numIdELi16ELb0ELb0ELc84ELc76EKS1_S1_EviT_T0_PT6_S3_lS6_S3_lS4_PT7_S3_li
; %bb.0:
	s_clause 0x3
	s_load_b32 s12, s[0:1], 0x4
	s_load_b128 s[16:19], s[0:1], 0x8
	s_load_b64 s[2:3], s[0:1], 0x18
	s_load_b256 s[4:11], s[0:1], 0x40
	v_dual_mov_b32 v5, 0 :: v_dual_and_b32 v2, 0x3ff, v0
	v_bfe_u32 v1, v0, 10, 10
	v_mov_b32_e32 v6, 0
	s_delay_alu instid0(VALU_DEP_3) | instskip(SKIP_1) | instid1(VALU_DEP_3)
	v_lshl_add_u32 v0, s13, 4, v2
	s_mov_b32 s13, 0
	v_lshl_add_u32 v9, s14, 4, v1
	s_delay_alu instid0(VALU_DEP_3)
	v_dual_mov_b32 v8, v6 :: v_dual_mov_b32 v7, v5
	s_waitcnt lgkmcnt(0)
	s_cmp_lt_i32 s12, 1
	s_cbranch_scc1 .LBB275_3
; %bb.1:
	s_clause 0x2
	s_load_b32 s14, s[0:1], 0x38
	s_load_b32 s24, s[0:1], 0x20
	s_load_b128 s[20:23], s[0:1], 0x28
	v_lshlrev_b32_e32 v3, 8, v1
	v_dual_mov_b32 v5, 0 :: v_dual_lshlrev_b32 v10, 4, v2
	v_dual_mov_b32 v6, 0 :: v_dual_lshlrev_b32 v7, 4, v1
	s_delay_alu instid0(VALU_DEP_3) | instskip(NEXT) | instid1(VALU_DEP_3)
	v_add_nc_u32_e32 v12, 0x1000, v3
	v_add_nc_u32_e32 v11, v10, v3
	s_mul_i32 s5, s5, s15
	s_mul_hi_u32 s25, s4, s15
	s_mul_i32 s4, s4, s15
	s_add_i32 s5, s25, s5
	s_delay_alu instid0(SALU_CYCLE_1)
	s_lshl_b64 s[4:5], s[4:5], 4
	s_waitcnt lgkmcnt(0)
	v_mad_i64_i32 v[1:2], null, s14, v9, 0
	v_mad_i64_i32 v[3:4], null, s24, v0, 0
	s_mul_i32 s14, s21, s15
	s_mul_hi_u32 s21, s20, s15
	s_mul_i32 s20, s20, s15
	s_add_i32 s21, s21, s14
	s_delay_alu instid0(VALU_DEP_2) | instskip(SKIP_1) | instid1(VALU_DEP_2)
	v_lshlrev_b64 v[1:2], 4, v[1:2]
	s_lshl_b64 s[20:21], s[20:21], 4
	v_lshlrev_b64 v[3:4], 4, v[3:4]
	s_delay_alu instid0(VALU_DEP_2) | instskip(NEXT) | instid1(VALU_DEP_3)
	v_add_co_u32 v1, vcc_lo, v1, s4
	v_add_co_ci_u32_e32 v2, vcc_lo, s5, v2, vcc_lo
	s_delay_alu instid0(VALU_DEP_3) | instskip(NEXT) | instid1(VALU_DEP_4)
	v_add_co_u32 v3, vcc_lo, v3, s20
	v_add_co_ci_u32_e32 v4, vcc_lo, s21, v4, vcc_lo
	s_delay_alu instid0(VALU_DEP_4) | instskip(NEXT) | instid1(VALU_DEP_4)
	v_add_co_u32 v1, vcc_lo, v1, v10
	v_add_co_ci_u32_e32 v2, vcc_lo, 0, v2, vcc_lo
	s_delay_alu instid0(VALU_DEP_4) | instskip(NEXT) | instid1(VALU_DEP_4)
	;; [unrolled: 3-line block ×3, first 2 shown]
	v_add_co_u32 v1, vcc_lo, s22, v1
	v_add_co_ci_u32_e32 v2, vcc_lo, s23, v2, vcc_lo
	s_delay_alu instid0(VALU_DEP_4)
	v_add_co_u32 v3, vcc_lo, s2, v3
	v_dual_mov_b32 v8, v6 :: v_dual_mov_b32 v7, v5
	v_add_nc_u32_e32 v13, v12, v10
	v_add_co_ci_u32_e32 v4, vcc_lo, s3, v4, vcc_lo
.LBB275_2:                              ; =>This Inner Loop Header: Depth=1
	global_load_b128 v[14:17], v[3:4], off
	global_load_b128 v[18:21], v[1:2], off
	v_add_co_u32 v1, vcc_lo, 0x100, v1
	v_add_co_ci_u32_e32 v2, vcc_lo, 0, v2, vcc_lo
	v_add_co_u32 v3, vcc_lo, 0x100, v3
	v_add_co_ci_u32_e32 v4, vcc_lo, 0, v4, vcc_lo
	s_add_i32 s13, s13, 16
	s_waitcnt vmcnt(1)
	ds_store_2addr_b64 v11, v[14:15], v[16:17] offset1:1
	s_waitcnt vmcnt(0)
	ds_store_2addr_b64 v13, v[18:19], v[20:21] offset1:1
	s_waitcnt lgkmcnt(0)
	s_barrier
	buffer_gl0_inv
	ds_load_b128 v[14:17], v10
	ds_load_b128 v[18:21], v12
	ds_load_b128 v[22:25], v12 offset:16
	ds_load_b128 v[26:29], v10 offset:256
	s_cmp_lt_i32 s13, s12
	s_waitcnt lgkmcnt(2)
	v_mul_f64 v[30:31], v[20:21], v[16:17]
	v_mul_f64 v[16:17], v[18:19], v[16:17]
	s_waitcnt lgkmcnt(0)
	v_mul_f64 v[36:37], v[24:25], v[28:29]
	v_mul_f64 v[38:39], v[22:23], v[28:29]
	s_delay_alu instid0(VALU_DEP_4) | instskip(NEXT) | instid1(VALU_DEP_4)
	v_fma_f64 v[40:41], v[18:19], v[14:15], -v[30:31]
	v_fma_f64 v[42:43], v[20:21], v[14:15], v[16:17]
	ds_load_b128 v[14:17], v10 offset:512
	ds_load_b128 v[18:21], v12 offset:32
	;; [unrolled: 1-line block ×4, first 2 shown]
	v_fma_f64 v[22:23], v[22:23], v[26:27], -v[36:37]
	v_fma_f64 v[24:25], v[24:25], v[26:27], v[38:39]
	s_waitcnt lgkmcnt(2)
	v_mul_f64 v[44:45], v[20:21], v[16:17]
	v_mul_f64 v[16:17], v[18:19], v[16:17]
	s_waitcnt lgkmcnt(0)
	v_mul_f64 v[26:27], v[30:31], v[34:35]
	v_mul_f64 v[34:35], v[28:29], v[34:35]
	v_add_f64 v[7:8], v[7:8], v[40:41]
	v_add_f64 v[5:6], v[5:6], v[42:43]
	v_fma_f64 v[36:37], v[18:19], v[14:15], -v[44:45]
	v_fma_f64 v[38:39], v[20:21], v[14:15], v[16:17]
	v_fma_f64 v[26:27], v[28:29], v[32:33], -v[26:27]
	v_fma_f64 v[28:29], v[30:31], v[32:33], v[34:35]
	v_add_f64 v[40:41], v[7:8], v[22:23]
	v_add_f64 v[42:43], v[5:6], v[24:25]
	ds_load_b128 v[5:8], v10 offset:1024
	ds_load_b128 v[14:17], v12 offset:64
	;; [unrolled: 1-line block ×4, first 2 shown]
	s_waitcnt lgkmcnt(2)
	v_mul_f64 v[44:45], v[16:17], v[7:8]
	v_mul_f64 v[7:8], v[14:15], v[7:8]
	s_waitcnt lgkmcnt(0)
	v_mul_f64 v[34:35], v[20:21], v[24:25]
	v_add_f64 v[30:31], v[40:41], v[36:37]
	v_add_f64 v[32:33], v[42:43], v[38:39]
	v_mul_f64 v[36:37], v[18:19], v[24:25]
	v_fma_f64 v[38:39], v[14:15], v[5:6], -v[44:45]
	v_fma_f64 v[40:41], v[16:17], v[5:6], v[7:8]
	v_fma_f64 v[18:19], v[18:19], v[22:23], -v[34:35]
	v_add_f64 v[42:43], v[30:31], v[26:27]
	v_add_f64 v[32:33], v[32:33], v[28:29]
	ds_load_b128 v[5:8], v10 offset:1536
	ds_load_b128 v[14:17], v12 offset:96
	;; [unrolled: 1-line block ×4, first 2 shown]
	v_fma_f64 v[20:21], v[20:21], v[22:23], v[36:37]
	s_waitcnt lgkmcnt(2)
	v_mul_f64 v[44:45], v[16:17], v[7:8]
	v_mul_f64 v[7:8], v[14:15], v[7:8]
	s_waitcnt lgkmcnt(0)
	v_mul_f64 v[34:35], v[26:27], v[30:31]
	v_mul_f64 v[36:37], v[24:25], v[30:31]
	v_add_f64 v[22:23], v[42:43], v[38:39]
	v_add_f64 v[32:33], v[32:33], v[40:41]
	v_fma_f64 v[38:39], v[14:15], v[5:6], -v[44:45]
	v_fma_f64 v[40:41], v[16:17], v[5:6], v[7:8]
	v_fma_f64 v[24:25], v[24:25], v[28:29], -v[34:35]
	v_fma_f64 v[26:27], v[26:27], v[28:29], v[36:37]
	v_add_f64 v[22:23], v[22:23], v[18:19]
	v_add_f64 v[42:43], v[32:33], v[20:21]
	ds_load_b128 v[5:8], v10 offset:2048
	ds_load_b128 v[14:17], v12 offset:128
	;; [unrolled: 1-line block ×4, first 2 shown]
	s_waitcnt lgkmcnt(2)
	v_mul_f64 v[44:45], v[16:17], v[7:8]
	v_mul_f64 v[7:8], v[14:15], v[7:8]
	s_waitcnt lgkmcnt(0)
	v_mul_f64 v[34:35], v[20:21], v[32:33]
	v_mul_f64 v[32:33], v[18:19], v[32:33]
	v_add_f64 v[22:23], v[22:23], v[38:39]
	v_add_f64 v[28:29], v[42:43], v[40:41]
	v_fma_f64 v[36:37], v[14:15], v[5:6], -v[44:45]
	v_fma_f64 v[38:39], v[16:17], v[5:6], v[7:8]
	v_fma_f64 v[18:19], v[18:19], v[30:31], -v[34:35]
	v_fma_f64 v[20:21], v[20:21], v[30:31], v[32:33]
	v_add_f64 v[40:41], v[22:23], v[24:25]
	v_add_f64 v[42:43], v[28:29], v[26:27]
	ds_load_b128 v[5:8], v10 offset:2560
	ds_load_b128 v[14:17], v12 offset:160
	;; [unrolled: 1-line block ×4, first 2 shown]
	s_waitcnt lgkmcnt(2)
	v_mul_f64 v[44:45], v[16:17], v[7:8]
	v_mul_f64 v[7:8], v[14:15], v[7:8]
	s_waitcnt lgkmcnt(0)
	v_mul_f64 v[34:35], v[24:25], v[28:29]
	v_add_f64 v[30:31], v[40:41], v[36:37]
	v_add_f64 v[32:33], v[42:43], v[38:39]
	v_mul_f64 v[36:37], v[22:23], v[28:29]
	v_fma_f64 v[38:39], v[14:15], v[5:6], -v[44:45]
	v_fma_f64 v[40:41], v[16:17], v[5:6], v[7:8]
	v_fma_f64 v[22:23], v[22:23], v[26:27], -v[34:35]
	v_add_f64 v[42:43], v[30:31], v[18:19]
	v_add_f64 v[32:33], v[32:33], v[20:21]
	ds_load_b128 v[5:8], v10 offset:3072
	ds_load_b128 v[14:17], v12 offset:192
	;; [unrolled: 1-line block ×4, first 2 shown]
	v_fma_f64 v[24:25], v[24:25], v[26:27], v[36:37]
	s_waitcnt lgkmcnt(2)
	v_mul_f64 v[44:45], v[16:17], v[7:8]
	v_mul_f64 v[7:8], v[14:15], v[7:8]
	s_waitcnt lgkmcnt(0)
	v_mul_f64 v[34:35], v[20:21], v[30:31]
	v_mul_f64 v[36:37], v[18:19], v[30:31]
	v_add_f64 v[26:27], v[42:43], v[38:39]
	v_add_f64 v[32:33], v[32:33], v[40:41]
	v_fma_f64 v[38:39], v[14:15], v[5:6], -v[44:45]
	v_fma_f64 v[40:41], v[16:17], v[5:6], v[7:8]
	v_fma_f64 v[18:19], v[18:19], v[28:29], -v[34:35]
	v_fma_f64 v[20:21], v[20:21], v[28:29], v[36:37]
	v_add_f64 v[26:27], v[26:27], v[22:23]
	v_add_f64 v[42:43], v[32:33], v[24:25]
	ds_load_b128 v[5:8], v10 offset:3584
	ds_load_b128 v[14:17], v12 offset:224
	;; [unrolled: 1-line block ×4, first 2 shown]
	s_waitcnt lgkmcnt(0)
	s_barrier
	buffer_gl0_inv
	v_mul_f64 v[44:45], v[16:17], v[7:8]
	v_mul_f64 v[7:8], v[14:15], v[7:8]
	v_mul_f64 v[34:35], v[24:25], v[32:33]
	v_mul_f64 v[32:33], v[22:23], v[32:33]
	v_add_f64 v[26:27], v[26:27], v[38:39]
	v_add_f64 v[28:29], v[42:43], v[40:41]
	v_fma_f64 v[14:15], v[14:15], v[5:6], -v[44:45]
	v_fma_f64 v[5:6], v[16:17], v[5:6], v[7:8]
	s_delay_alu instid0(VALU_DEP_4) | instskip(NEXT) | instid1(VALU_DEP_4)
	v_add_f64 v[7:8], v[26:27], v[18:19]
	v_add_f64 v[16:17], v[28:29], v[20:21]
	v_fma_f64 v[18:19], v[22:23], v[30:31], -v[34:35]
	v_fma_f64 v[20:21], v[24:25], v[30:31], v[32:33]
	s_delay_alu instid0(VALU_DEP_4) | instskip(NEXT) | instid1(VALU_DEP_4)
	v_add_f64 v[7:8], v[7:8], v[14:15]
	v_add_f64 v[5:6], v[16:17], v[5:6]
	s_delay_alu instid0(VALU_DEP_2) | instskip(NEXT) | instid1(VALU_DEP_2)
	v_add_f64 v[7:8], v[7:8], v[18:19]
	v_add_f64 v[5:6], v[5:6], v[20:21]
	s_cbranch_scc1 .LBB275_2
.LBB275_3:
	s_mov_b32 s2, exec_lo
	v_cmpx_le_i32_e64 v9, v0
	s_cbranch_execz .LBB275_5
; %bb.4:
	s_clause 0x1
	s_load_b32 s2, s[0:1], 0x60
	s_load_b64 s[0:1], s[0:1], 0x68
	v_ashrrev_i32_e32 v1, 31, v0
	s_delay_alu instid0(VALU_DEP_3) | instskip(SKIP_1) | instid1(VALU_DEP_3)
	v_mul_f64 v[11:12], s[18:19], v[5:6]
	v_mul_f64 v[4:5], s[16:17], v[5:6]
	v_lshlrev_b64 v[0:1], 4, v[0:1]
	s_waitcnt lgkmcnt(0)
	v_mad_i64_i32 v[2:3], null, s2, v9, 0
	s_mul_i32 s1, s15, s1
	s_mul_hi_u32 s2, s15, s0
	s_mul_i32 s0, s15, s0
	s_add_i32 s1, s2, s1
	s_delay_alu instid0(SALU_CYCLE_1) | instskip(NEXT) | instid1(VALU_DEP_1)
	s_lshl_b64 s[0:1], s[0:1], 4
	v_lshlrev_b64 v[2:3], 4, v[2:3]
	s_add_u32 s0, s10, s0
	s_addc_u32 s1, s11, s1
	s_delay_alu instid0(VALU_DEP_1) | instskip(NEXT) | instid1(VALU_DEP_2)
	v_add_co_u32 v2, vcc_lo, s0, v2
	v_add_co_ci_u32_e32 v3, vcc_lo, s1, v3, vcc_lo
	s_delay_alu instid0(VALU_DEP_2) | instskip(NEXT) | instid1(VALU_DEP_2)
	v_add_co_u32 v9, vcc_lo, v2, v0
	v_add_co_ci_u32_e32 v10, vcc_lo, v3, v1, vcc_lo
	v_fma_f64 v[11:12], s[16:17], v[7:8], -v[11:12]
	v_fma_f64 v[4:5], s[18:19], v[7:8], v[4:5]
	global_load_b128 v[0:3], v[9:10], off
	s_waitcnt vmcnt(0)
	v_mul_f64 v[13:14], s[8:9], v[2:3]
	v_mul_f64 v[2:3], s[6:7], v[2:3]
	s_delay_alu instid0(VALU_DEP_2) | instskip(NEXT) | instid1(VALU_DEP_2)
	v_fma_f64 v[6:7], s[6:7], v[0:1], -v[13:14]
	v_fma_f64 v[2:3], s[8:9], v[0:1], v[2:3]
	s_delay_alu instid0(VALU_DEP_2) | instskip(NEXT) | instid1(VALU_DEP_2)
	v_add_f64 v[0:1], v[11:12], v[6:7]
	v_add_f64 v[2:3], v[4:5], v[2:3]
	global_store_b128 v[9:10], v[0:3], off
.LBB275_5:
	s_nop 0
	s_sendmsg sendmsg(MSG_DEALLOC_VGPRS)
	s_endpgm
	.section	.rodata,"a",@progbits
	.p2align	6, 0x0
	.amdhsa_kernel _ZL41rocblas_syrkx_herkx_small_restrict_kernelIi19rocblas_complex_numIdELi16ELb0ELb0ELc84ELc76EKS1_S1_EviT_T0_PT6_S3_lS6_S3_lS4_PT7_S3_li
		.amdhsa_group_segment_fixed_size 8192
		.amdhsa_private_segment_fixed_size 0
		.amdhsa_kernarg_size 116
		.amdhsa_user_sgpr_count 13
		.amdhsa_user_sgpr_dispatch_ptr 0
		.amdhsa_user_sgpr_queue_ptr 0
		.amdhsa_user_sgpr_kernarg_segment_ptr 1
		.amdhsa_user_sgpr_dispatch_id 0
		.amdhsa_user_sgpr_private_segment_size 0
		.amdhsa_wavefront_size32 1
		.amdhsa_uses_dynamic_stack 0
		.amdhsa_enable_private_segment 0
		.amdhsa_system_sgpr_workgroup_id_x 1
		.amdhsa_system_sgpr_workgroup_id_y 1
		.amdhsa_system_sgpr_workgroup_id_z 1
		.amdhsa_system_sgpr_workgroup_info 0
		.amdhsa_system_vgpr_workitem_id 1
		.amdhsa_next_free_vgpr 46
		.amdhsa_next_free_sgpr 26
		.amdhsa_reserve_vcc 1
		.amdhsa_float_round_mode_32 0
		.amdhsa_float_round_mode_16_64 0
		.amdhsa_float_denorm_mode_32 3
		.amdhsa_float_denorm_mode_16_64 3
		.amdhsa_dx10_clamp 1
		.amdhsa_ieee_mode 1
		.amdhsa_fp16_overflow 0
		.amdhsa_workgroup_processor_mode 1
		.amdhsa_memory_ordered 1
		.amdhsa_forward_progress 0
		.amdhsa_shared_vgpr_count 0
		.amdhsa_exception_fp_ieee_invalid_op 0
		.amdhsa_exception_fp_denorm_src 0
		.amdhsa_exception_fp_ieee_div_zero 0
		.amdhsa_exception_fp_ieee_overflow 0
		.amdhsa_exception_fp_ieee_underflow 0
		.amdhsa_exception_fp_ieee_inexact 0
		.amdhsa_exception_int_div_zero 0
	.end_amdhsa_kernel
	.section	.text._ZL41rocblas_syrkx_herkx_small_restrict_kernelIi19rocblas_complex_numIdELi16ELb0ELb0ELc84ELc76EKS1_S1_EviT_T0_PT6_S3_lS6_S3_lS4_PT7_S3_li,"axG",@progbits,_ZL41rocblas_syrkx_herkx_small_restrict_kernelIi19rocblas_complex_numIdELi16ELb0ELb0ELc84ELc76EKS1_S1_EviT_T0_PT6_S3_lS6_S3_lS4_PT7_S3_li,comdat
.Lfunc_end275:
	.size	_ZL41rocblas_syrkx_herkx_small_restrict_kernelIi19rocblas_complex_numIdELi16ELb0ELb0ELc84ELc76EKS1_S1_EviT_T0_PT6_S3_lS6_S3_lS4_PT7_S3_li, .Lfunc_end275-_ZL41rocblas_syrkx_herkx_small_restrict_kernelIi19rocblas_complex_numIdELi16ELb0ELb0ELc84ELc76EKS1_S1_EviT_T0_PT6_S3_lS6_S3_lS4_PT7_S3_li
                                        ; -- End function
	.section	.AMDGPU.csdata,"",@progbits
; Kernel info:
; codeLenInByte = 1832
; NumSgprs: 28
; NumVgprs: 46
; ScratchSize: 0
; MemoryBound: 0
; FloatMode: 240
; IeeeMode: 1
; LDSByteSize: 8192 bytes/workgroup (compile time only)
; SGPRBlocks: 3
; VGPRBlocks: 5
; NumSGPRsForWavesPerEU: 28
; NumVGPRsForWavesPerEU: 46
; Occupancy: 16
; WaveLimiterHint : 0
; COMPUTE_PGM_RSRC2:SCRATCH_EN: 0
; COMPUTE_PGM_RSRC2:USER_SGPR: 13
; COMPUTE_PGM_RSRC2:TRAP_HANDLER: 0
; COMPUTE_PGM_RSRC2:TGID_X_EN: 1
; COMPUTE_PGM_RSRC2:TGID_Y_EN: 1
; COMPUTE_PGM_RSRC2:TGID_Z_EN: 1
; COMPUTE_PGM_RSRC2:TIDIG_COMP_CNT: 1
	.section	.text._ZL41rocblas_syrkx_herkx_small_restrict_kernelIi19rocblas_complex_numIdELi16ELb0ELb0ELc67ELc76EKS1_S1_EviT_T0_PT6_S3_lS6_S3_lS4_PT7_S3_li,"axG",@progbits,_ZL41rocblas_syrkx_herkx_small_restrict_kernelIi19rocblas_complex_numIdELi16ELb0ELb0ELc67ELc76EKS1_S1_EviT_T0_PT6_S3_lS6_S3_lS4_PT7_S3_li,comdat
	.globl	_ZL41rocblas_syrkx_herkx_small_restrict_kernelIi19rocblas_complex_numIdELi16ELb0ELb0ELc67ELc76EKS1_S1_EviT_T0_PT6_S3_lS6_S3_lS4_PT7_S3_li ; -- Begin function _ZL41rocblas_syrkx_herkx_small_restrict_kernelIi19rocblas_complex_numIdELi16ELb0ELb0ELc67ELc76EKS1_S1_EviT_T0_PT6_S3_lS6_S3_lS4_PT7_S3_li
	.p2align	8
	.type	_ZL41rocblas_syrkx_herkx_small_restrict_kernelIi19rocblas_complex_numIdELi16ELb0ELb0ELc67ELc76EKS1_S1_EviT_T0_PT6_S3_lS6_S3_lS4_PT7_S3_li,@function
_ZL41rocblas_syrkx_herkx_small_restrict_kernelIi19rocblas_complex_numIdELi16ELb0ELb0ELc67ELc76EKS1_S1_EviT_T0_PT6_S3_lS6_S3_lS4_PT7_S3_li: ; @_ZL41rocblas_syrkx_herkx_small_restrict_kernelIi19rocblas_complex_numIdELi16ELb0ELb0ELc67ELc76EKS1_S1_EviT_T0_PT6_S3_lS6_S3_lS4_PT7_S3_li
; %bb.0:
	s_clause 0x3
	s_load_b32 s12, s[0:1], 0x4
	s_load_b128 s[16:19], s[0:1], 0x8
	s_load_b64 s[2:3], s[0:1], 0x18
	s_load_b256 s[4:11], s[0:1], 0x40
	v_dual_mov_b32 v5, 0 :: v_dual_and_b32 v2, 0x3ff, v0
	v_bfe_u32 v1, v0, 10, 10
	v_mov_b32_e32 v6, 0
	s_delay_alu instid0(VALU_DEP_3) | instskip(SKIP_1) | instid1(VALU_DEP_3)
	v_lshl_add_u32 v0, s13, 4, v2
	s_mov_b32 s13, 0
	v_lshl_add_u32 v9, s14, 4, v1
	s_delay_alu instid0(VALU_DEP_3)
	v_dual_mov_b32 v8, v6 :: v_dual_mov_b32 v7, v5
	s_waitcnt lgkmcnt(0)
	s_cmp_lt_i32 s12, 1
	s_cbranch_scc1 .LBB276_3
; %bb.1:
	s_clause 0x2
	s_load_b32 s14, s[0:1], 0x20
	s_load_b32 s24, s[0:1], 0x38
	s_load_b128 s[20:23], s[0:1], 0x28
	v_lshlrev_b32_e32 v3, 8, v1
	v_lshlrev_b32_e32 v10, 4, v2
	;; [unrolled: 1-line block ×3, first 2 shown]
	s_mul_i32 s5, s5, s15
	s_mul_hi_u32 s25, s4, s15
	v_add_nc_u32_e32 v12, 0x1000, v3
	v_add_nc_u32_e32 v11, v10, v3
	s_mul_i32 s4, s4, s15
	s_add_i32 s5, s25, s5
	s_delay_alu instid0(SALU_CYCLE_1)
	s_lshl_b64 s[4:5], s[4:5], 4
	s_waitcnt lgkmcnt(0)
	v_mad_i64_i32 v[1:2], null, s14, v0, 0
	v_mad_i64_i32 v[3:4], null, s24, v9, 0
	s_mul_i32 s14, s21, s15
	s_mul_hi_u32 s21, s20, s15
	s_mul_i32 s20, s20, s15
	s_add_i32 s21, s21, s14
	s_delay_alu instid0(VALU_DEP_2) | instskip(SKIP_1) | instid1(VALU_DEP_2)
	v_lshlrev_b64 v[1:2], 4, v[1:2]
	s_lshl_b64 s[20:21], s[20:21], 4
	v_lshlrev_b64 v[3:4], 4, v[3:4]
	s_delay_alu instid0(VALU_DEP_2) | instskip(NEXT) | instid1(VALU_DEP_3)
	v_add_co_u32 v1, vcc_lo, v1, s20
	v_add_co_ci_u32_e32 v2, vcc_lo, s21, v2, vcc_lo
	s_delay_alu instid0(VALU_DEP_3) | instskip(NEXT) | instid1(VALU_DEP_4)
	v_add_co_u32 v3, vcc_lo, v3, s4
	v_add_co_ci_u32_e32 v4, vcc_lo, s5, v4, vcc_lo
	s_delay_alu instid0(VALU_DEP_4) | instskip(NEXT) | instid1(VALU_DEP_4)
	v_add_co_u32 v1, vcc_lo, v1, v5
	v_add_co_ci_u32_e32 v2, vcc_lo, 0, v2, vcc_lo
	v_mov_b32_e32 v5, 0
	v_add_co_u32 v3, vcc_lo, v3, v10
	v_add_co_ci_u32_e32 v4, vcc_lo, 0, v4, vcc_lo
	v_add_co_u32 v7, vcc_lo, v1, s2
	v_add_co_ci_u32_e32 v8, vcc_lo, s3, v2, vcc_lo
	v_mov_b32_e32 v6, 0
	v_add_co_u32 v1, vcc_lo, s22, v3
	v_add_co_ci_u32_e32 v2, vcc_lo, s23, v4, vcc_lo
	v_add_co_u32 v3, vcc_lo, v7, 8
	v_add_co_ci_u32_e32 v4, vcc_lo, 0, v8, vcc_lo
	v_dual_mov_b32 v8, v6 :: v_dual_mov_b32 v7, v5
	v_add_nc_u32_e32 v13, v12, v10
.LBB276_2:                              ; =>This Inner Loop Header: Depth=1
	global_load_b128 v[14:17], v[3:4], off offset:-8
	global_load_b128 v[18:21], v[1:2], off
	v_add_co_u32 v1, vcc_lo, 0x100, v1
	v_add_co_ci_u32_e32 v2, vcc_lo, 0, v2, vcc_lo
	v_add_co_u32 v3, vcc_lo, 0x100, v3
	v_add_co_ci_u32_e32 v4, vcc_lo, 0, v4, vcc_lo
	s_add_i32 s13, s13, 16
	s_waitcnt vmcnt(1)
	ds_store_b128 v11, v[14:17]
	s_waitcnt vmcnt(0)
	ds_store_2addr_b64 v13, v[18:19], v[20:21] offset1:1
	s_waitcnt lgkmcnt(0)
	s_barrier
	buffer_gl0_inv
	ds_load_b128 v[14:17], v10
	ds_load_b128 v[18:21], v12
	ds_load_b128 v[22:25], v12 offset:16
	ds_load_b128 v[26:29], v10 offset:256
	s_cmp_lt_i32 s13, s12
	s_waitcnt lgkmcnt(2)
	v_mul_f64 v[30:31], v[20:21], v[16:17]
	v_mul_f64 v[16:17], v[18:19], v[16:17]
	s_waitcnt lgkmcnt(0)
	v_mul_f64 v[36:37], v[24:25], v[28:29]
	v_mul_f64 v[38:39], v[22:23], v[28:29]
	s_delay_alu instid0(VALU_DEP_4) | instskip(NEXT) | instid1(VALU_DEP_4)
	v_fma_f64 v[40:41], v[18:19], v[14:15], -v[30:31]
	v_fma_f64 v[42:43], v[20:21], v[14:15], v[16:17]
	ds_load_b128 v[14:17], v10 offset:512
	ds_load_b128 v[18:21], v12 offset:32
	;; [unrolled: 1-line block ×4, first 2 shown]
	v_fma_f64 v[22:23], v[22:23], v[26:27], -v[36:37]
	v_fma_f64 v[24:25], v[24:25], v[26:27], v[38:39]
	s_waitcnt lgkmcnt(2)
	v_mul_f64 v[44:45], v[20:21], v[16:17]
	v_mul_f64 v[16:17], v[18:19], v[16:17]
	s_waitcnt lgkmcnt(0)
	v_mul_f64 v[26:27], v[30:31], v[34:35]
	v_mul_f64 v[34:35], v[28:29], v[34:35]
	v_add_f64 v[7:8], v[7:8], v[40:41]
	v_add_f64 v[5:6], v[5:6], v[42:43]
	v_fma_f64 v[36:37], v[18:19], v[14:15], -v[44:45]
	v_fma_f64 v[38:39], v[20:21], v[14:15], v[16:17]
	v_fma_f64 v[26:27], v[28:29], v[32:33], -v[26:27]
	v_fma_f64 v[28:29], v[30:31], v[32:33], v[34:35]
	v_add_f64 v[40:41], v[7:8], v[22:23]
	v_add_f64 v[42:43], v[5:6], v[24:25]
	ds_load_b128 v[5:8], v10 offset:1024
	ds_load_b128 v[14:17], v12 offset:64
	;; [unrolled: 1-line block ×4, first 2 shown]
	s_waitcnt lgkmcnt(2)
	v_mul_f64 v[44:45], v[16:17], v[7:8]
	v_mul_f64 v[7:8], v[14:15], v[7:8]
	s_waitcnt lgkmcnt(0)
	v_mul_f64 v[34:35], v[20:21], v[24:25]
	v_add_f64 v[30:31], v[40:41], v[36:37]
	v_add_f64 v[32:33], v[42:43], v[38:39]
	v_mul_f64 v[36:37], v[18:19], v[24:25]
	v_fma_f64 v[38:39], v[14:15], v[5:6], -v[44:45]
	v_fma_f64 v[40:41], v[16:17], v[5:6], v[7:8]
	v_fma_f64 v[18:19], v[18:19], v[22:23], -v[34:35]
	v_add_f64 v[42:43], v[30:31], v[26:27]
	v_add_f64 v[32:33], v[32:33], v[28:29]
	ds_load_b128 v[5:8], v10 offset:1536
	ds_load_b128 v[14:17], v12 offset:96
	;; [unrolled: 1-line block ×4, first 2 shown]
	v_fma_f64 v[20:21], v[20:21], v[22:23], v[36:37]
	s_waitcnt lgkmcnt(2)
	v_mul_f64 v[44:45], v[16:17], v[7:8]
	v_mul_f64 v[7:8], v[14:15], v[7:8]
	s_waitcnt lgkmcnt(0)
	v_mul_f64 v[34:35], v[26:27], v[30:31]
	v_mul_f64 v[36:37], v[24:25], v[30:31]
	v_add_f64 v[22:23], v[42:43], v[38:39]
	v_add_f64 v[32:33], v[32:33], v[40:41]
	v_fma_f64 v[38:39], v[14:15], v[5:6], -v[44:45]
	v_fma_f64 v[40:41], v[16:17], v[5:6], v[7:8]
	v_fma_f64 v[24:25], v[24:25], v[28:29], -v[34:35]
	v_fma_f64 v[26:27], v[26:27], v[28:29], v[36:37]
	v_add_f64 v[22:23], v[22:23], v[18:19]
	v_add_f64 v[42:43], v[32:33], v[20:21]
	ds_load_b128 v[5:8], v10 offset:2048
	ds_load_b128 v[14:17], v12 offset:128
	;; [unrolled: 1-line block ×4, first 2 shown]
	s_waitcnt lgkmcnt(2)
	v_mul_f64 v[44:45], v[16:17], v[7:8]
	v_mul_f64 v[7:8], v[14:15], v[7:8]
	s_waitcnt lgkmcnt(0)
	v_mul_f64 v[34:35], v[20:21], v[32:33]
	v_mul_f64 v[32:33], v[18:19], v[32:33]
	v_add_f64 v[22:23], v[22:23], v[38:39]
	v_add_f64 v[28:29], v[42:43], v[40:41]
	v_fma_f64 v[36:37], v[14:15], v[5:6], -v[44:45]
	v_fma_f64 v[38:39], v[16:17], v[5:6], v[7:8]
	v_fma_f64 v[18:19], v[18:19], v[30:31], -v[34:35]
	v_fma_f64 v[20:21], v[20:21], v[30:31], v[32:33]
	v_add_f64 v[40:41], v[22:23], v[24:25]
	v_add_f64 v[42:43], v[28:29], v[26:27]
	ds_load_b128 v[5:8], v10 offset:2560
	ds_load_b128 v[14:17], v12 offset:160
	;; [unrolled: 1-line block ×4, first 2 shown]
	s_waitcnt lgkmcnt(2)
	v_mul_f64 v[44:45], v[16:17], v[7:8]
	v_mul_f64 v[7:8], v[14:15], v[7:8]
	s_waitcnt lgkmcnt(0)
	v_mul_f64 v[34:35], v[24:25], v[28:29]
	v_add_f64 v[30:31], v[40:41], v[36:37]
	v_add_f64 v[32:33], v[42:43], v[38:39]
	v_mul_f64 v[36:37], v[22:23], v[28:29]
	v_fma_f64 v[38:39], v[14:15], v[5:6], -v[44:45]
	v_fma_f64 v[40:41], v[16:17], v[5:6], v[7:8]
	v_fma_f64 v[22:23], v[22:23], v[26:27], -v[34:35]
	v_add_f64 v[42:43], v[30:31], v[18:19]
	v_add_f64 v[32:33], v[32:33], v[20:21]
	ds_load_b128 v[5:8], v10 offset:3072
	ds_load_b128 v[14:17], v12 offset:192
	;; [unrolled: 1-line block ×4, first 2 shown]
	v_fma_f64 v[24:25], v[24:25], v[26:27], v[36:37]
	s_waitcnt lgkmcnt(2)
	v_mul_f64 v[44:45], v[16:17], v[7:8]
	v_mul_f64 v[7:8], v[14:15], v[7:8]
	s_waitcnt lgkmcnt(0)
	v_mul_f64 v[34:35], v[20:21], v[30:31]
	v_mul_f64 v[36:37], v[18:19], v[30:31]
	v_add_f64 v[26:27], v[42:43], v[38:39]
	v_add_f64 v[32:33], v[32:33], v[40:41]
	v_fma_f64 v[38:39], v[14:15], v[5:6], -v[44:45]
	v_fma_f64 v[40:41], v[16:17], v[5:6], v[7:8]
	v_fma_f64 v[18:19], v[18:19], v[28:29], -v[34:35]
	v_fma_f64 v[20:21], v[20:21], v[28:29], v[36:37]
	v_add_f64 v[26:27], v[26:27], v[22:23]
	v_add_f64 v[42:43], v[32:33], v[24:25]
	ds_load_b128 v[5:8], v10 offset:3584
	ds_load_b128 v[14:17], v12 offset:224
	ds_load_b128 v[22:25], v12 offset:240
	ds_load_b128 v[30:33], v10 offset:3840
	s_waitcnt lgkmcnt(0)
	s_barrier
	buffer_gl0_inv
	v_mul_f64 v[44:45], v[16:17], v[7:8]
	v_mul_f64 v[7:8], v[14:15], v[7:8]
	;; [unrolled: 1-line block ×4, first 2 shown]
	v_add_f64 v[26:27], v[26:27], v[38:39]
	v_add_f64 v[28:29], v[42:43], v[40:41]
	v_fma_f64 v[14:15], v[14:15], v[5:6], -v[44:45]
	v_fma_f64 v[5:6], v[16:17], v[5:6], v[7:8]
	s_delay_alu instid0(VALU_DEP_4) | instskip(NEXT) | instid1(VALU_DEP_4)
	v_add_f64 v[7:8], v[26:27], v[18:19]
	v_add_f64 v[16:17], v[28:29], v[20:21]
	v_fma_f64 v[18:19], v[22:23], v[30:31], -v[34:35]
	v_fma_f64 v[20:21], v[24:25], v[30:31], v[32:33]
	s_delay_alu instid0(VALU_DEP_4) | instskip(NEXT) | instid1(VALU_DEP_4)
	v_add_f64 v[7:8], v[7:8], v[14:15]
	v_add_f64 v[5:6], v[16:17], v[5:6]
	s_delay_alu instid0(VALU_DEP_2) | instskip(NEXT) | instid1(VALU_DEP_2)
	v_add_f64 v[7:8], v[7:8], v[18:19]
	v_add_f64 v[5:6], v[5:6], v[20:21]
	s_cbranch_scc1 .LBB276_2
.LBB276_3:
	s_mov_b32 s2, exec_lo
	v_cmpx_le_i32_e64 v9, v0
	s_cbranch_execz .LBB276_5
; %bb.4:
	s_clause 0x1
	s_load_b32 s2, s[0:1], 0x60
	s_load_b64 s[0:1], s[0:1], 0x68
	v_ashrrev_i32_e32 v1, 31, v0
	s_delay_alu instid0(VALU_DEP_3) | instskip(SKIP_1) | instid1(VALU_DEP_3)
	v_mul_f64 v[11:12], s[18:19], v[5:6]
	v_mul_f64 v[4:5], s[16:17], v[5:6]
	v_lshlrev_b64 v[0:1], 4, v[0:1]
	s_waitcnt lgkmcnt(0)
	v_mad_i64_i32 v[2:3], null, s2, v9, 0
	s_mul_i32 s1, s15, s1
	s_mul_hi_u32 s2, s15, s0
	s_mul_i32 s0, s15, s0
	s_add_i32 s1, s2, s1
	s_delay_alu instid0(SALU_CYCLE_1) | instskip(NEXT) | instid1(VALU_DEP_1)
	s_lshl_b64 s[0:1], s[0:1], 4
	v_lshlrev_b64 v[2:3], 4, v[2:3]
	s_add_u32 s0, s10, s0
	s_addc_u32 s1, s11, s1
	s_delay_alu instid0(VALU_DEP_1) | instskip(NEXT) | instid1(VALU_DEP_2)
	v_add_co_u32 v2, vcc_lo, s0, v2
	v_add_co_ci_u32_e32 v3, vcc_lo, s1, v3, vcc_lo
	s_delay_alu instid0(VALU_DEP_2) | instskip(NEXT) | instid1(VALU_DEP_2)
	v_add_co_u32 v9, vcc_lo, v2, v0
	v_add_co_ci_u32_e32 v10, vcc_lo, v3, v1, vcc_lo
	v_fma_f64 v[11:12], s[16:17], v[7:8], -v[11:12]
	v_fma_f64 v[4:5], s[18:19], v[7:8], v[4:5]
	global_load_b128 v[0:3], v[9:10], off
	s_waitcnt vmcnt(0)
	v_mul_f64 v[13:14], s[8:9], v[2:3]
	v_mul_f64 v[2:3], s[6:7], v[2:3]
	s_delay_alu instid0(VALU_DEP_2) | instskip(NEXT) | instid1(VALU_DEP_2)
	v_fma_f64 v[6:7], s[6:7], v[0:1], -v[13:14]
	v_fma_f64 v[2:3], s[8:9], v[0:1], v[2:3]
	s_delay_alu instid0(VALU_DEP_2) | instskip(NEXT) | instid1(VALU_DEP_2)
	v_add_f64 v[0:1], v[11:12], v[6:7]
	v_add_f64 v[2:3], v[4:5], v[2:3]
	global_store_b128 v[9:10], v[0:3], off
.LBB276_5:
	s_nop 0
	s_sendmsg sendmsg(MSG_DEALLOC_VGPRS)
	s_endpgm
	.section	.rodata,"a",@progbits
	.p2align	6, 0x0
	.amdhsa_kernel _ZL41rocblas_syrkx_herkx_small_restrict_kernelIi19rocblas_complex_numIdELi16ELb0ELb0ELc67ELc76EKS1_S1_EviT_T0_PT6_S3_lS6_S3_lS4_PT7_S3_li
		.amdhsa_group_segment_fixed_size 8192
		.amdhsa_private_segment_fixed_size 0
		.amdhsa_kernarg_size 116
		.amdhsa_user_sgpr_count 13
		.amdhsa_user_sgpr_dispatch_ptr 0
		.amdhsa_user_sgpr_queue_ptr 0
		.amdhsa_user_sgpr_kernarg_segment_ptr 1
		.amdhsa_user_sgpr_dispatch_id 0
		.amdhsa_user_sgpr_private_segment_size 0
		.amdhsa_wavefront_size32 1
		.amdhsa_uses_dynamic_stack 0
		.amdhsa_enable_private_segment 0
		.amdhsa_system_sgpr_workgroup_id_x 1
		.amdhsa_system_sgpr_workgroup_id_y 1
		.amdhsa_system_sgpr_workgroup_id_z 1
		.amdhsa_system_sgpr_workgroup_info 0
		.amdhsa_system_vgpr_workitem_id 1
		.amdhsa_next_free_vgpr 46
		.amdhsa_next_free_sgpr 26
		.amdhsa_reserve_vcc 1
		.amdhsa_float_round_mode_32 0
		.amdhsa_float_round_mode_16_64 0
		.amdhsa_float_denorm_mode_32 3
		.amdhsa_float_denorm_mode_16_64 3
		.amdhsa_dx10_clamp 1
		.amdhsa_ieee_mode 1
		.amdhsa_fp16_overflow 0
		.amdhsa_workgroup_processor_mode 1
		.amdhsa_memory_ordered 1
		.amdhsa_forward_progress 0
		.amdhsa_shared_vgpr_count 0
		.amdhsa_exception_fp_ieee_invalid_op 0
		.amdhsa_exception_fp_denorm_src 0
		.amdhsa_exception_fp_ieee_div_zero 0
		.amdhsa_exception_fp_ieee_overflow 0
		.amdhsa_exception_fp_ieee_underflow 0
		.amdhsa_exception_fp_ieee_inexact 0
		.amdhsa_exception_int_div_zero 0
	.end_amdhsa_kernel
	.section	.text._ZL41rocblas_syrkx_herkx_small_restrict_kernelIi19rocblas_complex_numIdELi16ELb0ELb0ELc67ELc76EKS1_S1_EviT_T0_PT6_S3_lS6_S3_lS4_PT7_S3_li,"axG",@progbits,_ZL41rocblas_syrkx_herkx_small_restrict_kernelIi19rocblas_complex_numIdELi16ELb0ELb0ELc67ELc76EKS1_S1_EviT_T0_PT6_S3_lS6_S3_lS4_PT7_S3_li,comdat
.Lfunc_end276:
	.size	_ZL41rocblas_syrkx_herkx_small_restrict_kernelIi19rocblas_complex_numIdELi16ELb0ELb0ELc67ELc76EKS1_S1_EviT_T0_PT6_S3_lS6_S3_lS4_PT7_S3_li, .Lfunc_end276-_ZL41rocblas_syrkx_herkx_small_restrict_kernelIi19rocblas_complex_numIdELi16ELb0ELb0ELc67ELc76EKS1_S1_EviT_T0_PT6_S3_lS6_S3_lS4_PT7_S3_li
                                        ; -- End function
	.section	.AMDGPU.csdata,"",@progbits
; Kernel info:
; codeLenInByte = 1828
; NumSgprs: 28
; NumVgprs: 46
; ScratchSize: 0
; MemoryBound: 0
; FloatMode: 240
; IeeeMode: 1
; LDSByteSize: 8192 bytes/workgroup (compile time only)
; SGPRBlocks: 3
; VGPRBlocks: 5
; NumSGPRsForWavesPerEU: 28
; NumVGPRsForWavesPerEU: 46
; Occupancy: 16
; WaveLimiterHint : 0
; COMPUTE_PGM_RSRC2:SCRATCH_EN: 0
; COMPUTE_PGM_RSRC2:USER_SGPR: 13
; COMPUTE_PGM_RSRC2:TRAP_HANDLER: 0
; COMPUTE_PGM_RSRC2:TGID_X_EN: 1
; COMPUTE_PGM_RSRC2:TGID_Y_EN: 1
; COMPUTE_PGM_RSRC2:TGID_Z_EN: 1
; COMPUTE_PGM_RSRC2:TIDIG_COMP_CNT: 1
	.section	.text._ZL41rocblas_syrkx_herkx_small_restrict_kernelIi19rocblas_complex_numIdELi16ELb0ELb0ELc78ELc76EKS1_S1_EviT_T0_PT6_S3_lS6_S3_lS4_PT7_S3_li,"axG",@progbits,_ZL41rocblas_syrkx_herkx_small_restrict_kernelIi19rocblas_complex_numIdELi16ELb0ELb0ELc78ELc76EKS1_S1_EviT_T0_PT6_S3_lS6_S3_lS4_PT7_S3_li,comdat
	.globl	_ZL41rocblas_syrkx_herkx_small_restrict_kernelIi19rocblas_complex_numIdELi16ELb0ELb0ELc78ELc76EKS1_S1_EviT_T0_PT6_S3_lS6_S3_lS4_PT7_S3_li ; -- Begin function _ZL41rocblas_syrkx_herkx_small_restrict_kernelIi19rocblas_complex_numIdELi16ELb0ELb0ELc78ELc76EKS1_S1_EviT_T0_PT6_S3_lS6_S3_lS4_PT7_S3_li
	.p2align	8
	.type	_ZL41rocblas_syrkx_herkx_small_restrict_kernelIi19rocblas_complex_numIdELi16ELb0ELb0ELc78ELc76EKS1_S1_EviT_T0_PT6_S3_lS6_S3_lS4_PT7_S3_li,@function
_ZL41rocblas_syrkx_herkx_small_restrict_kernelIi19rocblas_complex_numIdELi16ELb0ELb0ELc78ELc76EKS1_S1_EviT_T0_PT6_S3_lS6_S3_lS4_PT7_S3_li: ; @_ZL41rocblas_syrkx_herkx_small_restrict_kernelIi19rocblas_complex_numIdELi16ELb0ELb0ELc78ELc76EKS1_S1_EviT_T0_PT6_S3_lS6_S3_lS4_PT7_S3_li
; %bb.0:
	s_clause 0x3
	s_load_b32 s12, s[0:1], 0x4
	s_load_b128 s[16:19], s[0:1], 0x8
	s_load_b64 s[2:3], s[0:1], 0x18
	s_load_b256 s[4:11], s[0:1], 0x40
	v_and_b32_e32 v5, 0x3ff, v0
	v_mov_b32_e32 v7, 0
	v_mov_b32_e32 v8, 0
	v_bfe_u32 v4, v0, 10, 10
	s_delay_alu instid0(VALU_DEP_4) | instskip(SKIP_1) | instid1(VALU_DEP_3)
	v_lshl_add_u32 v0, s13, 4, v5
	s_mov_b32 s13, 0
	v_dual_mov_b32 v10, v8 :: v_dual_mov_b32 v9, v7
	s_delay_alu instid0(VALU_DEP_3) | instskip(NEXT) | instid1(VALU_DEP_3)
	v_lshl_add_u32 v2, s14, 4, v4
	v_ashrrev_i32_e32 v1, 31, v0
	s_waitcnt lgkmcnt(0)
	s_cmp_lt_i32 s12, 1
	s_cbranch_scc1 .LBB277_3
; %bb.1:
	s_clause 0x2
	s_load_b32 s24, s[0:1], 0x38
	s_load_b128 s[20:23], s[0:1], 0x28
	s_load_b32 s26, s[0:1], 0x20
	v_ashrrev_i32_e32 v3, 31, v2
	s_mul_i32 s5, s5, s15
	s_mul_hi_u32 s14, s4, s15
	s_mul_i32 s4, s4, s15
	s_add_i32 s5, s14, s5
	v_lshlrev_b64 v[15:16], 4, v[2:3]
	s_lshl_b64 s[4:5], s[4:5], 4
	v_lshlrev_b32_e32 v11, 4, v5
	v_lshlrev_b32_e32 v10, 8, v4
	v_lshlrev_b64 v[6:7], 4, v[0:1]
	s_delay_alu instid0(VALU_DEP_2) | instskip(NEXT) | instid1(VALU_DEP_4)
	v_add_nc_u32_e32 v12, 0x1000, v10
	v_add_nc_u32_e32 v13, v11, v10
	s_waitcnt lgkmcnt(0)
	v_mad_i64_i32 v[8:9], null, s24, v5, 0
	v_mad_i64_i32 v[17:18], null, s26, v4, 0
	s_mul_i32 s14, s21, s15
	s_mul_hi_u32 s21, s20, s15
	s_mul_i32 s20, s20, s15
	s_add_i32 s21, s21, s14
	s_delay_alu instid0(VALU_DEP_2) | instskip(SKIP_1) | instid1(VALU_DEP_2)
	v_lshlrev_b64 v[8:9], 4, v[8:9]
	s_lshl_b64 s[20:21], s[20:21], 4
	v_lshlrev_b64 v[3:4], 4, v[17:18]
	s_ashr_i32 s25, s24, 31
	s_ashr_i32 s27, s26, 31
	s_delay_alu instid0(VALU_DEP_2) | instskip(SKIP_2) | instid1(VALU_DEP_2)
	v_add_co_u32 v5, vcc_lo, s4, v8
	v_add_co_ci_u32_e32 v8, vcc_lo, s5, v9, vcc_lo
	s_lshl_b64 s[4:5], s[26:27], 8
	v_add_co_u32 v5, vcc_lo, v5, v15
	s_delay_alu instid0(VALU_DEP_2) | instskip(SKIP_2) | instid1(VALU_DEP_4)
	v_add_co_ci_u32_e32 v8, vcc_lo, v8, v16, vcc_lo
	v_add_co_u32 v3, vcc_lo, s20, v3
	v_add_co_ci_u32_e32 v4, vcc_lo, s21, v4, vcc_lo
	v_add_co_u32 v5, vcc_lo, v5, s22
	s_delay_alu instid0(VALU_DEP_4) | instskip(NEXT) | instid1(VALU_DEP_4)
	v_add_co_ci_u32_e32 v9, vcc_lo, s23, v8, vcc_lo
	v_add_co_u32 v6, vcc_lo, v3, v6
	s_delay_alu instid0(VALU_DEP_4)
	v_add_co_ci_u32_e32 v10, vcc_lo, v4, v7, vcc_lo
	v_mov_b32_e32 v7, 0
	v_mov_b32_e32 v8, 0
	v_add_co_u32 v3, vcc_lo, v5, 8
	v_add_co_ci_u32_e32 v4, vcc_lo, 0, v9, vcc_lo
	v_add_co_u32 v5, vcc_lo, s2, v6
	v_add_co_ci_u32_e32 v6, vcc_lo, s3, v10, vcc_lo
	v_dual_mov_b32 v10, v8 :: v_dual_mov_b32 v9, v7
	v_add_nc_u32_e32 v14, v12, v11
	s_lshl_b64 s[2:3], s[24:25], 8
.LBB277_2:                              ; =>This Inner Loop Header: Depth=1
	global_load_b128 v[15:18], v[5:6], off
	global_load_b128 v[19:22], v[3:4], off offset:-8
	v_add_co_u32 v3, vcc_lo, v3, s2
	v_add_co_ci_u32_e32 v4, vcc_lo, s3, v4, vcc_lo
	v_add_co_u32 v5, vcc_lo, v5, s4
	v_add_co_ci_u32_e32 v6, vcc_lo, s5, v6, vcc_lo
	s_add_i32 s13, s13, 16
	s_waitcnt vmcnt(1)
	ds_store_2addr_b64 v13, v[15:16], v[17:18] offset1:1
	s_waitcnt vmcnt(0)
	ds_store_b128 v14, v[19:22]
	s_waitcnt lgkmcnt(0)
	s_barrier
	buffer_gl0_inv
	ds_load_b128 v[15:18], v11
	ds_load_b128 v[19:22], v12
	ds_load_b128 v[23:26], v12 offset:16
	ds_load_b128 v[27:30], v11 offset:256
	s_cmp_lt_i32 s13, s12
	s_waitcnt lgkmcnt(2)
	v_mul_f64 v[31:32], v[21:22], v[17:18]
	v_mul_f64 v[17:18], v[19:20], v[17:18]
	s_waitcnt lgkmcnt(0)
	v_mul_f64 v[37:38], v[25:26], v[29:30]
	v_mul_f64 v[39:40], v[23:24], v[29:30]
	s_delay_alu instid0(VALU_DEP_4) | instskip(NEXT) | instid1(VALU_DEP_4)
	v_fma_f64 v[41:42], v[19:20], v[15:16], -v[31:32]
	v_fma_f64 v[43:44], v[21:22], v[15:16], v[17:18]
	ds_load_b128 v[15:18], v11 offset:512
	ds_load_b128 v[19:22], v12 offset:32
	ds_load_b128 v[29:32], v12 offset:48
	ds_load_b128 v[33:36], v11 offset:768
	v_fma_f64 v[23:24], v[23:24], v[27:28], -v[37:38]
	v_fma_f64 v[25:26], v[25:26], v[27:28], v[39:40]
	s_waitcnt lgkmcnt(2)
	v_mul_f64 v[45:46], v[21:22], v[17:18]
	v_mul_f64 v[17:18], v[19:20], v[17:18]
	s_waitcnt lgkmcnt(0)
	v_mul_f64 v[27:28], v[31:32], v[35:36]
	v_mul_f64 v[35:36], v[29:30], v[35:36]
	v_add_f64 v[9:10], v[9:10], v[41:42]
	v_add_f64 v[7:8], v[7:8], v[43:44]
	v_fma_f64 v[37:38], v[19:20], v[15:16], -v[45:46]
	v_fma_f64 v[39:40], v[21:22], v[15:16], v[17:18]
	v_fma_f64 v[27:28], v[29:30], v[33:34], -v[27:28]
	v_fma_f64 v[29:30], v[31:32], v[33:34], v[35:36]
	v_add_f64 v[41:42], v[9:10], v[23:24]
	v_add_f64 v[43:44], v[7:8], v[25:26]
	ds_load_b128 v[7:10], v11 offset:1024
	ds_load_b128 v[15:18], v12 offset:64
	;; [unrolled: 1-line block ×4, first 2 shown]
	s_waitcnt lgkmcnt(2)
	v_mul_f64 v[45:46], v[17:18], v[9:10]
	v_mul_f64 v[9:10], v[15:16], v[9:10]
	s_waitcnt lgkmcnt(0)
	v_mul_f64 v[35:36], v[21:22], v[25:26]
	v_add_f64 v[31:32], v[41:42], v[37:38]
	v_add_f64 v[33:34], v[43:44], v[39:40]
	v_mul_f64 v[37:38], v[19:20], v[25:26]
	v_fma_f64 v[39:40], v[15:16], v[7:8], -v[45:46]
	v_fma_f64 v[41:42], v[17:18], v[7:8], v[9:10]
	v_fma_f64 v[19:20], v[19:20], v[23:24], -v[35:36]
	v_add_f64 v[43:44], v[31:32], v[27:28]
	v_add_f64 v[33:34], v[33:34], v[29:30]
	ds_load_b128 v[7:10], v11 offset:1536
	ds_load_b128 v[15:18], v12 offset:96
	;; [unrolled: 1-line block ×4, first 2 shown]
	v_fma_f64 v[21:22], v[21:22], v[23:24], v[37:38]
	s_waitcnt lgkmcnt(2)
	v_mul_f64 v[45:46], v[17:18], v[9:10]
	v_mul_f64 v[9:10], v[15:16], v[9:10]
	s_waitcnt lgkmcnt(0)
	v_mul_f64 v[35:36], v[27:28], v[31:32]
	v_mul_f64 v[37:38], v[25:26], v[31:32]
	v_add_f64 v[23:24], v[43:44], v[39:40]
	v_add_f64 v[33:34], v[33:34], v[41:42]
	v_fma_f64 v[39:40], v[15:16], v[7:8], -v[45:46]
	v_fma_f64 v[41:42], v[17:18], v[7:8], v[9:10]
	v_fma_f64 v[25:26], v[25:26], v[29:30], -v[35:36]
	v_fma_f64 v[27:28], v[27:28], v[29:30], v[37:38]
	v_add_f64 v[23:24], v[23:24], v[19:20]
	v_add_f64 v[43:44], v[33:34], v[21:22]
	ds_load_b128 v[7:10], v11 offset:2048
	ds_load_b128 v[15:18], v12 offset:128
	;; [unrolled: 1-line block ×4, first 2 shown]
	s_waitcnt lgkmcnt(2)
	v_mul_f64 v[45:46], v[17:18], v[9:10]
	v_mul_f64 v[9:10], v[15:16], v[9:10]
	s_waitcnt lgkmcnt(0)
	v_mul_f64 v[35:36], v[21:22], v[33:34]
	v_mul_f64 v[33:34], v[19:20], v[33:34]
	v_add_f64 v[23:24], v[23:24], v[39:40]
	v_add_f64 v[29:30], v[43:44], v[41:42]
	v_fma_f64 v[37:38], v[15:16], v[7:8], -v[45:46]
	v_fma_f64 v[39:40], v[17:18], v[7:8], v[9:10]
	v_fma_f64 v[19:20], v[19:20], v[31:32], -v[35:36]
	v_fma_f64 v[21:22], v[21:22], v[31:32], v[33:34]
	v_add_f64 v[41:42], v[23:24], v[25:26]
	v_add_f64 v[43:44], v[29:30], v[27:28]
	ds_load_b128 v[7:10], v11 offset:2560
	ds_load_b128 v[15:18], v12 offset:160
	;; [unrolled: 1-line block ×4, first 2 shown]
	s_waitcnt lgkmcnt(2)
	v_mul_f64 v[45:46], v[17:18], v[9:10]
	v_mul_f64 v[9:10], v[15:16], v[9:10]
	s_waitcnt lgkmcnt(0)
	v_mul_f64 v[35:36], v[25:26], v[29:30]
	v_add_f64 v[31:32], v[41:42], v[37:38]
	v_add_f64 v[33:34], v[43:44], v[39:40]
	v_mul_f64 v[37:38], v[23:24], v[29:30]
	v_fma_f64 v[39:40], v[15:16], v[7:8], -v[45:46]
	v_fma_f64 v[41:42], v[17:18], v[7:8], v[9:10]
	v_fma_f64 v[23:24], v[23:24], v[27:28], -v[35:36]
	v_add_f64 v[43:44], v[31:32], v[19:20]
	v_add_f64 v[33:34], v[33:34], v[21:22]
	ds_load_b128 v[7:10], v11 offset:3072
	ds_load_b128 v[15:18], v12 offset:192
	;; [unrolled: 1-line block ×4, first 2 shown]
	v_fma_f64 v[25:26], v[25:26], v[27:28], v[37:38]
	s_waitcnt lgkmcnt(2)
	v_mul_f64 v[45:46], v[17:18], v[9:10]
	v_mul_f64 v[9:10], v[15:16], v[9:10]
	s_waitcnt lgkmcnt(0)
	v_mul_f64 v[35:36], v[21:22], v[31:32]
	v_mul_f64 v[37:38], v[19:20], v[31:32]
	v_add_f64 v[27:28], v[43:44], v[39:40]
	v_add_f64 v[33:34], v[33:34], v[41:42]
	v_fma_f64 v[39:40], v[15:16], v[7:8], -v[45:46]
	v_fma_f64 v[41:42], v[17:18], v[7:8], v[9:10]
	v_fma_f64 v[19:20], v[19:20], v[29:30], -v[35:36]
	v_fma_f64 v[21:22], v[21:22], v[29:30], v[37:38]
	v_add_f64 v[27:28], v[27:28], v[23:24]
	v_add_f64 v[43:44], v[33:34], v[25:26]
	ds_load_b128 v[7:10], v11 offset:3584
	ds_load_b128 v[15:18], v12 offset:224
	;; [unrolled: 1-line block ×4, first 2 shown]
	s_waitcnt lgkmcnt(0)
	s_barrier
	buffer_gl0_inv
	v_mul_f64 v[45:46], v[17:18], v[9:10]
	v_mul_f64 v[9:10], v[15:16], v[9:10]
	;; [unrolled: 1-line block ×4, first 2 shown]
	v_add_f64 v[27:28], v[27:28], v[39:40]
	v_add_f64 v[29:30], v[43:44], v[41:42]
	v_fma_f64 v[15:16], v[15:16], v[7:8], -v[45:46]
	v_fma_f64 v[7:8], v[17:18], v[7:8], v[9:10]
	s_delay_alu instid0(VALU_DEP_4) | instskip(NEXT) | instid1(VALU_DEP_4)
	v_add_f64 v[9:10], v[27:28], v[19:20]
	v_add_f64 v[17:18], v[29:30], v[21:22]
	v_fma_f64 v[19:20], v[23:24], v[31:32], -v[35:36]
	v_fma_f64 v[21:22], v[25:26], v[31:32], v[33:34]
	s_delay_alu instid0(VALU_DEP_4) | instskip(NEXT) | instid1(VALU_DEP_4)
	v_add_f64 v[9:10], v[9:10], v[15:16]
	v_add_f64 v[7:8], v[17:18], v[7:8]
	s_delay_alu instid0(VALU_DEP_2) | instskip(NEXT) | instid1(VALU_DEP_2)
	v_add_f64 v[9:10], v[9:10], v[19:20]
	v_add_f64 v[7:8], v[7:8], v[21:22]
	s_cbranch_scc1 .LBB277_2
.LBB277_3:
	s_mov_b32 s2, exec_lo
	v_cmpx_le_i32_e64 v2, v0
	s_cbranch_execz .LBB277_5
; %bb.4:
	s_clause 0x1
	s_load_b32 s2, s[0:1], 0x60
	s_load_b64 s[0:1], s[0:1], 0x68
	v_lshlrev_b64 v[0:1], 4, v[0:1]
	s_delay_alu instid0(VALU_DEP_3)
	v_mul_f64 v[11:12], s[18:19], v[7:8]
	v_mul_f64 v[6:7], s[16:17], v[7:8]
	s_waitcnt lgkmcnt(0)
	v_mad_i64_i32 v[3:4], null, s2, v2, 0
	s_mul_i32 s1, s15, s1
	s_mul_hi_u32 s2, s15, s0
	s_mul_i32 s0, s15, s0
	s_add_i32 s1, s2, s1
	s_delay_alu instid0(SALU_CYCLE_1) | instskip(NEXT) | instid1(VALU_DEP_1)
	s_lshl_b64 s[0:1], s[0:1], 4
	v_lshlrev_b64 v[2:3], 4, v[3:4]
	s_add_u32 s0, s10, s0
	s_addc_u32 s1, s11, s1
	s_delay_alu instid0(VALU_DEP_1) | instskip(NEXT) | instid1(VALU_DEP_2)
	v_add_co_u32 v2, vcc_lo, s0, v2
	v_add_co_ci_u32_e32 v3, vcc_lo, s1, v3, vcc_lo
	s_delay_alu instid0(VALU_DEP_2) | instskip(NEXT) | instid1(VALU_DEP_2)
	v_add_co_u32 v4, vcc_lo, v2, v0
	v_add_co_ci_u32_e32 v5, vcc_lo, v3, v1, vcc_lo
	v_fma_f64 v[11:12], s[16:17], v[9:10], -v[11:12]
	v_fma_f64 v[6:7], s[18:19], v[9:10], v[6:7]
	global_load_b128 v[0:3], v[4:5], off
	s_waitcnt vmcnt(0)
	v_mul_f64 v[13:14], s[8:9], v[2:3]
	v_mul_f64 v[2:3], s[6:7], v[2:3]
	s_delay_alu instid0(VALU_DEP_2) | instskip(NEXT) | instid1(VALU_DEP_2)
	v_fma_f64 v[8:9], s[6:7], v[0:1], -v[13:14]
	v_fma_f64 v[2:3], s[8:9], v[0:1], v[2:3]
	s_delay_alu instid0(VALU_DEP_2) | instskip(NEXT) | instid1(VALU_DEP_2)
	v_add_f64 v[0:1], v[11:12], v[8:9]
	v_add_f64 v[2:3], v[6:7], v[2:3]
	global_store_b128 v[4:5], v[0:3], off
.LBB277_5:
	s_nop 0
	s_sendmsg sendmsg(MSG_DEALLOC_VGPRS)
	s_endpgm
	.section	.rodata,"a",@progbits
	.p2align	6, 0x0
	.amdhsa_kernel _ZL41rocblas_syrkx_herkx_small_restrict_kernelIi19rocblas_complex_numIdELi16ELb0ELb0ELc78ELc76EKS1_S1_EviT_T0_PT6_S3_lS6_S3_lS4_PT7_S3_li
		.amdhsa_group_segment_fixed_size 8192
		.amdhsa_private_segment_fixed_size 0
		.amdhsa_kernarg_size 116
		.amdhsa_user_sgpr_count 13
		.amdhsa_user_sgpr_dispatch_ptr 0
		.amdhsa_user_sgpr_queue_ptr 0
		.amdhsa_user_sgpr_kernarg_segment_ptr 1
		.amdhsa_user_sgpr_dispatch_id 0
		.amdhsa_user_sgpr_private_segment_size 0
		.amdhsa_wavefront_size32 1
		.amdhsa_uses_dynamic_stack 0
		.amdhsa_enable_private_segment 0
		.amdhsa_system_sgpr_workgroup_id_x 1
		.amdhsa_system_sgpr_workgroup_id_y 1
		.amdhsa_system_sgpr_workgroup_id_z 1
		.amdhsa_system_sgpr_workgroup_info 0
		.amdhsa_system_vgpr_workitem_id 1
		.amdhsa_next_free_vgpr 47
		.amdhsa_next_free_sgpr 28
		.amdhsa_reserve_vcc 1
		.amdhsa_float_round_mode_32 0
		.amdhsa_float_round_mode_16_64 0
		.amdhsa_float_denorm_mode_32 3
		.amdhsa_float_denorm_mode_16_64 3
		.amdhsa_dx10_clamp 1
		.amdhsa_ieee_mode 1
		.amdhsa_fp16_overflow 0
		.amdhsa_workgroup_processor_mode 1
		.amdhsa_memory_ordered 1
		.amdhsa_forward_progress 0
		.amdhsa_shared_vgpr_count 0
		.amdhsa_exception_fp_ieee_invalid_op 0
		.amdhsa_exception_fp_denorm_src 0
		.amdhsa_exception_fp_ieee_div_zero 0
		.amdhsa_exception_fp_ieee_overflow 0
		.amdhsa_exception_fp_ieee_underflow 0
		.amdhsa_exception_fp_ieee_inexact 0
		.amdhsa_exception_int_div_zero 0
	.end_amdhsa_kernel
	.section	.text._ZL41rocblas_syrkx_herkx_small_restrict_kernelIi19rocblas_complex_numIdELi16ELb0ELb0ELc78ELc76EKS1_S1_EviT_T0_PT6_S3_lS6_S3_lS4_PT7_S3_li,"axG",@progbits,_ZL41rocblas_syrkx_herkx_small_restrict_kernelIi19rocblas_complex_numIdELi16ELb0ELb0ELc78ELc76EKS1_S1_EviT_T0_PT6_S3_lS6_S3_lS4_PT7_S3_li,comdat
.Lfunc_end277:
	.size	_ZL41rocblas_syrkx_herkx_small_restrict_kernelIi19rocblas_complex_numIdELi16ELb0ELb0ELc78ELc76EKS1_S1_EviT_T0_PT6_S3_lS6_S3_lS4_PT7_S3_li, .Lfunc_end277-_ZL41rocblas_syrkx_herkx_small_restrict_kernelIi19rocblas_complex_numIdELi16ELb0ELb0ELc78ELc76EKS1_S1_EviT_T0_PT6_S3_lS6_S3_lS4_PT7_S3_li
                                        ; -- End function
	.section	.AMDGPU.csdata,"",@progbits
; Kernel info:
; codeLenInByte = 1856
; NumSgprs: 30
; NumVgprs: 47
; ScratchSize: 0
; MemoryBound: 0
; FloatMode: 240
; IeeeMode: 1
; LDSByteSize: 8192 bytes/workgroup (compile time only)
; SGPRBlocks: 3
; VGPRBlocks: 5
; NumSGPRsForWavesPerEU: 30
; NumVGPRsForWavesPerEU: 47
; Occupancy: 16
; WaveLimiterHint : 0
; COMPUTE_PGM_RSRC2:SCRATCH_EN: 0
; COMPUTE_PGM_RSRC2:USER_SGPR: 13
; COMPUTE_PGM_RSRC2:TRAP_HANDLER: 0
; COMPUTE_PGM_RSRC2:TGID_X_EN: 1
; COMPUTE_PGM_RSRC2:TGID_Y_EN: 1
; COMPUTE_PGM_RSRC2:TGID_Z_EN: 1
; COMPUTE_PGM_RSRC2:TIDIG_COMP_CNT: 1
	.section	.text._ZL41rocblas_syrkx_herkx_small_restrict_kernelIi19rocblas_complex_numIdELi16ELb0ELb0ELc84ELc85EKS1_S1_EviT_T0_PT6_S3_lS6_S3_lS4_PT7_S3_li,"axG",@progbits,_ZL41rocblas_syrkx_herkx_small_restrict_kernelIi19rocblas_complex_numIdELi16ELb0ELb0ELc84ELc85EKS1_S1_EviT_T0_PT6_S3_lS6_S3_lS4_PT7_S3_li,comdat
	.globl	_ZL41rocblas_syrkx_herkx_small_restrict_kernelIi19rocblas_complex_numIdELi16ELb0ELb0ELc84ELc85EKS1_S1_EviT_T0_PT6_S3_lS6_S3_lS4_PT7_S3_li ; -- Begin function _ZL41rocblas_syrkx_herkx_small_restrict_kernelIi19rocblas_complex_numIdELi16ELb0ELb0ELc84ELc85EKS1_S1_EviT_T0_PT6_S3_lS6_S3_lS4_PT7_S3_li
	.p2align	8
	.type	_ZL41rocblas_syrkx_herkx_small_restrict_kernelIi19rocblas_complex_numIdELi16ELb0ELb0ELc84ELc85EKS1_S1_EviT_T0_PT6_S3_lS6_S3_lS4_PT7_S3_li,@function
_ZL41rocblas_syrkx_herkx_small_restrict_kernelIi19rocblas_complex_numIdELi16ELb0ELb0ELc84ELc85EKS1_S1_EviT_T0_PT6_S3_lS6_S3_lS4_PT7_S3_li: ; @_ZL41rocblas_syrkx_herkx_small_restrict_kernelIi19rocblas_complex_numIdELi16ELb0ELb0ELc84ELc85EKS1_S1_EviT_T0_PT6_S3_lS6_S3_lS4_PT7_S3_li
; %bb.0:
	s_clause 0x3
	s_load_b32 s12, s[0:1], 0x4
	s_load_b128 s[16:19], s[0:1], 0x8
	s_load_b64 s[2:3], s[0:1], 0x18
	s_load_b256 s[4:11], s[0:1], 0x40
	v_dual_mov_b32 v5, 0 :: v_dual_and_b32 v2, 0x3ff, v0
	v_bfe_u32 v1, v0, 10, 10
	v_mov_b32_e32 v6, 0
	s_delay_alu instid0(VALU_DEP_3) | instskip(SKIP_1) | instid1(VALU_DEP_3)
	v_lshl_add_u32 v0, s13, 4, v2
	s_mov_b32 s13, 0
	v_lshl_add_u32 v9, s14, 4, v1
	s_delay_alu instid0(VALU_DEP_3)
	v_dual_mov_b32 v8, v6 :: v_dual_mov_b32 v7, v5
	s_waitcnt lgkmcnt(0)
	s_cmp_lt_i32 s12, 1
	s_cbranch_scc1 .LBB278_3
; %bb.1:
	s_clause 0x2
	s_load_b32 s14, s[0:1], 0x38
	s_load_b32 s24, s[0:1], 0x20
	s_load_b128 s[20:23], s[0:1], 0x28
	v_lshlrev_b32_e32 v3, 8, v1
	v_dual_mov_b32 v5, 0 :: v_dual_lshlrev_b32 v10, 4, v2
	v_dual_mov_b32 v6, 0 :: v_dual_lshlrev_b32 v7, 4, v1
	s_delay_alu instid0(VALU_DEP_3) | instskip(NEXT) | instid1(VALU_DEP_3)
	v_add_nc_u32_e32 v12, 0x1000, v3
	v_add_nc_u32_e32 v11, v10, v3
	s_mul_i32 s5, s5, s15
	s_mul_hi_u32 s25, s4, s15
	s_mul_i32 s4, s4, s15
	s_add_i32 s5, s25, s5
	s_delay_alu instid0(SALU_CYCLE_1)
	s_lshl_b64 s[4:5], s[4:5], 4
	s_waitcnt lgkmcnt(0)
	v_mad_i64_i32 v[1:2], null, s14, v9, 0
	v_mad_i64_i32 v[3:4], null, s24, v0, 0
	s_mul_i32 s14, s21, s15
	s_mul_hi_u32 s21, s20, s15
	s_mul_i32 s20, s20, s15
	s_add_i32 s21, s21, s14
	s_delay_alu instid0(VALU_DEP_2) | instskip(SKIP_1) | instid1(VALU_DEP_2)
	v_lshlrev_b64 v[1:2], 4, v[1:2]
	s_lshl_b64 s[20:21], s[20:21], 4
	v_lshlrev_b64 v[3:4], 4, v[3:4]
	s_delay_alu instid0(VALU_DEP_2) | instskip(NEXT) | instid1(VALU_DEP_3)
	v_add_co_u32 v1, vcc_lo, v1, s4
	v_add_co_ci_u32_e32 v2, vcc_lo, s5, v2, vcc_lo
	s_delay_alu instid0(VALU_DEP_3) | instskip(NEXT) | instid1(VALU_DEP_4)
	v_add_co_u32 v3, vcc_lo, v3, s20
	v_add_co_ci_u32_e32 v4, vcc_lo, s21, v4, vcc_lo
	s_delay_alu instid0(VALU_DEP_4) | instskip(NEXT) | instid1(VALU_DEP_4)
	v_add_co_u32 v1, vcc_lo, v1, v10
	v_add_co_ci_u32_e32 v2, vcc_lo, 0, v2, vcc_lo
	s_delay_alu instid0(VALU_DEP_4) | instskip(NEXT) | instid1(VALU_DEP_4)
	;; [unrolled: 3-line block ×3, first 2 shown]
	v_add_co_u32 v1, vcc_lo, s22, v1
	v_add_co_ci_u32_e32 v2, vcc_lo, s23, v2, vcc_lo
	s_delay_alu instid0(VALU_DEP_4)
	v_add_co_u32 v3, vcc_lo, s2, v3
	v_dual_mov_b32 v8, v6 :: v_dual_mov_b32 v7, v5
	v_add_nc_u32_e32 v13, v12, v10
	v_add_co_ci_u32_e32 v4, vcc_lo, s3, v4, vcc_lo
.LBB278_2:                              ; =>This Inner Loop Header: Depth=1
	global_load_b128 v[14:17], v[3:4], off
	global_load_b128 v[18:21], v[1:2], off
	v_add_co_u32 v1, vcc_lo, 0x100, v1
	v_add_co_ci_u32_e32 v2, vcc_lo, 0, v2, vcc_lo
	v_add_co_u32 v3, vcc_lo, 0x100, v3
	v_add_co_ci_u32_e32 v4, vcc_lo, 0, v4, vcc_lo
	s_add_i32 s13, s13, 16
	s_waitcnt vmcnt(1)
	ds_store_2addr_b64 v11, v[14:15], v[16:17] offset1:1
	s_waitcnt vmcnt(0)
	ds_store_2addr_b64 v13, v[18:19], v[20:21] offset1:1
	s_waitcnt lgkmcnt(0)
	s_barrier
	buffer_gl0_inv
	ds_load_b128 v[14:17], v10
	ds_load_b128 v[18:21], v12
	ds_load_b128 v[22:25], v12 offset:16
	ds_load_b128 v[26:29], v10 offset:256
	s_cmp_lt_i32 s13, s12
	s_waitcnt lgkmcnt(2)
	v_mul_f64 v[30:31], v[20:21], v[16:17]
	v_mul_f64 v[16:17], v[18:19], v[16:17]
	s_waitcnt lgkmcnt(0)
	v_mul_f64 v[36:37], v[24:25], v[28:29]
	v_mul_f64 v[38:39], v[22:23], v[28:29]
	s_delay_alu instid0(VALU_DEP_4) | instskip(NEXT) | instid1(VALU_DEP_4)
	v_fma_f64 v[40:41], v[18:19], v[14:15], -v[30:31]
	v_fma_f64 v[42:43], v[20:21], v[14:15], v[16:17]
	ds_load_b128 v[14:17], v10 offset:512
	ds_load_b128 v[18:21], v12 offset:32
	;; [unrolled: 1-line block ×4, first 2 shown]
	v_fma_f64 v[22:23], v[22:23], v[26:27], -v[36:37]
	v_fma_f64 v[24:25], v[24:25], v[26:27], v[38:39]
	s_waitcnt lgkmcnt(2)
	v_mul_f64 v[44:45], v[20:21], v[16:17]
	v_mul_f64 v[16:17], v[18:19], v[16:17]
	s_waitcnt lgkmcnt(0)
	v_mul_f64 v[26:27], v[30:31], v[34:35]
	v_mul_f64 v[34:35], v[28:29], v[34:35]
	v_add_f64 v[7:8], v[7:8], v[40:41]
	v_add_f64 v[5:6], v[5:6], v[42:43]
	v_fma_f64 v[36:37], v[18:19], v[14:15], -v[44:45]
	v_fma_f64 v[38:39], v[20:21], v[14:15], v[16:17]
	v_fma_f64 v[26:27], v[28:29], v[32:33], -v[26:27]
	v_fma_f64 v[28:29], v[30:31], v[32:33], v[34:35]
	v_add_f64 v[40:41], v[7:8], v[22:23]
	v_add_f64 v[42:43], v[5:6], v[24:25]
	ds_load_b128 v[5:8], v10 offset:1024
	ds_load_b128 v[14:17], v12 offset:64
	;; [unrolled: 1-line block ×4, first 2 shown]
	s_waitcnt lgkmcnt(2)
	v_mul_f64 v[44:45], v[16:17], v[7:8]
	v_mul_f64 v[7:8], v[14:15], v[7:8]
	s_waitcnt lgkmcnt(0)
	v_mul_f64 v[34:35], v[20:21], v[24:25]
	v_add_f64 v[30:31], v[40:41], v[36:37]
	v_add_f64 v[32:33], v[42:43], v[38:39]
	v_mul_f64 v[36:37], v[18:19], v[24:25]
	v_fma_f64 v[38:39], v[14:15], v[5:6], -v[44:45]
	v_fma_f64 v[40:41], v[16:17], v[5:6], v[7:8]
	v_fma_f64 v[18:19], v[18:19], v[22:23], -v[34:35]
	v_add_f64 v[42:43], v[30:31], v[26:27]
	v_add_f64 v[32:33], v[32:33], v[28:29]
	ds_load_b128 v[5:8], v10 offset:1536
	ds_load_b128 v[14:17], v12 offset:96
	;; [unrolled: 1-line block ×4, first 2 shown]
	v_fma_f64 v[20:21], v[20:21], v[22:23], v[36:37]
	s_waitcnt lgkmcnt(2)
	v_mul_f64 v[44:45], v[16:17], v[7:8]
	v_mul_f64 v[7:8], v[14:15], v[7:8]
	s_waitcnt lgkmcnt(0)
	v_mul_f64 v[34:35], v[26:27], v[30:31]
	v_mul_f64 v[36:37], v[24:25], v[30:31]
	v_add_f64 v[22:23], v[42:43], v[38:39]
	v_add_f64 v[32:33], v[32:33], v[40:41]
	v_fma_f64 v[38:39], v[14:15], v[5:6], -v[44:45]
	v_fma_f64 v[40:41], v[16:17], v[5:6], v[7:8]
	v_fma_f64 v[24:25], v[24:25], v[28:29], -v[34:35]
	v_fma_f64 v[26:27], v[26:27], v[28:29], v[36:37]
	v_add_f64 v[22:23], v[22:23], v[18:19]
	v_add_f64 v[42:43], v[32:33], v[20:21]
	ds_load_b128 v[5:8], v10 offset:2048
	ds_load_b128 v[14:17], v12 offset:128
	;; [unrolled: 1-line block ×4, first 2 shown]
	s_waitcnt lgkmcnt(2)
	v_mul_f64 v[44:45], v[16:17], v[7:8]
	v_mul_f64 v[7:8], v[14:15], v[7:8]
	s_waitcnt lgkmcnt(0)
	v_mul_f64 v[34:35], v[20:21], v[32:33]
	v_mul_f64 v[32:33], v[18:19], v[32:33]
	v_add_f64 v[22:23], v[22:23], v[38:39]
	v_add_f64 v[28:29], v[42:43], v[40:41]
	v_fma_f64 v[36:37], v[14:15], v[5:6], -v[44:45]
	v_fma_f64 v[38:39], v[16:17], v[5:6], v[7:8]
	v_fma_f64 v[18:19], v[18:19], v[30:31], -v[34:35]
	v_fma_f64 v[20:21], v[20:21], v[30:31], v[32:33]
	v_add_f64 v[40:41], v[22:23], v[24:25]
	v_add_f64 v[42:43], v[28:29], v[26:27]
	ds_load_b128 v[5:8], v10 offset:2560
	ds_load_b128 v[14:17], v12 offset:160
	;; [unrolled: 1-line block ×4, first 2 shown]
	s_waitcnt lgkmcnt(2)
	v_mul_f64 v[44:45], v[16:17], v[7:8]
	v_mul_f64 v[7:8], v[14:15], v[7:8]
	s_waitcnt lgkmcnt(0)
	v_mul_f64 v[34:35], v[24:25], v[28:29]
	v_add_f64 v[30:31], v[40:41], v[36:37]
	v_add_f64 v[32:33], v[42:43], v[38:39]
	v_mul_f64 v[36:37], v[22:23], v[28:29]
	v_fma_f64 v[38:39], v[14:15], v[5:6], -v[44:45]
	v_fma_f64 v[40:41], v[16:17], v[5:6], v[7:8]
	v_fma_f64 v[22:23], v[22:23], v[26:27], -v[34:35]
	v_add_f64 v[42:43], v[30:31], v[18:19]
	v_add_f64 v[32:33], v[32:33], v[20:21]
	ds_load_b128 v[5:8], v10 offset:3072
	ds_load_b128 v[14:17], v12 offset:192
	ds_load_b128 v[18:21], v12 offset:208
	ds_load_b128 v[28:31], v10 offset:3328
	v_fma_f64 v[24:25], v[24:25], v[26:27], v[36:37]
	s_waitcnt lgkmcnt(2)
	v_mul_f64 v[44:45], v[16:17], v[7:8]
	v_mul_f64 v[7:8], v[14:15], v[7:8]
	s_waitcnt lgkmcnt(0)
	v_mul_f64 v[34:35], v[20:21], v[30:31]
	v_mul_f64 v[36:37], v[18:19], v[30:31]
	v_add_f64 v[26:27], v[42:43], v[38:39]
	v_add_f64 v[32:33], v[32:33], v[40:41]
	v_fma_f64 v[38:39], v[14:15], v[5:6], -v[44:45]
	v_fma_f64 v[40:41], v[16:17], v[5:6], v[7:8]
	v_fma_f64 v[18:19], v[18:19], v[28:29], -v[34:35]
	v_fma_f64 v[20:21], v[20:21], v[28:29], v[36:37]
	v_add_f64 v[26:27], v[26:27], v[22:23]
	v_add_f64 v[42:43], v[32:33], v[24:25]
	ds_load_b128 v[5:8], v10 offset:3584
	ds_load_b128 v[14:17], v12 offset:224
	;; [unrolled: 1-line block ×4, first 2 shown]
	s_waitcnt lgkmcnt(0)
	s_barrier
	buffer_gl0_inv
	v_mul_f64 v[44:45], v[16:17], v[7:8]
	v_mul_f64 v[7:8], v[14:15], v[7:8]
	;; [unrolled: 1-line block ×4, first 2 shown]
	v_add_f64 v[26:27], v[26:27], v[38:39]
	v_add_f64 v[28:29], v[42:43], v[40:41]
	v_fma_f64 v[14:15], v[14:15], v[5:6], -v[44:45]
	v_fma_f64 v[5:6], v[16:17], v[5:6], v[7:8]
	s_delay_alu instid0(VALU_DEP_4) | instskip(NEXT) | instid1(VALU_DEP_4)
	v_add_f64 v[7:8], v[26:27], v[18:19]
	v_add_f64 v[16:17], v[28:29], v[20:21]
	v_fma_f64 v[18:19], v[22:23], v[30:31], -v[34:35]
	v_fma_f64 v[20:21], v[24:25], v[30:31], v[32:33]
	s_delay_alu instid0(VALU_DEP_4) | instskip(NEXT) | instid1(VALU_DEP_4)
	v_add_f64 v[7:8], v[7:8], v[14:15]
	v_add_f64 v[5:6], v[16:17], v[5:6]
	s_delay_alu instid0(VALU_DEP_2) | instskip(NEXT) | instid1(VALU_DEP_2)
	v_add_f64 v[7:8], v[7:8], v[18:19]
	v_add_f64 v[5:6], v[5:6], v[20:21]
	s_cbranch_scc1 .LBB278_2
.LBB278_3:
	s_mov_b32 s2, exec_lo
	v_cmpx_le_i32_e64 v0, v9
	s_cbranch_execz .LBB278_5
; %bb.4:
	s_clause 0x1
	s_load_b32 s2, s[0:1], 0x60
	s_load_b64 s[0:1], s[0:1], 0x68
	v_ashrrev_i32_e32 v1, 31, v0
	s_delay_alu instid0(VALU_DEP_3) | instskip(SKIP_1) | instid1(VALU_DEP_3)
	v_mul_f64 v[11:12], s[18:19], v[5:6]
	v_mul_f64 v[4:5], s[16:17], v[5:6]
	v_lshlrev_b64 v[0:1], 4, v[0:1]
	s_waitcnt lgkmcnt(0)
	v_mad_i64_i32 v[2:3], null, s2, v9, 0
	s_mul_i32 s1, s15, s1
	s_mul_hi_u32 s2, s15, s0
	s_mul_i32 s0, s15, s0
	s_add_i32 s1, s2, s1
	s_delay_alu instid0(SALU_CYCLE_1) | instskip(NEXT) | instid1(VALU_DEP_1)
	s_lshl_b64 s[0:1], s[0:1], 4
	v_lshlrev_b64 v[2:3], 4, v[2:3]
	s_add_u32 s0, s10, s0
	s_addc_u32 s1, s11, s1
	s_delay_alu instid0(VALU_DEP_1) | instskip(NEXT) | instid1(VALU_DEP_2)
	v_add_co_u32 v2, vcc_lo, s0, v2
	v_add_co_ci_u32_e32 v3, vcc_lo, s1, v3, vcc_lo
	s_delay_alu instid0(VALU_DEP_2) | instskip(NEXT) | instid1(VALU_DEP_2)
	v_add_co_u32 v9, vcc_lo, v2, v0
	v_add_co_ci_u32_e32 v10, vcc_lo, v3, v1, vcc_lo
	v_fma_f64 v[11:12], s[16:17], v[7:8], -v[11:12]
	v_fma_f64 v[4:5], s[18:19], v[7:8], v[4:5]
	global_load_b128 v[0:3], v[9:10], off
	s_waitcnt vmcnt(0)
	v_mul_f64 v[13:14], s[8:9], v[2:3]
	v_mul_f64 v[2:3], s[6:7], v[2:3]
	s_delay_alu instid0(VALU_DEP_2) | instskip(NEXT) | instid1(VALU_DEP_2)
	v_fma_f64 v[6:7], s[6:7], v[0:1], -v[13:14]
	v_fma_f64 v[2:3], s[8:9], v[0:1], v[2:3]
	s_delay_alu instid0(VALU_DEP_2) | instskip(NEXT) | instid1(VALU_DEP_2)
	v_add_f64 v[0:1], v[11:12], v[6:7]
	v_add_f64 v[2:3], v[4:5], v[2:3]
	global_store_b128 v[9:10], v[0:3], off
.LBB278_5:
	s_nop 0
	s_sendmsg sendmsg(MSG_DEALLOC_VGPRS)
	s_endpgm
	.section	.rodata,"a",@progbits
	.p2align	6, 0x0
	.amdhsa_kernel _ZL41rocblas_syrkx_herkx_small_restrict_kernelIi19rocblas_complex_numIdELi16ELb0ELb0ELc84ELc85EKS1_S1_EviT_T0_PT6_S3_lS6_S3_lS4_PT7_S3_li
		.amdhsa_group_segment_fixed_size 8192
		.amdhsa_private_segment_fixed_size 0
		.amdhsa_kernarg_size 116
		.amdhsa_user_sgpr_count 13
		.amdhsa_user_sgpr_dispatch_ptr 0
		.amdhsa_user_sgpr_queue_ptr 0
		.amdhsa_user_sgpr_kernarg_segment_ptr 1
		.amdhsa_user_sgpr_dispatch_id 0
		.amdhsa_user_sgpr_private_segment_size 0
		.amdhsa_wavefront_size32 1
		.amdhsa_uses_dynamic_stack 0
		.amdhsa_enable_private_segment 0
		.amdhsa_system_sgpr_workgroup_id_x 1
		.amdhsa_system_sgpr_workgroup_id_y 1
		.amdhsa_system_sgpr_workgroup_id_z 1
		.amdhsa_system_sgpr_workgroup_info 0
		.amdhsa_system_vgpr_workitem_id 1
		.amdhsa_next_free_vgpr 46
		.amdhsa_next_free_sgpr 26
		.amdhsa_reserve_vcc 1
		.amdhsa_float_round_mode_32 0
		.amdhsa_float_round_mode_16_64 0
		.amdhsa_float_denorm_mode_32 3
		.amdhsa_float_denorm_mode_16_64 3
		.amdhsa_dx10_clamp 1
		.amdhsa_ieee_mode 1
		.amdhsa_fp16_overflow 0
		.amdhsa_workgroup_processor_mode 1
		.amdhsa_memory_ordered 1
		.amdhsa_forward_progress 0
		.amdhsa_shared_vgpr_count 0
		.amdhsa_exception_fp_ieee_invalid_op 0
		.amdhsa_exception_fp_denorm_src 0
		.amdhsa_exception_fp_ieee_div_zero 0
		.amdhsa_exception_fp_ieee_overflow 0
		.amdhsa_exception_fp_ieee_underflow 0
		.amdhsa_exception_fp_ieee_inexact 0
		.amdhsa_exception_int_div_zero 0
	.end_amdhsa_kernel
	.section	.text._ZL41rocblas_syrkx_herkx_small_restrict_kernelIi19rocblas_complex_numIdELi16ELb0ELb0ELc84ELc85EKS1_S1_EviT_T0_PT6_S3_lS6_S3_lS4_PT7_S3_li,"axG",@progbits,_ZL41rocblas_syrkx_herkx_small_restrict_kernelIi19rocblas_complex_numIdELi16ELb0ELb0ELc84ELc85EKS1_S1_EviT_T0_PT6_S3_lS6_S3_lS4_PT7_S3_li,comdat
.Lfunc_end278:
	.size	_ZL41rocblas_syrkx_herkx_small_restrict_kernelIi19rocblas_complex_numIdELi16ELb0ELb0ELc84ELc85EKS1_S1_EviT_T0_PT6_S3_lS6_S3_lS4_PT7_S3_li, .Lfunc_end278-_ZL41rocblas_syrkx_herkx_small_restrict_kernelIi19rocblas_complex_numIdELi16ELb0ELb0ELc84ELc85EKS1_S1_EviT_T0_PT6_S3_lS6_S3_lS4_PT7_S3_li
                                        ; -- End function
	.section	.AMDGPU.csdata,"",@progbits
; Kernel info:
; codeLenInByte = 1832
; NumSgprs: 28
; NumVgprs: 46
; ScratchSize: 0
; MemoryBound: 0
; FloatMode: 240
; IeeeMode: 1
; LDSByteSize: 8192 bytes/workgroup (compile time only)
; SGPRBlocks: 3
; VGPRBlocks: 5
; NumSGPRsForWavesPerEU: 28
; NumVGPRsForWavesPerEU: 46
; Occupancy: 16
; WaveLimiterHint : 0
; COMPUTE_PGM_RSRC2:SCRATCH_EN: 0
; COMPUTE_PGM_RSRC2:USER_SGPR: 13
; COMPUTE_PGM_RSRC2:TRAP_HANDLER: 0
; COMPUTE_PGM_RSRC2:TGID_X_EN: 1
; COMPUTE_PGM_RSRC2:TGID_Y_EN: 1
; COMPUTE_PGM_RSRC2:TGID_Z_EN: 1
; COMPUTE_PGM_RSRC2:TIDIG_COMP_CNT: 1
	.section	.text._ZL41rocblas_syrkx_herkx_small_restrict_kernelIi19rocblas_complex_numIdELi16ELb0ELb0ELc67ELc85EKS1_S1_EviT_T0_PT6_S3_lS6_S3_lS4_PT7_S3_li,"axG",@progbits,_ZL41rocblas_syrkx_herkx_small_restrict_kernelIi19rocblas_complex_numIdELi16ELb0ELb0ELc67ELc85EKS1_S1_EviT_T0_PT6_S3_lS6_S3_lS4_PT7_S3_li,comdat
	.globl	_ZL41rocblas_syrkx_herkx_small_restrict_kernelIi19rocblas_complex_numIdELi16ELb0ELb0ELc67ELc85EKS1_S1_EviT_T0_PT6_S3_lS6_S3_lS4_PT7_S3_li ; -- Begin function _ZL41rocblas_syrkx_herkx_small_restrict_kernelIi19rocblas_complex_numIdELi16ELb0ELb0ELc67ELc85EKS1_S1_EviT_T0_PT6_S3_lS6_S3_lS4_PT7_S3_li
	.p2align	8
	.type	_ZL41rocblas_syrkx_herkx_small_restrict_kernelIi19rocblas_complex_numIdELi16ELb0ELb0ELc67ELc85EKS1_S1_EviT_T0_PT6_S3_lS6_S3_lS4_PT7_S3_li,@function
_ZL41rocblas_syrkx_herkx_small_restrict_kernelIi19rocblas_complex_numIdELi16ELb0ELb0ELc67ELc85EKS1_S1_EviT_T0_PT6_S3_lS6_S3_lS4_PT7_S3_li: ; @_ZL41rocblas_syrkx_herkx_small_restrict_kernelIi19rocblas_complex_numIdELi16ELb0ELb0ELc67ELc85EKS1_S1_EviT_T0_PT6_S3_lS6_S3_lS4_PT7_S3_li
; %bb.0:
	s_clause 0x3
	s_load_b32 s12, s[0:1], 0x4
	s_load_b128 s[16:19], s[0:1], 0x8
	s_load_b64 s[2:3], s[0:1], 0x18
	s_load_b256 s[4:11], s[0:1], 0x40
	v_dual_mov_b32 v5, 0 :: v_dual_and_b32 v2, 0x3ff, v0
	v_bfe_u32 v1, v0, 10, 10
	v_mov_b32_e32 v6, 0
	s_delay_alu instid0(VALU_DEP_3) | instskip(SKIP_1) | instid1(VALU_DEP_3)
	v_lshl_add_u32 v0, s13, 4, v2
	s_mov_b32 s13, 0
	v_lshl_add_u32 v9, s14, 4, v1
	s_delay_alu instid0(VALU_DEP_3)
	v_dual_mov_b32 v8, v6 :: v_dual_mov_b32 v7, v5
	s_waitcnt lgkmcnt(0)
	s_cmp_lt_i32 s12, 1
	s_cbranch_scc1 .LBB279_3
; %bb.1:
	s_clause 0x2
	s_load_b32 s14, s[0:1], 0x20
	s_load_b32 s24, s[0:1], 0x38
	s_load_b128 s[20:23], s[0:1], 0x28
	v_lshlrev_b32_e32 v3, 8, v1
	v_lshlrev_b32_e32 v10, 4, v2
	;; [unrolled: 1-line block ×3, first 2 shown]
	s_mul_i32 s5, s5, s15
	s_mul_hi_u32 s25, s4, s15
	v_add_nc_u32_e32 v12, 0x1000, v3
	v_add_nc_u32_e32 v11, v10, v3
	s_mul_i32 s4, s4, s15
	s_add_i32 s5, s25, s5
	s_delay_alu instid0(SALU_CYCLE_1)
	s_lshl_b64 s[4:5], s[4:5], 4
	s_waitcnt lgkmcnt(0)
	v_mad_i64_i32 v[1:2], null, s14, v0, 0
	v_mad_i64_i32 v[3:4], null, s24, v9, 0
	s_mul_i32 s14, s21, s15
	s_mul_hi_u32 s21, s20, s15
	s_mul_i32 s20, s20, s15
	s_add_i32 s21, s21, s14
	s_delay_alu instid0(VALU_DEP_2) | instskip(SKIP_1) | instid1(VALU_DEP_2)
	v_lshlrev_b64 v[1:2], 4, v[1:2]
	s_lshl_b64 s[20:21], s[20:21], 4
	v_lshlrev_b64 v[3:4], 4, v[3:4]
	s_delay_alu instid0(VALU_DEP_2) | instskip(NEXT) | instid1(VALU_DEP_3)
	v_add_co_u32 v1, vcc_lo, v1, s20
	v_add_co_ci_u32_e32 v2, vcc_lo, s21, v2, vcc_lo
	s_delay_alu instid0(VALU_DEP_3) | instskip(NEXT) | instid1(VALU_DEP_4)
	v_add_co_u32 v3, vcc_lo, v3, s4
	v_add_co_ci_u32_e32 v4, vcc_lo, s5, v4, vcc_lo
	s_delay_alu instid0(VALU_DEP_4) | instskip(NEXT) | instid1(VALU_DEP_4)
	v_add_co_u32 v1, vcc_lo, v1, v5
	v_add_co_ci_u32_e32 v2, vcc_lo, 0, v2, vcc_lo
	v_mov_b32_e32 v5, 0
	v_add_co_u32 v3, vcc_lo, v3, v10
	v_add_co_ci_u32_e32 v4, vcc_lo, 0, v4, vcc_lo
	v_add_co_u32 v7, vcc_lo, v1, s2
	v_add_co_ci_u32_e32 v8, vcc_lo, s3, v2, vcc_lo
	v_mov_b32_e32 v6, 0
	v_add_co_u32 v1, vcc_lo, s22, v3
	v_add_co_ci_u32_e32 v2, vcc_lo, s23, v4, vcc_lo
	v_add_co_u32 v3, vcc_lo, v7, 8
	v_add_co_ci_u32_e32 v4, vcc_lo, 0, v8, vcc_lo
	v_dual_mov_b32 v8, v6 :: v_dual_mov_b32 v7, v5
	v_add_nc_u32_e32 v13, v12, v10
.LBB279_2:                              ; =>This Inner Loop Header: Depth=1
	global_load_b128 v[14:17], v[3:4], off offset:-8
	global_load_b128 v[18:21], v[1:2], off
	v_add_co_u32 v1, vcc_lo, 0x100, v1
	v_add_co_ci_u32_e32 v2, vcc_lo, 0, v2, vcc_lo
	v_add_co_u32 v3, vcc_lo, 0x100, v3
	v_add_co_ci_u32_e32 v4, vcc_lo, 0, v4, vcc_lo
	s_add_i32 s13, s13, 16
	s_waitcnt vmcnt(1)
	ds_store_b128 v11, v[14:17]
	s_waitcnt vmcnt(0)
	ds_store_2addr_b64 v13, v[18:19], v[20:21] offset1:1
	s_waitcnt lgkmcnt(0)
	s_barrier
	buffer_gl0_inv
	ds_load_b128 v[14:17], v10
	ds_load_b128 v[18:21], v12
	ds_load_b128 v[22:25], v12 offset:16
	ds_load_b128 v[26:29], v10 offset:256
	s_cmp_lt_i32 s13, s12
	s_waitcnt lgkmcnt(2)
	v_mul_f64 v[30:31], v[20:21], v[16:17]
	v_mul_f64 v[16:17], v[18:19], v[16:17]
	s_waitcnt lgkmcnt(0)
	v_mul_f64 v[36:37], v[24:25], v[28:29]
	v_mul_f64 v[38:39], v[22:23], v[28:29]
	s_delay_alu instid0(VALU_DEP_4) | instskip(NEXT) | instid1(VALU_DEP_4)
	v_fma_f64 v[40:41], v[18:19], v[14:15], -v[30:31]
	v_fma_f64 v[42:43], v[20:21], v[14:15], v[16:17]
	ds_load_b128 v[14:17], v10 offset:512
	ds_load_b128 v[18:21], v12 offset:32
	;; [unrolled: 1-line block ×4, first 2 shown]
	v_fma_f64 v[22:23], v[22:23], v[26:27], -v[36:37]
	v_fma_f64 v[24:25], v[24:25], v[26:27], v[38:39]
	s_waitcnt lgkmcnt(2)
	v_mul_f64 v[44:45], v[20:21], v[16:17]
	v_mul_f64 v[16:17], v[18:19], v[16:17]
	s_waitcnt lgkmcnt(0)
	v_mul_f64 v[26:27], v[30:31], v[34:35]
	v_mul_f64 v[34:35], v[28:29], v[34:35]
	v_add_f64 v[7:8], v[7:8], v[40:41]
	v_add_f64 v[5:6], v[5:6], v[42:43]
	v_fma_f64 v[36:37], v[18:19], v[14:15], -v[44:45]
	v_fma_f64 v[38:39], v[20:21], v[14:15], v[16:17]
	v_fma_f64 v[26:27], v[28:29], v[32:33], -v[26:27]
	v_fma_f64 v[28:29], v[30:31], v[32:33], v[34:35]
	v_add_f64 v[40:41], v[7:8], v[22:23]
	v_add_f64 v[42:43], v[5:6], v[24:25]
	ds_load_b128 v[5:8], v10 offset:1024
	ds_load_b128 v[14:17], v12 offset:64
	;; [unrolled: 1-line block ×4, first 2 shown]
	s_waitcnt lgkmcnt(2)
	v_mul_f64 v[44:45], v[16:17], v[7:8]
	v_mul_f64 v[7:8], v[14:15], v[7:8]
	s_waitcnt lgkmcnt(0)
	v_mul_f64 v[34:35], v[20:21], v[24:25]
	v_add_f64 v[30:31], v[40:41], v[36:37]
	v_add_f64 v[32:33], v[42:43], v[38:39]
	v_mul_f64 v[36:37], v[18:19], v[24:25]
	v_fma_f64 v[38:39], v[14:15], v[5:6], -v[44:45]
	v_fma_f64 v[40:41], v[16:17], v[5:6], v[7:8]
	v_fma_f64 v[18:19], v[18:19], v[22:23], -v[34:35]
	v_add_f64 v[42:43], v[30:31], v[26:27]
	v_add_f64 v[32:33], v[32:33], v[28:29]
	ds_load_b128 v[5:8], v10 offset:1536
	ds_load_b128 v[14:17], v12 offset:96
	ds_load_b128 v[24:27], v12 offset:112
	ds_load_b128 v[28:31], v10 offset:1792
	v_fma_f64 v[20:21], v[20:21], v[22:23], v[36:37]
	s_waitcnt lgkmcnt(2)
	v_mul_f64 v[44:45], v[16:17], v[7:8]
	v_mul_f64 v[7:8], v[14:15], v[7:8]
	s_waitcnt lgkmcnt(0)
	v_mul_f64 v[34:35], v[26:27], v[30:31]
	v_mul_f64 v[36:37], v[24:25], v[30:31]
	v_add_f64 v[22:23], v[42:43], v[38:39]
	v_add_f64 v[32:33], v[32:33], v[40:41]
	v_fma_f64 v[38:39], v[14:15], v[5:6], -v[44:45]
	v_fma_f64 v[40:41], v[16:17], v[5:6], v[7:8]
	v_fma_f64 v[24:25], v[24:25], v[28:29], -v[34:35]
	v_fma_f64 v[26:27], v[26:27], v[28:29], v[36:37]
	v_add_f64 v[22:23], v[22:23], v[18:19]
	v_add_f64 v[42:43], v[32:33], v[20:21]
	ds_load_b128 v[5:8], v10 offset:2048
	ds_load_b128 v[14:17], v12 offset:128
	;; [unrolled: 1-line block ×4, first 2 shown]
	s_waitcnt lgkmcnt(2)
	v_mul_f64 v[44:45], v[16:17], v[7:8]
	v_mul_f64 v[7:8], v[14:15], v[7:8]
	s_waitcnt lgkmcnt(0)
	v_mul_f64 v[34:35], v[20:21], v[32:33]
	v_mul_f64 v[32:33], v[18:19], v[32:33]
	v_add_f64 v[22:23], v[22:23], v[38:39]
	v_add_f64 v[28:29], v[42:43], v[40:41]
	v_fma_f64 v[36:37], v[14:15], v[5:6], -v[44:45]
	v_fma_f64 v[38:39], v[16:17], v[5:6], v[7:8]
	v_fma_f64 v[18:19], v[18:19], v[30:31], -v[34:35]
	v_fma_f64 v[20:21], v[20:21], v[30:31], v[32:33]
	v_add_f64 v[40:41], v[22:23], v[24:25]
	v_add_f64 v[42:43], v[28:29], v[26:27]
	ds_load_b128 v[5:8], v10 offset:2560
	ds_load_b128 v[14:17], v12 offset:160
	;; [unrolled: 1-line block ×4, first 2 shown]
	s_waitcnt lgkmcnt(2)
	v_mul_f64 v[44:45], v[16:17], v[7:8]
	v_mul_f64 v[7:8], v[14:15], v[7:8]
	s_waitcnt lgkmcnt(0)
	v_mul_f64 v[34:35], v[24:25], v[28:29]
	v_add_f64 v[30:31], v[40:41], v[36:37]
	v_add_f64 v[32:33], v[42:43], v[38:39]
	v_mul_f64 v[36:37], v[22:23], v[28:29]
	v_fma_f64 v[38:39], v[14:15], v[5:6], -v[44:45]
	v_fma_f64 v[40:41], v[16:17], v[5:6], v[7:8]
	v_fma_f64 v[22:23], v[22:23], v[26:27], -v[34:35]
	v_add_f64 v[42:43], v[30:31], v[18:19]
	v_add_f64 v[32:33], v[32:33], v[20:21]
	ds_load_b128 v[5:8], v10 offset:3072
	ds_load_b128 v[14:17], v12 offset:192
	;; [unrolled: 1-line block ×4, first 2 shown]
	v_fma_f64 v[24:25], v[24:25], v[26:27], v[36:37]
	s_waitcnt lgkmcnt(2)
	v_mul_f64 v[44:45], v[16:17], v[7:8]
	v_mul_f64 v[7:8], v[14:15], v[7:8]
	s_waitcnt lgkmcnt(0)
	v_mul_f64 v[34:35], v[20:21], v[30:31]
	v_mul_f64 v[36:37], v[18:19], v[30:31]
	v_add_f64 v[26:27], v[42:43], v[38:39]
	v_add_f64 v[32:33], v[32:33], v[40:41]
	v_fma_f64 v[38:39], v[14:15], v[5:6], -v[44:45]
	v_fma_f64 v[40:41], v[16:17], v[5:6], v[7:8]
	v_fma_f64 v[18:19], v[18:19], v[28:29], -v[34:35]
	v_fma_f64 v[20:21], v[20:21], v[28:29], v[36:37]
	v_add_f64 v[26:27], v[26:27], v[22:23]
	v_add_f64 v[42:43], v[32:33], v[24:25]
	ds_load_b128 v[5:8], v10 offset:3584
	ds_load_b128 v[14:17], v12 offset:224
	;; [unrolled: 1-line block ×4, first 2 shown]
	s_waitcnt lgkmcnt(0)
	s_barrier
	buffer_gl0_inv
	v_mul_f64 v[44:45], v[16:17], v[7:8]
	v_mul_f64 v[7:8], v[14:15], v[7:8]
	;; [unrolled: 1-line block ×4, first 2 shown]
	v_add_f64 v[26:27], v[26:27], v[38:39]
	v_add_f64 v[28:29], v[42:43], v[40:41]
	v_fma_f64 v[14:15], v[14:15], v[5:6], -v[44:45]
	v_fma_f64 v[5:6], v[16:17], v[5:6], v[7:8]
	s_delay_alu instid0(VALU_DEP_4) | instskip(NEXT) | instid1(VALU_DEP_4)
	v_add_f64 v[7:8], v[26:27], v[18:19]
	v_add_f64 v[16:17], v[28:29], v[20:21]
	v_fma_f64 v[18:19], v[22:23], v[30:31], -v[34:35]
	v_fma_f64 v[20:21], v[24:25], v[30:31], v[32:33]
	s_delay_alu instid0(VALU_DEP_4) | instskip(NEXT) | instid1(VALU_DEP_4)
	v_add_f64 v[7:8], v[7:8], v[14:15]
	v_add_f64 v[5:6], v[16:17], v[5:6]
	s_delay_alu instid0(VALU_DEP_2) | instskip(NEXT) | instid1(VALU_DEP_2)
	v_add_f64 v[7:8], v[7:8], v[18:19]
	v_add_f64 v[5:6], v[5:6], v[20:21]
	s_cbranch_scc1 .LBB279_2
.LBB279_3:
	s_mov_b32 s2, exec_lo
	v_cmpx_le_i32_e64 v0, v9
	s_cbranch_execz .LBB279_5
; %bb.4:
	s_clause 0x1
	s_load_b32 s2, s[0:1], 0x60
	s_load_b64 s[0:1], s[0:1], 0x68
	v_ashrrev_i32_e32 v1, 31, v0
	s_delay_alu instid0(VALU_DEP_3) | instskip(SKIP_1) | instid1(VALU_DEP_3)
	v_mul_f64 v[11:12], s[18:19], v[5:6]
	v_mul_f64 v[4:5], s[16:17], v[5:6]
	v_lshlrev_b64 v[0:1], 4, v[0:1]
	s_waitcnt lgkmcnt(0)
	v_mad_i64_i32 v[2:3], null, s2, v9, 0
	s_mul_i32 s1, s15, s1
	s_mul_hi_u32 s2, s15, s0
	s_mul_i32 s0, s15, s0
	s_add_i32 s1, s2, s1
	s_delay_alu instid0(SALU_CYCLE_1) | instskip(NEXT) | instid1(VALU_DEP_1)
	s_lshl_b64 s[0:1], s[0:1], 4
	v_lshlrev_b64 v[2:3], 4, v[2:3]
	s_add_u32 s0, s10, s0
	s_addc_u32 s1, s11, s1
	s_delay_alu instid0(VALU_DEP_1) | instskip(NEXT) | instid1(VALU_DEP_2)
	v_add_co_u32 v2, vcc_lo, s0, v2
	v_add_co_ci_u32_e32 v3, vcc_lo, s1, v3, vcc_lo
	s_delay_alu instid0(VALU_DEP_2) | instskip(NEXT) | instid1(VALU_DEP_2)
	v_add_co_u32 v9, vcc_lo, v2, v0
	v_add_co_ci_u32_e32 v10, vcc_lo, v3, v1, vcc_lo
	v_fma_f64 v[11:12], s[16:17], v[7:8], -v[11:12]
	v_fma_f64 v[4:5], s[18:19], v[7:8], v[4:5]
	global_load_b128 v[0:3], v[9:10], off
	s_waitcnt vmcnt(0)
	v_mul_f64 v[13:14], s[8:9], v[2:3]
	v_mul_f64 v[2:3], s[6:7], v[2:3]
	s_delay_alu instid0(VALU_DEP_2) | instskip(NEXT) | instid1(VALU_DEP_2)
	v_fma_f64 v[6:7], s[6:7], v[0:1], -v[13:14]
	v_fma_f64 v[2:3], s[8:9], v[0:1], v[2:3]
	s_delay_alu instid0(VALU_DEP_2) | instskip(NEXT) | instid1(VALU_DEP_2)
	v_add_f64 v[0:1], v[11:12], v[6:7]
	v_add_f64 v[2:3], v[4:5], v[2:3]
	global_store_b128 v[9:10], v[0:3], off
.LBB279_5:
	s_nop 0
	s_sendmsg sendmsg(MSG_DEALLOC_VGPRS)
	s_endpgm
	.section	.rodata,"a",@progbits
	.p2align	6, 0x0
	.amdhsa_kernel _ZL41rocblas_syrkx_herkx_small_restrict_kernelIi19rocblas_complex_numIdELi16ELb0ELb0ELc67ELc85EKS1_S1_EviT_T0_PT6_S3_lS6_S3_lS4_PT7_S3_li
		.amdhsa_group_segment_fixed_size 8192
		.amdhsa_private_segment_fixed_size 0
		.amdhsa_kernarg_size 116
		.amdhsa_user_sgpr_count 13
		.amdhsa_user_sgpr_dispatch_ptr 0
		.amdhsa_user_sgpr_queue_ptr 0
		.amdhsa_user_sgpr_kernarg_segment_ptr 1
		.amdhsa_user_sgpr_dispatch_id 0
		.amdhsa_user_sgpr_private_segment_size 0
		.amdhsa_wavefront_size32 1
		.amdhsa_uses_dynamic_stack 0
		.amdhsa_enable_private_segment 0
		.amdhsa_system_sgpr_workgroup_id_x 1
		.amdhsa_system_sgpr_workgroup_id_y 1
		.amdhsa_system_sgpr_workgroup_id_z 1
		.amdhsa_system_sgpr_workgroup_info 0
		.amdhsa_system_vgpr_workitem_id 1
		.amdhsa_next_free_vgpr 46
		.amdhsa_next_free_sgpr 26
		.amdhsa_reserve_vcc 1
		.amdhsa_float_round_mode_32 0
		.amdhsa_float_round_mode_16_64 0
		.amdhsa_float_denorm_mode_32 3
		.amdhsa_float_denorm_mode_16_64 3
		.amdhsa_dx10_clamp 1
		.amdhsa_ieee_mode 1
		.amdhsa_fp16_overflow 0
		.amdhsa_workgroup_processor_mode 1
		.amdhsa_memory_ordered 1
		.amdhsa_forward_progress 0
		.amdhsa_shared_vgpr_count 0
		.amdhsa_exception_fp_ieee_invalid_op 0
		.amdhsa_exception_fp_denorm_src 0
		.amdhsa_exception_fp_ieee_div_zero 0
		.amdhsa_exception_fp_ieee_overflow 0
		.amdhsa_exception_fp_ieee_underflow 0
		.amdhsa_exception_fp_ieee_inexact 0
		.amdhsa_exception_int_div_zero 0
	.end_amdhsa_kernel
	.section	.text._ZL41rocblas_syrkx_herkx_small_restrict_kernelIi19rocblas_complex_numIdELi16ELb0ELb0ELc67ELc85EKS1_S1_EviT_T0_PT6_S3_lS6_S3_lS4_PT7_S3_li,"axG",@progbits,_ZL41rocblas_syrkx_herkx_small_restrict_kernelIi19rocblas_complex_numIdELi16ELb0ELb0ELc67ELc85EKS1_S1_EviT_T0_PT6_S3_lS6_S3_lS4_PT7_S3_li,comdat
.Lfunc_end279:
	.size	_ZL41rocblas_syrkx_herkx_small_restrict_kernelIi19rocblas_complex_numIdELi16ELb0ELb0ELc67ELc85EKS1_S1_EviT_T0_PT6_S3_lS6_S3_lS4_PT7_S3_li, .Lfunc_end279-_ZL41rocblas_syrkx_herkx_small_restrict_kernelIi19rocblas_complex_numIdELi16ELb0ELb0ELc67ELc85EKS1_S1_EviT_T0_PT6_S3_lS6_S3_lS4_PT7_S3_li
                                        ; -- End function
	.section	.AMDGPU.csdata,"",@progbits
; Kernel info:
; codeLenInByte = 1828
; NumSgprs: 28
; NumVgprs: 46
; ScratchSize: 0
; MemoryBound: 0
; FloatMode: 240
; IeeeMode: 1
; LDSByteSize: 8192 bytes/workgroup (compile time only)
; SGPRBlocks: 3
; VGPRBlocks: 5
; NumSGPRsForWavesPerEU: 28
; NumVGPRsForWavesPerEU: 46
; Occupancy: 16
; WaveLimiterHint : 0
; COMPUTE_PGM_RSRC2:SCRATCH_EN: 0
; COMPUTE_PGM_RSRC2:USER_SGPR: 13
; COMPUTE_PGM_RSRC2:TRAP_HANDLER: 0
; COMPUTE_PGM_RSRC2:TGID_X_EN: 1
; COMPUTE_PGM_RSRC2:TGID_Y_EN: 1
; COMPUTE_PGM_RSRC2:TGID_Z_EN: 1
; COMPUTE_PGM_RSRC2:TIDIG_COMP_CNT: 1
	.section	.text._ZL41rocblas_syrkx_herkx_small_restrict_kernelIi19rocblas_complex_numIdELi16ELb0ELb0ELc78ELc85EKS1_S1_EviT_T0_PT6_S3_lS6_S3_lS4_PT7_S3_li,"axG",@progbits,_ZL41rocblas_syrkx_herkx_small_restrict_kernelIi19rocblas_complex_numIdELi16ELb0ELb0ELc78ELc85EKS1_S1_EviT_T0_PT6_S3_lS6_S3_lS4_PT7_S3_li,comdat
	.globl	_ZL41rocblas_syrkx_herkx_small_restrict_kernelIi19rocblas_complex_numIdELi16ELb0ELb0ELc78ELc85EKS1_S1_EviT_T0_PT6_S3_lS6_S3_lS4_PT7_S3_li ; -- Begin function _ZL41rocblas_syrkx_herkx_small_restrict_kernelIi19rocblas_complex_numIdELi16ELb0ELb0ELc78ELc85EKS1_S1_EviT_T0_PT6_S3_lS6_S3_lS4_PT7_S3_li
	.p2align	8
	.type	_ZL41rocblas_syrkx_herkx_small_restrict_kernelIi19rocblas_complex_numIdELi16ELb0ELb0ELc78ELc85EKS1_S1_EviT_T0_PT6_S3_lS6_S3_lS4_PT7_S3_li,@function
_ZL41rocblas_syrkx_herkx_small_restrict_kernelIi19rocblas_complex_numIdELi16ELb0ELb0ELc78ELc85EKS1_S1_EviT_T0_PT6_S3_lS6_S3_lS4_PT7_S3_li: ; @_ZL41rocblas_syrkx_herkx_small_restrict_kernelIi19rocblas_complex_numIdELi16ELb0ELb0ELc78ELc85EKS1_S1_EviT_T0_PT6_S3_lS6_S3_lS4_PT7_S3_li
; %bb.0:
	s_clause 0x3
	s_load_b32 s12, s[0:1], 0x4
	s_load_b128 s[16:19], s[0:1], 0x8
	s_load_b64 s[2:3], s[0:1], 0x18
	s_load_b256 s[4:11], s[0:1], 0x40
	v_and_b32_e32 v5, 0x3ff, v0
	v_mov_b32_e32 v7, 0
	v_mov_b32_e32 v8, 0
	v_bfe_u32 v4, v0, 10, 10
	s_delay_alu instid0(VALU_DEP_4) | instskip(SKIP_1) | instid1(VALU_DEP_3)
	v_lshl_add_u32 v0, s13, 4, v5
	s_mov_b32 s13, 0
	v_dual_mov_b32 v10, v8 :: v_dual_mov_b32 v9, v7
	s_delay_alu instid0(VALU_DEP_3) | instskip(NEXT) | instid1(VALU_DEP_3)
	v_lshl_add_u32 v2, s14, 4, v4
	v_ashrrev_i32_e32 v1, 31, v0
	s_waitcnt lgkmcnt(0)
	s_cmp_lt_i32 s12, 1
	s_cbranch_scc1 .LBB280_3
; %bb.1:
	s_clause 0x2
	s_load_b32 s24, s[0:1], 0x38
	s_load_b128 s[20:23], s[0:1], 0x28
	s_load_b32 s26, s[0:1], 0x20
	v_ashrrev_i32_e32 v3, 31, v2
	s_mul_i32 s5, s5, s15
	s_mul_hi_u32 s14, s4, s15
	s_mul_i32 s4, s4, s15
	s_add_i32 s5, s14, s5
	v_lshlrev_b64 v[15:16], 4, v[2:3]
	s_lshl_b64 s[4:5], s[4:5], 4
	v_lshlrev_b32_e32 v11, 4, v5
	v_lshlrev_b32_e32 v10, 8, v4
	v_lshlrev_b64 v[6:7], 4, v[0:1]
	s_delay_alu instid0(VALU_DEP_2) | instskip(NEXT) | instid1(VALU_DEP_4)
	v_add_nc_u32_e32 v12, 0x1000, v10
	v_add_nc_u32_e32 v13, v11, v10
	s_waitcnt lgkmcnt(0)
	v_mad_i64_i32 v[8:9], null, s24, v5, 0
	v_mad_i64_i32 v[17:18], null, s26, v4, 0
	s_mul_i32 s14, s21, s15
	s_mul_hi_u32 s21, s20, s15
	s_mul_i32 s20, s20, s15
	s_add_i32 s21, s21, s14
	s_delay_alu instid0(VALU_DEP_2) | instskip(SKIP_1) | instid1(VALU_DEP_2)
	v_lshlrev_b64 v[8:9], 4, v[8:9]
	s_lshl_b64 s[20:21], s[20:21], 4
	v_lshlrev_b64 v[3:4], 4, v[17:18]
	s_ashr_i32 s25, s24, 31
	s_ashr_i32 s27, s26, 31
	s_delay_alu instid0(VALU_DEP_2) | instskip(SKIP_2) | instid1(VALU_DEP_2)
	v_add_co_u32 v5, vcc_lo, s4, v8
	v_add_co_ci_u32_e32 v8, vcc_lo, s5, v9, vcc_lo
	s_lshl_b64 s[4:5], s[26:27], 8
	v_add_co_u32 v5, vcc_lo, v5, v15
	s_delay_alu instid0(VALU_DEP_2) | instskip(SKIP_2) | instid1(VALU_DEP_4)
	v_add_co_ci_u32_e32 v8, vcc_lo, v8, v16, vcc_lo
	v_add_co_u32 v3, vcc_lo, s20, v3
	v_add_co_ci_u32_e32 v4, vcc_lo, s21, v4, vcc_lo
	v_add_co_u32 v5, vcc_lo, v5, s22
	s_delay_alu instid0(VALU_DEP_4) | instskip(NEXT) | instid1(VALU_DEP_4)
	v_add_co_ci_u32_e32 v9, vcc_lo, s23, v8, vcc_lo
	v_add_co_u32 v6, vcc_lo, v3, v6
	s_delay_alu instid0(VALU_DEP_4)
	v_add_co_ci_u32_e32 v10, vcc_lo, v4, v7, vcc_lo
	v_mov_b32_e32 v7, 0
	v_mov_b32_e32 v8, 0
	v_add_co_u32 v3, vcc_lo, v5, 8
	v_add_co_ci_u32_e32 v4, vcc_lo, 0, v9, vcc_lo
	v_add_co_u32 v5, vcc_lo, s2, v6
	v_add_co_ci_u32_e32 v6, vcc_lo, s3, v10, vcc_lo
	v_dual_mov_b32 v10, v8 :: v_dual_mov_b32 v9, v7
	v_add_nc_u32_e32 v14, v12, v11
	s_lshl_b64 s[2:3], s[24:25], 8
.LBB280_2:                              ; =>This Inner Loop Header: Depth=1
	global_load_b128 v[15:18], v[5:6], off
	global_load_b128 v[19:22], v[3:4], off offset:-8
	v_add_co_u32 v3, vcc_lo, v3, s2
	v_add_co_ci_u32_e32 v4, vcc_lo, s3, v4, vcc_lo
	v_add_co_u32 v5, vcc_lo, v5, s4
	v_add_co_ci_u32_e32 v6, vcc_lo, s5, v6, vcc_lo
	s_add_i32 s13, s13, 16
	s_waitcnt vmcnt(1)
	ds_store_2addr_b64 v13, v[15:16], v[17:18] offset1:1
	s_waitcnt vmcnt(0)
	ds_store_b128 v14, v[19:22]
	s_waitcnt lgkmcnt(0)
	s_barrier
	buffer_gl0_inv
	ds_load_b128 v[15:18], v11
	ds_load_b128 v[19:22], v12
	ds_load_b128 v[23:26], v12 offset:16
	ds_load_b128 v[27:30], v11 offset:256
	s_cmp_lt_i32 s13, s12
	s_waitcnt lgkmcnt(2)
	v_mul_f64 v[31:32], v[21:22], v[17:18]
	v_mul_f64 v[17:18], v[19:20], v[17:18]
	s_waitcnt lgkmcnt(0)
	v_mul_f64 v[37:38], v[25:26], v[29:30]
	v_mul_f64 v[39:40], v[23:24], v[29:30]
	s_delay_alu instid0(VALU_DEP_4) | instskip(NEXT) | instid1(VALU_DEP_4)
	v_fma_f64 v[41:42], v[19:20], v[15:16], -v[31:32]
	v_fma_f64 v[43:44], v[21:22], v[15:16], v[17:18]
	ds_load_b128 v[15:18], v11 offset:512
	ds_load_b128 v[19:22], v12 offset:32
	;; [unrolled: 1-line block ×4, first 2 shown]
	v_fma_f64 v[23:24], v[23:24], v[27:28], -v[37:38]
	v_fma_f64 v[25:26], v[25:26], v[27:28], v[39:40]
	s_waitcnt lgkmcnt(2)
	v_mul_f64 v[45:46], v[21:22], v[17:18]
	v_mul_f64 v[17:18], v[19:20], v[17:18]
	s_waitcnt lgkmcnt(0)
	v_mul_f64 v[27:28], v[31:32], v[35:36]
	v_mul_f64 v[35:36], v[29:30], v[35:36]
	v_add_f64 v[9:10], v[9:10], v[41:42]
	v_add_f64 v[7:8], v[7:8], v[43:44]
	v_fma_f64 v[37:38], v[19:20], v[15:16], -v[45:46]
	v_fma_f64 v[39:40], v[21:22], v[15:16], v[17:18]
	v_fma_f64 v[27:28], v[29:30], v[33:34], -v[27:28]
	v_fma_f64 v[29:30], v[31:32], v[33:34], v[35:36]
	v_add_f64 v[41:42], v[9:10], v[23:24]
	v_add_f64 v[43:44], v[7:8], v[25:26]
	ds_load_b128 v[7:10], v11 offset:1024
	ds_load_b128 v[15:18], v12 offset:64
	;; [unrolled: 1-line block ×4, first 2 shown]
	s_waitcnt lgkmcnt(2)
	v_mul_f64 v[45:46], v[17:18], v[9:10]
	v_mul_f64 v[9:10], v[15:16], v[9:10]
	s_waitcnt lgkmcnt(0)
	v_mul_f64 v[35:36], v[21:22], v[25:26]
	v_add_f64 v[31:32], v[41:42], v[37:38]
	v_add_f64 v[33:34], v[43:44], v[39:40]
	v_mul_f64 v[37:38], v[19:20], v[25:26]
	v_fma_f64 v[39:40], v[15:16], v[7:8], -v[45:46]
	v_fma_f64 v[41:42], v[17:18], v[7:8], v[9:10]
	v_fma_f64 v[19:20], v[19:20], v[23:24], -v[35:36]
	v_add_f64 v[43:44], v[31:32], v[27:28]
	v_add_f64 v[33:34], v[33:34], v[29:30]
	ds_load_b128 v[7:10], v11 offset:1536
	ds_load_b128 v[15:18], v12 offset:96
	;; [unrolled: 1-line block ×4, first 2 shown]
	v_fma_f64 v[21:22], v[21:22], v[23:24], v[37:38]
	s_waitcnt lgkmcnt(2)
	v_mul_f64 v[45:46], v[17:18], v[9:10]
	v_mul_f64 v[9:10], v[15:16], v[9:10]
	s_waitcnt lgkmcnt(0)
	v_mul_f64 v[35:36], v[27:28], v[31:32]
	v_mul_f64 v[37:38], v[25:26], v[31:32]
	v_add_f64 v[23:24], v[43:44], v[39:40]
	v_add_f64 v[33:34], v[33:34], v[41:42]
	v_fma_f64 v[39:40], v[15:16], v[7:8], -v[45:46]
	v_fma_f64 v[41:42], v[17:18], v[7:8], v[9:10]
	v_fma_f64 v[25:26], v[25:26], v[29:30], -v[35:36]
	v_fma_f64 v[27:28], v[27:28], v[29:30], v[37:38]
	v_add_f64 v[23:24], v[23:24], v[19:20]
	v_add_f64 v[43:44], v[33:34], v[21:22]
	ds_load_b128 v[7:10], v11 offset:2048
	ds_load_b128 v[15:18], v12 offset:128
	;; [unrolled: 1-line block ×4, first 2 shown]
	s_waitcnt lgkmcnt(2)
	v_mul_f64 v[45:46], v[17:18], v[9:10]
	v_mul_f64 v[9:10], v[15:16], v[9:10]
	s_waitcnt lgkmcnt(0)
	v_mul_f64 v[35:36], v[21:22], v[33:34]
	v_mul_f64 v[33:34], v[19:20], v[33:34]
	v_add_f64 v[23:24], v[23:24], v[39:40]
	v_add_f64 v[29:30], v[43:44], v[41:42]
	v_fma_f64 v[37:38], v[15:16], v[7:8], -v[45:46]
	v_fma_f64 v[39:40], v[17:18], v[7:8], v[9:10]
	v_fma_f64 v[19:20], v[19:20], v[31:32], -v[35:36]
	v_fma_f64 v[21:22], v[21:22], v[31:32], v[33:34]
	v_add_f64 v[41:42], v[23:24], v[25:26]
	v_add_f64 v[43:44], v[29:30], v[27:28]
	ds_load_b128 v[7:10], v11 offset:2560
	ds_load_b128 v[15:18], v12 offset:160
	;; [unrolled: 1-line block ×4, first 2 shown]
	s_waitcnt lgkmcnt(2)
	v_mul_f64 v[45:46], v[17:18], v[9:10]
	v_mul_f64 v[9:10], v[15:16], v[9:10]
	s_waitcnt lgkmcnt(0)
	v_mul_f64 v[35:36], v[25:26], v[29:30]
	v_add_f64 v[31:32], v[41:42], v[37:38]
	v_add_f64 v[33:34], v[43:44], v[39:40]
	v_mul_f64 v[37:38], v[23:24], v[29:30]
	v_fma_f64 v[39:40], v[15:16], v[7:8], -v[45:46]
	v_fma_f64 v[41:42], v[17:18], v[7:8], v[9:10]
	v_fma_f64 v[23:24], v[23:24], v[27:28], -v[35:36]
	v_add_f64 v[43:44], v[31:32], v[19:20]
	v_add_f64 v[33:34], v[33:34], v[21:22]
	ds_load_b128 v[7:10], v11 offset:3072
	ds_load_b128 v[15:18], v12 offset:192
	;; [unrolled: 1-line block ×4, first 2 shown]
	v_fma_f64 v[25:26], v[25:26], v[27:28], v[37:38]
	s_waitcnt lgkmcnt(2)
	v_mul_f64 v[45:46], v[17:18], v[9:10]
	v_mul_f64 v[9:10], v[15:16], v[9:10]
	s_waitcnt lgkmcnt(0)
	v_mul_f64 v[35:36], v[21:22], v[31:32]
	v_mul_f64 v[37:38], v[19:20], v[31:32]
	v_add_f64 v[27:28], v[43:44], v[39:40]
	v_add_f64 v[33:34], v[33:34], v[41:42]
	v_fma_f64 v[39:40], v[15:16], v[7:8], -v[45:46]
	v_fma_f64 v[41:42], v[17:18], v[7:8], v[9:10]
	v_fma_f64 v[19:20], v[19:20], v[29:30], -v[35:36]
	v_fma_f64 v[21:22], v[21:22], v[29:30], v[37:38]
	v_add_f64 v[27:28], v[27:28], v[23:24]
	v_add_f64 v[43:44], v[33:34], v[25:26]
	ds_load_b128 v[7:10], v11 offset:3584
	ds_load_b128 v[15:18], v12 offset:224
	;; [unrolled: 1-line block ×4, first 2 shown]
	s_waitcnt lgkmcnt(0)
	s_barrier
	buffer_gl0_inv
	v_mul_f64 v[45:46], v[17:18], v[9:10]
	v_mul_f64 v[9:10], v[15:16], v[9:10]
	;; [unrolled: 1-line block ×4, first 2 shown]
	v_add_f64 v[27:28], v[27:28], v[39:40]
	v_add_f64 v[29:30], v[43:44], v[41:42]
	v_fma_f64 v[15:16], v[15:16], v[7:8], -v[45:46]
	v_fma_f64 v[7:8], v[17:18], v[7:8], v[9:10]
	s_delay_alu instid0(VALU_DEP_4) | instskip(NEXT) | instid1(VALU_DEP_4)
	v_add_f64 v[9:10], v[27:28], v[19:20]
	v_add_f64 v[17:18], v[29:30], v[21:22]
	v_fma_f64 v[19:20], v[23:24], v[31:32], -v[35:36]
	v_fma_f64 v[21:22], v[25:26], v[31:32], v[33:34]
	s_delay_alu instid0(VALU_DEP_4) | instskip(NEXT) | instid1(VALU_DEP_4)
	v_add_f64 v[9:10], v[9:10], v[15:16]
	v_add_f64 v[7:8], v[17:18], v[7:8]
	s_delay_alu instid0(VALU_DEP_2) | instskip(NEXT) | instid1(VALU_DEP_2)
	v_add_f64 v[9:10], v[9:10], v[19:20]
	v_add_f64 v[7:8], v[7:8], v[21:22]
	s_cbranch_scc1 .LBB280_2
.LBB280_3:
	s_mov_b32 s2, exec_lo
	v_cmpx_le_i32_e64 v0, v2
	s_cbranch_execz .LBB280_5
; %bb.4:
	s_clause 0x1
	s_load_b32 s2, s[0:1], 0x60
	s_load_b64 s[0:1], s[0:1], 0x68
	v_lshlrev_b64 v[0:1], 4, v[0:1]
	s_delay_alu instid0(VALU_DEP_3)
	v_mul_f64 v[11:12], s[18:19], v[7:8]
	v_mul_f64 v[6:7], s[16:17], v[7:8]
	s_waitcnt lgkmcnt(0)
	v_mad_i64_i32 v[3:4], null, s2, v2, 0
	s_mul_i32 s1, s15, s1
	s_mul_hi_u32 s2, s15, s0
	s_mul_i32 s0, s15, s0
	s_add_i32 s1, s2, s1
	s_delay_alu instid0(SALU_CYCLE_1) | instskip(NEXT) | instid1(VALU_DEP_1)
	s_lshl_b64 s[0:1], s[0:1], 4
	v_lshlrev_b64 v[2:3], 4, v[3:4]
	s_add_u32 s0, s10, s0
	s_addc_u32 s1, s11, s1
	s_delay_alu instid0(VALU_DEP_1) | instskip(NEXT) | instid1(VALU_DEP_2)
	v_add_co_u32 v2, vcc_lo, s0, v2
	v_add_co_ci_u32_e32 v3, vcc_lo, s1, v3, vcc_lo
	s_delay_alu instid0(VALU_DEP_2) | instskip(NEXT) | instid1(VALU_DEP_2)
	v_add_co_u32 v4, vcc_lo, v2, v0
	v_add_co_ci_u32_e32 v5, vcc_lo, v3, v1, vcc_lo
	v_fma_f64 v[11:12], s[16:17], v[9:10], -v[11:12]
	v_fma_f64 v[6:7], s[18:19], v[9:10], v[6:7]
	global_load_b128 v[0:3], v[4:5], off
	s_waitcnt vmcnt(0)
	v_mul_f64 v[13:14], s[8:9], v[2:3]
	v_mul_f64 v[2:3], s[6:7], v[2:3]
	s_delay_alu instid0(VALU_DEP_2) | instskip(NEXT) | instid1(VALU_DEP_2)
	v_fma_f64 v[8:9], s[6:7], v[0:1], -v[13:14]
	v_fma_f64 v[2:3], s[8:9], v[0:1], v[2:3]
	s_delay_alu instid0(VALU_DEP_2) | instskip(NEXT) | instid1(VALU_DEP_2)
	v_add_f64 v[0:1], v[11:12], v[8:9]
	v_add_f64 v[2:3], v[6:7], v[2:3]
	global_store_b128 v[4:5], v[0:3], off
.LBB280_5:
	s_nop 0
	s_sendmsg sendmsg(MSG_DEALLOC_VGPRS)
	s_endpgm
	.section	.rodata,"a",@progbits
	.p2align	6, 0x0
	.amdhsa_kernel _ZL41rocblas_syrkx_herkx_small_restrict_kernelIi19rocblas_complex_numIdELi16ELb0ELb0ELc78ELc85EKS1_S1_EviT_T0_PT6_S3_lS6_S3_lS4_PT7_S3_li
		.amdhsa_group_segment_fixed_size 8192
		.amdhsa_private_segment_fixed_size 0
		.amdhsa_kernarg_size 116
		.amdhsa_user_sgpr_count 13
		.amdhsa_user_sgpr_dispatch_ptr 0
		.amdhsa_user_sgpr_queue_ptr 0
		.amdhsa_user_sgpr_kernarg_segment_ptr 1
		.amdhsa_user_sgpr_dispatch_id 0
		.amdhsa_user_sgpr_private_segment_size 0
		.amdhsa_wavefront_size32 1
		.amdhsa_uses_dynamic_stack 0
		.amdhsa_enable_private_segment 0
		.amdhsa_system_sgpr_workgroup_id_x 1
		.amdhsa_system_sgpr_workgroup_id_y 1
		.amdhsa_system_sgpr_workgroup_id_z 1
		.amdhsa_system_sgpr_workgroup_info 0
		.amdhsa_system_vgpr_workitem_id 1
		.amdhsa_next_free_vgpr 47
		.amdhsa_next_free_sgpr 28
		.amdhsa_reserve_vcc 1
		.amdhsa_float_round_mode_32 0
		.amdhsa_float_round_mode_16_64 0
		.amdhsa_float_denorm_mode_32 3
		.amdhsa_float_denorm_mode_16_64 3
		.amdhsa_dx10_clamp 1
		.amdhsa_ieee_mode 1
		.amdhsa_fp16_overflow 0
		.amdhsa_workgroup_processor_mode 1
		.amdhsa_memory_ordered 1
		.amdhsa_forward_progress 0
		.amdhsa_shared_vgpr_count 0
		.amdhsa_exception_fp_ieee_invalid_op 0
		.amdhsa_exception_fp_denorm_src 0
		.amdhsa_exception_fp_ieee_div_zero 0
		.amdhsa_exception_fp_ieee_overflow 0
		.amdhsa_exception_fp_ieee_underflow 0
		.amdhsa_exception_fp_ieee_inexact 0
		.amdhsa_exception_int_div_zero 0
	.end_amdhsa_kernel
	.section	.text._ZL41rocblas_syrkx_herkx_small_restrict_kernelIi19rocblas_complex_numIdELi16ELb0ELb0ELc78ELc85EKS1_S1_EviT_T0_PT6_S3_lS6_S3_lS4_PT7_S3_li,"axG",@progbits,_ZL41rocblas_syrkx_herkx_small_restrict_kernelIi19rocblas_complex_numIdELi16ELb0ELb0ELc78ELc85EKS1_S1_EviT_T0_PT6_S3_lS6_S3_lS4_PT7_S3_li,comdat
.Lfunc_end280:
	.size	_ZL41rocblas_syrkx_herkx_small_restrict_kernelIi19rocblas_complex_numIdELi16ELb0ELb0ELc78ELc85EKS1_S1_EviT_T0_PT6_S3_lS6_S3_lS4_PT7_S3_li, .Lfunc_end280-_ZL41rocblas_syrkx_herkx_small_restrict_kernelIi19rocblas_complex_numIdELi16ELb0ELb0ELc78ELc85EKS1_S1_EviT_T0_PT6_S3_lS6_S3_lS4_PT7_S3_li
                                        ; -- End function
	.section	.AMDGPU.csdata,"",@progbits
; Kernel info:
; codeLenInByte = 1856
; NumSgprs: 30
; NumVgprs: 47
; ScratchSize: 0
; MemoryBound: 0
; FloatMode: 240
; IeeeMode: 1
; LDSByteSize: 8192 bytes/workgroup (compile time only)
; SGPRBlocks: 3
; VGPRBlocks: 5
; NumSGPRsForWavesPerEU: 30
; NumVGPRsForWavesPerEU: 47
; Occupancy: 16
; WaveLimiterHint : 0
; COMPUTE_PGM_RSRC2:SCRATCH_EN: 0
; COMPUTE_PGM_RSRC2:USER_SGPR: 13
; COMPUTE_PGM_RSRC2:TRAP_HANDLER: 0
; COMPUTE_PGM_RSRC2:TGID_X_EN: 1
; COMPUTE_PGM_RSRC2:TGID_Y_EN: 1
; COMPUTE_PGM_RSRC2:TGID_Z_EN: 1
; COMPUTE_PGM_RSRC2:TIDIG_COMP_CNT: 1
	.section	.text._ZL32rocblas_syrkx_herkx_small_kernelIi19rocblas_complex_numIdELi16ELb1ELb0ELc84ELc76EKS1_S1_EviT_T0_PT6_S3_lS6_S3_lS4_PT7_S3_li,"axG",@progbits,_ZL32rocblas_syrkx_herkx_small_kernelIi19rocblas_complex_numIdELi16ELb1ELb0ELc84ELc76EKS1_S1_EviT_T0_PT6_S3_lS6_S3_lS4_PT7_S3_li,comdat
	.globl	_ZL32rocblas_syrkx_herkx_small_kernelIi19rocblas_complex_numIdELi16ELb1ELb0ELc84ELc76EKS1_S1_EviT_T0_PT6_S3_lS6_S3_lS4_PT7_S3_li ; -- Begin function _ZL32rocblas_syrkx_herkx_small_kernelIi19rocblas_complex_numIdELi16ELb1ELb0ELc84ELc76EKS1_S1_EviT_T0_PT6_S3_lS6_S3_lS4_PT7_S3_li
	.p2align	8
	.type	_ZL32rocblas_syrkx_herkx_small_kernelIi19rocblas_complex_numIdELi16ELb1ELb0ELc84ELc76EKS1_S1_EviT_T0_PT6_S3_lS6_S3_lS4_PT7_S3_li,@function
_ZL32rocblas_syrkx_herkx_small_kernelIi19rocblas_complex_numIdELi16ELb1ELb0ELc84ELc76EKS1_S1_EviT_T0_PT6_S3_lS6_S3_lS4_PT7_S3_li: ; @_ZL32rocblas_syrkx_herkx_small_kernelIi19rocblas_complex_numIdELi16ELb1ELb0ELc84ELc76EKS1_S1_EviT_T0_PT6_S3_lS6_S3_lS4_PT7_S3_li
; %bb.0:
	s_clause 0x2
	s_load_b64 s[16:17], s[0:1], 0x0
	s_load_b128 s[4:7], s[0:1], 0x8
	s_load_b64 s[18:19], s[0:1], 0x18
	v_dual_mov_b32 v9, 0 :: v_dual_and_b32 v14, 0x3ff, v0
	v_mov_b32_e32 v10, 0
	v_bfe_u32 v15, v0, 10, 10
	s_mov_b32 s12, 0
	s_delay_alu instid0(VALU_DEP_3) | instskip(NEXT) | instid1(VALU_DEP_3)
	v_lshl_add_u32 v4, s13, 4, v14
	v_dual_mov_b32 v12, v10 :: v_dual_mov_b32 v11, v9
	s_delay_alu instid0(VALU_DEP_3) | instskip(SKIP_1) | instid1(VALU_DEP_3)
	v_lshl_add_u32 v13, s14, 4, v15
	s_waitcnt lgkmcnt(0)
	v_cmp_gt_i32_e32 vcc_lo, s16, v4
	s_cmp_lt_i32 s17, 1
	s_cbranch_scc1 .LBB281_11
; %bb.1:
	s_clause 0x3
	s_load_b32 s3, s[0:1], 0x38
	s_load_b64 s[20:21], s[0:1], 0x40
	s_load_b32 s13, s[0:1], 0x20
	s_load_b128 s[8:11], s[0:1], 0x28
	v_dual_mov_b32 v9, 0 :: v_dual_lshlrev_b32 v0, 8, v15
	v_lshlrev_b32_e32 v7, 4, v15
	v_cmp_gt_i32_e64 s2, s16, v13
	s_delay_alu instid0(VALU_DEP_3) | instskip(SKIP_1) | instid1(VALU_DEP_3)
	v_dual_mov_b32 v10, 0 :: v_dual_add_nc_u32 v17, 0x1000, v0
	v_lshlrev_b32_e32 v16, 4, v14
	s_xor_b32 s2, s2, -1
	s_delay_alu instid0(VALU_DEP_2) | instskip(NEXT) | instid1(VALU_DEP_2)
	v_dual_mov_b32 v12, v10 :: v_dual_mov_b32 v11, v9
	v_add_nc_u32_e32 v18, v16, v0
	v_add_nc_u32_e32 v19, v17, v16
	s_waitcnt lgkmcnt(0)
	v_mad_i64_i32 v[0:1], null, s3, v13, 0
	s_mul_i32 s3, s21, s15
	s_mul_hi_u32 s14, s20, s15
	v_mad_i64_i32 v[2:3], null, s13, v4, 0
	s_mul_i32 s20, s20, s15
	s_add_i32 s21, s14, s3
	s_delay_alu instid0(VALU_DEP_2)
	v_lshlrev_b64 v[0:1], 4, v[0:1]
	s_lshl_b64 s[20:21], s[20:21], 4
	s_mul_i32 s9, s9, s15
	s_mul_hi_u32 s13, s8, s15
	s_mul_i32 s8, s8, s15
	s_add_i32 s9, s13, s9
	v_add_co_u32 v5, s3, v0, s20
	s_delay_alu instid0(VALU_DEP_1) | instskip(SKIP_1) | instid1(VALU_DEP_3)
	v_add_co_ci_u32_e64 v6, s3, s21, v1, s3
	v_lshlrev_b64 v[0:1], 4, v[2:3]
	v_add_co_u32 v2, s3, v5, v16
	s_lshl_b64 s[8:9], s[8:9], 4
	s_delay_alu instid0(VALU_DEP_3) | instskip(NEXT) | instid1(VALU_DEP_3)
	v_add_co_ci_u32_e64 v3, s3, 0, v6, s3
	v_add_co_u32 v0, s3, v0, s8
	s_delay_alu instid0(VALU_DEP_1) | instskip(SKIP_1) | instid1(VALU_DEP_1)
	v_add_co_ci_u32_e64 v1, s3, s9, v1, s3
	v_add_co_u32 v5, s3, s10, v2
	v_add_co_ci_u32_e64 v6, s3, s11, v3, s3
	s_delay_alu instid0(VALU_DEP_4) | instskip(NEXT) | instid1(VALU_DEP_1)
	v_add_co_u32 v0, s3, v0, v7
	v_add_co_ci_u32_e64 v1, s3, 0, v1, s3
	s_delay_alu instid0(VALU_DEP_2) | instskip(NEXT) | instid1(VALU_DEP_1)
	v_add_co_u32 v7, s3, s18, v0
	v_add_co_ci_u32_e64 v8, s3, s19, v1, s3
	v_mov_b32_e32 v0, 0
	s_xor_b32 s3, vcc_lo, -1
	s_branch .LBB281_3
.LBB281_2:                              ;   in Loop: Header=BB281_3 Depth=1
	s_or_b32 exec_lo, exec_lo, s8
	s_waitcnt lgkmcnt(0)
	s_barrier
	buffer_gl0_inv
	ds_load_b128 v[20:23], v16
	ds_load_b128 v[24:27], v17
	ds_load_b128 v[28:31], v17 offset:16
	ds_load_b128 v[32:35], v16 offset:256
	v_add_co_u32 v5, vcc_lo, 0x100, v5
	v_add_co_ci_u32_e32 v6, vcc_lo, 0, v6, vcc_lo
	v_add_co_u32 v7, vcc_lo, 0x100, v7
	v_add_co_ci_u32_e32 v8, vcc_lo, 0, v8, vcc_lo
	s_add_i32 s12, s12, 16
	s_delay_alu instid0(SALU_CYCLE_1)
	s_cmp_ge_i32 s12, s17
	s_waitcnt lgkmcnt(2)
	v_mul_f64 v[1:2], v[26:27], v[22:23]
	v_mul_f64 v[22:23], v[24:25], v[22:23]
	s_waitcnt lgkmcnt(0)
	v_mul_f64 v[42:43], v[30:31], v[34:35]
	v_mul_f64 v[44:45], v[28:29], v[34:35]
	s_delay_alu instid0(VALU_DEP_4) | instskip(NEXT) | instid1(VALU_DEP_4)
	v_fma_f64 v[1:2], v[24:25], v[20:21], -v[1:2]
	v_fma_f64 v[46:47], v[26:27], v[20:21], v[22:23]
	ds_load_b128 v[20:23], v16 offset:512
	ds_load_b128 v[24:27], v17 offset:32
	ds_load_b128 v[34:37], v17 offset:48
	ds_load_b128 v[38:41], v16 offset:768
	v_fma_f64 v[28:29], v[28:29], v[32:33], -v[42:43]
	v_fma_f64 v[30:31], v[30:31], v[32:33], v[44:45]
	s_waitcnt lgkmcnt(2)
	v_mul_f64 v[48:49], v[26:27], v[22:23]
	v_mul_f64 v[22:23], v[24:25], v[22:23]
	s_waitcnt lgkmcnt(0)
	v_mul_f64 v[32:33], v[36:37], v[40:41]
	v_mul_f64 v[40:41], v[34:35], v[40:41]
	v_add_f64 v[1:2], v[11:12], v[1:2]
	v_add_f64 v[9:10], v[9:10], v[46:47]
	v_fma_f64 v[42:43], v[24:25], v[20:21], -v[48:49]
	v_fma_f64 v[44:45], v[26:27], v[20:21], v[22:23]
	v_fma_f64 v[32:33], v[34:35], v[38:39], -v[32:33]
	v_fma_f64 v[34:35], v[36:37], v[38:39], v[40:41]
	v_add_f64 v[1:2], v[1:2], v[28:29]
	v_add_f64 v[46:47], v[9:10], v[30:31]
	ds_load_b128 v[9:12], v16 offset:1024
	ds_load_b128 v[20:23], v17 offset:64
	ds_load_b128 v[24:27], v17 offset:80
	ds_load_b128 v[28:31], v16 offset:1280
	s_waitcnt lgkmcnt(2)
	v_mul_f64 v[48:49], v[22:23], v[11:12]
	v_mul_f64 v[11:12], v[20:21], v[11:12]
	s_waitcnt lgkmcnt(0)
	v_mul_f64 v[38:39], v[26:27], v[30:31]
	v_mul_f64 v[40:41], v[24:25], v[30:31]
	v_add_f64 v[1:2], v[1:2], v[42:43]
	v_add_f64 v[36:37], v[46:47], v[44:45]
	v_fma_f64 v[42:43], v[20:21], v[9:10], -v[48:49]
	v_fma_f64 v[44:45], v[22:23], v[9:10], v[11:12]
	v_fma_f64 v[24:25], v[24:25], v[28:29], -v[38:39]
	v_fma_f64 v[26:27], v[26:27], v[28:29], v[40:41]
	v_add_f64 v[1:2], v[1:2], v[32:33]
	v_add_f64 v[46:47], v[36:37], v[34:35]
	ds_load_b128 v[9:12], v16 offset:1536
	ds_load_b128 v[20:23], v17 offset:96
	ds_load_b128 v[30:33], v17 offset:112
	ds_load_b128 v[34:37], v16 offset:1792
	s_waitcnt lgkmcnt(2)
	v_mul_f64 v[48:49], v[22:23], v[11:12]
	v_mul_f64 v[11:12], v[20:21], v[11:12]
	s_waitcnt lgkmcnt(0)
	v_mul_f64 v[40:41], v[32:33], v[36:37]
	v_add_f64 v[1:2], v[1:2], v[42:43]
	v_add_f64 v[28:29], v[46:47], v[44:45]
	v_mul_f64 v[42:43], v[30:31], v[36:37]
	v_fma_f64 v[44:45], v[20:21], v[9:10], -v[48:49]
	v_fma_f64 v[46:47], v[22:23], v[9:10], v[11:12]
	v_fma_f64 v[30:31], v[30:31], v[34:35], -v[40:41]
	v_add_f64 v[1:2], v[1:2], v[24:25]
	v_add_f64 v[28:29], v[28:29], v[26:27]
	ds_load_b128 v[9:12], v16 offset:2048
	ds_load_b128 v[20:23], v17 offset:128
	;; [unrolled: 1-line block ×4, first 2 shown]
	v_fma_f64 v[32:33], v[32:33], v[34:35], v[42:43]
	s_waitcnt lgkmcnt(2)
	v_mul_f64 v[48:49], v[22:23], v[11:12]
	v_mul_f64 v[11:12], v[20:21], v[11:12]
	s_waitcnt lgkmcnt(0)
	v_mul_f64 v[40:41], v[26:27], v[38:39]
	v_mul_f64 v[38:39], v[24:25], v[38:39]
	v_add_f64 v[1:2], v[1:2], v[44:45]
	v_add_f64 v[28:29], v[28:29], v[46:47]
	v_fma_f64 v[42:43], v[20:21], v[9:10], -v[48:49]
	v_fma_f64 v[44:45], v[22:23], v[9:10], v[11:12]
	v_fma_f64 v[24:25], v[24:25], v[36:37], -v[40:41]
	v_fma_f64 v[26:27], v[26:27], v[36:37], v[38:39]
	v_add_f64 v[1:2], v[1:2], v[30:31]
	v_add_f64 v[46:47], v[28:29], v[32:33]
	ds_load_b128 v[9:12], v16 offset:2560
	ds_load_b128 v[20:23], v17 offset:160
	;; [unrolled: 1-line block ×4, first 2 shown]
	s_waitcnt lgkmcnt(2)
	v_mul_f64 v[48:49], v[22:23], v[11:12]
	v_mul_f64 v[11:12], v[20:21], v[11:12]
	s_waitcnt lgkmcnt(0)
	v_mul_f64 v[38:39], v[30:31], v[34:35]
	v_mul_f64 v[40:41], v[28:29], v[34:35]
	v_add_f64 v[1:2], v[1:2], v[42:43]
	v_add_f64 v[36:37], v[46:47], v[44:45]
	v_fma_f64 v[42:43], v[20:21], v[9:10], -v[48:49]
	v_fma_f64 v[44:45], v[22:23], v[9:10], v[11:12]
	v_fma_f64 v[28:29], v[28:29], v[32:33], -v[38:39]
	v_fma_f64 v[30:31], v[30:31], v[32:33], v[40:41]
	v_add_f64 v[1:2], v[1:2], v[24:25]
	v_add_f64 v[46:47], v[36:37], v[26:27]
	ds_load_b128 v[9:12], v16 offset:3072
	ds_load_b128 v[20:23], v17 offset:192
	;; [unrolled: 1-line block ×4, first 2 shown]
	s_waitcnt lgkmcnt(2)
	v_mul_f64 v[48:49], v[22:23], v[11:12]
	v_mul_f64 v[11:12], v[20:21], v[11:12]
	s_waitcnt lgkmcnt(0)
	v_mul_f64 v[40:41], v[26:27], v[36:37]
	v_add_f64 v[1:2], v[1:2], v[42:43]
	v_add_f64 v[32:33], v[46:47], v[44:45]
	v_mul_f64 v[42:43], v[24:25], v[36:37]
	v_fma_f64 v[44:45], v[20:21], v[9:10], -v[48:49]
	v_fma_f64 v[46:47], v[22:23], v[9:10], v[11:12]
	v_fma_f64 v[24:25], v[24:25], v[34:35], -v[40:41]
	v_add_f64 v[1:2], v[1:2], v[28:29]
	v_add_f64 v[32:33], v[32:33], v[30:31]
	ds_load_b128 v[9:12], v16 offset:3584
	ds_load_b128 v[20:23], v17 offset:224
	;; [unrolled: 1-line block ×4, first 2 shown]
	v_fma_f64 v[26:27], v[26:27], v[34:35], v[42:43]
	s_waitcnt lgkmcnt(0)
	s_barrier
	buffer_gl0_inv
	v_mul_f64 v[48:49], v[22:23], v[11:12]
	v_mul_f64 v[11:12], v[20:21], v[11:12]
	;; [unrolled: 1-line block ×4, first 2 shown]
	v_add_f64 v[1:2], v[1:2], v[44:45]
	v_add_f64 v[32:33], v[32:33], v[46:47]
	v_fma_f64 v[20:21], v[20:21], v[9:10], -v[48:49]
	v_fma_f64 v[9:10], v[22:23], v[9:10], v[11:12]
	v_fma_f64 v[22:23], v[28:29], v[36:37], -v[34:35]
	v_add_f64 v[1:2], v[1:2], v[24:25]
	v_add_f64 v[11:12], v[32:33], v[26:27]
	v_fma_f64 v[24:25], v[30:31], v[36:37], v[38:39]
	s_delay_alu instid0(VALU_DEP_3) | instskip(NEXT) | instid1(VALU_DEP_3)
	v_add_f64 v[1:2], v[1:2], v[20:21]
	v_add_f64 v[9:10], v[11:12], v[9:10]
	s_delay_alu instid0(VALU_DEP_2) | instskip(NEXT) | instid1(VALU_DEP_2)
	v_add_f64 v[11:12], v[1:2], v[22:23]
	v_add_f64 v[9:10], v[9:10], v[24:25]
	s_cbranch_scc1 .LBB281_11
.LBB281_3:                              ; =>This Inner Loop Header: Depth=1
	v_add_nc_u32_e32 v1, s12, v15
	s_delay_alu instid0(VALU_DEP_1) | instskip(SKIP_1) | instid1(SALU_CYCLE_1)
	v_cmp_le_i32_e32 vcc_lo, s17, v1
	s_or_b32 s8, s3, vcc_lo
	s_and_saveexec_b32 s9, s8
	s_delay_alu instid0(SALU_CYCLE_1)
	s_xor_b32 s8, exec_lo, s9
	s_cbranch_execz .LBB281_5
; %bb.4:                                ;   in Loop: Header=BB281_3 Depth=1
	v_mov_b32_e32 v1, v0
	v_mov_b32_e32 v2, v0
	v_mov_b32_e32 v3, v0
	ds_store_b128 v18, v[0:3]
.LBB281_5:                              ;   in Loop: Header=BB281_3 Depth=1
	s_and_not1_saveexec_b32 s8, s8
	s_cbranch_execz .LBB281_7
; %bb.6:                                ;   in Loop: Header=BB281_3 Depth=1
	global_load_b128 v[20:23], v[7:8], off
	s_waitcnt vmcnt(0)
	ds_store_2addr_b64 v18, v[20:21], v[22:23] offset1:1
.LBB281_7:                              ;   in Loop: Header=BB281_3 Depth=1
	s_or_b32 exec_lo, exec_lo, s8
	v_add_nc_u32_e32 v1, s12, v14
	s_delay_alu instid0(VALU_DEP_1) | instskip(SKIP_1) | instid1(SALU_CYCLE_1)
	v_cmp_le_i32_e32 vcc_lo, s17, v1
	s_or_b32 s8, s2, vcc_lo
	s_and_saveexec_b32 s9, s8
	s_delay_alu instid0(SALU_CYCLE_1)
	s_xor_b32 s8, exec_lo, s9
	s_cbranch_execz .LBB281_9
; %bb.8:                                ;   in Loop: Header=BB281_3 Depth=1
	v_mov_b32_e32 v1, v0
	v_mov_b32_e32 v2, v0
	;; [unrolled: 1-line block ×3, first 2 shown]
	ds_store_b128 v19, v[0:3]
.LBB281_9:                              ;   in Loop: Header=BB281_3 Depth=1
	s_and_not1_saveexec_b32 s8, s8
	s_cbranch_execz .LBB281_2
; %bb.10:                               ;   in Loop: Header=BB281_3 Depth=1
	global_load_b128 v[20:23], v[5:6], off
	s_waitcnt vmcnt(0)
	ds_store_2addr_b64 v19, v[20:21], v[22:23] offset1:1
	s_branch .LBB281_2
.LBB281_11:
	v_cmp_le_i32_e32 vcc_lo, v13, v4
	v_cmp_gt_i32_e64 s2, s16, v4
	s_delay_alu instid0(VALU_DEP_1) | instskip(NEXT) | instid1(SALU_CYCLE_1)
	s_and_b32 s2, vcc_lo, s2
	s_and_saveexec_b32 s3, s2
	s_cbranch_execz .LBB281_13
; %bb.12:
	s_delay_alu instid0(VALU_DEP_3)
	v_mul_f64 v[0:1], s[6:7], v[9:10]
	v_mul_f64 v[2:3], s[4:5], v[9:10]
	s_clause 0x2
	s_load_b64 s[2:3], s[0:1], 0x68
	s_load_b32 s8, s[0:1], 0x60
	s_load_b64 s[0:1], s[0:1], 0x58
	v_ashrrev_i32_e32 v5, 31, v4
	s_delay_alu instid0(VALU_DEP_1) | instskip(SKIP_3) | instid1(VALU_DEP_1)
	v_lshlrev_b64 v[4:5], 4, v[4:5]
	s_waitcnt lgkmcnt(0)
	s_mul_i32 s3, s15, s3
	v_mad_i64_i32 v[6:7], null, s8, v13, 0
	v_lshlrev_b64 v[6:7], 4, v[6:7]
	v_fma_f64 v[0:1], s[4:5], v[11:12], -v[0:1]
	v_fma_f64 v[2:3], s[6:7], v[11:12], v[2:3]
	s_mul_hi_u32 s4, s15, s2
	s_mul_i32 s2, s15, s2
	s_add_i32 s3, s4, s3
	s_delay_alu instid0(SALU_CYCLE_1) | instskip(NEXT) | instid1(SALU_CYCLE_1)
	s_lshl_b64 s[2:3], s[2:3], 4
	s_add_u32 s0, s0, s2
	s_addc_u32 s1, s1, s3
	v_add_co_u32 v6, vcc_lo, s0, v6
	v_add_co_ci_u32_e32 v7, vcc_lo, s1, v7, vcc_lo
	s_delay_alu instid0(VALU_DEP_2) | instskip(NEXT) | instid1(VALU_DEP_2)
	v_add_co_u32 v4, vcc_lo, v6, v4
	v_add_co_ci_u32_e32 v5, vcc_lo, v7, v5, vcc_lo
	global_store_b128 v[4:5], v[0:3], off
.LBB281_13:
	s_nop 0
	s_sendmsg sendmsg(MSG_DEALLOC_VGPRS)
	s_endpgm
	.section	.rodata,"a",@progbits
	.p2align	6, 0x0
	.amdhsa_kernel _ZL32rocblas_syrkx_herkx_small_kernelIi19rocblas_complex_numIdELi16ELb1ELb0ELc84ELc76EKS1_S1_EviT_T0_PT6_S3_lS6_S3_lS4_PT7_S3_li
		.amdhsa_group_segment_fixed_size 8192
		.amdhsa_private_segment_fixed_size 0
		.amdhsa_kernarg_size 116
		.amdhsa_user_sgpr_count 13
		.amdhsa_user_sgpr_dispatch_ptr 0
		.amdhsa_user_sgpr_queue_ptr 0
		.amdhsa_user_sgpr_kernarg_segment_ptr 1
		.amdhsa_user_sgpr_dispatch_id 0
		.amdhsa_user_sgpr_private_segment_size 0
		.amdhsa_wavefront_size32 1
		.amdhsa_uses_dynamic_stack 0
		.amdhsa_enable_private_segment 0
		.amdhsa_system_sgpr_workgroup_id_x 1
		.amdhsa_system_sgpr_workgroup_id_y 1
		.amdhsa_system_sgpr_workgroup_id_z 1
		.amdhsa_system_sgpr_workgroup_info 0
		.amdhsa_system_vgpr_workitem_id 1
		.amdhsa_next_free_vgpr 50
		.amdhsa_next_free_sgpr 22
		.amdhsa_reserve_vcc 1
		.amdhsa_float_round_mode_32 0
		.amdhsa_float_round_mode_16_64 0
		.amdhsa_float_denorm_mode_32 3
		.amdhsa_float_denorm_mode_16_64 3
		.amdhsa_dx10_clamp 1
		.amdhsa_ieee_mode 1
		.amdhsa_fp16_overflow 0
		.amdhsa_workgroup_processor_mode 1
		.amdhsa_memory_ordered 1
		.amdhsa_forward_progress 0
		.amdhsa_shared_vgpr_count 0
		.amdhsa_exception_fp_ieee_invalid_op 0
		.amdhsa_exception_fp_denorm_src 0
		.amdhsa_exception_fp_ieee_div_zero 0
		.amdhsa_exception_fp_ieee_overflow 0
		.amdhsa_exception_fp_ieee_underflow 0
		.amdhsa_exception_fp_ieee_inexact 0
		.amdhsa_exception_int_div_zero 0
	.end_amdhsa_kernel
	.section	.text._ZL32rocblas_syrkx_herkx_small_kernelIi19rocblas_complex_numIdELi16ELb1ELb0ELc84ELc76EKS1_S1_EviT_T0_PT6_S3_lS6_S3_lS4_PT7_S3_li,"axG",@progbits,_ZL32rocblas_syrkx_herkx_small_kernelIi19rocblas_complex_numIdELi16ELb1ELb0ELc84ELc76EKS1_S1_EviT_T0_PT6_S3_lS6_S3_lS4_PT7_S3_li,comdat
.Lfunc_end281:
	.size	_ZL32rocblas_syrkx_herkx_small_kernelIi19rocblas_complex_numIdELi16ELb1ELb0ELc84ELc76EKS1_S1_EviT_T0_PT6_S3_lS6_S3_lS4_PT7_S3_li, .Lfunc_end281-_ZL32rocblas_syrkx_herkx_small_kernelIi19rocblas_complex_numIdELi16ELb1ELb0ELc84ELc76EKS1_S1_EviT_T0_PT6_S3_lS6_S3_lS4_PT7_S3_li
                                        ; -- End function
	.section	.AMDGPU.csdata,"",@progbits
; Kernel info:
; codeLenInByte = 1964
; NumSgprs: 24
; NumVgprs: 50
; ScratchSize: 0
; MemoryBound: 0
; FloatMode: 240
; IeeeMode: 1
; LDSByteSize: 8192 bytes/workgroup (compile time only)
; SGPRBlocks: 2
; VGPRBlocks: 6
; NumSGPRsForWavesPerEU: 24
; NumVGPRsForWavesPerEU: 50
; Occupancy: 16
; WaveLimiterHint : 0
; COMPUTE_PGM_RSRC2:SCRATCH_EN: 0
; COMPUTE_PGM_RSRC2:USER_SGPR: 13
; COMPUTE_PGM_RSRC2:TRAP_HANDLER: 0
; COMPUTE_PGM_RSRC2:TGID_X_EN: 1
; COMPUTE_PGM_RSRC2:TGID_Y_EN: 1
; COMPUTE_PGM_RSRC2:TGID_Z_EN: 1
; COMPUTE_PGM_RSRC2:TIDIG_COMP_CNT: 1
	.section	.text._ZL32rocblas_syrkx_herkx_small_kernelIi19rocblas_complex_numIdELi16ELb1ELb0ELc67ELc76EKS1_S1_EviT_T0_PT6_S3_lS6_S3_lS4_PT7_S3_li,"axG",@progbits,_ZL32rocblas_syrkx_herkx_small_kernelIi19rocblas_complex_numIdELi16ELb1ELb0ELc67ELc76EKS1_S1_EviT_T0_PT6_S3_lS6_S3_lS4_PT7_S3_li,comdat
	.globl	_ZL32rocblas_syrkx_herkx_small_kernelIi19rocblas_complex_numIdELi16ELb1ELb0ELc67ELc76EKS1_S1_EviT_T0_PT6_S3_lS6_S3_lS4_PT7_S3_li ; -- Begin function _ZL32rocblas_syrkx_herkx_small_kernelIi19rocblas_complex_numIdELi16ELb1ELb0ELc67ELc76EKS1_S1_EviT_T0_PT6_S3_lS6_S3_lS4_PT7_S3_li
	.p2align	8
	.type	_ZL32rocblas_syrkx_herkx_small_kernelIi19rocblas_complex_numIdELi16ELb1ELb0ELc67ELc76EKS1_S1_EviT_T0_PT6_S3_lS6_S3_lS4_PT7_S3_li,@function
_ZL32rocblas_syrkx_herkx_small_kernelIi19rocblas_complex_numIdELi16ELb1ELb0ELc67ELc76EKS1_S1_EviT_T0_PT6_S3_lS6_S3_lS4_PT7_S3_li: ; @_ZL32rocblas_syrkx_herkx_small_kernelIi19rocblas_complex_numIdELi16ELb1ELb0ELc67ELc76EKS1_S1_EviT_T0_PT6_S3_lS6_S3_lS4_PT7_S3_li
; %bb.0:
	s_clause 0x2
	s_load_b64 s[16:17], s[0:1], 0x0
	s_load_b128 s[4:7], s[0:1], 0x8
	s_load_b64 s[18:19], s[0:1], 0x18
	v_dual_mov_b32 v12, 0 :: v_dual_and_b32 v17, 0x3ff, v0
	v_mov_b32_e32 v13, 0
	v_bfe_u32 v18, v0, 10, 10
	s_mov_b32 s12, 0
	s_delay_alu instid0(VALU_DEP_3) | instskip(NEXT) | instid1(VALU_DEP_3)
	v_lshl_add_u32 v5, s13, 4, v17
	v_dual_mov_b32 v15, v13 :: v_dual_mov_b32 v14, v12
	s_delay_alu instid0(VALU_DEP_3) | instskip(SKIP_1) | instid1(VALU_DEP_3)
	v_lshl_add_u32 v16, s14, 4, v18
	s_waitcnt lgkmcnt(0)
	v_cmp_gt_i32_e32 vcc_lo, s16, v5
	s_cmp_lt_i32 s17, 1
	s_cbranch_scc1 .LBB282_9
; %bb.1:
	s_clause 0x3
	s_load_b32 s3, s[0:1], 0x38
	s_load_b64 s[20:21], s[0:1], 0x40
	s_load_b32 s13, s[0:1], 0x20
	s_load_b128 s[8:11], s[0:1], 0x28
	v_lshlrev_b32_e32 v0, 8, v18
	v_dual_mov_b32 v8, 0 :: v_dual_lshlrev_b32 v19, 4, v17
	v_dual_mov_b32 v9, 0 :: v_dual_lshlrev_b32 v4, 4, v18
	s_delay_alu instid0(VALU_DEP_3) | instskip(NEXT) | instid1(VALU_DEP_3)
	v_add_nc_u32_e32 v20, 0x1000, v0
	v_add_nc_u32_e32 v21, v19, v0
	v_cmp_gt_i32_e64 s2, s16, v16
	s_delay_alu instid0(VALU_DEP_4) | instskip(NEXT) | instid1(VALU_DEP_4)
	v_mov_b32_e32 v15, v9
	v_dual_mov_b32 v13, v9 :: v_dual_add_nc_u32 v22, v20, v19
	v_mov_b32_e32 v12, v8
	v_mov_b32_e32 v14, v8
	s_waitcnt lgkmcnt(0)
	v_mad_i64_i32 v[0:1], null, s3, v16, 0
	v_mad_i64_i32 v[2:3], null, s13, v5, 0
	s_mul_i32 s3, s21, s15
	s_mul_hi_u32 s14, s20, s15
	s_mul_i32 s20, s20, s15
	s_add_i32 s21, s14, s3
	s_delay_alu instid0(VALU_DEP_2)
	v_lshlrev_b64 v[0:1], 4, v[0:1]
	s_mul_i32 s9, s9, s15
	s_mul_hi_u32 s13, s8, s15
	v_lshlrev_b64 v[2:3], 4, v[2:3]
	s_lshl_b64 s[20:21], s[20:21], 4
	s_mul_i32 s8, s8, s15
	s_add_i32 s9, s13, s9
	v_add_co_u32 v0, s3, v0, s20
	s_lshl_b64 s[8:9], s[8:9], 4
	v_add_co_ci_u32_e64 v1, s3, s21, v1, s3
	v_add_co_u32 v2, s3, v2, s8
	s_delay_alu instid0(VALU_DEP_1) | instskip(SKIP_1) | instid1(VALU_DEP_1)
	v_add_co_ci_u32_e64 v3, s3, s9, v3, s3
	v_add_co_u32 v0, s3, v0, v19
	v_add_co_ci_u32_e64 v1, s3, 0, v1, s3
	s_delay_alu instid0(VALU_DEP_4) | instskip(NEXT) | instid1(VALU_DEP_1)
	v_add_co_u32 v2, s3, v2, v4
	v_add_co_ci_u32_e64 v3, s3, 0, v3, s3
	s_delay_alu instid0(VALU_DEP_4) | instskip(NEXT) | instid1(VALU_DEP_1)
	;; [unrolled: 3-line block ×3, first 2 shown]
	v_add_co_u32 v0, s3, v2, s18
	v_add_co_ci_u32_e64 v1, s3, s19, v3, s3
	s_delay_alu instid0(VALU_DEP_2) | instskip(SKIP_1) | instid1(VALU_DEP_3)
	v_add_co_u32 v10, s3, v0, 8
	v_mov_b32_e32 v0, 0
	v_add_co_ci_u32_e64 v11, s3, 0, v1, s3
	s_xor_b32 s3, s2, -1
	s_branch .LBB282_3
.LBB282_2:                              ;   in Loop: Header=BB282_3 Depth=1
	s_or_b32 exec_lo, exec_lo, s2
	s_waitcnt lgkmcnt(0)
	s_barrier
	buffer_gl0_inv
	ds_load_b128 v[1:4], v19
	ds_load_b128 v[23:26], v20
	ds_load_b128 v[27:30], v20 offset:16
	ds_load_b128 v[31:34], v19 offset:256
	v_add_co_u32 v6, s2, 0x100, v6
	s_delay_alu instid0(VALU_DEP_1) | instskip(SKIP_1) | instid1(VALU_DEP_1)
	v_add_co_ci_u32_e64 v7, s2, 0, v7, s2
	v_add_co_u32 v10, s2, 0x100, v10
	v_add_co_ci_u32_e64 v11, s2, 0, v11, s2
	s_add_i32 s12, s12, 16
	s_delay_alu instid0(SALU_CYCLE_1)
	s_cmp_ge_i32 s12, s17
	s_waitcnt lgkmcnt(2)
	v_mul_f64 v[35:36], v[25:26], v[3:4]
	v_mul_f64 v[3:4], v[23:24], v[3:4]
	s_waitcnt lgkmcnt(0)
	v_mul_f64 v[41:42], v[29:30], v[33:34]
	v_mul_f64 v[43:44], v[27:28], v[33:34]
	s_delay_alu instid0(VALU_DEP_4) | instskip(NEXT) | instid1(VALU_DEP_4)
	v_fma_f64 v[45:46], v[23:24], v[1:2], -v[35:36]
	v_fma_f64 v[47:48], v[25:26], v[1:2], v[3:4]
	ds_load_b128 v[1:4], v19 offset:512
	ds_load_b128 v[23:26], v20 offset:32
	;; [unrolled: 1-line block ×4, first 2 shown]
	v_fma_f64 v[27:28], v[27:28], v[31:32], -v[41:42]
	v_fma_f64 v[29:30], v[29:30], v[31:32], v[43:44]
	s_waitcnt lgkmcnt(2)
	v_mul_f64 v[49:50], v[25:26], v[3:4]
	v_mul_f64 v[3:4], v[23:24], v[3:4]
	s_waitcnt lgkmcnt(0)
	v_mul_f64 v[31:32], v[35:36], v[39:40]
	v_mul_f64 v[39:40], v[33:34], v[39:40]
	v_add_f64 v[14:15], v[14:15], v[45:46]
	v_add_f64 v[12:13], v[12:13], v[47:48]
	v_fma_f64 v[41:42], v[23:24], v[1:2], -v[49:50]
	v_fma_f64 v[43:44], v[25:26], v[1:2], v[3:4]
	v_fma_f64 v[31:32], v[33:34], v[37:38], -v[31:32]
	v_fma_f64 v[33:34], v[35:36], v[37:38], v[39:40]
	v_add_f64 v[45:46], v[14:15], v[27:28]
	v_add_f64 v[47:48], v[12:13], v[29:30]
	ds_load_b128 v[1:4], v19 offset:1024
	ds_load_b128 v[12:15], v20 offset:64
	;; [unrolled: 1-line block ×4, first 2 shown]
	s_waitcnt lgkmcnt(2)
	v_mul_f64 v[49:50], v[14:15], v[3:4]
	v_mul_f64 v[3:4], v[12:13], v[3:4]
	s_waitcnt lgkmcnt(0)
	v_mul_f64 v[39:40], v[25:26], v[29:30]
	v_add_f64 v[35:36], v[45:46], v[41:42]
	v_add_f64 v[37:38], v[47:48], v[43:44]
	v_mul_f64 v[41:42], v[23:24], v[29:30]
	v_fma_f64 v[43:44], v[12:13], v[1:2], -v[49:50]
	v_fma_f64 v[45:46], v[14:15], v[1:2], v[3:4]
	v_fma_f64 v[23:24], v[23:24], v[27:28], -v[39:40]
	v_add_f64 v[47:48], v[35:36], v[31:32]
	v_add_f64 v[37:38], v[37:38], v[33:34]
	ds_load_b128 v[1:4], v19 offset:1536
	ds_load_b128 v[12:15], v20 offset:96
	;; [unrolled: 1-line block ×4, first 2 shown]
	v_fma_f64 v[25:26], v[25:26], v[27:28], v[41:42]
	s_waitcnt lgkmcnt(2)
	v_mul_f64 v[49:50], v[14:15], v[3:4]
	v_mul_f64 v[3:4], v[12:13], v[3:4]
	s_waitcnt lgkmcnt(0)
	v_mul_f64 v[39:40], v[31:32], v[35:36]
	v_mul_f64 v[41:42], v[29:30], v[35:36]
	v_add_f64 v[27:28], v[47:48], v[43:44]
	v_add_f64 v[37:38], v[37:38], v[45:46]
	v_fma_f64 v[43:44], v[12:13], v[1:2], -v[49:50]
	v_fma_f64 v[45:46], v[14:15], v[1:2], v[3:4]
	v_fma_f64 v[29:30], v[29:30], v[33:34], -v[39:40]
	v_fma_f64 v[31:32], v[31:32], v[33:34], v[41:42]
	v_add_f64 v[27:28], v[27:28], v[23:24]
	v_add_f64 v[47:48], v[37:38], v[25:26]
	ds_load_b128 v[1:4], v19 offset:2048
	ds_load_b128 v[12:15], v20 offset:128
	;; [unrolled: 1-line block ×4, first 2 shown]
	s_waitcnt lgkmcnt(2)
	v_mul_f64 v[49:50], v[14:15], v[3:4]
	v_mul_f64 v[3:4], v[12:13], v[3:4]
	s_waitcnt lgkmcnt(0)
	v_mul_f64 v[39:40], v[25:26], v[37:38]
	v_mul_f64 v[37:38], v[23:24], v[37:38]
	v_add_f64 v[27:28], v[27:28], v[43:44]
	v_add_f64 v[33:34], v[47:48], v[45:46]
	v_fma_f64 v[41:42], v[12:13], v[1:2], -v[49:50]
	v_fma_f64 v[43:44], v[14:15], v[1:2], v[3:4]
	v_fma_f64 v[23:24], v[23:24], v[35:36], -v[39:40]
	v_fma_f64 v[25:26], v[25:26], v[35:36], v[37:38]
	v_add_f64 v[45:46], v[27:28], v[29:30]
	v_add_f64 v[47:48], v[33:34], v[31:32]
	ds_load_b128 v[1:4], v19 offset:2560
	ds_load_b128 v[12:15], v20 offset:160
	ds_load_b128 v[27:30], v20 offset:176
	ds_load_b128 v[31:34], v19 offset:2816
	s_waitcnt lgkmcnt(2)
	v_mul_f64 v[49:50], v[14:15], v[3:4]
	v_mul_f64 v[3:4], v[12:13], v[3:4]
	s_waitcnt lgkmcnt(0)
	v_mul_f64 v[39:40], v[29:30], v[33:34]
	v_add_f64 v[35:36], v[45:46], v[41:42]
	v_add_f64 v[37:38], v[47:48], v[43:44]
	v_mul_f64 v[41:42], v[27:28], v[33:34]
	v_fma_f64 v[43:44], v[12:13], v[1:2], -v[49:50]
	v_fma_f64 v[45:46], v[14:15], v[1:2], v[3:4]
	v_fma_f64 v[27:28], v[27:28], v[31:32], -v[39:40]
	v_add_f64 v[47:48], v[35:36], v[23:24]
	v_add_f64 v[37:38], v[37:38], v[25:26]
	ds_load_b128 v[1:4], v19 offset:3072
	ds_load_b128 v[12:15], v20 offset:192
	;; [unrolled: 1-line block ×4, first 2 shown]
	v_fma_f64 v[29:30], v[29:30], v[31:32], v[41:42]
	s_waitcnt lgkmcnt(2)
	v_mul_f64 v[49:50], v[14:15], v[3:4]
	v_mul_f64 v[3:4], v[12:13], v[3:4]
	s_waitcnt lgkmcnt(0)
	v_mul_f64 v[39:40], v[25:26], v[35:36]
	v_mul_f64 v[41:42], v[23:24], v[35:36]
	v_add_f64 v[31:32], v[47:48], v[43:44]
	v_add_f64 v[37:38], v[37:38], v[45:46]
	v_fma_f64 v[43:44], v[12:13], v[1:2], -v[49:50]
	v_fma_f64 v[45:46], v[14:15], v[1:2], v[3:4]
	v_fma_f64 v[23:24], v[23:24], v[33:34], -v[39:40]
	v_fma_f64 v[25:26], v[25:26], v[33:34], v[41:42]
	v_add_f64 v[31:32], v[31:32], v[27:28]
	v_add_f64 v[47:48], v[37:38], v[29:30]
	ds_load_b128 v[1:4], v19 offset:3584
	ds_load_b128 v[12:15], v20 offset:224
	;; [unrolled: 1-line block ×4, first 2 shown]
	s_waitcnt lgkmcnt(0)
	s_barrier
	buffer_gl0_inv
	v_mul_f64 v[49:50], v[14:15], v[3:4]
	v_mul_f64 v[3:4], v[12:13], v[3:4]
	;; [unrolled: 1-line block ×4, first 2 shown]
	v_add_f64 v[31:32], v[31:32], v[43:44]
	v_add_f64 v[33:34], v[47:48], v[45:46]
	v_fma_f64 v[12:13], v[12:13], v[1:2], -v[49:50]
	v_fma_f64 v[1:2], v[14:15], v[1:2], v[3:4]
	s_delay_alu instid0(VALU_DEP_4) | instskip(NEXT) | instid1(VALU_DEP_4)
	v_add_f64 v[3:4], v[31:32], v[23:24]
	v_add_f64 v[14:15], v[33:34], v[25:26]
	v_fma_f64 v[23:24], v[27:28], v[35:36], -v[39:40]
	v_fma_f64 v[25:26], v[29:30], v[35:36], v[37:38]
	s_delay_alu instid0(VALU_DEP_4) | instskip(NEXT) | instid1(VALU_DEP_4)
	v_add_f64 v[3:4], v[3:4], v[12:13]
	v_add_f64 v[1:2], v[14:15], v[1:2]
	s_delay_alu instid0(VALU_DEP_2) | instskip(NEXT) | instid1(VALU_DEP_2)
	v_add_f64 v[14:15], v[3:4], v[23:24]
	v_add_f64 v[12:13], v[1:2], v[25:26]
	s_cbranch_scc1 .LBB282_9
.LBB282_3:                              ; =>This Inner Loop Header: Depth=1
	v_add_nc_u32_e32 v1, s12, v18
	v_dual_mov_b32 v3, v8 :: v_dual_mov_b32 v4, v9
	s_delay_alu instid0(VALU_DEP_2) | instskip(SKIP_1) | instid1(VALU_DEP_2)
	v_cmp_gt_i32_e64 s2, s17, v1
	v_dual_mov_b32 v1, v8 :: v_dual_mov_b32 v2, v9
	s_and_b32 s8, vcc_lo, s2
	s_delay_alu instid0(SALU_CYCLE_1)
	s_and_saveexec_b32 s2, s8
	s_cbranch_execz .LBB282_5
; %bb.4:                                ;   in Loop: Header=BB282_3 Depth=1
	global_load_b128 v[1:4], v[10:11], off offset:-8
.LBB282_5:                              ;   in Loop: Header=BB282_3 Depth=1
	s_or_b32 exec_lo, exec_lo, s2
	v_add_nc_u32_e32 v23, s12, v17
	s_waitcnt vmcnt(0)
	ds_store_b128 v21, v[1:4]
	v_cmp_le_i32_e64 s2, s17, v23
	s_delay_alu instid0(VALU_DEP_1) | instskip(NEXT) | instid1(SALU_CYCLE_1)
	s_or_b32 s2, s3, s2
	s_and_saveexec_b32 s8, s2
	s_delay_alu instid0(SALU_CYCLE_1)
	s_xor_b32 s2, exec_lo, s8
	s_cbranch_execz .LBB282_7
; %bb.6:                                ;   in Loop: Header=BB282_3 Depth=1
	v_mov_b32_e32 v1, v0
	v_mov_b32_e32 v2, v0
	;; [unrolled: 1-line block ×3, first 2 shown]
	ds_store_b128 v22, v[0:3]
.LBB282_7:                              ;   in Loop: Header=BB282_3 Depth=1
	s_and_not1_saveexec_b32 s2, s2
	s_cbranch_execz .LBB282_2
; %bb.8:                                ;   in Loop: Header=BB282_3 Depth=1
	global_load_b128 v[1:4], v[6:7], off
	s_waitcnt vmcnt(0)
	ds_store_2addr_b64 v22, v[1:2], v[3:4] offset1:1
	s_branch .LBB282_2
.LBB282_9:
	v_cmp_le_i32_e32 vcc_lo, v16, v5
	v_cmp_gt_i32_e64 s2, s16, v5
	s_delay_alu instid0(VALU_DEP_1) | instskip(NEXT) | instid1(SALU_CYCLE_1)
	s_and_b32 s2, vcc_lo, s2
	s_and_saveexec_b32 s3, s2
	s_cbranch_execz .LBB282_11
; %bb.10:
	s_delay_alu instid0(VALU_DEP_3)
	v_mul_f64 v[0:1], s[6:7], v[12:13]
	v_mul_f64 v[2:3], s[4:5], v[12:13]
	s_clause 0x2
	s_load_b64 s[2:3], s[0:1], 0x68
	s_load_b32 s8, s[0:1], 0x60
	s_load_b64 s[0:1], s[0:1], 0x58
	v_ashrrev_i32_e32 v6, 31, v5
	s_delay_alu instid0(VALU_DEP_1) | instskip(SKIP_3) | instid1(VALU_DEP_1)
	v_lshlrev_b64 v[4:5], 4, v[5:6]
	s_waitcnt lgkmcnt(0)
	s_mul_i32 s3, s15, s3
	v_mad_i64_i32 v[7:8], null, s8, v16, 0
	v_lshlrev_b64 v[7:8], 4, v[7:8]
	v_fma_f64 v[0:1], s[4:5], v[14:15], -v[0:1]
	v_fma_f64 v[2:3], s[6:7], v[14:15], v[2:3]
	s_mul_hi_u32 s4, s15, s2
	s_mul_i32 s2, s15, s2
	s_add_i32 s3, s4, s3
	s_delay_alu instid0(SALU_CYCLE_1) | instskip(NEXT) | instid1(SALU_CYCLE_1)
	s_lshl_b64 s[2:3], s[2:3], 4
	s_add_u32 s0, s0, s2
	s_addc_u32 s1, s1, s3
	v_add_co_u32 v6, vcc_lo, s0, v7
	v_add_co_ci_u32_e32 v7, vcc_lo, s1, v8, vcc_lo
	s_delay_alu instid0(VALU_DEP_2) | instskip(NEXT) | instid1(VALU_DEP_2)
	v_add_co_u32 v4, vcc_lo, v6, v4
	v_add_co_ci_u32_e32 v5, vcc_lo, v7, v5, vcc_lo
	global_store_b128 v[4:5], v[0:3], off
.LBB282_11:
	s_nop 0
	s_sendmsg sendmsg(MSG_DEALLOC_VGPRS)
	s_endpgm
	.section	.rodata,"a",@progbits
	.p2align	6, 0x0
	.amdhsa_kernel _ZL32rocblas_syrkx_herkx_small_kernelIi19rocblas_complex_numIdELi16ELb1ELb0ELc67ELc76EKS1_S1_EviT_T0_PT6_S3_lS6_S3_lS4_PT7_S3_li
		.amdhsa_group_segment_fixed_size 8192
		.amdhsa_private_segment_fixed_size 0
		.amdhsa_kernarg_size 116
		.amdhsa_user_sgpr_count 13
		.amdhsa_user_sgpr_dispatch_ptr 0
		.amdhsa_user_sgpr_queue_ptr 0
		.amdhsa_user_sgpr_kernarg_segment_ptr 1
		.amdhsa_user_sgpr_dispatch_id 0
		.amdhsa_user_sgpr_private_segment_size 0
		.amdhsa_wavefront_size32 1
		.amdhsa_uses_dynamic_stack 0
		.amdhsa_enable_private_segment 0
		.amdhsa_system_sgpr_workgroup_id_x 1
		.amdhsa_system_sgpr_workgroup_id_y 1
		.amdhsa_system_sgpr_workgroup_id_z 1
		.amdhsa_system_sgpr_workgroup_info 0
		.amdhsa_system_vgpr_workitem_id 1
		.amdhsa_next_free_vgpr 51
		.amdhsa_next_free_sgpr 22
		.amdhsa_reserve_vcc 1
		.amdhsa_float_round_mode_32 0
		.amdhsa_float_round_mode_16_64 0
		.amdhsa_float_denorm_mode_32 3
		.amdhsa_float_denorm_mode_16_64 3
		.amdhsa_dx10_clamp 1
		.amdhsa_ieee_mode 1
		.amdhsa_fp16_overflow 0
		.amdhsa_workgroup_processor_mode 1
		.amdhsa_memory_ordered 1
		.amdhsa_forward_progress 0
		.amdhsa_shared_vgpr_count 0
		.amdhsa_exception_fp_ieee_invalid_op 0
		.amdhsa_exception_fp_denorm_src 0
		.amdhsa_exception_fp_ieee_div_zero 0
		.amdhsa_exception_fp_ieee_overflow 0
		.amdhsa_exception_fp_ieee_underflow 0
		.amdhsa_exception_fp_ieee_inexact 0
		.amdhsa_exception_int_div_zero 0
	.end_amdhsa_kernel
	.section	.text._ZL32rocblas_syrkx_herkx_small_kernelIi19rocblas_complex_numIdELi16ELb1ELb0ELc67ELc76EKS1_S1_EviT_T0_PT6_S3_lS6_S3_lS4_PT7_S3_li,"axG",@progbits,_ZL32rocblas_syrkx_herkx_small_kernelIi19rocblas_complex_numIdELi16ELb1ELb0ELc67ELc76EKS1_S1_EviT_T0_PT6_S3_lS6_S3_lS4_PT7_S3_li,comdat
.Lfunc_end282:
	.size	_ZL32rocblas_syrkx_herkx_small_kernelIi19rocblas_complex_numIdELi16ELb1ELb0ELc67ELc76EKS1_S1_EviT_T0_PT6_S3_lS6_S3_lS4_PT7_S3_li, .Lfunc_end282-_ZL32rocblas_syrkx_herkx_small_kernelIi19rocblas_complex_numIdELi16ELb1ELb0ELc67ELc76EKS1_S1_EviT_T0_PT6_S3_lS6_S3_lS4_PT7_S3_li
                                        ; -- End function
	.section	.AMDGPU.csdata,"",@progbits
; Kernel info:
; codeLenInByte = 1992
; NumSgprs: 24
; NumVgprs: 51
; ScratchSize: 0
; MemoryBound: 1
; FloatMode: 240
; IeeeMode: 1
; LDSByteSize: 8192 bytes/workgroup (compile time only)
; SGPRBlocks: 2
; VGPRBlocks: 6
; NumSGPRsForWavesPerEU: 24
; NumVGPRsForWavesPerEU: 51
; Occupancy: 16
; WaveLimiterHint : 0
; COMPUTE_PGM_RSRC2:SCRATCH_EN: 0
; COMPUTE_PGM_RSRC2:USER_SGPR: 13
; COMPUTE_PGM_RSRC2:TRAP_HANDLER: 0
; COMPUTE_PGM_RSRC2:TGID_X_EN: 1
; COMPUTE_PGM_RSRC2:TGID_Y_EN: 1
; COMPUTE_PGM_RSRC2:TGID_Z_EN: 1
; COMPUTE_PGM_RSRC2:TIDIG_COMP_CNT: 1
	.section	.text._ZL32rocblas_syrkx_herkx_small_kernelIi19rocblas_complex_numIdELi16ELb1ELb0ELc78ELc76EKS1_S1_EviT_T0_PT6_S3_lS6_S3_lS4_PT7_S3_li,"axG",@progbits,_ZL32rocblas_syrkx_herkx_small_kernelIi19rocblas_complex_numIdELi16ELb1ELb0ELc78ELc76EKS1_S1_EviT_T0_PT6_S3_lS6_S3_lS4_PT7_S3_li,comdat
	.globl	_ZL32rocblas_syrkx_herkx_small_kernelIi19rocblas_complex_numIdELi16ELb1ELb0ELc78ELc76EKS1_S1_EviT_T0_PT6_S3_lS6_S3_lS4_PT7_S3_li ; -- Begin function _ZL32rocblas_syrkx_herkx_small_kernelIi19rocblas_complex_numIdELi16ELb1ELb0ELc78ELc76EKS1_S1_EviT_T0_PT6_S3_lS6_S3_lS4_PT7_S3_li
	.p2align	8
	.type	_ZL32rocblas_syrkx_herkx_small_kernelIi19rocblas_complex_numIdELi16ELb1ELb0ELc78ELc76EKS1_S1_EviT_T0_PT6_S3_lS6_S3_lS4_PT7_S3_li,@function
_ZL32rocblas_syrkx_herkx_small_kernelIi19rocblas_complex_numIdELi16ELb1ELb0ELc78ELc76EKS1_S1_EviT_T0_PT6_S3_lS6_S3_lS4_PT7_S3_li: ; @_ZL32rocblas_syrkx_herkx_small_kernelIi19rocblas_complex_numIdELi16ELb1ELb0ELc78ELc76EKS1_S1_EviT_T0_PT6_S3_lS6_S3_lS4_PT7_S3_li
; %bb.0:
	s_clause 0x2
	s_load_b64 s[16:17], s[0:1], 0x0
	s_load_b128 s[4:7], s[0:1], 0x8
	s_load_b64 s[18:19], s[0:1], 0x18
	v_and_b32_e32 v16, 0x3ff, v0
	v_mov_b32_e32 v12, 0
	v_mov_b32_e32 v13, 0
	v_bfe_u32 v17, v0, 10, 10
	s_delay_alu instid0(VALU_DEP_4) | instskip(NEXT) | instid1(VALU_DEP_3)
	v_lshl_add_u32 v5, s13, 4, v16
	v_dual_mov_b32 v15, v13 :: v_dual_mov_b32 v14, v12
	s_delay_alu instid0(VALU_DEP_3) | instskip(NEXT) | instid1(VALU_DEP_3)
	v_lshl_add_u32 v7, s14, 4, v17
	v_ashrrev_i32_e32 v6, 31, v5
	s_mov_b32 s14, 0
	s_waitcnt lgkmcnt(0)
	v_cmp_gt_i32_e64 s2, s16, v5
	s_cmp_lt_i32 s17, 1
	s_cbranch_scc1 .LBB283_9
; %bb.1:
	s_clause 0x3
	s_load_b32 s12, s[0:1], 0x20
	s_load_b32 s20, s[0:1], 0x38
	s_load_b64 s[22:23], s[0:1], 0x40
	s_load_b128 s[8:11], s[0:1], 0x28
	v_mov_b32_e32 v12, 0
	v_dual_mov_b32 v13, 0 :: v_dual_lshlrev_b32 v2, 8, v17
	v_lshlrev_b32_e32 v18, 4, v16
	v_ashrrev_i32_e32 v8, 31, v7
	v_lshlrev_b64 v[0:1], 4, v[5:6]
	s_delay_alu instid0(VALU_DEP_4) | instskip(NEXT) | instid1(VALU_DEP_4)
	v_add_nc_u32_e32 v19, 0x1000, v2
	v_dual_mov_b32 v15, v13 :: v_dual_add_nc_u32 v20, v18, v2
	s_delay_alu instid0(VALU_DEP_4)
	v_lshlrev_b64 v[2:3], 4, v[7:8]
	v_cmp_gt_i32_e32 vcc_lo, s16, v7
	v_mov_b32_e32 v14, v12
	s_waitcnt lgkmcnt(0)
	v_mad_i64_i32 v[10:11], null, s12, v17, 0
	v_mad_i64_i32 v[8:9], null, s20, v16, 0
	s_mul_i32 s3, s23, s15
	s_mul_hi_u32 s23, s22, s15
	s_mul_i32 s22, s22, s15
	s_add_i32 s23, s23, s3
	s_mul_i32 s9, s9, s15
	s_lshl_b64 s[22:23], s[22:23], 4
	s_delay_alu instid0(VALU_DEP_1)
	v_lshlrev_b64 v[8:9], 4, v[8:9]
	s_mul_hi_u32 s24, s8, s15
	s_mul_i32 s8, s8, s15
	s_add_i32 s9, s24, s9
	s_ashr_i32 s13, s12, 31
	s_lshl_b64 s[8:9], s[8:9], 4
	v_add_co_u32 v4, s3, s22, v8
	s_delay_alu instid0(VALU_DEP_1) | instskip(SKIP_1) | instid1(VALU_DEP_2)
	v_add_co_ci_u32_e64 v8, s3, s23, v9, s3
	s_ashr_i32 s21, s20, 31
	v_add_co_u32 v4, s3, v4, v2
	s_delay_alu instid0(VALU_DEP_1) | instskip(SKIP_1) | instid1(VALU_DEP_3)
	v_add_co_ci_u32_e64 v8, s3, v8, v3, s3
	v_lshlrev_b64 v[2:3], 4, v[10:11]
	v_add_co_u32 v4, s3, v4, s10
	s_delay_alu instid0(VALU_DEP_1) | instskip(SKIP_1) | instid1(VALU_DEP_3)
	v_add_co_ci_u32_e64 v9, s3, s11, v8, s3
	s_lshl_b64 s[10:11], s[12:13], 8
	v_add_co_u32 v2, s3, s8, v2
	s_delay_alu instid0(VALU_DEP_1) | instskip(SKIP_1) | instid1(VALU_DEP_1)
	v_add_co_ci_u32_e64 v3, s3, s9, v3, s3
	v_add_co_u32 v8, s3, v4, 8
	v_add_co_ci_u32_e64 v9, s3, 0, v9, s3
	s_delay_alu instid0(VALU_DEP_4) | instskip(NEXT) | instid1(VALU_DEP_1)
	v_add_co_u32 v0, s3, v2, v0
	v_add_co_ci_u32_e64 v1, s3, v3, v1, s3
	s_lshl_b64 s[8:9], s[20:21], 8
	s_delay_alu instid0(VALU_DEP_2) | instskip(SKIP_1) | instid1(VALU_DEP_3)
	v_add_co_u32 v10, s3, s18, v0
	v_dual_mov_b32 v0, 0 :: v_dual_add_nc_u32 v21, v19, v18
	v_add_co_ci_u32_e64 v11, s3, s19, v1, s3
	s_xor_b32 s3, s2, -1
	s_branch .LBB283_3
.LBB283_2:                              ;   in Loop: Header=BB283_3 Depth=1
	s_or_b32 exec_lo, exec_lo, s2
	s_waitcnt vmcnt(0)
	ds_store_b128 v21, v[1:4]
	s_waitcnt lgkmcnt(0)
	s_barrier
	buffer_gl0_inv
	ds_load_b128 v[1:4], v18
	ds_load_b128 v[22:25], v19
	ds_load_b128 v[26:29], v19 offset:16
	ds_load_b128 v[30:33], v18 offset:256
	v_add_co_u32 v8, s2, v8, s8
	s_delay_alu instid0(VALU_DEP_1) | instskip(SKIP_1) | instid1(VALU_DEP_1)
	v_add_co_ci_u32_e64 v9, s2, s9, v9, s2
	v_add_co_u32 v10, s2, v10, s10
	v_add_co_ci_u32_e64 v11, s2, s11, v11, s2
	s_add_i32 s14, s14, 16
	s_delay_alu instid0(SALU_CYCLE_1)
	s_cmp_ge_i32 s14, s17
	s_waitcnt lgkmcnt(2)
	v_mul_f64 v[34:35], v[24:25], v[3:4]
	v_mul_f64 v[3:4], v[22:23], v[3:4]
	s_waitcnt lgkmcnt(0)
	v_mul_f64 v[40:41], v[28:29], v[32:33]
	v_mul_f64 v[42:43], v[26:27], v[32:33]
	s_delay_alu instid0(VALU_DEP_4) | instskip(NEXT) | instid1(VALU_DEP_4)
	v_fma_f64 v[44:45], v[22:23], v[1:2], -v[34:35]
	v_fma_f64 v[46:47], v[24:25], v[1:2], v[3:4]
	ds_load_b128 v[1:4], v18 offset:512
	ds_load_b128 v[22:25], v19 offset:32
	;; [unrolled: 1-line block ×4, first 2 shown]
	v_fma_f64 v[26:27], v[26:27], v[30:31], -v[40:41]
	v_fma_f64 v[28:29], v[28:29], v[30:31], v[42:43]
	s_waitcnt lgkmcnt(2)
	v_mul_f64 v[48:49], v[24:25], v[3:4]
	v_mul_f64 v[3:4], v[22:23], v[3:4]
	s_waitcnt lgkmcnt(0)
	v_mul_f64 v[30:31], v[34:35], v[38:39]
	v_mul_f64 v[38:39], v[32:33], v[38:39]
	v_add_f64 v[14:15], v[14:15], v[44:45]
	v_add_f64 v[12:13], v[12:13], v[46:47]
	v_fma_f64 v[40:41], v[22:23], v[1:2], -v[48:49]
	v_fma_f64 v[42:43], v[24:25], v[1:2], v[3:4]
	v_fma_f64 v[30:31], v[32:33], v[36:37], -v[30:31]
	v_fma_f64 v[32:33], v[34:35], v[36:37], v[38:39]
	v_add_f64 v[44:45], v[14:15], v[26:27]
	v_add_f64 v[46:47], v[12:13], v[28:29]
	ds_load_b128 v[1:4], v18 offset:1024
	ds_load_b128 v[12:15], v19 offset:64
	;; [unrolled: 1-line block ×4, first 2 shown]
	s_waitcnt lgkmcnt(2)
	v_mul_f64 v[48:49], v[14:15], v[3:4]
	v_mul_f64 v[3:4], v[12:13], v[3:4]
	s_waitcnt lgkmcnt(0)
	v_mul_f64 v[38:39], v[24:25], v[28:29]
	v_add_f64 v[34:35], v[44:45], v[40:41]
	v_add_f64 v[36:37], v[46:47], v[42:43]
	v_mul_f64 v[40:41], v[22:23], v[28:29]
	v_fma_f64 v[42:43], v[12:13], v[1:2], -v[48:49]
	v_fma_f64 v[44:45], v[14:15], v[1:2], v[3:4]
	v_fma_f64 v[22:23], v[22:23], v[26:27], -v[38:39]
	v_add_f64 v[46:47], v[34:35], v[30:31]
	v_add_f64 v[36:37], v[36:37], v[32:33]
	ds_load_b128 v[1:4], v18 offset:1536
	ds_load_b128 v[12:15], v19 offset:96
	;; [unrolled: 1-line block ×4, first 2 shown]
	v_fma_f64 v[24:25], v[24:25], v[26:27], v[40:41]
	s_waitcnt lgkmcnt(2)
	v_mul_f64 v[48:49], v[14:15], v[3:4]
	v_mul_f64 v[3:4], v[12:13], v[3:4]
	s_waitcnt lgkmcnt(0)
	v_mul_f64 v[38:39], v[30:31], v[34:35]
	v_mul_f64 v[40:41], v[28:29], v[34:35]
	v_add_f64 v[26:27], v[46:47], v[42:43]
	v_add_f64 v[36:37], v[36:37], v[44:45]
	v_fma_f64 v[42:43], v[12:13], v[1:2], -v[48:49]
	v_fma_f64 v[44:45], v[14:15], v[1:2], v[3:4]
	v_fma_f64 v[28:29], v[28:29], v[32:33], -v[38:39]
	v_fma_f64 v[30:31], v[30:31], v[32:33], v[40:41]
	v_add_f64 v[26:27], v[26:27], v[22:23]
	v_add_f64 v[46:47], v[36:37], v[24:25]
	ds_load_b128 v[1:4], v18 offset:2048
	ds_load_b128 v[12:15], v19 offset:128
	;; [unrolled: 1-line block ×4, first 2 shown]
	s_waitcnt lgkmcnt(2)
	v_mul_f64 v[48:49], v[14:15], v[3:4]
	v_mul_f64 v[3:4], v[12:13], v[3:4]
	s_waitcnt lgkmcnt(0)
	v_mul_f64 v[38:39], v[24:25], v[36:37]
	v_mul_f64 v[36:37], v[22:23], v[36:37]
	v_add_f64 v[26:27], v[26:27], v[42:43]
	v_add_f64 v[32:33], v[46:47], v[44:45]
	v_fma_f64 v[40:41], v[12:13], v[1:2], -v[48:49]
	v_fma_f64 v[42:43], v[14:15], v[1:2], v[3:4]
	v_fma_f64 v[22:23], v[22:23], v[34:35], -v[38:39]
	v_fma_f64 v[24:25], v[24:25], v[34:35], v[36:37]
	v_add_f64 v[44:45], v[26:27], v[28:29]
	v_add_f64 v[46:47], v[32:33], v[30:31]
	ds_load_b128 v[1:4], v18 offset:2560
	ds_load_b128 v[12:15], v19 offset:160
	;; [unrolled: 1-line block ×4, first 2 shown]
	s_waitcnt lgkmcnt(2)
	v_mul_f64 v[48:49], v[14:15], v[3:4]
	v_mul_f64 v[3:4], v[12:13], v[3:4]
	s_waitcnt lgkmcnt(0)
	v_mul_f64 v[38:39], v[28:29], v[32:33]
	v_add_f64 v[34:35], v[44:45], v[40:41]
	v_add_f64 v[36:37], v[46:47], v[42:43]
	v_mul_f64 v[40:41], v[26:27], v[32:33]
	v_fma_f64 v[42:43], v[12:13], v[1:2], -v[48:49]
	v_fma_f64 v[44:45], v[14:15], v[1:2], v[3:4]
	v_fma_f64 v[26:27], v[26:27], v[30:31], -v[38:39]
	v_add_f64 v[46:47], v[34:35], v[22:23]
	v_add_f64 v[36:37], v[36:37], v[24:25]
	ds_load_b128 v[1:4], v18 offset:3072
	ds_load_b128 v[12:15], v19 offset:192
	;; [unrolled: 1-line block ×4, first 2 shown]
	v_fma_f64 v[28:29], v[28:29], v[30:31], v[40:41]
	s_waitcnt lgkmcnt(2)
	v_mul_f64 v[48:49], v[14:15], v[3:4]
	v_mul_f64 v[3:4], v[12:13], v[3:4]
	s_waitcnt lgkmcnt(0)
	v_mul_f64 v[38:39], v[24:25], v[34:35]
	v_mul_f64 v[40:41], v[22:23], v[34:35]
	v_add_f64 v[30:31], v[46:47], v[42:43]
	v_add_f64 v[36:37], v[36:37], v[44:45]
	v_fma_f64 v[42:43], v[12:13], v[1:2], -v[48:49]
	v_fma_f64 v[44:45], v[14:15], v[1:2], v[3:4]
	v_fma_f64 v[22:23], v[22:23], v[32:33], -v[38:39]
	v_fma_f64 v[24:25], v[24:25], v[32:33], v[40:41]
	v_add_f64 v[30:31], v[30:31], v[26:27]
	v_add_f64 v[46:47], v[36:37], v[28:29]
	ds_load_b128 v[1:4], v18 offset:3584
	ds_load_b128 v[12:15], v19 offset:224
	;; [unrolled: 1-line block ×4, first 2 shown]
	s_waitcnt lgkmcnt(0)
	s_barrier
	buffer_gl0_inv
	v_mul_f64 v[48:49], v[14:15], v[3:4]
	v_mul_f64 v[3:4], v[12:13], v[3:4]
	;; [unrolled: 1-line block ×4, first 2 shown]
	v_add_f64 v[30:31], v[30:31], v[42:43]
	v_add_f64 v[32:33], v[46:47], v[44:45]
	v_fma_f64 v[12:13], v[12:13], v[1:2], -v[48:49]
	v_fma_f64 v[1:2], v[14:15], v[1:2], v[3:4]
	s_delay_alu instid0(VALU_DEP_4) | instskip(NEXT) | instid1(VALU_DEP_4)
	v_add_f64 v[3:4], v[30:31], v[22:23]
	v_add_f64 v[14:15], v[32:33], v[24:25]
	v_fma_f64 v[22:23], v[26:27], v[34:35], -v[38:39]
	v_fma_f64 v[24:25], v[28:29], v[34:35], v[36:37]
	s_delay_alu instid0(VALU_DEP_4) | instskip(NEXT) | instid1(VALU_DEP_4)
	v_add_f64 v[3:4], v[3:4], v[12:13]
	v_add_f64 v[1:2], v[14:15], v[1:2]
	s_delay_alu instid0(VALU_DEP_2) | instskip(NEXT) | instid1(VALU_DEP_2)
	v_add_f64 v[14:15], v[3:4], v[22:23]
	v_add_f64 v[12:13], v[1:2], v[24:25]
	s_cbranch_scc1 .LBB283_9
.LBB283_3:                              ; =>This Inner Loop Header: Depth=1
	v_add_nc_u32_e32 v1, s14, v17
	s_delay_alu instid0(VALU_DEP_1) | instskip(NEXT) | instid1(VALU_DEP_1)
	v_cmp_le_i32_e64 s2, s17, v1
	s_or_b32 s2, s3, s2
	s_delay_alu instid0(SALU_CYCLE_1) | instskip(NEXT) | instid1(SALU_CYCLE_1)
	s_and_saveexec_b32 s12, s2
	s_xor_b32 s2, exec_lo, s12
	s_cbranch_execz .LBB283_5
; %bb.4:                                ;   in Loop: Header=BB283_3 Depth=1
	v_mov_b32_e32 v1, v0
	v_mov_b32_e32 v2, v0
	;; [unrolled: 1-line block ×3, first 2 shown]
	ds_store_b128 v20, v[0:3]
.LBB283_5:                              ;   in Loop: Header=BB283_3 Depth=1
	s_and_not1_saveexec_b32 s2, s2
	s_cbranch_execz .LBB283_7
; %bb.6:                                ;   in Loop: Header=BB283_3 Depth=1
	global_load_b128 v[1:4], v[10:11], off
	s_waitcnt vmcnt(0)
	ds_store_2addr_b64 v20, v[1:2], v[3:4] offset1:1
.LBB283_7:                              ;   in Loop: Header=BB283_3 Depth=1
	s_or_b32 exec_lo, exec_lo, s2
	v_add_nc_u32_e32 v3, s14, v16
	v_mov_b32_e32 v1, 0
	v_mov_b32_e32 v2, 0
	s_delay_alu instid0(VALU_DEP_3) | instskip(NEXT) | instid1(VALU_DEP_2)
	v_cmp_gt_i32_e64 s2, s17, v3
	v_dual_mov_b32 v4, v2 :: v_dual_mov_b32 v3, v1
	s_delay_alu instid0(VALU_DEP_2) | instskip(NEXT) | instid1(SALU_CYCLE_1)
	s_and_b32 s12, vcc_lo, s2
	s_and_saveexec_b32 s2, s12
	s_cbranch_execz .LBB283_2
; %bb.8:                                ;   in Loop: Header=BB283_3 Depth=1
	global_load_b128 v[1:4], v[8:9], off offset:-8
	s_branch .LBB283_2
.LBB283_9:
	v_cmp_le_i32_e32 vcc_lo, v7, v5
	v_cmp_gt_i32_e64 s2, s16, v5
	s_delay_alu instid0(VALU_DEP_1) | instskip(NEXT) | instid1(SALU_CYCLE_1)
	s_and_b32 s2, vcc_lo, s2
	s_and_saveexec_b32 s3, s2
	s_cbranch_execz .LBB283_11
; %bb.10:
	s_delay_alu instid0(VALU_DEP_3)
	v_mul_f64 v[0:1], s[6:7], v[12:13]
	v_mul_f64 v[2:3], s[4:5], v[12:13]
	s_clause 0x2
	s_load_b32 s8, s[0:1], 0x60
	s_load_b64 s[2:3], s[0:1], 0x68
	s_load_b64 s[0:1], s[0:1], 0x58
	v_lshlrev_b64 v[4:5], 4, v[5:6]
	s_waitcnt lgkmcnt(0)
	v_mad_i64_i32 v[8:9], null, s8, v7, 0
	s_mul_i32 s3, s15, s3
	s_delay_alu instid0(VALU_DEP_1)
	v_lshlrev_b64 v[7:8], 4, v[8:9]
	v_fma_f64 v[0:1], s[4:5], v[14:15], -v[0:1]
	v_fma_f64 v[2:3], s[6:7], v[14:15], v[2:3]
	s_mul_hi_u32 s4, s15, s2
	s_mul_i32 s2, s15, s2
	s_add_i32 s3, s4, s3
	s_delay_alu instid0(SALU_CYCLE_1) | instskip(NEXT) | instid1(SALU_CYCLE_1)
	s_lshl_b64 s[2:3], s[2:3], 4
	s_add_u32 s0, s0, s2
	s_addc_u32 s1, s1, s3
	v_add_co_u32 v6, vcc_lo, s0, v7
	v_add_co_ci_u32_e32 v7, vcc_lo, s1, v8, vcc_lo
	s_delay_alu instid0(VALU_DEP_2) | instskip(NEXT) | instid1(VALU_DEP_2)
	v_add_co_u32 v4, vcc_lo, v6, v4
	v_add_co_ci_u32_e32 v5, vcc_lo, v7, v5, vcc_lo
	global_store_b128 v[4:5], v[0:3], off
.LBB283_11:
	s_nop 0
	s_sendmsg sendmsg(MSG_DEALLOC_VGPRS)
	s_endpgm
	.section	.rodata,"a",@progbits
	.p2align	6, 0x0
	.amdhsa_kernel _ZL32rocblas_syrkx_herkx_small_kernelIi19rocblas_complex_numIdELi16ELb1ELb0ELc78ELc76EKS1_S1_EviT_T0_PT6_S3_lS6_S3_lS4_PT7_S3_li
		.amdhsa_group_segment_fixed_size 8192
		.amdhsa_private_segment_fixed_size 0
		.amdhsa_kernarg_size 116
		.amdhsa_user_sgpr_count 13
		.amdhsa_user_sgpr_dispatch_ptr 0
		.amdhsa_user_sgpr_queue_ptr 0
		.amdhsa_user_sgpr_kernarg_segment_ptr 1
		.amdhsa_user_sgpr_dispatch_id 0
		.amdhsa_user_sgpr_private_segment_size 0
		.amdhsa_wavefront_size32 1
		.amdhsa_uses_dynamic_stack 0
		.amdhsa_enable_private_segment 0
		.amdhsa_system_sgpr_workgroup_id_x 1
		.amdhsa_system_sgpr_workgroup_id_y 1
		.amdhsa_system_sgpr_workgroup_id_z 1
		.amdhsa_system_sgpr_workgroup_info 0
		.amdhsa_system_vgpr_workitem_id 1
		.amdhsa_next_free_vgpr 50
		.amdhsa_next_free_sgpr 25
		.amdhsa_reserve_vcc 1
		.amdhsa_float_round_mode_32 0
		.amdhsa_float_round_mode_16_64 0
		.amdhsa_float_denorm_mode_32 3
		.amdhsa_float_denorm_mode_16_64 3
		.amdhsa_dx10_clamp 1
		.amdhsa_ieee_mode 1
		.amdhsa_fp16_overflow 0
		.amdhsa_workgroup_processor_mode 1
		.amdhsa_memory_ordered 1
		.amdhsa_forward_progress 0
		.amdhsa_shared_vgpr_count 0
		.amdhsa_exception_fp_ieee_invalid_op 0
		.amdhsa_exception_fp_denorm_src 0
		.amdhsa_exception_fp_ieee_div_zero 0
		.amdhsa_exception_fp_ieee_overflow 0
		.amdhsa_exception_fp_ieee_underflow 0
		.amdhsa_exception_fp_ieee_inexact 0
		.amdhsa_exception_int_div_zero 0
	.end_amdhsa_kernel
	.section	.text._ZL32rocblas_syrkx_herkx_small_kernelIi19rocblas_complex_numIdELi16ELb1ELb0ELc78ELc76EKS1_S1_EviT_T0_PT6_S3_lS6_S3_lS4_PT7_S3_li,"axG",@progbits,_ZL32rocblas_syrkx_herkx_small_kernelIi19rocblas_complex_numIdELi16ELb1ELb0ELc78ELc76EKS1_S1_EviT_T0_PT6_S3_lS6_S3_lS4_PT7_S3_li,comdat
.Lfunc_end283:
	.size	_ZL32rocblas_syrkx_herkx_small_kernelIi19rocblas_complex_numIdELi16ELb1ELb0ELc78ELc76EKS1_S1_EviT_T0_PT6_S3_lS6_S3_lS4_PT7_S3_li, .Lfunc_end283-_ZL32rocblas_syrkx_herkx_small_kernelIi19rocblas_complex_numIdELi16ELb1ELb0ELc78ELc76EKS1_S1_EviT_T0_PT6_S3_lS6_S3_lS4_PT7_S3_li
                                        ; -- End function
	.section	.AMDGPU.csdata,"",@progbits
; Kernel info:
; codeLenInByte = 2012
; NumSgprs: 27
; NumVgprs: 50
; ScratchSize: 0
; MemoryBound: 1
; FloatMode: 240
; IeeeMode: 1
; LDSByteSize: 8192 bytes/workgroup (compile time only)
; SGPRBlocks: 3
; VGPRBlocks: 6
; NumSGPRsForWavesPerEU: 27
; NumVGPRsForWavesPerEU: 50
; Occupancy: 16
; WaveLimiterHint : 0
; COMPUTE_PGM_RSRC2:SCRATCH_EN: 0
; COMPUTE_PGM_RSRC2:USER_SGPR: 13
; COMPUTE_PGM_RSRC2:TRAP_HANDLER: 0
; COMPUTE_PGM_RSRC2:TGID_X_EN: 1
; COMPUTE_PGM_RSRC2:TGID_Y_EN: 1
; COMPUTE_PGM_RSRC2:TGID_Z_EN: 1
; COMPUTE_PGM_RSRC2:TIDIG_COMP_CNT: 1
	.section	.text._ZL32rocblas_syrkx_herkx_small_kernelIi19rocblas_complex_numIdELi16ELb1ELb0ELc84ELc85EKS1_S1_EviT_T0_PT6_S3_lS6_S3_lS4_PT7_S3_li,"axG",@progbits,_ZL32rocblas_syrkx_herkx_small_kernelIi19rocblas_complex_numIdELi16ELb1ELb0ELc84ELc85EKS1_S1_EviT_T0_PT6_S3_lS6_S3_lS4_PT7_S3_li,comdat
	.globl	_ZL32rocblas_syrkx_herkx_small_kernelIi19rocblas_complex_numIdELi16ELb1ELb0ELc84ELc85EKS1_S1_EviT_T0_PT6_S3_lS6_S3_lS4_PT7_S3_li ; -- Begin function _ZL32rocblas_syrkx_herkx_small_kernelIi19rocblas_complex_numIdELi16ELb1ELb0ELc84ELc85EKS1_S1_EviT_T0_PT6_S3_lS6_S3_lS4_PT7_S3_li
	.p2align	8
	.type	_ZL32rocblas_syrkx_herkx_small_kernelIi19rocblas_complex_numIdELi16ELb1ELb0ELc84ELc85EKS1_S1_EviT_T0_PT6_S3_lS6_S3_lS4_PT7_S3_li,@function
_ZL32rocblas_syrkx_herkx_small_kernelIi19rocblas_complex_numIdELi16ELb1ELb0ELc84ELc85EKS1_S1_EviT_T0_PT6_S3_lS6_S3_lS4_PT7_S3_li: ; @_ZL32rocblas_syrkx_herkx_small_kernelIi19rocblas_complex_numIdELi16ELb1ELb0ELc84ELc85EKS1_S1_EviT_T0_PT6_S3_lS6_S3_lS4_PT7_S3_li
; %bb.0:
	s_clause 0x2
	s_load_b64 s[16:17], s[0:1], 0x0
	s_load_b128 s[4:7], s[0:1], 0x8
	s_load_b64 s[18:19], s[0:1], 0x18
	v_bfe_u32 v14, v0, 10, 10
	v_mov_b32_e32 v9, 0
	v_dual_mov_b32 v10, 0 :: v_dual_and_b32 v15, 0x3ff, v0
	s_mov_b32 s12, 0
	s_delay_alu instid0(VALU_DEP_3) | instskip(NEXT) | instid1(VALU_DEP_2)
	v_lshl_add_u32 v13, s14, 4, v14
	v_dual_mov_b32 v12, v10 :: v_dual_mov_b32 v11, v9
	s_delay_alu instid0(VALU_DEP_3) | instskip(SKIP_1) | instid1(VALU_DEP_3)
	v_lshl_add_u32 v4, s13, 4, v15
	s_waitcnt lgkmcnt(0)
	v_cmp_gt_i32_e32 vcc_lo, s16, v13
	s_cmp_lt_i32 s17, 1
	s_cbranch_scc1 .LBB284_11
; %bb.1:
	s_clause 0x3
	s_load_b32 s3, s[0:1], 0x38
	s_load_b64 s[20:21], s[0:1], 0x40
	s_load_b32 s13, s[0:1], 0x20
	s_load_b128 s[8:11], s[0:1], 0x28
	v_dual_mov_b32 v9, 0 :: v_dual_lshlrev_b32 v0, 8, v14
	v_lshlrev_b32_e32 v7, 4, v14
	v_cmp_gt_i32_e64 s2, s16, v4
	s_delay_alu instid0(VALU_DEP_3) | instskip(SKIP_1) | instid1(VALU_DEP_3)
	v_dual_mov_b32 v10, 0 :: v_dual_add_nc_u32 v17, 0x1000, v0
	v_lshlrev_b32_e32 v16, 4, v15
	s_xor_b32 s2, s2, -1
	s_delay_alu instid0(VALU_DEP_2) | instskip(NEXT) | instid1(VALU_DEP_2)
	v_dual_mov_b32 v12, v10 :: v_dual_mov_b32 v11, v9
	v_add_nc_u32_e32 v18, v16, v0
	v_add_nc_u32_e32 v19, v17, v16
	s_waitcnt lgkmcnt(0)
	v_mad_i64_i32 v[0:1], null, s3, v13, 0
	s_mul_i32 s3, s21, s15
	s_mul_hi_u32 s14, s20, s15
	v_mad_i64_i32 v[2:3], null, s13, v4, 0
	s_mul_i32 s20, s20, s15
	s_add_i32 s21, s14, s3
	s_delay_alu instid0(VALU_DEP_2)
	v_lshlrev_b64 v[0:1], 4, v[0:1]
	s_lshl_b64 s[20:21], s[20:21], 4
	s_mul_i32 s9, s9, s15
	s_mul_hi_u32 s13, s8, s15
	s_mul_i32 s8, s8, s15
	s_add_i32 s9, s13, s9
	v_add_co_u32 v5, s3, v0, s20
	s_delay_alu instid0(VALU_DEP_1) | instskip(SKIP_1) | instid1(VALU_DEP_3)
	v_add_co_ci_u32_e64 v6, s3, s21, v1, s3
	v_lshlrev_b64 v[0:1], 4, v[2:3]
	v_add_co_u32 v2, s3, v5, v16
	s_lshl_b64 s[8:9], s[8:9], 4
	s_delay_alu instid0(VALU_DEP_3) | instskip(NEXT) | instid1(VALU_DEP_3)
	v_add_co_ci_u32_e64 v3, s3, 0, v6, s3
	v_add_co_u32 v0, s3, v0, s8
	s_delay_alu instid0(VALU_DEP_1) | instskip(SKIP_1) | instid1(VALU_DEP_1)
	v_add_co_ci_u32_e64 v1, s3, s9, v1, s3
	v_add_co_u32 v5, s3, s10, v2
	v_add_co_ci_u32_e64 v6, s3, s11, v3, s3
	s_delay_alu instid0(VALU_DEP_4) | instskip(NEXT) | instid1(VALU_DEP_1)
	v_add_co_u32 v0, s3, v0, v7
	v_add_co_ci_u32_e64 v1, s3, 0, v1, s3
	s_delay_alu instid0(VALU_DEP_2) | instskip(NEXT) | instid1(VALU_DEP_1)
	v_add_co_u32 v7, s3, s18, v0
	v_add_co_ci_u32_e64 v8, s3, s19, v1, s3
	v_mov_b32_e32 v0, 0
	s_xor_b32 s3, vcc_lo, -1
	s_branch .LBB284_3
.LBB284_2:                              ;   in Loop: Header=BB284_3 Depth=1
	s_or_b32 exec_lo, exec_lo, s8
	s_waitcnt lgkmcnt(0)
	s_barrier
	buffer_gl0_inv
	ds_load_b128 v[20:23], v16
	ds_load_b128 v[24:27], v17
	ds_load_b128 v[28:31], v17 offset:16
	ds_load_b128 v[32:35], v16 offset:256
	v_add_co_u32 v5, vcc_lo, 0x100, v5
	v_add_co_ci_u32_e32 v6, vcc_lo, 0, v6, vcc_lo
	v_add_co_u32 v7, vcc_lo, 0x100, v7
	v_add_co_ci_u32_e32 v8, vcc_lo, 0, v8, vcc_lo
	s_add_i32 s12, s12, 16
	s_delay_alu instid0(SALU_CYCLE_1)
	s_cmp_ge_i32 s12, s17
	s_waitcnt lgkmcnt(2)
	v_mul_f64 v[1:2], v[26:27], v[22:23]
	v_mul_f64 v[22:23], v[24:25], v[22:23]
	s_waitcnt lgkmcnt(0)
	v_mul_f64 v[42:43], v[30:31], v[34:35]
	v_mul_f64 v[44:45], v[28:29], v[34:35]
	s_delay_alu instid0(VALU_DEP_4) | instskip(NEXT) | instid1(VALU_DEP_4)
	v_fma_f64 v[1:2], v[24:25], v[20:21], -v[1:2]
	v_fma_f64 v[46:47], v[26:27], v[20:21], v[22:23]
	ds_load_b128 v[20:23], v16 offset:512
	ds_load_b128 v[24:27], v17 offset:32
	;; [unrolled: 1-line block ×4, first 2 shown]
	v_fma_f64 v[28:29], v[28:29], v[32:33], -v[42:43]
	v_fma_f64 v[30:31], v[30:31], v[32:33], v[44:45]
	s_waitcnt lgkmcnt(2)
	v_mul_f64 v[48:49], v[26:27], v[22:23]
	v_mul_f64 v[22:23], v[24:25], v[22:23]
	s_waitcnt lgkmcnt(0)
	v_mul_f64 v[32:33], v[36:37], v[40:41]
	v_mul_f64 v[40:41], v[34:35], v[40:41]
	v_add_f64 v[1:2], v[11:12], v[1:2]
	v_add_f64 v[9:10], v[9:10], v[46:47]
	v_fma_f64 v[42:43], v[24:25], v[20:21], -v[48:49]
	v_fma_f64 v[44:45], v[26:27], v[20:21], v[22:23]
	v_fma_f64 v[32:33], v[34:35], v[38:39], -v[32:33]
	v_fma_f64 v[34:35], v[36:37], v[38:39], v[40:41]
	v_add_f64 v[1:2], v[1:2], v[28:29]
	v_add_f64 v[46:47], v[9:10], v[30:31]
	ds_load_b128 v[9:12], v16 offset:1024
	ds_load_b128 v[20:23], v17 offset:64
	;; [unrolled: 1-line block ×4, first 2 shown]
	s_waitcnt lgkmcnt(2)
	v_mul_f64 v[48:49], v[22:23], v[11:12]
	v_mul_f64 v[11:12], v[20:21], v[11:12]
	s_waitcnt lgkmcnt(0)
	v_mul_f64 v[38:39], v[26:27], v[30:31]
	v_mul_f64 v[40:41], v[24:25], v[30:31]
	v_add_f64 v[1:2], v[1:2], v[42:43]
	v_add_f64 v[36:37], v[46:47], v[44:45]
	v_fma_f64 v[42:43], v[20:21], v[9:10], -v[48:49]
	v_fma_f64 v[44:45], v[22:23], v[9:10], v[11:12]
	v_fma_f64 v[24:25], v[24:25], v[28:29], -v[38:39]
	v_fma_f64 v[26:27], v[26:27], v[28:29], v[40:41]
	v_add_f64 v[1:2], v[1:2], v[32:33]
	v_add_f64 v[46:47], v[36:37], v[34:35]
	ds_load_b128 v[9:12], v16 offset:1536
	ds_load_b128 v[20:23], v17 offset:96
	;; [unrolled: 1-line block ×4, first 2 shown]
	s_waitcnt lgkmcnt(2)
	v_mul_f64 v[48:49], v[22:23], v[11:12]
	v_mul_f64 v[11:12], v[20:21], v[11:12]
	s_waitcnt lgkmcnt(0)
	v_mul_f64 v[40:41], v[32:33], v[36:37]
	v_add_f64 v[1:2], v[1:2], v[42:43]
	v_add_f64 v[28:29], v[46:47], v[44:45]
	v_mul_f64 v[42:43], v[30:31], v[36:37]
	v_fma_f64 v[44:45], v[20:21], v[9:10], -v[48:49]
	v_fma_f64 v[46:47], v[22:23], v[9:10], v[11:12]
	v_fma_f64 v[30:31], v[30:31], v[34:35], -v[40:41]
	v_add_f64 v[1:2], v[1:2], v[24:25]
	v_add_f64 v[28:29], v[28:29], v[26:27]
	ds_load_b128 v[9:12], v16 offset:2048
	ds_load_b128 v[20:23], v17 offset:128
	;; [unrolled: 1-line block ×4, first 2 shown]
	v_fma_f64 v[32:33], v[32:33], v[34:35], v[42:43]
	s_waitcnt lgkmcnt(2)
	v_mul_f64 v[48:49], v[22:23], v[11:12]
	v_mul_f64 v[11:12], v[20:21], v[11:12]
	s_waitcnt lgkmcnt(0)
	v_mul_f64 v[40:41], v[26:27], v[38:39]
	v_mul_f64 v[38:39], v[24:25], v[38:39]
	v_add_f64 v[1:2], v[1:2], v[44:45]
	v_add_f64 v[28:29], v[28:29], v[46:47]
	v_fma_f64 v[42:43], v[20:21], v[9:10], -v[48:49]
	v_fma_f64 v[44:45], v[22:23], v[9:10], v[11:12]
	v_fma_f64 v[24:25], v[24:25], v[36:37], -v[40:41]
	v_fma_f64 v[26:27], v[26:27], v[36:37], v[38:39]
	v_add_f64 v[1:2], v[1:2], v[30:31]
	v_add_f64 v[46:47], v[28:29], v[32:33]
	ds_load_b128 v[9:12], v16 offset:2560
	ds_load_b128 v[20:23], v17 offset:160
	;; [unrolled: 1-line block ×4, first 2 shown]
	s_waitcnt lgkmcnt(2)
	v_mul_f64 v[48:49], v[22:23], v[11:12]
	v_mul_f64 v[11:12], v[20:21], v[11:12]
	s_waitcnt lgkmcnt(0)
	v_mul_f64 v[38:39], v[30:31], v[34:35]
	v_mul_f64 v[40:41], v[28:29], v[34:35]
	v_add_f64 v[1:2], v[1:2], v[42:43]
	v_add_f64 v[36:37], v[46:47], v[44:45]
	v_fma_f64 v[42:43], v[20:21], v[9:10], -v[48:49]
	v_fma_f64 v[44:45], v[22:23], v[9:10], v[11:12]
	v_fma_f64 v[28:29], v[28:29], v[32:33], -v[38:39]
	v_fma_f64 v[30:31], v[30:31], v[32:33], v[40:41]
	v_add_f64 v[1:2], v[1:2], v[24:25]
	v_add_f64 v[46:47], v[36:37], v[26:27]
	ds_load_b128 v[9:12], v16 offset:3072
	ds_load_b128 v[20:23], v17 offset:192
	;; [unrolled: 1-line block ×4, first 2 shown]
	s_waitcnt lgkmcnt(2)
	v_mul_f64 v[48:49], v[22:23], v[11:12]
	v_mul_f64 v[11:12], v[20:21], v[11:12]
	s_waitcnt lgkmcnt(0)
	v_mul_f64 v[40:41], v[26:27], v[36:37]
	v_add_f64 v[1:2], v[1:2], v[42:43]
	v_add_f64 v[32:33], v[46:47], v[44:45]
	v_mul_f64 v[42:43], v[24:25], v[36:37]
	v_fma_f64 v[44:45], v[20:21], v[9:10], -v[48:49]
	v_fma_f64 v[46:47], v[22:23], v[9:10], v[11:12]
	v_fma_f64 v[24:25], v[24:25], v[34:35], -v[40:41]
	v_add_f64 v[1:2], v[1:2], v[28:29]
	v_add_f64 v[32:33], v[32:33], v[30:31]
	ds_load_b128 v[9:12], v16 offset:3584
	ds_load_b128 v[20:23], v17 offset:224
	;; [unrolled: 1-line block ×4, first 2 shown]
	v_fma_f64 v[26:27], v[26:27], v[34:35], v[42:43]
	s_waitcnt lgkmcnt(0)
	s_barrier
	buffer_gl0_inv
	v_mul_f64 v[48:49], v[22:23], v[11:12]
	v_mul_f64 v[11:12], v[20:21], v[11:12]
	;; [unrolled: 1-line block ×4, first 2 shown]
	v_add_f64 v[1:2], v[1:2], v[44:45]
	v_add_f64 v[32:33], v[32:33], v[46:47]
	v_fma_f64 v[20:21], v[20:21], v[9:10], -v[48:49]
	v_fma_f64 v[9:10], v[22:23], v[9:10], v[11:12]
	v_fma_f64 v[22:23], v[28:29], v[36:37], -v[34:35]
	v_add_f64 v[1:2], v[1:2], v[24:25]
	v_add_f64 v[11:12], v[32:33], v[26:27]
	v_fma_f64 v[24:25], v[30:31], v[36:37], v[38:39]
	s_delay_alu instid0(VALU_DEP_3) | instskip(NEXT) | instid1(VALU_DEP_3)
	v_add_f64 v[1:2], v[1:2], v[20:21]
	v_add_f64 v[9:10], v[11:12], v[9:10]
	s_delay_alu instid0(VALU_DEP_2) | instskip(NEXT) | instid1(VALU_DEP_2)
	v_add_f64 v[11:12], v[1:2], v[22:23]
	v_add_f64 v[9:10], v[9:10], v[24:25]
	s_cbranch_scc1 .LBB284_11
.LBB284_3:                              ; =>This Inner Loop Header: Depth=1
	v_add_nc_u32_e32 v1, s12, v14
	s_delay_alu instid0(VALU_DEP_1) | instskip(SKIP_1) | instid1(SALU_CYCLE_1)
	v_cmp_le_i32_e32 vcc_lo, s17, v1
	s_or_b32 s8, s2, vcc_lo
	s_and_saveexec_b32 s9, s8
	s_delay_alu instid0(SALU_CYCLE_1)
	s_xor_b32 s8, exec_lo, s9
	s_cbranch_execz .LBB284_5
; %bb.4:                                ;   in Loop: Header=BB284_3 Depth=1
	v_mov_b32_e32 v1, v0
	v_mov_b32_e32 v2, v0
	;; [unrolled: 1-line block ×3, first 2 shown]
	ds_store_b128 v18, v[0:3]
.LBB284_5:                              ;   in Loop: Header=BB284_3 Depth=1
	s_and_not1_saveexec_b32 s8, s8
	s_cbranch_execz .LBB284_7
; %bb.6:                                ;   in Loop: Header=BB284_3 Depth=1
	global_load_b128 v[20:23], v[7:8], off
	s_waitcnt vmcnt(0)
	ds_store_2addr_b64 v18, v[20:21], v[22:23] offset1:1
.LBB284_7:                              ;   in Loop: Header=BB284_3 Depth=1
	s_or_b32 exec_lo, exec_lo, s8
	v_add_nc_u32_e32 v1, s12, v15
	s_delay_alu instid0(VALU_DEP_1) | instskip(SKIP_1) | instid1(SALU_CYCLE_1)
	v_cmp_le_i32_e32 vcc_lo, s17, v1
	s_or_b32 s8, s3, vcc_lo
	s_and_saveexec_b32 s9, s8
	s_delay_alu instid0(SALU_CYCLE_1)
	s_xor_b32 s8, exec_lo, s9
	s_cbranch_execz .LBB284_9
; %bb.8:                                ;   in Loop: Header=BB284_3 Depth=1
	v_mov_b32_e32 v1, v0
	v_mov_b32_e32 v2, v0
	;; [unrolled: 1-line block ×3, first 2 shown]
	ds_store_b128 v19, v[0:3]
.LBB284_9:                              ;   in Loop: Header=BB284_3 Depth=1
	s_and_not1_saveexec_b32 s8, s8
	s_cbranch_execz .LBB284_2
; %bb.10:                               ;   in Loop: Header=BB284_3 Depth=1
	global_load_b128 v[20:23], v[5:6], off
	s_waitcnt vmcnt(0)
	ds_store_2addr_b64 v19, v[20:21], v[22:23] offset1:1
	s_branch .LBB284_2
.LBB284_11:
	v_cmp_le_i32_e32 vcc_lo, v4, v13
	v_cmp_gt_i32_e64 s2, s16, v13
	s_delay_alu instid0(VALU_DEP_1) | instskip(NEXT) | instid1(SALU_CYCLE_1)
	s_and_b32 s2, vcc_lo, s2
	s_and_saveexec_b32 s3, s2
	s_cbranch_execz .LBB284_13
; %bb.12:
	s_delay_alu instid0(VALU_DEP_3)
	v_mul_f64 v[0:1], s[6:7], v[9:10]
	v_mul_f64 v[2:3], s[4:5], v[9:10]
	s_clause 0x2
	s_load_b64 s[2:3], s[0:1], 0x68
	s_load_b32 s8, s[0:1], 0x60
	s_load_b64 s[0:1], s[0:1], 0x58
	v_ashrrev_i32_e32 v5, 31, v4
	s_delay_alu instid0(VALU_DEP_1) | instskip(SKIP_3) | instid1(VALU_DEP_1)
	v_lshlrev_b64 v[4:5], 4, v[4:5]
	s_waitcnt lgkmcnt(0)
	s_mul_i32 s3, s15, s3
	v_mad_i64_i32 v[6:7], null, s8, v13, 0
	v_lshlrev_b64 v[6:7], 4, v[6:7]
	v_fma_f64 v[0:1], s[4:5], v[11:12], -v[0:1]
	v_fma_f64 v[2:3], s[6:7], v[11:12], v[2:3]
	s_mul_hi_u32 s4, s15, s2
	s_mul_i32 s2, s15, s2
	s_add_i32 s3, s4, s3
	s_delay_alu instid0(SALU_CYCLE_1) | instskip(NEXT) | instid1(SALU_CYCLE_1)
	s_lshl_b64 s[2:3], s[2:3], 4
	s_add_u32 s0, s0, s2
	s_addc_u32 s1, s1, s3
	v_add_co_u32 v6, vcc_lo, s0, v6
	v_add_co_ci_u32_e32 v7, vcc_lo, s1, v7, vcc_lo
	s_delay_alu instid0(VALU_DEP_2) | instskip(NEXT) | instid1(VALU_DEP_2)
	v_add_co_u32 v4, vcc_lo, v6, v4
	v_add_co_ci_u32_e32 v5, vcc_lo, v7, v5, vcc_lo
	global_store_b128 v[4:5], v[0:3], off
.LBB284_13:
	s_nop 0
	s_sendmsg sendmsg(MSG_DEALLOC_VGPRS)
	s_endpgm
	.section	.rodata,"a",@progbits
	.p2align	6, 0x0
	.amdhsa_kernel _ZL32rocblas_syrkx_herkx_small_kernelIi19rocblas_complex_numIdELi16ELb1ELb0ELc84ELc85EKS1_S1_EviT_T0_PT6_S3_lS6_S3_lS4_PT7_S3_li
		.amdhsa_group_segment_fixed_size 8192
		.amdhsa_private_segment_fixed_size 0
		.amdhsa_kernarg_size 116
		.amdhsa_user_sgpr_count 13
		.amdhsa_user_sgpr_dispatch_ptr 0
		.amdhsa_user_sgpr_queue_ptr 0
		.amdhsa_user_sgpr_kernarg_segment_ptr 1
		.amdhsa_user_sgpr_dispatch_id 0
		.amdhsa_user_sgpr_private_segment_size 0
		.amdhsa_wavefront_size32 1
		.amdhsa_uses_dynamic_stack 0
		.amdhsa_enable_private_segment 0
		.amdhsa_system_sgpr_workgroup_id_x 1
		.amdhsa_system_sgpr_workgroup_id_y 1
		.amdhsa_system_sgpr_workgroup_id_z 1
		.amdhsa_system_sgpr_workgroup_info 0
		.amdhsa_system_vgpr_workitem_id 1
		.amdhsa_next_free_vgpr 50
		.amdhsa_next_free_sgpr 22
		.amdhsa_reserve_vcc 1
		.amdhsa_float_round_mode_32 0
		.amdhsa_float_round_mode_16_64 0
		.amdhsa_float_denorm_mode_32 3
		.amdhsa_float_denorm_mode_16_64 3
		.amdhsa_dx10_clamp 1
		.amdhsa_ieee_mode 1
		.amdhsa_fp16_overflow 0
		.amdhsa_workgroup_processor_mode 1
		.amdhsa_memory_ordered 1
		.amdhsa_forward_progress 0
		.amdhsa_shared_vgpr_count 0
		.amdhsa_exception_fp_ieee_invalid_op 0
		.amdhsa_exception_fp_denorm_src 0
		.amdhsa_exception_fp_ieee_div_zero 0
		.amdhsa_exception_fp_ieee_overflow 0
		.amdhsa_exception_fp_ieee_underflow 0
		.amdhsa_exception_fp_ieee_inexact 0
		.amdhsa_exception_int_div_zero 0
	.end_amdhsa_kernel
	.section	.text._ZL32rocblas_syrkx_herkx_small_kernelIi19rocblas_complex_numIdELi16ELb1ELb0ELc84ELc85EKS1_S1_EviT_T0_PT6_S3_lS6_S3_lS4_PT7_S3_li,"axG",@progbits,_ZL32rocblas_syrkx_herkx_small_kernelIi19rocblas_complex_numIdELi16ELb1ELb0ELc84ELc85EKS1_S1_EviT_T0_PT6_S3_lS6_S3_lS4_PT7_S3_li,comdat
.Lfunc_end284:
	.size	_ZL32rocblas_syrkx_herkx_small_kernelIi19rocblas_complex_numIdELi16ELb1ELb0ELc84ELc85EKS1_S1_EviT_T0_PT6_S3_lS6_S3_lS4_PT7_S3_li, .Lfunc_end284-_ZL32rocblas_syrkx_herkx_small_kernelIi19rocblas_complex_numIdELi16ELb1ELb0ELc84ELc85EKS1_S1_EviT_T0_PT6_S3_lS6_S3_lS4_PT7_S3_li
                                        ; -- End function
	.section	.AMDGPU.csdata,"",@progbits
; Kernel info:
; codeLenInByte = 1964
; NumSgprs: 24
; NumVgprs: 50
; ScratchSize: 0
; MemoryBound: 0
; FloatMode: 240
; IeeeMode: 1
; LDSByteSize: 8192 bytes/workgroup (compile time only)
; SGPRBlocks: 2
; VGPRBlocks: 6
; NumSGPRsForWavesPerEU: 24
; NumVGPRsForWavesPerEU: 50
; Occupancy: 16
; WaveLimiterHint : 0
; COMPUTE_PGM_RSRC2:SCRATCH_EN: 0
; COMPUTE_PGM_RSRC2:USER_SGPR: 13
; COMPUTE_PGM_RSRC2:TRAP_HANDLER: 0
; COMPUTE_PGM_RSRC2:TGID_X_EN: 1
; COMPUTE_PGM_RSRC2:TGID_Y_EN: 1
; COMPUTE_PGM_RSRC2:TGID_Z_EN: 1
; COMPUTE_PGM_RSRC2:TIDIG_COMP_CNT: 1
	.section	.text._ZL32rocblas_syrkx_herkx_small_kernelIi19rocblas_complex_numIdELi16ELb1ELb0ELc67ELc85EKS1_S1_EviT_T0_PT6_S3_lS6_S3_lS4_PT7_S3_li,"axG",@progbits,_ZL32rocblas_syrkx_herkx_small_kernelIi19rocblas_complex_numIdELi16ELb1ELb0ELc67ELc85EKS1_S1_EviT_T0_PT6_S3_lS6_S3_lS4_PT7_S3_li,comdat
	.globl	_ZL32rocblas_syrkx_herkx_small_kernelIi19rocblas_complex_numIdELi16ELb1ELb0ELc67ELc85EKS1_S1_EviT_T0_PT6_S3_lS6_S3_lS4_PT7_S3_li ; -- Begin function _ZL32rocblas_syrkx_herkx_small_kernelIi19rocblas_complex_numIdELi16ELb1ELb0ELc67ELc85EKS1_S1_EviT_T0_PT6_S3_lS6_S3_lS4_PT7_S3_li
	.p2align	8
	.type	_ZL32rocblas_syrkx_herkx_small_kernelIi19rocblas_complex_numIdELi16ELb1ELb0ELc67ELc85EKS1_S1_EviT_T0_PT6_S3_lS6_S3_lS4_PT7_S3_li,@function
_ZL32rocblas_syrkx_herkx_small_kernelIi19rocblas_complex_numIdELi16ELb1ELb0ELc67ELc85EKS1_S1_EviT_T0_PT6_S3_lS6_S3_lS4_PT7_S3_li: ; @_ZL32rocblas_syrkx_herkx_small_kernelIi19rocblas_complex_numIdELi16ELb1ELb0ELc67ELc85EKS1_S1_EviT_T0_PT6_S3_lS6_S3_lS4_PT7_S3_li
; %bb.0:
	s_clause 0x2
	s_load_b64 s[16:17], s[0:1], 0x0
	s_load_b128 s[4:7], s[0:1], 0x8
	s_load_b64 s[18:19], s[0:1], 0x18
	v_bfe_u32 v17, v0, 10, 10
	v_mov_b32_e32 v12, 0
	v_dual_mov_b32 v13, 0 :: v_dual_and_b32 v18, 0x3ff, v0
	s_mov_b32 s12, 0
	s_delay_alu instid0(VALU_DEP_3) | instskip(NEXT) | instid1(VALU_DEP_2)
	v_lshl_add_u32 v16, s14, 4, v17
	v_dual_mov_b32 v15, v13 :: v_dual_mov_b32 v14, v12
	s_delay_alu instid0(VALU_DEP_3) | instskip(SKIP_1) | instid1(VALU_DEP_3)
	v_lshl_add_u32 v5, s13, 4, v18
	s_waitcnt lgkmcnt(0)
	v_cmp_gt_i32_e64 s2, s16, v16
	s_cmp_lt_i32 s17, 1
	s_cbranch_scc1 .LBB285_9
; %bb.1:
	s_clause 0x3
	s_load_b32 s3, s[0:1], 0x38
	s_load_b64 s[20:21], s[0:1], 0x40
	s_load_b32 s13, s[0:1], 0x20
	s_load_b128 s[8:11], s[0:1], 0x28
	v_lshlrev_b32_e32 v0, 8, v17
	v_dual_mov_b32 v8, 0 :: v_dual_lshlrev_b32 v19, 4, v18
	v_dual_mov_b32 v9, 0 :: v_dual_lshlrev_b32 v4, 4, v17
	s_delay_alu instid0(VALU_DEP_3) | instskip(NEXT) | instid1(VALU_DEP_3)
	v_add_nc_u32_e32 v20, 0x1000, v0
	v_add_nc_u32_e32 v21, v19, v0
	v_cmp_gt_i32_e32 vcc_lo, s16, v5
	s_delay_alu instid0(VALU_DEP_4) | instskip(NEXT) | instid1(VALU_DEP_4)
	v_mov_b32_e32 v15, v9
	v_dual_mov_b32 v13, v9 :: v_dual_add_nc_u32 v22, v20, v19
	v_mov_b32_e32 v12, v8
	v_mov_b32_e32 v14, v8
	s_waitcnt lgkmcnt(0)
	v_mad_i64_i32 v[0:1], null, s3, v16, 0
	v_mad_i64_i32 v[2:3], null, s13, v5, 0
	s_mul_i32 s3, s21, s15
	s_mul_hi_u32 s14, s20, s15
	s_mul_i32 s20, s20, s15
	s_add_i32 s21, s14, s3
	s_delay_alu instid0(VALU_DEP_2)
	v_lshlrev_b64 v[0:1], 4, v[0:1]
	s_mul_i32 s9, s9, s15
	s_mul_hi_u32 s13, s8, s15
	v_lshlrev_b64 v[2:3], 4, v[2:3]
	s_lshl_b64 s[20:21], s[20:21], 4
	s_mul_i32 s8, s8, s15
	s_add_i32 s9, s13, s9
	v_add_co_u32 v0, s3, v0, s20
	s_lshl_b64 s[8:9], s[8:9], 4
	v_add_co_ci_u32_e64 v1, s3, s21, v1, s3
	v_add_co_u32 v2, s3, v2, s8
	s_delay_alu instid0(VALU_DEP_1) | instskip(SKIP_1) | instid1(VALU_DEP_1)
	v_add_co_ci_u32_e64 v3, s3, s9, v3, s3
	v_add_co_u32 v0, s3, v0, v19
	v_add_co_ci_u32_e64 v1, s3, 0, v1, s3
	s_delay_alu instid0(VALU_DEP_4) | instskip(NEXT) | instid1(VALU_DEP_1)
	v_add_co_u32 v2, s3, v2, v4
	v_add_co_ci_u32_e64 v3, s3, 0, v3, s3
	s_delay_alu instid0(VALU_DEP_4) | instskip(NEXT) | instid1(VALU_DEP_1)
	v_add_co_u32 v6, s3, s10, v0
	v_add_co_ci_u32_e64 v7, s3, s11, v1, s3
	s_delay_alu instid0(VALU_DEP_4) | instskip(NEXT) | instid1(VALU_DEP_1)
	v_add_co_u32 v0, s3, v2, s18
	v_add_co_ci_u32_e64 v1, s3, s19, v3, s3
	s_delay_alu instid0(VALU_DEP_2) | instskip(SKIP_1) | instid1(VALU_DEP_3)
	v_add_co_u32 v10, s3, v0, 8
	v_mov_b32_e32 v0, 0
	v_add_co_ci_u32_e64 v11, s3, 0, v1, s3
	s_xor_b32 s3, s2, -1
	s_branch .LBB285_3
.LBB285_2:                              ;   in Loop: Header=BB285_3 Depth=1
	s_or_b32 exec_lo, exec_lo, s2
	s_waitcnt lgkmcnt(0)
	s_barrier
	buffer_gl0_inv
	ds_load_b128 v[1:4], v19
	ds_load_b128 v[23:26], v20
	ds_load_b128 v[27:30], v20 offset:16
	ds_load_b128 v[31:34], v19 offset:256
	v_add_co_u32 v6, s2, 0x100, v6
	s_delay_alu instid0(VALU_DEP_1) | instskip(SKIP_1) | instid1(VALU_DEP_1)
	v_add_co_ci_u32_e64 v7, s2, 0, v7, s2
	v_add_co_u32 v10, s2, 0x100, v10
	v_add_co_ci_u32_e64 v11, s2, 0, v11, s2
	s_add_i32 s12, s12, 16
	s_delay_alu instid0(SALU_CYCLE_1)
	s_cmp_ge_i32 s12, s17
	s_waitcnt lgkmcnt(2)
	v_mul_f64 v[35:36], v[25:26], v[3:4]
	v_mul_f64 v[3:4], v[23:24], v[3:4]
	s_waitcnt lgkmcnt(0)
	v_mul_f64 v[41:42], v[29:30], v[33:34]
	v_mul_f64 v[43:44], v[27:28], v[33:34]
	s_delay_alu instid0(VALU_DEP_4) | instskip(NEXT) | instid1(VALU_DEP_4)
	v_fma_f64 v[45:46], v[23:24], v[1:2], -v[35:36]
	v_fma_f64 v[47:48], v[25:26], v[1:2], v[3:4]
	ds_load_b128 v[1:4], v19 offset:512
	ds_load_b128 v[23:26], v20 offset:32
	;; [unrolled: 1-line block ×4, first 2 shown]
	v_fma_f64 v[27:28], v[27:28], v[31:32], -v[41:42]
	v_fma_f64 v[29:30], v[29:30], v[31:32], v[43:44]
	s_waitcnt lgkmcnt(2)
	v_mul_f64 v[49:50], v[25:26], v[3:4]
	v_mul_f64 v[3:4], v[23:24], v[3:4]
	s_waitcnt lgkmcnt(0)
	v_mul_f64 v[31:32], v[35:36], v[39:40]
	v_mul_f64 v[39:40], v[33:34], v[39:40]
	v_add_f64 v[14:15], v[14:15], v[45:46]
	v_add_f64 v[12:13], v[12:13], v[47:48]
	v_fma_f64 v[41:42], v[23:24], v[1:2], -v[49:50]
	v_fma_f64 v[43:44], v[25:26], v[1:2], v[3:4]
	v_fma_f64 v[31:32], v[33:34], v[37:38], -v[31:32]
	v_fma_f64 v[33:34], v[35:36], v[37:38], v[39:40]
	v_add_f64 v[45:46], v[14:15], v[27:28]
	v_add_f64 v[47:48], v[12:13], v[29:30]
	ds_load_b128 v[1:4], v19 offset:1024
	ds_load_b128 v[12:15], v20 offset:64
	;; [unrolled: 1-line block ×4, first 2 shown]
	s_waitcnt lgkmcnt(2)
	v_mul_f64 v[49:50], v[14:15], v[3:4]
	v_mul_f64 v[3:4], v[12:13], v[3:4]
	s_waitcnt lgkmcnt(0)
	v_mul_f64 v[39:40], v[25:26], v[29:30]
	v_add_f64 v[35:36], v[45:46], v[41:42]
	v_add_f64 v[37:38], v[47:48], v[43:44]
	v_mul_f64 v[41:42], v[23:24], v[29:30]
	v_fma_f64 v[43:44], v[12:13], v[1:2], -v[49:50]
	v_fma_f64 v[45:46], v[14:15], v[1:2], v[3:4]
	v_fma_f64 v[23:24], v[23:24], v[27:28], -v[39:40]
	v_add_f64 v[47:48], v[35:36], v[31:32]
	v_add_f64 v[37:38], v[37:38], v[33:34]
	ds_load_b128 v[1:4], v19 offset:1536
	ds_load_b128 v[12:15], v20 offset:96
	;; [unrolled: 1-line block ×4, first 2 shown]
	v_fma_f64 v[25:26], v[25:26], v[27:28], v[41:42]
	s_waitcnt lgkmcnt(2)
	v_mul_f64 v[49:50], v[14:15], v[3:4]
	v_mul_f64 v[3:4], v[12:13], v[3:4]
	s_waitcnt lgkmcnt(0)
	v_mul_f64 v[39:40], v[31:32], v[35:36]
	v_mul_f64 v[41:42], v[29:30], v[35:36]
	v_add_f64 v[27:28], v[47:48], v[43:44]
	v_add_f64 v[37:38], v[37:38], v[45:46]
	v_fma_f64 v[43:44], v[12:13], v[1:2], -v[49:50]
	v_fma_f64 v[45:46], v[14:15], v[1:2], v[3:4]
	v_fma_f64 v[29:30], v[29:30], v[33:34], -v[39:40]
	v_fma_f64 v[31:32], v[31:32], v[33:34], v[41:42]
	v_add_f64 v[27:28], v[27:28], v[23:24]
	v_add_f64 v[47:48], v[37:38], v[25:26]
	ds_load_b128 v[1:4], v19 offset:2048
	ds_load_b128 v[12:15], v20 offset:128
	;; [unrolled: 1-line block ×4, first 2 shown]
	s_waitcnt lgkmcnt(2)
	v_mul_f64 v[49:50], v[14:15], v[3:4]
	v_mul_f64 v[3:4], v[12:13], v[3:4]
	s_waitcnt lgkmcnt(0)
	v_mul_f64 v[39:40], v[25:26], v[37:38]
	v_mul_f64 v[37:38], v[23:24], v[37:38]
	v_add_f64 v[27:28], v[27:28], v[43:44]
	v_add_f64 v[33:34], v[47:48], v[45:46]
	v_fma_f64 v[41:42], v[12:13], v[1:2], -v[49:50]
	v_fma_f64 v[43:44], v[14:15], v[1:2], v[3:4]
	v_fma_f64 v[23:24], v[23:24], v[35:36], -v[39:40]
	v_fma_f64 v[25:26], v[25:26], v[35:36], v[37:38]
	v_add_f64 v[45:46], v[27:28], v[29:30]
	v_add_f64 v[47:48], v[33:34], v[31:32]
	ds_load_b128 v[1:4], v19 offset:2560
	ds_load_b128 v[12:15], v20 offset:160
	;; [unrolled: 1-line block ×4, first 2 shown]
	s_waitcnt lgkmcnt(2)
	v_mul_f64 v[49:50], v[14:15], v[3:4]
	v_mul_f64 v[3:4], v[12:13], v[3:4]
	s_waitcnt lgkmcnt(0)
	v_mul_f64 v[39:40], v[29:30], v[33:34]
	v_add_f64 v[35:36], v[45:46], v[41:42]
	v_add_f64 v[37:38], v[47:48], v[43:44]
	v_mul_f64 v[41:42], v[27:28], v[33:34]
	v_fma_f64 v[43:44], v[12:13], v[1:2], -v[49:50]
	v_fma_f64 v[45:46], v[14:15], v[1:2], v[3:4]
	v_fma_f64 v[27:28], v[27:28], v[31:32], -v[39:40]
	v_add_f64 v[47:48], v[35:36], v[23:24]
	v_add_f64 v[37:38], v[37:38], v[25:26]
	ds_load_b128 v[1:4], v19 offset:3072
	ds_load_b128 v[12:15], v20 offset:192
	;; [unrolled: 1-line block ×4, first 2 shown]
	v_fma_f64 v[29:30], v[29:30], v[31:32], v[41:42]
	s_waitcnt lgkmcnt(2)
	v_mul_f64 v[49:50], v[14:15], v[3:4]
	v_mul_f64 v[3:4], v[12:13], v[3:4]
	s_waitcnt lgkmcnt(0)
	v_mul_f64 v[39:40], v[25:26], v[35:36]
	v_mul_f64 v[41:42], v[23:24], v[35:36]
	v_add_f64 v[31:32], v[47:48], v[43:44]
	v_add_f64 v[37:38], v[37:38], v[45:46]
	v_fma_f64 v[43:44], v[12:13], v[1:2], -v[49:50]
	v_fma_f64 v[45:46], v[14:15], v[1:2], v[3:4]
	v_fma_f64 v[23:24], v[23:24], v[33:34], -v[39:40]
	v_fma_f64 v[25:26], v[25:26], v[33:34], v[41:42]
	v_add_f64 v[31:32], v[31:32], v[27:28]
	v_add_f64 v[47:48], v[37:38], v[29:30]
	ds_load_b128 v[1:4], v19 offset:3584
	ds_load_b128 v[12:15], v20 offset:224
	;; [unrolled: 1-line block ×4, first 2 shown]
	s_waitcnt lgkmcnt(0)
	s_barrier
	buffer_gl0_inv
	v_mul_f64 v[49:50], v[14:15], v[3:4]
	v_mul_f64 v[3:4], v[12:13], v[3:4]
	;; [unrolled: 1-line block ×4, first 2 shown]
	v_add_f64 v[31:32], v[31:32], v[43:44]
	v_add_f64 v[33:34], v[47:48], v[45:46]
	v_fma_f64 v[12:13], v[12:13], v[1:2], -v[49:50]
	v_fma_f64 v[1:2], v[14:15], v[1:2], v[3:4]
	s_delay_alu instid0(VALU_DEP_4) | instskip(NEXT) | instid1(VALU_DEP_4)
	v_add_f64 v[3:4], v[31:32], v[23:24]
	v_add_f64 v[14:15], v[33:34], v[25:26]
	v_fma_f64 v[23:24], v[27:28], v[35:36], -v[39:40]
	v_fma_f64 v[25:26], v[29:30], v[35:36], v[37:38]
	s_delay_alu instid0(VALU_DEP_4) | instskip(NEXT) | instid1(VALU_DEP_4)
	v_add_f64 v[3:4], v[3:4], v[12:13]
	v_add_f64 v[1:2], v[14:15], v[1:2]
	s_delay_alu instid0(VALU_DEP_2) | instskip(NEXT) | instid1(VALU_DEP_2)
	v_add_f64 v[14:15], v[3:4], v[23:24]
	v_add_f64 v[12:13], v[1:2], v[25:26]
	s_cbranch_scc1 .LBB285_9
.LBB285_3:                              ; =>This Inner Loop Header: Depth=1
	v_add_nc_u32_e32 v1, s12, v17
	v_dual_mov_b32 v3, v8 :: v_dual_mov_b32 v4, v9
	s_delay_alu instid0(VALU_DEP_2) | instskip(SKIP_1) | instid1(VALU_DEP_2)
	v_cmp_gt_i32_e64 s2, s17, v1
	v_dual_mov_b32 v1, v8 :: v_dual_mov_b32 v2, v9
	s_and_b32 s8, vcc_lo, s2
	s_delay_alu instid0(SALU_CYCLE_1)
	s_and_saveexec_b32 s2, s8
	s_cbranch_execz .LBB285_5
; %bb.4:                                ;   in Loop: Header=BB285_3 Depth=1
	global_load_b128 v[1:4], v[10:11], off offset:-8
.LBB285_5:                              ;   in Loop: Header=BB285_3 Depth=1
	s_or_b32 exec_lo, exec_lo, s2
	v_add_nc_u32_e32 v23, s12, v18
	s_waitcnt vmcnt(0)
	ds_store_b128 v21, v[1:4]
	v_cmp_le_i32_e64 s2, s17, v23
	s_delay_alu instid0(VALU_DEP_1) | instskip(NEXT) | instid1(SALU_CYCLE_1)
	s_or_b32 s2, s3, s2
	s_and_saveexec_b32 s8, s2
	s_delay_alu instid0(SALU_CYCLE_1)
	s_xor_b32 s2, exec_lo, s8
	s_cbranch_execz .LBB285_7
; %bb.6:                                ;   in Loop: Header=BB285_3 Depth=1
	v_mov_b32_e32 v1, v0
	v_mov_b32_e32 v2, v0
	;; [unrolled: 1-line block ×3, first 2 shown]
	ds_store_b128 v22, v[0:3]
.LBB285_7:                              ;   in Loop: Header=BB285_3 Depth=1
	s_and_not1_saveexec_b32 s2, s2
	s_cbranch_execz .LBB285_2
; %bb.8:                                ;   in Loop: Header=BB285_3 Depth=1
	global_load_b128 v[1:4], v[6:7], off
	s_waitcnt vmcnt(0)
	ds_store_2addr_b64 v22, v[1:2], v[3:4] offset1:1
	s_branch .LBB285_2
.LBB285_9:
	v_cmp_le_i32_e32 vcc_lo, v5, v16
	v_cmp_gt_i32_e64 s2, s16, v16
	s_delay_alu instid0(VALU_DEP_1) | instskip(NEXT) | instid1(SALU_CYCLE_1)
	s_and_b32 s2, vcc_lo, s2
	s_and_saveexec_b32 s3, s2
	s_cbranch_execz .LBB285_11
; %bb.10:
	s_delay_alu instid0(VALU_DEP_3)
	v_mul_f64 v[0:1], s[6:7], v[12:13]
	v_mul_f64 v[2:3], s[4:5], v[12:13]
	s_clause 0x2
	s_load_b64 s[2:3], s[0:1], 0x68
	s_load_b32 s8, s[0:1], 0x60
	s_load_b64 s[0:1], s[0:1], 0x58
	v_ashrrev_i32_e32 v6, 31, v5
	s_delay_alu instid0(VALU_DEP_1) | instskip(SKIP_3) | instid1(VALU_DEP_1)
	v_lshlrev_b64 v[4:5], 4, v[5:6]
	s_waitcnt lgkmcnt(0)
	s_mul_i32 s3, s15, s3
	v_mad_i64_i32 v[7:8], null, s8, v16, 0
	v_lshlrev_b64 v[7:8], 4, v[7:8]
	v_fma_f64 v[0:1], s[4:5], v[14:15], -v[0:1]
	v_fma_f64 v[2:3], s[6:7], v[14:15], v[2:3]
	s_mul_hi_u32 s4, s15, s2
	s_mul_i32 s2, s15, s2
	s_add_i32 s3, s4, s3
	s_delay_alu instid0(SALU_CYCLE_1) | instskip(NEXT) | instid1(SALU_CYCLE_1)
	s_lshl_b64 s[2:3], s[2:3], 4
	s_add_u32 s0, s0, s2
	s_addc_u32 s1, s1, s3
	v_add_co_u32 v6, vcc_lo, s0, v7
	v_add_co_ci_u32_e32 v7, vcc_lo, s1, v8, vcc_lo
	s_delay_alu instid0(VALU_DEP_2) | instskip(NEXT) | instid1(VALU_DEP_2)
	v_add_co_u32 v4, vcc_lo, v6, v4
	v_add_co_ci_u32_e32 v5, vcc_lo, v7, v5, vcc_lo
	global_store_b128 v[4:5], v[0:3], off
.LBB285_11:
	s_nop 0
	s_sendmsg sendmsg(MSG_DEALLOC_VGPRS)
	s_endpgm
	.section	.rodata,"a",@progbits
	.p2align	6, 0x0
	.amdhsa_kernel _ZL32rocblas_syrkx_herkx_small_kernelIi19rocblas_complex_numIdELi16ELb1ELb0ELc67ELc85EKS1_S1_EviT_T0_PT6_S3_lS6_S3_lS4_PT7_S3_li
		.amdhsa_group_segment_fixed_size 8192
		.amdhsa_private_segment_fixed_size 0
		.amdhsa_kernarg_size 116
		.amdhsa_user_sgpr_count 13
		.amdhsa_user_sgpr_dispatch_ptr 0
		.amdhsa_user_sgpr_queue_ptr 0
		.amdhsa_user_sgpr_kernarg_segment_ptr 1
		.amdhsa_user_sgpr_dispatch_id 0
		.amdhsa_user_sgpr_private_segment_size 0
		.amdhsa_wavefront_size32 1
		.amdhsa_uses_dynamic_stack 0
		.amdhsa_enable_private_segment 0
		.amdhsa_system_sgpr_workgroup_id_x 1
		.amdhsa_system_sgpr_workgroup_id_y 1
		.amdhsa_system_sgpr_workgroup_id_z 1
		.amdhsa_system_sgpr_workgroup_info 0
		.amdhsa_system_vgpr_workitem_id 1
		.amdhsa_next_free_vgpr 51
		.amdhsa_next_free_sgpr 22
		.amdhsa_reserve_vcc 1
		.amdhsa_float_round_mode_32 0
		.amdhsa_float_round_mode_16_64 0
		.amdhsa_float_denorm_mode_32 3
		.amdhsa_float_denorm_mode_16_64 3
		.amdhsa_dx10_clamp 1
		.amdhsa_ieee_mode 1
		.amdhsa_fp16_overflow 0
		.amdhsa_workgroup_processor_mode 1
		.amdhsa_memory_ordered 1
		.amdhsa_forward_progress 0
		.amdhsa_shared_vgpr_count 0
		.amdhsa_exception_fp_ieee_invalid_op 0
		.amdhsa_exception_fp_denorm_src 0
		.amdhsa_exception_fp_ieee_div_zero 0
		.amdhsa_exception_fp_ieee_overflow 0
		.amdhsa_exception_fp_ieee_underflow 0
		.amdhsa_exception_fp_ieee_inexact 0
		.amdhsa_exception_int_div_zero 0
	.end_amdhsa_kernel
	.section	.text._ZL32rocblas_syrkx_herkx_small_kernelIi19rocblas_complex_numIdELi16ELb1ELb0ELc67ELc85EKS1_S1_EviT_T0_PT6_S3_lS6_S3_lS4_PT7_S3_li,"axG",@progbits,_ZL32rocblas_syrkx_herkx_small_kernelIi19rocblas_complex_numIdELi16ELb1ELb0ELc67ELc85EKS1_S1_EviT_T0_PT6_S3_lS6_S3_lS4_PT7_S3_li,comdat
.Lfunc_end285:
	.size	_ZL32rocblas_syrkx_herkx_small_kernelIi19rocblas_complex_numIdELi16ELb1ELb0ELc67ELc85EKS1_S1_EviT_T0_PT6_S3_lS6_S3_lS4_PT7_S3_li, .Lfunc_end285-_ZL32rocblas_syrkx_herkx_small_kernelIi19rocblas_complex_numIdELi16ELb1ELb0ELc67ELc85EKS1_S1_EviT_T0_PT6_S3_lS6_S3_lS4_PT7_S3_li
                                        ; -- End function
	.section	.AMDGPU.csdata,"",@progbits
; Kernel info:
; codeLenInByte = 1992
; NumSgprs: 24
; NumVgprs: 51
; ScratchSize: 0
; MemoryBound: 1
; FloatMode: 240
; IeeeMode: 1
; LDSByteSize: 8192 bytes/workgroup (compile time only)
; SGPRBlocks: 2
; VGPRBlocks: 6
; NumSGPRsForWavesPerEU: 24
; NumVGPRsForWavesPerEU: 51
; Occupancy: 16
; WaveLimiterHint : 0
; COMPUTE_PGM_RSRC2:SCRATCH_EN: 0
; COMPUTE_PGM_RSRC2:USER_SGPR: 13
; COMPUTE_PGM_RSRC2:TRAP_HANDLER: 0
; COMPUTE_PGM_RSRC2:TGID_X_EN: 1
; COMPUTE_PGM_RSRC2:TGID_Y_EN: 1
; COMPUTE_PGM_RSRC2:TGID_Z_EN: 1
; COMPUTE_PGM_RSRC2:TIDIG_COMP_CNT: 1
	.section	.text._ZL32rocblas_syrkx_herkx_small_kernelIi19rocblas_complex_numIdELi16ELb1ELb0ELc78ELc85EKS1_S1_EviT_T0_PT6_S3_lS6_S3_lS4_PT7_S3_li,"axG",@progbits,_ZL32rocblas_syrkx_herkx_small_kernelIi19rocblas_complex_numIdELi16ELb1ELb0ELc78ELc85EKS1_S1_EviT_T0_PT6_S3_lS6_S3_lS4_PT7_S3_li,comdat
	.globl	_ZL32rocblas_syrkx_herkx_small_kernelIi19rocblas_complex_numIdELi16ELb1ELb0ELc78ELc85EKS1_S1_EviT_T0_PT6_S3_lS6_S3_lS4_PT7_S3_li ; -- Begin function _ZL32rocblas_syrkx_herkx_small_kernelIi19rocblas_complex_numIdELi16ELb1ELb0ELc78ELc85EKS1_S1_EviT_T0_PT6_S3_lS6_S3_lS4_PT7_S3_li
	.p2align	8
	.type	_ZL32rocblas_syrkx_herkx_small_kernelIi19rocblas_complex_numIdELi16ELb1ELb0ELc78ELc85EKS1_S1_EviT_T0_PT6_S3_lS6_S3_lS4_PT7_S3_li,@function
_ZL32rocblas_syrkx_herkx_small_kernelIi19rocblas_complex_numIdELi16ELb1ELb0ELc78ELc85EKS1_S1_EviT_T0_PT6_S3_lS6_S3_lS4_PT7_S3_li: ; @_ZL32rocblas_syrkx_herkx_small_kernelIi19rocblas_complex_numIdELi16ELb1ELb0ELc78ELc85EKS1_S1_EviT_T0_PT6_S3_lS6_S3_lS4_PT7_S3_li
; %bb.0:
	s_clause 0x2
	s_load_b64 s[16:17], s[0:1], 0x0
	s_load_b128 s[4:7], s[0:1], 0x8
	s_load_b64 s[18:19], s[0:1], 0x18
	v_and_b32_e32 v16, 0x3ff, v0
	v_bfe_u32 v17, v0, 10, 10
	v_mov_b32_e32 v12, 0
	v_mov_b32_e32 v13, 0
	s_delay_alu instid0(VALU_DEP_4) | instskip(NEXT) | instid1(VALU_DEP_4)
	v_lshl_add_u32 v5, s13, 4, v16
	v_lshl_add_u32 v7, s14, 4, v17
	s_mov_b32 s14, 0
	s_delay_alu instid0(VALU_DEP_3) | instskip(NEXT) | instid1(VALU_DEP_3)
	v_dual_mov_b32 v15, v13 :: v_dual_mov_b32 v14, v12
	v_ashrrev_i32_e32 v6, 31, v5
	s_waitcnt lgkmcnt(0)
	v_cmp_gt_i32_e32 vcc_lo, s16, v7
	s_cmp_lt_i32 s17, 1
	s_cbranch_scc1 .LBB286_9
; %bb.1:
	s_clause 0x3
	s_load_b32 s12, s[0:1], 0x20
	s_load_b32 s20, s[0:1], 0x38
	s_load_b64 s[22:23], s[0:1], 0x40
	s_load_b128 s[8:11], s[0:1], 0x28
	v_mov_b32_e32 v12, 0
	v_dual_mov_b32 v13, 0 :: v_dual_lshlrev_b32 v2, 8, v17
	v_lshlrev_b32_e32 v18, 4, v16
	v_ashrrev_i32_e32 v8, 31, v7
	v_lshlrev_b64 v[0:1], 4, v[5:6]
	s_delay_alu instid0(VALU_DEP_4) | instskip(NEXT) | instid1(VALU_DEP_4)
	v_add_nc_u32_e32 v19, 0x1000, v2
	v_dual_mov_b32 v15, v13 :: v_dual_add_nc_u32 v20, v18, v2
	s_delay_alu instid0(VALU_DEP_4)
	v_lshlrev_b64 v[2:3], 4, v[7:8]
	v_cmp_gt_i32_e64 s2, s16, v5
	v_mov_b32_e32 v14, v12
	s_waitcnt lgkmcnt(0)
	v_mad_i64_i32 v[10:11], null, s12, v17, 0
	v_mad_i64_i32 v[8:9], null, s20, v16, 0
	s_mul_i32 s3, s23, s15
	s_mul_hi_u32 s23, s22, s15
	s_mul_i32 s22, s22, s15
	s_add_i32 s23, s23, s3
	s_mul_i32 s9, s9, s15
	s_lshl_b64 s[22:23], s[22:23], 4
	s_delay_alu instid0(VALU_DEP_1)
	v_lshlrev_b64 v[8:9], 4, v[8:9]
	s_mul_hi_u32 s24, s8, s15
	s_mul_i32 s8, s8, s15
	s_add_i32 s9, s24, s9
	s_ashr_i32 s13, s12, 31
	s_lshl_b64 s[8:9], s[8:9], 4
	v_add_co_u32 v4, s3, s22, v8
	s_delay_alu instid0(VALU_DEP_1) | instskip(SKIP_1) | instid1(VALU_DEP_2)
	v_add_co_ci_u32_e64 v8, s3, s23, v9, s3
	s_ashr_i32 s21, s20, 31
	v_add_co_u32 v4, s3, v4, v2
	s_delay_alu instid0(VALU_DEP_1) | instskip(SKIP_1) | instid1(VALU_DEP_3)
	v_add_co_ci_u32_e64 v8, s3, v8, v3, s3
	v_lshlrev_b64 v[2:3], 4, v[10:11]
	v_add_co_u32 v4, s3, v4, s10
	s_delay_alu instid0(VALU_DEP_1) | instskip(SKIP_1) | instid1(VALU_DEP_3)
	v_add_co_ci_u32_e64 v9, s3, s11, v8, s3
	s_lshl_b64 s[10:11], s[12:13], 8
	v_add_co_u32 v2, s3, s8, v2
	s_delay_alu instid0(VALU_DEP_1) | instskip(SKIP_1) | instid1(VALU_DEP_1)
	v_add_co_ci_u32_e64 v3, s3, s9, v3, s3
	v_add_co_u32 v8, s3, v4, 8
	v_add_co_ci_u32_e64 v9, s3, 0, v9, s3
	s_delay_alu instid0(VALU_DEP_4) | instskip(NEXT) | instid1(VALU_DEP_1)
	v_add_co_u32 v0, s3, v2, v0
	v_add_co_ci_u32_e64 v1, s3, v3, v1, s3
	s_lshl_b64 s[8:9], s[20:21], 8
	s_delay_alu instid0(VALU_DEP_2) | instskip(SKIP_1) | instid1(VALU_DEP_3)
	v_add_co_u32 v10, s3, s18, v0
	v_dual_mov_b32 v0, 0 :: v_dual_add_nc_u32 v21, v19, v18
	v_add_co_ci_u32_e64 v11, s3, s19, v1, s3
	s_xor_b32 s3, s2, -1
	s_branch .LBB286_3
.LBB286_2:                              ;   in Loop: Header=BB286_3 Depth=1
	s_or_b32 exec_lo, exec_lo, s2
	s_waitcnt vmcnt(0)
	ds_store_b128 v21, v[1:4]
	s_waitcnt lgkmcnt(0)
	s_barrier
	buffer_gl0_inv
	ds_load_b128 v[1:4], v18
	ds_load_b128 v[22:25], v19
	ds_load_b128 v[26:29], v19 offset:16
	ds_load_b128 v[30:33], v18 offset:256
	v_add_co_u32 v8, s2, v8, s8
	s_delay_alu instid0(VALU_DEP_1) | instskip(SKIP_1) | instid1(VALU_DEP_1)
	v_add_co_ci_u32_e64 v9, s2, s9, v9, s2
	v_add_co_u32 v10, s2, v10, s10
	v_add_co_ci_u32_e64 v11, s2, s11, v11, s2
	s_add_i32 s14, s14, 16
	s_delay_alu instid0(SALU_CYCLE_1)
	s_cmp_ge_i32 s14, s17
	s_waitcnt lgkmcnt(2)
	v_mul_f64 v[34:35], v[24:25], v[3:4]
	v_mul_f64 v[3:4], v[22:23], v[3:4]
	s_waitcnt lgkmcnt(0)
	v_mul_f64 v[40:41], v[28:29], v[32:33]
	v_mul_f64 v[42:43], v[26:27], v[32:33]
	s_delay_alu instid0(VALU_DEP_4) | instskip(NEXT) | instid1(VALU_DEP_4)
	v_fma_f64 v[44:45], v[22:23], v[1:2], -v[34:35]
	v_fma_f64 v[46:47], v[24:25], v[1:2], v[3:4]
	ds_load_b128 v[1:4], v18 offset:512
	ds_load_b128 v[22:25], v19 offset:32
	;; [unrolled: 1-line block ×4, first 2 shown]
	v_fma_f64 v[26:27], v[26:27], v[30:31], -v[40:41]
	v_fma_f64 v[28:29], v[28:29], v[30:31], v[42:43]
	s_waitcnt lgkmcnt(2)
	v_mul_f64 v[48:49], v[24:25], v[3:4]
	v_mul_f64 v[3:4], v[22:23], v[3:4]
	s_waitcnt lgkmcnt(0)
	v_mul_f64 v[30:31], v[34:35], v[38:39]
	v_mul_f64 v[38:39], v[32:33], v[38:39]
	v_add_f64 v[14:15], v[14:15], v[44:45]
	v_add_f64 v[12:13], v[12:13], v[46:47]
	v_fma_f64 v[40:41], v[22:23], v[1:2], -v[48:49]
	v_fma_f64 v[42:43], v[24:25], v[1:2], v[3:4]
	v_fma_f64 v[30:31], v[32:33], v[36:37], -v[30:31]
	v_fma_f64 v[32:33], v[34:35], v[36:37], v[38:39]
	v_add_f64 v[44:45], v[14:15], v[26:27]
	v_add_f64 v[46:47], v[12:13], v[28:29]
	ds_load_b128 v[1:4], v18 offset:1024
	ds_load_b128 v[12:15], v19 offset:64
	;; [unrolled: 1-line block ×4, first 2 shown]
	s_waitcnt lgkmcnt(2)
	v_mul_f64 v[48:49], v[14:15], v[3:4]
	v_mul_f64 v[3:4], v[12:13], v[3:4]
	s_waitcnt lgkmcnt(0)
	v_mul_f64 v[38:39], v[24:25], v[28:29]
	v_add_f64 v[34:35], v[44:45], v[40:41]
	v_add_f64 v[36:37], v[46:47], v[42:43]
	v_mul_f64 v[40:41], v[22:23], v[28:29]
	v_fma_f64 v[42:43], v[12:13], v[1:2], -v[48:49]
	v_fma_f64 v[44:45], v[14:15], v[1:2], v[3:4]
	v_fma_f64 v[22:23], v[22:23], v[26:27], -v[38:39]
	v_add_f64 v[46:47], v[34:35], v[30:31]
	v_add_f64 v[36:37], v[36:37], v[32:33]
	ds_load_b128 v[1:4], v18 offset:1536
	ds_load_b128 v[12:15], v19 offset:96
	;; [unrolled: 1-line block ×4, first 2 shown]
	v_fma_f64 v[24:25], v[24:25], v[26:27], v[40:41]
	s_waitcnt lgkmcnt(2)
	v_mul_f64 v[48:49], v[14:15], v[3:4]
	v_mul_f64 v[3:4], v[12:13], v[3:4]
	s_waitcnt lgkmcnt(0)
	v_mul_f64 v[38:39], v[30:31], v[34:35]
	v_mul_f64 v[40:41], v[28:29], v[34:35]
	v_add_f64 v[26:27], v[46:47], v[42:43]
	v_add_f64 v[36:37], v[36:37], v[44:45]
	v_fma_f64 v[42:43], v[12:13], v[1:2], -v[48:49]
	v_fma_f64 v[44:45], v[14:15], v[1:2], v[3:4]
	v_fma_f64 v[28:29], v[28:29], v[32:33], -v[38:39]
	v_fma_f64 v[30:31], v[30:31], v[32:33], v[40:41]
	v_add_f64 v[26:27], v[26:27], v[22:23]
	v_add_f64 v[46:47], v[36:37], v[24:25]
	ds_load_b128 v[1:4], v18 offset:2048
	ds_load_b128 v[12:15], v19 offset:128
	;; [unrolled: 1-line block ×4, first 2 shown]
	s_waitcnt lgkmcnt(2)
	v_mul_f64 v[48:49], v[14:15], v[3:4]
	v_mul_f64 v[3:4], v[12:13], v[3:4]
	s_waitcnt lgkmcnt(0)
	v_mul_f64 v[38:39], v[24:25], v[36:37]
	v_mul_f64 v[36:37], v[22:23], v[36:37]
	v_add_f64 v[26:27], v[26:27], v[42:43]
	v_add_f64 v[32:33], v[46:47], v[44:45]
	v_fma_f64 v[40:41], v[12:13], v[1:2], -v[48:49]
	v_fma_f64 v[42:43], v[14:15], v[1:2], v[3:4]
	v_fma_f64 v[22:23], v[22:23], v[34:35], -v[38:39]
	v_fma_f64 v[24:25], v[24:25], v[34:35], v[36:37]
	v_add_f64 v[44:45], v[26:27], v[28:29]
	v_add_f64 v[46:47], v[32:33], v[30:31]
	ds_load_b128 v[1:4], v18 offset:2560
	ds_load_b128 v[12:15], v19 offset:160
	;; [unrolled: 1-line block ×4, first 2 shown]
	s_waitcnt lgkmcnt(2)
	v_mul_f64 v[48:49], v[14:15], v[3:4]
	v_mul_f64 v[3:4], v[12:13], v[3:4]
	s_waitcnt lgkmcnt(0)
	v_mul_f64 v[38:39], v[28:29], v[32:33]
	v_add_f64 v[34:35], v[44:45], v[40:41]
	v_add_f64 v[36:37], v[46:47], v[42:43]
	v_mul_f64 v[40:41], v[26:27], v[32:33]
	v_fma_f64 v[42:43], v[12:13], v[1:2], -v[48:49]
	v_fma_f64 v[44:45], v[14:15], v[1:2], v[3:4]
	v_fma_f64 v[26:27], v[26:27], v[30:31], -v[38:39]
	v_add_f64 v[46:47], v[34:35], v[22:23]
	v_add_f64 v[36:37], v[36:37], v[24:25]
	ds_load_b128 v[1:4], v18 offset:3072
	ds_load_b128 v[12:15], v19 offset:192
	ds_load_b128 v[22:25], v19 offset:208
	ds_load_b128 v[32:35], v18 offset:3328
	v_fma_f64 v[28:29], v[28:29], v[30:31], v[40:41]
	s_waitcnt lgkmcnt(2)
	v_mul_f64 v[48:49], v[14:15], v[3:4]
	v_mul_f64 v[3:4], v[12:13], v[3:4]
	s_waitcnt lgkmcnt(0)
	v_mul_f64 v[38:39], v[24:25], v[34:35]
	v_mul_f64 v[40:41], v[22:23], v[34:35]
	v_add_f64 v[30:31], v[46:47], v[42:43]
	v_add_f64 v[36:37], v[36:37], v[44:45]
	v_fma_f64 v[42:43], v[12:13], v[1:2], -v[48:49]
	v_fma_f64 v[44:45], v[14:15], v[1:2], v[3:4]
	v_fma_f64 v[22:23], v[22:23], v[32:33], -v[38:39]
	v_fma_f64 v[24:25], v[24:25], v[32:33], v[40:41]
	v_add_f64 v[30:31], v[30:31], v[26:27]
	v_add_f64 v[46:47], v[36:37], v[28:29]
	ds_load_b128 v[1:4], v18 offset:3584
	ds_load_b128 v[12:15], v19 offset:224
	;; [unrolled: 1-line block ×4, first 2 shown]
	s_waitcnt lgkmcnt(0)
	s_barrier
	buffer_gl0_inv
	v_mul_f64 v[48:49], v[14:15], v[3:4]
	v_mul_f64 v[3:4], v[12:13], v[3:4]
	;; [unrolled: 1-line block ×4, first 2 shown]
	v_add_f64 v[30:31], v[30:31], v[42:43]
	v_add_f64 v[32:33], v[46:47], v[44:45]
	v_fma_f64 v[12:13], v[12:13], v[1:2], -v[48:49]
	v_fma_f64 v[1:2], v[14:15], v[1:2], v[3:4]
	s_delay_alu instid0(VALU_DEP_4) | instskip(NEXT) | instid1(VALU_DEP_4)
	v_add_f64 v[3:4], v[30:31], v[22:23]
	v_add_f64 v[14:15], v[32:33], v[24:25]
	v_fma_f64 v[22:23], v[26:27], v[34:35], -v[38:39]
	v_fma_f64 v[24:25], v[28:29], v[34:35], v[36:37]
	s_delay_alu instid0(VALU_DEP_4) | instskip(NEXT) | instid1(VALU_DEP_4)
	v_add_f64 v[3:4], v[3:4], v[12:13]
	v_add_f64 v[1:2], v[14:15], v[1:2]
	s_delay_alu instid0(VALU_DEP_2) | instskip(NEXT) | instid1(VALU_DEP_2)
	v_add_f64 v[14:15], v[3:4], v[22:23]
	v_add_f64 v[12:13], v[1:2], v[24:25]
	s_cbranch_scc1 .LBB286_9
.LBB286_3:                              ; =>This Inner Loop Header: Depth=1
	v_add_nc_u32_e32 v1, s14, v17
	s_delay_alu instid0(VALU_DEP_1) | instskip(NEXT) | instid1(VALU_DEP_1)
	v_cmp_le_i32_e64 s2, s17, v1
	s_or_b32 s2, s3, s2
	s_delay_alu instid0(SALU_CYCLE_1) | instskip(NEXT) | instid1(SALU_CYCLE_1)
	s_and_saveexec_b32 s12, s2
	s_xor_b32 s2, exec_lo, s12
	s_cbranch_execz .LBB286_5
; %bb.4:                                ;   in Loop: Header=BB286_3 Depth=1
	v_mov_b32_e32 v1, v0
	v_mov_b32_e32 v2, v0
	;; [unrolled: 1-line block ×3, first 2 shown]
	ds_store_b128 v20, v[0:3]
.LBB286_5:                              ;   in Loop: Header=BB286_3 Depth=1
	s_and_not1_saveexec_b32 s2, s2
	s_cbranch_execz .LBB286_7
; %bb.6:                                ;   in Loop: Header=BB286_3 Depth=1
	global_load_b128 v[1:4], v[10:11], off
	s_waitcnt vmcnt(0)
	ds_store_2addr_b64 v20, v[1:2], v[3:4] offset1:1
.LBB286_7:                              ;   in Loop: Header=BB286_3 Depth=1
	s_or_b32 exec_lo, exec_lo, s2
	v_add_nc_u32_e32 v3, s14, v16
	v_mov_b32_e32 v1, 0
	v_mov_b32_e32 v2, 0
	s_delay_alu instid0(VALU_DEP_3) | instskip(NEXT) | instid1(VALU_DEP_2)
	v_cmp_gt_i32_e64 s2, s17, v3
	v_dual_mov_b32 v4, v2 :: v_dual_mov_b32 v3, v1
	s_delay_alu instid0(VALU_DEP_2) | instskip(NEXT) | instid1(SALU_CYCLE_1)
	s_and_b32 s12, vcc_lo, s2
	s_and_saveexec_b32 s2, s12
	s_cbranch_execz .LBB286_2
; %bb.8:                                ;   in Loop: Header=BB286_3 Depth=1
	global_load_b128 v[1:4], v[8:9], off offset:-8
	s_branch .LBB286_2
.LBB286_9:
	v_cmp_le_i32_e32 vcc_lo, v5, v7
	v_cmp_gt_i32_e64 s2, s16, v7
	s_delay_alu instid0(VALU_DEP_1) | instskip(NEXT) | instid1(SALU_CYCLE_1)
	s_and_b32 s2, vcc_lo, s2
	s_and_saveexec_b32 s3, s2
	s_cbranch_execz .LBB286_11
; %bb.10:
	s_delay_alu instid0(VALU_DEP_3)
	v_mul_f64 v[0:1], s[6:7], v[12:13]
	v_mul_f64 v[2:3], s[4:5], v[12:13]
	s_clause 0x2
	s_load_b32 s8, s[0:1], 0x60
	s_load_b64 s[2:3], s[0:1], 0x68
	s_load_b64 s[0:1], s[0:1], 0x58
	v_lshlrev_b64 v[4:5], 4, v[5:6]
	s_waitcnt lgkmcnt(0)
	v_mad_i64_i32 v[8:9], null, s8, v7, 0
	s_mul_i32 s3, s15, s3
	s_delay_alu instid0(VALU_DEP_1)
	v_lshlrev_b64 v[7:8], 4, v[8:9]
	v_fma_f64 v[0:1], s[4:5], v[14:15], -v[0:1]
	v_fma_f64 v[2:3], s[6:7], v[14:15], v[2:3]
	s_mul_hi_u32 s4, s15, s2
	s_mul_i32 s2, s15, s2
	s_add_i32 s3, s4, s3
	s_delay_alu instid0(SALU_CYCLE_1) | instskip(NEXT) | instid1(SALU_CYCLE_1)
	s_lshl_b64 s[2:3], s[2:3], 4
	s_add_u32 s0, s0, s2
	s_addc_u32 s1, s1, s3
	v_add_co_u32 v6, vcc_lo, s0, v7
	v_add_co_ci_u32_e32 v7, vcc_lo, s1, v8, vcc_lo
	s_delay_alu instid0(VALU_DEP_2) | instskip(NEXT) | instid1(VALU_DEP_2)
	v_add_co_u32 v4, vcc_lo, v6, v4
	v_add_co_ci_u32_e32 v5, vcc_lo, v7, v5, vcc_lo
	global_store_b128 v[4:5], v[0:3], off
.LBB286_11:
	s_nop 0
	s_sendmsg sendmsg(MSG_DEALLOC_VGPRS)
	s_endpgm
	.section	.rodata,"a",@progbits
	.p2align	6, 0x0
	.amdhsa_kernel _ZL32rocblas_syrkx_herkx_small_kernelIi19rocblas_complex_numIdELi16ELb1ELb0ELc78ELc85EKS1_S1_EviT_T0_PT6_S3_lS6_S3_lS4_PT7_S3_li
		.amdhsa_group_segment_fixed_size 8192
		.amdhsa_private_segment_fixed_size 0
		.amdhsa_kernarg_size 116
		.amdhsa_user_sgpr_count 13
		.amdhsa_user_sgpr_dispatch_ptr 0
		.amdhsa_user_sgpr_queue_ptr 0
		.amdhsa_user_sgpr_kernarg_segment_ptr 1
		.amdhsa_user_sgpr_dispatch_id 0
		.amdhsa_user_sgpr_private_segment_size 0
		.amdhsa_wavefront_size32 1
		.amdhsa_uses_dynamic_stack 0
		.amdhsa_enable_private_segment 0
		.amdhsa_system_sgpr_workgroup_id_x 1
		.amdhsa_system_sgpr_workgroup_id_y 1
		.amdhsa_system_sgpr_workgroup_id_z 1
		.amdhsa_system_sgpr_workgroup_info 0
		.amdhsa_system_vgpr_workitem_id 1
		.amdhsa_next_free_vgpr 50
		.amdhsa_next_free_sgpr 25
		.amdhsa_reserve_vcc 1
		.amdhsa_float_round_mode_32 0
		.amdhsa_float_round_mode_16_64 0
		.amdhsa_float_denorm_mode_32 3
		.amdhsa_float_denorm_mode_16_64 3
		.amdhsa_dx10_clamp 1
		.amdhsa_ieee_mode 1
		.amdhsa_fp16_overflow 0
		.amdhsa_workgroup_processor_mode 1
		.amdhsa_memory_ordered 1
		.amdhsa_forward_progress 0
		.amdhsa_shared_vgpr_count 0
		.amdhsa_exception_fp_ieee_invalid_op 0
		.amdhsa_exception_fp_denorm_src 0
		.amdhsa_exception_fp_ieee_div_zero 0
		.amdhsa_exception_fp_ieee_overflow 0
		.amdhsa_exception_fp_ieee_underflow 0
		.amdhsa_exception_fp_ieee_inexact 0
		.amdhsa_exception_int_div_zero 0
	.end_amdhsa_kernel
	.section	.text._ZL32rocblas_syrkx_herkx_small_kernelIi19rocblas_complex_numIdELi16ELb1ELb0ELc78ELc85EKS1_S1_EviT_T0_PT6_S3_lS6_S3_lS4_PT7_S3_li,"axG",@progbits,_ZL32rocblas_syrkx_herkx_small_kernelIi19rocblas_complex_numIdELi16ELb1ELb0ELc78ELc85EKS1_S1_EviT_T0_PT6_S3_lS6_S3_lS4_PT7_S3_li,comdat
.Lfunc_end286:
	.size	_ZL32rocblas_syrkx_herkx_small_kernelIi19rocblas_complex_numIdELi16ELb1ELb0ELc78ELc85EKS1_S1_EviT_T0_PT6_S3_lS6_S3_lS4_PT7_S3_li, .Lfunc_end286-_ZL32rocblas_syrkx_herkx_small_kernelIi19rocblas_complex_numIdELi16ELb1ELb0ELc78ELc85EKS1_S1_EviT_T0_PT6_S3_lS6_S3_lS4_PT7_S3_li
                                        ; -- End function
	.section	.AMDGPU.csdata,"",@progbits
; Kernel info:
; codeLenInByte = 2012
; NumSgprs: 27
; NumVgprs: 50
; ScratchSize: 0
; MemoryBound: 1
; FloatMode: 240
; IeeeMode: 1
; LDSByteSize: 8192 bytes/workgroup (compile time only)
; SGPRBlocks: 3
; VGPRBlocks: 6
; NumSGPRsForWavesPerEU: 27
; NumVGPRsForWavesPerEU: 50
; Occupancy: 16
; WaveLimiterHint : 0
; COMPUTE_PGM_RSRC2:SCRATCH_EN: 0
; COMPUTE_PGM_RSRC2:USER_SGPR: 13
; COMPUTE_PGM_RSRC2:TRAP_HANDLER: 0
; COMPUTE_PGM_RSRC2:TGID_X_EN: 1
; COMPUTE_PGM_RSRC2:TGID_Y_EN: 1
; COMPUTE_PGM_RSRC2:TGID_Z_EN: 1
; COMPUTE_PGM_RSRC2:TIDIG_COMP_CNT: 1
	.section	.text._ZL32rocblas_syrkx_herkx_small_kernelIi19rocblas_complex_numIdELi16ELb0ELb0ELc84ELc76EKS1_S1_EviT_T0_PT6_S3_lS6_S3_lS4_PT7_S3_li,"axG",@progbits,_ZL32rocblas_syrkx_herkx_small_kernelIi19rocblas_complex_numIdELi16ELb0ELb0ELc84ELc76EKS1_S1_EviT_T0_PT6_S3_lS6_S3_lS4_PT7_S3_li,comdat
	.globl	_ZL32rocblas_syrkx_herkx_small_kernelIi19rocblas_complex_numIdELi16ELb0ELb0ELc84ELc76EKS1_S1_EviT_T0_PT6_S3_lS6_S3_lS4_PT7_S3_li ; -- Begin function _ZL32rocblas_syrkx_herkx_small_kernelIi19rocblas_complex_numIdELi16ELb0ELb0ELc84ELc76EKS1_S1_EviT_T0_PT6_S3_lS6_S3_lS4_PT7_S3_li
	.p2align	8
	.type	_ZL32rocblas_syrkx_herkx_small_kernelIi19rocblas_complex_numIdELi16ELb0ELb0ELc84ELc76EKS1_S1_EviT_T0_PT6_S3_lS6_S3_lS4_PT7_S3_li,@function
_ZL32rocblas_syrkx_herkx_small_kernelIi19rocblas_complex_numIdELi16ELb0ELb0ELc84ELc76EKS1_S1_EviT_T0_PT6_S3_lS6_S3_lS4_PT7_S3_li: ; @_ZL32rocblas_syrkx_herkx_small_kernelIi19rocblas_complex_numIdELi16ELb0ELb0ELc84ELc76EKS1_S1_EviT_T0_PT6_S3_lS6_S3_lS4_PT7_S3_li
; %bb.0:
	s_clause 0x3
	s_load_b64 s[24:25], s[0:1], 0x0
	s_load_b128 s[16:19], s[0:1], 0x8
	s_load_b64 s[26:27], s[0:1], 0x18
	s_load_b256 s[4:11], s[0:1], 0x40
	v_dual_mov_b32 v9, 0 :: v_dual_and_b32 v14, 0x3ff, v0
	v_mov_b32_e32 v10, 0
	v_bfe_u32 v15, v0, 10, 10
	s_mov_b32 s12, 0
	s_delay_alu instid0(VALU_DEP_3) | instskip(NEXT) | instid1(VALU_DEP_3)
	v_lshl_add_u32 v4, s13, 4, v14
	v_dual_mov_b32 v12, v10 :: v_dual_mov_b32 v11, v9
	s_delay_alu instid0(VALU_DEP_3) | instskip(SKIP_1) | instid1(VALU_DEP_3)
	v_lshl_add_u32 v13, s14, 4, v15
	s_waitcnt lgkmcnt(0)
	v_cmp_gt_i32_e32 vcc_lo, s24, v4
	s_cmp_lt_i32 s25, 1
	s_cbranch_scc1 .LBB287_11
; %bb.1:
	s_clause 0x2
	s_load_b32 s3, s[0:1], 0x38
	s_load_b32 s13, s[0:1], 0x20
	s_load_b128 s[20:23], s[0:1], 0x28
	v_dual_mov_b32 v9, 0 :: v_dual_lshlrev_b32 v2, 8, v15
	v_dual_mov_b32 v10, 0 :: v_dual_lshlrev_b32 v7, 4, v15
	v_lshlrev_b32_e32 v16, 4, v14
	s_mul_i32 s5, s5, s15
	s_mul_hi_u32 s14, s4, s15
	v_add_nc_u32_e32 v18, 0x1000, v2
	v_dual_mov_b32 v12, v10 :: v_dual_mov_b32 v11, v9
	v_add_nc_u32_e32 v17, v16, v2
	s_mul_i32 s4, s4, s15
	s_add_i32 s5, s14, s5
	v_cmp_gt_i32_e64 s2, s24, v13
	s_lshl_b64 s[4:5], s[4:5], 4
	v_add_nc_u32_e32 v19, v18, v16
	s_waitcnt lgkmcnt(0)
	v_mad_i64_i32 v[0:1], null, s3, v13, 0
	v_mad_i64_i32 v[2:3], null, s13, v4, 0
	s_mul_i32 s3, s21, s15
	s_mul_hi_u32 s13, s20, s15
	s_mul_i32 s20, s20, s15
	s_add_i32 s21, s13, s3
	s_delay_alu instid0(VALU_DEP_2) | instskip(SKIP_2) | instid1(VALU_DEP_1)
	v_lshlrev_b64 v[0:1], 4, v[0:1]
	s_lshl_b64 s[20:21], s[20:21], 4
	s_xor_b32 s2, s2, -1
	v_add_co_u32 v5, s3, v0, s4
	s_delay_alu instid0(VALU_DEP_1) | instskip(SKIP_1) | instid1(VALU_DEP_3)
	v_add_co_ci_u32_e64 v6, s3, s5, v1, s3
	v_lshlrev_b64 v[0:1], 4, v[2:3]
	v_add_co_u32 v2, s3, v5, v16
	s_delay_alu instid0(VALU_DEP_1) | instskip(NEXT) | instid1(VALU_DEP_3)
	v_add_co_ci_u32_e64 v3, s3, 0, v6, s3
	v_add_co_u32 v0, s3, v0, s20
	s_delay_alu instid0(VALU_DEP_1) | instskip(NEXT) | instid1(VALU_DEP_4)
	v_add_co_ci_u32_e64 v1, s3, s21, v1, s3
	v_add_co_u32 v5, s3, s22, v2
	s_delay_alu instid0(VALU_DEP_1) | instskip(NEXT) | instid1(VALU_DEP_4)
	v_add_co_ci_u32_e64 v6, s3, s23, v3, s3
	v_add_co_u32 v0, s3, v0, v7
	s_delay_alu instid0(VALU_DEP_1) | instskip(NEXT) | instid1(VALU_DEP_2)
	v_add_co_ci_u32_e64 v1, s3, 0, v1, s3
	v_add_co_u32 v7, s3, s26, v0
	v_mov_b32_e32 v0, 0
	s_delay_alu instid0(VALU_DEP_3)
	v_add_co_ci_u32_e64 v8, s3, s27, v1, s3
	s_xor_b32 s3, vcc_lo, -1
	s_branch .LBB287_3
.LBB287_2:                              ;   in Loop: Header=BB287_3 Depth=1
	s_or_b32 exec_lo, exec_lo, s4
	s_waitcnt lgkmcnt(0)
	s_barrier
	buffer_gl0_inv
	ds_load_b128 v[20:23], v16
	ds_load_b128 v[24:27], v18
	ds_load_b128 v[28:31], v18 offset:16
	ds_load_b128 v[32:35], v16 offset:256
	v_add_co_u32 v5, vcc_lo, 0x100, v5
	v_add_co_ci_u32_e32 v6, vcc_lo, 0, v6, vcc_lo
	v_add_co_u32 v7, vcc_lo, 0x100, v7
	v_add_co_ci_u32_e32 v8, vcc_lo, 0, v8, vcc_lo
	s_add_i32 s12, s12, 16
	s_delay_alu instid0(SALU_CYCLE_1)
	s_cmp_ge_i32 s12, s25
	s_waitcnt lgkmcnt(2)
	v_mul_f64 v[1:2], v[26:27], v[22:23]
	v_mul_f64 v[22:23], v[24:25], v[22:23]
	s_waitcnt lgkmcnt(0)
	v_mul_f64 v[42:43], v[30:31], v[34:35]
	v_mul_f64 v[44:45], v[28:29], v[34:35]
	s_delay_alu instid0(VALU_DEP_4) | instskip(NEXT) | instid1(VALU_DEP_4)
	v_fma_f64 v[1:2], v[24:25], v[20:21], -v[1:2]
	v_fma_f64 v[46:47], v[26:27], v[20:21], v[22:23]
	ds_load_b128 v[20:23], v16 offset:512
	ds_load_b128 v[24:27], v18 offset:32
	;; [unrolled: 1-line block ×4, first 2 shown]
	v_fma_f64 v[28:29], v[28:29], v[32:33], -v[42:43]
	v_fma_f64 v[30:31], v[30:31], v[32:33], v[44:45]
	s_waitcnt lgkmcnt(2)
	v_mul_f64 v[48:49], v[26:27], v[22:23]
	v_mul_f64 v[22:23], v[24:25], v[22:23]
	s_waitcnt lgkmcnt(0)
	v_mul_f64 v[32:33], v[36:37], v[40:41]
	v_mul_f64 v[40:41], v[34:35], v[40:41]
	v_add_f64 v[1:2], v[11:12], v[1:2]
	v_add_f64 v[9:10], v[9:10], v[46:47]
	v_fma_f64 v[42:43], v[24:25], v[20:21], -v[48:49]
	v_fma_f64 v[44:45], v[26:27], v[20:21], v[22:23]
	v_fma_f64 v[32:33], v[34:35], v[38:39], -v[32:33]
	v_fma_f64 v[34:35], v[36:37], v[38:39], v[40:41]
	v_add_f64 v[1:2], v[1:2], v[28:29]
	v_add_f64 v[46:47], v[9:10], v[30:31]
	ds_load_b128 v[9:12], v16 offset:1024
	ds_load_b128 v[20:23], v18 offset:64
	;; [unrolled: 1-line block ×4, first 2 shown]
	s_waitcnt lgkmcnt(2)
	v_mul_f64 v[48:49], v[22:23], v[11:12]
	v_mul_f64 v[11:12], v[20:21], v[11:12]
	s_waitcnt lgkmcnt(0)
	v_mul_f64 v[38:39], v[26:27], v[30:31]
	v_mul_f64 v[40:41], v[24:25], v[30:31]
	v_add_f64 v[1:2], v[1:2], v[42:43]
	v_add_f64 v[36:37], v[46:47], v[44:45]
	v_fma_f64 v[42:43], v[20:21], v[9:10], -v[48:49]
	v_fma_f64 v[44:45], v[22:23], v[9:10], v[11:12]
	v_fma_f64 v[24:25], v[24:25], v[28:29], -v[38:39]
	v_fma_f64 v[26:27], v[26:27], v[28:29], v[40:41]
	v_add_f64 v[1:2], v[1:2], v[32:33]
	v_add_f64 v[46:47], v[36:37], v[34:35]
	ds_load_b128 v[9:12], v16 offset:1536
	ds_load_b128 v[20:23], v18 offset:96
	;; [unrolled: 1-line block ×4, first 2 shown]
	s_waitcnt lgkmcnt(2)
	v_mul_f64 v[48:49], v[22:23], v[11:12]
	v_mul_f64 v[11:12], v[20:21], v[11:12]
	s_waitcnt lgkmcnt(0)
	v_mul_f64 v[40:41], v[32:33], v[36:37]
	v_add_f64 v[1:2], v[1:2], v[42:43]
	v_add_f64 v[28:29], v[46:47], v[44:45]
	v_mul_f64 v[42:43], v[30:31], v[36:37]
	v_fma_f64 v[44:45], v[20:21], v[9:10], -v[48:49]
	v_fma_f64 v[46:47], v[22:23], v[9:10], v[11:12]
	v_fma_f64 v[30:31], v[30:31], v[34:35], -v[40:41]
	v_add_f64 v[1:2], v[1:2], v[24:25]
	v_add_f64 v[28:29], v[28:29], v[26:27]
	ds_load_b128 v[9:12], v16 offset:2048
	ds_load_b128 v[20:23], v18 offset:128
	;; [unrolled: 1-line block ×4, first 2 shown]
	v_fma_f64 v[32:33], v[32:33], v[34:35], v[42:43]
	s_waitcnt lgkmcnt(2)
	v_mul_f64 v[48:49], v[22:23], v[11:12]
	v_mul_f64 v[11:12], v[20:21], v[11:12]
	s_waitcnt lgkmcnt(0)
	v_mul_f64 v[40:41], v[26:27], v[38:39]
	v_mul_f64 v[38:39], v[24:25], v[38:39]
	v_add_f64 v[1:2], v[1:2], v[44:45]
	v_add_f64 v[28:29], v[28:29], v[46:47]
	v_fma_f64 v[42:43], v[20:21], v[9:10], -v[48:49]
	v_fma_f64 v[44:45], v[22:23], v[9:10], v[11:12]
	v_fma_f64 v[24:25], v[24:25], v[36:37], -v[40:41]
	v_fma_f64 v[26:27], v[26:27], v[36:37], v[38:39]
	v_add_f64 v[1:2], v[1:2], v[30:31]
	v_add_f64 v[46:47], v[28:29], v[32:33]
	ds_load_b128 v[9:12], v16 offset:2560
	ds_load_b128 v[20:23], v18 offset:160
	;; [unrolled: 1-line block ×4, first 2 shown]
	s_waitcnt lgkmcnt(2)
	v_mul_f64 v[48:49], v[22:23], v[11:12]
	v_mul_f64 v[11:12], v[20:21], v[11:12]
	s_waitcnt lgkmcnt(0)
	v_mul_f64 v[38:39], v[30:31], v[34:35]
	v_mul_f64 v[40:41], v[28:29], v[34:35]
	v_add_f64 v[1:2], v[1:2], v[42:43]
	v_add_f64 v[36:37], v[46:47], v[44:45]
	v_fma_f64 v[42:43], v[20:21], v[9:10], -v[48:49]
	v_fma_f64 v[44:45], v[22:23], v[9:10], v[11:12]
	v_fma_f64 v[28:29], v[28:29], v[32:33], -v[38:39]
	v_fma_f64 v[30:31], v[30:31], v[32:33], v[40:41]
	v_add_f64 v[1:2], v[1:2], v[24:25]
	v_add_f64 v[46:47], v[36:37], v[26:27]
	ds_load_b128 v[9:12], v16 offset:3072
	ds_load_b128 v[20:23], v18 offset:192
	;; [unrolled: 1-line block ×4, first 2 shown]
	s_waitcnt lgkmcnt(2)
	v_mul_f64 v[48:49], v[22:23], v[11:12]
	v_mul_f64 v[11:12], v[20:21], v[11:12]
	s_waitcnt lgkmcnt(0)
	v_mul_f64 v[40:41], v[26:27], v[36:37]
	v_add_f64 v[1:2], v[1:2], v[42:43]
	v_add_f64 v[32:33], v[46:47], v[44:45]
	v_mul_f64 v[42:43], v[24:25], v[36:37]
	v_fma_f64 v[44:45], v[20:21], v[9:10], -v[48:49]
	v_fma_f64 v[46:47], v[22:23], v[9:10], v[11:12]
	v_fma_f64 v[24:25], v[24:25], v[34:35], -v[40:41]
	v_add_f64 v[1:2], v[1:2], v[28:29]
	v_add_f64 v[32:33], v[32:33], v[30:31]
	ds_load_b128 v[9:12], v16 offset:3584
	ds_load_b128 v[20:23], v18 offset:224
	;; [unrolled: 1-line block ×4, first 2 shown]
	v_fma_f64 v[26:27], v[26:27], v[34:35], v[42:43]
	s_waitcnt lgkmcnt(0)
	s_barrier
	buffer_gl0_inv
	v_mul_f64 v[48:49], v[22:23], v[11:12]
	v_mul_f64 v[11:12], v[20:21], v[11:12]
	;; [unrolled: 1-line block ×4, first 2 shown]
	v_add_f64 v[1:2], v[1:2], v[44:45]
	v_add_f64 v[32:33], v[32:33], v[46:47]
	v_fma_f64 v[20:21], v[20:21], v[9:10], -v[48:49]
	v_fma_f64 v[9:10], v[22:23], v[9:10], v[11:12]
	v_fma_f64 v[22:23], v[28:29], v[36:37], -v[34:35]
	v_add_f64 v[1:2], v[1:2], v[24:25]
	v_add_f64 v[11:12], v[32:33], v[26:27]
	v_fma_f64 v[24:25], v[30:31], v[36:37], v[38:39]
	s_delay_alu instid0(VALU_DEP_3) | instskip(NEXT) | instid1(VALU_DEP_3)
	v_add_f64 v[1:2], v[1:2], v[20:21]
	v_add_f64 v[9:10], v[11:12], v[9:10]
	s_delay_alu instid0(VALU_DEP_2) | instskip(NEXT) | instid1(VALU_DEP_2)
	v_add_f64 v[11:12], v[1:2], v[22:23]
	v_add_f64 v[9:10], v[9:10], v[24:25]
	s_cbranch_scc1 .LBB287_11
.LBB287_3:                              ; =>This Inner Loop Header: Depth=1
	v_add_nc_u32_e32 v1, s12, v15
	s_delay_alu instid0(VALU_DEP_1) | instskip(SKIP_1) | instid1(SALU_CYCLE_1)
	v_cmp_le_i32_e32 vcc_lo, s25, v1
	s_or_b32 s4, s3, vcc_lo
	s_and_saveexec_b32 s5, s4
	s_delay_alu instid0(SALU_CYCLE_1)
	s_xor_b32 s4, exec_lo, s5
	s_cbranch_execz .LBB287_5
; %bb.4:                                ;   in Loop: Header=BB287_3 Depth=1
	v_mov_b32_e32 v1, v0
	v_mov_b32_e32 v2, v0
	;; [unrolled: 1-line block ×3, first 2 shown]
	ds_store_b128 v17, v[0:3]
.LBB287_5:                              ;   in Loop: Header=BB287_3 Depth=1
	s_and_not1_saveexec_b32 s4, s4
	s_cbranch_execz .LBB287_7
; %bb.6:                                ;   in Loop: Header=BB287_3 Depth=1
	global_load_b128 v[20:23], v[7:8], off
	s_waitcnt vmcnt(0)
	ds_store_2addr_b64 v17, v[20:21], v[22:23] offset1:1
.LBB287_7:                              ;   in Loop: Header=BB287_3 Depth=1
	s_or_b32 exec_lo, exec_lo, s4
	v_add_nc_u32_e32 v1, s12, v14
	s_delay_alu instid0(VALU_DEP_1) | instskip(SKIP_1) | instid1(SALU_CYCLE_1)
	v_cmp_le_i32_e32 vcc_lo, s25, v1
	s_or_b32 s4, s2, vcc_lo
	s_and_saveexec_b32 s5, s4
	s_delay_alu instid0(SALU_CYCLE_1)
	s_xor_b32 s4, exec_lo, s5
	s_cbranch_execz .LBB287_9
; %bb.8:                                ;   in Loop: Header=BB287_3 Depth=1
	v_mov_b32_e32 v1, v0
	v_mov_b32_e32 v2, v0
	;; [unrolled: 1-line block ×3, first 2 shown]
	ds_store_b128 v19, v[0:3]
.LBB287_9:                              ;   in Loop: Header=BB287_3 Depth=1
	s_and_not1_saveexec_b32 s4, s4
	s_cbranch_execz .LBB287_2
; %bb.10:                               ;   in Loop: Header=BB287_3 Depth=1
	global_load_b128 v[20:23], v[5:6], off
	s_waitcnt vmcnt(0)
	ds_store_2addr_b64 v19, v[20:21], v[22:23] offset1:1
	s_branch .LBB287_2
.LBB287_11:
	v_cmp_le_i32_e32 vcc_lo, v13, v4
	v_cmp_gt_i32_e64 s2, s24, v4
	s_delay_alu instid0(VALU_DEP_1) | instskip(NEXT) | instid1(SALU_CYCLE_1)
	s_and_b32 s2, vcc_lo, s2
	s_and_saveexec_b32 s3, s2
	s_cbranch_execz .LBB287_13
; %bb.12:
	s_clause 0x1
	s_load_b32 s2, s[0:1], 0x60
	s_load_b64 s[0:1], s[0:1], 0x68
	v_ashrrev_i32_e32 v5, 31, v4
	s_delay_alu instid0(VALU_DEP_4) | instskip(SKIP_1) | instid1(VALU_DEP_3)
	v_mul_f64 v[6:7], s[18:19], v[9:10]
	v_mul_f64 v[8:9], s[16:17], v[9:10]
	v_lshlrev_b64 v[2:3], 4, v[4:5]
	s_waitcnt lgkmcnt(0)
	v_mad_i64_i32 v[0:1], null, s2, v13, 0
	s_mul_i32 s1, s15, s1
	s_mul_hi_u32 s2, s15, s0
	s_mul_i32 s0, s15, s0
	s_add_i32 s1, s2, s1
	s_delay_alu instid0(SALU_CYCLE_1) | instskip(NEXT) | instid1(VALU_DEP_1)
	s_lshl_b64 s[0:1], s[0:1], 4
	v_lshlrev_b64 v[0:1], 4, v[0:1]
	s_add_u32 s0, s10, s0
	s_addc_u32 s1, s11, s1
	s_delay_alu instid0(VALU_DEP_1) | instskip(NEXT) | instid1(VALU_DEP_2)
	v_add_co_u32 v0, vcc_lo, s0, v0
	v_add_co_ci_u32_e32 v1, vcc_lo, s1, v1, vcc_lo
	s_delay_alu instid0(VALU_DEP_2) | instskip(NEXT) | instid1(VALU_DEP_2)
	v_add_co_u32 v4, vcc_lo, v0, v2
	v_add_co_ci_u32_e32 v5, vcc_lo, v1, v3, vcc_lo
	v_fma_f64 v[6:7], s[16:17], v[11:12], -v[6:7]
	v_fma_f64 v[8:9], s[18:19], v[11:12], v[8:9]
	global_load_b128 v[0:3], v[4:5], off
	s_waitcnt vmcnt(0)
	v_mul_f64 v[13:14], s[8:9], v[2:3]
	v_mul_f64 v[2:3], s[6:7], v[2:3]
	s_delay_alu instid0(VALU_DEP_2) | instskip(NEXT) | instid1(VALU_DEP_2)
	v_fma_f64 v[10:11], s[6:7], v[0:1], -v[13:14]
	v_fma_f64 v[2:3], s[8:9], v[0:1], v[2:3]
	s_delay_alu instid0(VALU_DEP_2) | instskip(NEXT) | instid1(VALU_DEP_2)
	v_add_f64 v[0:1], v[6:7], v[10:11]
	v_add_f64 v[2:3], v[8:9], v[2:3]
	global_store_b128 v[4:5], v[0:3], off
.LBB287_13:
	s_nop 0
	s_sendmsg sendmsg(MSG_DEALLOC_VGPRS)
	s_endpgm
	.section	.rodata,"a",@progbits
	.p2align	6, 0x0
	.amdhsa_kernel _ZL32rocblas_syrkx_herkx_small_kernelIi19rocblas_complex_numIdELi16ELb0ELb0ELc84ELc76EKS1_S1_EviT_T0_PT6_S3_lS6_S3_lS4_PT7_S3_li
		.amdhsa_group_segment_fixed_size 8192
		.amdhsa_private_segment_fixed_size 0
		.amdhsa_kernarg_size 116
		.amdhsa_user_sgpr_count 13
		.amdhsa_user_sgpr_dispatch_ptr 0
		.amdhsa_user_sgpr_queue_ptr 0
		.amdhsa_user_sgpr_kernarg_segment_ptr 1
		.amdhsa_user_sgpr_dispatch_id 0
		.amdhsa_user_sgpr_private_segment_size 0
		.amdhsa_wavefront_size32 1
		.amdhsa_uses_dynamic_stack 0
		.amdhsa_enable_private_segment 0
		.amdhsa_system_sgpr_workgroup_id_x 1
		.amdhsa_system_sgpr_workgroup_id_y 1
		.amdhsa_system_sgpr_workgroup_id_z 1
		.amdhsa_system_sgpr_workgroup_info 0
		.amdhsa_system_vgpr_workitem_id 1
		.amdhsa_next_free_vgpr 50
		.amdhsa_next_free_sgpr 28
		.amdhsa_reserve_vcc 1
		.amdhsa_float_round_mode_32 0
		.amdhsa_float_round_mode_16_64 0
		.amdhsa_float_denorm_mode_32 3
		.amdhsa_float_denorm_mode_16_64 3
		.amdhsa_dx10_clamp 1
		.amdhsa_ieee_mode 1
		.amdhsa_fp16_overflow 0
		.amdhsa_workgroup_processor_mode 1
		.amdhsa_memory_ordered 1
		.amdhsa_forward_progress 0
		.amdhsa_shared_vgpr_count 0
		.amdhsa_exception_fp_ieee_invalid_op 0
		.amdhsa_exception_fp_denorm_src 0
		.amdhsa_exception_fp_ieee_div_zero 0
		.amdhsa_exception_fp_ieee_overflow 0
		.amdhsa_exception_fp_ieee_underflow 0
		.amdhsa_exception_fp_ieee_inexact 0
		.amdhsa_exception_int_div_zero 0
	.end_amdhsa_kernel
	.section	.text._ZL32rocblas_syrkx_herkx_small_kernelIi19rocblas_complex_numIdELi16ELb0ELb0ELc84ELc76EKS1_S1_EviT_T0_PT6_S3_lS6_S3_lS4_PT7_S3_li,"axG",@progbits,_ZL32rocblas_syrkx_herkx_small_kernelIi19rocblas_complex_numIdELi16ELb0ELb0ELc84ELc76EKS1_S1_EviT_T0_PT6_S3_lS6_S3_lS4_PT7_S3_li,comdat
.Lfunc_end287:
	.size	_ZL32rocblas_syrkx_herkx_small_kernelIi19rocblas_complex_numIdELi16ELb0ELb0ELc84ELc76EKS1_S1_EviT_T0_PT6_S3_lS6_S3_lS4_PT7_S3_li, .Lfunc_end287-_ZL32rocblas_syrkx_herkx_small_kernelIi19rocblas_complex_numIdELi16ELb0ELb0ELc84ELc76EKS1_S1_EviT_T0_PT6_S3_lS6_S3_lS4_PT7_S3_li
                                        ; -- End function
	.section	.AMDGPU.csdata,"",@progbits
; Kernel info:
; codeLenInByte = 2020
; NumSgprs: 30
; NumVgprs: 50
; ScratchSize: 0
; MemoryBound: 0
; FloatMode: 240
; IeeeMode: 1
; LDSByteSize: 8192 bytes/workgroup (compile time only)
; SGPRBlocks: 3
; VGPRBlocks: 6
; NumSGPRsForWavesPerEU: 30
; NumVGPRsForWavesPerEU: 50
; Occupancy: 16
; WaveLimiterHint : 0
; COMPUTE_PGM_RSRC2:SCRATCH_EN: 0
; COMPUTE_PGM_RSRC2:USER_SGPR: 13
; COMPUTE_PGM_RSRC2:TRAP_HANDLER: 0
; COMPUTE_PGM_RSRC2:TGID_X_EN: 1
; COMPUTE_PGM_RSRC2:TGID_Y_EN: 1
; COMPUTE_PGM_RSRC2:TGID_Z_EN: 1
; COMPUTE_PGM_RSRC2:TIDIG_COMP_CNT: 1
	.section	.text._ZL32rocblas_syrkx_herkx_small_kernelIi19rocblas_complex_numIdELi16ELb0ELb0ELc67ELc76EKS1_S1_EviT_T0_PT6_S3_lS6_S3_lS4_PT7_S3_li,"axG",@progbits,_ZL32rocblas_syrkx_herkx_small_kernelIi19rocblas_complex_numIdELi16ELb0ELb0ELc67ELc76EKS1_S1_EviT_T0_PT6_S3_lS6_S3_lS4_PT7_S3_li,comdat
	.globl	_ZL32rocblas_syrkx_herkx_small_kernelIi19rocblas_complex_numIdELi16ELb0ELb0ELc67ELc76EKS1_S1_EviT_T0_PT6_S3_lS6_S3_lS4_PT7_S3_li ; -- Begin function _ZL32rocblas_syrkx_herkx_small_kernelIi19rocblas_complex_numIdELi16ELb0ELb0ELc67ELc76EKS1_S1_EviT_T0_PT6_S3_lS6_S3_lS4_PT7_S3_li
	.p2align	8
	.type	_ZL32rocblas_syrkx_herkx_small_kernelIi19rocblas_complex_numIdELi16ELb0ELb0ELc67ELc76EKS1_S1_EviT_T0_PT6_S3_lS6_S3_lS4_PT7_S3_li,@function
_ZL32rocblas_syrkx_herkx_small_kernelIi19rocblas_complex_numIdELi16ELb0ELb0ELc67ELc76EKS1_S1_EviT_T0_PT6_S3_lS6_S3_lS4_PT7_S3_li: ; @_ZL32rocblas_syrkx_herkx_small_kernelIi19rocblas_complex_numIdELi16ELb0ELb0ELc67ELc76EKS1_S1_EviT_T0_PT6_S3_lS6_S3_lS4_PT7_S3_li
; %bb.0:
	s_clause 0x3
	s_load_b64 s[24:25], s[0:1], 0x0
	s_load_b128 s[16:19], s[0:1], 0x8
	s_load_b64 s[26:27], s[0:1], 0x18
	s_load_b256 s[4:11], s[0:1], 0x40
	v_dual_mov_b32 v14, 0 :: v_dual_and_b32 v17, 0x3ff, v0
	v_mov_b32_e32 v15, 0
	v_bfe_u32 v18, v0, 10, 10
	s_delay_alu instid0(VALU_DEP_3) | instskip(NEXT) | instid1(VALU_DEP_4)
	v_mov_b32_e32 v12, v14
	v_lshl_add_u32 v5, s13, 4, v17
	s_mov_b32 s12, 0
	v_mov_b32_e32 v13, v15
	v_lshl_add_u32 v16, s14, 4, v18
	s_waitcnt lgkmcnt(0)
	v_cmp_gt_i32_e32 vcc_lo, s24, v5
	s_cmp_lt_i32 s25, 1
	s_cbranch_scc1 .LBB288_9
; %bb.1:
	s_clause 0x2
	s_load_b32 s3, s[0:1], 0x38
	s_load_b32 s13, s[0:1], 0x20
	s_load_b128 s[20:23], s[0:1], 0x28
	v_lshlrev_b32_e32 v2, 8, v18
	v_dual_mov_b32 v8, 0 :: v_dual_lshlrev_b32 v19, 4, v17
	v_mov_b32_e32 v9, 0
	s_mul_i32 s5, s5, s15
	s_delay_alu instid0(VALU_DEP_3) | instskip(NEXT) | instid1(VALU_DEP_3)
	v_add_nc_u32_e32 v21, 0x1000, v2
	v_add_nc_u32_e32 v20, v19, v2
	s_mul_hi_u32 s14, s4, s15
	v_mov_b32_e32 v13, v9
	s_mul_i32 s4, s4, s15
	s_add_i32 s5, s14, s5
	v_dual_mov_b32 v15, v9 :: v_dual_lshlrev_b32 v4, 4, v18
	s_lshl_b64 s[4:5], s[4:5], 4
	v_cmp_gt_i32_e64 s2, s24, v16
	v_mov_b32_e32 v14, v8
	v_mov_b32_e32 v12, v8
	s_waitcnt lgkmcnt(0)
	v_mad_i64_i32 v[0:1], null, s3, v16, 0
	v_mad_i64_i32 v[2:3], null, s13, v5, 0
	s_mul_i32 s3, s21, s15
	s_mul_hi_u32 s13, s20, s15
	s_mul_i32 s20, s20, s15
	s_add_i32 s21, s13, s3
	s_delay_alu instid0(VALU_DEP_2) | instskip(SKIP_1) | instid1(VALU_DEP_2)
	v_lshlrev_b64 v[0:1], 4, v[0:1]
	s_lshl_b64 s[20:21], s[20:21], 4
	v_lshlrev_b64 v[2:3], 4, v[2:3]
	s_delay_alu instid0(VALU_DEP_2) | instskip(NEXT) | instid1(VALU_DEP_1)
	v_add_co_u32 v0, s3, v0, s4
	v_add_co_ci_u32_e64 v1, s3, s5, v1, s3
	s_delay_alu instid0(VALU_DEP_3) | instskip(NEXT) | instid1(VALU_DEP_1)
	v_add_co_u32 v2, s3, v2, s20
	v_add_co_ci_u32_e64 v3, s3, s21, v3, s3
	s_delay_alu instid0(VALU_DEP_4) | instskip(NEXT) | instid1(VALU_DEP_1)
	v_add_co_u32 v0, s3, v0, v19
	v_add_co_ci_u32_e64 v1, s3, 0, v1, s3
	s_delay_alu instid0(VALU_DEP_4) | instskip(NEXT) | instid1(VALU_DEP_1)
	v_add_co_u32 v2, s3, v2, v4
	v_add_co_ci_u32_e64 v3, s3, 0, v3, s3
	s_delay_alu instid0(VALU_DEP_4) | instskip(NEXT) | instid1(VALU_DEP_1)
	v_add_co_u32 v6, s3, s22, v0
	v_add_co_ci_u32_e64 v7, s3, s23, v1, s3
	s_delay_alu instid0(VALU_DEP_4) | instskip(NEXT) | instid1(VALU_DEP_1)
	v_add_co_u32 v0, s3, v2, s26
	v_add_co_ci_u32_e64 v1, s3, s27, v3, s3
	s_delay_alu instid0(VALU_DEP_2) | instskip(NEXT) | instid1(VALU_DEP_1)
	v_add_co_u32 v10, s3, v0, 8
	v_add_co_ci_u32_e64 v11, s3, 0, v1, s3
	v_mov_b32_e32 v0, 0
	v_add_nc_u32_e32 v22, v21, v19
	s_xor_b32 s3, s2, -1
	s_branch .LBB288_3
.LBB288_2:                              ;   in Loop: Header=BB288_3 Depth=1
	s_or_b32 exec_lo, exec_lo, s2
	s_waitcnt lgkmcnt(0)
	s_barrier
	buffer_gl0_inv
	ds_load_b128 v[1:4], v19
	ds_load_b128 v[23:26], v21
	ds_load_b128 v[27:30], v21 offset:16
	ds_load_b128 v[31:34], v19 offset:256
	v_add_co_u32 v6, s2, 0x100, v6
	s_delay_alu instid0(VALU_DEP_1) | instskip(SKIP_1) | instid1(VALU_DEP_1)
	v_add_co_ci_u32_e64 v7, s2, 0, v7, s2
	v_add_co_u32 v10, s2, 0x100, v10
	v_add_co_ci_u32_e64 v11, s2, 0, v11, s2
	s_add_i32 s12, s12, 16
	s_delay_alu instid0(SALU_CYCLE_1)
	s_cmp_ge_i32 s12, s25
	s_waitcnt lgkmcnt(2)
	v_mul_f64 v[35:36], v[25:26], v[3:4]
	v_mul_f64 v[3:4], v[23:24], v[3:4]
	s_waitcnt lgkmcnt(0)
	v_mul_f64 v[41:42], v[29:30], v[33:34]
	v_mul_f64 v[43:44], v[27:28], v[33:34]
	s_delay_alu instid0(VALU_DEP_4) | instskip(NEXT) | instid1(VALU_DEP_4)
	v_fma_f64 v[45:46], v[23:24], v[1:2], -v[35:36]
	v_fma_f64 v[47:48], v[25:26], v[1:2], v[3:4]
	ds_load_b128 v[1:4], v19 offset:512
	ds_load_b128 v[23:26], v21 offset:32
	;; [unrolled: 1-line block ×4, first 2 shown]
	v_fma_f64 v[27:28], v[27:28], v[31:32], -v[41:42]
	v_fma_f64 v[29:30], v[29:30], v[31:32], v[43:44]
	s_waitcnt lgkmcnt(2)
	v_mul_f64 v[49:50], v[25:26], v[3:4]
	v_mul_f64 v[3:4], v[23:24], v[3:4]
	s_waitcnt lgkmcnt(0)
	v_mul_f64 v[31:32], v[35:36], v[39:40]
	v_mul_f64 v[39:40], v[33:34], v[39:40]
	v_add_f64 v[12:13], v[12:13], v[45:46]
	v_add_f64 v[14:15], v[14:15], v[47:48]
	v_fma_f64 v[41:42], v[23:24], v[1:2], -v[49:50]
	v_fma_f64 v[43:44], v[25:26], v[1:2], v[3:4]
	v_fma_f64 v[31:32], v[33:34], v[37:38], -v[31:32]
	v_fma_f64 v[33:34], v[35:36], v[37:38], v[39:40]
	v_add_f64 v[45:46], v[12:13], v[27:28]
	v_add_f64 v[47:48], v[14:15], v[29:30]
	ds_load_b128 v[1:4], v19 offset:1024
	ds_load_b128 v[12:15], v21 offset:64
	;; [unrolled: 1-line block ×4, first 2 shown]
	s_waitcnt lgkmcnt(2)
	v_mul_f64 v[49:50], v[14:15], v[3:4]
	v_mul_f64 v[3:4], v[12:13], v[3:4]
	s_waitcnt lgkmcnt(0)
	v_mul_f64 v[39:40], v[25:26], v[29:30]
	v_add_f64 v[35:36], v[45:46], v[41:42]
	v_add_f64 v[37:38], v[47:48], v[43:44]
	v_mul_f64 v[41:42], v[23:24], v[29:30]
	v_fma_f64 v[43:44], v[12:13], v[1:2], -v[49:50]
	v_fma_f64 v[45:46], v[14:15], v[1:2], v[3:4]
	v_fma_f64 v[23:24], v[23:24], v[27:28], -v[39:40]
	v_add_f64 v[47:48], v[35:36], v[31:32]
	v_add_f64 v[37:38], v[37:38], v[33:34]
	ds_load_b128 v[1:4], v19 offset:1536
	ds_load_b128 v[12:15], v21 offset:96
	;; [unrolled: 1-line block ×4, first 2 shown]
	v_fma_f64 v[25:26], v[25:26], v[27:28], v[41:42]
	s_waitcnt lgkmcnt(2)
	v_mul_f64 v[49:50], v[14:15], v[3:4]
	v_mul_f64 v[3:4], v[12:13], v[3:4]
	s_waitcnt lgkmcnt(0)
	v_mul_f64 v[39:40], v[31:32], v[35:36]
	v_mul_f64 v[41:42], v[29:30], v[35:36]
	v_add_f64 v[27:28], v[47:48], v[43:44]
	v_add_f64 v[37:38], v[37:38], v[45:46]
	v_fma_f64 v[43:44], v[12:13], v[1:2], -v[49:50]
	v_fma_f64 v[45:46], v[14:15], v[1:2], v[3:4]
	v_fma_f64 v[29:30], v[29:30], v[33:34], -v[39:40]
	v_fma_f64 v[31:32], v[31:32], v[33:34], v[41:42]
	v_add_f64 v[27:28], v[27:28], v[23:24]
	v_add_f64 v[47:48], v[37:38], v[25:26]
	ds_load_b128 v[1:4], v19 offset:2048
	ds_load_b128 v[12:15], v21 offset:128
	;; [unrolled: 1-line block ×4, first 2 shown]
	s_waitcnt lgkmcnt(2)
	v_mul_f64 v[49:50], v[14:15], v[3:4]
	v_mul_f64 v[3:4], v[12:13], v[3:4]
	s_waitcnt lgkmcnt(0)
	v_mul_f64 v[39:40], v[25:26], v[37:38]
	v_mul_f64 v[37:38], v[23:24], v[37:38]
	v_add_f64 v[27:28], v[27:28], v[43:44]
	v_add_f64 v[33:34], v[47:48], v[45:46]
	v_fma_f64 v[41:42], v[12:13], v[1:2], -v[49:50]
	v_fma_f64 v[43:44], v[14:15], v[1:2], v[3:4]
	v_fma_f64 v[23:24], v[23:24], v[35:36], -v[39:40]
	v_fma_f64 v[25:26], v[25:26], v[35:36], v[37:38]
	v_add_f64 v[45:46], v[27:28], v[29:30]
	v_add_f64 v[47:48], v[33:34], v[31:32]
	ds_load_b128 v[1:4], v19 offset:2560
	ds_load_b128 v[12:15], v21 offset:160
	;; [unrolled: 1-line block ×4, first 2 shown]
	s_waitcnt lgkmcnt(2)
	v_mul_f64 v[49:50], v[14:15], v[3:4]
	v_mul_f64 v[3:4], v[12:13], v[3:4]
	s_waitcnt lgkmcnt(0)
	v_mul_f64 v[39:40], v[29:30], v[33:34]
	v_add_f64 v[35:36], v[45:46], v[41:42]
	v_add_f64 v[37:38], v[47:48], v[43:44]
	v_mul_f64 v[41:42], v[27:28], v[33:34]
	v_fma_f64 v[43:44], v[12:13], v[1:2], -v[49:50]
	v_fma_f64 v[45:46], v[14:15], v[1:2], v[3:4]
	v_fma_f64 v[27:28], v[27:28], v[31:32], -v[39:40]
	v_add_f64 v[47:48], v[35:36], v[23:24]
	v_add_f64 v[37:38], v[37:38], v[25:26]
	ds_load_b128 v[1:4], v19 offset:3072
	ds_load_b128 v[12:15], v21 offset:192
	;; [unrolled: 1-line block ×4, first 2 shown]
	v_fma_f64 v[29:30], v[29:30], v[31:32], v[41:42]
	s_waitcnt lgkmcnt(2)
	v_mul_f64 v[49:50], v[14:15], v[3:4]
	v_mul_f64 v[3:4], v[12:13], v[3:4]
	s_waitcnt lgkmcnt(0)
	v_mul_f64 v[39:40], v[25:26], v[35:36]
	v_mul_f64 v[41:42], v[23:24], v[35:36]
	v_add_f64 v[31:32], v[47:48], v[43:44]
	v_add_f64 v[37:38], v[37:38], v[45:46]
	v_fma_f64 v[43:44], v[12:13], v[1:2], -v[49:50]
	v_fma_f64 v[45:46], v[14:15], v[1:2], v[3:4]
	v_fma_f64 v[23:24], v[23:24], v[33:34], -v[39:40]
	v_fma_f64 v[25:26], v[25:26], v[33:34], v[41:42]
	v_add_f64 v[31:32], v[31:32], v[27:28]
	v_add_f64 v[47:48], v[37:38], v[29:30]
	ds_load_b128 v[1:4], v19 offset:3584
	ds_load_b128 v[12:15], v21 offset:224
	;; [unrolled: 1-line block ×4, first 2 shown]
	s_waitcnt lgkmcnt(0)
	s_barrier
	buffer_gl0_inv
	v_mul_f64 v[49:50], v[14:15], v[3:4]
	v_mul_f64 v[3:4], v[12:13], v[3:4]
	;; [unrolled: 1-line block ×4, first 2 shown]
	v_add_f64 v[31:32], v[31:32], v[43:44]
	v_add_f64 v[33:34], v[47:48], v[45:46]
	v_fma_f64 v[12:13], v[12:13], v[1:2], -v[49:50]
	v_fma_f64 v[1:2], v[14:15], v[1:2], v[3:4]
	s_delay_alu instid0(VALU_DEP_4) | instskip(NEXT) | instid1(VALU_DEP_4)
	v_add_f64 v[3:4], v[31:32], v[23:24]
	v_add_f64 v[14:15], v[33:34], v[25:26]
	v_fma_f64 v[23:24], v[27:28], v[35:36], -v[39:40]
	v_fma_f64 v[25:26], v[29:30], v[35:36], v[37:38]
	s_delay_alu instid0(VALU_DEP_4) | instskip(NEXT) | instid1(VALU_DEP_4)
	v_add_f64 v[3:4], v[3:4], v[12:13]
	v_add_f64 v[1:2], v[14:15], v[1:2]
	s_delay_alu instid0(VALU_DEP_2) | instskip(NEXT) | instid1(VALU_DEP_2)
	v_add_f64 v[12:13], v[3:4], v[23:24]
	v_add_f64 v[14:15], v[1:2], v[25:26]
	s_cbranch_scc1 .LBB288_9
.LBB288_3:                              ; =>This Inner Loop Header: Depth=1
	v_add_nc_u32_e32 v1, s12, v18
	v_dual_mov_b32 v3, v8 :: v_dual_mov_b32 v4, v9
	s_delay_alu instid0(VALU_DEP_2) | instskip(SKIP_1) | instid1(VALU_DEP_2)
	v_cmp_gt_i32_e64 s2, s25, v1
	v_dual_mov_b32 v1, v8 :: v_dual_mov_b32 v2, v9
	s_and_b32 s4, vcc_lo, s2
	s_delay_alu instid0(SALU_CYCLE_1)
	s_and_saveexec_b32 s2, s4
	s_cbranch_execz .LBB288_5
; %bb.4:                                ;   in Loop: Header=BB288_3 Depth=1
	global_load_b128 v[1:4], v[10:11], off offset:-8
.LBB288_5:                              ;   in Loop: Header=BB288_3 Depth=1
	s_or_b32 exec_lo, exec_lo, s2
	v_add_nc_u32_e32 v23, s12, v17
	s_waitcnt vmcnt(0)
	ds_store_b128 v20, v[1:4]
	v_cmp_le_i32_e64 s2, s25, v23
	s_delay_alu instid0(VALU_DEP_1) | instskip(NEXT) | instid1(SALU_CYCLE_1)
	s_or_b32 s2, s3, s2
	s_and_saveexec_b32 s4, s2
	s_delay_alu instid0(SALU_CYCLE_1)
	s_xor_b32 s2, exec_lo, s4
	s_cbranch_execz .LBB288_7
; %bb.6:                                ;   in Loop: Header=BB288_3 Depth=1
	v_mov_b32_e32 v1, v0
	v_mov_b32_e32 v2, v0
	;; [unrolled: 1-line block ×3, first 2 shown]
	ds_store_b128 v22, v[0:3]
.LBB288_7:                              ;   in Loop: Header=BB288_3 Depth=1
	s_and_not1_saveexec_b32 s2, s2
	s_cbranch_execz .LBB288_2
; %bb.8:                                ;   in Loop: Header=BB288_3 Depth=1
	global_load_b128 v[1:4], v[6:7], off
	s_waitcnt vmcnt(0)
	ds_store_2addr_b64 v22, v[1:2], v[3:4] offset1:1
	s_branch .LBB288_2
.LBB288_9:
	v_cmp_le_i32_e32 vcc_lo, v16, v5
	v_cmp_gt_i32_e64 s2, s24, v5
	s_delay_alu instid0(VALU_DEP_1) | instskip(NEXT) | instid1(SALU_CYCLE_1)
	s_and_b32 s2, vcc_lo, s2
	s_and_saveexec_b32 s3, s2
	s_cbranch_execz .LBB288_11
; %bb.10:
	s_clause 0x1
	s_load_b32 s2, s[0:1], 0x60
	s_load_b64 s[0:1], s[0:1], 0x68
	v_ashrrev_i32_e32 v6, 31, v5
	s_delay_alu instid0(VALU_DEP_4) | instskip(NEXT) | instid1(VALU_DEP_2)
	v_mul_f64 v[8:9], s[16:17], v[14:15]
	v_lshlrev_b64 v[2:3], 4, v[5:6]
	v_mul_f64 v[6:7], s[18:19], v[14:15]
	s_waitcnt lgkmcnt(0)
	v_mad_i64_i32 v[0:1], null, s2, v16, 0
	s_mul_i32 s1, s15, s1
	s_mul_hi_u32 s2, s15, s0
	s_mul_i32 s0, s15, s0
	s_add_i32 s1, s2, s1
	s_delay_alu instid0(SALU_CYCLE_1) | instskip(NEXT) | instid1(VALU_DEP_1)
	s_lshl_b64 s[0:1], s[0:1], 4
	v_lshlrev_b64 v[0:1], 4, v[0:1]
	s_add_u32 s0, s10, s0
	s_addc_u32 s1, s11, s1
	s_delay_alu instid0(VALU_DEP_1) | instskip(NEXT) | instid1(VALU_DEP_2)
	v_add_co_u32 v0, vcc_lo, s0, v0
	v_add_co_ci_u32_e32 v1, vcc_lo, s1, v1, vcc_lo
	s_delay_alu instid0(VALU_DEP_2) | instskip(NEXT) | instid1(VALU_DEP_2)
	v_add_co_u32 v4, vcc_lo, v0, v2
	v_add_co_ci_u32_e32 v5, vcc_lo, v1, v3, vcc_lo
	v_fma_f64 v[8:9], s[18:19], v[12:13], v[8:9]
	v_fma_f64 v[6:7], s[16:17], v[12:13], -v[6:7]
	global_load_b128 v[0:3], v[4:5], off
	s_waitcnt vmcnt(0)
	v_mul_f64 v[10:11], s[8:9], v[2:3]
	v_mul_f64 v[2:3], s[6:7], v[2:3]
	s_delay_alu instid0(VALU_DEP_2) | instskip(NEXT) | instid1(VALU_DEP_2)
	v_fma_f64 v[10:11], s[6:7], v[0:1], -v[10:11]
	v_fma_f64 v[2:3], s[8:9], v[0:1], v[2:3]
	s_delay_alu instid0(VALU_DEP_2) | instskip(NEXT) | instid1(VALU_DEP_2)
	v_add_f64 v[0:1], v[6:7], v[10:11]
	v_add_f64 v[2:3], v[8:9], v[2:3]
	global_store_b128 v[4:5], v[0:3], off
.LBB288_11:
	s_nop 0
	s_sendmsg sendmsg(MSG_DEALLOC_VGPRS)
	s_endpgm
	.section	.rodata,"a",@progbits
	.p2align	6, 0x0
	.amdhsa_kernel _ZL32rocblas_syrkx_herkx_small_kernelIi19rocblas_complex_numIdELi16ELb0ELb0ELc67ELc76EKS1_S1_EviT_T0_PT6_S3_lS6_S3_lS4_PT7_S3_li
		.amdhsa_group_segment_fixed_size 8192
		.amdhsa_private_segment_fixed_size 0
		.amdhsa_kernarg_size 116
		.amdhsa_user_sgpr_count 13
		.amdhsa_user_sgpr_dispatch_ptr 0
		.amdhsa_user_sgpr_queue_ptr 0
		.amdhsa_user_sgpr_kernarg_segment_ptr 1
		.amdhsa_user_sgpr_dispatch_id 0
		.amdhsa_user_sgpr_private_segment_size 0
		.amdhsa_wavefront_size32 1
		.amdhsa_uses_dynamic_stack 0
		.amdhsa_enable_private_segment 0
		.amdhsa_system_sgpr_workgroup_id_x 1
		.amdhsa_system_sgpr_workgroup_id_y 1
		.amdhsa_system_sgpr_workgroup_id_z 1
		.amdhsa_system_sgpr_workgroup_info 0
		.amdhsa_system_vgpr_workitem_id 1
		.amdhsa_next_free_vgpr 51
		.amdhsa_next_free_sgpr 28
		.amdhsa_reserve_vcc 1
		.amdhsa_float_round_mode_32 0
		.amdhsa_float_round_mode_16_64 0
		.amdhsa_float_denorm_mode_32 3
		.amdhsa_float_denorm_mode_16_64 3
		.amdhsa_dx10_clamp 1
		.amdhsa_ieee_mode 1
		.amdhsa_fp16_overflow 0
		.amdhsa_workgroup_processor_mode 1
		.amdhsa_memory_ordered 1
		.amdhsa_forward_progress 0
		.amdhsa_shared_vgpr_count 0
		.amdhsa_exception_fp_ieee_invalid_op 0
		.amdhsa_exception_fp_denorm_src 0
		.amdhsa_exception_fp_ieee_div_zero 0
		.amdhsa_exception_fp_ieee_overflow 0
		.amdhsa_exception_fp_ieee_underflow 0
		.amdhsa_exception_fp_ieee_inexact 0
		.amdhsa_exception_int_div_zero 0
	.end_amdhsa_kernel
	.section	.text._ZL32rocblas_syrkx_herkx_small_kernelIi19rocblas_complex_numIdELi16ELb0ELb0ELc67ELc76EKS1_S1_EviT_T0_PT6_S3_lS6_S3_lS4_PT7_S3_li,"axG",@progbits,_ZL32rocblas_syrkx_herkx_small_kernelIi19rocblas_complex_numIdELi16ELb0ELb0ELc67ELc76EKS1_S1_EviT_T0_PT6_S3_lS6_S3_lS4_PT7_S3_li,comdat
.Lfunc_end288:
	.size	_ZL32rocblas_syrkx_herkx_small_kernelIi19rocblas_complex_numIdELi16ELb0ELb0ELc67ELc76EKS1_S1_EviT_T0_PT6_S3_lS6_S3_lS4_PT7_S3_li, .Lfunc_end288-_ZL32rocblas_syrkx_herkx_small_kernelIi19rocblas_complex_numIdELi16ELb0ELb0ELc67ELc76EKS1_S1_EviT_T0_PT6_S3_lS6_S3_lS4_PT7_S3_li
                                        ; -- End function
	.section	.AMDGPU.csdata,"",@progbits
; Kernel info:
; codeLenInByte = 2052
; NumSgprs: 30
; NumVgprs: 51
; ScratchSize: 0
; MemoryBound: 1
; FloatMode: 240
; IeeeMode: 1
; LDSByteSize: 8192 bytes/workgroup (compile time only)
; SGPRBlocks: 3
; VGPRBlocks: 6
; NumSGPRsForWavesPerEU: 30
; NumVGPRsForWavesPerEU: 51
; Occupancy: 16
; WaveLimiterHint : 0
; COMPUTE_PGM_RSRC2:SCRATCH_EN: 0
; COMPUTE_PGM_RSRC2:USER_SGPR: 13
; COMPUTE_PGM_RSRC2:TRAP_HANDLER: 0
; COMPUTE_PGM_RSRC2:TGID_X_EN: 1
; COMPUTE_PGM_RSRC2:TGID_Y_EN: 1
; COMPUTE_PGM_RSRC2:TGID_Z_EN: 1
; COMPUTE_PGM_RSRC2:TIDIG_COMP_CNT: 1
	.section	.text._ZL32rocblas_syrkx_herkx_small_kernelIi19rocblas_complex_numIdELi16ELb0ELb0ELc78ELc76EKS1_S1_EviT_T0_PT6_S3_lS6_S3_lS4_PT7_S3_li,"axG",@progbits,_ZL32rocblas_syrkx_herkx_small_kernelIi19rocblas_complex_numIdELi16ELb0ELb0ELc78ELc76EKS1_S1_EviT_T0_PT6_S3_lS6_S3_lS4_PT7_S3_li,comdat
	.globl	_ZL32rocblas_syrkx_herkx_small_kernelIi19rocblas_complex_numIdELi16ELb0ELb0ELc78ELc76EKS1_S1_EviT_T0_PT6_S3_lS6_S3_lS4_PT7_S3_li ; -- Begin function _ZL32rocblas_syrkx_herkx_small_kernelIi19rocblas_complex_numIdELi16ELb0ELb0ELc78ELc76EKS1_S1_EviT_T0_PT6_S3_lS6_S3_lS4_PT7_S3_li
	.p2align	8
	.type	_ZL32rocblas_syrkx_herkx_small_kernelIi19rocblas_complex_numIdELi16ELb0ELb0ELc78ELc76EKS1_S1_EviT_T0_PT6_S3_lS6_S3_lS4_PT7_S3_li,@function
_ZL32rocblas_syrkx_herkx_small_kernelIi19rocblas_complex_numIdELi16ELb0ELb0ELc78ELc76EKS1_S1_EviT_T0_PT6_S3_lS6_S3_lS4_PT7_S3_li: ; @_ZL32rocblas_syrkx_herkx_small_kernelIi19rocblas_complex_numIdELi16ELb0ELb0ELc78ELc76EKS1_S1_EviT_T0_PT6_S3_lS6_S3_lS4_PT7_S3_li
; %bb.0:
	s_clause 0x3
	s_load_b64 s[24:25], s[0:1], 0x0
	s_load_b128 s[16:19], s[0:1], 0x8
	s_load_b64 s[26:27], s[0:1], 0x18
	s_load_b256 s[4:11], s[0:1], 0x40
	v_and_b32_e32 v16, 0x3ff, v0
	v_mov_b32_e32 v12, 0
	v_mov_b32_e32 v13, 0
	v_bfe_u32 v17, v0, 10, 10
	s_delay_alu instid0(VALU_DEP_4) | instskip(NEXT) | instid1(VALU_DEP_3)
	v_lshl_add_u32 v5, s13, 4, v16
	v_dual_mov_b32 v15, v13 :: v_dual_mov_b32 v14, v12
	s_delay_alu instid0(VALU_DEP_3) | instskip(NEXT) | instid1(VALU_DEP_3)
	v_lshl_add_u32 v7, s14, 4, v17
	v_ashrrev_i32_e32 v6, 31, v5
	s_mov_b32 s14, 0
	s_waitcnt lgkmcnt(0)
	v_cmp_gt_i32_e64 s2, s24, v5
	s_cmp_lt_i32 s25, 1
	s_cbranch_scc1 .LBB289_9
; %bb.1:
	s_clause 0x2
	s_load_b32 s12, s[0:1], 0x38
	s_load_b32 s28, s[0:1], 0x20
	s_load_b128 s[20:23], s[0:1], 0x28
	v_ashrrev_i32_e32 v8, 31, v7
	s_mul_i32 s3, s5, s15
	s_mul_hi_u32 s5, s4, s15
	s_mul_i32 s4, s4, s15
	s_add_i32 s5, s5, s3
	v_lshlrev_b64 v[8:9], 4, v[7:8]
	s_lshl_b64 s[4:5], s[4:5], 4
	v_mov_b32_e32 v12, 0
	v_dual_mov_b32 v13, 0 :: v_dual_lshlrev_b32 v4, 8, v17
	v_lshlrev_b32_e32 v18, 4, v16
	v_lshlrev_b64 v[0:1], 4, v[5:6]
	v_cmp_gt_i32_e32 vcc_lo, s24, v7
	s_delay_alu instid0(VALU_DEP_4) | instskip(NEXT) | instid1(VALU_DEP_4)
	v_add_nc_u32_e32 v19, 0x1000, v4
	v_dual_mov_b32 v15, v13 :: v_dual_add_nc_u32 v20, v18, v4
	v_mov_b32_e32 v14, v12
	s_waitcnt lgkmcnt(0)
	v_mad_i64_i32 v[2:3], null, s12, v16, 0
	s_mul_i32 s3, s21, s15
	s_mul_hi_u32 s21, s20, s15
	v_mad_i64_i32 v[10:11], null, s28, v17, 0
	s_add_i32 s21, s21, s3
	s_mul_i32 s20, s20, s15
	s_delay_alu instid0(VALU_DEP_2) | instskip(SKIP_2) | instid1(VALU_DEP_1)
	v_lshlrev_b64 v[2:3], 4, v[2:3]
	s_ashr_i32 s29, s28, 31
	s_ashr_i32 s13, s12, 31
	v_add_co_u32 v2, s3, s4, v2
	s_delay_alu instid0(VALU_DEP_1) | instskip(SKIP_1) | instid1(VALU_DEP_2)
	v_add_co_ci_u32_e64 v3, s3, s5, v3, s3
	s_lshl_b64 s[4:5], s[20:21], 4
	v_add_co_u32 v4, s3, v2, v8
	s_delay_alu instid0(VALU_DEP_1) | instskip(SKIP_1) | instid1(VALU_DEP_3)
	v_add_co_ci_u32_e64 v8, s3, v3, v9, s3
	v_lshlrev_b64 v[2:3], 4, v[10:11]
	v_add_co_u32 v4, s3, v4, s22
	s_delay_alu instid0(VALU_DEP_1) | instskip(NEXT) | instid1(VALU_DEP_3)
	v_add_co_ci_u32_e64 v9, s3, s23, v8, s3
	v_add_co_u32 v2, s3, s4, v2
	s_delay_alu instid0(VALU_DEP_1) | instskip(NEXT) | instid1(VALU_DEP_4)
	v_add_co_ci_u32_e64 v3, s3, s5, v3, s3
	v_add_co_u32 v8, s3, v4, 8
	s_delay_alu instid0(VALU_DEP_1) | instskip(NEXT) | instid1(VALU_DEP_4)
	v_add_co_ci_u32_e64 v9, s3, 0, v9, s3
	v_add_co_u32 v0, s3, v2, v0
	s_delay_alu instid0(VALU_DEP_1) | instskip(SKIP_1) | instid1(VALU_DEP_2)
	v_add_co_ci_u32_e64 v1, s3, v3, v1, s3
	s_lshl_b64 s[4:5], s[12:13], 8
	v_add_co_u32 v10, s3, s26, v0
	v_dual_mov_b32 v0, 0 :: v_dual_add_nc_u32 v21, v19, v18
	s_delay_alu instid0(VALU_DEP_3)
	v_add_co_ci_u32_e64 v11, s3, s27, v1, s3
	s_lshl_b64 s[12:13], s[28:29], 8
	s_xor_b32 s3, s2, -1
	s_branch .LBB289_3
.LBB289_2:                              ;   in Loop: Header=BB289_3 Depth=1
	s_or_b32 exec_lo, exec_lo, s2
	s_waitcnt vmcnt(0)
	ds_store_b128 v21, v[1:4]
	s_waitcnt lgkmcnt(0)
	s_barrier
	buffer_gl0_inv
	ds_load_b128 v[1:4], v18
	ds_load_b128 v[22:25], v19
	ds_load_b128 v[26:29], v19 offset:16
	ds_load_b128 v[30:33], v18 offset:256
	v_add_co_u32 v8, s2, v8, s4
	s_delay_alu instid0(VALU_DEP_1) | instskip(SKIP_1) | instid1(VALU_DEP_1)
	v_add_co_ci_u32_e64 v9, s2, s5, v9, s2
	v_add_co_u32 v10, s2, v10, s12
	v_add_co_ci_u32_e64 v11, s2, s13, v11, s2
	s_add_i32 s14, s14, 16
	s_delay_alu instid0(SALU_CYCLE_1)
	s_cmp_ge_i32 s14, s25
	s_waitcnt lgkmcnt(2)
	v_mul_f64 v[34:35], v[24:25], v[3:4]
	v_mul_f64 v[3:4], v[22:23], v[3:4]
	s_waitcnt lgkmcnt(0)
	v_mul_f64 v[40:41], v[28:29], v[32:33]
	v_mul_f64 v[42:43], v[26:27], v[32:33]
	s_delay_alu instid0(VALU_DEP_4) | instskip(NEXT) | instid1(VALU_DEP_4)
	v_fma_f64 v[44:45], v[22:23], v[1:2], -v[34:35]
	v_fma_f64 v[46:47], v[24:25], v[1:2], v[3:4]
	ds_load_b128 v[1:4], v18 offset:512
	ds_load_b128 v[22:25], v19 offset:32
	;; [unrolled: 1-line block ×4, first 2 shown]
	v_fma_f64 v[26:27], v[26:27], v[30:31], -v[40:41]
	v_fma_f64 v[28:29], v[28:29], v[30:31], v[42:43]
	s_waitcnt lgkmcnt(2)
	v_mul_f64 v[48:49], v[24:25], v[3:4]
	v_mul_f64 v[3:4], v[22:23], v[3:4]
	s_waitcnt lgkmcnt(0)
	v_mul_f64 v[30:31], v[34:35], v[38:39]
	v_mul_f64 v[38:39], v[32:33], v[38:39]
	v_add_f64 v[14:15], v[14:15], v[44:45]
	v_add_f64 v[12:13], v[12:13], v[46:47]
	v_fma_f64 v[40:41], v[22:23], v[1:2], -v[48:49]
	v_fma_f64 v[42:43], v[24:25], v[1:2], v[3:4]
	v_fma_f64 v[30:31], v[32:33], v[36:37], -v[30:31]
	v_fma_f64 v[32:33], v[34:35], v[36:37], v[38:39]
	v_add_f64 v[44:45], v[14:15], v[26:27]
	v_add_f64 v[46:47], v[12:13], v[28:29]
	ds_load_b128 v[1:4], v18 offset:1024
	ds_load_b128 v[12:15], v19 offset:64
	;; [unrolled: 1-line block ×4, first 2 shown]
	s_waitcnt lgkmcnt(2)
	v_mul_f64 v[48:49], v[14:15], v[3:4]
	v_mul_f64 v[3:4], v[12:13], v[3:4]
	s_waitcnt lgkmcnt(0)
	v_mul_f64 v[38:39], v[24:25], v[28:29]
	v_add_f64 v[34:35], v[44:45], v[40:41]
	v_add_f64 v[36:37], v[46:47], v[42:43]
	v_mul_f64 v[40:41], v[22:23], v[28:29]
	v_fma_f64 v[42:43], v[12:13], v[1:2], -v[48:49]
	v_fma_f64 v[44:45], v[14:15], v[1:2], v[3:4]
	v_fma_f64 v[22:23], v[22:23], v[26:27], -v[38:39]
	v_add_f64 v[46:47], v[34:35], v[30:31]
	v_add_f64 v[36:37], v[36:37], v[32:33]
	ds_load_b128 v[1:4], v18 offset:1536
	ds_load_b128 v[12:15], v19 offset:96
	;; [unrolled: 1-line block ×4, first 2 shown]
	v_fma_f64 v[24:25], v[24:25], v[26:27], v[40:41]
	s_waitcnt lgkmcnt(2)
	v_mul_f64 v[48:49], v[14:15], v[3:4]
	v_mul_f64 v[3:4], v[12:13], v[3:4]
	s_waitcnt lgkmcnt(0)
	v_mul_f64 v[38:39], v[30:31], v[34:35]
	v_mul_f64 v[40:41], v[28:29], v[34:35]
	v_add_f64 v[26:27], v[46:47], v[42:43]
	v_add_f64 v[36:37], v[36:37], v[44:45]
	v_fma_f64 v[42:43], v[12:13], v[1:2], -v[48:49]
	v_fma_f64 v[44:45], v[14:15], v[1:2], v[3:4]
	v_fma_f64 v[28:29], v[28:29], v[32:33], -v[38:39]
	v_fma_f64 v[30:31], v[30:31], v[32:33], v[40:41]
	v_add_f64 v[26:27], v[26:27], v[22:23]
	v_add_f64 v[46:47], v[36:37], v[24:25]
	ds_load_b128 v[1:4], v18 offset:2048
	ds_load_b128 v[12:15], v19 offset:128
	;; [unrolled: 1-line block ×4, first 2 shown]
	s_waitcnt lgkmcnt(2)
	v_mul_f64 v[48:49], v[14:15], v[3:4]
	v_mul_f64 v[3:4], v[12:13], v[3:4]
	s_waitcnt lgkmcnt(0)
	v_mul_f64 v[38:39], v[24:25], v[36:37]
	v_mul_f64 v[36:37], v[22:23], v[36:37]
	v_add_f64 v[26:27], v[26:27], v[42:43]
	v_add_f64 v[32:33], v[46:47], v[44:45]
	v_fma_f64 v[40:41], v[12:13], v[1:2], -v[48:49]
	v_fma_f64 v[42:43], v[14:15], v[1:2], v[3:4]
	v_fma_f64 v[22:23], v[22:23], v[34:35], -v[38:39]
	v_fma_f64 v[24:25], v[24:25], v[34:35], v[36:37]
	v_add_f64 v[44:45], v[26:27], v[28:29]
	v_add_f64 v[46:47], v[32:33], v[30:31]
	ds_load_b128 v[1:4], v18 offset:2560
	ds_load_b128 v[12:15], v19 offset:160
	ds_load_b128 v[26:29], v19 offset:176
	ds_load_b128 v[30:33], v18 offset:2816
	s_waitcnt lgkmcnt(2)
	v_mul_f64 v[48:49], v[14:15], v[3:4]
	v_mul_f64 v[3:4], v[12:13], v[3:4]
	s_waitcnt lgkmcnt(0)
	v_mul_f64 v[38:39], v[28:29], v[32:33]
	v_add_f64 v[34:35], v[44:45], v[40:41]
	v_add_f64 v[36:37], v[46:47], v[42:43]
	v_mul_f64 v[40:41], v[26:27], v[32:33]
	v_fma_f64 v[42:43], v[12:13], v[1:2], -v[48:49]
	v_fma_f64 v[44:45], v[14:15], v[1:2], v[3:4]
	v_fma_f64 v[26:27], v[26:27], v[30:31], -v[38:39]
	v_add_f64 v[46:47], v[34:35], v[22:23]
	v_add_f64 v[36:37], v[36:37], v[24:25]
	ds_load_b128 v[1:4], v18 offset:3072
	ds_load_b128 v[12:15], v19 offset:192
	;; [unrolled: 1-line block ×4, first 2 shown]
	v_fma_f64 v[28:29], v[28:29], v[30:31], v[40:41]
	s_waitcnt lgkmcnt(2)
	v_mul_f64 v[48:49], v[14:15], v[3:4]
	v_mul_f64 v[3:4], v[12:13], v[3:4]
	s_waitcnt lgkmcnt(0)
	v_mul_f64 v[38:39], v[24:25], v[34:35]
	v_mul_f64 v[40:41], v[22:23], v[34:35]
	v_add_f64 v[30:31], v[46:47], v[42:43]
	v_add_f64 v[36:37], v[36:37], v[44:45]
	v_fma_f64 v[42:43], v[12:13], v[1:2], -v[48:49]
	v_fma_f64 v[44:45], v[14:15], v[1:2], v[3:4]
	v_fma_f64 v[22:23], v[22:23], v[32:33], -v[38:39]
	v_fma_f64 v[24:25], v[24:25], v[32:33], v[40:41]
	v_add_f64 v[30:31], v[30:31], v[26:27]
	v_add_f64 v[46:47], v[36:37], v[28:29]
	ds_load_b128 v[1:4], v18 offset:3584
	ds_load_b128 v[12:15], v19 offset:224
	;; [unrolled: 1-line block ×4, first 2 shown]
	s_waitcnt lgkmcnt(0)
	s_barrier
	buffer_gl0_inv
	v_mul_f64 v[48:49], v[14:15], v[3:4]
	v_mul_f64 v[3:4], v[12:13], v[3:4]
	;; [unrolled: 1-line block ×4, first 2 shown]
	v_add_f64 v[30:31], v[30:31], v[42:43]
	v_add_f64 v[32:33], v[46:47], v[44:45]
	v_fma_f64 v[12:13], v[12:13], v[1:2], -v[48:49]
	v_fma_f64 v[1:2], v[14:15], v[1:2], v[3:4]
	s_delay_alu instid0(VALU_DEP_4) | instskip(NEXT) | instid1(VALU_DEP_4)
	v_add_f64 v[3:4], v[30:31], v[22:23]
	v_add_f64 v[14:15], v[32:33], v[24:25]
	v_fma_f64 v[22:23], v[26:27], v[34:35], -v[38:39]
	v_fma_f64 v[24:25], v[28:29], v[34:35], v[36:37]
	s_delay_alu instid0(VALU_DEP_4) | instskip(NEXT) | instid1(VALU_DEP_4)
	v_add_f64 v[3:4], v[3:4], v[12:13]
	v_add_f64 v[1:2], v[14:15], v[1:2]
	s_delay_alu instid0(VALU_DEP_2) | instskip(NEXT) | instid1(VALU_DEP_2)
	v_add_f64 v[14:15], v[3:4], v[22:23]
	v_add_f64 v[12:13], v[1:2], v[24:25]
	s_cbranch_scc1 .LBB289_9
.LBB289_3:                              ; =>This Inner Loop Header: Depth=1
	v_add_nc_u32_e32 v1, s14, v17
	s_delay_alu instid0(VALU_DEP_1) | instskip(NEXT) | instid1(VALU_DEP_1)
	v_cmp_le_i32_e64 s2, s25, v1
	s_or_b32 s2, s3, s2
	s_delay_alu instid0(SALU_CYCLE_1) | instskip(NEXT) | instid1(SALU_CYCLE_1)
	s_and_saveexec_b32 s20, s2
	s_xor_b32 s2, exec_lo, s20
	s_cbranch_execz .LBB289_5
; %bb.4:                                ;   in Loop: Header=BB289_3 Depth=1
	v_mov_b32_e32 v1, v0
	v_mov_b32_e32 v2, v0
	;; [unrolled: 1-line block ×3, first 2 shown]
	ds_store_b128 v20, v[0:3]
.LBB289_5:                              ;   in Loop: Header=BB289_3 Depth=1
	s_and_not1_saveexec_b32 s2, s2
	s_cbranch_execz .LBB289_7
; %bb.6:                                ;   in Loop: Header=BB289_3 Depth=1
	global_load_b128 v[1:4], v[10:11], off
	s_waitcnt vmcnt(0)
	ds_store_2addr_b64 v20, v[1:2], v[3:4] offset1:1
.LBB289_7:                              ;   in Loop: Header=BB289_3 Depth=1
	s_or_b32 exec_lo, exec_lo, s2
	v_add_nc_u32_e32 v3, s14, v16
	v_mov_b32_e32 v1, 0
	v_mov_b32_e32 v2, 0
	s_delay_alu instid0(VALU_DEP_3) | instskip(NEXT) | instid1(VALU_DEP_2)
	v_cmp_gt_i32_e64 s2, s25, v3
	v_dual_mov_b32 v4, v2 :: v_dual_mov_b32 v3, v1
	s_delay_alu instid0(VALU_DEP_2) | instskip(NEXT) | instid1(SALU_CYCLE_1)
	s_and_b32 s20, vcc_lo, s2
	s_and_saveexec_b32 s2, s20
	s_cbranch_execz .LBB289_2
; %bb.8:                                ;   in Loop: Header=BB289_3 Depth=1
	global_load_b128 v[1:4], v[8:9], off offset:-8
	s_branch .LBB289_2
.LBB289_9:
	v_cmp_le_i32_e32 vcc_lo, v7, v5
	v_cmp_gt_i32_e64 s2, s24, v5
	s_delay_alu instid0(VALU_DEP_1) | instskip(NEXT) | instid1(SALU_CYCLE_1)
	s_and_b32 s2, vcc_lo, s2
	s_and_saveexec_b32 s3, s2
	s_cbranch_execz .LBB289_11
; %bb.10:
	s_clause 0x1
	s_load_b32 s2, s[0:1], 0x60
	s_load_b64 s[0:1], s[0:1], 0x68
	v_lshlrev_b64 v[2:3], 4, v[5:6]
	s_delay_alu instid0(VALU_DEP_4)
	v_mul_f64 v[8:9], s[16:17], v[12:13]
	s_waitcnt lgkmcnt(0)
	v_mad_i64_i32 v[0:1], null, s2, v7, 0
	s_mul_i32 s1, s15, s1
	s_mul_hi_u32 s2, s15, s0
	s_mul_i32 s0, s15, s0
	s_add_i32 s1, s2, s1
	v_mul_f64 v[6:7], s[18:19], v[12:13]
	s_lshl_b64 s[0:1], s[0:1], 4
	s_delay_alu instid0(VALU_DEP_2) | instskip(SKIP_2) | instid1(VALU_DEP_1)
	v_lshlrev_b64 v[0:1], 4, v[0:1]
	s_add_u32 s0, s10, s0
	s_addc_u32 s1, s11, s1
	v_add_co_u32 v0, vcc_lo, s0, v0
	s_delay_alu instid0(VALU_DEP_2) | instskip(NEXT) | instid1(VALU_DEP_2)
	v_add_co_ci_u32_e32 v1, vcc_lo, s1, v1, vcc_lo
	v_add_co_u32 v4, vcc_lo, v0, v2
	s_delay_alu instid0(VALU_DEP_2)
	v_add_co_ci_u32_e32 v5, vcc_lo, v1, v3, vcc_lo
	v_fma_f64 v[8:9], s[18:19], v[14:15], v[8:9]
	global_load_b128 v[0:3], v[4:5], off
	v_fma_f64 v[6:7], s[16:17], v[14:15], -v[6:7]
	s_waitcnt vmcnt(0)
	v_mul_f64 v[10:11], s[8:9], v[2:3]
	v_mul_f64 v[2:3], s[6:7], v[2:3]
	s_delay_alu instid0(VALU_DEP_2) | instskip(NEXT) | instid1(VALU_DEP_2)
	v_fma_f64 v[10:11], s[6:7], v[0:1], -v[10:11]
	v_fma_f64 v[2:3], s[8:9], v[0:1], v[2:3]
	s_delay_alu instid0(VALU_DEP_2) | instskip(NEXT) | instid1(VALU_DEP_2)
	v_add_f64 v[0:1], v[6:7], v[10:11]
	v_add_f64 v[2:3], v[8:9], v[2:3]
	global_store_b128 v[4:5], v[0:3], off
.LBB289_11:
	s_nop 0
	s_sendmsg sendmsg(MSG_DEALLOC_VGPRS)
	s_endpgm
	.section	.rodata,"a",@progbits
	.p2align	6, 0x0
	.amdhsa_kernel _ZL32rocblas_syrkx_herkx_small_kernelIi19rocblas_complex_numIdELi16ELb0ELb0ELc78ELc76EKS1_S1_EviT_T0_PT6_S3_lS6_S3_lS4_PT7_S3_li
		.amdhsa_group_segment_fixed_size 8192
		.amdhsa_private_segment_fixed_size 0
		.amdhsa_kernarg_size 116
		.amdhsa_user_sgpr_count 13
		.amdhsa_user_sgpr_dispatch_ptr 0
		.amdhsa_user_sgpr_queue_ptr 0
		.amdhsa_user_sgpr_kernarg_segment_ptr 1
		.amdhsa_user_sgpr_dispatch_id 0
		.amdhsa_user_sgpr_private_segment_size 0
		.amdhsa_wavefront_size32 1
		.amdhsa_uses_dynamic_stack 0
		.amdhsa_enable_private_segment 0
		.amdhsa_system_sgpr_workgroup_id_x 1
		.amdhsa_system_sgpr_workgroup_id_y 1
		.amdhsa_system_sgpr_workgroup_id_z 1
		.amdhsa_system_sgpr_workgroup_info 0
		.amdhsa_system_vgpr_workitem_id 1
		.amdhsa_next_free_vgpr 50
		.amdhsa_next_free_sgpr 30
		.amdhsa_reserve_vcc 1
		.amdhsa_float_round_mode_32 0
		.amdhsa_float_round_mode_16_64 0
		.amdhsa_float_denorm_mode_32 3
		.amdhsa_float_denorm_mode_16_64 3
		.amdhsa_dx10_clamp 1
		.amdhsa_ieee_mode 1
		.amdhsa_fp16_overflow 0
		.amdhsa_workgroup_processor_mode 1
		.amdhsa_memory_ordered 1
		.amdhsa_forward_progress 0
		.amdhsa_shared_vgpr_count 0
		.amdhsa_exception_fp_ieee_invalid_op 0
		.amdhsa_exception_fp_denorm_src 0
		.amdhsa_exception_fp_ieee_div_zero 0
		.amdhsa_exception_fp_ieee_overflow 0
		.amdhsa_exception_fp_ieee_underflow 0
		.amdhsa_exception_fp_ieee_inexact 0
		.amdhsa_exception_int_div_zero 0
	.end_amdhsa_kernel
	.section	.text._ZL32rocblas_syrkx_herkx_small_kernelIi19rocblas_complex_numIdELi16ELb0ELb0ELc78ELc76EKS1_S1_EviT_T0_PT6_S3_lS6_S3_lS4_PT7_S3_li,"axG",@progbits,_ZL32rocblas_syrkx_herkx_small_kernelIi19rocblas_complex_numIdELi16ELb0ELb0ELc78ELc76EKS1_S1_EviT_T0_PT6_S3_lS6_S3_lS4_PT7_S3_li,comdat
.Lfunc_end289:
	.size	_ZL32rocblas_syrkx_herkx_small_kernelIi19rocblas_complex_numIdELi16ELb0ELb0ELc78ELc76EKS1_S1_EviT_T0_PT6_S3_lS6_S3_lS4_PT7_S3_li, .Lfunc_end289-_ZL32rocblas_syrkx_herkx_small_kernelIi19rocblas_complex_numIdELi16ELb0ELb0ELc78ELc76EKS1_S1_EviT_T0_PT6_S3_lS6_S3_lS4_PT7_S3_li
                                        ; -- End function
	.section	.AMDGPU.csdata,"",@progbits
; Kernel info:
; codeLenInByte = 2072
; NumSgprs: 32
; NumVgprs: 50
; ScratchSize: 0
; MemoryBound: 1
; FloatMode: 240
; IeeeMode: 1
; LDSByteSize: 8192 bytes/workgroup (compile time only)
; SGPRBlocks: 3
; VGPRBlocks: 6
; NumSGPRsForWavesPerEU: 32
; NumVGPRsForWavesPerEU: 50
; Occupancy: 16
; WaveLimiterHint : 0
; COMPUTE_PGM_RSRC2:SCRATCH_EN: 0
; COMPUTE_PGM_RSRC2:USER_SGPR: 13
; COMPUTE_PGM_RSRC2:TRAP_HANDLER: 0
; COMPUTE_PGM_RSRC2:TGID_X_EN: 1
; COMPUTE_PGM_RSRC2:TGID_Y_EN: 1
; COMPUTE_PGM_RSRC2:TGID_Z_EN: 1
; COMPUTE_PGM_RSRC2:TIDIG_COMP_CNT: 1
	.section	.text._ZL32rocblas_syrkx_herkx_small_kernelIi19rocblas_complex_numIdELi16ELb0ELb0ELc84ELc85EKS1_S1_EviT_T0_PT6_S3_lS6_S3_lS4_PT7_S3_li,"axG",@progbits,_ZL32rocblas_syrkx_herkx_small_kernelIi19rocblas_complex_numIdELi16ELb0ELb0ELc84ELc85EKS1_S1_EviT_T0_PT6_S3_lS6_S3_lS4_PT7_S3_li,comdat
	.globl	_ZL32rocblas_syrkx_herkx_small_kernelIi19rocblas_complex_numIdELi16ELb0ELb0ELc84ELc85EKS1_S1_EviT_T0_PT6_S3_lS6_S3_lS4_PT7_S3_li ; -- Begin function _ZL32rocblas_syrkx_herkx_small_kernelIi19rocblas_complex_numIdELi16ELb0ELb0ELc84ELc85EKS1_S1_EviT_T0_PT6_S3_lS6_S3_lS4_PT7_S3_li
	.p2align	8
	.type	_ZL32rocblas_syrkx_herkx_small_kernelIi19rocblas_complex_numIdELi16ELb0ELb0ELc84ELc85EKS1_S1_EviT_T0_PT6_S3_lS6_S3_lS4_PT7_S3_li,@function
_ZL32rocblas_syrkx_herkx_small_kernelIi19rocblas_complex_numIdELi16ELb0ELb0ELc84ELc85EKS1_S1_EviT_T0_PT6_S3_lS6_S3_lS4_PT7_S3_li: ; @_ZL32rocblas_syrkx_herkx_small_kernelIi19rocblas_complex_numIdELi16ELb0ELb0ELc84ELc85EKS1_S1_EviT_T0_PT6_S3_lS6_S3_lS4_PT7_S3_li
; %bb.0:
	s_clause 0x3
	s_load_b64 s[24:25], s[0:1], 0x0
	s_load_b128 s[16:19], s[0:1], 0x8
	s_load_b64 s[26:27], s[0:1], 0x18
	s_load_b256 s[4:11], s[0:1], 0x40
	v_bfe_u32 v14, v0, 10, 10
	v_mov_b32_e32 v9, 0
	v_dual_mov_b32 v10, 0 :: v_dual_and_b32 v15, 0x3ff, v0
	s_mov_b32 s12, 0
	s_delay_alu instid0(VALU_DEP_3) | instskip(NEXT) | instid1(VALU_DEP_2)
	v_lshl_add_u32 v13, s14, 4, v14
	v_dual_mov_b32 v12, v10 :: v_dual_mov_b32 v11, v9
	s_delay_alu instid0(VALU_DEP_3) | instskip(SKIP_1) | instid1(VALU_DEP_3)
	v_lshl_add_u32 v4, s13, 4, v15
	s_waitcnt lgkmcnt(0)
	v_cmp_gt_i32_e32 vcc_lo, s24, v13
	s_cmp_lt_i32 s25, 1
	s_cbranch_scc1 .LBB290_11
; %bb.1:
	s_clause 0x2
	s_load_b32 s3, s[0:1], 0x38
	s_load_b32 s13, s[0:1], 0x20
	s_load_b128 s[20:23], s[0:1], 0x28
	v_dual_mov_b32 v9, 0 :: v_dual_lshlrev_b32 v2, 8, v14
	v_dual_mov_b32 v10, 0 :: v_dual_lshlrev_b32 v7, 4, v14
	v_lshlrev_b32_e32 v16, 4, v15
	s_mul_i32 s5, s5, s15
	s_mul_hi_u32 s14, s4, s15
	v_add_nc_u32_e32 v18, 0x1000, v2
	v_dual_mov_b32 v12, v10 :: v_dual_mov_b32 v11, v9
	v_add_nc_u32_e32 v17, v16, v2
	s_mul_i32 s4, s4, s15
	s_add_i32 s5, s14, s5
	v_cmp_gt_i32_e64 s2, s24, v4
	s_lshl_b64 s[4:5], s[4:5], 4
	v_add_nc_u32_e32 v19, v18, v16
	s_waitcnt lgkmcnt(0)
	v_mad_i64_i32 v[0:1], null, s3, v13, 0
	v_mad_i64_i32 v[2:3], null, s13, v4, 0
	s_mul_i32 s3, s21, s15
	s_mul_hi_u32 s13, s20, s15
	s_mul_i32 s20, s20, s15
	s_add_i32 s21, s13, s3
	s_delay_alu instid0(VALU_DEP_2) | instskip(SKIP_2) | instid1(VALU_DEP_1)
	v_lshlrev_b64 v[0:1], 4, v[0:1]
	s_lshl_b64 s[20:21], s[20:21], 4
	s_xor_b32 s2, s2, -1
	v_add_co_u32 v5, s3, v0, s4
	s_delay_alu instid0(VALU_DEP_1) | instskip(SKIP_1) | instid1(VALU_DEP_3)
	v_add_co_ci_u32_e64 v6, s3, s5, v1, s3
	v_lshlrev_b64 v[0:1], 4, v[2:3]
	v_add_co_u32 v2, s3, v5, v16
	s_delay_alu instid0(VALU_DEP_1) | instskip(NEXT) | instid1(VALU_DEP_3)
	v_add_co_ci_u32_e64 v3, s3, 0, v6, s3
	v_add_co_u32 v0, s3, v0, s20
	s_delay_alu instid0(VALU_DEP_1) | instskip(NEXT) | instid1(VALU_DEP_4)
	v_add_co_ci_u32_e64 v1, s3, s21, v1, s3
	v_add_co_u32 v5, s3, s22, v2
	s_delay_alu instid0(VALU_DEP_1) | instskip(NEXT) | instid1(VALU_DEP_4)
	v_add_co_ci_u32_e64 v6, s3, s23, v3, s3
	v_add_co_u32 v0, s3, v0, v7
	s_delay_alu instid0(VALU_DEP_1) | instskip(NEXT) | instid1(VALU_DEP_2)
	v_add_co_ci_u32_e64 v1, s3, 0, v1, s3
	v_add_co_u32 v7, s3, s26, v0
	v_mov_b32_e32 v0, 0
	s_delay_alu instid0(VALU_DEP_3)
	v_add_co_ci_u32_e64 v8, s3, s27, v1, s3
	s_xor_b32 s3, vcc_lo, -1
	s_branch .LBB290_3
.LBB290_2:                              ;   in Loop: Header=BB290_3 Depth=1
	s_or_b32 exec_lo, exec_lo, s4
	s_waitcnt lgkmcnt(0)
	s_barrier
	buffer_gl0_inv
	ds_load_b128 v[20:23], v16
	ds_load_b128 v[24:27], v18
	ds_load_b128 v[28:31], v18 offset:16
	ds_load_b128 v[32:35], v16 offset:256
	v_add_co_u32 v5, vcc_lo, 0x100, v5
	v_add_co_ci_u32_e32 v6, vcc_lo, 0, v6, vcc_lo
	v_add_co_u32 v7, vcc_lo, 0x100, v7
	v_add_co_ci_u32_e32 v8, vcc_lo, 0, v8, vcc_lo
	s_add_i32 s12, s12, 16
	s_delay_alu instid0(SALU_CYCLE_1)
	s_cmp_ge_i32 s12, s25
	s_waitcnt lgkmcnt(2)
	v_mul_f64 v[1:2], v[26:27], v[22:23]
	v_mul_f64 v[22:23], v[24:25], v[22:23]
	s_waitcnt lgkmcnt(0)
	v_mul_f64 v[42:43], v[30:31], v[34:35]
	v_mul_f64 v[44:45], v[28:29], v[34:35]
	s_delay_alu instid0(VALU_DEP_4) | instskip(NEXT) | instid1(VALU_DEP_4)
	v_fma_f64 v[1:2], v[24:25], v[20:21], -v[1:2]
	v_fma_f64 v[46:47], v[26:27], v[20:21], v[22:23]
	ds_load_b128 v[20:23], v16 offset:512
	ds_load_b128 v[24:27], v18 offset:32
	ds_load_b128 v[34:37], v18 offset:48
	ds_load_b128 v[38:41], v16 offset:768
	v_fma_f64 v[28:29], v[28:29], v[32:33], -v[42:43]
	v_fma_f64 v[30:31], v[30:31], v[32:33], v[44:45]
	s_waitcnt lgkmcnt(2)
	v_mul_f64 v[48:49], v[26:27], v[22:23]
	v_mul_f64 v[22:23], v[24:25], v[22:23]
	s_waitcnt lgkmcnt(0)
	v_mul_f64 v[32:33], v[36:37], v[40:41]
	v_mul_f64 v[40:41], v[34:35], v[40:41]
	v_add_f64 v[1:2], v[11:12], v[1:2]
	v_add_f64 v[9:10], v[9:10], v[46:47]
	v_fma_f64 v[42:43], v[24:25], v[20:21], -v[48:49]
	v_fma_f64 v[44:45], v[26:27], v[20:21], v[22:23]
	v_fma_f64 v[32:33], v[34:35], v[38:39], -v[32:33]
	v_fma_f64 v[34:35], v[36:37], v[38:39], v[40:41]
	v_add_f64 v[1:2], v[1:2], v[28:29]
	v_add_f64 v[46:47], v[9:10], v[30:31]
	ds_load_b128 v[9:12], v16 offset:1024
	ds_load_b128 v[20:23], v18 offset:64
	;; [unrolled: 1-line block ×4, first 2 shown]
	s_waitcnt lgkmcnt(2)
	v_mul_f64 v[48:49], v[22:23], v[11:12]
	v_mul_f64 v[11:12], v[20:21], v[11:12]
	s_waitcnt lgkmcnt(0)
	v_mul_f64 v[38:39], v[26:27], v[30:31]
	v_mul_f64 v[40:41], v[24:25], v[30:31]
	v_add_f64 v[1:2], v[1:2], v[42:43]
	v_add_f64 v[36:37], v[46:47], v[44:45]
	v_fma_f64 v[42:43], v[20:21], v[9:10], -v[48:49]
	v_fma_f64 v[44:45], v[22:23], v[9:10], v[11:12]
	v_fma_f64 v[24:25], v[24:25], v[28:29], -v[38:39]
	v_fma_f64 v[26:27], v[26:27], v[28:29], v[40:41]
	v_add_f64 v[1:2], v[1:2], v[32:33]
	v_add_f64 v[46:47], v[36:37], v[34:35]
	ds_load_b128 v[9:12], v16 offset:1536
	ds_load_b128 v[20:23], v18 offset:96
	;; [unrolled: 1-line block ×4, first 2 shown]
	s_waitcnt lgkmcnt(2)
	v_mul_f64 v[48:49], v[22:23], v[11:12]
	v_mul_f64 v[11:12], v[20:21], v[11:12]
	s_waitcnt lgkmcnt(0)
	v_mul_f64 v[40:41], v[32:33], v[36:37]
	v_add_f64 v[1:2], v[1:2], v[42:43]
	v_add_f64 v[28:29], v[46:47], v[44:45]
	v_mul_f64 v[42:43], v[30:31], v[36:37]
	v_fma_f64 v[44:45], v[20:21], v[9:10], -v[48:49]
	v_fma_f64 v[46:47], v[22:23], v[9:10], v[11:12]
	v_fma_f64 v[30:31], v[30:31], v[34:35], -v[40:41]
	v_add_f64 v[1:2], v[1:2], v[24:25]
	v_add_f64 v[28:29], v[28:29], v[26:27]
	ds_load_b128 v[9:12], v16 offset:2048
	ds_load_b128 v[20:23], v18 offset:128
	;; [unrolled: 1-line block ×4, first 2 shown]
	v_fma_f64 v[32:33], v[32:33], v[34:35], v[42:43]
	s_waitcnt lgkmcnt(2)
	v_mul_f64 v[48:49], v[22:23], v[11:12]
	v_mul_f64 v[11:12], v[20:21], v[11:12]
	s_waitcnt lgkmcnt(0)
	v_mul_f64 v[40:41], v[26:27], v[38:39]
	v_mul_f64 v[38:39], v[24:25], v[38:39]
	v_add_f64 v[1:2], v[1:2], v[44:45]
	v_add_f64 v[28:29], v[28:29], v[46:47]
	v_fma_f64 v[42:43], v[20:21], v[9:10], -v[48:49]
	v_fma_f64 v[44:45], v[22:23], v[9:10], v[11:12]
	v_fma_f64 v[24:25], v[24:25], v[36:37], -v[40:41]
	v_fma_f64 v[26:27], v[26:27], v[36:37], v[38:39]
	v_add_f64 v[1:2], v[1:2], v[30:31]
	v_add_f64 v[46:47], v[28:29], v[32:33]
	ds_load_b128 v[9:12], v16 offset:2560
	ds_load_b128 v[20:23], v18 offset:160
	;; [unrolled: 1-line block ×4, first 2 shown]
	s_waitcnt lgkmcnt(2)
	v_mul_f64 v[48:49], v[22:23], v[11:12]
	v_mul_f64 v[11:12], v[20:21], v[11:12]
	s_waitcnt lgkmcnt(0)
	v_mul_f64 v[38:39], v[30:31], v[34:35]
	v_mul_f64 v[40:41], v[28:29], v[34:35]
	v_add_f64 v[1:2], v[1:2], v[42:43]
	v_add_f64 v[36:37], v[46:47], v[44:45]
	v_fma_f64 v[42:43], v[20:21], v[9:10], -v[48:49]
	v_fma_f64 v[44:45], v[22:23], v[9:10], v[11:12]
	v_fma_f64 v[28:29], v[28:29], v[32:33], -v[38:39]
	v_fma_f64 v[30:31], v[30:31], v[32:33], v[40:41]
	v_add_f64 v[1:2], v[1:2], v[24:25]
	v_add_f64 v[46:47], v[36:37], v[26:27]
	ds_load_b128 v[9:12], v16 offset:3072
	ds_load_b128 v[20:23], v18 offset:192
	;; [unrolled: 1-line block ×4, first 2 shown]
	s_waitcnt lgkmcnt(2)
	v_mul_f64 v[48:49], v[22:23], v[11:12]
	v_mul_f64 v[11:12], v[20:21], v[11:12]
	s_waitcnt lgkmcnt(0)
	v_mul_f64 v[40:41], v[26:27], v[36:37]
	v_add_f64 v[1:2], v[1:2], v[42:43]
	v_add_f64 v[32:33], v[46:47], v[44:45]
	v_mul_f64 v[42:43], v[24:25], v[36:37]
	v_fma_f64 v[44:45], v[20:21], v[9:10], -v[48:49]
	v_fma_f64 v[46:47], v[22:23], v[9:10], v[11:12]
	v_fma_f64 v[24:25], v[24:25], v[34:35], -v[40:41]
	v_add_f64 v[1:2], v[1:2], v[28:29]
	v_add_f64 v[32:33], v[32:33], v[30:31]
	ds_load_b128 v[9:12], v16 offset:3584
	ds_load_b128 v[20:23], v18 offset:224
	;; [unrolled: 1-line block ×4, first 2 shown]
	v_fma_f64 v[26:27], v[26:27], v[34:35], v[42:43]
	s_waitcnt lgkmcnt(0)
	s_barrier
	buffer_gl0_inv
	v_mul_f64 v[48:49], v[22:23], v[11:12]
	v_mul_f64 v[11:12], v[20:21], v[11:12]
	;; [unrolled: 1-line block ×4, first 2 shown]
	v_add_f64 v[1:2], v[1:2], v[44:45]
	v_add_f64 v[32:33], v[32:33], v[46:47]
	v_fma_f64 v[20:21], v[20:21], v[9:10], -v[48:49]
	v_fma_f64 v[9:10], v[22:23], v[9:10], v[11:12]
	v_fma_f64 v[22:23], v[28:29], v[36:37], -v[34:35]
	v_add_f64 v[1:2], v[1:2], v[24:25]
	v_add_f64 v[11:12], v[32:33], v[26:27]
	v_fma_f64 v[24:25], v[30:31], v[36:37], v[38:39]
	s_delay_alu instid0(VALU_DEP_3) | instskip(NEXT) | instid1(VALU_DEP_3)
	v_add_f64 v[1:2], v[1:2], v[20:21]
	v_add_f64 v[9:10], v[11:12], v[9:10]
	s_delay_alu instid0(VALU_DEP_2) | instskip(NEXT) | instid1(VALU_DEP_2)
	v_add_f64 v[11:12], v[1:2], v[22:23]
	v_add_f64 v[9:10], v[9:10], v[24:25]
	s_cbranch_scc1 .LBB290_11
.LBB290_3:                              ; =>This Inner Loop Header: Depth=1
	v_add_nc_u32_e32 v1, s12, v14
	s_delay_alu instid0(VALU_DEP_1) | instskip(SKIP_1) | instid1(SALU_CYCLE_1)
	v_cmp_le_i32_e32 vcc_lo, s25, v1
	s_or_b32 s4, s2, vcc_lo
	s_and_saveexec_b32 s5, s4
	s_delay_alu instid0(SALU_CYCLE_1)
	s_xor_b32 s4, exec_lo, s5
	s_cbranch_execz .LBB290_5
; %bb.4:                                ;   in Loop: Header=BB290_3 Depth=1
	v_mov_b32_e32 v1, v0
	v_mov_b32_e32 v2, v0
	v_mov_b32_e32 v3, v0
	ds_store_b128 v17, v[0:3]
.LBB290_5:                              ;   in Loop: Header=BB290_3 Depth=1
	s_and_not1_saveexec_b32 s4, s4
	s_cbranch_execz .LBB290_7
; %bb.6:                                ;   in Loop: Header=BB290_3 Depth=1
	global_load_b128 v[20:23], v[7:8], off
	s_waitcnt vmcnt(0)
	ds_store_2addr_b64 v17, v[20:21], v[22:23] offset1:1
.LBB290_7:                              ;   in Loop: Header=BB290_3 Depth=1
	s_or_b32 exec_lo, exec_lo, s4
	v_add_nc_u32_e32 v1, s12, v15
	s_delay_alu instid0(VALU_DEP_1) | instskip(SKIP_1) | instid1(SALU_CYCLE_1)
	v_cmp_le_i32_e32 vcc_lo, s25, v1
	s_or_b32 s4, s3, vcc_lo
	s_and_saveexec_b32 s5, s4
	s_delay_alu instid0(SALU_CYCLE_1)
	s_xor_b32 s4, exec_lo, s5
	s_cbranch_execz .LBB290_9
; %bb.8:                                ;   in Loop: Header=BB290_3 Depth=1
	v_mov_b32_e32 v1, v0
	v_mov_b32_e32 v2, v0
	;; [unrolled: 1-line block ×3, first 2 shown]
	ds_store_b128 v19, v[0:3]
.LBB290_9:                              ;   in Loop: Header=BB290_3 Depth=1
	s_and_not1_saveexec_b32 s4, s4
	s_cbranch_execz .LBB290_2
; %bb.10:                               ;   in Loop: Header=BB290_3 Depth=1
	global_load_b128 v[20:23], v[5:6], off
	s_waitcnt vmcnt(0)
	ds_store_2addr_b64 v19, v[20:21], v[22:23] offset1:1
	s_branch .LBB290_2
.LBB290_11:
	v_cmp_le_i32_e32 vcc_lo, v4, v13
	v_cmp_gt_i32_e64 s2, s24, v13
	s_delay_alu instid0(VALU_DEP_1) | instskip(NEXT) | instid1(SALU_CYCLE_1)
	s_and_b32 s2, vcc_lo, s2
	s_and_saveexec_b32 s3, s2
	s_cbranch_execz .LBB290_13
; %bb.12:
	s_clause 0x1
	s_load_b32 s2, s[0:1], 0x60
	s_load_b64 s[0:1], s[0:1], 0x68
	v_ashrrev_i32_e32 v5, 31, v4
	s_delay_alu instid0(VALU_DEP_4) | instskip(SKIP_1) | instid1(VALU_DEP_3)
	v_mul_f64 v[6:7], s[18:19], v[9:10]
	v_mul_f64 v[8:9], s[16:17], v[9:10]
	v_lshlrev_b64 v[2:3], 4, v[4:5]
	s_waitcnt lgkmcnt(0)
	v_mad_i64_i32 v[0:1], null, s2, v13, 0
	s_mul_i32 s1, s15, s1
	s_mul_hi_u32 s2, s15, s0
	s_mul_i32 s0, s15, s0
	s_add_i32 s1, s2, s1
	s_delay_alu instid0(SALU_CYCLE_1) | instskip(NEXT) | instid1(VALU_DEP_1)
	s_lshl_b64 s[0:1], s[0:1], 4
	v_lshlrev_b64 v[0:1], 4, v[0:1]
	s_add_u32 s0, s10, s0
	s_addc_u32 s1, s11, s1
	s_delay_alu instid0(VALU_DEP_1) | instskip(NEXT) | instid1(VALU_DEP_2)
	v_add_co_u32 v0, vcc_lo, s0, v0
	v_add_co_ci_u32_e32 v1, vcc_lo, s1, v1, vcc_lo
	s_delay_alu instid0(VALU_DEP_2) | instskip(NEXT) | instid1(VALU_DEP_2)
	v_add_co_u32 v4, vcc_lo, v0, v2
	v_add_co_ci_u32_e32 v5, vcc_lo, v1, v3, vcc_lo
	v_fma_f64 v[6:7], s[16:17], v[11:12], -v[6:7]
	v_fma_f64 v[8:9], s[18:19], v[11:12], v[8:9]
	global_load_b128 v[0:3], v[4:5], off
	s_waitcnt vmcnt(0)
	v_mul_f64 v[13:14], s[8:9], v[2:3]
	v_mul_f64 v[2:3], s[6:7], v[2:3]
	s_delay_alu instid0(VALU_DEP_2) | instskip(NEXT) | instid1(VALU_DEP_2)
	v_fma_f64 v[10:11], s[6:7], v[0:1], -v[13:14]
	v_fma_f64 v[2:3], s[8:9], v[0:1], v[2:3]
	s_delay_alu instid0(VALU_DEP_2) | instskip(NEXT) | instid1(VALU_DEP_2)
	v_add_f64 v[0:1], v[6:7], v[10:11]
	v_add_f64 v[2:3], v[8:9], v[2:3]
	global_store_b128 v[4:5], v[0:3], off
.LBB290_13:
	s_nop 0
	s_sendmsg sendmsg(MSG_DEALLOC_VGPRS)
	s_endpgm
	.section	.rodata,"a",@progbits
	.p2align	6, 0x0
	.amdhsa_kernel _ZL32rocblas_syrkx_herkx_small_kernelIi19rocblas_complex_numIdELi16ELb0ELb0ELc84ELc85EKS1_S1_EviT_T0_PT6_S3_lS6_S3_lS4_PT7_S3_li
		.amdhsa_group_segment_fixed_size 8192
		.amdhsa_private_segment_fixed_size 0
		.amdhsa_kernarg_size 116
		.amdhsa_user_sgpr_count 13
		.amdhsa_user_sgpr_dispatch_ptr 0
		.amdhsa_user_sgpr_queue_ptr 0
		.amdhsa_user_sgpr_kernarg_segment_ptr 1
		.amdhsa_user_sgpr_dispatch_id 0
		.amdhsa_user_sgpr_private_segment_size 0
		.amdhsa_wavefront_size32 1
		.amdhsa_uses_dynamic_stack 0
		.amdhsa_enable_private_segment 0
		.amdhsa_system_sgpr_workgroup_id_x 1
		.amdhsa_system_sgpr_workgroup_id_y 1
		.amdhsa_system_sgpr_workgroup_id_z 1
		.amdhsa_system_sgpr_workgroup_info 0
		.amdhsa_system_vgpr_workitem_id 1
		.amdhsa_next_free_vgpr 50
		.amdhsa_next_free_sgpr 28
		.amdhsa_reserve_vcc 1
		.amdhsa_float_round_mode_32 0
		.amdhsa_float_round_mode_16_64 0
		.amdhsa_float_denorm_mode_32 3
		.amdhsa_float_denorm_mode_16_64 3
		.amdhsa_dx10_clamp 1
		.amdhsa_ieee_mode 1
		.amdhsa_fp16_overflow 0
		.amdhsa_workgroup_processor_mode 1
		.amdhsa_memory_ordered 1
		.amdhsa_forward_progress 0
		.amdhsa_shared_vgpr_count 0
		.amdhsa_exception_fp_ieee_invalid_op 0
		.amdhsa_exception_fp_denorm_src 0
		.amdhsa_exception_fp_ieee_div_zero 0
		.amdhsa_exception_fp_ieee_overflow 0
		.amdhsa_exception_fp_ieee_underflow 0
		.amdhsa_exception_fp_ieee_inexact 0
		.amdhsa_exception_int_div_zero 0
	.end_amdhsa_kernel
	.section	.text._ZL32rocblas_syrkx_herkx_small_kernelIi19rocblas_complex_numIdELi16ELb0ELb0ELc84ELc85EKS1_S1_EviT_T0_PT6_S3_lS6_S3_lS4_PT7_S3_li,"axG",@progbits,_ZL32rocblas_syrkx_herkx_small_kernelIi19rocblas_complex_numIdELi16ELb0ELb0ELc84ELc85EKS1_S1_EviT_T0_PT6_S3_lS6_S3_lS4_PT7_S3_li,comdat
.Lfunc_end290:
	.size	_ZL32rocblas_syrkx_herkx_small_kernelIi19rocblas_complex_numIdELi16ELb0ELb0ELc84ELc85EKS1_S1_EviT_T0_PT6_S3_lS6_S3_lS4_PT7_S3_li, .Lfunc_end290-_ZL32rocblas_syrkx_herkx_small_kernelIi19rocblas_complex_numIdELi16ELb0ELb0ELc84ELc85EKS1_S1_EviT_T0_PT6_S3_lS6_S3_lS4_PT7_S3_li
                                        ; -- End function
	.section	.AMDGPU.csdata,"",@progbits
; Kernel info:
; codeLenInByte = 2020
; NumSgprs: 30
; NumVgprs: 50
; ScratchSize: 0
; MemoryBound: 0
; FloatMode: 240
; IeeeMode: 1
; LDSByteSize: 8192 bytes/workgroup (compile time only)
; SGPRBlocks: 3
; VGPRBlocks: 6
; NumSGPRsForWavesPerEU: 30
; NumVGPRsForWavesPerEU: 50
; Occupancy: 16
; WaveLimiterHint : 0
; COMPUTE_PGM_RSRC2:SCRATCH_EN: 0
; COMPUTE_PGM_RSRC2:USER_SGPR: 13
; COMPUTE_PGM_RSRC2:TRAP_HANDLER: 0
; COMPUTE_PGM_RSRC2:TGID_X_EN: 1
; COMPUTE_PGM_RSRC2:TGID_Y_EN: 1
; COMPUTE_PGM_RSRC2:TGID_Z_EN: 1
; COMPUTE_PGM_RSRC2:TIDIG_COMP_CNT: 1
	.section	.text._ZL32rocblas_syrkx_herkx_small_kernelIi19rocblas_complex_numIdELi16ELb0ELb0ELc67ELc85EKS1_S1_EviT_T0_PT6_S3_lS6_S3_lS4_PT7_S3_li,"axG",@progbits,_ZL32rocblas_syrkx_herkx_small_kernelIi19rocblas_complex_numIdELi16ELb0ELb0ELc67ELc85EKS1_S1_EviT_T0_PT6_S3_lS6_S3_lS4_PT7_S3_li,comdat
	.globl	_ZL32rocblas_syrkx_herkx_small_kernelIi19rocblas_complex_numIdELi16ELb0ELb0ELc67ELc85EKS1_S1_EviT_T0_PT6_S3_lS6_S3_lS4_PT7_S3_li ; -- Begin function _ZL32rocblas_syrkx_herkx_small_kernelIi19rocblas_complex_numIdELi16ELb0ELb0ELc67ELc85EKS1_S1_EviT_T0_PT6_S3_lS6_S3_lS4_PT7_S3_li
	.p2align	8
	.type	_ZL32rocblas_syrkx_herkx_small_kernelIi19rocblas_complex_numIdELi16ELb0ELb0ELc67ELc85EKS1_S1_EviT_T0_PT6_S3_lS6_S3_lS4_PT7_S3_li,@function
_ZL32rocblas_syrkx_herkx_small_kernelIi19rocblas_complex_numIdELi16ELb0ELb0ELc67ELc85EKS1_S1_EviT_T0_PT6_S3_lS6_S3_lS4_PT7_S3_li: ; @_ZL32rocblas_syrkx_herkx_small_kernelIi19rocblas_complex_numIdELi16ELb0ELb0ELc67ELc85EKS1_S1_EviT_T0_PT6_S3_lS6_S3_lS4_PT7_S3_li
; %bb.0:
	s_clause 0x3
	s_load_b64 s[24:25], s[0:1], 0x0
	s_load_b128 s[16:19], s[0:1], 0x8
	s_load_b64 s[26:27], s[0:1], 0x18
	s_load_b256 s[4:11], s[0:1], 0x40
	v_bfe_u32 v17, v0, 10, 10
	v_mov_b32_e32 v14, 0
	v_dual_mov_b32 v15, 0 :: v_dual_and_b32 v18, 0x3ff, v0
	s_delay_alu instid0(VALU_DEP_2) | instskip(NEXT) | instid1(VALU_DEP_4)
	v_mov_b32_e32 v12, v14
	v_lshl_add_u32 v16, s14, 4, v17
	s_mov_b32 s12, 0
	s_delay_alu instid0(VALU_DEP_3)
	v_mov_b32_e32 v13, v15
	v_lshl_add_u32 v5, s13, 4, v18
	s_waitcnt lgkmcnt(0)
	v_cmp_gt_i32_e64 s2, s24, v16
	s_cmp_lt_i32 s25, 1
	s_cbranch_scc1 .LBB291_9
; %bb.1:
	s_clause 0x2
	s_load_b32 s3, s[0:1], 0x38
	s_load_b32 s13, s[0:1], 0x20
	s_load_b128 s[20:23], s[0:1], 0x28
	v_lshlrev_b32_e32 v2, 8, v17
	v_dual_mov_b32 v8, 0 :: v_dual_lshlrev_b32 v19, 4, v18
	v_mov_b32_e32 v9, 0
	s_mul_i32 s5, s5, s15
	s_delay_alu instid0(VALU_DEP_3) | instskip(NEXT) | instid1(VALU_DEP_3)
	v_add_nc_u32_e32 v21, 0x1000, v2
	v_add_nc_u32_e32 v20, v19, v2
	s_mul_hi_u32 s14, s4, s15
	v_mov_b32_e32 v13, v9
	s_mul_i32 s4, s4, s15
	s_add_i32 s5, s14, s5
	v_dual_mov_b32 v15, v9 :: v_dual_lshlrev_b32 v4, 4, v17
	s_lshl_b64 s[4:5], s[4:5], 4
	v_cmp_gt_i32_e32 vcc_lo, s24, v5
	v_mov_b32_e32 v14, v8
	v_mov_b32_e32 v12, v8
	s_waitcnt lgkmcnt(0)
	v_mad_i64_i32 v[0:1], null, s3, v16, 0
	v_mad_i64_i32 v[2:3], null, s13, v5, 0
	s_mul_i32 s3, s21, s15
	s_mul_hi_u32 s13, s20, s15
	s_mul_i32 s20, s20, s15
	s_add_i32 s21, s13, s3
	s_delay_alu instid0(VALU_DEP_2) | instskip(SKIP_1) | instid1(VALU_DEP_2)
	v_lshlrev_b64 v[0:1], 4, v[0:1]
	s_lshl_b64 s[20:21], s[20:21], 4
	v_lshlrev_b64 v[2:3], 4, v[2:3]
	s_delay_alu instid0(VALU_DEP_2) | instskip(NEXT) | instid1(VALU_DEP_1)
	v_add_co_u32 v0, s3, v0, s4
	v_add_co_ci_u32_e64 v1, s3, s5, v1, s3
	s_delay_alu instid0(VALU_DEP_3) | instskip(NEXT) | instid1(VALU_DEP_1)
	v_add_co_u32 v2, s3, v2, s20
	v_add_co_ci_u32_e64 v3, s3, s21, v3, s3
	s_delay_alu instid0(VALU_DEP_4) | instskip(NEXT) | instid1(VALU_DEP_1)
	v_add_co_u32 v0, s3, v0, v19
	v_add_co_ci_u32_e64 v1, s3, 0, v1, s3
	s_delay_alu instid0(VALU_DEP_4) | instskip(NEXT) | instid1(VALU_DEP_1)
	;; [unrolled: 3-line block ×4, first 2 shown]
	v_add_co_u32 v0, s3, v2, s26
	v_add_co_ci_u32_e64 v1, s3, s27, v3, s3
	s_delay_alu instid0(VALU_DEP_2) | instskip(NEXT) | instid1(VALU_DEP_1)
	v_add_co_u32 v10, s3, v0, 8
	v_add_co_ci_u32_e64 v11, s3, 0, v1, s3
	v_mov_b32_e32 v0, 0
	v_add_nc_u32_e32 v22, v21, v19
	s_xor_b32 s3, s2, -1
	s_branch .LBB291_3
.LBB291_2:                              ;   in Loop: Header=BB291_3 Depth=1
	s_or_b32 exec_lo, exec_lo, s2
	s_waitcnt lgkmcnt(0)
	s_barrier
	buffer_gl0_inv
	ds_load_b128 v[1:4], v19
	ds_load_b128 v[23:26], v21
	ds_load_b128 v[27:30], v21 offset:16
	ds_load_b128 v[31:34], v19 offset:256
	v_add_co_u32 v6, s2, 0x100, v6
	s_delay_alu instid0(VALU_DEP_1) | instskip(SKIP_1) | instid1(VALU_DEP_1)
	v_add_co_ci_u32_e64 v7, s2, 0, v7, s2
	v_add_co_u32 v10, s2, 0x100, v10
	v_add_co_ci_u32_e64 v11, s2, 0, v11, s2
	s_add_i32 s12, s12, 16
	s_delay_alu instid0(SALU_CYCLE_1)
	s_cmp_ge_i32 s12, s25
	s_waitcnt lgkmcnt(2)
	v_mul_f64 v[35:36], v[25:26], v[3:4]
	v_mul_f64 v[3:4], v[23:24], v[3:4]
	s_waitcnt lgkmcnt(0)
	v_mul_f64 v[41:42], v[29:30], v[33:34]
	v_mul_f64 v[43:44], v[27:28], v[33:34]
	s_delay_alu instid0(VALU_DEP_4) | instskip(NEXT) | instid1(VALU_DEP_4)
	v_fma_f64 v[45:46], v[23:24], v[1:2], -v[35:36]
	v_fma_f64 v[47:48], v[25:26], v[1:2], v[3:4]
	ds_load_b128 v[1:4], v19 offset:512
	ds_load_b128 v[23:26], v21 offset:32
	;; [unrolled: 1-line block ×4, first 2 shown]
	v_fma_f64 v[27:28], v[27:28], v[31:32], -v[41:42]
	v_fma_f64 v[29:30], v[29:30], v[31:32], v[43:44]
	s_waitcnt lgkmcnt(2)
	v_mul_f64 v[49:50], v[25:26], v[3:4]
	v_mul_f64 v[3:4], v[23:24], v[3:4]
	s_waitcnt lgkmcnt(0)
	v_mul_f64 v[31:32], v[35:36], v[39:40]
	v_mul_f64 v[39:40], v[33:34], v[39:40]
	v_add_f64 v[12:13], v[12:13], v[45:46]
	v_add_f64 v[14:15], v[14:15], v[47:48]
	v_fma_f64 v[41:42], v[23:24], v[1:2], -v[49:50]
	v_fma_f64 v[43:44], v[25:26], v[1:2], v[3:4]
	v_fma_f64 v[31:32], v[33:34], v[37:38], -v[31:32]
	v_fma_f64 v[33:34], v[35:36], v[37:38], v[39:40]
	v_add_f64 v[45:46], v[12:13], v[27:28]
	v_add_f64 v[47:48], v[14:15], v[29:30]
	ds_load_b128 v[1:4], v19 offset:1024
	ds_load_b128 v[12:15], v21 offset:64
	;; [unrolled: 1-line block ×4, first 2 shown]
	s_waitcnt lgkmcnt(2)
	v_mul_f64 v[49:50], v[14:15], v[3:4]
	v_mul_f64 v[3:4], v[12:13], v[3:4]
	s_waitcnt lgkmcnt(0)
	v_mul_f64 v[39:40], v[25:26], v[29:30]
	v_add_f64 v[35:36], v[45:46], v[41:42]
	v_add_f64 v[37:38], v[47:48], v[43:44]
	v_mul_f64 v[41:42], v[23:24], v[29:30]
	v_fma_f64 v[43:44], v[12:13], v[1:2], -v[49:50]
	v_fma_f64 v[45:46], v[14:15], v[1:2], v[3:4]
	v_fma_f64 v[23:24], v[23:24], v[27:28], -v[39:40]
	v_add_f64 v[47:48], v[35:36], v[31:32]
	v_add_f64 v[37:38], v[37:38], v[33:34]
	ds_load_b128 v[1:4], v19 offset:1536
	ds_load_b128 v[12:15], v21 offset:96
	;; [unrolled: 1-line block ×4, first 2 shown]
	v_fma_f64 v[25:26], v[25:26], v[27:28], v[41:42]
	s_waitcnt lgkmcnt(2)
	v_mul_f64 v[49:50], v[14:15], v[3:4]
	v_mul_f64 v[3:4], v[12:13], v[3:4]
	s_waitcnt lgkmcnt(0)
	v_mul_f64 v[39:40], v[31:32], v[35:36]
	v_mul_f64 v[41:42], v[29:30], v[35:36]
	v_add_f64 v[27:28], v[47:48], v[43:44]
	v_add_f64 v[37:38], v[37:38], v[45:46]
	v_fma_f64 v[43:44], v[12:13], v[1:2], -v[49:50]
	v_fma_f64 v[45:46], v[14:15], v[1:2], v[3:4]
	v_fma_f64 v[29:30], v[29:30], v[33:34], -v[39:40]
	v_fma_f64 v[31:32], v[31:32], v[33:34], v[41:42]
	v_add_f64 v[27:28], v[27:28], v[23:24]
	v_add_f64 v[47:48], v[37:38], v[25:26]
	ds_load_b128 v[1:4], v19 offset:2048
	ds_load_b128 v[12:15], v21 offset:128
	;; [unrolled: 1-line block ×4, first 2 shown]
	s_waitcnt lgkmcnt(2)
	v_mul_f64 v[49:50], v[14:15], v[3:4]
	v_mul_f64 v[3:4], v[12:13], v[3:4]
	s_waitcnt lgkmcnt(0)
	v_mul_f64 v[39:40], v[25:26], v[37:38]
	v_mul_f64 v[37:38], v[23:24], v[37:38]
	v_add_f64 v[27:28], v[27:28], v[43:44]
	v_add_f64 v[33:34], v[47:48], v[45:46]
	v_fma_f64 v[41:42], v[12:13], v[1:2], -v[49:50]
	v_fma_f64 v[43:44], v[14:15], v[1:2], v[3:4]
	v_fma_f64 v[23:24], v[23:24], v[35:36], -v[39:40]
	v_fma_f64 v[25:26], v[25:26], v[35:36], v[37:38]
	v_add_f64 v[45:46], v[27:28], v[29:30]
	v_add_f64 v[47:48], v[33:34], v[31:32]
	ds_load_b128 v[1:4], v19 offset:2560
	ds_load_b128 v[12:15], v21 offset:160
	;; [unrolled: 1-line block ×4, first 2 shown]
	s_waitcnt lgkmcnt(2)
	v_mul_f64 v[49:50], v[14:15], v[3:4]
	v_mul_f64 v[3:4], v[12:13], v[3:4]
	s_waitcnt lgkmcnt(0)
	v_mul_f64 v[39:40], v[29:30], v[33:34]
	v_add_f64 v[35:36], v[45:46], v[41:42]
	v_add_f64 v[37:38], v[47:48], v[43:44]
	v_mul_f64 v[41:42], v[27:28], v[33:34]
	v_fma_f64 v[43:44], v[12:13], v[1:2], -v[49:50]
	v_fma_f64 v[45:46], v[14:15], v[1:2], v[3:4]
	v_fma_f64 v[27:28], v[27:28], v[31:32], -v[39:40]
	v_add_f64 v[47:48], v[35:36], v[23:24]
	v_add_f64 v[37:38], v[37:38], v[25:26]
	ds_load_b128 v[1:4], v19 offset:3072
	ds_load_b128 v[12:15], v21 offset:192
	;; [unrolled: 1-line block ×4, first 2 shown]
	v_fma_f64 v[29:30], v[29:30], v[31:32], v[41:42]
	s_waitcnt lgkmcnt(2)
	v_mul_f64 v[49:50], v[14:15], v[3:4]
	v_mul_f64 v[3:4], v[12:13], v[3:4]
	s_waitcnt lgkmcnt(0)
	v_mul_f64 v[39:40], v[25:26], v[35:36]
	v_mul_f64 v[41:42], v[23:24], v[35:36]
	v_add_f64 v[31:32], v[47:48], v[43:44]
	v_add_f64 v[37:38], v[37:38], v[45:46]
	v_fma_f64 v[43:44], v[12:13], v[1:2], -v[49:50]
	v_fma_f64 v[45:46], v[14:15], v[1:2], v[3:4]
	v_fma_f64 v[23:24], v[23:24], v[33:34], -v[39:40]
	v_fma_f64 v[25:26], v[25:26], v[33:34], v[41:42]
	v_add_f64 v[31:32], v[31:32], v[27:28]
	v_add_f64 v[47:48], v[37:38], v[29:30]
	ds_load_b128 v[1:4], v19 offset:3584
	ds_load_b128 v[12:15], v21 offset:224
	;; [unrolled: 1-line block ×4, first 2 shown]
	s_waitcnt lgkmcnt(0)
	s_barrier
	buffer_gl0_inv
	v_mul_f64 v[49:50], v[14:15], v[3:4]
	v_mul_f64 v[3:4], v[12:13], v[3:4]
	v_mul_f64 v[39:40], v[29:30], v[37:38]
	v_mul_f64 v[37:38], v[27:28], v[37:38]
	v_add_f64 v[31:32], v[31:32], v[43:44]
	v_add_f64 v[33:34], v[47:48], v[45:46]
	v_fma_f64 v[12:13], v[12:13], v[1:2], -v[49:50]
	v_fma_f64 v[1:2], v[14:15], v[1:2], v[3:4]
	s_delay_alu instid0(VALU_DEP_4) | instskip(NEXT) | instid1(VALU_DEP_4)
	v_add_f64 v[3:4], v[31:32], v[23:24]
	v_add_f64 v[14:15], v[33:34], v[25:26]
	v_fma_f64 v[23:24], v[27:28], v[35:36], -v[39:40]
	v_fma_f64 v[25:26], v[29:30], v[35:36], v[37:38]
	s_delay_alu instid0(VALU_DEP_4) | instskip(NEXT) | instid1(VALU_DEP_4)
	v_add_f64 v[3:4], v[3:4], v[12:13]
	v_add_f64 v[1:2], v[14:15], v[1:2]
	s_delay_alu instid0(VALU_DEP_2) | instskip(NEXT) | instid1(VALU_DEP_2)
	v_add_f64 v[12:13], v[3:4], v[23:24]
	v_add_f64 v[14:15], v[1:2], v[25:26]
	s_cbranch_scc1 .LBB291_9
.LBB291_3:                              ; =>This Inner Loop Header: Depth=1
	v_add_nc_u32_e32 v1, s12, v17
	v_dual_mov_b32 v3, v8 :: v_dual_mov_b32 v4, v9
	s_delay_alu instid0(VALU_DEP_2) | instskip(SKIP_1) | instid1(VALU_DEP_2)
	v_cmp_gt_i32_e64 s2, s25, v1
	v_dual_mov_b32 v1, v8 :: v_dual_mov_b32 v2, v9
	s_and_b32 s4, vcc_lo, s2
	s_delay_alu instid0(SALU_CYCLE_1)
	s_and_saveexec_b32 s2, s4
	s_cbranch_execz .LBB291_5
; %bb.4:                                ;   in Loop: Header=BB291_3 Depth=1
	global_load_b128 v[1:4], v[10:11], off offset:-8
.LBB291_5:                              ;   in Loop: Header=BB291_3 Depth=1
	s_or_b32 exec_lo, exec_lo, s2
	v_add_nc_u32_e32 v23, s12, v18
	s_waitcnt vmcnt(0)
	ds_store_b128 v20, v[1:4]
	v_cmp_le_i32_e64 s2, s25, v23
	s_delay_alu instid0(VALU_DEP_1) | instskip(NEXT) | instid1(SALU_CYCLE_1)
	s_or_b32 s2, s3, s2
	s_and_saveexec_b32 s4, s2
	s_delay_alu instid0(SALU_CYCLE_1)
	s_xor_b32 s2, exec_lo, s4
	s_cbranch_execz .LBB291_7
; %bb.6:                                ;   in Loop: Header=BB291_3 Depth=1
	v_mov_b32_e32 v1, v0
	v_mov_b32_e32 v2, v0
	;; [unrolled: 1-line block ×3, first 2 shown]
	ds_store_b128 v22, v[0:3]
.LBB291_7:                              ;   in Loop: Header=BB291_3 Depth=1
	s_and_not1_saveexec_b32 s2, s2
	s_cbranch_execz .LBB291_2
; %bb.8:                                ;   in Loop: Header=BB291_3 Depth=1
	global_load_b128 v[1:4], v[6:7], off
	s_waitcnt vmcnt(0)
	ds_store_2addr_b64 v22, v[1:2], v[3:4] offset1:1
	s_branch .LBB291_2
.LBB291_9:
	v_cmp_le_i32_e32 vcc_lo, v5, v16
	v_cmp_gt_i32_e64 s2, s24, v16
	s_delay_alu instid0(VALU_DEP_1) | instskip(NEXT) | instid1(SALU_CYCLE_1)
	s_and_b32 s2, vcc_lo, s2
	s_and_saveexec_b32 s3, s2
	s_cbranch_execz .LBB291_11
; %bb.10:
	s_clause 0x1
	s_load_b32 s2, s[0:1], 0x60
	s_load_b64 s[0:1], s[0:1], 0x68
	v_ashrrev_i32_e32 v6, 31, v5
	s_delay_alu instid0(VALU_DEP_4) | instskip(NEXT) | instid1(VALU_DEP_2)
	v_mul_f64 v[8:9], s[16:17], v[14:15]
	v_lshlrev_b64 v[2:3], 4, v[5:6]
	v_mul_f64 v[6:7], s[18:19], v[14:15]
	s_waitcnt lgkmcnt(0)
	v_mad_i64_i32 v[0:1], null, s2, v16, 0
	s_mul_i32 s1, s15, s1
	s_mul_hi_u32 s2, s15, s0
	s_mul_i32 s0, s15, s0
	s_add_i32 s1, s2, s1
	s_delay_alu instid0(SALU_CYCLE_1) | instskip(NEXT) | instid1(VALU_DEP_1)
	s_lshl_b64 s[0:1], s[0:1], 4
	v_lshlrev_b64 v[0:1], 4, v[0:1]
	s_add_u32 s0, s10, s0
	s_addc_u32 s1, s11, s1
	s_delay_alu instid0(VALU_DEP_1) | instskip(NEXT) | instid1(VALU_DEP_2)
	v_add_co_u32 v0, vcc_lo, s0, v0
	v_add_co_ci_u32_e32 v1, vcc_lo, s1, v1, vcc_lo
	s_delay_alu instid0(VALU_DEP_2) | instskip(NEXT) | instid1(VALU_DEP_2)
	v_add_co_u32 v4, vcc_lo, v0, v2
	v_add_co_ci_u32_e32 v5, vcc_lo, v1, v3, vcc_lo
	v_fma_f64 v[8:9], s[18:19], v[12:13], v[8:9]
	v_fma_f64 v[6:7], s[16:17], v[12:13], -v[6:7]
	global_load_b128 v[0:3], v[4:5], off
	s_waitcnt vmcnt(0)
	v_mul_f64 v[10:11], s[8:9], v[2:3]
	v_mul_f64 v[2:3], s[6:7], v[2:3]
	s_delay_alu instid0(VALU_DEP_2) | instskip(NEXT) | instid1(VALU_DEP_2)
	v_fma_f64 v[10:11], s[6:7], v[0:1], -v[10:11]
	v_fma_f64 v[2:3], s[8:9], v[0:1], v[2:3]
	s_delay_alu instid0(VALU_DEP_2) | instskip(NEXT) | instid1(VALU_DEP_2)
	v_add_f64 v[0:1], v[6:7], v[10:11]
	v_add_f64 v[2:3], v[8:9], v[2:3]
	global_store_b128 v[4:5], v[0:3], off
.LBB291_11:
	s_nop 0
	s_sendmsg sendmsg(MSG_DEALLOC_VGPRS)
	s_endpgm
	.section	.rodata,"a",@progbits
	.p2align	6, 0x0
	.amdhsa_kernel _ZL32rocblas_syrkx_herkx_small_kernelIi19rocblas_complex_numIdELi16ELb0ELb0ELc67ELc85EKS1_S1_EviT_T0_PT6_S3_lS6_S3_lS4_PT7_S3_li
		.amdhsa_group_segment_fixed_size 8192
		.amdhsa_private_segment_fixed_size 0
		.amdhsa_kernarg_size 116
		.amdhsa_user_sgpr_count 13
		.amdhsa_user_sgpr_dispatch_ptr 0
		.amdhsa_user_sgpr_queue_ptr 0
		.amdhsa_user_sgpr_kernarg_segment_ptr 1
		.amdhsa_user_sgpr_dispatch_id 0
		.amdhsa_user_sgpr_private_segment_size 0
		.amdhsa_wavefront_size32 1
		.amdhsa_uses_dynamic_stack 0
		.amdhsa_enable_private_segment 0
		.amdhsa_system_sgpr_workgroup_id_x 1
		.amdhsa_system_sgpr_workgroup_id_y 1
		.amdhsa_system_sgpr_workgroup_id_z 1
		.amdhsa_system_sgpr_workgroup_info 0
		.amdhsa_system_vgpr_workitem_id 1
		.amdhsa_next_free_vgpr 51
		.amdhsa_next_free_sgpr 28
		.amdhsa_reserve_vcc 1
		.amdhsa_float_round_mode_32 0
		.amdhsa_float_round_mode_16_64 0
		.amdhsa_float_denorm_mode_32 3
		.amdhsa_float_denorm_mode_16_64 3
		.amdhsa_dx10_clamp 1
		.amdhsa_ieee_mode 1
		.amdhsa_fp16_overflow 0
		.amdhsa_workgroup_processor_mode 1
		.amdhsa_memory_ordered 1
		.amdhsa_forward_progress 0
		.amdhsa_shared_vgpr_count 0
		.amdhsa_exception_fp_ieee_invalid_op 0
		.amdhsa_exception_fp_denorm_src 0
		.amdhsa_exception_fp_ieee_div_zero 0
		.amdhsa_exception_fp_ieee_overflow 0
		.amdhsa_exception_fp_ieee_underflow 0
		.amdhsa_exception_fp_ieee_inexact 0
		.amdhsa_exception_int_div_zero 0
	.end_amdhsa_kernel
	.section	.text._ZL32rocblas_syrkx_herkx_small_kernelIi19rocblas_complex_numIdELi16ELb0ELb0ELc67ELc85EKS1_S1_EviT_T0_PT6_S3_lS6_S3_lS4_PT7_S3_li,"axG",@progbits,_ZL32rocblas_syrkx_herkx_small_kernelIi19rocblas_complex_numIdELi16ELb0ELb0ELc67ELc85EKS1_S1_EviT_T0_PT6_S3_lS6_S3_lS4_PT7_S3_li,comdat
.Lfunc_end291:
	.size	_ZL32rocblas_syrkx_herkx_small_kernelIi19rocblas_complex_numIdELi16ELb0ELb0ELc67ELc85EKS1_S1_EviT_T0_PT6_S3_lS6_S3_lS4_PT7_S3_li, .Lfunc_end291-_ZL32rocblas_syrkx_herkx_small_kernelIi19rocblas_complex_numIdELi16ELb0ELb0ELc67ELc85EKS1_S1_EviT_T0_PT6_S3_lS6_S3_lS4_PT7_S3_li
                                        ; -- End function
	.section	.AMDGPU.csdata,"",@progbits
; Kernel info:
; codeLenInByte = 2056
; NumSgprs: 30
; NumVgprs: 51
; ScratchSize: 0
; MemoryBound: 1
; FloatMode: 240
; IeeeMode: 1
; LDSByteSize: 8192 bytes/workgroup (compile time only)
; SGPRBlocks: 3
; VGPRBlocks: 6
; NumSGPRsForWavesPerEU: 30
; NumVGPRsForWavesPerEU: 51
; Occupancy: 16
; WaveLimiterHint : 0
; COMPUTE_PGM_RSRC2:SCRATCH_EN: 0
; COMPUTE_PGM_RSRC2:USER_SGPR: 13
; COMPUTE_PGM_RSRC2:TRAP_HANDLER: 0
; COMPUTE_PGM_RSRC2:TGID_X_EN: 1
; COMPUTE_PGM_RSRC2:TGID_Y_EN: 1
; COMPUTE_PGM_RSRC2:TGID_Z_EN: 1
; COMPUTE_PGM_RSRC2:TIDIG_COMP_CNT: 1
	.section	.text._ZL32rocblas_syrkx_herkx_small_kernelIi19rocblas_complex_numIdELi16ELb0ELb0ELc78ELc85EKS1_S1_EviT_T0_PT6_S3_lS6_S3_lS4_PT7_S3_li,"axG",@progbits,_ZL32rocblas_syrkx_herkx_small_kernelIi19rocblas_complex_numIdELi16ELb0ELb0ELc78ELc85EKS1_S1_EviT_T0_PT6_S3_lS6_S3_lS4_PT7_S3_li,comdat
	.globl	_ZL32rocblas_syrkx_herkx_small_kernelIi19rocblas_complex_numIdELi16ELb0ELb0ELc78ELc85EKS1_S1_EviT_T0_PT6_S3_lS6_S3_lS4_PT7_S3_li ; -- Begin function _ZL32rocblas_syrkx_herkx_small_kernelIi19rocblas_complex_numIdELi16ELb0ELb0ELc78ELc85EKS1_S1_EviT_T0_PT6_S3_lS6_S3_lS4_PT7_S3_li
	.p2align	8
	.type	_ZL32rocblas_syrkx_herkx_small_kernelIi19rocblas_complex_numIdELi16ELb0ELb0ELc78ELc85EKS1_S1_EviT_T0_PT6_S3_lS6_S3_lS4_PT7_S3_li,@function
_ZL32rocblas_syrkx_herkx_small_kernelIi19rocblas_complex_numIdELi16ELb0ELb0ELc78ELc85EKS1_S1_EviT_T0_PT6_S3_lS6_S3_lS4_PT7_S3_li: ; @_ZL32rocblas_syrkx_herkx_small_kernelIi19rocblas_complex_numIdELi16ELb0ELb0ELc78ELc85EKS1_S1_EviT_T0_PT6_S3_lS6_S3_lS4_PT7_S3_li
; %bb.0:
	s_clause 0x3
	s_load_b64 s[24:25], s[0:1], 0x0
	s_load_b128 s[16:19], s[0:1], 0x8
	s_load_b64 s[26:27], s[0:1], 0x18
	s_load_b256 s[4:11], s[0:1], 0x40
	v_and_b32_e32 v16, 0x3ff, v0
	v_bfe_u32 v17, v0, 10, 10
	v_mov_b32_e32 v12, 0
	v_mov_b32_e32 v13, 0
	s_delay_alu instid0(VALU_DEP_4) | instskip(NEXT) | instid1(VALU_DEP_4)
	v_lshl_add_u32 v5, s13, 4, v16
	v_lshl_add_u32 v7, s14, 4, v17
	s_mov_b32 s14, 0
	s_delay_alu instid0(VALU_DEP_3) | instskip(NEXT) | instid1(VALU_DEP_3)
	v_dual_mov_b32 v15, v13 :: v_dual_mov_b32 v14, v12
	v_ashrrev_i32_e32 v6, 31, v5
	s_waitcnt lgkmcnt(0)
	v_cmp_gt_i32_e32 vcc_lo, s24, v7
	s_cmp_lt_i32 s25, 1
	s_cbranch_scc1 .LBB292_9
; %bb.1:
	s_clause 0x2
	s_load_b32 s12, s[0:1], 0x38
	s_load_b32 s28, s[0:1], 0x20
	s_load_b128 s[20:23], s[0:1], 0x28
	v_ashrrev_i32_e32 v8, 31, v7
	s_mul_i32 s3, s5, s15
	s_mul_hi_u32 s5, s4, s15
	s_mul_i32 s4, s4, s15
	s_add_i32 s5, s5, s3
	v_lshlrev_b64 v[8:9], 4, v[7:8]
	s_lshl_b64 s[4:5], s[4:5], 4
	v_mov_b32_e32 v12, 0
	v_dual_mov_b32 v13, 0 :: v_dual_lshlrev_b32 v4, 8, v17
	v_lshlrev_b32_e32 v18, 4, v16
	v_lshlrev_b64 v[0:1], 4, v[5:6]
	v_cmp_gt_i32_e64 s2, s24, v5
	s_delay_alu instid0(VALU_DEP_4) | instskip(NEXT) | instid1(VALU_DEP_4)
	v_add_nc_u32_e32 v19, 0x1000, v4
	v_dual_mov_b32 v15, v13 :: v_dual_add_nc_u32 v20, v18, v4
	v_mov_b32_e32 v14, v12
	s_waitcnt lgkmcnt(0)
	v_mad_i64_i32 v[2:3], null, s12, v16, 0
	s_mul_i32 s3, s21, s15
	s_mul_hi_u32 s21, s20, s15
	v_mad_i64_i32 v[10:11], null, s28, v17, 0
	s_add_i32 s21, s21, s3
	s_mul_i32 s20, s20, s15
	s_delay_alu instid0(VALU_DEP_2) | instskip(SKIP_2) | instid1(VALU_DEP_1)
	v_lshlrev_b64 v[2:3], 4, v[2:3]
	s_ashr_i32 s29, s28, 31
	s_ashr_i32 s13, s12, 31
	v_add_co_u32 v2, s3, s4, v2
	s_delay_alu instid0(VALU_DEP_1) | instskip(SKIP_1) | instid1(VALU_DEP_2)
	v_add_co_ci_u32_e64 v3, s3, s5, v3, s3
	s_lshl_b64 s[4:5], s[20:21], 4
	v_add_co_u32 v4, s3, v2, v8
	s_delay_alu instid0(VALU_DEP_1) | instskip(SKIP_1) | instid1(VALU_DEP_3)
	v_add_co_ci_u32_e64 v8, s3, v3, v9, s3
	v_lshlrev_b64 v[2:3], 4, v[10:11]
	v_add_co_u32 v4, s3, v4, s22
	s_delay_alu instid0(VALU_DEP_1) | instskip(NEXT) | instid1(VALU_DEP_3)
	v_add_co_ci_u32_e64 v9, s3, s23, v8, s3
	v_add_co_u32 v2, s3, s4, v2
	s_delay_alu instid0(VALU_DEP_1) | instskip(NEXT) | instid1(VALU_DEP_4)
	v_add_co_ci_u32_e64 v3, s3, s5, v3, s3
	v_add_co_u32 v8, s3, v4, 8
	s_delay_alu instid0(VALU_DEP_1) | instskip(NEXT) | instid1(VALU_DEP_4)
	v_add_co_ci_u32_e64 v9, s3, 0, v9, s3
	v_add_co_u32 v0, s3, v2, v0
	s_delay_alu instid0(VALU_DEP_1) | instskip(SKIP_1) | instid1(VALU_DEP_2)
	v_add_co_ci_u32_e64 v1, s3, v3, v1, s3
	s_lshl_b64 s[4:5], s[12:13], 8
	v_add_co_u32 v10, s3, s26, v0
	v_dual_mov_b32 v0, 0 :: v_dual_add_nc_u32 v21, v19, v18
	s_delay_alu instid0(VALU_DEP_3)
	v_add_co_ci_u32_e64 v11, s3, s27, v1, s3
	s_lshl_b64 s[12:13], s[28:29], 8
	s_xor_b32 s3, s2, -1
	s_branch .LBB292_3
.LBB292_2:                              ;   in Loop: Header=BB292_3 Depth=1
	s_or_b32 exec_lo, exec_lo, s2
	s_waitcnt vmcnt(0)
	ds_store_b128 v21, v[1:4]
	s_waitcnt lgkmcnt(0)
	s_barrier
	buffer_gl0_inv
	ds_load_b128 v[1:4], v18
	ds_load_b128 v[22:25], v19
	ds_load_b128 v[26:29], v19 offset:16
	ds_load_b128 v[30:33], v18 offset:256
	v_add_co_u32 v8, s2, v8, s4
	s_delay_alu instid0(VALU_DEP_1) | instskip(SKIP_1) | instid1(VALU_DEP_1)
	v_add_co_ci_u32_e64 v9, s2, s5, v9, s2
	v_add_co_u32 v10, s2, v10, s12
	v_add_co_ci_u32_e64 v11, s2, s13, v11, s2
	s_add_i32 s14, s14, 16
	s_delay_alu instid0(SALU_CYCLE_1)
	s_cmp_ge_i32 s14, s25
	s_waitcnt lgkmcnt(2)
	v_mul_f64 v[34:35], v[24:25], v[3:4]
	v_mul_f64 v[3:4], v[22:23], v[3:4]
	s_waitcnt lgkmcnt(0)
	v_mul_f64 v[40:41], v[28:29], v[32:33]
	v_mul_f64 v[42:43], v[26:27], v[32:33]
	s_delay_alu instid0(VALU_DEP_4) | instskip(NEXT) | instid1(VALU_DEP_4)
	v_fma_f64 v[44:45], v[22:23], v[1:2], -v[34:35]
	v_fma_f64 v[46:47], v[24:25], v[1:2], v[3:4]
	ds_load_b128 v[1:4], v18 offset:512
	ds_load_b128 v[22:25], v19 offset:32
	;; [unrolled: 1-line block ×4, first 2 shown]
	v_fma_f64 v[26:27], v[26:27], v[30:31], -v[40:41]
	v_fma_f64 v[28:29], v[28:29], v[30:31], v[42:43]
	s_waitcnt lgkmcnt(2)
	v_mul_f64 v[48:49], v[24:25], v[3:4]
	v_mul_f64 v[3:4], v[22:23], v[3:4]
	s_waitcnt lgkmcnt(0)
	v_mul_f64 v[30:31], v[34:35], v[38:39]
	v_mul_f64 v[38:39], v[32:33], v[38:39]
	v_add_f64 v[14:15], v[14:15], v[44:45]
	v_add_f64 v[12:13], v[12:13], v[46:47]
	v_fma_f64 v[40:41], v[22:23], v[1:2], -v[48:49]
	v_fma_f64 v[42:43], v[24:25], v[1:2], v[3:4]
	v_fma_f64 v[30:31], v[32:33], v[36:37], -v[30:31]
	v_fma_f64 v[32:33], v[34:35], v[36:37], v[38:39]
	v_add_f64 v[44:45], v[14:15], v[26:27]
	v_add_f64 v[46:47], v[12:13], v[28:29]
	ds_load_b128 v[1:4], v18 offset:1024
	ds_load_b128 v[12:15], v19 offset:64
	ds_load_b128 v[22:25], v19 offset:80
	ds_load_b128 v[26:29], v18 offset:1280
	s_waitcnt lgkmcnt(2)
	v_mul_f64 v[48:49], v[14:15], v[3:4]
	v_mul_f64 v[3:4], v[12:13], v[3:4]
	s_waitcnt lgkmcnt(0)
	v_mul_f64 v[38:39], v[24:25], v[28:29]
	v_add_f64 v[34:35], v[44:45], v[40:41]
	v_add_f64 v[36:37], v[46:47], v[42:43]
	v_mul_f64 v[40:41], v[22:23], v[28:29]
	v_fma_f64 v[42:43], v[12:13], v[1:2], -v[48:49]
	v_fma_f64 v[44:45], v[14:15], v[1:2], v[3:4]
	v_fma_f64 v[22:23], v[22:23], v[26:27], -v[38:39]
	v_add_f64 v[46:47], v[34:35], v[30:31]
	v_add_f64 v[36:37], v[36:37], v[32:33]
	ds_load_b128 v[1:4], v18 offset:1536
	ds_load_b128 v[12:15], v19 offset:96
	;; [unrolled: 1-line block ×4, first 2 shown]
	v_fma_f64 v[24:25], v[24:25], v[26:27], v[40:41]
	s_waitcnt lgkmcnt(2)
	v_mul_f64 v[48:49], v[14:15], v[3:4]
	v_mul_f64 v[3:4], v[12:13], v[3:4]
	s_waitcnt lgkmcnt(0)
	v_mul_f64 v[38:39], v[30:31], v[34:35]
	v_mul_f64 v[40:41], v[28:29], v[34:35]
	v_add_f64 v[26:27], v[46:47], v[42:43]
	v_add_f64 v[36:37], v[36:37], v[44:45]
	v_fma_f64 v[42:43], v[12:13], v[1:2], -v[48:49]
	v_fma_f64 v[44:45], v[14:15], v[1:2], v[3:4]
	v_fma_f64 v[28:29], v[28:29], v[32:33], -v[38:39]
	v_fma_f64 v[30:31], v[30:31], v[32:33], v[40:41]
	v_add_f64 v[26:27], v[26:27], v[22:23]
	v_add_f64 v[46:47], v[36:37], v[24:25]
	ds_load_b128 v[1:4], v18 offset:2048
	ds_load_b128 v[12:15], v19 offset:128
	;; [unrolled: 1-line block ×4, first 2 shown]
	s_waitcnt lgkmcnt(2)
	v_mul_f64 v[48:49], v[14:15], v[3:4]
	v_mul_f64 v[3:4], v[12:13], v[3:4]
	s_waitcnt lgkmcnt(0)
	v_mul_f64 v[38:39], v[24:25], v[36:37]
	v_mul_f64 v[36:37], v[22:23], v[36:37]
	v_add_f64 v[26:27], v[26:27], v[42:43]
	v_add_f64 v[32:33], v[46:47], v[44:45]
	v_fma_f64 v[40:41], v[12:13], v[1:2], -v[48:49]
	v_fma_f64 v[42:43], v[14:15], v[1:2], v[3:4]
	v_fma_f64 v[22:23], v[22:23], v[34:35], -v[38:39]
	v_fma_f64 v[24:25], v[24:25], v[34:35], v[36:37]
	v_add_f64 v[44:45], v[26:27], v[28:29]
	v_add_f64 v[46:47], v[32:33], v[30:31]
	ds_load_b128 v[1:4], v18 offset:2560
	ds_load_b128 v[12:15], v19 offset:160
	;; [unrolled: 1-line block ×4, first 2 shown]
	s_waitcnt lgkmcnt(2)
	v_mul_f64 v[48:49], v[14:15], v[3:4]
	v_mul_f64 v[3:4], v[12:13], v[3:4]
	s_waitcnt lgkmcnt(0)
	v_mul_f64 v[38:39], v[28:29], v[32:33]
	v_add_f64 v[34:35], v[44:45], v[40:41]
	v_add_f64 v[36:37], v[46:47], v[42:43]
	v_mul_f64 v[40:41], v[26:27], v[32:33]
	v_fma_f64 v[42:43], v[12:13], v[1:2], -v[48:49]
	v_fma_f64 v[44:45], v[14:15], v[1:2], v[3:4]
	v_fma_f64 v[26:27], v[26:27], v[30:31], -v[38:39]
	v_add_f64 v[46:47], v[34:35], v[22:23]
	v_add_f64 v[36:37], v[36:37], v[24:25]
	ds_load_b128 v[1:4], v18 offset:3072
	ds_load_b128 v[12:15], v19 offset:192
	;; [unrolled: 1-line block ×4, first 2 shown]
	v_fma_f64 v[28:29], v[28:29], v[30:31], v[40:41]
	s_waitcnt lgkmcnt(2)
	v_mul_f64 v[48:49], v[14:15], v[3:4]
	v_mul_f64 v[3:4], v[12:13], v[3:4]
	s_waitcnt lgkmcnt(0)
	v_mul_f64 v[38:39], v[24:25], v[34:35]
	v_mul_f64 v[40:41], v[22:23], v[34:35]
	v_add_f64 v[30:31], v[46:47], v[42:43]
	v_add_f64 v[36:37], v[36:37], v[44:45]
	v_fma_f64 v[42:43], v[12:13], v[1:2], -v[48:49]
	v_fma_f64 v[44:45], v[14:15], v[1:2], v[3:4]
	v_fma_f64 v[22:23], v[22:23], v[32:33], -v[38:39]
	v_fma_f64 v[24:25], v[24:25], v[32:33], v[40:41]
	v_add_f64 v[30:31], v[30:31], v[26:27]
	v_add_f64 v[46:47], v[36:37], v[28:29]
	ds_load_b128 v[1:4], v18 offset:3584
	ds_load_b128 v[12:15], v19 offset:224
	;; [unrolled: 1-line block ×4, first 2 shown]
	s_waitcnt lgkmcnt(0)
	s_barrier
	buffer_gl0_inv
	v_mul_f64 v[48:49], v[14:15], v[3:4]
	v_mul_f64 v[3:4], v[12:13], v[3:4]
	;; [unrolled: 1-line block ×4, first 2 shown]
	v_add_f64 v[30:31], v[30:31], v[42:43]
	v_add_f64 v[32:33], v[46:47], v[44:45]
	v_fma_f64 v[12:13], v[12:13], v[1:2], -v[48:49]
	v_fma_f64 v[1:2], v[14:15], v[1:2], v[3:4]
	s_delay_alu instid0(VALU_DEP_4) | instskip(NEXT) | instid1(VALU_DEP_4)
	v_add_f64 v[3:4], v[30:31], v[22:23]
	v_add_f64 v[14:15], v[32:33], v[24:25]
	v_fma_f64 v[22:23], v[26:27], v[34:35], -v[38:39]
	v_fma_f64 v[24:25], v[28:29], v[34:35], v[36:37]
	s_delay_alu instid0(VALU_DEP_4) | instskip(NEXT) | instid1(VALU_DEP_4)
	v_add_f64 v[3:4], v[3:4], v[12:13]
	v_add_f64 v[1:2], v[14:15], v[1:2]
	s_delay_alu instid0(VALU_DEP_2) | instskip(NEXT) | instid1(VALU_DEP_2)
	v_add_f64 v[14:15], v[3:4], v[22:23]
	v_add_f64 v[12:13], v[1:2], v[24:25]
	s_cbranch_scc1 .LBB292_9
.LBB292_3:                              ; =>This Inner Loop Header: Depth=1
	v_add_nc_u32_e32 v1, s14, v17
	s_delay_alu instid0(VALU_DEP_1) | instskip(NEXT) | instid1(VALU_DEP_1)
	v_cmp_le_i32_e64 s2, s25, v1
	s_or_b32 s2, s3, s2
	s_delay_alu instid0(SALU_CYCLE_1) | instskip(NEXT) | instid1(SALU_CYCLE_1)
	s_and_saveexec_b32 s20, s2
	s_xor_b32 s2, exec_lo, s20
	s_cbranch_execz .LBB292_5
; %bb.4:                                ;   in Loop: Header=BB292_3 Depth=1
	v_mov_b32_e32 v1, v0
	v_mov_b32_e32 v2, v0
	;; [unrolled: 1-line block ×3, first 2 shown]
	ds_store_b128 v20, v[0:3]
.LBB292_5:                              ;   in Loop: Header=BB292_3 Depth=1
	s_and_not1_saveexec_b32 s2, s2
	s_cbranch_execz .LBB292_7
; %bb.6:                                ;   in Loop: Header=BB292_3 Depth=1
	global_load_b128 v[1:4], v[10:11], off
	s_waitcnt vmcnt(0)
	ds_store_2addr_b64 v20, v[1:2], v[3:4] offset1:1
.LBB292_7:                              ;   in Loop: Header=BB292_3 Depth=1
	s_or_b32 exec_lo, exec_lo, s2
	v_add_nc_u32_e32 v3, s14, v16
	v_mov_b32_e32 v1, 0
	v_mov_b32_e32 v2, 0
	s_delay_alu instid0(VALU_DEP_3) | instskip(NEXT) | instid1(VALU_DEP_2)
	v_cmp_gt_i32_e64 s2, s25, v3
	v_dual_mov_b32 v4, v2 :: v_dual_mov_b32 v3, v1
	s_delay_alu instid0(VALU_DEP_2) | instskip(NEXT) | instid1(SALU_CYCLE_1)
	s_and_b32 s20, vcc_lo, s2
	s_and_saveexec_b32 s2, s20
	s_cbranch_execz .LBB292_2
; %bb.8:                                ;   in Loop: Header=BB292_3 Depth=1
	global_load_b128 v[1:4], v[8:9], off offset:-8
	s_branch .LBB292_2
.LBB292_9:
	v_cmp_le_i32_e32 vcc_lo, v5, v7
	v_cmp_gt_i32_e64 s2, s24, v7
	s_delay_alu instid0(VALU_DEP_1) | instskip(NEXT) | instid1(SALU_CYCLE_1)
	s_and_b32 s2, vcc_lo, s2
	s_and_saveexec_b32 s3, s2
	s_cbranch_execz .LBB292_11
; %bb.10:
	s_clause 0x1
	s_load_b32 s2, s[0:1], 0x60
	s_load_b64 s[0:1], s[0:1], 0x68
	v_lshlrev_b64 v[2:3], 4, v[5:6]
	s_delay_alu instid0(VALU_DEP_4)
	v_mul_f64 v[8:9], s[16:17], v[12:13]
	s_waitcnt lgkmcnt(0)
	v_mad_i64_i32 v[0:1], null, s2, v7, 0
	s_mul_i32 s1, s15, s1
	s_mul_hi_u32 s2, s15, s0
	s_mul_i32 s0, s15, s0
	s_add_i32 s1, s2, s1
	v_mul_f64 v[6:7], s[18:19], v[12:13]
	s_lshl_b64 s[0:1], s[0:1], 4
	s_delay_alu instid0(VALU_DEP_2) | instskip(SKIP_2) | instid1(VALU_DEP_1)
	v_lshlrev_b64 v[0:1], 4, v[0:1]
	s_add_u32 s0, s10, s0
	s_addc_u32 s1, s11, s1
	v_add_co_u32 v0, vcc_lo, s0, v0
	s_delay_alu instid0(VALU_DEP_2) | instskip(NEXT) | instid1(VALU_DEP_2)
	v_add_co_ci_u32_e32 v1, vcc_lo, s1, v1, vcc_lo
	v_add_co_u32 v4, vcc_lo, v0, v2
	s_delay_alu instid0(VALU_DEP_2)
	v_add_co_ci_u32_e32 v5, vcc_lo, v1, v3, vcc_lo
	v_fma_f64 v[8:9], s[18:19], v[14:15], v[8:9]
	global_load_b128 v[0:3], v[4:5], off
	v_fma_f64 v[6:7], s[16:17], v[14:15], -v[6:7]
	s_waitcnt vmcnt(0)
	v_mul_f64 v[10:11], s[8:9], v[2:3]
	v_mul_f64 v[2:3], s[6:7], v[2:3]
	s_delay_alu instid0(VALU_DEP_2) | instskip(NEXT) | instid1(VALU_DEP_2)
	v_fma_f64 v[10:11], s[6:7], v[0:1], -v[10:11]
	v_fma_f64 v[2:3], s[8:9], v[0:1], v[2:3]
	s_delay_alu instid0(VALU_DEP_2) | instskip(NEXT) | instid1(VALU_DEP_2)
	v_add_f64 v[0:1], v[6:7], v[10:11]
	v_add_f64 v[2:3], v[8:9], v[2:3]
	global_store_b128 v[4:5], v[0:3], off
.LBB292_11:
	s_nop 0
	s_sendmsg sendmsg(MSG_DEALLOC_VGPRS)
	s_endpgm
	.section	.rodata,"a",@progbits
	.p2align	6, 0x0
	.amdhsa_kernel _ZL32rocblas_syrkx_herkx_small_kernelIi19rocblas_complex_numIdELi16ELb0ELb0ELc78ELc85EKS1_S1_EviT_T0_PT6_S3_lS6_S3_lS4_PT7_S3_li
		.amdhsa_group_segment_fixed_size 8192
		.amdhsa_private_segment_fixed_size 0
		.amdhsa_kernarg_size 116
		.amdhsa_user_sgpr_count 13
		.amdhsa_user_sgpr_dispatch_ptr 0
		.amdhsa_user_sgpr_queue_ptr 0
		.amdhsa_user_sgpr_kernarg_segment_ptr 1
		.amdhsa_user_sgpr_dispatch_id 0
		.amdhsa_user_sgpr_private_segment_size 0
		.amdhsa_wavefront_size32 1
		.amdhsa_uses_dynamic_stack 0
		.amdhsa_enable_private_segment 0
		.amdhsa_system_sgpr_workgroup_id_x 1
		.amdhsa_system_sgpr_workgroup_id_y 1
		.amdhsa_system_sgpr_workgroup_id_z 1
		.amdhsa_system_sgpr_workgroup_info 0
		.amdhsa_system_vgpr_workitem_id 1
		.amdhsa_next_free_vgpr 50
		.amdhsa_next_free_sgpr 30
		.amdhsa_reserve_vcc 1
		.amdhsa_float_round_mode_32 0
		.amdhsa_float_round_mode_16_64 0
		.amdhsa_float_denorm_mode_32 3
		.amdhsa_float_denorm_mode_16_64 3
		.amdhsa_dx10_clamp 1
		.amdhsa_ieee_mode 1
		.amdhsa_fp16_overflow 0
		.amdhsa_workgroup_processor_mode 1
		.amdhsa_memory_ordered 1
		.amdhsa_forward_progress 0
		.amdhsa_shared_vgpr_count 0
		.amdhsa_exception_fp_ieee_invalid_op 0
		.amdhsa_exception_fp_denorm_src 0
		.amdhsa_exception_fp_ieee_div_zero 0
		.amdhsa_exception_fp_ieee_overflow 0
		.amdhsa_exception_fp_ieee_underflow 0
		.amdhsa_exception_fp_ieee_inexact 0
		.amdhsa_exception_int_div_zero 0
	.end_amdhsa_kernel
	.section	.text._ZL32rocblas_syrkx_herkx_small_kernelIi19rocblas_complex_numIdELi16ELb0ELb0ELc78ELc85EKS1_S1_EviT_T0_PT6_S3_lS6_S3_lS4_PT7_S3_li,"axG",@progbits,_ZL32rocblas_syrkx_herkx_small_kernelIi19rocblas_complex_numIdELi16ELb0ELb0ELc78ELc85EKS1_S1_EviT_T0_PT6_S3_lS6_S3_lS4_PT7_S3_li,comdat
.Lfunc_end292:
	.size	_ZL32rocblas_syrkx_herkx_small_kernelIi19rocblas_complex_numIdELi16ELb0ELb0ELc78ELc85EKS1_S1_EviT_T0_PT6_S3_lS6_S3_lS4_PT7_S3_li, .Lfunc_end292-_ZL32rocblas_syrkx_herkx_small_kernelIi19rocblas_complex_numIdELi16ELb0ELb0ELc78ELc85EKS1_S1_EviT_T0_PT6_S3_lS6_S3_lS4_PT7_S3_li
                                        ; -- End function
	.section	.AMDGPU.csdata,"",@progbits
; Kernel info:
; codeLenInByte = 2072
; NumSgprs: 32
; NumVgprs: 50
; ScratchSize: 0
; MemoryBound: 1
; FloatMode: 240
; IeeeMode: 1
; LDSByteSize: 8192 bytes/workgroup (compile time only)
; SGPRBlocks: 3
; VGPRBlocks: 6
; NumSGPRsForWavesPerEU: 32
; NumVGPRsForWavesPerEU: 50
; Occupancy: 16
; WaveLimiterHint : 0
; COMPUTE_PGM_RSRC2:SCRATCH_EN: 0
; COMPUTE_PGM_RSRC2:USER_SGPR: 13
; COMPUTE_PGM_RSRC2:TRAP_HANDLER: 0
; COMPUTE_PGM_RSRC2:TGID_X_EN: 1
; COMPUTE_PGM_RSRC2:TGID_Y_EN: 1
; COMPUTE_PGM_RSRC2:TGID_Z_EN: 1
; COMPUTE_PGM_RSRC2:TIDIG_COMP_CNT: 1
	.section	.text._ZL34rocblas_syrkx_herkx_general_kernelIi19rocblas_complex_numIdELi16ELi32ELi8ELb1ELb0ELc84ELc76EKS1_S1_EviT_T0_PT8_S3_lS6_S3_lS4_PT9_S3_li,"axG",@progbits,_ZL34rocblas_syrkx_herkx_general_kernelIi19rocblas_complex_numIdELi16ELi32ELi8ELb1ELb0ELc84ELc76EKS1_S1_EviT_T0_PT8_S3_lS6_S3_lS4_PT9_S3_li,comdat
	.globl	_ZL34rocblas_syrkx_herkx_general_kernelIi19rocblas_complex_numIdELi16ELi32ELi8ELb1ELb0ELc84ELc76EKS1_S1_EviT_T0_PT8_S3_lS6_S3_lS4_PT9_S3_li ; -- Begin function _ZL34rocblas_syrkx_herkx_general_kernelIi19rocblas_complex_numIdELi16ELi32ELi8ELb1ELb0ELc84ELc76EKS1_S1_EviT_T0_PT8_S3_lS6_S3_lS4_PT9_S3_li
	.p2align	8
	.type	_ZL34rocblas_syrkx_herkx_general_kernelIi19rocblas_complex_numIdELi16ELi32ELi8ELb1ELb0ELc84ELc76EKS1_S1_EviT_T0_PT8_S3_lS6_S3_lS4_PT9_S3_li,@function
_ZL34rocblas_syrkx_herkx_general_kernelIi19rocblas_complex_numIdELi16ELi32ELi8ELb1ELb0ELc84ELc76EKS1_S1_EviT_T0_PT8_S3_lS6_S3_lS4_PT9_S3_li: ; @_ZL34rocblas_syrkx_herkx_general_kernelIi19rocblas_complex_numIdELi16ELi32ELi8ELb1ELb0ELc84ELc76EKS1_S1_EviT_T0_PT8_S3_lS6_S3_lS4_PT9_S3_li
; %bb.0:
	s_clause 0x2
	s_load_b64 s[16:17], s[0:1], 0x0
	s_load_b128 s[4:7], s[0:1], 0x8
	s_load_b64 s[18:19], s[0:1], 0x18
	v_mov_b32_e32 v20, 0
	v_dual_mov_b32 v21, 0 :: v_dual_and_b32 v24, 0x3ff, v0
	v_bfe_u32 v25, v0, 10, 10
	s_delay_alu instid0(VALU_DEP_3) | instskip(NEXT) | instid1(VALU_DEP_3)
	v_mov_b32_e32 v8, v20
	v_dual_mov_b32 v10, v20 :: v_dual_mov_b32 v11, v21
	v_dual_mov_b32 v23, v21 :: v_dual_mov_b32 v22, v20
	v_dual_mov_b32 v9, v21 :: v_dual_mov_b32 v14, v20
	v_dual_mov_b32 v15, v21 :: v_dual_mov_b32 v16, v20
	v_dual_mov_b32 v17, v21 :: v_dual_mov_b32 v18, v20
	v_dual_mov_b32 v19, v21 :: v_dual_mov_b32 v12, v20
	v_mov_b32_e32 v13, v21
	s_lshl_b32 s12, s13, 5
	s_lshl_b32 s13, s14, 5
	s_waitcnt lgkmcnt(0)
	s_cmp_lt_i32 s17, 1
	s_mov_b32 s14, 0
	s_cbranch_scc1 .LBB293_11
; %bb.1:
	s_load_b32 s2, s[0:1], 0x20
	v_lshl_add_u32 v0, v25, 4, v24
	v_dual_mov_b32 v12, 0 :: v_dual_lshlrev_b32 v27, 4, v24
	s_clause 0x2
	s_load_b128 s[8:11], s[0:1], 0x28
	s_load_b32 s3, s[0:1], 0x38
	s_load_b64 s[20:21], s[0:1], 0x40
	v_dual_mov_b32 v13, 0 :: v_dual_and_b32 v26, 7, v24
	v_and_b32_e32 v2, 31, v0
	v_lshrrev_b32_e32 v1, 3, v0
	v_lshrrev_b32_e32 v29, 5, v0
	s_delay_alu instid0(VALU_DEP_4) | instskip(SKIP_3) | instid1(VALU_DEP_4)
	v_dual_mov_b32 v17, v13 :: v_dual_lshlrev_b32 v6, 4, v26
	v_mov_b32_e32 v19, v13
	v_add_nc_u32_e32 v3, s12, v2
	v_dual_mov_b32 v15, v13 :: v_dual_add_nc_u32 v4, s13, v1
	v_lshl_or_b32 v7, v1, 7, v6
	v_or_b32_e32 v5, s12, v2
	v_lshlrev_b32_e32 v2, 4, v2
	v_dual_mov_b32 v10, v12 :: v_dual_mov_b32 v23, v13
	s_waitcnt lgkmcnt(0)
	v_mad_i64_i32 v[0:1], null, s2, v3, 0
	s_mul_i32 s9, s9, s15
	s_mul_hi_u32 s22, s8, s15
	v_mov_b32_e32 v11, v13
	v_lshl_or_b32 v30, v29, 9, v2
	v_mad_i64_i32 v[2:3], null, s3, v4, 0
	s_delay_alu instid0(VALU_DEP_4)
	v_lshlrev_b64 v[0:1], 4, v[0:1]
	s_mul_i32 s8, s8, s15
	s_add_i32 s9, s22, s9
	v_cmp_gt_i32_e64 s2, s16, v4
	s_lshl_b64 s[8:9], s[8:9], 4
	v_dual_mov_b32 v18, v12 :: v_dual_add_nc_u32 v31, 0x1000, v7
	v_add_co_u32 v4, s3, v0, s8
	v_dual_mov_b32 v16, v12 :: v_dual_lshlrev_b32 v7, 4, v29
	v_cmp_gt_i32_e32 vcc_lo, s16, v5
	v_add_co_ci_u32_e64 v5, s3, s9, v1, s3
	s_mul_i32 s3, s21, s15
	s_mul_hi_u32 s8, s20, s15
	v_lshlrev_b64 v[0:1], 4, v[2:3]
	s_add_i32 s9, s8, s3
	s_mul_i32 s8, s20, s15
	v_add_co_u32 v2, s3, v4, v7
	s_lshl_b64 s[8:9], s[8:9], 4
	v_add_co_ci_u32_e64 v3, s3, 0, v5, s3
	v_add_co_u32 v0, s3, v0, s8
	s_delay_alu instid0(VALU_DEP_1) | instskip(SKIP_1) | instid1(VALU_DEP_1)
	v_add_co_ci_u32_e64 v1, s3, s9, v1, s3
	v_add_co_u32 v4, s3, s18, v2
	v_add_co_ci_u32_e64 v5, s3, s19, v3, s3
	s_delay_alu instid0(VALU_DEP_4) | instskip(NEXT) | instid1(VALU_DEP_1)
	v_add_co_u32 v0, s3, v0, v6
	v_add_co_ci_u32_e64 v1, s3, 0, v1, s3
	v_dual_mov_b32 v8, v12 :: v_dual_mov_b32 v21, v13
	s_delay_alu instid0(VALU_DEP_3) | instskip(SKIP_1) | instid1(VALU_DEP_4)
	v_add_co_u32 v6, s3, s10, v0
	v_lshl_add_u32 v28, v25, 7, 0x1000
	v_add_co_ci_u32_e64 v7, s3, s11, v1, s3
	v_mov_b32_e32 v0, 0
	v_dual_mov_b32 v14, v12 :: v_dual_mov_b32 v9, v13
	v_mov_b32_e32 v22, v12
	v_mov_b32_e32 v20, v12
	s_xor_b32 s3, vcc_lo, -1
	s_xor_b32 s2, s2, -1
	s_branch .LBB293_3
.LBB293_2:                              ;   in Loop: Header=BB293_3 Depth=1
	s_or_b32 exec_lo, exec_lo, s8
	s_waitcnt lgkmcnt(0)
	s_barrier
	buffer_gl0_inv
	ds_load_b128 v[32:35], v28
	ds_load_b128 v[36:39], v28 offset:16
	ds_load_b128 v[40:43], v28 offset:32
	;; [unrolled: 1-line block ×3, first 2 shown]
	ds_load_b128 v[48:51], v27
	v_add_co_u32 v4, vcc_lo, 0x80, v4
	v_add_co_ci_u32_e32 v5, vcc_lo, 0, v5, vcc_lo
	v_add_co_u32 v6, vcc_lo, 0x80, v6
	v_add_co_ci_u32_e32 v7, vcc_lo, 0, v7, vcc_lo
	s_add_i32 s14, s14, 8
	s_delay_alu instid0(SALU_CYCLE_1) | instskip(SKIP_3) | instid1(VALU_DEP_2)
	s_cmp_ge_i32 s14, s17
	s_waitcnt lgkmcnt(0)
	v_mul_f64 v[1:2], v[34:35], v[50:51]
	v_mul_f64 v[52:53], v[32:33], v[50:51]
	v_fma_f64 v[1:2], v[32:33], v[48:49], -v[1:2]
	s_delay_alu instid0(VALU_DEP_2) | instskip(NEXT) | instid1(VALU_DEP_2)
	v_fma_f64 v[52:53], v[34:35], v[48:49], v[52:53]
	v_add_f64 v[1:2], v[20:21], v[1:2]
	s_delay_alu instid0(VALU_DEP_2) | instskip(SKIP_3) | instid1(VALU_DEP_1)
	v_add_f64 v[52:53], v[22:23], v[52:53]
	ds_load_b128 v[20:23], v27 offset:256
	s_waitcnt lgkmcnt(0)
	v_mul_f64 v[54:55], v[34:35], v[22:23]
	v_fma_f64 v[54:55], v[32:33], v[20:21], -v[54:55]
	v_mul_f64 v[32:33], v[32:33], v[22:23]
	s_delay_alu instid0(VALU_DEP_1) | instskip(NEXT) | instid1(VALU_DEP_3)
	v_fma_f64 v[32:33], v[34:35], v[20:21], v[32:33]
	v_add_f64 v[34:35], v[8:9], v[54:55]
	s_delay_alu instid0(VALU_DEP_2) | instskip(SKIP_4) | instid1(VALU_DEP_2)
	v_add_f64 v[32:33], v[10:11], v[32:33]
	ds_load_b128 v[8:11], v28 offset:2048
	s_waitcnt lgkmcnt(0)
	v_mul_f64 v[54:55], v[10:11], v[50:51]
	v_mul_f64 v[50:51], v[8:9], v[50:51]
	v_fma_f64 v[54:55], v[8:9], v[48:49], -v[54:55]
	s_delay_alu instid0(VALU_DEP_2) | instskip(NEXT) | instid1(VALU_DEP_2)
	v_fma_f64 v[48:49], v[10:11], v[48:49], v[50:51]
	v_add_f64 v[50:51], v[14:15], v[54:55]
	v_mul_f64 v[14:15], v[10:11], v[22:23]
	s_delay_alu instid0(VALU_DEP_3) | instskip(NEXT) | instid1(VALU_DEP_2)
	v_add_f64 v[48:49], v[16:17], v[48:49]
	v_fma_f64 v[14:15], v[8:9], v[20:21], -v[14:15]
	v_mul_f64 v[8:9], v[8:9], v[22:23]
	s_delay_alu instid0(VALU_DEP_1) | instskip(NEXT) | instid1(VALU_DEP_3)
	v_fma_f64 v[8:9], v[10:11], v[20:21], v[8:9]
	v_add_f64 v[20:21], v[18:19], v[14:15]
	s_delay_alu instid0(VALU_DEP_2) | instskip(SKIP_4) | instid1(VALU_DEP_2)
	v_add_f64 v[22:23], v[12:13], v[8:9]
	ds_load_b128 v[8:11], v27 offset:512
	s_waitcnt lgkmcnt(0)
	v_mul_f64 v[12:13], v[38:39], v[10:11]
	v_mul_f64 v[14:15], v[36:37], v[10:11]
	v_fma_f64 v[12:13], v[36:37], v[8:9], -v[12:13]
	s_delay_alu instid0(VALU_DEP_2) | instskip(NEXT) | instid1(VALU_DEP_2)
	v_fma_f64 v[14:15], v[38:39], v[8:9], v[14:15]
	v_add_f64 v[1:2], v[1:2], v[12:13]
	s_delay_alu instid0(VALU_DEP_2) | instskip(SKIP_4) | instid1(VALU_DEP_2)
	v_add_f64 v[52:53], v[52:53], v[14:15]
	ds_load_b128 v[12:15], v27 offset:768
	s_waitcnt lgkmcnt(0)
	v_mul_f64 v[16:17], v[38:39], v[14:15]
	v_mul_f64 v[18:19], v[36:37], v[14:15]
	v_fma_f64 v[16:17], v[36:37], v[12:13], -v[16:17]
	s_delay_alu instid0(VALU_DEP_2) | instskip(NEXT) | instid1(VALU_DEP_2)
	v_fma_f64 v[18:19], v[38:39], v[12:13], v[18:19]
	v_add_f64 v[34:35], v[34:35], v[16:17]
	s_delay_alu instid0(VALU_DEP_2) | instskip(SKIP_4) | instid1(VALU_DEP_2)
	v_add_f64 v[32:33], v[32:33], v[18:19]
	ds_load_b128 v[16:19], v28 offset:2064
	s_waitcnt lgkmcnt(0)
	v_mul_f64 v[36:37], v[18:19], v[10:11]
	v_mul_f64 v[10:11], v[16:17], v[10:11]
	v_fma_f64 v[36:37], v[16:17], v[8:9], -v[36:37]
	s_delay_alu instid0(VALU_DEP_2) | instskip(SKIP_1) | instid1(VALU_DEP_3)
	v_fma_f64 v[8:9], v[18:19], v[8:9], v[10:11]
	v_mul_f64 v[10:11], v[16:17], v[14:15]
	v_add_f64 v[36:37], v[50:51], v[36:37]
	s_delay_alu instid0(VALU_DEP_3) | instskip(SKIP_1) | instid1(VALU_DEP_4)
	v_add_f64 v[38:39], v[48:49], v[8:9]
	v_mul_f64 v[8:9], v[18:19], v[14:15]
	v_fma_f64 v[10:11], v[18:19], v[12:13], v[10:11]
	s_delay_alu instid0(VALU_DEP_2) | instskip(NEXT) | instid1(VALU_DEP_2)
	v_fma_f64 v[8:9], v[16:17], v[12:13], -v[8:9]
	v_add_f64 v[22:23], v[22:23], v[10:11]
	s_delay_alu instid0(VALU_DEP_2) | instskip(SKIP_4) | instid1(VALU_DEP_2)
	v_add_f64 v[20:21], v[20:21], v[8:9]
	ds_load_b128 v[8:11], v27 offset:1024
	s_waitcnt lgkmcnt(0)
	v_mul_f64 v[12:13], v[42:43], v[10:11]
	v_mul_f64 v[14:15], v[40:41], v[10:11]
	v_fma_f64 v[12:13], v[40:41], v[8:9], -v[12:13]
	s_delay_alu instid0(VALU_DEP_2) | instskip(NEXT) | instid1(VALU_DEP_2)
	v_fma_f64 v[14:15], v[42:43], v[8:9], v[14:15]
	v_add_f64 v[1:2], v[1:2], v[12:13]
	s_delay_alu instid0(VALU_DEP_2) | instskip(SKIP_4) | instid1(VALU_DEP_2)
	v_add_f64 v[48:49], v[52:53], v[14:15]
	ds_load_b128 v[12:15], v27 offset:1280
	s_waitcnt lgkmcnt(0)
	v_mul_f64 v[16:17], v[42:43], v[14:15]
	v_mul_f64 v[18:19], v[40:41], v[14:15]
	v_fma_f64 v[16:17], v[40:41], v[12:13], -v[16:17]
	s_delay_alu instid0(VALU_DEP_2) | instskip(NEXT) | instid1(VALU_DEP_2)
	v_fma_f64 v[18:19], v[42:43], v[12:13], v[18:19]
	v_add_f64 v[34:35], v[34:35], v[16:17]
	s_delay_alu instid0(VALU_DEP_2) | instskip(SKIP_4) | instid1(VALU_DEP_2)
	v_add_f64 v[32:33], v[32:33], v[18:19]
	ds_load_b128 v[16:19], v28 offset:2080
	s_waitcnt lgkmcnt(0)
	v_mul_f64 v[40:41], v[18:19], v[10:11]
	v_mul_f64 v[10:11], v[16:17], v[10:11]
	v_fma_f64 v[40:41], v[16:17], v[8:9], -v[40:41]
	s_delay_alu instid0(VALU_DEP_2) | instskip(SKIP_1) | instid1(VALU_DEP_3)
	v_fma_f64 v[8:9], v[18:19], v[8:9], v[10:11]
	v_mul_f64 v[10:11], v[16:17], v[14:15]
	v_add_f64 v[36:37], v[36:37], v[40:41]
	s_delay_alu instid0(VALU_DEP_3) | instskip(SKIP_1) | instid1(VALU_DEP_4)
	v_add_f64 v[38:39], v[38:39], v[8:9]
	v_mul_f64 v[8:9], v[18:19], v[14:15]
	v_fma_f64 v[10:11], v[18:19], v[12:13], v[10:11]
	s_delay_alu instid0(VALU_DEP_2) | instskip(NEXT) | instid1(VALU_DEP_2)
	v_fma_f64 v[8:9], v[16:17], v[12:13], -v[8:9]
	;; [unrolled: 38-line block ×3, first 2 shown]
	v_add_f64 v[22:23], v[22:23], v[10:11]
	s_delay_alu instid0(VALU_DEP_2)
	v_add_f64 v[20:21], v[20:21], v[8:9]
	ds_load_b128 v[8:11], v28 offset:64
	ds_load_b128 v[12:15], v27 offset:2048
	s_waitcnt lgkmcnt(0)
	v_mul_f64 v[16:17], v[10:11], v[14:15]
	v_mul_f64 v[18:19], v[8:9], v[14:15]
	s_delay_alu instid0(VALU_DEP_2) | instskip(NEXT) | instid1(VALU_DEP_2)
	v_fma_f64 v[16:17], v[8:9], v[12:13], -v[16:17]
	v_fma_f64 v[18:19], v[10:11], v[12:13], v[18:19]
	s_delay_alu instid0(VALU_DEP_2) | instskip(NEXT) | instid1(VALU_DEP_2)
	v_add_f64 v[1:2], v[1:2], v[16:17]
	v_add_f64 v[40:41], v[40:41], v[18:19]
	ds_load_b128 v[16:19], v27 offset:2304
	s_waitcnt lgkmcnt(0)
	v_mul_f64 v[42:43], v[10:11], v[18:19]
	s_delay_alu instid0(VALU_DEP_1) | instskip(SKIP_1) | instid1(VALU_DEP_2)
	v_fma_f64 v[42:43], v[8:9], v[16:17], -v[42:43]
	v_mul_f64 v[8:9], v[8:9], v[18:19]
	v_add_f64 v[34:35], v[34:35], v[42:43]
	s_delay_alu instid0(VALU_DEP_2) | instskip(NEXT) | instid1(VALU_DEP_1)
	v_fma_f64 v[8:9], v[10:11], v[16:17], v[8:9]
	v_add_f64 v[32:33], v[32:33], v[8:9]
	ds_load_b128 v[8:11], v28 offset:2112
	s_waitcnt lgkmcnt(0)
	v_mul_f64 v[42:43], v[10:11], v[14:15]
	v_mul_f64 v[14:15], v[8:9], v[14:15]
	s_delay_alu instid0(VALU_DEP_2) | instskip(NEXT) | instid1(VALU_DEP_2)
	v_fma_f64 v[42:43], v[8:9], v[12:13], -v[42:43]
	v_fma_f64 v[12:13], v[10:11], v[12:13], v[14:15]
	s_delay_alu instid0(VALU_DEP_2) | instskip(NEXT) | instid1(VALU_DEP_2)
	v_add_f64 v[36:37], v[36:37], v[42:43]
	v_add_f64 v[38:39], v[38:39], v[12:13]
	v_mul_f64 v[12:13], v[10:11], v[18:19]
	s_delay_alu instid0(VALU_DEP_1) | instskip(SKIP_1) | instid1(VALU_DEP_2)
	v_fma_f64 v[12:13], v[8:9], v[16:17], -v[12:13]
	v_mul_f64 v[8:9], v[8:9], v[18:19]
	v_add_f64 v[20:21], v[20:21], v[12:13]
	s_delay_alu instid0(VALU_DEP_2) | instskip(NEXT) | instid1(VALU_DEP_1)
	v_fma_f64 v[8:9], v[10:11], v[16:17], v[8:9]
	v_add_f64 v[22:23], v[22:23], v[8:9]
	ds_load_b128 v[8:11], v28 offset:80
	ds_load_b128 v[12:15], v27 offset:2560
	s_waitcnt lgkmcnt(0)
	v_mul_f64 v[16:17], v[10:11], v[14:15]
	v_mul_f64 v[18:19], v[8:9], v[14:15]
	s_delay_alu instid0(VALU_DEP_2) | instskip(NEXT) | instid1(VALU_DEP_2)
	v_fma_f64 v[16:17], v[8:9], v[12:13], -v[16:17]
	v_fma_f64 v[18:19], v[10:11], v[12:13], v[18:19]
	s_delay_alu instid0(VALU_DEP_2) | instskip(NEXT) | instid1(VALU_DEP_2)
	v_add_f64 v[1:2], v[1:2], v[16:17]
	v_add_f64 v[40:41], v[40:41], v[18:19]
	ds_load_b128 v[16:19], v27 offset:2816
	s_waitcnt lgkmcnt(0)
	v_mul_f64 v[42:43], v[10:11], v[18:19]
	s_delay_alu instid0(VALU_DEP_1) | instskip(SKIP_1) | instid1(VALU_DEP_2)
	v_fma_f64 v[42:43], v[8:9], v[16:17], -v[42:43]
	v_mul_f64 v[8:9], v[8:9], v[18:19]
	v_add_f64 v[34:35], v[34:35], v[42:43]
	s_delay_alu instid0(VALU_DEP_2) | instskip(NEXT) | instid1(VALU_DEP_1)
	v_fma_f64 v[8:9], v[10:11], v[16:17], v[8:9]
	v_add_f64 v[32:33], v[32:33], v[8:9]
	ds_load_b128 v[8:11], v28 offset:2128
	s_waitcnt lgkmcnt(0)
	v_mul_f64 v[42:43], v[10:11], v[14:15]
	v_mul_f64 v[14:15], v[8:9], v[14:15]
	s_delay_alu instid0(VALU_DEP_2) | instskip(NEXT) | instid1(VALU_DEP_2)
	v_fma_f64 v[42:43], v[8:9], v[12:13], -v[42:43]
	v_fma_f64 v[12:13], v[10:11], v[12:13], v[14:15]
	s_delay_alu instid0(VALU_DEP_2) | instskip(NEXT) | instid1(VALU_DEP_2)
	v_add_f64 v[36:37], v[36:37], v[42:43]
	v_add_f64 v[38:39], v[38:39], v[12:13]
	v_mul_f64 v[12:13], v[10:11], v[18:19]
	s_delay_alu instid0(VALU_DEP_1) | instskip(SKIP_1) | instid1(VALU_DEP_2)
	v_fma_f64 v[12:13], v[8:9], v[16:17], -v[12:13]
	v_mul_f64 v[8:9], v[8:9], v[18:19]
	v_add_f64 v[20:21], v[20:21], v[12:13]
	s_delay_alu instid0(VALU_DEP_2) | instskip(NEXT) | instid1(VALU_DEP_1)
	v_fma_f64 v[8:9], v[10:11], v[16:17], v[8:9]
	;; [unrolled: 39-line block ×3, first 2 shown]
	v_add_f64 v[50:51], v[22:23], v[8:9]
	ds_load_b128 v[8:11], v28 offset:112
	ds_load_b128 v[12:15], v27 offset:3584
	ds_load_b128 v[32:35], v27 offset:3840
	ds_load_b128 v[36:39], v28 offset:2160
	s_waitcnt lgkmcnt(0)
	s_barrier
	buffer_gl0_inv
	v_mul_f64 v[16:17], v[10:11], v[14:15]
	v_mul_f64 v[20:21], v[8:9], v[14:15]
	s_delay_alu instid0(VALU_DEP_2) | instskip(NEXT) | instid1(VALU_DEP_2)
	v_fma_f64 v[16:17], v[8:9], v[12:13], -v[16:17]
	v_fma_f64 v[22:23], v[10:11], v[12:13], v[20:21]
	s_delay_alu instid0(VALU_DEP_2) | instskip(SKIP_1) | instid1(VALU_DEP_3)
	v_add_f64 v[20:21], v[1:2], v[16:17]
	v_mul_f64 v[1:2], v[10:11], v[34:35]
	v_add_f64 v[22:23], v[40:41], v[22:23]
	s_delay_alu instid0(VALU_DEP_2) | instskip(SKIP_1) | instid1(VALU_DEP_1)
	v_fma_f64 v[1:2], v[8:9], v[32:33], -v[1:2]
	v_mul_f64 v[8:9], v[8:9], v[34:35]
	v_fma_f64 v[10:11], v[10:11], v[32:33], v[8:9]
	s_delay_alu instid0(VALU_DEP_3) | instskip(SKIP_2) | instid1(VALU_DEP_4)
	v_add_f64 v[8:9], v[42:43], v[1:2]
	v_mul_f64 v[1:2], v[38:39], v[14:15]
	v_mul_f64 v[14:15], v[36:37], v[14:15]
	v_add_f64 v[10:11], v[44:45], v[10:11]
	s_delay_alu instid0(VALU_DEP_3) | instskip(NEXT) | instid1(VALU_DEP_3)
	v_fma_f64 v[1:2], v[36:37], v[12:13], -v[1:2]
	v_fma_f64 v[12:13], v[38:39], v[12:13], v[14:15]
	s_delay_alu instid0(VALU_DEP_2) | instskip(NEXT) | instid1(VALU_DEP_2)
	v_add_f64 v[14:15], v[46:47], v[1:2]
	v_add_f64 v[16:17], v[48:49], v[12:13]
	v_mul_f64 v[1:2], v[38:39], v[34:35]
	v_mul_f64 v[12:13], v[36:37], v[34:35]
	s_delay_alu instid0(VALU_DEP_2) | instskip(NEXT) | instid1(VALU_DEP_2)
	v_fma_f64 v[1:2], v[36:37], v[32:33], -v[1:2]
	v_fma_f64 v[12:13], v[38:39], v[32:33], v[12:13]
	s_delay_alu instid0(VALU_DEP_2) | instskip(NEXT) | instid1(VALU_DEP_2)
	v_add_f64 v[18:19], v[18:19], v[1:2]
	v_add_f64 v[12:13], v[50:51], v[12:13]
	s_cbranch_scc1 .LBB293_11
.LBB293_3:                              ; =>This Inner Loop Header: Depth=1
	v_add_nc_u32_e32 v1, s14, v29
	s_delay_alu instid0(VALU_DEP_1) | instskip(SKIP_1) | instid1(SALU_CYCLE_1)
	v_cmp_le_i32_e32 vcc_lo, s17, v1
	s_or_b32 s8, s3, vcc_lo
	s_and_saveexec_b32 s9, s8
	s_delay_alu instid0(SALU_CYCLE_1)
	s_xor_b32 s8, exec_lo, s9
	s_cbranch_execz .LBB293_5
; %bb.4:                                ;   in Loop: Header=BB293_3 Depth=1
	v_mov_b32_e32 v1, v0
	v_mov_b32_e32 v2, v0
	v_mov_b32_e32 v3, v0
	ds_store_b128 v30, v[0:3]
.LBB293_5:                              ;   in Loop: Header=BB293_3 Depth=1
	s_and_not1_saveexec_b32 s8, s8
	s_cbranch_execz .LBB293_7
; %bb.6:                                ;   in Loop: Header=BB293_3 Depth=1
	global_load_b128 v[32:35], v[4:5], off
	s_waitcnt vmcnt(0)
	ds_store_2addr_b64 v30, v[32:33], v[34:35] offset1:1
.LBB293_7:                              ;   in Loop: Header=BB293_3 Depth=1
	s_or_b32 exec_lo, exec_lo, s8
	v_add_nc_u32_e32 v1, s14, v26
	s_delay_alu instid0(VALU_DEP_1) | instskip(SKIP_1) | instid1(SALU_CYCLE_1)
	v_cmp_le_i32_e32 vcc_lo, s17, v1
	s_or_b32 s8, vcc_lo, s2
	s_and_saveexec_b32 s9, s8
	s_delay_alu instid0(SALU_CYCLE_1)
	s_xor_b32 s8, exec_lo, s9
	s_cbranch_execz .LBB293_9
; %bb.8:                                ;   in Loop: Header=BB293_3 Depth=1
	v_mov_b32_e32 v1, v0
	v_mov_b32_e32 v2, v0
	;; [unrolled: 1-line block ×3, first 2 shown]
	ds_store_b128 v31, v[0:3]
.LBB293_9:                              ;   in Loop: Header=BB293_3 Depth=1
	s_and_not1_saveexec_b32 s8, s8
	s_cbranch_execz .LBB293_2
; %bb.10:                               ;   in Loop: Header=BB293_3 Depth=1
	global_load_b128 v[32:35], v[6:7], off
	s_waitcnt vmcnt(0)
	ds_store_2addr_b64 v31, v[32:33], v[34:35] offset1:1
	s_branch .LBB293_2
.LBB293_11:
	s_clause 0x2
	s_load_b32 s2, s[0:1], 0x60
	s_load_b64 s[8:9], s[0:1], 0x68
	s_load_b64 s[10:11], s[0:1], 0x58
	v_add_nc_u32_e32 v4, s13, v25
	v_add_nc_u32_e32 v0, s12, v24
	s_delay_alu instid0(VALU_DEP_1)
	v_cmp_le_i32_e64 s0, v4, v0
	v_cmp_gt_i32_e32 vcc_lo, s16, v0
	s_waitcnt lgkmcnt(0)
	v_mad_i64_i32 v[1:2], null, v4, s2, 0
	s_mul_i32 s1, s15, s9
	s_mul_hi_u32 s3, s15, s8
	s_mul_i32 s8, s15, s8
	s_add_i32 s9, s3, s1
	s_delay_alu instid0(SALU_CYCLE_1) | instskip(NEXT) | instid1(VALU_DEP_1)
	s_lshl_b64 s[8:9], s[8:9], 4
	v_lshlrev_b64 v[1:2], 4, v[1:2]
	s_add_u32 s3, s10, s8
	s_addc_u32 s8, s11, s9
	s_and_b32 s0, s0, vcc_lo
	s_delay_alu instid0(VALU_DEP_1) | instskip(NEXT) | instid1(VALU_DEP_1)
	v_add_co_u32 v5, s1, s3, v1
	v_add_co_ci_u32_e64 v6, s1, s8, v2, s1
	s_and_saveexec_b32 s1, s0
	s_cbranch_execz .LBB293_13
; %bb.12:
	v_mul_f64 v[1:2], s[6:7], v[22:23]
	v_mul_f64 v[24:25], s[4:5], v[22:23]
	s_delay_alu instid0(VALU_DEP_2) | instskip(NEXT) | instid1(VALU_DEP_2)
	v_fma_f64 v[22:23], s[4:5], v[20:21], -v[1:2]
	v_fma_f64 v[24:25], s[6:7], v[20:21], v[24:25]
	v_ashrrev_i32_e32 v1, 31, v0
	s_delay_alu instid0(VALU_DEP_1) | instskip(NEXT) | instid1(VALU_DEP_1)
	v_lshlrev_b64 v[1:2], 4, v[0:1]
	v_add_co_u32 v1, s0, v5, v1
	s_delay_alu instid0(VALU_DEP_1)
	v_add_co_ci_u32_e64 v2, s0, v6, v2, s0
	global_store_b128 v[1:2], v[22:25], off
.LBB293_13:
	s_or_b32 exec_lo, exec_lo, s1
	v_add_nc_u32_e32 v2, 16, v0
	s_delay_alu instid0(VALU_DEP_1) | instskip(SKIP_1) | instid1(VALU_DEP_1)
	v_cmp_le_i32_e64 s1, v4, v2
	v_cmp_gt_i32_e64 s0, s16, v2
	s_and_b32 s1, s1, s0
	s_delay_alu instid0(SALU_CYCLE_1)
	s_and_saveexec_b32 s9, s1
	s_cbranch_execz .LBB293_15
; %bb.14:
	v_mul_f64 v[20:21], s[6:7], v[10:11]
	v_mul_f64 v[10:11], s[4:5], v[10:11]
	v_ashrrev_i32_e32 v3, 31, v2
	s_delay_alu instid0(VALU_DEP_3) | instskip(NEXT) | instid1(VALU_DEP_3)
	v_fma_f64 v[20:21], s[4:5], v[8:9], -v[20:21]
	v_fma_f64 v[22:23], s[6:7], v[8:9], v[10:11]
	s_delay_alu instid0(VALU_DEP_3) | instskip(NEXT) | instid1(VALU_DEP_1)
	v_lshlrev_b64 v[7:8], 4, v[2:3]
	v_add_co_u32 v5, s1, v5, v7
	s_delay_alu instid0(VALU_DEP_1)
	v_add_co_ci_u32_e64 v6, s1, v6, v8, s1
	global_store_b128 v[5:6], v[20:23], off
.LBB293_15:
	s_or_b32 exec_lo, exec_lo, s9
	v_add_nc_u32_e32 v3, 16, v4
	s_delay_alu instid0(VALU_DEP_1) | instskip(SKIP_1) | instid1(VALU_DEP_2)
	v_mad_i64_i32 v[4:5], null, v3, s2, 0
	v_cmp_le_i32_e64 s1, v3, v0
	v_lshlrev_b64 v[4:5], 4, v[4:5]
	s_delay_alu instid0(VALU_DEP_1) | instskip(NEXT) | instid1(VALU_DEP_1)
	v_add_co_u32 v4, s2, s3, v4
	v_add_co_ci_u32_e64 v5, s2, s8, v5, s2
	s_delay_alu instid0(VALU_DEP_4) | instskip(NEXT) | instid1(SALU_CYCLE_1)
	s_and_b32 s2, s1, vcc_lo
	s_and_saveexec_b32 s1, s2
	s_cbranch_execz .LBB293_17
; %bb.16:
	v_mul_f64 v[6:7], s[6:7], v[16:17]
	v_mul_f64 v[8:9], s[4:5], v[16:17]
	v_ashrrev_i32_e32 v1, 31, v0
	s_delay_alu instid0(VALU_DEP_1) | instskip(NEXT) | instid1(VALU_DEP_1)
	v_lshlrev_b64 v[0:1], 4, v[0:1]
	v_add_co_u32 v0, vcc_lo, v4, v0
	s_delay_alu instid0(VALU_DEP_2)
	v_add_co_ci_u32_e32 v1, vcc_lo, v5, v1, vcc_lo
	v_fma_f64 v[6:7], s[4:5], v[14:15], -v[6:7]
	v_fma_f64 v[8:9], s[6:7], v[14:15], v[8:9]
	global_store_b128 v[0:1], v[6:9], off
.LBB293_17:
	s_or_b32 exec_lo, exec_lo, s1
	v_cmp_le_i32_e32 vcc_lo, v3, v2
	s_and_b32 s0, vcc_lo, s0
	s_delay_alu instid0(SALU_CYCLE_1)
	s_and_saveexec_b32 s1, s0
	s_cbranch_execz .LBB293_19
; %bb.18:
	v_mul_f64 v[0:1], s[6:7], v[12:13]
	v_mul_f64 v[8:9], s[4:5], v[12:13]
	v_ashrrev_i32_e32 v3, 31, v2
	s_delay_alu instid0(VALU_DEP_3) | instskip(NEXT) | instid1(VALU_DEP_3)
	v_fma_f64 v[6:7], s[4:5], v[18:19], -v[0:1]
	v_fma_f64 v[8:9], s[6:7], v[18:19], v[8:9]
	s_delay_alu instid0(VALU_DEP_3) | instskip(NEXT) | instid1(VALU_DEP_1)
	v_lshlrev_b64 v[0:1], 4, v[2:3]
	v_add_co_u32 v0, vcc_lo, v4, v0
	s_delay_alu instid0(VALU_DEP_2)
	v_add_co_ci_u32_e32 v1, vcc_lo, v5, v1, vcc_lo
	global_store_b128 v[0:1], v[6:9], off
.LBB293_19:
	s_nop 0
	s_sendmsg sendmsg(MSG_DEALLOC_VGPRS)
	s_endpgm
	.section	.rodata,"a",@progbits
	.p2align	6, 0x0
	.amdhsa_kernel _ZL34rocblas_syrkx_herkx_general_kernelIi19rocblas_complex_numIdELi16ELi32ELi8ELb1ELb0ELc84ELc76EKS1_S1_EviT_T0_PT8_S3_lS6_S3_lS4_PT9_S3_li
		.amdhsa_group_segment_fixed_size 8192
		.amdhsa_private_segment_fixed_size 0
		.amdhsa_kernarg_size 116
		.amdhsa_user_sgpr_count 13
		.amdhsa_user_sgpr_dispatch_ptr 0
		.amdhsa_user_sgpr_queue_ptr 0
		.amdhsa_user_sgpr_kernarg_segment_ptr 1
		.amdhsa_user_sgpr_dispatch_id 0
		.amdhsa_user_sgpr_private_segment_size 0
		.amdhsa_wavefront_size32 1
		.amdhsa_uses_dynamic_stack 0
		.amdhsa_enable_private_segment 0
		.amdhsa_system_sgpr_workgroup_id_x 1
		.amdhsa_system_sgpr_workgroup_id_y 1
		.amdhsa_system_sgpr_workgroup_id_z 1
		.amdhsa_system_sgpr_workgroup_info 0
		.amdhsa_system_vgpr_workitem_id 1
		.amdhsa_next_free_vgpr 56
		.amdhsa_next_free_sgpr 23
		.amdhsa_reserve_vcc 1
		.amdhsa_float_round_mode_32 0
		.amdhsa_float_round_mode_16_64 0
		.amdhsa_float_denorm_mode_32 3
		.amdhsa_float_denorm_mode_16_64 3
		.amdhsa_dx10_clamp 1
		.amdhsa_ieee_mode 1
		.amdhsa_fp16_overflow 0
		.amdhsa_workgroup_processor_mode 1
		.amdhsa_memory_ordered 1
		.amdhsa_forward_progress 0
		.amdhsa_shared_vgpr_count 0
		.amdhsa_exception_fp_ieee_invalid_op 0
		.amdhsa_exception_fp_denorm_src 0
		.amdhsa_exception_fp_ieee_div_zero 0
		.amdhsa_exception_fp_ieee_overflow 0
		.amdhsa_exception_fp_ieee_underflow 0
		.amdhsa_exception_fp_ieee_inexact 0
		.amdhsa_exception_int_div_zero 0
	.end_amdhsa_kernel
	.section	.text._ZL34rocblas_syrkx_herkx_general_kernelIi19rocblas_complex_numIdELi16ELi32ELi8ELb1ELb0ELc84ELc76EKS1_S1_EviT_T0_PT8_S3_lS6_S3_lS4_PT9_S3_li,"axG",@progbits,_ZL34rocblas_syrkx_herkx_general_kernelIi19rocblas_complex_numIdELi16ELi32ELi8ELb1ELb0ELc84ELc76EKS1_S1_EviT_T0_PT8_S3_lS6_S3_lS4_PT9_S3_li,comdat
.Lfunc_end293:
	.size	_ZL34rocblas_syrkx_herkx_general_kernelIi19rocblas_complex_numIdELi16ELi32ELi8ELb1ELb0ELc84ELc76EKS1_S1_EviT_T0_PT8_S3_lS6_S3_lS4_PT9_S3_li, .Lfunc_end293-_ZL34rocblas_syrkx_herkx_general_kernelIi19rocblas_complex_numIdELi16ELi32ELi8ELb1ELb0ELc84ELc76EKS1_S1_EviT_T0_PT8_S3_lS6_S3_lS4_PT9_S3_li
                                        ; -- End function
	.section	.AMDGPU.csdata,"",@progbits
; Kernel info:
; codeLenInByte = 3524
; NumSgprs: 25
; NumVgprs: 56
; ScratchSize: 0
; MemoryBound: 0
; FloatMode: 240
; IeeeMode: 1
; LDSByteSize: 8192 bytes/workgroup (compile time only)
; SGPRBlocks: 3
; VGPRBlocks: 6
; NumSGPRsForWavesPerEU: 25
; NumVGPRsForWavesPerEU: 56
; Occupancy: 16
; WaveLimiterHint : 0
; COMPUTE_PGM_RSRC2:SCRATCH_EN: 0
; COMPUTE_PGM_RSRC2:USER_SGPR: 13
; COMPUTE_PGM_RSRC2:TRAP_HANDLER: 0
; COMPUTE_PGM_RSRC2:TGID_X_EN: 1
; COMPUTE_PGM_RSRC2:TGID_Y_EN: 1
; COMPUTE_PGM_RSRC2:TGID_Z_EN: 1
; COMPUTE_PGM_RSRC2:TIDIG_COMP_CNT: 1
	.section	.text._ZL34rocblas_syrkx_herkx_general_kernelIi19rocblas_complex_numIdELi16ELi32ELi8ELb1ELb0ELc67ELc76EKS1_S1_EviT_T0_PT8_S3_lS6_S3_lS4_PT9_S3_li,"axG",@progbits,_ZL34rocblas_syrkx_herkx_general_kernelIi19rocblas_complex_numIdELi16ELi32ELi8ELb1ELb0ELc67ELc76EKS1_S1_EviT_T0_PT8_S3_lS6_S3_lS4_PT9_S3_li,comdat
	.globl	_ZL34rocblas_syrkx_herkx_general_kernelIi19rocblas_complex_numIdELi16ELi32ELi8ELb1ELb0ELc67ELc76EKS1_S1_EviT_T0_PT8_S3_lS6_S3_lS4_PT9_S3_li ; -- Begin function _ZL34rocblas_syrkx_herkx_general_kernelIi19rocblas_complex_numIdELi16ELi32ELi8ELb1ELb0ELc67ELc76EKS1_S1_EviT_T0_PT8_S3_lS6_S3_lS4_PT9_S3_li
	.p2align	8
	.type	_ZL34rocblas_syrkx_herkx_general_kernelIi19rocblas_complex_numIdELi16ELi32ELi8ELb1ELb0ELc67ELc76EKS1_S1_EviT_T0_PT8_S3_lS6_S3_lS4_PT9_S3_li,@function
_ZL34rocblas_syrkx_herkx_general_kernelIi19rocblas_complex_numIdELi16ELi32ELi8ELb1ELb0ELc67ELc76EKS1_S1_EviT_T0_PT8_S3_lS6_S3_lS4_PT9_S3_li: ; @_ZL34rocblas_syrkx_herkx_general_kernelIi19rocblas_complex_numIdELi16ELi32ELi8ELb1ELb0ELc67ELc76EKS1_S1_EviT_T0_PT8_S3_lS6_S3_lS4_PT9_S3_li
; %bb.0:
	s_clause 0x2
	s_load_b64 s[16:17], s[0:1], 0x0
	s_load_b128 s[4:7], s[0:1], 0x8
	s_load_b64 s[18:19], s[0:1], 0x18
	v_mov_b32_e32 v23, 0
	v_dual_mov_b32 v24, 0 :: v_dual_and_b32 v27, 0x3ff, v0
	v_bfe_u32 v28, v0, 10, 10
	s_delay_alu instid0(VALU_DEP_3) | instskip(NEXT) | instid1(VALU_DEP_3)
	v_mov_b32_e32 v19, v23
	v_dual_mov_b32 v21, v23 :: v_dual_mov_b32 v22, v24
	v_dual_mov_b32 v26, v24 :: v_dual_mov_b32 v25, v23
	;; [unrolled: 1-line block ×6, first 2 shown]
	v_mov_b32_e32 v14, v24
	s_lshl_b32 s12, s13, 5
	s_lshl_b32 s13, s14, 5
	s_waitcnt lgkmcnt(0)
	s_cmp_lt_i32 s17, 1
	s_mov_b32 s14, 0
	s_cbranch_scc1 .LBB294_9
; %bb.1:
	s_load_b32 s2, s[0:1], 0x20
	v_lshl_add_u32 v0, v28, 4, v27
	s_clause 0x2
	s_load_b128 s[8:11], s[0:1], 0x28
	s_load_b32 s3, s[0:1], 0x38
	s_load_b64 s[20:21], s[0:1], 0x40
	v_and_b32_e32 v29, 7, v27
	v_lshlrev_b32_e32 v30, 4, v27
	v_lshl_add_u32 v31, v28, 7, 0x1000
	v_and_b32_e32 v2, 31, v0
	v_lshrrev_b32_e32 v1, 3, v0
	v_lshlrev_b32_e32 v4, 4, v29
	v_lshrrev_b32_e32 v32, 5, v0
	s_delay_alu instid0(VALU_DEP_4) | instskip(NEXT) | instid1(VALU_DEP_4)
	v_add_nc_u32_e32 v3, s12, v2
	v_add_nc_u32_e32 v5, s13, v1
	s_delay_alu instid0(VALU_DEP_4) | instskip(SKIP_3) | instid1(VALU_DEP_4)
	v_lshl_or_b32 v7, v1, 7, v4
	v_or_b32_e32 v6, s12, v2
	v_lshlrev_b32_e32 v2, 4, v2
	v_lshlrev_b32_e32 v8, 4, v32
	v_add_nc_u32_e32 v34, 0x1000, v7
	s_delay_alu instid0(VALU_DEP_4)
	v_cmp_gt_i32_e32 vcc_lo, s16, v6
	s_waitcnt lgkmcnt(0)
	v_mad_i64_i32 v[0:1], null, s2, v3, 0
	s_mul_i32 s9, s9, s15
	s_mul_hi_u32 s22, s8, s15
	s_mul_i32 s8, s8, s15
	s_add_i32 s9, s22, s9
	v_lshl_or_b32 v33, v32, 9, v2
	s_lshl_b64 s[8:9], s[8:9], 4
	s_delay_alu instid0(VALU_DEP_2) | instskip(SKIP_2) | instid1(VALU_DEP_3)
	v_lshlrev_b64 v[0:1], 4, v[0:1]
	v_mad_i64_i32 v[2:3], null, s3, v5, 0
	v_cmp_gt_i32_e64 s2, s16, v5
	v_add_co_u32 v0, s3, v0, s8
	s_delay_alu instid0(VALU_DEP_1) | instskip(SKIP_1) | instid1(VALU_DEP_2)
	v_add_co_ci_u32_e64 v1, s3, s9, v1, s3
	s_mul_hi_u32 s8, s20, s15
	v_add_co_u32 v5, s3, v0, v8
	s_delay_alu instid0(VALU_DEP_1)
	v_add_co_ci_u32_e64 v6, s3, 0, v1, s3
	s_mul_i32 s3, s21, s15
	v_lshlrev_b64 v[0:1], 4, v[2:3]
	s_add_i32 s9, s8, s3
	s_mul_i32 s8, s20, s15
	v_add_co_u32 v2, s3, v5, s18
	s_lshl_b64 s[8:9], s[8:9], 4
	v_add_co_ci_u32_e64 v3, s3, s19, v6, s3
	v_mov_b32_e32 v7, 0
	v_add_co_u32 v0, s3, v0, s8
	v_mov_b32_e32 v8, 0
	v_add_co_ci_u32_e64 v1, s3, s9, v1, s3
	v_add_co_u32 v5, s3, v2, 8
	s_delay_alu instid0(VALU_DEP_1) | instskip(NEXT) | instid1(VALU_DEP_4)
	v_add_co_ci_u32_e64 v6, s3, 0, v3, s3
	v_dual_mov_b32 v12, v8 :: v_dual_mov_b32 v11, v7
	v_add_co_u32 v0, s3, v0, v4
	s_delay_alu instid0(VALU_DEP_1) | instskip(SKIP_1) | instid1(VALU_DEP_3)
	v_add_co_ci_u32_e64 v1, s3, 0, v1, s3
	v_mov_b32_e32 v14, v8
	v_add_co_u32 v9, s3, s10, v0
	v_mov_b32_e32 v18, v8
	v_mov_b32_e32 v16, v8
	;; [unrolled: 1-line block ×5, first 2 shown]
	v_dual_mov_b32 v24, v8 :: v_dual_mov_b32 v23, v7
	v_add_co_ci_u32_e64 v10, s3, s11, v1, s3
	v_dual_mov_b32 v0, 0 :: v_dual_mov_b32 v13, v7
	v_mov_b32_e32 v17, v7
	v_mov_b32_e32 v15, v7
	v_mov_b32_e32 v21, v7
	v_mov_b32_e32 v19, v7
	v_mov_b32_e32 v25, v7
	s_xor_b32 s3, s2, -1
	s_branch .LBB294_3
.LBB294_2:                              ;   in Loop: Header=BB294_3 Depth=1
	s_or_b32 exec_lo, exec_lo, s2
	s_waitcnt lgkmcnt(0)
	s_barrier
	buffer_gl0_inv
	ds_load_b128 v[1:4], v31
	ds_load_b128 v[35:38], v30
	ds_load_b128 v[39:42], v30 offset:256
	ds_load_b128 v[43:46], v31 offset:2048
	;; [unrolled: 1-line block ×9, first 2 shown]
	v_add_co_u32 v5, s2, 0x80, v5
	s_delay_alu instid0(VALU_DEP_1) | instskip(SKIP_1) | instid1(VALU_DEP_1)
	v_add_co_ci_u32_e64 v6, s2, 0, v6, s2
	v_add_co_u32 v9, s2, 0x80, v9
	v_add_co_ci_u32_e64 v10, s2, 0, v10, s2
	s_add_i32 s14, s14, 8
	s_delay_alu instid0(SALU_CYCLE_1)
	s_cmp_ge_i32 s14, s17
	s_waitcnt lgkmcnt(9)
	v_mul_f64 v[75:76], v[3:4], v[37:38]
	v_mul_f64 v[77:78], v[1:2], v[37:38]
	s_waitcnt lgkmcnt(8)
	v_mul_f64 v[79:80], v[3:4], v[41:42]
	v_mul_f64 v[81:82], v[1:2], v[41:42]
	;; [unrolled: 3-line block ×3, first 2 shown]
	v_mul_f64 v[85:86], v[45:46], v[41:42]
	v_mul_f64 v[41:42], v[43:44], v[41:42]
	s_waitcnt lgkmcnt(4)
	v_mul_f64 v[87:88], v[49:50], v[57:58]
	v_mul_f64 v[89:90], v[47:48], v[57:58]
	s_waitcnt lgkmcnt(3)
	v_mul_f64 v[91:92], v[49:50], v[61:62]
	v_mul_f64 v[93:94], v[47:48], v[61:62]
	;; [unrolled: 1-line block ×6, first 2 shown]
	s_waitcnt lgkmcnt(0)
	v_mul_f64 v[115:116], v[73:74], v[65:66]
	v_mul_f64 v[117:118], v[73:74], v[69:70]
	v_fma_f64 v[99:100], v[1:2], v[35:36], -v[75:76]
	v_fma_f64 v[101:102], v[3:4], v[35:36], v[77:78]
	v_fma_f64 v[79:80], v[1:2], v[39:40], -v[79:80]
	v_fma_f64 v[81:82], v[3:4], v[39:40], v[81:82]
	;; [unrolled: 2-line block ×4, first 2 shown]
	ds_load_b128 v[75:78], v31 offset:32
	v_fma_f64 v[87:88], v[47:48], v[55:56], -v[87:88]
	v_fma_f64 v[89:90], v[49:50], v[55:56], v[89:90]
	v_fma_f64 v[47:48], v[47:48], v[59:60], -v[91:92]
	v_fma_f64 v[49:50], v[49:50], v[59:60], v[93:94]
	;; [unrolled: 2-line block ×4, first 2 shown]
	ds_load_b128 v[1:4], v31 offset:48
	ds_load_b128 v[35:38], v31 offset:2096
	ds_load_b128 v[39:42], v30 offset:1536
	ds_load_b128 v[43:46], v30 offset:1792
	s_waitcnt lgkmcnt(4)
	v_mul_f64 v[107:108], v[77:78], v[65:66]
	v_mul_f64 v[109:110], v[75:76], v[65:66]
	;; [unrolled: 1-line block ×6, first 2 shown]
	s_waitcnt lgkmcnt(1)
	v_mul_f64 v[93:94], v[1:2], v[41:42]
	s_waitcnt lgkmcnt(0)
	v_mul_f64 v[95:96], v[3:4], v[45:46]
	v_add_f64 v[23:24], v[23:24], v[99:100]
	v_add_f64 v[25:26], v[25:26], v[101:102]
	;; [unrolled: 1-line block ×8, first 2 shown]
	v_mul_f64 v[85:86], v[3:4], v[41:42]
	v_mul_f64 v[97:98], v[1:2], v[45:46]
	v_mul_f64 v[99:100], v[37:38], v[41:42]
	v_mul_f64 v[41:42], v[35:36], v[41:42]
	v_mul_f64 v[101:102], v[37:38], v[45:46]
	v_mul_f64 v[103:104], v[35:36], v[45:46]
	ds_load_b128 v[11:14], v30 offset:2048
	ds_load_b128 v[15:18], v30 offset:2304
	;; [unrolled: 1-line block ×3, first 2 shown]
	v_fma_f64 v[105:106], v[75:76], v[63:64], -v[107:108]
	v_fma_f64 v[107:108], v[77:78], v[63:64], v[109:110]
	v_fma_f64 v[75:76], v[75:76], v[67:68], -v[111:112]
	v_fma_f64 v[77:78], v[77:78], v[67:68], v[113:114]
	;; [unrolled: 2-line block ×4, first 2 shown]
	s_waitcnt lgkmcnt(0)
	v_mul_f64 v[115:116], v[21:22], v[13:14]
	v_mul_f64 v[117:118], v[21:22], v[17:18]
	v_add_f64 v[69:70], v[23:24], v[87:88]
	v_add_f64 v[71:72], v[25:26], v[89:90]
	;; [unrolled: 1-line block ×8, first 2 shown]
	ds_load_b128 v[23:26], v31 offset:64
	v_fma_f64 v[85:86], v[1:2], v[39:40], -v[85:86]
	v_fma_f64 v[93:94], v[3:4], v[39:40], v[93:94]
	v_fma_f64 v[95:96], v[1:2], v[43:44], -v[95:96]
	v_fma_f64 v[97:98], v[3:4], v[43:44], v[97:98]
	;; [unrolled: 2-line block ×4, first 2 shown]
	ds_load_b128 v[45:48], v31 offset:80
	ds_load_b128 v[49:52], v31 offset:2128
	;; [unrolled: 1-line block ×7, first 2 shown]
	s_waitcnt lgkmcnt(7)
	v_mul_f64 v[89:90], v[25:26], v[13:14]
	v_mul_f64 v[91:92], v[23:24], v[13:14]
	;; [unrolled: 1-line block ×6, first 2 shown]
	s_waitcnt lgkmcnt(3)
	v_mul_f64 v[103:104], v[51:52], v[59:60]
	v_add_f64 v[69:70], v[69:70], v[105:106]
	v_add_f64 v[71:72], v[71:72], v[107:108]
	;; [unrolled: 1-line block ×8, first 2 shown]
	v_mul_f64 v[77:78], v[47:48], v[55:56]
	v_mul_f64 v[79:80], v[45:46], v[55:56]
	;; [unrolled: 1-line block ×7, first 2 shown]
	v_fma_f64 v[89:90], v[23:24], v[11:12], -v[89:90]
	v_fma_f64 v[91:92], v[25:26], v[11:12], v[91:92]
	v_fma_f64 v[107:108], v[23:24], v[15:16], -v[111:112]
	v_fma_f64 v[109:110], v[25:26], v[15:16], v[113:114]
	;; [unrolled: 2-line block ×4, first 2 shown]
	ds_load_b128 v[11:14], v31 offset:96
	v_add_f64 v[69:70], v[69:70], v[85:86]
	v_add_f64 v[71:72], v[71:72], v[93:94]
	;; [unrolled: 1-line block ×8, first 2 shown]
	s_waitcnt lgkmcnt(1)
	v_mul_f64 v[99:100], v[41:42], v[3:4]
	v_mul_f64 v[101:102], v[41:42], v[37:38]
	v_fma_f64 v[77:78], v[45:46], v[53:54], -v[77:78]
	v_fma_f64 v[79:80], v[47:48], v[53:54], v[79:80]
	v_fma_f64 v[45:46], v[45:46], v[57:58], -v[81:82]
	v_fma_f64 v[47:48], v[47:48], v[57:58], v[83:84]
	;; [unrolled: 2-line block ×4, first 2 shown]
	s_waitcnt lgkmcnt(0)
	v_mul_f64 v[67:68], v[13:14], v[3:4]
	v_mul_f64 v[93:94], v[11:12], v[3:4]
	;; [unrolled: 1-line block ×6, first 2 shown]
	ds_load_b128 v[15:18], v31 offset:112
	ds_load_b128 v[19:22], v31 offset:2160
	;; [unrolled: 1-line block ×4, first 2 shown]
	s_waitcnt lgkmcnt(0)
	s_barrier
	buffer_gl0_inv
	v_add_f64 v[55:56], v[69:70], v[89:90]
	v_add_f64 v[57:58], v[71:72], v[91:92]
	;; [unrolled: 1-line block ×8, first 2 shown]
	v_mul_f64 v[75:76], v[17:18], v[25:26]
	v_mul_f64 v[83:84], v[15:16], v[25:26]
	;; [unrolled: 1-line block ×8, first 2 shown]
	v_fma_f64 v[67:68], v[11:12], v[1:2], -v[67:68]
	v_fma_f64 v[93:94], v[13:14], v[1:2], v[93:94]
	v_fma_f64 v[11:12], v[11:12], v[35:36], -v[95:96]
	v_fma_f64 v[13:14], v[13:14], v[35:36], v[97:98]
	;; [unrolled: 2-line block ×4, first 2 shown]
	v_add_f64 v[37:38], v[55:56], v[77:78]
	v_add_f64 v[39:40], v[57:58], v[79:80]
	;; [unrolled: 1-line block ×8, first 2 shown]
	v_fma_f64 v[51:52], v[15:16], v[23:24], -v[75:76]
	v_fma_f64 v[55:56], v[17:18], v[23:24], v[83:84]
	v_fma_f64 v[15:16], v[15:16], v[59:60], -v[85:86]
	v_fma_f64 v[17:18], v[17:18], v[59:60], v[87:88]
	;; [unrolled: 2-line block ×4, first 2 shown]
	v_add_f64 v[19:20], v[37:38], v[67:68]
	v_add_f64 v[21:22], v[39:40], v[93:94]
	;; [unrolled: 1-line block ×16, first 2 shown]
	s_cbranch_scc1 .LBB294_9
.LBB294_3:                              ; =>This Inner Loop Header: Depth=1
	v_add_nc_u32_e32 v1, s14, v32
	v_dual_mov_b32 v3, v7 :: v_dual_mov_b32 v4, v8
	s_delay_alu instid0(VALU_DEP_2) | instskip(SKIP_1) | instid1(VALU_DEP_2)
	v_cmp_gt_i32_e64 s2, s17, v1
	v_dual_mov_b32 v1, v7 :: v_dual_mov_b32 v2, v8
	s_and_b32 s8, vcc_lo, s2
	s_delay_alu instid0(SALU_CYCLE_1)
	s_and_saveexec_b32 s2, s8
	s_cbranch_execz .LBB294_5
; %bb.4:                                ;   in Loop: Header=BB294_3 Depth=1
	global_load_b128 v[1:4], v[5:6], off offset:-8
.LBB294_5:                              ;   in Loop: Header=BB294_3 Depth=1
	s_or_b32 exec_lo, exec_lo, s2
	v_add_nc_u32_e32 v35, s14, v29
	s_waitcnt vmcnt(0)
	ds_store_b128 v33, v[1:4]
	v_cmp_le_i32_e64 s2, s17, v35
	s_delay_alu instid0(VALU_DEP_1) | instskip(NEXT) | instid1(SALU_CYCLE_1)
	s_or_b32 s2, s2, s3
	s_and_saveexec_b32 s8, s2
	s_delay_alu instid0(SALU_CYCLE_1)
	s_xor_b32 s2, exec_lo, s8
	s_cbranch_execz .LBB294_7
; %bb.6:                                ;   in Loop: Header=BB294_3 Depth=1
	v_mov_b32_e32 v1, v0
	v_mov_b32_e32 v2, v0
	;; [unrolled: 1-line block ×3, first 2 shown]
	ds_store_b128 v34, v[0:3]
.LBB294_7:                              ;   in Loop: Header=BB294_3 Depth=1
	s_and_not1_saveexec_b32 s2, s2
	s_cbranch_execz .LBB294_2
; %bb.8:                                ;   in Loop: Header=BB294_3 Depth=1
	global_load_b128 v[1:4], v[9:10], off
	s_waitcnt vmcnt(0)
	ds_store_2addr_b64 v34, v[1:2], v[3:4] offset1:1
	s_branch .LBB294_2
.LBB294_9:
	s_clause 0x2
	s_load_b32 s2, s[0:1], 0x60
	s_load_b64 s[8:9], s[0:1], 0x68
	s_load_b64 s[10:11], s[0:1], 0x58
	v_add_nc_u32_e32 v4, s13, v28
	v_add_nc_u32_e32 v0, s12, v27
	s_delay_alu instid0(VALU_DEP_1)
	v_cmp_le_i32_e64 s0, v4, v0
	v_cmp_gt_i32_e32 vcc_lo, s16, v0
	s_waitcnt lgkmcnt(0)
	v_mad_i64_i32 v[1:2], null, v4, s2, 0
	s_mul_i32 s1, s15, s9
	s_mul_hi_u32 s3, s15, s8
	s_mul_i32 s8, s15, s8
	s_add_i32 s9, s3, s1
	s_delay_alu instid0(SALU_CYCLE_1) | instskip(NEXT) | instid1(VALU_DEP_1)
	s_lshl_b64 s[8:9], s[8:9], 4
	v_lshlrev_b64 v[1:2], 4, v[1:2]
	s_add_u32 s3, s10, s8
	s_addc_u32 s8, s11, s9
	s_and_b32 s0, s0, vcc_lo
	s_delay_alu instid0(VALU_DEP_1) | instskip(NEXT) | instid1(VALU_DEP_1)
	v_add_co_u32 v5, s1, s3, v1
	v_add_co_ci_u32_e64 v6, s1, s8, v2, s1
	s_and_saveexec_b32 s1, s0
	s_cbranch_execz .LBB294_11
; %bb.10:
	v_mul_f64 v[1:2], s[6:7], v[25:26]
	v_mul_f64 v[9:10], s[4:5], v[25:26]
	s_delay_alu instid0(VALU_DEP_2) | instskip(NEXT) | instid1(VALU_DEP_2)
	v_fma_f64 v[7:8], s[4:5], v[23:24], -v[1:2]
	v_fma_f64 v[9:10], s[6:7], v[23:24], v[9:10]
	v_ashrrev_i32_e32 v1, 31, v0
	s_delay_alu instid0(VALU_DEP_1) | instskip(NEXT) | instid1(VALU_DEP_1)
	v_lshlrev_b64 v[1:2], 4, v[0:1]
	v_add_co_u32 v1, s0, v5, v1
	s_delay_alu instid0(VALU_DEP_1)
	v_add_co_ci_u32_e64 v2, s0, v6, v2, s0
	global_store_b128 v[1:2], v[7:10], off
.LBB294_11:
	s_or_b32 exec_lo, exec_lo, s1
	v_add_nc_u32_e32 v2, 16, v0
	s_delay_alu instid0(VALU_DEP_1) | instskip(SKIP_1) | instid1(VALU_DEP_1)
	v_cmp_le_i32_e64 s1, v4, v2
	v_cmp_gt_i32_e64 s0, s16, v2
	s_and_b32 s1, s1, s0
	s_delay_alu instid0(SALU_CYCLE_1)
	s_and_saveexec_b32 s9, s1
	s_cbranch_execz .LBB294_13
; %bb.12:
	v_mul_f64 v[7:8], s[6:7], v[21:22]
	v_mul_f64 v[9:10], s[4:5], v[21:22]
	v_ashrrev_i32_e32 v3, 31, v2
	s_delay_alu instid0(VALU_DEP_3) | instskip(NEXT) | instid1(VALU_DEP_3)
	v_fma_f64 v[7:8], s[4:5], v[19:20], -v[7:8]
	v_fma_f64 v[9:10], s[6:7], v[19:20], v[9:10]
	s_delay_alu instid0(VALU_DEP_3) | instskip(NEXT) | instid1(VALU_DEP_1)
	v_lshlrev_b64 v[19:20], 4, v[2:3]
	v_add_co_u32 v5, s1, v5, v19
	s_delay_alu instid0(VALU_DEP_1)
	v_add_co_ci_u32_e64 v6, s1, v6, v20, s1
	global_store_b128 v[5:6], v[7:10], off
.LBB294_13:
	s_or_b32 exec_lo, exec_lo, s9
	v_add_nc_u32_e32 v3, 16, v4
	s_delay_alu instid0(VALU_DEP_1) | instskip(SKIP_1) | instid1(VALU_DEP_2)
	v_mad_i64_i32 v[4:5], null, v3, s2, 0
	v_cmp_le_i32_e64 s1, v3, v0
	v_lshlrev_b64 v[4:5], 4, v[4:5]
	s_delay_alu instid0(VALU_DEP_1) | instskip(NEXT) | instid1(VALU_DEP_1)
	v_add_co_u32 v4, s2, s3, v4
	v_add_co_ci_u32_e64 v5, s2, s8, v5, s2
	s_delay_alu instid0(VALU_DEP_4) | instskip(NEXT) | instid1(SALU_CYCLE_1)
	s_and_b32 s2, s1, vcc_lo
	s_and_saveexec_b32 s1, s2
	s_cbranch_execz .LBB294_15
; %bb.14:
	v_mul_f64 v[6:7], s[6:7], v[17:18]
	v_mul_f64 v[8:9], s[4:5], v[17:18]
	v_ashrrev_i32_e32 v1, 31, v0
	s_delay_alu instid0(VALU_DEP_1) | instskip(NEXT) | instid1(VALU_DEP_1)
	v_lshlrev_b64 v[0:1], 4, v[0:1]
	v_add_co_u32 v0, vcc_lo, v4, v0
	s_delay_alu instid0(VALU_DEP_2)
	v_add_co_ci_u32_e32 v1, vcc_lo, v5, v1, vcc_lo
	v_fma_f64 v[6:7], s[4:5], v[15:16], -v[6:7]
	v_fma_f64 v[8:9], s[6:7], v[15:16], v[8:9]
	global_store_b128 v[0:1], v[6:9], off
.LBB294_15:
	s_or_b32 exec_lo, exec_lo, s1
	v_cmp_le_i32_e32 vcc_lo, v3, v2
	s_and_b32 s0, vcc_lo, s0
	s_delay_alu instid0(SALU_CYCLE_1)
	s_and_saveexec_b32 s1, s0
	s_cbranch_execz .LBB294_17
; %bb.16:
	v_mul_f64 v[0:1], s[6:7], v[13:14]
	v_mul_f64 v[8:9], s[4:5], v[13:14]
	v_ashrrev_i32_e32 v3, 31, v2
	s_delay_alu instid0(VALU_DEP_3) | instskip(NEXT) | instid1(VALU_DEP_3)
	v_fma_f64 v[6:7], s[4:5], v[11:12], -v[0:1]
	v_fma_f64 v[8:9], s[6:7], v[11:12], v[8:9]
	s_delay_alu instid0(VALU_DEP_3) | instskip(NEXT) | instid1(VALU_DEP_1)
	v_lshlrev_b64 v[0:1], 4, v[2:3]
	v_add_co_u32 v0, vcc_lo, v4, v0
	s_delay_alu instid0(VALU_DEP_2)
	v_add_co_ci_u32_e32 v1, vcc_lo, v5, v1, vcc_lo
	global_store_b128 v[0:1], v[6:9], off
.LBB294_17:
	s_nop 0
	s_sendmsg sendmsg(MSG_DEALLOC_VGPRS)
	s_endpgm
	.section	.rodata,"a",@progbits
	.p2align	6, 0x0
	.amdhsa_kernel _ZL34rocblas_syrkx_herkx_general_kernelIi19rocblas_complex_numIdELi16ELi32ELi8ELb1ELb0ELc67ELc76EKS1_S1_EviT_T0_PT8_S3_lS6_S3_lS4_PT9_S3_li
		.amdhsa_group_segment_fixed_size 8192
		.amdhsa_private_segment_fixed_size 0
		.amdhsa_kernarg_size 116
		.amdhsa_user_sgpr_count 13
		.amdhsa_user_sgpr_dispatch_ptr 0
		.amdhsa_user_sgpr_queue_ptr 0
		.amdhsa_user_sgpr_kernarg_segment_ptr 1
		.amdhsa_user_sgpr_dispatch_id 0
		.amdhsa_user_sgpr_private_segment_size 0
		.amdhsa_wavefront_size32 1
		.amdhsa_uses_dynamic_stack 0
		.amdhsa_enable_private_segment 0
		.amdhsa_system_sgpr_workgroup_id_x 1
		.amdhsa_system_sgpr_workgroup_id_y 1
		.amdhsa_system_sgpr_workgroup_id_z 1
		.amdhsa_system_sgpr_workgroup_info 0
		.amdhsa_system_vgpr_workitem_id 1
		.amdhsa_next_free_vgpr 121
		.amdhsa_next_free_sgpr 23
		.amdhsa_reserve_vcc 1
		.amdhsa_float_round_mode_32 0
		.amdhsa_float_round_mode_16_64 0
		.amdhsa_float_denorm_mode_32 3
		.amdhsa_float_denorm_mode_16_64 3
		.amdhsa_dx10_clamp 1
		.amdhsa_ieee_mode 1
		.amdhsa_fp16_overflow 0
		.amdhsa_workgroup_processor_mode 1
		.amdhsa_memory_ordered 1
		.amdhsa_forward_progress 0
		.amdhsa_shared_vgpr_count 0
		.amdhsa_exception_fp_ieee_invalid_op 0
		.amdhsa_exception_fp_denorm_src 0
		.amdhsa_exception_fp_ieee_div_zero 0
		.amdhsa_exception_fp_ieee_overflow 0
		.amdhsa_exception_fp_ieee_underflow 0
		.amdhsa_exception_fp_ieee_inexact 0
		.amdhsa_exception_int_div_zero 0
	.end_amdhsa_kernel
	.section	.text._ZL34rocblas_syrkx_herkx_general_kernelIi19rocblas_complex_numIdELi16ELi32ELi8ELb1ELb0ELc67ELc76EKS1_S1_EviT_T0_PT8_S3_lS6_S3_lS4_PT9_S3_li,"axG",@progbits,_ZL34rocblas_syrkx_herkx_general_kernelIi19rocblas_complex_numIdELi16ELi32ELi8ELb1ELb0ELc67ELc76EKS1_S1_EviT_T0_PT8_S3_lS6_S3_lS4_PT9_S3_li,comdat
.Lfunc_end294:
	.size	_ZL34rocblas_syrkx_herkx_general_kernelIi19rocblas_complex_numIdELi16ELi32ELi8ELb1ELb0ELc67ELc76EKS1_S1_EviT_T0_PT8_S3_lS6_S3_lS4_PT9_S3_li, .Lfunc_end294-_ZL34rocblas_syrkx_herkx_general_kernelIi19rocblas_complex_numIdELi16ELi32ELi8ELb1ELb0ELc67ELc76EKS1_S1_EviT_T0_PT8_S3_lS6_S3_lS4_PT9_S3_li
                                        ; -- End function
	.section	.AMDGPU.csdata,"",@progbits
; Kernel info:
; codeLenInByte = 3276
; NumSgprs: 25
; NumVgprs: 121
; ScratchSize: 0
; MemoryBound: 1
; FloatMode: 240
; IeeeMode: 1
; LDSByteSize: 8192 bytes/workgroup (compile time only)
; SGPRBlocks: 3
; VGPRBlocks: 15
; NumSGPRsForWavesPerEU: 25
; NumVGPRsForWavesPerEU: 121
; Occupancy: 10
; WaveLimiterHint : 0
; COMPUTE_PGM_RSRC2:SCRATCH_EN: 0
; COMPUTE_PGM_RSRC2:USER_SGPR: 13
; COMPUTE_PGM_RSRC2:TRAP_HANDLER: 0
; COMPUTE_PGM_RSRC2:TGID_X_EN: 1
; COMPUTE_PGM_RSRC2:TGID_Y_EN: 1
; COMPUTE_PGM_RSRC2:TGID_Z_EN: 1
; COMPUTE_PGM_RSRC2:TIDIG_COMP_CNT: 1
	.section	.text._ZL34rocblas_syrkx_herkx_general_kernelIi19rocblas_complex_numIdELi16ELi32ELi8ELb1ELb0ELc78ELc76EKS1_S1_EviT_T0_PT8_S3_lS6_S3_lS4_PT9_S3_li,"axG",@progbits,_ZL34rocblas_syrkx_herkx_general_kernelIi19rocblas_complex_numIdELi16ELi32ELi8ELb1ELb0ELc78ELc76EKS1_S1_EviT_T0_PT8_S3_lS6_S3_lS4_PT9_S3_li,comdat
	.globl	_ZL34rocblas_syrkx_herkx_general_kernelIi19rocblas_complex_numIdELi16ELi32ELi8ELb1ELb0ELc78ELc76EKS1_S1_EviT_T0_PT8_S3_lS6_S3_lS4_PT9_S3_li ; -- Begin function _ZL34rocblas_syrkx_herkx_general_kernelIi19rocblas_complex_numIdELi16ELi32ELi8ELb1ELb0ELc78ELc76EKS1_S1_EviT_T0_PT8_S3_lS6_S3_lS4_PT9_S3_li
	.p2align	8
	.type	_ZL34rocblas_syrkx_herkx_general_kernelIi19rocblas_complex_numIdELi16ELi32ELi8ELb1ELb0ELc78ELc76EKS1_S1_EviT_T0_PT8_S3_lS6_S3_lS4_PT9_S3_li,@function
_ZL34rocblas_syrkx_herkx_general_kernelIi19rocblas_complex_numIdELi16ELi32ELi8ELb1ELb0ELc78ELc76EKS1_S1_EviT_T0_PT8_S3_lS6_S3_lS4_PT9_S3_li: ; @_ZL34rocblas_syrkx_herkx_general_kernelIi19rocblas_complex_numIdELi16ELi32ELi8ELb1ELb0ELc78ELc76EKS1_S1_EviT_T0_PT8_S3_lS6_S3_lS4_PT9_S3_li
; %bb.0:
	s_clause 0x2
	s_load_b64 s[16:17], s[0:1], 0x0
	s_load_b128 s[4:7], s[0:1], 0x8
	s_load_b64 s[18:19], s[0:1], 0x18
	v_mov_b32_e32 v21, 0
	v_dual_mov_b32 v22, 0 :: v_dual_and_b32 v25, 0x3ff, v0
	v_bfe_u32 v26, v0, 10, 10
	s_delay_alu instid0(VALU_DEP_3) | instskip(NEXT) | instid1(VALU_DEP_3)
	v_mov_b32_e32 v17, v21
	v_dual_mov_b32 v19, v21 :: v_dual_mov_b32 v20, v22
	v_dual_mov_b32 v24, v22 :: v_dual_mov_b32 v23, v21
	;; [unrolled: 1-line block ×6, first 2 shown]
	v_mov_b32_e32 v10, v22
	s_lshl_b32 s22, s13, 5
	s_lshl_b32 s14, s14, 5
	s_waitcnt lgkmcnt(0)
	s_cmp_lt_i32 s17, 1
	s_mov_b32 s23, 0
	s_cbranch_scc1 .LBB295_9
; %bb.1:
	s_clause 0x1
	s_load_b32 s12, s[0:1], 0x38
	s_load_b32 s20, s[0:1], 0x20
	v_lshl_add_u32 v0, v26, 4, v25
	s_clause 0x1
	s_load_b128 s[8:11], s[0:1], 0x28
	s_load_b64 s[24:25], s[0:1], 0x40
	v_and_b32_e32 v27, 7, v25
	v_lshl_add_u32 v32, v26, 7, 0x1000
	v_and_b32_e32 v4, 31, v0
	v_lshrrev_b32_e32 v1, 3, v0
	v_lshrrev_b32_e32 v28, 5, v0
	v_lshlrev_b32_e32 v2, 4, v27
	s_delay_alu instid0(VALU_DEP_4) | instskip(NEXT) | instid1(VALU_DEP_4)
	v_or_b32_e32 v3, s22, v4
	v_add_nc_u32_e32 v0, s14, v1
	v_lshlrev_b32_e32 v5, 4, v4
	s_delay_alu instid0(VALU_DEP_4) | instskip(SKIP_2) | instid1(VALU_DEP_4)
	v_lshl_or_b32 v1, v1, 7, v2
	v_add_nc_u32_e32 v4, s22, v4
	v_cmp_gt_i32_e64 s2, s16, v3
	v_lshl_or_b32 v29, v28, 9, v5
	s_waitcnt lgkmcnt(0)
	v_mad_i64_i32 v[6:7], null, s12, v27, 0
	v_mad_i64_i32 v[2:3], null, v28, s20, 0
	s_mul_i32 s3, s9, s15
	s_mul_hi_u32 s9, s8, s15
	s_mul_i32 s8, s8, s15
	s_add_i32 s9, s9, s3
	v_ashrrev_i32_e32 v5, 31, v4
	s_lshl_b64 s[8:9], s[8:9], 4
	s_delay_alu instid0(VALU_DEP_2) | instskip(SKIP_3) | instid1(VALU_DEP_2)
	v_lshlrev_b64 v[2:3], 4, v[2:3]
	s_ashr_i32 s21, s20, 31
	s_ashr_i32 s13, s12, 31
	v_lshlrev_b64 v[4:5], 4, v[4:5]
	v_add_co_u32 v8, s3, v2, s8
	s_delay_alu instid0(VALU_DEP_1)
	v_add_co_ci_u32_e64 v9, s3, s9, v3, s3
	s_mul_i32 s3, s25, s15
	s_mul_hi_u32 s8, s24, s15
	v_lshlrev_b64 v[2:3], 4, v[6:7]
	s_add_i32 s9, s8, s3
	s_mul_i32 s8, s24, s15
	s_delay_alu instid0(SALU_CYCLE_1)
	s_lshl_b64 s[8:9], s[8:9], 4
	s_delay_alu instid0(VALU_DEP_1) | instid1(SALU_CYCLE_1)
	v_add_co_u32 v2, s3, s8, v2
	s_delay_alu instid0(VALU_DEP_1) | instskip(SKIP_1) | instid1(VALU_DEP_1)
	v_add_co_ci_u32_e64 v3, s3, s9, v3, s3
	v_add_co_u32 v4, s3, v8, v4
	v_add_co_ci_u32_e64 v6, s3, v9, v5, s3
	v_mov_b32_e32 v9, 0
	v_mov_b32_e32 v10, 0
	v_add_nc_u32_e32 v30, 0x1000, v1
	v_lshlrev_b32_e32 v31, 4, v25
	s_lshl_b64 s[8:9], s[20:21], 7
	s_delay_alu instid0(VALU_DEP_3)
	v_mov_b32_e32 v12, v10
	v_dual_mov_b32 v16, v10 :: v_dual_mov_b32 v15, v9
	v_ashrrev_i32_e32 v1, 31, v0
	v_cmp_gt_i32_e32 vcc_lo, s16, v0
	v_mov_b32_e32 v14, v10
	v_mov_b32_e32 v20, v10
	;; [unrolled: 1-line block ×3, first 2 shown]
	v_lshlrev_b64 v[0:1], 4, v[0:1]
	v_mov_b32_e32 v24, v10
	v_dual_mov_b32 v22, v10 :: v_dual_mov_b32 v21, v9
	v_mov_b32_e32 v11, v9
	v_mov_b32_e32 v13, v9
	v_add_co_u32 v0, s3, v2, v0
	s_delay_alu instid0(VALU_DEP_1) | instskip(SKIP_1) | instid1(VALU_DEP_1)
	v_add_co_ci_u32_e64 v1, s3, v3, v1, s3
	v_add_co_u32 v5, s3, s18, v4
	v_add_co_ci_u32_e64 v6, s3, s19, v6, s3
	s_delay_alu instid0(VALU_DEP_4) | instskip(NEXT) | instid1(VALU_DEP_1)
	v_add_co_u32 v0, s3, v0, s10
	v_add_co_ci_u32_e64 v1, s3, s11, v1, s3
	v_mov_b32_e32 v19, v9
	s_delay_alu instid0(VALU_DEP_3) | instskip(NEXT) | instid1(VALU_DEP_1)
	v_add_co_u32 v7, s3, v0, 8
	v_add_co_ci_u32_e64 v8, s3, 0, v1, s3
	v_dual_mov_b32 v0, 0 :: v_dual_mov_b32 v17, v9
	v_mov_b32_e32 v23, v9
	s_lshl_b64 s[10:11], s[12:13], 7
	s_xor_b32 s3, s2, -1
	s_branch .LBB295_3
.LBB295_2:                              ;   in Loop: Header=BB295_3 Depth=1
	s_or_b32 exec_lo, exec_lo, s2
	s_waitcnt vmcnt(0)
	ds_store_b128 v30, v[1:4]
	s_waitcnt lgkmcnt(0)
	s_barrier
	buffer_gl0_inv
	ds_load_b128 v[1:4], v32
	ds_load_b128 v[33:36], v31
	ds_load_b128 v[37:40], v31 offset:256
	ds_load_b128 v[41:44], v32 offset:2048
	;; [unrolled: 1-line block ×9, first 2 shown]
	v_add_co_u32 v5, s2, v5, s8
	s_delay_alu instid0(VALU_DEP_1) | instskip(SKIP_1) | instid1(VALU_DEP_1)
	v_add_co_ci_u32_e64 v6, s2, s9, v6, s2
	v_add_co_u32 v7, s2, v7, s10
	v_add_co_ci_u32_e64 v8, s2, s11, v8, s2
	s_add_i32 s23, s23, 8
	s_delay_alu instid0(SALU_CYCLE_1)
	s_cmp_ge_i32 s23, s17
	s_waitcnt lgkmcnt(9)
	v_mul_f64 v[73:74], v[3:4], v[35:36]
	v_mul_f64 v[75:76], v[1:2], v[35:36]
	s_waitcnt lgkmcnt(8)
	v_mul_f64 v[77:78], v[3:4], v[39:40]
	v_mul_f64 v[79:80], v[1:2], v[39:40]
	;; [unrolled: 3-line block ×3, first 2 shown]
	v_mul_f64 v[83:84], v[43:44], v[39:40]
	v_mul_f64 v[39:40], v[41:42], v[39:40]
	s_waitcnt lgkmcnt(4)
	v_mul_f64 v[85:86], v[47:48], v[55:56]
	v_mul_f64 v[87:88], v[45:46], v[55:56]
	s_waitcnt lgkmcnt(3)
	v_mul_f64 v[89:90], v[47:48], v[59:60]
	v_mul_f64 v[91:92], v[45:46], v[59:60]
	;; [unrolled: 1-line block ×6, first 2 shown]
	v_fma_f64 v[97:98], v[1:2], v[33:34], -v[73:74]
	v_fma_f64 v[99:100], v[3:4], v[33:34], v[75:76]
	ds_load_b128 v[73:76], v32 offset:32
	v_fma_f64 v[77:78], v[1:2], v[37:38], -v[77:78]
	v_fma_f64 v[79:80], v[3:4], v[37:38], v[79:80]
	v_fma_f64 v[81:82], v[41:42], v[33:34], -v[81:82]
	v_fma_f64 v[101:102], v[43:44], v[33:34], v[35:36]
	;; [unrolled: 2-line block ×3, first 2 shown]
	s_waitcnt lgkmcnt(1)
	v_mul_f64 v[113:114], v[71:72], v[63:64]
	v_fma_f64 v[85:86], v[45:46], v[53:54], -v[85:86]
	v_fma_f64 v[87:88], v[47:48], v[53:54], v[87:88]
	v_fma_f64 v[45:46], v[45:46], v[57:58], -v[89:90]
	v_fma_f64 v[47:48], v[47:48], v[57:58], v[91:92]
	v_mul_f64 v[89:90], v[71:72], v[67:68]
	v_fma_f64 v[91:92], v[49:50], v[53:54], -v[93:94]
	v_fma_f64 v[53:54], v[51:52], v[53:54], v[55:56]
	v_fma_f64 v[49:50], v[49:50], v[57:58], -v[95:96]
	v_fma_f64 v[51:52], v[51:52], v[57:58], v[59:60]
	ds_load_b128 v[1:4], v32 offset:48
	ds_load_b128 v[33:36], v32 offset:2096
	;; [unrolled: 1-line block ×4, first 2 shown]
	s_waitcnt lgkmcnt(4)
	v_mul_f64 v[105:106], v[75:76], v[63:64]
	v_mul_f64 v[107:108], v[73:74], v[63:64]
	;; [unrolled: 1-line block ×6, first 2 shown]
	s_waitcnt lgkmcnt(1)
	v_mul_f64 v[93:94], v[1:2], v[39:40]
	v_add_f64 v[21:22], v[21:22], v[97:98]
	v_add_f64 v[23:24], v[23:24], v[99:100]
	;; [unrolled: 1-line block ×8, first 2 shown]
	v_mul_f64 v[83:84], v[3:4], v[39:40]
	s_waitcnt lgkmcnt(0)
	v_mul_f64 v[95:96], v[3:4], v[43:44]
	v_mul_f64 v[97:98], v[1:2], v[43:44]
	;; [unrolled: 1-line block ×6, first 2 shown]
	ds_load_b128 v[9:12], v31 offset:2048
	ds_load_b128 v[13:16], v31 offset:2304
	;; [unrolled: 1-line block ×3, first 2 shown]
	v_fma_f64 v[105:106], v[73:74], v[61:62], -v[105:106]
	v_fma_f64 v[107:108], v[75:76], v[61:62], v[107:108]
	v_fma_f64 v[73:74], v[73:74], v[65:66], -v[109:110]
	v_fma_f64 v[75:76], v[75:76], v[65:66], v[111:112]
	;; [unrolled: 2-line block ×4, first 2 shown]
	s_waitcnt lgkmcnt(0)
	v_mul_f64 v[113:114], v[19:20], v[11:12]
	v_mul_f64 v[115:116], v[19:20], v[15:16]
	v_fma_f64 v[93:94], v[3:4], v[37:38], v[93:94]
	v_add_f64 v[67:68], v[21:22], v[85:86]
	v_add_f64 v[69:70], v[23:24], v[87:88]
	v_add_f64 v[71:72], v[55:56], v[45:46]
	v_add_f64 v[85:86], v[57:58], v[47:48]
	v_add_f64 v[59:60], v[59:60], v[91:92]
	v_add_f64 v[77:78], v[77:78], v[53:54]
	v_add_f64 v[79:80], v[79:80], v[49:50]
	v_add_f64 v[81:82], v[81:82], v[51:52]
	ds_load_b128 v[21:24], v32 offset:64
	v_fma_f64 v[83:84], v[1:2], v[37:38], -v[83:84]
	v_fma_f64 v[95:96], v[1:2], v[41:42], -v[95:96]
	v_fma_f64 v[97:98], v[3:4], v[41:42], v[97:98]
	v_fma_f64 v[99:100], v[33:34], v[37:38], -v[99:100]
	v_fma_f64 v[117:118], v[35:36], v[37:38], v[39:40]
	;; [unrolled: 2-line block ×3, first 2 shown]
	ds_load_b128 v[43:46], v32 offset:80
	ds_load_b128 v[47:50], v32 offset:2128
	ds_load_b128 v[51:54], v31 offset:2560
	ds_load_b128 v[55:58], v31 offset:2816
	ds_load_b128 v[1:4], v31 offset:3072
	ds_load_b128 v[33:36], v31 offset:3328
	ds_load_b128 v[37:40], v32 offset:2144
	s_waitcnt lgkmcnt(7)
	v_mul_f64 v[87:88], v[23:24], v[11:12]
	v_mul_f64 v[89:90], v[21:22], v[11:12]
	v_mul_f64 v[91:92], v[23:24], v[15:16]
	v_mul_f64 v[111:112], v[21:22], v[15:16]
	v_mul_f64 v[11:12], v[17:18], v[11:12]
	v_mul_f64 v[15:16], v[17:18], v[15:16]
	s_waitcnt lgkmcnt(3)
	v_mul_f64 v[103:104], v[49:50], v[57:58]
	v_add_f64 v[67:68], v[67:68], v[105:106]
	v_add_f64 v[69:70], v[69:70], v[107:108]
	;; [unrolled: 1-line block ×8, first 2 shown]
	v_mul_f64 v[75:76], v[45:46], v[53:54]
	v_mul_f64 v[77:78], v[43:44], v[53:54]
	v_mul_f64 v[79:80], v[45:46], v[57:58]
	v_mul_f64 v[81:82], v[43:44], v[57:58]
	v_mul_f64 v[85:86], v[49:50], v[53:54]
	v_mul_f64 v[53:54], v[47:48], v[53:54]
	v_mul_f64 v[105:106], v[47:48], v[57:58]
	v_fma_f64 v[109:110], v[17:18], v[9:10], -v[113:114]
	v_fma_f64 v[113:114], v[17:18], v[13:14], -v[115:116]
	;; [unrolled: 1-line block ×3, first 2 shown]
	v_fma_f64 v[89:90], v[23:24], v[9:10], v[89:90]
	v_fma_f64 v[91:92], v[21:22], v[13:14], -v[91:92]
	v_fma_f64 v[107:108], v[23:24], v[13:14], v[111:112]
	v_fma_f64 v[111:112], v[19:20], v[9:10], v[11:12]
	;; [unrolled: 1-line block ×3, first 2 shown]
	ds_load_b128 v[9:12], v32 offset:96
	v_add_f64 v[67:68], v[67:68], v[83:84]
	v_add_f64 v[69:70], v[69:70], v[93:94]
	;; [unrolled: 1-line block ×8, first 2 shown]
	s_waitcnt lgkmcnt(1)
	v_mul_f64 v[99:100], v[39:40], v[3:4]
	v_fma_f64 v[75:76], v[43:44], v[51:52], -v[75:76]
	v_fma_f64 v[77:78], v[45:46], v[51:52], v[77:78]
	v_fma_f64 v[43:44], v[43:44], v[55:56], -v[79:80]
	v_fma_f64 v[45:46], v[45:46], v[55:56], v[81:82]
	v_mul_f64 v[79:80], v[39:40], v[35:36]
	v_fma_f64 v[81:82], v[47:48], v[51:52], -v[85:86]
	v_fma_f64 v[51:52], v[49:50], v[51:52], v[53:54]
	s_waitcnt lgkmcnt(0)
	v_mul_f64 v[65:66], v[11:12], v[3:4]
	v_mul_f64 v[93:94], v[9:10], v[3:4]
	;; [unrolled: 1-line block ×6, first 2 shown]
	v_fma_f64 v[47:48], v[47:48], v[55:56], -v[103:104]
	v_fma_f64 v[49:50], v[49:50], v[55:56], v[105:106]
	ds_load_b128 v[13:16], v32 offset:112
	ds_load_b128 v[17:20], v32 offset:2160
	;; [unrolled: 1-line block ×4, first 2 shown]
	s_waitcnt lgkmcnt(0)
	s_barrier
	buffer_gl0_inv
	v_add_f64 v[53:54], v[67:68], v[87:88]
	v_add_f64 v[55:56], v[69:70], v[89:90]
	;; [unrolled: 1-line block ×8, first 2 shown]
	v_mul_f64 v[73:74], v[15:16], v[23:24]
	v_mul_f64 v[83:84], v[13:14], v[23:24]
	;; [unrolled: 1-line block ×8, first 2 shown]
	v_fma_f64 v[65:66], v[9:10], v[1:2], -v[65:66]
	v_fma_f64 v[93:94], v[11:12], v[1:2], v[93:94]
	v_fma_f64 v[9:10], v[9:10], v[33:34], -v[95:96]
	v_fma_f64 v[11:12], v[11:12], v[33:34], v[97:98]
	;; [unrolled: 2-line block ×4, first 2 shown]
	v_add_f64 v[35:36], v[53:54], v[75:76]
	v_add_f64 v[37:38], v[55:56], v[77:78]
	v_add_f64 v[39:40], v[67:68], v[43:44]
	v_add_f64 v[43:44], v[69:70], v[45:46]
	v_add_f64 v[45:46], v[71:72], v[81:82]
	v_add_f64 v[51:52], v[61:62], v[51:52]
	v_add_f64 v[47:48], v[63:64], v[47:48]
	v_add_f64 v[41:42], v[41:42], v[49:50]
	v_fma_f64 v[49:50], v[13:14], v[21:22], -v[73:74]
	v_fma_f64 v[53:54], v[15:16], v[21:22], v[83:84]
	v_fma_f64 v[13:14], v[13:14], v[57:58], -v[85:86]
	v_fma_f64 v[15:16], v[15:16], v[57:58], v[87:88]
	;; [unrolled: 2-line block ×4, first 2 shown]
	v_add_f64 v[17:18], v[35:36], v[65:66]
	v_add_f64 v[19:20], v[37:38], v[93:94]
	;; [unrolled: 1-line block ×16, first 2 shown]
	s_cbranch_scc1 .LBB295_9
.LBB295_3:                              ; =>This Inner Loop Header: Depth=1
	v_add_nc_u32_e32 v1, s23, v28
	s_delay_alu instid0(VALU_DEP_1) | instskip(NEXT) | instid1(VALU_DEP_1)
	v_cmp_le_i32_e64 s2, s17, v1
	s_or_b32 s2, s3, s2
	s_delay_alu instid0(SALU_CYCLE_1) | instskip(NEXT) | instid1(SALU_CYCLE_1)
	s_and_saveexec_b32 s12, s2
	s_xor_b32 s2, exec_lo, s12
	s_cbranch_execz .LBB295_5
; %bb.4:                                ;   in Loop: Header=BB295_3 Depth=1
	v_mov_b32_e32 v1, v0
	v_mov_b32_e32 v2, v0
	;; [unrolled: 1-line block ×3, first 2 shown]
	ds_store_b128 v29, v[0:3]
.LBB295_5:                              ;   in Loop: Header=BB295_3 Depth=1
	s_and_not1_saveexec_b32 s2, s2
	s_cbranch_execz .LBB295_7
; %bb.6:                                ;   in Loop: Header=BB295_3 Depth=1
	global_load_b128 v[1:4], v[5:6], off
	s_waitcnt vmcnt(0)
	ds_store_2addr_b64 v29, v[1:2], v[3:4] offset1:1
.LBB295_7:                              ;   in Loop: Header=BB295_3 Depth=1
	s_or_b32 exec_lo, exec_lo, s2
	v_add_nc_u32_e32 v3, s23, v27
	v_mov_b32_e32 v1, 0
	v_mov_b32_e32 v2, 0
	s_delay_alu instid0(VALU_DEP_3) | instskip(NEXT) | instid1(VALU_DEP_2)
	v_cmp_gt_i32_e64 s2, s17, v3
	v_dual_mov_b32 v4, v2 :: v_dual_mov_b32 v3, v1
	s_delay_alu instid0(VALU_DEP_2) | instskip(NEXT) | instid1(SALU_CYCLE_1)
	s_and_b32 s12, s2, vcc_lo
	s_and_saveexec_b32 s2, s12
	s_cbranch_execz .LBB295_2
; %bb.8:                                ;   in Loop: Header=BB295_3 Depth=1
	global_load_b128 v[1:4], v[7:8], off offset:-8
	s_branch .LBB295_2
.LBB295_9:
	s_clause 0x2
	s_load_b32 s2, s[0:1], 0x60
	s_load_b64 s[8:9], s[0:1], 0x68
	s_load_b64 s[10:11], s[0:1], 0x58
	v_add_nc_u32_e32 v4, s14, v26
	v_add_nc_u32_e32 v0, s22, v25
	s_delay_alu instid0(VALU_DEP_1)
	v_cmp_le_i32_e64 s0, v4, v0
	v_cmp_gt_i32_e32 vcc_lo, s16, v0
	s_waitcnt lgkmcnt(0)
	v_mad_i64_i32 v[1:2], null, v4, s2, 0
	s_mul_i32 s1, s15, s9
	s_mul_hi_u32 s3, s15, s8
	s_mul_i32 s8, s15, s8
	s_add_i32 s9, s3, s1
	s_delay_alu instid0(SALU_CYCLE_1) | instskip(NEXT) | instid1(VALU_DEP_1)
	s_lshl_b64 s[8:9], s[8:9], 4
	v_lshlrev_b64 v[1:2], 4, v[1:2]
	s_add_u32 s3, s10, s8
	s_addc_u32 s8, s11, s9
	s_and_b32 s0, s0, vcc_lo
	s_delay_alu instid0(VALU_DEP_1) | instskip(NEXT) | instid1(VALU_DEP_1)
	v_add_co_u32 v5, s1, s3, v1
	v_add_co_ci_u32_e64 v6, s1, s8, v2, s1
	s_and_saveexec_b32 s1, s0
	s_cbranch_execz .LBB295_11
; %bb.10:
	v_mul_f64 v[1:2], s[6:7], v[23:24]
	v_mul_f64 v[7:8], s[4:5], v[23:24]
	s_delay_alu instid0(VALU_DEP_2) | instskip(NEXT) | instid1(VALU_DEP_2)
	v_fma_f64 v[23:24], s[4:5], v[21:22], -v[1:2]
	v_fma_f64 v[25:26], s[6:7], v[21:22], v[7:8]
	v_ashrrev_i32_e32 v1, 31, v0
	s_delay_alu instid0(VALU_DEP_1) | instskip(NEXT) | instid1(VALU_DEP_1)
	v_lshlrev_b64 v[1:2], 4, v[0:1]
	v_add_co_u32 v1, s0, v5, v1
	s_delay_alu instid0(VALU_DEP_1)
	v_add_co_ci_u32_e64 v2, s0, v6, v2, s0
	global_store_b128 v[1:2], v[23:26], off
.LBB295_11:
	s_or_b32 exec_lo, exec_lo, s1
	v_add_nc_u32_e32 v2, 16, v0
	s_delay_alu instid0(VALU_DEP_1) | instskip(SKIP_1) | instid1(VALU_DEP_1)
	v_cmp_le_i32_e64 s1, v4, v2
	v_cmp_gt_i32_e64 s0, s16, v2
	s_and_b32 s1, s1, s0
	s_delay_alu instid0(SALU_CYCLE_1)
	s_and_saveexec_b32 s9, s1
	s_cbranch_execz .LBB295_13
; %bb.12:
	v_mul_f64 v[7:8], s[6:7], v[19:20]
	v_mul_f64 v[21:22], s[4:5], v[19:20]
	v_ashrrev_i32_e32 v3, 31, v2
	s_delay_alu instid0(VALU_DEP_3) | instskip(NEXT) | instid1(VALU_DEP_3)
	v_fma_f64 v[19:20], s[4:5], v[17:18], -v[7:8]
	v_fma_f64 v[21:22], s[6:7], v[17:18], v[21:22]
	s_delay_alu instid0(VALU_DEP_3) | instskip(NEXT) | instid1(VALU_DEP_1)
	v_lshlrev_b64 v[7:8], 4, v[2:3]
	v_add_co_u32 v5, s1, v5, v7
	s_delay_alu instid0(VALU_DEP_1)
	v_add_co_ci_u32_e64 v6, s1, v6, v8, s1
	global_store_b128 v[5:6], v[19:22], off
.LBB295_13:
	s_or_b32 exec_lo, exec_lo, s9
	v_add_nc_u32_e32 v3, 16, v4
	s_delay_alu instid0(VALU_DEP_1) | instskip(SKIP_1) | instid1(VALU_DEP_2)
	v_mad_i64_i32 v[4:5], null, v3, s2, 0
	v_cmp_le_i32_e64 s1, v3, v0
	v_lshlrev_b64 v[4:5], 4, v[4:5]
	s_delay_alu instid0(VALU_DEP_1) | instskip(NEXT) | instid1(VALU_DEP_1)
	v_add_co_u32 v4, s2, s3, v4
	v_add_co_ci_u32_e64 v5, s2, s8, v5, s2
	s_delay_alu instid0(VALU_DEP_4) | instskip(NEXT) | instid1(SALU_CYCLE_1)
	s_and_b32 s2, s1, vcc_lo
	s_and_saveexec_b32 s1, s2
	s_cbranch_execz .LBB295_15
; %bb.14:
	v_mul_f64 v[6:7], s[6:7], v[15:16]
	v_mul_f64 v[17:18], s[4:5], v[15:16]
	v_ashrrev_i32_e32 v1, 31, v0
	s_delay_alu instid0(VALU_DEP_1) | instskip(NEXT) | instid1(VALU_DEP_1)
	v_lshlrev_b64 v[0:1], 4, v[0:1]
	v_add_co_u32 v0, vcc_lo, v4, v0
	s_delay_alu instid0(VALU_DEP_2)
	v_add_co_ci_u32_e32 v1, vcc_lo, v5, v1, vcc_lo
	v_fma_f64 v[15:16], s[4:5], v[13:14], -v[6:7]
	v_fma_f64 v[17:18], s[6:7], v[13:14], v[17:18]
	global_store_b128 v[0:1], v[15:18], off
.LBB295_15:
	s_or_b32 exec_lo, exec_lo, s1
	v_cmp_le_i32_e32 vcc_lo, v3, v2
	s_and_b32 s0, vcc_lo, s0
	s_delay_alu instid0(SALU_CYCLE_1)
	s_and_saveexec_b32 s1, s0
	s_cbranch_execz .LBB295_17
; %bb.16:
	v_mul_f64 v[0:1], s[6:7], v[9:10]
	v_mul_f64 v[8:9], s[4:5], v[9:10]
	v_ashrrev_i32_e32 v3, 31, v2
	s_delay_alu instid0(VALU_DEP_3) | instskip(NEXT) | instid1(VALU_DEP_3)
	v_fma_f64 v[6:7], s[4:5], v[11:12], -v[0:1]
	v_fma_f64 v[8:9], s[6:7], v[11:12], v[8:9]
	s_delay_alu instid0(VALU_DEP_3) | instskip(NEXT) | instid1(VALU_DEP_1)
	v_lshlrev_b64 v[0:1], 4, v[2:3]
	v_add_co_u32 v0, vcc_lo, v4, v0
	s_delay_alu instid0(VALU_DEP_2)
	v_add_co_ci_u32_e32 v1, vcc_lo, v5, v1, vcc_lo
	global_store_b128 v[0:1], v[6:9], off
.LBB295_17:
	s_nop 0
	s_sendmsg sendmsg(MSG_DEALLOC_VGPRS)
	s_endpgm
	.section	.rodata,"a",@progbits
	.p2align	6, 0x0
	.amdhsa_kernel _ZL34rocblas_syrkx_herkx_general_kernelIi19rocblas_complex_numIdELi16ELi32ELi8ELb1ELb0ELc78ELc76EKS1_S1_EviT_T0_PT8_S3_lS6_S3_lS4_PT9_S3_li
		.amdhsa_group_segment_fixed_size 8192
		.amdhsa_private_segment_fixed_size 0
		.amdhsa_kernarg_size 116
		.amdhsa_user_sgpr_count 13
		.amdhsa_user_sgpr_dispatch_ptr 0
		.amdhsa_user_sgpr_queue_ptr 0
		.amdhsa_user_sgpr_kernarg_segment_ptr 1
		.amdhsa_user_sgpr_dispatch_id 0
		.amdhsa_user_sgpr_private_segment_size 0
		.amdhsa_wavefront_size32 1
		.amdhsa_uses_dynamic_stack 0
		.amdhsa_enable_private_segment 0
		.amdhsa_system_sgpr_workgroup_id_x 1
		.amdhsa_system_sgpr_workgroup_id_y 1
		.amdhsa_system_sgpr_workgroup_id_z 1
		.amdhsa_system_sgpr_workgroup_info 0
		.amdhsa_system_vgpr_workitem_id 1
		.amdhsa_next_free_vgpr 119
		.amdhsa_next_free_sgpr 26
		.amdhsa_reserve_vcc 1
		.amdhsa_float_round_mode_32 0
		.amdhsa_float_round_mode_16_64 0
		.amdhsa_float_denorm_mode_32 3
		.amdhsa_float_denorm_mode_16_64 3
		.amdhsa_dx10_clamp 1
		.amdhsa_ieee_mode 1
		.amdhsa_fp16_overflow 0
		.amdhsa_workgroup_processor_mode 1
		.amdhsa_memory_ordered 1
		.amdhsa_forward_progress 0
		.amdhsa_shared_vgpr_count 0
		.amdhsa_exception_fp_ieee_invalid_op 0
		.amdhsa_exception_fp_denorm_src 0
		.amdhsa_exception_fp_ieee_div_zero 0
		.amdhsa_exception_fp_ieee_overflow 0
		.amdhsa_exception_fp_ieee_underflow 0
		.amdhsa_exception_fp_ieee_inexact 0
		.amdhsa_exception_int_div_zero 0
	.end_amdhsa_kernel
	.section	.text._ZL34rocblas_syrkx_herkx_general_kernelIi19rocblas_complex_numIdELi16ELi32ELi8ELb1ELb0ELc78ELc76EKS1_S1_EviT_T0_PT8_S3_lS6_S3_lS4_PT9_S3_li,"axG",@progbits,_ZL34rocblas_syrkx_herkx_general_kernelIi19rocblas_complex_numIdELi16ELi32ELi8ELb1ELb0ELc78ELc76EKS1_S1_EviT_T0_PT8_S3_lS6_S3_lS4_PT9_S3_li,comdat
.Lfunc_end295:
	.size	_ZL34rocblas_syrkx_herkx_general_kernelIi19rocblas_complex_numIdELi16ELi32ELi8ELb1ELb0ELc78ELc76EKS1_S1_EviT_T0_PT8_S3_lS6_S3_lS4_PT9_S3_li, .Lfunc_end295-_ZL34rocblas_syrkx_herkx_general_kernelIi19rocblas_complex_numIdELi16ELi32ELi8ELb1ELb0ELc78ELc76EKS1_S1_EviT_T0_PT8_S3_lS6_S3_lS4_PT9_S3_li
                                        ; -- End function
	.section	.AMDGPU.csdata,"",@progbits
; Kernel info:
; codeLenInByte = 3312
; NumSgprs: 28
; NumVgprs: 119
; ScratchSize: 0
; MemoryBound: 1
; FloatMode: 240
; IeeeMode: 1
; LDSByteSize: 8192 bytes/workgroup (compile time only)
; SGPRBlocks: 3
; VGPRBlocks: 14
; NumSGPRsForWavesPerEU: 28
; NumVGPRsForWavesPerEU: 119
; Occupancy: 12
; WaveLimiterHint : 0
; COMPUTE_PGM_RSRC2:SCRATCH_EN: 0
; COMPUTE_PGM_RSRC2:USER_SGPR: 13
; COMPUTE_PGM_RSRC2:TRAP_HANDLER: 0
; COMPUTE_PGM_RSRC2:TGID_X_EN: 1
; COMPUTE_PGM_RSRC2:TGID_Y_EN: 1
; COMPUTE_PGM_RSRC2:TGID_Z_EN: 1
; COMPUTE_PGM_RSRC2:TIDIG_COMP_CNT: 1
	.section	.text._ZL34rocblas_syrkx_herkx_general_kernelIi19rocblas_complex_numIdELi16ELi32ELi8ELb1ELb0ELc84ELc85EKS1_S1_EviT_T0_PT8_S3_lS6_S3_lS4_PT9_S3_li,"axG",@progbits,_ZL34rocblas_syrkx_herkx_general_kernelIi19rocblas_complex_numIdELi16ELi32ELi8ELb1ELb0ELc84ELc85EKS1_S1_EviT_T0_PT8_S3_lS6_S3_lS4_PT9_S3_li,comdat
	.globl	_ZL34rocblas_syrkx_herkx_general_kernelIi19rocblas_complex_numIdELi16ELi32ELi8ELb1ELb0ELc84ELc85EKS1_S1_EviT_T0_PT8_S3_lS6_S3_lS4_PT9_S3_li ; -- Begin function _ZL34rocblas_syrkx_herkx_general_kernelIi19rocblas_complex_numIdELi16ELi32ELi8ELb1ELb0ELc84ELc85EKS1_S1_EviT_T0_PT8_S3_lS6_S3_lS4_PT9_S3_li
	.p2align	8
	.type	_ZL34rocblas_syrkx_herkx_general_kernelIi19rocblas_complex_numIdELi16ELi32ELi8ELb1ELb0ELc84ELc85EKS1_S1_EviT_T0_PT8_S3_lS6_S3_lS4_PT9_S3_li,@function
_ZL34rocblas_syrkx_herkx_general_kernelIi19rocblas_complex_numIdELi16ELi32ELi8ELb1ELb0ELc84ELc85EKS1_S1_EviT_T0_PT8_S3_lS6_S3_lS4_PT9_S3_li: ; @_ZL34rocblas_syrkx_herkx_general_kernelIi19rocblas_complex_numIdELi16ELi32ELi8ELb1ELb0ELc84ELc85EKS1_S1_EviT_T0_PT8_S3_lS6_S3_lS4_PT9_S3_li
; %bb.0:
	s_clause 0x2
	s_load_b64 s[16:17], s[0:1], 0x0
	s_load_b128 s[4:7], s[0:1], 0x8
	s_load_b64 s[18:19], s[0:1], 0x18
	v_mov_b32_e32 v20, 0
	v_dual_mov_b32 v21, 0 :: v_dual_and_b32 v24, 0x3ff, v0
	v_bfe_u32 v25, v0, 10, 10
	s_delay_alu instid0(VALU_DEP_3) | instskip(NEXT) | instid1(VALU_DEP_3)
	v_mov_b32_e32 v8, v20
	v_dual_mov_b32 v10, v20 :: v_dual_mov_b32 v11, v21
	v_dual_mov_b32 v23, v21 :: v_dual_mov_b32 v22, v20
	;; [unrolled: 1-line block ×6, first 2 shown]
	v_mov_b32_e32 v13, v21
	s_lshl_b32 s12, s13, 5
	s_lshl_b32 s13, s14, 5
	s_waitcnt lgkmcnt(0)
	s_cmp_lt_i32 s17, 1
	s_mov_b32 s14, 0
	s_cbranch_scc1 .LBB296_11
; %bb.1:
	s_load_b32 s2, s[0:1], 0x20
	v_lshl_add_u32 v0, v25, 4, v24
	v_dual_mov_b32 v12, 0 :: v_dual_lshlrev_b32 v27, 4, v24
	s_clause 0x2
	s_load_b128 s[8:11], s[0:1], 0x28
	s_load_b32 s3, s[0:1], 0x38
	s_load_b64 s[20:21], s[0:1], 0x40
	v_dual_mov_b32 v13, 0 :: v_dual_and_b32 v26, 7, v24
	v_and_b32_e32 v2, 31, v0
	v_lshrrev_b32_e32 v1, 3, v0
	v_lshrrev_b32_e32 v29, 5, v0
	s_delay_alu instid0(VALU_DEP_4) | instskip(SKIP_3) | instid1(VALU_DEP_4)
	v_dual_mov_b32 v17, v13 :: v_dual_lshlrev_b32 v6, 4, v26
	v_mov_b32_e32 v19, v13
	v_add_nc_u32_e32 v3, s12, v2
	v_dual_mov_b32 v15, v13 :: v_dual_add_nc_u32 v4, s13, v1
	v_lshl_or_b32 v7, v1, 7, v6
	v_or_b32_e32 v5, s12, v2
	v_lshlrev_b32_e32 v2, 4, v2
	v_dual_mov_b32 v10, v12 :: v_dual_mov_b32 v23, v13
	s_waitcnt lgkmcnt(0)
	v_mad_i64_i32 v[0:1], null, s2, v3, 0
	s_mul_i32 s9, s9, s15
	s_mul_hi_u32 s22, s8, s15
	v_mov_b32_e32 v11, v13
	v_lshl_or_b32 v30, v29, 9, v2
	v_mad_i64_i32 v[2:3], null, s3, v4, 0
	s_delay_alu instid0(VALU_DEP_4)
	v_lshlrev_b64 v[0:1], 4, v[0:1]
	s_mul_i32 s8, s8, s15
	s_add_i32 s9, s22, s9
	v_cmp_gt_i32_e64 s2, s16, v4
	s_lshl_b64 s[8:9], s[8:9], 4
	v_dual_mov_b32 v18, v12 :: v_dual_add_nc_u32 v31, 0x1000, v7
	v_add_co_u32 v4, s3, v0, s8
	v_dual_mov_b32 v16, v12 :: v_dual_lshlrev_b32 v7, 4, v29
	v_cmp_gt_i32_e32 vcc_lo, s16, v5
	v_add_co_ci_u32_e64 v5, s3, s9, v1, s3
	s_mul_i32 s3, s21, s15
	s_mul_hi_u32 s8, s20, s15
	v_lshlrev_b64 v[0:1], 4, v[2:3]
	s_add_i32 s9, s8, s3
	s_mul_i32 s8, s20, s15
	v_add_co_u32 v2, s3, v4, v7
	s_lshl_b64 s[8:9], s[8:9], 4
	v_add_co_ci_u32_e64 v3, s3, 0, v5, s3
	v_add_co_u32 v0, s3, v0, s8
	s_delay_alu instid0(VALU_DEP_1) | instskip(SKIP_1) | instid1(VALU_DEP_1)
	v_add_co_ci_u32_e64 v1, s3, s9, v1, s3
	v_add_co_u32 v4, s3, s18, v2
	v_add_co_ci_u32_e64 v5, s3, s19, v3, s3
	s_delay_alu instid0(VALU_DEP_4) | instskip(NEXT) | instid1(VALU_DEP_1)
	v_add_co_u32 v0, s3, v0, v6
	v_add_co_ci_u32_e64 v1, s3, 0, v1, s3
	v_dual_mov_b32 v8, v12 :: v_dual_mov_b32 v21, v13
	s_delay_alu instid0(VALU_DEP_3) | instskip(SKIP_1) | instid1(VALU_DEP_4)
	v_add_co_u32 v6, s3, s10, v0
	v_lshl_add_u32 v28, v25, 7, 0x1000
	v_add_co_ci_u32_e64 v7, s3, s11, v1, s3
	v_mov_b32_e32 v0, 0
	v_dual_mov_b32 v14, v12 :: v_dual_mov_b32 v9, v13
	v_mov_b32_e32 v22, v12
	v_mov_b32_e32 v20, v12
	s_xor_b32 s3, vcc_lo, -1
	s_xor_b32 s2, s2, -1
	s_branch .LBB296_3
.LBB296_2:                              ;   in Loop: Header=BB296_3 Depth=1
	s_or_b32 exec_lo, exec_lo, s8
	s_waitcnt lgkmcnt(0)
	s_barrier
	buffer_gl0_inv
	ds_load_b128 v[32:35], v28
	ds_load_b128 v[36:39], v28 offset:16
	ds_load_b128 v[40:43], v28 offset:32
	;; [unrolled: 1-line block ×3, first 2 shown]
	ds_load_b128 v[48:51], v27
	v_add_co_u32 v4, vcc_lo, 0x80, v4
	v_add_co_ci_u32_e32 v5, vcc_lo, 0, v5, vcc_lo
	v_add_co_u32 v6, vcc_lo, 0x80, v6
	v_add_co_ci_u32_e32 v7, vcc_lo, 0, v7, vcc_lo
	s_add_i32 s14, s14, 8
	s_delay_alu instid0(SALU_CYCLE_1) | instskip(SKIP_3) | instid1(VALU_DEP_2)
	s_cmp_ge_i32 s14, s17
	s_waitcnt lgkmcnt(0)
	v_mul_f64 v[1:2], v[34:35], v[50:51]
	v_mul_f64 v[52:53], v[32:33], v[50:51]
	v_fma_f64 v[1:2], v[32:33], v[48:49], -v[1:2]
	s_delay_alu instid0(VALU_DEP_2) | instskip(NEXT) | instid1(VALU_DEP_2)
	v_fma_f64 v[52:53], v[34:35], v[48:49], v[52:53]
	v_add_f64 v[1:2], v[20:21], v[1:2]
	s_delay_alu instid0(VALU_DEP_2) | instskip(SKIP_3) | instid1(VALU_DEP_1)
	v_add_f64 v[52:53], v[22:23], v[52:53]
	ds_load_b128 v[20:23], v27 offset:256
	s_waitcnt lgkmcnt(0)
	v_mul_f64 v[54:55], v[34:35], v[22:23]
	v_fma_f64 v[54:55], v[32:33], v[20:21], -v[54:55]
	v_mul_f64 v[32:33], v[32:33], v[22:23]
	s_delay_alu instid0(VALU_DEP_1) | instskip(NEXT) | instid1(VALU_DEP_3)
	v_fma_f64 v[32:33], v[34:35], v[20:21], v[32:33]
	v_add_f64 v[34:35], v[8:9], v[54:55]
	s_delay_alu instid0(VALU_DEP_2) | instskip(SKIP_4) | instid1(VALU_DEP_2)
	v_add_f64 v[32:33], v[10:11], v[32:33]
	ds_load_b128 v[8:11], v28 offset:2048
	s_waitcnt lgkmcnt(0)
	v_mul_f64 v[54:55], v[10:11], v[50:51]
	v_mul_f64 v[50:51], v[8:9], v[50:51]
	v_fma_f64 v[54:55], v[8:9], v[48:49], -v[54:55]
	s_delay_alu instid0(VALU_DEP_2) | instskip(NEXT) | instid1(VALU_DEP_2)
	v_fma_f64 v[48:49], v[10:11], v[48:49], v[50:51]
	v_add_f64 v[50:51], v[14:15], v[54:55]
	v_mul_f64 v[14:15], v[10:11], v[22:23]
	s_delay_alu instid0(VALU_DEP_3) | instskip(NEXT) | instid1(VALU_DEP_2)
	v_add_f64 v[48:49], v[16:17], v[48:49]
	v_fma_f64 v[14:15], v[8:9], v[20:21], -v[14:15]
	v_mul_f64 v[8:9], v[8:9], v[22:23]
	s_delay_alu instid0(VALU_DEP_1) | instskip(NEXT) | instid1(VALU_DEP_3)
	v_fma_f64 v[8:9], v[10:11], v[20:21], v[8:9]
	v_add_f64 v[20:21], v[18:19], v[14:15]
	s_delay_alu instid0(VALU_DEP_2) | instskip(SKIP_4) | instid1(VALU_DEP_2)
	v_add_f64 v[22:23], v[12:13], v[8:9]
	ds_load_b128 v[8:11], v27 offset:512
	s_waitcnt lgkmcnt(0)
	v_mul_f64 v[12:13], v[38:39], v[10:11]
	v_mul_f64 v[14:15], v[36:37], v[10:11]
	v_fma_f64 v[12:13], v[36:37], v[8:9], -v[12:13]
	s_delay_alu instid0(VALU_DEP_2) | instskip(NEXT) | instid1(VALU_DEP_2)
	v_fma_f64 v[14:15], v[38:39], v[8:9], v[14:15]
	v_add_f64 v[1:2], v[1:2], v[12:13]
	s_delay_alu instid0(VALU_DEP_2) | instskip(SKIP_4) | instid1(VALU_DEP_2)
	v_add_f64 v[52:53], v[52:53], v[14:15]
	ds_load_b128 v[12:15], v27 offset:768
	s_waitcnt lgkmcnt(0)
	v_mul_f64 v[16:17], v[38:39], v[14:15]
	v_mul_f64 v[18:19], v[36:37], v[14:15]
	v_fma_f64 v[16:17], v[36:37], v[12:13], -v[16:17]
	s_delay_alu instid0(VALU_DEP_2) | instskip(NEXT) | instid1(VALU_DEP_2)
	v_fma_f64 v[18:19], v[38:39], v[12:13], v[18:19]
	v_add_f64 v[34:35], v[34:35], v[16:17]
	s_delay_alu instid0(VALU_DEP_2) | instskip(SKIP_4) | instid1(VALU_DEP_2)
	v_add_f64 v[32:33], v[32:33], v[18:19]
	ds_load_b128 v[16:19], v28 offset:2064
	s_waitcnt lgkmcnt(0)
	v_mul_f64 v[36:37], v[18:19], v[10:11]
	v_mul_f64 v[10:11], v[16:17], v[10:11]
	v_fma_f64 v[36:37], v[16:17], v[8:9], -v[36:37]
	s_delay_alu instid0(VALU_DEP_2) | instskip(SKIP_1) | instid1(VALU_DEP_3)
	v_fma_f64 v[8:9], v[18:19], v[8:9], v[10:11]
	v_mul_f64 v[10:11], v[16:17], v[14:15]
	v_add_f64 v[36:37], v[50:51], v[36:37]
	s_delay_alu instid0(VALU_DEP_3) | instskip(SKIP_1) | instid1(VALU_DEP_4)
	v_add_f64 v[38:39], v[48:49], v[8:9]
	v_mul_f64 v[8:9], v[18:19], v[14:15]
	v_fma_f64 v[10:11], v[18:19], v[12:13], v[10:11]
	s_delay_alu instid0(VALU_DEP_2) | instskip(NEXT) | instid1(VALU_DEP_2)
	v_fma_f64 v[8:9], v[16:17], v[12:13], -v[8:9]
	v_add_f64 v[22:23], v[22:23], v[10:11]
	s_delay_alu instid0(VALU_DEP_2) | instskip(SKIP_4) | instid1(VALU_DEP_2)
	v_add_f64 v[20:21], v[20:21], v[8:9]
	ds_load_b128 v[8:11], v27 offset:1024
	s_waitcnt lgkmcnt(0)
	v_mul_f64 v[12:13], v[42:43], v[10:11]
	v_mul_f64 v[14:15], v[40:41], v[10:11]
	v_fma_f64 v[12:13], v[40:41], v[8:9], -v[12:13]
	s_delay_alu instid0(VALU_DEP_2) | instskip(NEXT) | instid1(VALU_DEP_2)
	v_fma_f64 v[14:15], v[42:43], v[8:9], v[14:15]
	v_add_f64 v[1:2], v[1:2], v[12:13]
	s_delay_alu instid0(VALU_DEP_2) | instskip(SKIP_4) | instid1(VALU_DEP_2)
	v_add_f64 v[48:49], v[52:53], v[14:15]
	ds_load_b128 v[12:15], v27 offset:1280
	s_waitcnt lgkmcnt(0)
	v_mul_f64 v[16:17], v[42:43], v[14:15]
	v_mul_f64 v[18:19], v[40:41], v[14:15]
	v_fma_f64 v[16:17], v[40:41], v[12:13], -v[16:17]
	s_delay_alu instid0(VALU_DEP_2) | instskip(NEXT) | instid1(VALU_DEP_2)
	v_fma_f64 v[18:19], v[42:43], v[12:13], v[18:19]
	v_add_f64 v[34:35], v[34:35], v[16:17]
	s_delay_alu instid0(VALU_DEP_2) | instskip(SKIP_4) | instid1(VALU_DEP_2)
	v_add_f64 v[32:33], v[32:33], v[18:19]
	ds_load_b128 v[16:19], v28 offset:2080
	s_waitcnt lgkmcnt(0)
	v_mul_f64 v[40:41], v[18:19], v[10:11]
	v_mul_f64 v[10:11], v[16:17], v[10:11]
	v_fma_f64 v[40:41], v[16:17], v[8:9], -v[40:41]
	s_delay_alu instid0(VALU_DEP_2) | instskip(SKIP_1) | instid1(VALU_DEP_3)
	v_fma_f64 v[8:9], v[18:19], v[8:9], v[10:11]
	v_mul_f64 v[10:11], v[16:17], v[14:15]
	v_add_f64 v[36:37], v[36:37], v[40:41]
	s_delay_alu instid0(VALU_DEP_3) | instskip(SKIP_1) | instid1(VALU_DEP_4)
	v_add_f64 v[38:39], v[38:39], v[8:9]
	v_mul_f64 v[8:9], v[18:19], v[14:15]
	v_fma_f64 v[10:11], v[18:19], v[12:13], v[10:11]
	s_delay_alu instid0(VALU_DEP_2) | instskip(NEXT) | instid1(VALU_DEP_2)
	v_fma_f64 v[8:9], v[16:17], v[12:13], -v[8:9]
	;; [unrolled: 38-line block ×3, first 2 shown]
	v_add_f64 v[22:23], v[22:23], v[10:11]
	s_delay_alu instid0(VALU_DEP_2)
	v_add_f64 v[20:21], v[20:21], v[8:9]
	ds_load_b128 v[8:11], v28 offset:64
	ds_load_b128 v[12:15], v27 offset:2048
	s_waitcnt lgkmcnt(0)
	v_mul_f64 v[16:17], v[10:11], v[14:15]
	v_mul_f64 v[18:19], v[8:9], v[14:15]
	s_delay_alu instid0(VALU_DEP_2) | instskip(NEXT) | instid1(VALU_DEP_2)
	v_fma_f64 v[16:17], v[8:9], v[12:13], -v[16:17]
	v_fma_f64 v[18:19], v[10:11], v[12:13], v[18:19]
	s_delay_alu instid0(VALU_DEP_2) | instskip(NEXT) | instid1(VALU_DEP_2)
	v_add_f64 v[1:2], v[1:2], v[16:17]
	v_add_f64 v[40:41], v[40:41], v[18:19]
	ds_load_b128 v[16:19], v27 offset:2304
	s_waitcnt lgkmcnt(0)
	v_mul_f64 v[42:43], v[10:11], v[18:19]
	s_delay_alu instid0(VALU_DEP_1) | instskip(SKIP_1) | instid1(VALU_DEP_2)
	v_fma_f64 v[42:43], v[8:9], v[16:17], -v[42:43]
	v_mul_f64 v[8:9], v[8:9], v[18:19]
	v_add_f64 v[34:35], v[34:35], v[42:43]
	s_delay_alu instid0(VALU_DEP_2) | instskip(NEXT) | instid1(VALU_DEP_1)
	v_fma_f64 v[8:9], v[10:11], v[16:17], v[8:9]
	v_add_f64 v[32:33], v[32:33], v[8:9]
	ds_load_b128 v[8:11], v28 offset:2112
	s_waitcnt lgkmcnt(0)
	v_mul_f64 v[42:43], v[10:11], v[14:15]
	v_mul_f64 v[14:15], v[8:9], v[14:15]
	s_delay_alu instid0(VALU_DEP_2) | instskip(NEXT) | instid1(VALU_DEP_2)
	v_fma_f64 v[42:43], v[8:9], v[12:13], -v[42:43]
	v_fma_f64 v[12:13], v[10:11], v[12:13], v[14:15]
	s_delay_alu instid0(VALU_DEP_2) | instskip(NEXT) | instid1(VALU_DEP_2)
	v_add_f64 v[36:37], v[36:37], v[42:43]
	v_add_f64 v[38:39], v[38:39], v[12:13]
	v_mul_f64 v[12:13], v[10:11], v[18:19]
	s_delay_alu instid0(VALU_DEP_1) | instskip(SKIP_1) | instid1(VALU_DEP_2)
	v_fma_f64 v[12:13], v[8:9], v[16:17], -v[12:13]
	v_mul_f64 v[8:9], v[8:9], v[18:19]
	v_add_f64 v[20:21], v[20:21], v[12:13]
	s_delay_alu instid0(VALU_DEP_2) | instskip(NEXT) | instid1(VALU_DEP_1)
	v_fma_f64 v[8:9], v[10:11], v[16:17], v[8:9]
	v_add_f64 v[22:23], v[22:23], v[8:9]
	ds_load_b128 v[8:11], v28 offset:80
	ds_load_b128 v[12:15], v27 offset:2560
	s_waitcnt lgkmcnt(0)
	v_mul_f64 v[16:17], v[10:11], v[14:15]
	v_mul_f64 v[18:19], v[8:9], v[14:15]
	s_delay_alu instid0(VALU_DEP_2) | instskip(NEXT) | instid1(VALU_DEP_2)
	v_fma_f64 v[16:17], v[8:9], v[12:13], -v[16:17]
	v_fma_f64 v[18:19], v[10:11], v[12:13], v[18:19]
	s_delay_alu instid0(VALU_DEP_2) | instskip(NEXT) | instid1(VALU_DEP_2)
	v_add_f64 v[1:2], v[1:2], v[16:17]
	v_add_f64 v[40:41], v[40:41], v[18:19]
	ds_load_b128 v[16:19], v27 offset:2816
	s_waitcnt lgkmcnt(0)
	v_mul_f64 v[42:43], v[10:11], v[18:19]
	s_delay_alu instid0(VALU_DEP_1) | instskip(SKIP_1) | instid1(VALU_DEP_2)
	v_fma_f64 v[42:43], v[8:9], v[16:17], -v[42:43]
	v_mul_f64 v[8:9], v[8:9], v[18:19]
	v_add_f64 v[34:35], v[34:35], v[42:43]
	s_delay_alu instid0(VALU_DEP_2) | instskip(NEXT) | instid1(VALU_DEP_1)
	v_fma_f64 v[8:9], v[10:11], v[16:17], v[8:9]
	v_add_f64 v[32:33], v[32:33], v[8:9]
	ds_load_b128 v[8:11], v28 offset:2128
	s_waitcnt lgkmcnt(0)
	v_mul_f64 v[42:43], v[10:11], v[14:15]
	v_mul_f64 v[14:15], v[8:9], v[14:15]
	s_delay_alu instid0(VALU_DEP_2) | instskip(NEXT) | instid1(VALU_DEP_2)
	v_fma_f64 v[42:43], v[8:9], v[12:13], -v[42:43]
	v_fma_f64 v[12:13], v[10:11], v[12:13], v[14:15]
	s_delay_alu instid0(VALU_DEP_2) | instskip(NEXT) | instid1(VALU_DEP_2)
	v_add_f64 v[36:37], v[36:37], v[42:43]
	v_add_f64 v[38:39], v[38:39], v[12:13]
	v_mul_f64 v[12:13], v[10:11], v[18:19]
	s_delay_alu instid0(VALU_DEP_1) | instskip(SKIP_1) | instid1(VALU_DEP_2)
	v_fma_f64 v[12:13], v[8:9], v[16:17], -v[12:13]
	v_mul_f64 v[8:9], v[8:9], v[18:19]
	v_add_f64 v[20:21], v[20:21], v[12:13]
	s_delay_alu instid0(VALU_DEP_2) | instskip(NEXT) | instid1(VALU_DEP_1)
	v_fma_f64 v[8:9], v[10:11], v[16:17], v[8:9]
	;; [unrolled: 39-line block ×3, first 2 shown]
	v_add_f64 v[50:51], v[22:23], v[8:9]
	ds_load_b128 v[8:11], v28 offset:112
	ds_load_b128 v[12:15], v27 offset:3584
	ds_load_b128 v[32:35], v27 offset:3840
	ds_load_b128 v[36:39], v28 offset:2160
	s_waitcnt lgkmcnt(0)
	s_barrier
	buffer_gl0_inv
	v_mul_f64 v[16:17], v[10:11], v[14:15]
	v_mul_f64 v[20:21], v[8:9], v[14:15]
	s_delay_alu instid0(VALU_DEP_2) | instskip(NEXT) | instid1(VALU_DEP_2)
	v_fma_f64 v[16:17], v[8:9], v[12:13], -v[16:17]
	v_fma_f64 v[22:23], v[10:11], v[12:13], v[20:21]
	s_delay_alu instid0(VALU_DEP_2) | instskip(SKIP_1) | instid1(VALU_DEP_3)
	v_add_f64 v[20:21], v[1:2], v[16:17]
	v_mul_f64 v[1:2], v[10:11], v[34:35]
	v_add_f64 v[22:23], v[40:41], v[22:23]
	s_delay_alu instid0(VALU_DEP_2) | instskip(SKIP_1) | instid1(VALU_DEP_1)
	v_fma_f64 v[1:2], v[8:9], v[32:33], -v[1:2]
	v_mul_f64 v[8:9], v[8:9], v[34:35]
	v_fma_f64 v[10:11], v[10:11], v[32:33], v[8:9]
	s_delay_alu instid0(VALU_DEP_3) | instskip(SKIP_2) | instid1(VALU_DEP_4)
	v_add_f64 v[8:9], v[42:43], v[1:2]
	v_mul_f64 v[1:2], v[38:39], v[14:15]
	v_mul_f64 v[14:15], v[36:37], v[14:15]
	v_add_f64 v[10:11], v[44:45], v[10:11]
	s_delay_alu instid0(VALU_DEP_3) | instskip(NEXT) | instid1(VALU_DEP_3)
	v_fma_f64 v[1:2], v[36:37], v[12:13], -v[1:2]
	v_fma_f64 v[12:13], v[38:39], v[12:13], v[14:15]
	s_delay_alu instid0(VALU_DEP_2) | instskip(NEXT) | instid1(VALU_DEP_2)
	v_add_f64 v[14:15], v[46:47], v[1:2]
	v_add_f64 v[16:17], v[48:49], v[12:13]
	v_mul_f64 v[1:2], v[38:39], v[34:35]
	v_mul_f64 v[12:13], v[36:37], v[34:35]
	s_delay_alu instid0(VALU_DEP_2) | instskip(NEXT) | instid1(VALU_DEP_2)
	v_fma_f64 v[1:2], v[36:37], v[32:33], -v[1:2]
	v_fma_f64 v[12:13], v[38:39], v[32:33], v[12:13]
	s_delay_alu instid0(VALU_DEP_2) | instskip(NEXT) | instid1(VALU_DEP_2)
	v_add_f64 v[18:19], v[18:19], v[1:2]
	v_add_f64 v[12:13], v[50:51], v[12:13]
	s_cbranch_scc1 .LBB296_11
.LBB296_3:                              ; =>This Inner Loop Header: Depth=1
	v_add_nc_u32_e32 v1, s14, v29
	s_delay_alu instid0(VALU_DEP_1) | instskip(SKIP_1) | instid1(SALU_CYCLE_1)
	v_cmp_le_i32_e32 vcc_lo, s17, v1
	s_or_b32 s8, s3, vcc_lo
	s_and_saveexec_b32 s9, s8
	s_delay_alu instid0(SALU_CYCLE_1)
	s_xor_b32 s8, exec_lo, s9
	s_cbranch_execz .LBB296_5
; %bb.4:                                ;   in Loop: Header=BB296_3 Depth=1
	v_mov_b32_e32 v1, v0
	v_mov_b32_e32 v2, v0
	;; [unrolled: 1-line block ×3, first 2 shown]
	ds_store_b128 v30, v[0:3]
.LBB296_5:                              ;   in Loop: Header=BB296_3 Depth=1
	s_and_not1_saveexec_b32 s8, s8
	s_cbranch_execz .LBB296_7
; %bb.6:                                ;   in Loop: Header=BB296_3 Depth=1
	global_load_b128 v[32:35], v[4:5], off
	s_waitcnt vmcnt(0)
	ds_store_2addr_b64 v30, v[32:33], v[34:35] offset1:1
.LBB296_7:                              ;   in Loop: Header=BB296_3 Depth=1
	s_or_b32 exec_lo, exec_lo, s8
	v_add_nc_u32_e32 v1, s14, v26
	s_delay_alu instid0(VALU_DEP_1) | instskip(SKIP_1) | instid1(SALU_CYCLE_1)
	v_cmp_le_i32_e32 vcc_lo, s17, v1
	s_or_b32 s8, vcc_lo, s2
	s_and_saveexec_b32 s9, s8
	s_delay_alu instid0(SALU_CYCLE_1)
	s_xor_b32 s8, exec_lo, s9
	s_cbranch_execz .LBB296_9
; %bb.8:                                ;   in Loop: Header=BB296_3 Depth=1
	v_mov_b32_e32 v1, v0
	v_mov_b32_e32 v2, v0
	;; [unrolled: 1-line block ×3, first 2 shown]
	ds_store_b128 v31, v[0:3]
.LBB296_9:                              ;   in Loop: Header=BB296_3 Depth=1
	s_and_not1_saveexec_b32 s8, s8
	s_cbranch_execz .LBB296_2
; %bb.10:                               ;   in Loop: Header=BB296_3 Depth=1
	global_load_b128 v[32:35], v[6:7], off
	s_waitcnt vmcnt(0)
	ds_store_2addr_b64 v31, v[32:33], v[34:35] offset1:1
	s_branch .LBB296_2
.LBB296_11:
	s_clause 0x2
	s_load_b32 s2, s[0:1], 0x60
	s_load_b64 s[8:9], s[0:1], 0x68
	s_load_b64 s[10:11], s[0:1], 0x58
	v_add_nc_u32_e32 v4, s13, v25
	v_add_nc_u32_e32 v0, s12, v24
	s_delay_alu instid0(VALU_DEP_2)
	v_cmp_gt_i32_e32 vcc_lo, s16, v4
	s_waitcnt lgkmcnt(0)
	v_mad_i64_i32 v[1:2], null, v4, s2, 0
	s_mul_i32 s1, s15, s9
	s_mul_hi_u32 s3, s15, s8
	s_mul_i32 s0, s15, s8
	s_add_i32 s1, s3, s1
	s_delay_alu instid0(SALU_CYCLE_1) | instskip(NEXT) | instid1(VALU_DEP_1)
	s_lshl_b64 s[8:9], s[0:1], 4
	v_lshlrev_b64 v[1:2], 4, v[1:2]
	s_add_u32 s3, s10, s8
	v_cmp_le_i32_e64 s0, v0, v4
	s_addc_u32 s8, s11, s9
	s_delay_alu instid0(VALU_DEP_2) | instskip(NEXT) | instid1(VALU_DEP_1)
	v_add_co_u32 v5, s1, s3, v1
	v_add_co_ci_u32_e64 v6, s1, s8, v2, s1
	s_delay_alu instid0(VALU_DEP_3) | instskip(NEXT) | instid1(SALU_CYCLE_1)
	s_and_b32 s0, vcc_lo, s0
	s_and_saveexec_b32 s1, s0
	s_cbranch_execz .LBB296_13
; %bb.12:
	v_mul_f64 v[1:2], s[6:7], v[22:23]
	v_mul_f64 v[24:25], s[4:5], v[22:23]
	s_delay_alu instid0(VALU_DEP_2) | instskip(NEXT) | instid1(VALU_DEP_2)
	v_fma_f64 v[22:23], s[4:5], v[20:21], -v[1:2]
	v_fma_f64 v[24:25], s[6:7], v[20:21], v[24:25]
	v_ashrrev_i32_e32 v1, 31, v0
	s_delay_alu instid0(VALU_DEP_1) | instskip(NEXT) | instid1(VALU_DEP_1)
	v_lshlrev_b64 v[1:2], 4, v[0:1]
	v_add_co_u32 v1, s0, v5, v1
	s_delay_alu instid0(VALU_DEP_1)
	v_add_co_ci_u32_e64 v2, s0, v6, v2, s0
	global_store_b128 v[1:2], v[22:25], off
.LBB296_13:
	s_or_b32 exec_lo, exec_lo, s1
	v_add_nc_u32_e32 v2, 16, v0
	s_delay_alu instid0(VALU_DEP_1) | instskip(NEXT) | instid1(VALU_DEP_1)
	v_cmp_le_i32_e64 s0, v2, v4
	s_and_b32 s1, vcc_lo, s0
	s_delay_alu instid0(SALU_CYCLE_1)
	s_and_saveexec_b32 s0, s1
	s_cbranch_execz .LBB296_15
; %bb.14:
	v_mul_f64 v[20:21], s[6:7], v[10:11]
	v_mul_f64 v[10:11], s[4:5], v[10:11]
	v_ashrrev_i32_e32 v3, 31, v2
	s_delay_alu instid0(VALU_DEP_3) | instskip(NEXT) | instid1(VALU_DEP_3)
	v_fma_f64 v[20:21], s[4:5], v[8:9], -v[20:21]
	v_fma_f64 v[22:23], s[6:7], v[8:9], v[10:11]
	s_delay_alu instid0(VALU_DEP_3) | instskip(NEXT) | instid1(VALU_DEP_1)
	v_lshlrev_b64 v[7:8], 4, v[2:3]
	v_add_co_u32 v5, vcc_lo, v5, v7
	s_delay_alu instid0(VALU_DEP_2)
	v_add_co_ci_u32_e32 v6, vcc_lo, v6, v8, vcc_lo
	global_store_b128 v[5:6], v[20:23], off
.LBB296_15:
	s_or_b32 exec_lo, exec_lo, s0
	v_add_nc_u32_e32 v3, 16, v4
	s_delay_alu instid0(VALU_DEP_1) | instskip(SKIP_2) | instid1(VALU_DEP_1)
	v_mad_i64_i32 v[4:5], null, v3, s2, 0
	v_cmp_gt_i32_e32 vcc_lo, s16, v3
	v_cmp_le_i32_e64 s0, v0, v3
	s_and_b32 s0, vcc_lo, s0
	s_delay_alu instid0(VALU_DEP_3) | instskip(NEXT) | instid1(VALU_DEP_1)
	v_lshlrev_b64 v[4:5], 4, v[4:5]
	v_add_co_u32 v4, s1, s3, v4
	s_delay_alu instid0(VALU_DEP_1)
	v_add_co_ci_u32_e64 v5, s1, s8, v5, s1
	s_and_saveexec_b32 s1, s0
	s_cbranch_execz .LBB296_17
; %bb.16:
	v_mul_f64 v[6:7], s[6:7], v[16:17]
	v_mul_f64 v[8:9], s[4:5], v[16:17]
	v_ashrrev_i32_e32 v1, 31, v0
	s_delay_alu instid0(VALU_DEP_1) | instskip(NEXT) | instid1(VALU_DEP_1)
	v_lshlrev_b64 v[0:1], 4, v[0:1]
	v_add_co_u32 v0, s0, v4, v0
	s_delay_alu instid0(VALU_DEP_1)
	v_add_co_ci_u32_e64 v1, s0, v5, v1, s0
	v_fma_f64 v[6:7], s[4:5], v[14:15], -v[6:7]
	v_fma_f64 v[8:9], s[6:7], v[14:15], v[8:9]
	global_store_b128 v[0:1], v[6:9], off
.LBB296_17:
	s_or_b32 exec_lo, exec_lo, s1
	v_cmp_le_i32_e64 s0, v2, v3
	s_delay_alu instid0(VALU_DEP_1) | instskip(NEXT) | instid1(SALU_CYCLE_1)
	s_and_b32 s0, vcc_lo, s0
	s_and_saveexec_b32 s1, s0
	s_cbranch_execz .LBB296_19
; %bb.18:
	v_mul_f64 v[0:1], s[6:7], v[12:13]
	v_mul_f64 v[8:9], s[4:5], v[12:13]
	v_ashrrev_i32_e32 v3, 31, v2
	s_delay_alu instid0(VALU_DEP_3) | instskip(NEXT) | instid1(VALU_DEP_3)
	v_fma_f64 v[6:7], s[4:5], v[18:19], -v[0:1]
	v_fma_f64 v[8:9], s[6:7], v[18:19], v[8:9]
	s_delay_alu instid0(VALU_DEP_3) | instskip(NEXT) | instid1(VALU_DEP_1)
	v_lshlrev_b64 v[0:1], 4, v[2:3]
	v_add_co_u32 v0, vcc_lo, v4, v0
	s_delay_alu instid0(VALU_DEP_2)
	v_add_co_ci_u32_e32 v1, vcc_lo, v5, v1, vcc_lo
	global_store_b128 v[0:1], v[6:9], off
.LBB296_19:
	s_nop 0
	s_sendmsg sendmsg(MSG_DEALLOC_VGPRS)
	s_endpgm
	.section	.rodata,"a",@progbits
	.p2align	6, 0x0
	.amdhsa_kernel _ZL34rocblas_syrkx_herkx_general_kernelIi19rocblas_complex_numIdELi16ELi32ELi8ELb1ELb0ELc84ELc85EKS1_S1_EviT_T0_PT8_S3_lS6_S3_lS4_PT9_S3_li
		.amdhsa_group_segment_fixed_size 8192
		.amdhsa_private_segment_fixed_size 0
		.amdhsa_kernarg_size 116
		.amdhsa_user_sgpr_count 13
		.amdhsa_user_sgpr_dispatch_ptr 0
		.amdhsa_user_sgpr_queue_ptr 0
		.amdhsa_user_sgpr_kernarg_segment_ptr 1
		.amdhsa_user_sgpr_dispatch_id 0
		.amdhsa_user_sgpr_private_segment_size 0
		.amdhsa_wavefront_size32 1
		.amdhsa_uses_dynamic_stack 0
		.amdhsa_enable_private_segment 0
		.amdhsa_system_sgpr_workgroup_id_x 1
		.amdhsa_system_sgpr_workgroup_id_y 1
		.amdhsa_system_sgpr_workgroup_id_z 1
		.amdhsa_system_sgpr_workgroup_info 0
		.amdhsa_system_vgpr_workitem_id 1
		.amdhsa_next_free_vgpr 56
		.amdhsa_next_free_sgpr 23
		.amdhsa_reserve_vcc 1
		.amdhsa_float_round_mode_32 0
		.amdhsa_float_round_mode_16_64 0
		.amdhsa_float_denorm_mode_32 3
		.amdhsa_float_denorm_mode_16_64 3
		.amdhsa_dx10_clamp 1
		.amdhsa_ieee_mode 1
		.amdhsa_fp16_overflow 0
		.amdhsa_workgroup_processor_mode 1
		.amdhsa_memory_ordered 1
		.amdhsa_forward_progress 0
		.amdhsa_shared_vgpr_count 0
		.amdhsa_exception_fp_ieee_invalid_op 0
		.amdhsa_exception_fp_denorm_src 0
		.amdhsa_exception_fp_ieee_div_zero 0
		.amdhsa_exception_fp_ieee_overflow 0
		.amdhsa_exception_fp_ieee_underflow 0
		.amdhsa_exception_fp_ieee_inexact 0
		.amdhsa_exception_int_div_zero 0
	.end_amdhsa_kernel
	.section	.text._ZL34rocblas_syrkx_herkx_general_kernelIi19rocblas_complex_numIdELi16ELi32ELi8ELb1ELb0ELc84ELc85EKS1_S1_EviT_T0_PT8_S3_lS6_S3_lS4_PT9_S3_li,"axG",@progbits,_ZL34rocblas_syrkx_herkx_general_kernelIi19rocblas_complex_numIdELi16ELi32ELi8ELb1ELb0ELc84ELc85EKS1_S1_EviT_T0_PT8_S3_lS6_S3_lS4_PT9_S3_li,comdat
.Lfunc_end296:
	.size	_ZL34rocblas_syrkx_herkx_general_kernelIi19rocblas_complex_numIdELi16ELi32ELi8ELb1ELb0ELc84ELc85EKS1_S1_EviT_T0_PT8_S3_lS6_S3_lS4_PT9_S3_li, .Lfunc_end296-_ZL34rocblas_syrkx_herkx_general_kernelIi19rocblas_complex_numIdELi16ELi32ELi8ELb1ELb0ELc84ELc85EKS1_S1_EviT_T0_PT8_S3_lS6_S3_lS4_PT9_S3_li
                                        ; -- End function
	.section	.AMDGPU.csdata,"",@progbits
; Kernel info:
; codeLenInByte = 3528
; NumSgprs: 25
; NumVgprs: 56
; ScratchSize: 0
; MemoryBound: 0
; FloatMode: 240
; IeeeMode: 1
; LDSByteSize: 8192 bytes/workgroup (compile time only)
; SGPRBlocks: 3
; VGPRBlocks: 6
; NumSGPRsForWavesPerEU: 25
; NumVGPRsForWavesPerEU: 56
; Occupancy: 16
; WaveLimiterHint : 0
; COMPUTE_PGM_RSRC2:SCRATCH_EN: 0
; COMPUTE_PGM_RSRC2:USER_SGPR: 13
; COMPUTE_PGM_RSRC2:TRAP_HANDLER: 0
; COMPUTE_PGM_RSRC2:TGID_X_EN: 1
; COMPUTE_PGM_RSRC2:TGID_Y_EN: 1
; COMPUTE_PGM_RSRC2:TGID_Z_EN: 1
; COMPUTE_PGM_RSRC2:TIDIG_COMP_CNT: 1
	.section	.text._ZL34rocblas_syrkx_herkx_general_kernelIi19rocblas_complex_numIdELi16ELi32ELi8ELb1ELb0ELc67ELc85EKS1_S1_EviT_T0_PT8_S3_lS6_S3_lS4_PT9_S3_li,"axG",@progbits,_ZL34rocblas_syrkx_herkx_general_kernelIi19rocblas_complex_numIdELi16ELi32ELi8ELb1ELb0ELc67ELc85EKS1_S1_EviT_T0_PT8_S3_lS6_S3_lS4_PT9_S3_li,comdat
	.globl	_ZL34rocblas_syrkx_herkx_general_kernelIi19rocblas_complex_numIdELi16ELi32ELi8ELb1ELb0ELc67ELc85EKS1_S1_EviT_T0_PT8_S3_lS6_S3_lS4_PT9_S3_li ; -- Begin function _ZL34rocblas_syrkx_herkx_general_kernelIi19rocblas_complex_numIdELi16ELi32ELi8ELb1ELb0ELc67ELc85EKS1_S1_EviT_T0_PT8_S3_lS6_S3_lS4_PT9_S3_li
	.p2align	8
	.type	_ZL34rocblas_syrkx_herkx_general_kernelIi19rocblas_complex_numIdELi16ELi32ELi8ELb1ELb0ELc67ELc85EKS1_S1_EviT_T0_PT8_S3_lS6_S3_lS4_PT9_S3_li,@function
_ZL34rocblas_syrkx_herkx_general_kernelIi19rocblas_complex_numIdELi16ELi32ELi8ELb1ELb0ELc67ELc85EKS1_S1_EviT_T0_PT8_S3_lS6_S3_lS4_PT9_S3_li: ; @_ZL34rocblas_syrkx_herkx_general_kernelIi19rocblas_complex_numIdELi16ELi32ELi8ELb1ELb0ELc67ELc85EKS1_S1_EviT_T0_PT8_S3_lS6_S3_lS4_PT9_S3_li
; %bb.0:
	s_clause 0x2
	s_load_b64 s[16:17], s[0:1], 0x0
	s_load_b128 s[4:7], s[0:1], 0x8
	s_load_b64 s[18:19], s[0:1], 0x18
	v_mov_b32_e32 v23, 0
	v_dual_mov_b32 v24, 0 :: v_dual_and_b32 v27, 0x3ff, v0
	v_bfe_u32 v28, v0, 10, 10
	s_delay_alu instid0(VALU_DEP_3) | instskip(NEXT) | instid1(VALU_DEP_3)
	v_mov_b32_e32 v19, v23
	v_dual_mov_b32 v21, v23 :: v_dual_mov_b32 v22, v24
	v_dual_mov_b32 v26, v24 :: v_dual_mov_b32 v25, v23
	;; [unrolled: 1-line block ×6, first 2 shown]
	v_mov_b32_e32 v14, v24
	s_lshl_b32 s12, s13, 5
	s_lshl_b32 s13, s14, 5
	s_waitcnt lgkmcnt(0)
	s_cmp_lt_i32 s17, 1
	s_mov_b32 s14, 0
	s_cbranch_scc1 .LBB297_9
; %bb.1:
	s_load_b32 s2, s[0:1], 0x20
	v_lshl_add_u32 v0, v28, 4, v27
	s_clause 0x2
	s_load_b128 s[8:11], s[0:1], 0x28
	s_load_b32 s3, s[0:1], 0x38
	s_load_b64 s[20:21], s[0:1], 0x40
	v_and_b32_e32 v29, 7, v27
	v_lshlrev_b32_e32 v30, 4, v27
	v_lshl_add_u32 v31, v28, 7, 0x1000
	v_and_b32_e32 v2, 31, v0
	v_lshrrev_b32_e32 v1, 3, v0
	v_lshlrev_b32_e32 v4, 4, v29
	v_lshrrev_b32_e32 v32, 5, v0
	s_delay_alu instid0(VALU_DEP_4) | instskip(NEXT) | instid1(VALU_DEP_4)
	v_add_nc_u32_e32 v3, s12, v2
	v_add_nc_u32_e32 v5, s13, v1
	s_delay_alu instid0(VALU_DEP_4) | instskip(SKIP_3) | instid1(VALU_DEP_4)
	v_lshl_or_b32 v7, v1, 7, v4
	v_or_b32_e32 v6, s12, v2
	v_lshlrev_b32_e32 v2, 4, v2
	v_lshlrev_b32_e32 v8, 4, v32
	v_add_nc_u32_e32 v34, 0x1000, v7
	s_delay_alu instid0(VALU_DEP_4)
	v_cmp_gt_i32_e32 vcc_lo, s16, v6
	s_waitcnt lgkmcnt(0)
	v_mad_i64_i32 v[0:1], null, s2, v3, 0
	s_mul_i32 s9, s9, s15
	s_mul_hi_u32 s22, s8, s15
	s_mul_i32 s8, s8, s15
	s_add_i32 s9, s22, s9
	v_lshl_or_b32 v33, v32, 9, v2
	s_lshl_b64 s[8:9], s[8:9], 4
	s_delay_alu instid0(VALU_DEP_2) | instskip(SKIP_2) | instid1(VALU_DEP_3)
	v_lshlrev_b64 v[0:1], 4, v[0:1]
	v_mad_i64_i32 v[2:3], null, s3, v5, 0
	v_cmp_gt_i32_e64 s2, s16, v5
	v_add_co_u32 v0, s3, v0, s8
	s_delay_alu instid0(VALU_DEP_1) | instskip(SKIP_1) | instid1(VALU_DEP_2)
	v_add_co_ci_u32_e64 v1, s3, s9, v1, s3
	s_mul_hi_u32 s8, s20, s15
	v_add_co_u32 v5, s3, v0, v8
	s_delay_alu instid0(VALU_DEP_1)
	v_add_co_ci_u32_e64 v6, s3, 0, v1, s3
	s_mul_i32 s3, s21, s15
	v_lshlrev_b64 v[0:1], 4, v[2:3]
	s_add_i32 s9, s8, s3
	s_mul_i32 s8, s20, s15
	v_add_co_u32 v2, s3, v5, s18
	s_lshl_b64 s[8:9], s[8:9], 4
	v_add_co_ci_u32_e64 v3, s3, s19, v6, s3
	v_mov_b32_e32 v7, 0
	v_add_co_u32 v0, s3, v0, s8
	v_mov_b32_e32 v8, 0
	v_add_co_ci_u32_e64 v1, s3, s9, v1, s3
	v_add_co_u32 v5, s3, v2, 8
	s_delay_alu instid0(VALU_DEP_1) | instskip(NEXT) | instid1(VALU_DEP_4)
	v_add_co_ci_u32_e64 v6, s3, 0, v3, s3
	v_dual_mov_b32 v12, v8 :: v_dual_mov_b32 v11, v7
	v_add_co_u32 v0, s3, v0, v4
	s_delay_alu instid0(VALU_DEP_1) | instskip(SKIP_1) | instid1(VALU_DEP_3)
	v_add_co_ci_u32_e64 v1, s3, 0, v1, s3
	v_mov_b32_e32 v14, v8
	v_add_co_u32 v9, s3, s10, v0
	v_mov_b32_e32 v18, v8
	v_mov_b32_e32 v16, v8
	;; [unrolled: 1-line block ×5, first 2 shown]
	v_dual_mov_b32 v24, v8 :: v_dual_mov_b32 v23, v7
	v_add_co_ci_u32_e64 v10, s3, s11, v1, s3
	v_dual_mov_b32 v0, 0 :: v_dual_mov_b32 v13, v7
	v_mov_b32_e32 v17, v7
	v_mov_b32_e32 v15, v7
	;; [unrolled: 1-line block ×5, first 2 shown]
	s_xor_b32 s3, s2, -1
	s_branch .LBB297_3
.LBB297_2:                              ;   in Loop: Header=BB297_3 Depth=1
	s_or_b32 exec_lo, exec_lo, s2
	s_waitcnt lgkmcnt(0)
	s_barrier
	buffer_gl0_inv
	ds_load_b128 v[1:4], v31
	ds_load_b128 v[35:38], v30
	ds_load_b128 v[39:42], v30 offset:256
	ds_load_b128 v[43:46], v31 offset:2048
	;; [unrolled: 1-line block ×9, first 2 shown]
	v_add_co_u32 v5, s2, 0x80, v5
	s_delay_alu instid0(VALU_DEP_1) | instskip(SKIP_1) | instid1(VALU_DEP_1)
	v_add_co_ci_u32_e64 v6, s2, 0, v6, s2
	v_add_co_u32 v9, s2, 0x80, v9
	v_add_co_ci_u32_e64 v10, s2, 0, v10, s2
	s_add_i32 s14, s14, 8
	s_delay_alu instid0(SALU_CYCLE_1)
	s_cmp_ge_i32 s14, s17
	s_waitcnt lgkmcnt(9)
	v_mul_f64 v[75:76], v[3:4], v[37:38]
	v_mul_f64 v[77:78], v[1:2], v[37:38]
	s_waitcnt lgkmcnt(8)
	v_mul_f64 v[79:80], v[3:4], v[41:42]
	v_mul_f64 v[81:82], v[1:2], v[41:42]
	;; [unrolled: 3-line block ×3, first 2 shown]
	v_mul_f64 v[85:86], v[45:46], v[41:42]
	v_mul_f64 v[41:42], v[43:44], v[41:42]
	s_waitcnt lgkmcnt(4)
	v_mul_f64 v[87:88], v[49:50], v[57:58]
	v_mul_f64 v[89:90], v[47:48], v[57:58]
	s_waitcnt lgkmcnt(3)
	v_mul_f64 v[91:92], v[49:50], v[61:62]
	v_mul_f64 v[93:94], v[47:48], v[61:62]
	;; [unrolled: 1-line block ×6, first 2 shown]
	s_waitcnt lgkmcnt(0)
	v_mul_f64 v[115:116], v[73:74], v[65:66]
	v_mul_f64 v[117:118], v[73:74], v[69:70]
	v_fma_f64 v[99:100], v[1:2], v[35:36], -v[75:76]
	v_fma_f64 v[101:102], v[3:4], v[35:36], v[77:78]
	v_fma_f64 v[79:80], v[1:2], v[39:40], -v[79:80]
	v_fma_f64 v[81:82], v[3:4], v[39:40], v[81:82]
	;; [unrolled: 2-line block ×4, first 2 shown]
	ds_load_b128 v[75:78], v31 offset:32
	v_fma_f64 v[87:88], v[47:48], v[55:56], -v[87:88]
	v_fma_f64 v[89:90], v[49:50], v[55:56], v[89:90]
	v_fma_f64 v[47:48], v[47:48], v[59:60], -v[91:92]
	v_fma_f64 v[49:50], v[49:50], v[59:60], v[93:94]
	;; [unrolled: 2-line block ×4, first 2 shown]
	ds_load_b128 v[1:4], v31 offset:48
	ds_load_b128 v[35:38], v31 offset:2096
	;; [unrolled: 1-line block ×4, first 2 shown]
	s_waitcnt lgkmcnt(4)
	v_mul_f64 v[107:108], v[77:78], v[65:66]
	v_mul_f64 v[109:110], v[75:76], v[65:66]
	;; [unrolled: 1-line block ×6, first 2 shown]
	s_waitcnt lgkmcnt(1)
	v_mul_f64 v[93:94], v[1:2], v[41:42]
	s_waitcnt lgkmcnt(0)
	v_mul_f64 v[95:96], v[3:4], v[45:46]
	v_add_f64 v[23:24], v[23:24], v[99:100]
	v_add_f64 v[25:26], v[25:26], v[101:102]
	;; [unrolled: 1-line block ×8, first 2 shown]
	v_mul_f64 v[85:86], v[3:4], v[41:42]
	v_mul_f64 v[97:98], v[1:2], v[45:46]
	;; [unrolled: 1-line block ×6, first 2 shown]
	ds_load_b128 v[11:14], v30 offset:2048
	ds_load_b128 v[15:18], v30 offset:2304
	;; [unrolled: 1-line block ×3, first 2 shown]
	v_fma_f64 v[105:106], v[75:76], v[63:64], -v[107:108]
	v_fma_f64 v[107:108], v[77:78], v[63:64], v[109:110]
	v_fma_f64 v[75:76], v[75:76], v[67:68], -v[111:112]
	v_fma_f64 v[77:78], v[77:78], v[67:68], v[113:114]
	;; [unrolled: 2-line block ×4, first 2 shown]
	s_waitcnt lgkmcnt(0)
	v_mul_f64 v[115:116], v[21:22], v[13:14]
	v_mul_f64 v[117:118], v[21:22], v[17:18]
	v_add_f64 v[69:70], v[23:24], v[87:88]
	v_add_f64 v[71:72], v[25:26], v[89:90]
	;; [unrolled: 1-line block ×8, first 2 shown]
	ds_load_b128 v[23:26], v31 offset:64
	v_fma_f64 v[85:86], v[1:2], v[39:40], -v[85:86]
	v_fma_f64 v[93:94], v[3:4], v[39:40], v[93:94]
	v_fma_f64 v[95:96], v[1:2], v[43:44], -v[95:96]
	v_fma_f64 v[97:98], v[3:4], v[43:44], v[97:98]
	;; [unrolled: 2-line block ×4, first 2 shown]
	ds_load_b128 v[45:48], v31 offset:80
	ds_load_b128 v[49:52], v31 offset:2128
	;; [unrolled: 1-line block ×7, first 2 shown]
	s_waitcnt lgkmcnt(7)
	v_mul_f64 v[89:90], v[25:26], v[13:14]
	v_mul_f64 v[91:92], v[23:24], v[13:14]
	;; [unrolled: 1-line block ×6, first 2 shown]
	s_waitcnt lgkmcnt(3)
	v_mul_f64 v[103:104], v[51:52], v[59:60]
	v_add_f64 v[69:70], v[69:70], v[105:106]
	v_add_f64 v[71:72], v[71:72], v[107:108]
	;; [unrolled: 1-line block ×8, first 2 shown]
	v_mul_f64 v[77:78], v[47:48], v[55:56]
	v_mul_f64 v[79:80], v[45:46], v[55:56]
	;; [unrolled: 1-line block ×7, first 2 shown]
	v_fma_f64 v[89:90], v[23:24], v[11:12], -v[89:90]
	v_fma_f64 v[91:92], v[25:26], v[11:12], v[91:92]
	v_fma_f64 v[107:108], v[23:24], v[15:16], -v[111:112]
	v_fma_f64 v[109:110], v[25:26], v[15:16], v[113:114]
	;; [unrolled: 2-line block ×4, first 2 shown]
	ds_load_b128 v[11:14], v31 offset:96
	v_add_f64 v[69:70], v[69:70], v[85:86]
	v_add_f64 v[71:72], v[71:72], v[93:94]
	;; [unrolled: 1-line block ×8, first 2 shown]
	s_waitcnt lgkmcnt(1)
	v_mul_f64 v[99:100], v[41:42], v[3:4]
	v_mul_f64 v[101:102], v[41:42], v[37:38]
	v_fma_f64 v[77:78], v[45:46], v[53:54], -v[77:78]
	v_fma_f64 v[79:80], v[47:48], v[53:54], v[79:80]
	v_fma_f64 v[45:46], v[45:46], v[57:58], -v[81:82]
	v_fma_f64 v[47:48], v[47:48], v[57:58], v[83:84]
	;; [unrolled: 2-line block ×4, first 2 shown]
	s_waitcnt lgkmcnt(0)
	v_mul_f64 v[67:68], v[13:14], v[3:4]
	v_mul_f64 v[93:94], v[11:12], v[3:4]
	;; [unrolled: 1-line block ×6, first 2 shown]
	ds_load_b128 v[15:18], v31 offset:112
	ds_load_b128 v[19:22], v31 offset:2160
	;; [unrolled: 1-line block ×4, first 2 shown]
	s_waitcnt lgkmcnt(0)
	s_barrier
	buffer_gl0_inv
	v_add_f64 v[55:56], v[69:70], v[89:90]
	v_add_f64 v[57:58], v[71:72], v[91:92]
	;; [unrolled: 1-line block ×8, first 2 shown]
	v_mul_f64 v[75:76], v[17:18], v[25:26]
	v_mul_f64 v[83:84], v[15:16], v[25:26]
	v_mul_f64 v[85:86], v[17:18], v[61:62]
	v_mul_f64 v[87:88], v[15:16], v[61:62]
	v_mul_f64 v[89:90], v[21:22], v[25:26]
	v_mul_f64 v[25:26], v[19:20], v[25:26]
	v_mul_f64 v[91:92], v[21:22], v[61:62]
	v_mul_f64 v[61:62], v[19:20], v[61:62]
	v_fma_f64 v[67:68], v[11:12], v[1:2], -v[67:68]
	v_fma_f64 v[93:94], v[13:14], v[1:2], v[93:94]
	v_fma_f64 v[11:12], v[11:12], v[35:36], -v[95:96]
	v_fma_f64 v[13:14], v[13:14], v[35:36], v[97:98]
	;; [unrolled: 2-line block ×4, first 2 shown]
	v_add_f64 v[37:38], v[55:56], v[77:78]
	v_add_f64 v[39:40], v[57:58], v[79:80]
	;; [unrolled: 1-line block ×8, first 2 shown]
	v_fma_f64 v[51:52], v[15:16], v[23:24], -v[75:76]
	v_fma_f64 v[55:56], v[17:18], v[23:24], v[83:84]
	v_fma_f64 v[15:16], v[15:16], v[59:60], -v[85:86]
	v_fma_f64 v[17:18], v[17:18], v[59:60], v[87:88]
	;; [unrolled: 2-line block ×4, first 2 shown]
	v_add_f64 v[19:20], v[37:38], v[67:68]
	v_add_f64 v[21:22], v[39:40], v[93:94]
	;; [unrolled: 1-line block ×16, first 2 shown]
	s_cbranch_scc1 .LBB297_9
.LBB297_3:                              ; =>This Inner Loop Header: Depth=1
	v_add_nc_u32_e32 v1, s14, v32
	v_dual_mov_b32 v3, v7 :: v_dual_mov_b32 v4, v8
	s_delay_alu instid0(VALU_DEP_2) | instskip(SKIP_1) | instid1(VALU_DEP_2)
	v_cmp_gt_i32_e64 s2, s17, v1
	v_dual_mov_b32 v1, v7 :: v_dual_mov_b32 v2, v8
	s_and_b32 s8, vcc_lo, s2
	s_delay_alu instid0(SALU_CYCLE_1)
	s_and_saveexec_b32 s2, s8
	s_cbranch_execz .LBB297_5
; %bb.4:                                ;   in Loop: Header=BB297_3 Depth=1
	global_load_b128 v[1:4], v[5:6], off offset:-8
.LBB297_5:                              ;   in Loop: Header=BB297_3 Depth=1
	s_or_b32 exec_lo, exec_lo, s2
	v_add_nc_u32_e32 v35, s14, v29
	s_waitcnt vmcnt(0)
	ds_store_b128 v33, v[1:4]
	v_cmp_le_i32_e64 s2, s17, v35
	s_delay_alu instid0(VALU_DEP_1) | instskip(NEXT) | instid1(SALU_CYCLE_1)
	s_or_b32 s2, s2, s3
	s_and_saveexec_b32 s8, s2
	s_delay_alu instid0(SALU_CYCLE_1)
	s_xor_b32 s2, exec_lo, s8
	s_cbranch_execz .LBB297_7
; %bb.6:                                ;   in Loop: Header=BB297_3 Depth=1
	v_mov_b32_e32 v1, v0
	v_mov_b32_e32 v2, v0
	;; [unrolled: 1-line block ×3, first 2 shown]
	ds_store_b128 v34, v[0:3]
.LBB297_7:                              ;   in Loop: Header=BB297_3 Depth=1
	s_and_not1_saveexec_b32 s2, s2
	s_cbranch_execz .LBB297_2
; %bb.8:                                ;   in Loop: Header=BB297_3 Depth=1
	global_load_b128 v[1:4], v[9:10], off
	s_waitcnt vmcnt(0)
	ds_store_2addr_b64 v34, v[1:2], v[3:4] offset1:1
	s_branch .LBB297_2
.LBB297_9:
	s_clause 0x2
	s_load_b32 s2, s[0:1], 0x60
	s_load_b64 s[8:9], s[0:1], 0x68
	s_load_b64 s[10:11], s[0:1], 0x58
	v_add_nc_u32_e32 v4, s13, v28
	v_add_nc_u32_e32 v0, s12, v27
	s_delay_alu instid0(VALU_DEP_2)
	v_cmp_gt_i32_e32 vcc_lo, s16, v4
	s_waitcnt lgkmcnt(0)
	v_mad_i64_i32 v[1:2], null, v4, s2, 0
	s_mul_i32 s1, s15, s9
	s_mul_hi_u32 s3, s15, s8
	s_mul_i32 s0, s15, s8
	s_add_i32 s1, s3, s1
	s_delay_alu instid0(SALU_CYCLE_1) | instskip(NEXT) | instid1(VALU_DEP_1)
	s_lshl_b64 s[8:9], s[0:1], 4
	v_lshlrev_b64 v[1:2], 4, v[1:2]
	s_add_u32 s3, s10, s8
	v_cmp_le_i32_e64 s0, v0, v4
	s_addc_u32 s8, s11, s9
	s_delay_alu instid0(VALU_DEP_2) | instskip(NEXT) | instid1(VALU_DEP_1)
	v_add_co_u32 v5, s1, s3, v1
	v_add_co_ci_u32_e64 v6, s1, s8, v2, s1
	s_delay_alu instid0(VALU_DEP_3) | instskip(NEXT) | instid1(SALU_CYCLE_1)
	s_and_b32 s0, vcc_lo, s0
	s_and_saveexec_b32 s1, s0
	s_cbranch_execz .LBB297_11
; %bb.10:
	v_mul_f64 v[1:2], s[6:7], v[25:26]
	v_mul_f64 v[9:10], s[4:5], v[25:26]
	s_delay_alu instid0(VALU_DEP_2) | instskip(NEXT) | instid1(VALU_DEP_2)
	v_fma_f64 v[7:8], s[4:5], v[23:24], -v[1:2]
	v_fma_f64 v[9:10], s[6:7], v[23:24], v[9:10]
	v_ashrrev_i32_e32 v1, 31, v0
	s_delay_alu instid0(VALU_DEP_1) | instskip(NEXT) | instid1(VALU_DEP_1)
	v_lshlrev_b64 v[1:2], 4, v[0:1]
	v_add_co_u32 v1, s0, v5, v1
	s_delay_alu instid0(VALU_DEP_1)
	v_add_co_ci_u32_e64 v2, s0, v6, v2, s0
	global_store_b128 v[1:2], v[7:10], off
.LBB297_11:
	s_or_b32 exec_lo, exec_lo, s1
	v_add_nc_u32_e32 v2, 16, v0
	s_delay_alu instid0(VALU_DEP_1) | instskip(NEXT) | instid1(VALU_DEP_1)
	v_cmp_le_i32_e64 s0, v2, v4
	s_and_b32 s1, vcc_lo, s0
	s_delay_alu instid0(SALU_CYCLE_1)
	s_and_saveexec_b32 s0, s1
	s_cbranch_execz .LBB297_13
; %bb.12:
	v_mul_f64 v[7:8], s[6:7], v[21:22]
	v_mul_f64 v[9:10], s[4:5], v[21:22]
	v_ashrrev_i32_e32 v3, 31, v2
	s_delay_alu instid0(VALU_DEP_3) | instskip(NEXT) | instid1(VALU_DEP_3)
	v_fma_f64 v[7:8], s[4:5], v[19:20], -v[7:8]
	v_fma_f64 v[9:10], s[6:7], v[19:20], v[9:10]
	s_delay_alu instid0(VALU_DEP_3) | instskip(NEXT) | instid1(VALU_DEP_1)
	v_lshlrev_b64 v[19:20], 4, v[2:3]
	v_add_co_u32 v5, vcc_lo, v5, v19
	s_delay_alu instid0(VALU_DEP_2)
	v_add_co_ci_u32_e32 v6, vcc_lo, v6, v20, vcc_lo
	global_store_b128 v[5:6], v[7:10], off
.LBB297_13:
	s_or_b32 exec_lo, exec_lo, s0
	v_add_nc_u32_e32 v3, 16, v4
	s_delay_alu instid0(VALU_DEP_1) | instskip(SKIP_2) | instid1(VALU_DEP_1)
	v_mad_i64_i32 v[4:5], null, v3, s2, 0
	v_cmp_gt_i32_e32 vcc_lo, s16, v3
	v_cmp_le_i32_e64 s0, v0, v3
	s_and_b32 s0, vcc_lo, s0
	s_delay_alu instid0(VALU_DEP_3) | instskip(NEXT) | instid1(VALU_DEP_1)
	v_lshlrev_b64 v[4:5], 4, v[4:5]
	v_add_co_u32 v4, s1, s3, v4
	s_delay_alu instid0(VALU_DEP_1)
	v_add_co_ci_u32_e64 v5, s1, s8, v5, s1
	s_and_saveexec_b32 s1, s0
	s_cbranch_execz .LBB297_15
; %bb.14:
	v_mul_f64 v[6:7], s[6:7], v[17:18]
	v_mul_f64 v[8:9], s[4:5], v[17:18]
	v_ashrrev_i32_e32 v1, 31, v0
	s_delay_alu instid0(VALU_DEP_1) | instskip(NEXT) | instid1(VALU_DEP_1)
	v_lshlrev_b64 v[0:1], 4, v[0:1]
	v_add_co_u32 v0, s0, v4, v0
	s_delay_alu instid0(VALU_DEP_1)
	v_add_co_ci_u32_e64 v1, s0, v5, v1, s0
	v_fma_f64 v[6:7], s[4:5], v[15:16], -v[6:7]
	v_fma_f64 v[8:9], s[6:7], v[15:16], v[8:9]
	global_store_b128 v[0:1], v[6:9], off
.LBB297_15:
	s_or_b32 exec_lo, exec_lo, s1
	v_cmp_le_i32_e64 s0, v2, v3
	s_delay_alu instid0(VALU_DEP_1) | instskip(NEXT) | instid1(SALU_CYCLE_1)
	s_and_b32 s0, vcc_lo, s0
	s_and_saveexec_b32 s1, s0
	s_cbranch_execz .LBB297_17
; %bb.16:
	v_mul_f64 v[0:1], s[6:7], v[13:14]
	v_mul_f64 v[8:9], s[4:5], v[13:14]
	v_ashrrev_i32_e32 v3, 31, v2
	s_delay_alu instid0(VALU_DEP_3) | instskip(NEXT) | instid1(VALU_DEP_3)
	v_fma_f64 v[6:7], s[4:5], v[11:12], -v[0:1]
	v_fma_f64 v[8:9], s[6:7], v[11:12], v[8:9]
	s_delay_alu instid0(VALU_DEP_3) | instskip(NEXT) | instid1(VALU_DEP_1)
	v_lshlrev_b64 v[0:1], 4, v[2:3]
	v_add_co_u32 v0, vcc_lo, v4, v0
	s_delay_alu instid0(VALU_DEP_2)
	v_add_co_ci_u32_e32 v1, vcc_lo, v5, v1, vcc_lo
	global_store_b128 v[0:1], v[6:9], off
.LBB297_17:
	s_nop 0
	s_sendmsg sendmsg(MSG_DEALLOC_VGPRS)
	s_endpgm
	.section	.rodata,"a",@progbits
	.p2align	6, 0x0
	.amdhsa_kernel _ZL34rocblas_syrkx_herkx_general_kernelIi19rocblas_complex_numIdELi16ELi32ELi8ELb1ELb0ELc67ELc85EKS1_S1_EviT_T0_PT8_S3_lS6_S3_lS4_PT9_S3_li
		.amdhsa_group_segment_fixed_size 8192
		.amdhsa_private_segment_fixed_size 0
		.amdhsa_kernarg_size 116
		.amdhsa_user_sgpr_count 13
		.amdhsa_user_sgpr_dispatch_ptr 0
		.amdhsa_user_sgpr_queue_ptr 0
		.amdhsa_user_sgpr_kernarg_segment_ptr 1
		.amdhsa_user_sgpr_dispatch_id 0
		.amdhsa_user_sgpr_private_segment_size 0
		.amdhsa_wavefront_size32 1
		.amdhsa_uses_dynamic_stack 0
		.amdhsa_enable_private_segment 0
		.amdhsa_system_sgpr_workgroup_id_x 1
		.amdhsa_system_sgpr_workgroup_id_y 1
		.amdhsa_system_sgpr_workgroup_id_z 1
		.amdhsa_system_sgpr_workgroup_info 0
		.amdhsa_system_vgpr_workitem_id 1
		.amdhsa_next_free_vgpr 121
		.amdhsa_next_free_sgpr 23
		.amdhsa_reserve_vcc 1
		.amdhsa_float_round_mode_32 0
		.amdhsa_float_round_mode_16_64 0
		.amdhsa_float_denorm_mode_32 3
		.amdhsa_float_denorm_mode_16_64 3
		.amdhsa_dx10_clamp 1
		.amdhsa_ieee_mode 1
		.amdhsa_fp16_overflow 0
		.amdhsa_workgroup_processor_mode 1
		.amdhsa_memory_ordered 1
		.amdhsa_forward_progress 0
		.amdhsa_shared_vgpr_count 0
		.amdhsa_exception_fp_ieee_invalid_op 0
		.amdhsa_exception_fp_denorm_src 0
		.amdhsa_exception_fp_ieee_div_zero 0
		.amdhsa_exception_fp_ieee_overflow 0
		.amdhsa_exception_fp_ieee_underflow 0
		.amdhsa_exception_fp_ieee_inexact 0
		.amdhsa_exception_int_div_zero 0
	.end_amdhsa_kernel
	.section	.text._ZL34rocblas_syrkx_herkx_general_kernelIi19rocblas_complex_numIdELi16ELi32ELi8ELb1ELb0ELc67ELc85EKS1_S1_EviT_T0_PT8_S3_lS6_S3_lS4_PT9_S3_li,"axG",@progbits,_ZL34rocblas_syrkx_herkx_general_kernelIi19rocblas_complex_numIdELi16ELi32ELi8ELb1ELb0ELc67ELc85EKS1_S1_EviT_T0_PT8_S3_lS6_S3_lS4_PT9_S3_li,comdat
.Lfunc_end297:
	.size	_ZL34rocblas_syrkx_herkx_general_kernelIi19rocblas_complex_numIdELi16ELi32ELi8ELb1ELb0ELc67ELc85EKS1_S1_EviT_T0_PT8_S3_lS6_S3_lS4_PT9_S3_li, .Lfunc_end297-_ZL34rocblas_syrkx_herkx_general_kernelIi19rocblas_complex_numIdELi16ELi32ELi8ELb1ELb0ELc67ELc85EKS1_S1_EviT_T0_PT8_S3_lS6_S3_lS4_PT9_S3_li
                                        ; -- End function
	.section	.AMDGPU.csdata,"",@progbits
; Kernel info:
; codeLenInByte = 3280
; NumSgprs: 25
; NumVgprs: 121
; ScratchSize: 0
; MemoryBound: 1
; FloatMode: 240
; IeeeMode: 1
; LDSByteSize: 8192 bytes/workgroup (compile time only)
; SGPRBlocks: 3
; VGPRBlocks: 15
; NumSGPRsForWavesPerEU: 25
; NumVGPRsForWavesPerEU: 121
; Occupancy: 10
; WaveLimiterHint : 0
; COMPUTE_PGM_RSRC2:SCRATCH_EN: 0
; COMPUTE_PGM_RSRC2:USER_SGPR: 13
; COMPUTE_PGM_RSRC2:TRAP_HANDLER: 0
; COMPUTE_PGM_RSRC2:TGID_X_EN: 1
; COMPUTE_PGM_RSRC2:TGID_Y_EN: 1
; COMPUTE_PGM_RSRC2:TGID_Z_EN: 1
; COMPUTE_PGM_RSRC2:TIDIG_COMP_CNT: 1
	.section	.text._ZL34rocblas_syrkx_herkx_general_kernelIi19rocblas_complex_numIdELi16ELi32ELi8ELb1ELb0ELc78ELc85EKS1_S1_EviT_T0_PT8_S3_lS6_S3_lS4_PT9_S3_li,"axG",@progbits,_ZL34rocblas_syrkx_herkx_general_kernelIi19rocblas_complex_numIdELi16ELi32ELi8ELb1ELb0ELc78ELc85EKS1_S1_EviT_T0_PT8_S3_lS6_S3_lS4_PT9_S3_li,comdat
	.globl	_ZL34rocblas_syrkx_herkx_general_kernelIi19rocblas_complex_numIdELi16ELi32ELi8ELb1ELb0ELc78ELc85EKS1_S1_EviT_T0_PT8_S3_lS6_S3_lS4_PT9_S3_li ; -- Begin function _ZL34rocblas_syrkx_herkx_general_kernelIi19rocblas_complex_numIdELi16ELi32ELi8ELb1ELb0ELc78ELc85EKS1_S1_EviT_T0_PT8_S3_lS6_S3_lS4_PT9_S3_li
	.p2align	8
	.type	_ZL34rocblas_syrkx_herkx_general_kernelIi19rocblas_complex_numIdELi16ELi32ELi8ELb1ELb0ELc78ELc85EKS1_S1_EviT_T0_PT8_S3_lS6_S3_lS4_PT9_S3_li,@function
_ZL34rocblas_syrkx_herkx_general_kernelIi19rocblas_complex_numIdELi16ELi32ELi8ELb1ELb0ELc78ELc85EKS1_S1_EviT_T0_PT8_S3_lS6_S3_lS4_PT9_S3_li: ; @_ZL34rocblas_syrkx_herkx_general_kernelIi19rocblas_complex_numIdELi16ELi32ELi8ELb1ELb0ELc78ELc85EKS1_S1_EviT_T0_PT8_S3_lS6_S3_lS4_PT9_S3_li
; %bb.0:
	s_clause 0x2
	s_load_b64 s[16:17], s[0:1], 0x0
	s_load_b128 s[4:7], s[0:1], 0x8
	s_load_b64 s[18:19], s[0:1], 0x18
	v_mov_b32_e32 v21, 0
	v_dual_mov_b32 v22, 0 :: v_dual_and_b32 v25, 0x3ff, v0
	v_bfe_u32 v26, v0, 10, 10
	s_delay_alu instid0(VALU_DEP_3) | instskip(NEXT) | instid1(VALU_DEP_3)
	v_mov_b32_e32 v17, v21
	v_dual_mov_b32 v19, v21 :: v_dual_mov_b32 v20, v22
	v_dual_mov_b32 v24, v22 :: v_dual_mov_b32 v23, v21
	;; [unrolled: 1-line block ×6, first 2 shown]
	v_mov_b32_e32 v10, v22
	s_lshl_b32 s22, s13, 5
	s_lshl_b32 s14, s14, 5
	s_waitcnt lgkmcnt(0)
	s_cmp_lt_i32 s17, 1
	s_mov_b32 s23, 0
	s_cbranch_scc1 .LBB298_9
; %bb.1:
	s_clause 0x1
	s_load_b32 s12, s[0:1], 0x38
	s_load_b32 s20, s[0:1], 0x20
	v_lshl_add_u32 v0, v26, 4, v25
	s_clause 0x1
	s_load_b128 s[8:11], s[0:1], 0x28
	s_load_b64 s[24:25], s[0:1], 0x40
	v_and_b32_e32 v27, 7, v25
	v_lshl_add_u32 v32, v26, 7, 0x1000
	v_and_b32_e32 v4, 31, v0
	v_lshrrev_b32_e32 v1, 3, v0
	v_lshrrev_b32_e32 v28, 5, v0
	v_lshlrev_b32_e32 v2, 4, v27
	s_delay_alu instid0(VALU_DEP_4) | instskip(NEXT) | instid1(VALU_DEP_4)
	v_or_b32_e32 v3, s22, v4
	v_add_nc_u32_e32 v0, s14, v1
	v_lshlrev_b32_e32 v5, 4, v4
	s_delay_alu instid0(VALU_DEP_4) | instskip(SKIP_2) | instid1(VALU_DEP_4)
	v_lshl_or_b32 v1, v1, 7, v2
	v_add_nc_u32_e32 v4, s22, v4
	v_cmp_gt_i32_e64 s2, s16, v3
	v_lshl_or_b32 v29, v28, 9, v5
	s_waitcnt lgkmcnt(0)
	v_mad_i64_i32 v[6:7], null, s12, v27, 0
	v_mad_i64_i32 v[2:3], null, v28, s20, 0
	s_mul_i32 s3, s9, s15
	s_mul_hi_u32 s9, s8, s15
	s_mul_i32 s8, s8, s15
	s_add_i32 s9, s9, s3
	v_ashrrev_i32_e32 v5, 31, v4
	s_lshl_b64 s[8:9], s[8:9], 4
	s_delay_alu instid0(VALU_DEP_2) | instskip(SKIP_3) | instid1(VALU_DEP_2)
	v_lshlrev_b64 v[2:3], 4, v[2:3]
	s_ashr_i32 s21, s20, 31
	s_ashr_i32 s13, s12, 31
	v_lshlrev_b64 v[4:5], 4, v[4:5]
	v_add_co_u32 v8, s3, v2, s8
	s_delay_alu instid0(VALU_DEP_1)
	v_add_co_ci_u32_e64 v9, s3, s9, v3, s3
	s_mul_i32 s3, s25, s15
	s_mul_hi_u32 s8, s24, s15
	v_lshlrev_b64 v[2:3], 4, v[6:7]
	s_add_i32 s9, s8, s3
	s_mul_i32 s8, s24, s15
	s_delay_alu instid0(SALU_CYCLE_1)
	s_lshl_b64 s[8:9], s[8:9], 4
	s_delay_alu instid0(VALU_DEP_1) | instid1(SALU_CYCLE_1)
	v_add_co_u32 v2, s3, s8, v2
	s_delay_alu instid0(VALU_DEP_1) | instskip(SKIP_1) | instid1(VALU_DEP_1)
	v_add_co_ci_u32_e64 v3, s3, s9, v3, s3
	v_add_co_u32 v4, s3, v8, v4
	v_add_co_ci_u32_e64 v6, s3, v9, v5, s3
	v_mov_b32_e32 v9, 0
	v_mov_b32_e32 v10, 0
	v_add_nc_u32_e32 v30, 0x1000, v1
	v_lshlrev_b32_e32 v31, 4, v25
	s_lshl_b64 s[8:9], s[20:21], 7
	s_delay_alu instid0(VALU_DEP_3)
	v_mov_b32_e32 v12, v10
	v_dual_mov_b32 v16, v10 :: v_dual_mov_b32 v15, v9
	v_ashrrev_i32_e32 v1, 31, v0
	v_cmp_gt_i32_e32 vcc_lo, s16, v0
	v_mov_b32_e32 v14, v10
	v_mov_b32_e32 v20, v10
	;; [unrolled: 1-line block ×3, first 2 shown]
	v_lshlrev_b64 v[0:1], 4, v[0:1]
	v_mov_b32_e32 v24, v10
	v_dual_mov_b32 v22, v10 :: v_dual_mov_b32 v21, v9
	v_mov_b32_e32 v11, v9
	v_mov_b32_e32 v13, v9
	v_add_co_u32 v0, s3, v2, v0
	s_delay_alu instid0(VALU_DEP_1) | instskip(SKIP_1) | instid1(VALU_DEP_1)
	v_add_co_ci_u32_e64 v1, s3, v3, v1, s3
	v_add_co_u32 v5, s3, s18, v4
	v_add_co_ci_u32_e64 v6, s3, s19, v6, s3
	s_delay_alu instid0(VALU_DEP_4) | instskip(NEXT) | instid1(VALU_DEP_1)
	v_add_co_u32 v0, s3, v0, s10
	v_add_co_ci_u32_e64 v1, s3, s11, v1, s3
	v_mov_b32_e32 v19, v9
	s_delay_alu instid0(VALU_DEP_3) | instskip(NEXT) | instid1(VALU_DEP_1)
	v_add_co_u32 v7, s3, v0, 8
	v_add_co_ci_u32_e64 v8, s3, 0, v1, s3
	v_dual_mov_b32 v0, 0 :: v_dual_mov_b32 v17, v9
	v_mov_b32_e32 v23, v9
	s_lshl_b64 s[10:11], s[12:13], 7
	s_xor_b32 s3, s2, -1
	s_branch .LBB298_3
.LBB298_2:                              ;   in Loop: Header=BB298_3 Depth=1
	s_or_b32 exec_lo, exec_lo, s2
	s_waitcnt vmcnt(0)
	ds_store_b128 v30, v[1:4]
	s_waitcnt lgkmcnt(0)
	s_barrier
	buffer_gl0_inv
	ds_load_b128 v[1:4], v32
	ds_load_b128 v[33:36], v31
	ds_load_b128 v[37:40], v31 offset:256
	ds_load_b128 v[41:44], v32 offset:2048
	;; [unrolled: 1-line block ×9, first 2 shown]
	v_add_co_u32 v5, s2, v5, s8
	s_delay_alu instid0(VALU_DEP_1) | instskip(SKIP_1) | instid1(VALU_DEP_1)
	v_add_co_ci_u32_e64 v6, s2, s9, v6, s2
	v_add_co_u32 v7, s2, v7, s10
	v_add_co_ci_u32_e64 v8, s2, s11, v8, s2
	s_add_i32 s23, s23, 8
	s_delay_alu instid0(SALU_CYCLE_1)
	s_cmp_ge_i32 s23, s17
	s_waitcnt lgkmcnt(9)
	v_mul_f64 v[73:74], v[3:4], v[35:36]
	v_mul_f64 v[75:76], v[1:2], v[35:36]
	s_waitcnt lgkmcnt(8)
	v_mul_f64 v[77:78], v[3:4], v[39:40]
	v_mul_f64 v[79:80], v[1:2], v[39:40]
	;; [unrolled: 3-line block ×3, first 2 shown]
	v_mul_f64 v[83:84], v[43:44], v[39:40]
	v_mul_f64 v[39:40], v[41:42], v[39:40]
	s_waitcnt lgkmcnt(4)
	v_mul_f64 v[85:86], v[47:48], v[55:56]
	v_mul_f64 v[87:88], v[45:46], v[55:56]
	s_waitcnt lgkmcnt(3)
	v_mul_f64 v[89:90], v[47:48], v[59:60]
	v_mul_f64 v[91:92], v[45:46], v[59:60]
	;; [unrolled: 1-line block ×6, first 2 shown]
	v_fma_f64 v[97:98], v[1:2], v[33:34], -v[73:74]
	v_fma_f64 v[99:100], v[3:4], v[33:34], v[75:76]
	ds_load_b128 v[73:76], v32 offset:32
	v_fma_f64 v[77:78], v[1:2], v[37:38], -v[77:78]
	v_fma_f64 v[79:80], v[3:4], v[37:38], v[79:80]
	v_fma_f64 v[81:82], v[41:42], v[33:34], -v[81:82]
	v_fma_f64 v[101:102], v[43:44], v[33:34], v[35:36]
	;; [unrolled: 2-line block ×3, first 2 shown]
	s_waitcnt lgkmcnt(1)
	v_mul_f64 v[113:114], v[71:72], v[63:64]
	v_fma_f64 v[85:86], v[45:46], v[53:54], -v[85:86]
	v_fma_f64 v[87:88], v[47:48], v[53:54], v[87:88]
	v_fma_f64 v[45:46], v[45:46], v[57:58], -v[89:90]
	v_fma_f64 v[47:48], v[47:48], v[57:58], v[91:92]
	v_mul_f64 v[89:90], v[71:72], v[67:68]
	v_fma_f64 v[91:92], v[49:50], v[53:54], -v[93:94]
	v_fma_f64 v[53:54], v[51:52], v[53:54], v[55:56]
	v_fma_f64 v[49:50], v[49:50], v[57:58], -v[95:96]
	v_fma_f64 v[51:52], v[51:52], v[57:58], v[59:60]
	ds_load_b128 v[1:4], v32 offset:48
	ds_load_b128 v[33:36], v32 offset:2096
	;; [unrolled: 1-line block ×4, first 2 shown]
	s_waitcnt lgkmcnt(4)
	v_mul_f64 v[105:106], v[75:76], v[63:64]
	v_mul_f64 v[107:108], v[73:74], v[63:64]
	;; [unrolled: 1-line block ×6, first 2 shown]
	s_waitcnt lgkmcnt(1)
	v_mul_f64 v[93:94], v[1:2], v[39:40]
	v_add_f64 v[21:22], v[21:22], v[97:98]
	v_add_f64 v[23:24], v[23:24], v[99:100]
	;; [unrolled: 1-line block ×8, first 2 shown]
	v_mul_f64 v[83:84], v[3:4], v[39:40]
	s_waitcnt lgkmcnt(0)
	v_mul_f64 v[95:96], v[3:4], v[43:44]
	v_mul_f64 v[97:98], v[1:2], v[43:44]
	;; [unrolled: 1-line block ×6, first 2 shown]
	ds_load_b128 v[9:12], v31 offset:2048
	ds_load_b128 v[13:16], v31 offset:2304
	;; [unrolled: 1-line block ×3, first 2 shown]
	v_fma_f64 v[105:106], v[73:74], v[61:62], -v[105:106]
	v_fma_f64 v[107:108], v[75:76], v[61:62], v[107:108]
	v_fma_f64 v[73:74], v[73:74], v[65:66], -v[109:110]
	v_fma_f64 v[75:76], v[75:76], v[65:66], v[111:112]
	;; [unrolled: 2-line block ×4, first 2 shown]
	s_waitcnt lgkmcnt(0)
	v_mul_f64 v[113:114], v[19:20], v[11:12]
	v_mul_f64 v[115:116], v[19:20], v[15:16]
	v_fma_f64 v[93:94], v[3:4], v[37:38], v[93:94]
	v_add_f64 v[67:68], v[21:22], v[85:86]
	v_add_f64 v[69:70], v[23:24], v[87:88]
	;; [unrolled: 1-line block ×8, first 2 shown]
	ds_load_b128 v[21:24], v32 offset:64
	v_fma_f64 v[83:84], v[1:2], v[37:38], -v[83:84]
	v_fma_f64 v[95:96], v[1:2], v[41:42], -v[95:96]
	v_fma_f64 v[97:98], v[3:4], v[41:42], v[97:98]
	v_fma_f64 v[99:100], v[33:34], v[37:38], -v[99:100]
	v_fma_f64 v[117:118], v[35:36], v[37:38], v[39:40]
	;; [unrolled: 2-line block ×3, first 2 shown]
	ds_load_b128 v[43:46], v32 offset:80
	ds_load_b128 v[47:50], v32 offset:2128
	ds_load_b128 v[51:54], v31 offset:2560
	ds_load_b128 v[55:58], v31 offset:2816
	ds_load_b128 v[1:4], v31 offset:3072
	ds_load_b128 v[33:36], v31 offset:3328
	ds_load_b128 v[37:40], v32 offset:2144
	s_waitcnt lgkmcnt(7)
	v_mul_f64 v[87:88], v[23:24], v[11:12]
	v_mul_f64 v[89:90], v[21:22], v[11:12]
	;; [unrolled: 1-line block ×6, first 2 shown]
	s_waitcnt lgkmcnt(3)
	v_mul_f64 v[103:104], v[49:50], v[57:58]
	v_add_f64 v[67:68], v[67:68], v[105:106]
	v_add_f64 v[69:70], v[69:70], v[107:108]
	;; [unrolled: 1-line block ×8, first 2 shown]
	v_mul_f64 v[75:76], v[45:46], v[53:54]
	v_mul_f64 v[77:78], v[43:44], v[53:54]
	v_mul_f64 v[79:80], v[45:46], v[57:58]
	v_mul_f64 v[81:82], v[43:44], v[57:58]
	v_mul_f64 v[85:86], v[49:50], v[53:54]
	v_mul_f64 v[53:54], v[47:48], v[53:54]
	v_mul_f64 v[105:106], v[47:48], v[57:58]
	v_fma_f64 v[109:110], v[17:18], v[9:10], -v[113:114]
	v_fma_f64 v[113:114], v[17:18], v[13:14], -v[115:116]
	;; [unrolled: 1-line block ×3, first 2 shown]
	v_fma_f64 v[89:90], v[23:24], v[9:10], v[89:90]
	v_fma_f64 v[91:92], v[21:22], v[13:14], -v[91:92]
	v_fma_f64 v[107:108], v[23:24], v[13:14], v[111:112]
	v_fma_f64 v[111:112], v[19:20], v[9:10], v[11:12]
	;; [unrolled: 1-line block ×3, first 2 shown]
	ds_load_b128 v[9:12], v32 offset:96
	v_add_f64 v[67:68], v[67:68], v[83:84]
	v_add_f64 v[69:70], v[69:70], v[93:94]
	;; [unrolled: 1-line block ×8, first 2 shown]
	s_waitcnt lgkmcnt(1)
	v_mul_f64 v[99:100], v[39:40], v[3:4]
	v_fma_f64 v[75:76], v[43:44], v[51:52], -v[75:76]
	v_fma_f64 v[77:78], v[45:46], v[51:52], v[77:78]
	v_fma_f64 v[43:44], v[43:44], v[55:56], -v[79:80]
	v_fma_f64 v[45:46], v[45:46], v[55:56], v[81:82]
	v_mul_f64 v[79:80], v[39:40], v[35:36]
	v_fma_f64 v[81:82], v[47:48], v[51:52], -v[85:86]
	v_fma_f64 v[51:52], v[49:50], v[51:52], v[53:54]
	s_waitcnt lgkmcnt(0)
	v_mul_f64 v[65:66], v[11:12], v[3:4]
	v_mul_f64 v[93:94], v[9:10], v[3:4]
	;; [unrolled: 1-line block ×6, first 2 shown]
	v_fma_f64 v[47:48], v[47:48], v[55:56], -v[103:104]
	v_fma_f64 v[49:50], v[49:50], v[55:56], v[105:106]
	ds_load_b128 v[13:16], v32 offset:112
	ds_load_b128 v[17:20], v32 offset:2160
	;; [unrolled: 1-line block ×4, first 2 shown]
	s_waitcnt lgkmcnt(0)
	s_barrier
	buffer_gl0_inv
	v_add_f64 v[53:54], v[67:68], v[87:88]
	v_add_f64 v[55:56], v[69:70], v[89:90]
	;; [unrolled: 1-line block ×8, first 2 shown]
	v_mul_f64 v[73:74], v[15:16], v[23:24]
	v_mul_f64 v[83:84], v[13:14], v[23:24]
	;; [unrolled: 1-line block ×8, first 2 shown]
	v_fma_f64 v[65:66], v[9:10], v[1:2], -v[65:66]
	v_fma_f64 v[93:94], v[11:12], v[1:2], v[93:94]
	v_fma_f64 v[9:10], v[9:10], v[33:34], -v[95:96]
	v_fma_f64 v[11:12], v[11:12], v[33:34], v[97:98]
	;; [unrolled: 2-line block ×4, first 2 shown]
	v_add_f64 v[35:36], v[53:54], v[75:76]
	v_add_f64 v[37:38], v[55:56], v[77:78]
	;; [unrolled: 1-line block ×8, first 2 shown]
	v_fma_f64 v[49:50], v[13:14], v[21:22], -v[73:74]
	v_fma_f64 v[53:54], v[15:16], v[21:22], v[83:84]
	v_fma_f64 v[13:14], v[13:14], v[57:58], -v[85:86]
	v_fma_f64 v[15:16], v[15:16], v[57:58], v[87:88]
	;; [unrolled: 2-line block ×4, first 2 shown]
	v_add_f64 v[17:18], v[35:36], v[65:66]
	v_add_f64 v[19:20], v[37:38], v[93:94]
	;; [unrolled: 1-line block ×16, first 2 shown]
	s_cbranch_scc1 .LBB298_9
.LBB298_3:                              ; =>This Inner Loop Header: Depth=1
	v_add_nc_u32_e32 v1, s23, v28
	s_delay_alu instid0(VALU_DEP_1) | instskip(NEXT) | instid1(VALU_DEP_1)
	v_cmp_le_i32_e64 s2, s17, v1
	s_or_b32 s2, s3, s2
	s_delay_alu instid0(SALU_CYCLE_1) | instskip(NEXT) | instid1(SALU_CYCLE_1)
	s_and_saveexec_b32 s12, s2
	s_xor_b32 s2, exec_lo, s12
	s_cbranch_execz .LBB298_5
; %bb.4:                                ;   in Loop: Header=BB298_3 Depth=1
	v_mov_b32_e32 v1, v0
	v_mov_b32_e32 v2, v0
	v_mov_b32_e32 v3, v0
	ds_store_b128 v29, v[0:3]
.LBB298_5:                              ;   in Loop: Header=BB298_3 Depth=1
	s_and_not1_saveexec_b32 s2, s2
	s_cbranch_execz .LBB298_7
; %bb.6:                                ;   in Loop: Header=BB298_3 Depth=1
	global_load_b128 v[1:4], v[5:6], off
	s_waitcnt vmcnt(0)
	ds_store_2addr_b64 v29, v[1:2], v[3:4] offset1:1
.LBB298_7:                              ;   in Loop: Header=BB298_3 Depth=1
	s_or_b32 exec_lo, exec_lo, s2
	v_add_nc_u32_e32 v3, s23, v27
	v_mov_b32_e32 v1, 0
	v_mov_b32_e32 v2, 0
	s_delay_alu instid0(VALU_DEP_3) | instskip(NEXT) | instid1(VALU_DEP_2)
	v_cmp_gt_i32_e64 s2, s17, v3
	v_dual_mov_b32 v4, v2 :: v_dual_mov_b32 v3, v1
	s_delay_alu instid0(VALU_DEP_2) | instskip(NEXT) | instid1(SALU_CYCLE_1)
	s_and_b32 s12, s2, vcc_lo
	s_and_saveexec_b32 s2, s12
	s_cbranch_execz .LBB298_2
; %bb.8:                                ;   in Loop: Header=BB298_3 Depth=1
	global_load_b128 v[1:4], v[7:8], off offset:-8
	s_branch .LBB298_2
.LBB298_9:
	s_clause 0x2
	s_load_b32 s2, s[0:1], 0x60
	s_load_b64 s[8:9], s[0:1], 0x68
	s_load_b64 s[10:11], s[0:1], 0x58
	v_add_nc_u32_e32 v4, s14, v26
	v_add_nc_u32_e32 v0, s22, v25
	s_delay_alu instid0(VALU_DEP_2)
	v_cmp_gt_i32_e32 vcc_lo, s16, v4
	s_waitcnt lgkmcnt(0)
	v_mad_i64_i32 v[1:2], null, v4, s2, 0
	s_mul_i32 s1, s15, s9
	s_mul_hi_u32 s3, s15, s8
	s_mul_i32 s0, s15, s8
	s_add_i32 s1, s3, s1
	s_delay_alu instid0(SALU_CYCLE_1) | instskip(NEXT) | instid1(VALU_DEP_1)
	s_lshl_b64 s[8:9], s[0:1], 4
	v_lshlrev_b64 v[1:2], 4, v[1:2]
	s_add_u32 s3, s10, s8
	v_cmp_le_i32_e64 s0, v0, v4
	s_addc_u32 s8, s11, s9
	s_delay_alu instid0(VALU_DEP_2) | instskip(NEXT) | instid1(VALU_DEP_1)
	v_add_co_u32 v5, s1, s3, v1
	v_add_co_ci_u32_e64 v6, s1, s8, v2, s1
	s_delay_alu instid0(VALU_DEP_3) | instskip(NEXT) | instid1(SALU_CYCLE_1)
	s_and_b32 s0, vcc_lo, s0
	s_and_saveexec_b32 s1, s0
	s_cbranch_execz .LBB298_11
; %bb.10:
	v_mul_f64 v[1:2], s[6:7], v[23:24]
	v_mul_f64 v[7:8], s[4:5], v[23:24]
	s_delay_alu instid0(VALU_DEP_2) | instskip(NEXT) | instid1(VALU_DEP_2)
	v_fma_f64 v[23:24], s[4:5], v[21:22], -v[1:2]
	v_fma_f64 v[25:26], s[6:7], v[21:22], v[7:8]
	v_ashrrev_i32_e32 v1, 31, v0
	s_delay_alu instid0(VALU_DEP_1) | instskip(NEXT) | instid1(VALU_DEP_1)
	v_lshlrev_b64 v[1:2], 4, v[0:1]
	v_add_co_u32 v1, s0, v5, v1
	s_delay_alu instid0(VALU_DEP_1)
	v_add_co_ci_u32_e64 v2, s0, v6, v2, s0
	global_store_b128 v[1:2], v[23:26], off
.LBB298_11:
	s_or_b32 exec_lo, exec_lo, s1
	v_add_nc_u32_e32 v2, 16, v0
	s_delay_alu instid0(VALU_DEP_1) | instskip(NEXT) | instid1(VALU_DEP_1)
	v_cmp_le_i32_e64 s0, v2, v4
	s_and_b32 s1, vcc_lo, s0
	s_delay_alu instid0(SALU_CYCLE_1)
	s_and_saveexec_b32 s0, s1
	s_cbranch_execz .LBB298_13
; %bb.12:
	v_mul_f64 v[7:8], s[6:7], v[19:20]
	v_mul_f64 v[21:22], s[4:5], v[19:20]
	v_ashrrev_i32_e32 v3, 31, v2
	s_delay_alu instid0(VALU_DEP_3) | instskip(NEXT) | instid1(VALU_DEP_3)
	v_fma_f64 v[19:20], s[4:5], v[17:18], -v[7:8]
	v_fma_f64 v[21:22], s[6:7], v[17:18], v[21:22]
	s_delay_alu instid0(VALU_DEP_3) | instskip(NEXT) | instid1(VALU_DEP_1)
	v_lshlrev_b64 v[7:8], 4, v[2:3]
	v_add_co_u32 v5, vcc_lo, v5, v7
	s_delay_alu instid0(VALU_DEP_2)
	v_add_co_ci_u32_e32 v6, vcc_lo, v6, v8, vcc_lo
	global_store_b128 v[5:6], v[19:22], off
.LBB298_13:
	s_or_b32 exec_lo, exec_lo, s0
	v_add_nc_u32_e32 v3, 16, v4
	s_delay_alu instid0(VALU_DEP_1) | instskip(SKIP_2) | instid1(VALU_DEP_1)
	v_mad_i64_i32 v[4:5], null, v3, s2, 0
	v_cmp_gt_i32_e32 vcc_lo, s16, v3
	v_cmp_le_i32_e64 s0, v0, v3
	s_and_b32 s0, vcc_lo, s0
	s_delay_alu instid0(VALU_DEP_3) | instskip(NEXT) | instid1(VALU_DEP_1)
	v_lshlrev_b64 v[4:5], 4, v[4:5]
	v_add_co_u32 v4, s1, s3, v4
	s_delay_alu instid0(VALU_DEP_1)
	v_add_co_ci_u32_e64 v5, s1, s8, v5, s1
	s_and_saveexec_b32 s1, s0
	s_cbranch_execz .LBB298_15
; %bb.14:
	v_mul_f64 v[6:7], s[6:7], v[15:16]
	v_mul_f64 v[17:18], s[4:5], v[15:16]
	v_ashrrev_i32_e32 v1, 31, v0
	s_delay_alu instid0(VALU_DEP_1) | instskip(NEXT) | instid1(VALU_DEP_1)
	v_lshlrev_b64 v[0:1], 4, v[0:1]
	v_add_co_u32 v0, s0, v4, v0
	s_delay_alu instid0(VALU_DEP_1)
	v_add_co_ci_u32_e64 v1, s0, v5, v1, s0
	v_fma_f64 v[15:16], s[4:5], v[13:14], -v[6:7]
	v_fma_f64 v[17:18], s[6:7], v[13:14], v[17:18]
	global_store_b128 v[0:1], v[15:18], off
.LBB298_15:
	s_or_b32 exec_lo, exec_lo, s1
	v_cmp_le_i32_e64 s0, v2, v3
	s_delay_alu instid0(VALU_DEP_1) | instskip(NEXT) | instid1(SALU_CYCLE_1)
	s_and_b32 s0, vcc_lo, s0
	s_and_saveexec_b32 s1, s0
	s_cbranch_execz .LBB298_17
; %bb.16:
	v_mul_f64 v[0:1], s[6:7], v[9:10]
	v_mul_f64 v[8:9], s[4:5], v[9:10]
	v_ashrrev_i32_e32 v3, 31, v2
	s_delay_alu instid0(VALU_DEP_3) | instskip(NEXT) | instid1(VALU_DEP_3)
	v_fma_f64 v[6:7], s[4:5], v[11:12], -v[0:1]
	v_fma_f64 v[8:9], s[6:7], v[11:12], v[8:9]
	s_delay_alu instid0(VALU_DEP_3) | instskip(NEXT) | instid1(VALU_DEP_1)
	v_lshlrev_b64 v[0:1], 4, v[2:3]
	v_add_co_u32 v0, vcc_lo, v4, v0
	s_delay_alu instid0(VALU_DEP_2)
	v_add_co_ci_u32_e32 v1, vcc_lo, v5, v1, vcc_lo
	global_store_b128 v[0:1], v[6:9], off
.LBB298_17:
	s_nop 0
	s_sendmsg sendmsg(MSG_DEALLOC_VGPRS)
	s_endpgm
	.section	.rodata,"a",@progbits
	.p2align	6, 0x0
	.amdhsa_kernel _ZL34rocblas_syrkx_herkx_general_kernelIi19rocblas_complex_numIdELi16ELi32ELi8ELb1ELb0ELc78ELc85EKS1_S1_EviT_T0_PT8_S3_lS6_S3_lS4_PT9_S3_li
		.amdhsa_group_segment_fixed_size 8192
		.amdhsa_private_segment_fixed_size 0
		.amdhsa_kernarg_size 116
		.amdhsa_user_sgpr_count 13
		.amdhsa_user_sgpr_dispatch_ptr 0
		.amdhsa_user_sgpr_queue_ptr 0
		.amdhsa_user_sgpr_kernarg_segment_ptr 1
		.amdhsa_user_sgpr_dispatch_id 0
		.amdhsa_user_sgpr_private_segment_size 0
		.amdhsa_wavefront_size32 1
		.amdhsa_uses_dynamic_stack 0
		.amdhsa_enable_private_segment 0
		.amdhsa_system_sgpr_workgroup_id_x 1
		.amdhsa_system_sgpr_workgroup_id_y 1
		.amdhsa_system_sgpr_workgroup_id_z 1
		.amdhsa_system_sgpr_workgroup_info 0
		.amdhsa_system_vgpr_workitem_id 1
		.amdhsa_next_free_vgpr 119
		.amdhsa_next_free_sgpr 26
		.amdhsa_reserve_vcc 1
		.amdhsa_float_round_mode_32 0
		.amdhsa_float_round_mode_16_64 0
		.amdhsa_float_denorm_mode_32 3
		.amdhsa_float_denorm_mode_16_64 3
		.amdhsa_dx10_clamp 1
		.amdhsa_ieee_mode 1
		.amdhsa_fp16_overflow 0
		.amdhsa_workgroup_processor_mode 1
		.amdhsa_memory_ordered 1
		.amdhsa_forward_progress 0
		.amdhsa_shared_vgpr_count 0
		.amdhsa_exception_fp_ieee_invalid_op 0
		.amdhsa_exception_fp_denorm_src 0
		.amdhsa_exception_fp_ieee_div_zero 0
		.amdhsa_exception_fp_ieee_overflow 0
		.amdhsa_exception_fp_ieee_underflow 0
		.amdhsa_exception_fp_ieee_inexact 0
		.amdhsa_exception_int_div_zero 0
	.end_amdhsa_kernel
	.section	.text._ZL34rocblas_syrkx_herkx_general_kernelIi19rocblas_complex_numIdELi16ELi32ELi8ELb1ELb0ELc78ELc85EKS1_S1_EviT_T0_PT8_S3_lS6_S3_lS4_PT9_S3_li,"axG",@progbits,_ZL34rocblas_syrkx_herkx_general_kernelIi19rocblas_complex_numIdELi16ELi32ELi8ELb1ELb0ELc78ELc85EKS1_S1_EviT_T0_PT8_S3_lS6_S3_lS4_PT9_S3_li,comdat
.Lfunc_end298:
	.size	_ZL34rocblas_syrkx_herkx_general_kernelIi19rocblas_complex_numIdELi16ELi32ELi8ELb1ELb0ELc78ELc85EKS1_S1_EviT_T0_PT8_S3_lS6_S3_lS4_PT9_S3_li, .Lfunc_end298-_ZL34rocblas_syrkx_herkx_general_kernelIi19rocblas_complex_numIdELi16ELi32ELi8ELb1ELb0ELc78ELc85EKS1_S1_EviT_T0_PT8_S3_lS6_S3_lS4_PT9_S3_li
                                        ; -- End function
	.section	.AMDGPU.csdata,"",@progbits
; Kernel info:
; codeLenInByte = 3316
; NumSgprs: 28
; NumVgprs: 119
; ScratchSize: 0
; MemoryBound: 1
; FloatMode: 240
; IeeeMode: 1
; LDSByteSize: 8192 bytes/workgroup (compile time only)
; SGPRBlocks: 3
; VGPRBlocks: 14
; NumSGPRsForWavesPerEU: 28
; NumVGPRsForWavesPerEU: 119
; Occupancy: 12
; WaveLimiterHint : 0
; COMPUTE_PGM_RSRC2:SCRATCH_EN: 0
; COMPUTE_PGM_RSRC2:USER_SGPR: 13
; COMPUTE_PGM_RSRC2:TRAP_HANDLER: 0
; COMPUTE_PGM_RSRC2:TGID_X_EN: 1
; COMPUTE_PGM_RSRC2:TGID_Y_EN: 1
; COMPUTE_PGM_RSRC2:TGID_Z_EN: 1
; COMPUTE_PGM_RSRC2:TIDIG_COMP_CNT: 1
	.section	.text._ZL34rocblas_syrkx_herkx_general_kernelIi19rocblas_complex_numIdELi16ELi32ELi8ELb0ELb0ELc84ELc76EKS1_S1_EviT_T0_PT8_S3_lS6_S3_lS4_PT9_S3_li,"axG",@progbits,_ZL34rocblas_syrkx_herkx_general_kernelIi19rocblas_complex_numIdELi16ELi32ELi8ELb0ELb0ELc84ELc76EKS1_S1_EviT_T0_PT8_S3_lS6_S3_lS4_PT9_S3_li,comdat
	.globl	_ZL34rocblas_syrkx_herkx_general_kernelIi19rocblas_complex_numIdELi16ELi32ELi8ELb0ELb0ELc84ELc76EKS1_S1_EviT_T0_PT8_S3_lS6_S3_lS4_PT9_S3_li ; -- Begin function _ZL34rocblas_syrkx_herkx_general_kernelIi19rocblas_complex_numIdELi16ELi32ELi8ELb0ELb0ELc84ELc76EKS1_S1_EviT_T0_PT8_S3_lS6_S3_lS4_PT9_S3_li
	.p2align	8
	.type	_ZL34rocblas_syrkx_herkx_general_kernelIi19rocblas_complex_numIdELi16ELi32ELi8ELb0ELb0ELc84ELc76EKS1_S1_EviT_T0_PT8_S3_lS6_S3_lS4_PT9_S3_li,@function
_ZL34rocblas_syrkx_herkx_general_kernelIi19rocblas_complex_numIdELi16ELi32ELi8ELb0ELb0ELc84ELc76EKS1_S1_EviT_T0_PT8_S3_lS6_S3_lS4_PT9_S3_li: ; @_ZL34rocblas_syrkx_herkx_general_kernelIi19rocblas_complex_numIdELi16ELi32ELi8ELb0ELb0ELc84ELc76EKS1_S1_EviT_T0_PT8_S3_lS6_S3_lS4_PT9_S3_li
; %bb.0:
	s_clause 0x3
	s_load_b64 s[24:25], s[0:1], 0x0
	s_load_b128 s[16:19], s[0:1], 0x8
	s_load_b64 s[26:27], s[0:1], 0x18
	s_load_b256 s[4:11], s[0:1], 0x40
	v_mov_b32_e32 v20, 0
	v_dual_mov_b32 v21, 0 :: v_dual_and_b32 v24, 0x3ff, v0
	v_bfe_u32 v25, v0, 10, 10
	s_delay_alu instid0(VALU_DEP_3) | instskip(NEXT) | instid1(VALU_DEP_3)
	v_mov_b32_e32 v12, v20
	v_dual_mov_b32 v16, v20 :: v_dual_mov_b32 v17, v21
	v_dual_mov_b32 v23, v21 :: v_dual_mov_b32 v22, v20
	;; [unrolled: 1-line block ×6, first 2 shown]
	v_mov_b32_e32 v11, v21
	s_lshl_b32 s12, s13, 5
	s_lshl_b32 s13, s14, 5
	s_waitcnt lgkmcnt(0)
	s_cmp_lt_i32 s25, 1
	s_mov_b32 s14, 0
	s_cbranch_scc1 .LBB299_11
; %bb.1:
	s_load_b32 s2, s[0:1], 0x20
	v_lshl_add_u32 v0, v25, 4, v24
	s_clause 0x1
	s_load_b128 s[20:23], s[0:1], 0x28
	s_load_b32 s3, s[0:1], 0x38
	v_dual_mov_b32 v10, 0 :: v_dual_lshlrev_b32 v27, 4, v24
	v_dual_mov_b32 v11, 0 :: v_dual_and_b32 v26, 7, v24
	v_and_b32_e32 v2, 31, v0
	v_lshrrev_b32_e32 v1, 3, v0
	v_lshrrev_b32_e32 v29, 5, v0
	s_delay_alu instid0(VALU_DEP_4) | instskip(NEXT) | instid1(VALU_DEP_4)
	v_dual_mov_b32 v19, v11 :: v_dual_lshlrev_b32 v6, 4, v26
	v_add_nc_u32_e32 v5, s12, v2
	s_delay_alu instid0(VALU_DEP_4) | instskip(NEXT) | instid1(VALU_DEP_3)
	v_dual_mov_b32 v15, v11 :: v_dual_add_nc_u32 v4, s13, v1
	v_lshl_or_b32 v7, v1, 7, v6
	v_or_b32_e32 v3, s12, v2
	v_dual_mov_b32 v17, v11 :: v_dual_lshlrev_b32 v2, 4, v2
	v_dual_mov_b32 v13, v11 :: v_dual_lshlrev_b32 v8, 4, v29
	s_waitcnt lgkmcnt(0)
	v_mad_i64_i32 v[0:1], null, s2, v5, 0
	s_mul_i32 s21, s21, s15
	s_mul_hi_u32 s28, s20, s15
	v_cmp_gt_i32_e32 vcc_lo, s24, v3
	v_lshl_or_b32 v30, v29, 9, v2
	v_mad_i64_i32 v[2:3], null, s3, v4, 0
	s_delay_alu instid0(VALU_DEP_4)
	v_lshlrev_b64 v[0:1], 4, v[0:1]
	s_mul_i32 s20, s20, s15
	s_add_i32 s21, s28, s21
	v_cmp_gt_i32_e64 s2, s24, v4
	s_lshl_b64 s[20:21], s[20:21], 4
	v_add_nc_u32_e32 v31, 0x1000, v7
	v_add_co_u32 v4, s3, v0, s20
	s_delay_alu instid0(VALU_DEP_1)
	v_add_co_ci_u32_e64 v5, s3, s21, v1, s3
	s_mul_i32 s3, s5, s15
	s_mul_hi_u32 s5, s4, s15
	v_lshlrev_b64 v[0:1], 4, v[2:3]
	s_add_i32 s5, s5, s3
	s_mul_i32 s4, s4, s15
	v_add_co_u32 v2, s3, v4, v8
	v_mov_b32_e32 v8, v10
	s_lshl_b64 s[4:5], s[4:5], 4
	v_add_co_ci_u32_e64 v3, s3, 0, v5, s3
	v_add_co_u32 v0, s3, v0, s4
	s_delay_alu instid0(VALU_DEP_1) | instskip(SKIP_1) | instid1(VALU_DEP_1)
	v_add_co_ci_u32_e64 v1, s3, s5, v1, s3
	v_add_co_u32 v4, s3, s26, v2
	v_add_co_ci_u32_e64 v5, s3, s27, v3, s3
	s_delay_alu instid0(VALU_DEP_4) | instskip(NEXT) | instid1(VALU_DEP_1)
	v_add_co_u32 v0, s3, v0, v6
	v_add_co_ci_u32_e64 v1, s3, 0, v1, s3
	v_dual_mov_b32 v18, v10 :: v_dual_mov_b32 v23, v11
	s_delay_alu instid0(VALU_DEP_3)
	v_add_co_u32 v6, s3, s22, v0
	v_dual_mov_b32 v14, v10 :: v_dual_mov_b32 v21, v11
	v_lshl_add_u32 v28, v25, 7, 0x1000
	v_add_co_ci_u32_e64 v7, s3, s23, v1, s3
	v_dual_mov_b32 v0, 0 :: v_dual_mov_b32 v9, v11
	v_mov_b32_e32 v16, v10
	v_mov_b32_e32 v12, v10
	;; [unrolled: 1-line block ×4, first 2 shown]
	s_xor_b32 s3, vcc_lo, -1
	s_xor_b32 s2, s2, -1
	s_branch .LBB299_3
.LBB299_2:                              ;   in Loop: Header=BB299_3 Depth=1
	s_or_b32 exec_lo, exec_lo, s4
	s_waitcnt lgkmcnt(0)
	s_barrier
	buffer_gl0_inv
	ds_load_b128 v[32:35], v28
	ds_load_b128 v[36:39], v28 offset:16
	ds_load_b128 v[40:43], v28 offset:32
	;; [unrolled: 1-line block ×3, first 2 shown]
	ds_load_b128 v[48:51], v27
	v_add_co_u32 v4, vcc_lo, 0x80, v4
	v_add_co_ci_u32_e32 v5, vcc_lo, 0, v5, vcc_lo
	v_add_co_u32 v6, vcc_lo, 0x80, v6
	v_add_co_ci_u32_e32 v7, vcc_lo, 0, v7, vcc_lo
	s_add_i32 s14, s14, 8
	s_delay_alu instid0(SALU_CYCLE_1) | instskip(SKIP_3) | instid1(VALU_DEP_2)
	s_cmp_ge_i32 s14, s25
	s_waitcnt lgkmcnt(0)
	v_mul_f64 v[1:2], v[34:35], v[50:51]
	v_mul_f64 v[52:53], v[32:33], v[50:51]
	v_fma_f64 v[1:2], v[32:33], v[48:49], -v[1:2]
	s_delay_alu instid0(VALU_DEP_2) | instskip(NEXT) | instid1(VALU_DEP_2)
	v_fma_f64 v[52:53], v[34:35], v[48:49], v[52:53]
	v_add_f64 v[1:2], v[20:21], v[1:2]
	s_delay_alu instid0(VALU_DEP_2) | instskip(SKIP_3) | instid1(VALU_DEP_1)
	v_add_f64 v[52:53], v[22:23], v[52:53]
	ds_load_b128 v[20:23], v27 offset:256
	s_waitcnt lgkmcnt(0)
	v_mul_f64 v[54:55], v[34:35], v[22:23]
	v_fma_f64 v[54:55], v[32:33], v[20:21], -v[54:55]
	v_mul_f64 v[32:33], v[32:33], v[22:23]
	s_delay_alu instid0(VALU_DEP_2) | instskip(NEXT) | instid1(VALU_DEP_2)
	v_add_f64 v[54:55], v[12:13], v[54:55]
	v_fma_f64 v[32:33], v[34:35], v[20:21], v[32:33]
	s_delay_alu instid0(VALU_DEP_1) | instskip(SKIP_4) | instid1(VALU_DEP_2)
	v_add_f64 v[16:17], v[16:17], v[32:33]
	ds_load_b128 v[32:35], v28 offset:2048
	s_waitcnt lgkmcnt(0)
	v_mul_f64 v[12:13], v[34:35], v[50:51]
	v_mul_f64 v[50:51], v[32:33], v[50:51]
	v_fma_f64 v[12:13], v[32:33], v[48:49], -v[12:13]
	s_delay_alu instid0(VALU_DEP_2) | instskip(NEXT) | instid1(VALU_DEP_2)
	v_fma_f64 v[48:49], v[34:35], v[48:49], v[50:51]
	v_add_f64 v[50:51], v[14:15], v[12:13]
	v_mul_f64 v[12:13], v[34:35], v[22:23]
	v_mul_f64 v[14:15], v[32:33], v[22:23]
	s_delay_alu instid0(VALU_DEP_4) | instskip(NEXT) | instid1(VALU_DEP_3)
	v_add_f64 v[48:49], v[18:19], v[48:49]
	v_fma_f64 v[12:13], v[32:33], v[20:21], -v[12:13]
	s_delay_alu instid0(VALU_DEP_3) | instskip(NEXT) | instid1(VALU_DEP_2)
	v_fma_f64 v[14:15], v[34:35], v[20:21], v[14:15]
	v_add_f64 v[20:21], v[8:9], v[12:13]
	s_delay_alu instid0(VALU_DEP_2) | instskip(SKIP_4) | instid1(VALU_DEP_2)
	v_add_f64 v[22:23], v[10:11], v[14:15]
	ds_load_b128 v[8:11], v27 offset:512
	s_waitcnt lgkmcnt(0)
	v_mul_f64 v[12:13], v[38:39], v[10:11]
	v_mul_f64 v[14:15], v[36:37], v[10:11]
	v_fma_f64 v[12:13], v[36:37], v[8:9], -v[12:13]
	s_delay_alu instid0(VALU_DEP_2) | instskip(NEXT) | instid1(VALU_DEP_2)
	v_fma_f64 v[14:15], v[38:39], v[8:9], v[14:15]
	v_add_f64 v[1:2], v[1:2], v[12:13]
	s_delay_alu instid0(VALU_DEP_2) | instskip(SKIP_4) | instid1(VALU_DEP_2)
	v_add_f64 v[32:33], v[52:53], v[14:15]
	ds_load_b128 v[12:15], v27 offset:768
	s_waitcnt lgkmcnt(0)
	v_mul_f64 v[18:19], v[38:39], v[14:15]
	v_mul_f64 v[34:35], v[36:37], v[14:15]
	v_fma_f64 v[18:19], v[36:37], v[12:13], -v[18:19]
	s_delay_alu instid0(VALU_DEP_2) | instskip(NEXT) | instid1(VALU_DEP_2)
	v_fma_f64 v[34:35], v[38:39], v[12:13], v[34:35]
	v_add_f64 v[36:37], v[54:55], v[18:19]
	s_delay_alu instid0(VALU_DEP_2) | instskip(SKIP_4) | instid1(VALU_DEP_2)
	v_add_f64 v[34:35], v[16:17], v[34:35]
	ds_load_b128 v[16:19], v28 offset:2064
	s_waitcnt lgkmcnt(0)
	v_mul_f64 v[38:39], v[18:19], v[10:11]
	v_mul_f64 v[10:11], v[16:17], v[10:11]
	v_fma_f64 v[38:39], v[16:17], v[8:9], -v[38:39]
	s_delay_alu instid0(VALU_DEP_2) | instskip(SKIP_1) | instid1(VALU_DEP_3)
	v_fma_f64 v[8:9], v[18:19], v[8:9], v[10:11]
	v_mul_f64 v[10:11], v[16:17], v[14:15]
	v_add_f64 v[38:39], v[50:51], v[38:39]
	s_delay_alu instid0(VALU_DEP_3) | instskip(SKIP_1) | instid1(VALU_DEP_4)
	v_add_f64 v[48:49], v[48:49], v[8:9]
	v_mul_f64 v[8:9], v[18:19], v[14:15]
	v_fma_f64 v[10:11], v[18:19], v[12:13], v[10:11]
	s_delay_alu instid0(VALU_DEP_2) | instskip(NEXT) | instid1(VALU_DEP_2)
	v_fma_f64 v[8:9], v[16:17], v[12:13], -v[8:9]
	v_add_f64 v[22:23], v[22:23], v[10:11]
	s_delay_alu instid0(VALU_DEP_2) | instskip(SKIP_4) | instid1(VALU_DEP_2)
	v_add_f64 v[20:21], v[20:21], v[8:9]
	ds_load_b128 v[8:11], v27 offset:1024
	s_waitcnt lgkmcnt(0)
	v_mul_f64 v[12:13], v[42:43], v[10:11]
	v_mul_f64 v[14:15], v[40:41], v[10:11]
	v_fma_f64 v[12:13], v[40:41], v[8:9], -v[12:13]
	s_delay_alu instid0(VALU_DEP_2) | instskip(NEXT) | instid1(VALU_DEP_2)
	v_fma_f64 v[14:15], v[42:43], v[8:9], v[14:15]
	v_add_f64 v[1:2], v[1:2], v[12:13]
	s_delay_alu instid0(VALU_DEP_2) | instskip(SKIP_4) | instid1(VALU_DEP_2)
	v_add_f64 v[32:33], v[32:33], v[14:15]
	ds_load_b128 v[12:15], v27 offset:1280
	s_waitcnt lgkmcnt(0)
	v_mul_f64 v[16:17], v[42:43], v[14:15]
	v_mul_f64 v[18:19], v[40:41], v[14:15]
	v_fma_f64 v[16:17], v[40:41], v[12:13], -v[16:17]
	s_delay_alu instid0(VALU_DEP_2) | instskip(NEXT) | instid1(VALU_DEP_2)
	v_fma_f64 v[18:19], v[42:43], v[12:13], v[18:19]
	v_add_f64 v[36:37], v[36:37], v[16:17]
	s_delay_alu instid0(VALU_DEP_2) | instskip(SKIP_4) | instid1(VALU_DEP_2)
	v_add_f64 v[34:35], v[34:35], v[18:19]
	ds_load_b128 v[16:19], v28 offset:2080
	s_waitcnt lgkmcnt(0)
	v_mul_f64 v[40:41], v[18:19], v[10:11]
	v_mul_f64 v[10:11], v[16:17], v[10:11]
	v_fma_f64 v[40:41], v[16:17], v[8:9], -v[40:41]
	s_delay_alu instid0(VALU_DEP_2) | instskip(SKIP_1) | instid1(VALU_DEP_3)
	v_fma_f64 v[8:9], v[18:19], v[8:9], v[10:11]
	v_mul_f64 v[10:11], v[16:17], v[14:15]
	v_add_f64 v[38:39], v[38:39], v[40:41]
	s_delay_alu instid0(VALU_DEP_3) | instskip(SKIP_1) | instid1(VALU_DEP_4)
	v_add_f64 v[40:41], v[48:49], v[8:9]
	v_mul_f64 v[8:9], v[18:19], v[14:15]
	v_fma_f64 v[10:11], v[18:19], v[12:13], v[10:11]
	s_delay_alu instid0(VALU_DEP_2) | instskip(NEXT) | instid1(VALU_DEP_2)
	v_fma_f64 v[8:9], v[16:17], v[12:13], -v[8:9]
	;; [unrolled: 38-line block ×3, first 2 shown]
	v_add_f64 v[22:23], v[22:23], v[10:11]
	s_delay_alu instid0(VALU_DEP_2)
	v_add_f64 v[20:21], v[20:21], v[8:9]
	ds_load_b128 v[8:11], v28 offset:64
	ds_load_b128 v[12:15], v27 offset:2048
	s_waitcnt lgkmcnt(0)
	v_mul_f64 v[16:17], v[10:11], v[14:15]
	v_mul_f64 v[18:19], v[8:9], v[14:15]
	s_delay_alu instid0(VALU_DEP_2) | instskip(NEXT) | instid1(VALU_DEP_2)
	v_fma_f64 v[16:17], v[8:9], v[12:13], -v[16:17]
	v_fma_f64 v[18:19], v[10:11], v[12:13], v[18:19]
	s_delay_alu instid0(VALU_DEP_2) | instskip(NEXT) | instid1(VALU_DEP_2)
	v_add_f64 v[1:2], v[1:2], v[16:17]
	v_add_f64 v[32:33], v[32:33], v[18:19]
	ds_load_b128 v[16:19], v27 offset:2304
	s_waitcnt lgkmcnt(0)
	v_mul_f64 v[42:43], v[10:11], v[18:19]
	s_delay_alu instid0(VALU_DEP_1) | instskip(SKIP_1) | instid1(VALU_DEP_2)
	v_fma_f64 v[42:43], v[8:9], v[16:17], -v[42:43]
	v_mul_f64 v[8:9], v[8:9], v[18:19]
	v_add_f64 v[36:37], v[36:37], v[42:43]
	s_delay_alu instid0(VALU_DEP_2) | instskip(NEXT) | instid1(VALU_DEP_1)
	v_fma_f64 v[8:9], v[10:11], v[16:17], v[8:9]
	v_add_f64 v[34:35], v[34:35], v[8:9]
	ds_load_b128 v[8:11], v28 offset:2112
	s_waitcnt lgkmcnt(0)
	v_mul_f64 v[42:43], v[10:11], v[14:15]
	v_mul_f64 v[14:15], v[8:9], v[14:15]
	s_delay_alu instid0(VALU_DEP_2) | instskip(NEXT) | instid1(VALU_DEP_2)
	v_fma_f64 v[42:43], v[8:9], v[12:13], -v[42:43]
	v_fma_f64 v[12:13], v[10:11], v[12:13], v[14:15]
	s_delay_alu instid0(VALU_DEP_2) | instskip(NEXT) | instid1(VALU_DEP_2)
	v_add_f64 v[38:39], v[38:39], v[42:43]
	v_add_f64 v[40:41], v[40:41], v[12:13]
	v_mul_f64 v[12:13], v[10:11], v[18:19]
	s_delay_alu instid0(VALU_DEP_1) | instskip(SKIP_1) | instid1(VALU_DEP_2)
	v_fma_f64 v[12:13], v[8:9], v[16:17], -v[12:13]
	v_mul_f64 v[8:9], v[8:9], v[18:19]
	v_add_f64 v[20:21], v[20:21], v[12:13]
	s_delay_alu instid0(VALU_DEP_2) | instskip(NEXT) | instid1(VALU_DEP_1)
	v_fma_f64 v[8:9], v[10:11], v[16:17], v[8:9]
	v_add_f64 v[22:23], v[22:23], v[8:9]
	ds_load_b128 v[8:11], v28 offset:80
	ds_load_b128 v[12:15], v27 offset:2560
	s_waitcnt lgkmcnt(0)
	v_mul_f64 v[16:17], v[10:11], v[14:15]
	v_mul_f64 v[18:19], v[8:9], v[14:15]
	s_delay_alu instid0(VALU_DEP_2) | instskip(NEXT) | instid1(VALU_DEP_2)
	v_fma_f64 v[16:17], v[8:9], v[12:13], -v[16:17]
	v_fma_f64 v[18:19], v[10:11], v[12:13], v[18:19]
	s_delay_alu instid0(VALU_DEP_2) | instskip(NEXT) | instid1(VALU_DEP_2)
	v_add_f64 v[1:2], v[1:2], v[16:17]
	v_add_f64 v[32:33], v[32:33], v[18:19]
	ds_load_b128 v[16:19], v27 offset:2816
	s_waitcnt lgkmcnt(0)
	v_mul_f64 v[42:43], v[10:11], v[18:19]
	s_delay_alu instid0(VALU_DEP_1) | instskip(SKIP_1) | instid1(VALU_DEP_2)
	v_fma_f64 v[42:43], v[8:9], v[16:17], -v[42:43]
	v_mul_f64 v[8:9], v[8:9], v[18:19]
	v_add_f64 v[36:37], v[36:37], v[42:43]
	s_delay_alu instid0(VALU_DEP_2) | instskip(NEXT) | instid1(VALU_DEP_1)
	v_fma_f64 v[8:9], v[10:11], v[16:17], v[8:9]
	v_add_f64 v[34:35], v[34:35], v[8:9]
	ds_load_b128 v[8:11], v28 offset:2128
	s_waitcnt lgkmcnt(0)
	v_mul_f64 v[42:43], v[10:11], v[14:15]
	v_mul_f64 v[14:15], v[8:9], v[14:15]
	s_delay_alu instid0(VALU_DEP_2) | instskip(NEXT) | instid1(VALU_DEP_2)
	v_fma_f64 v[42:43], v[8:9], v[12:13], -v[42:43]
	v_fma_f64 v[12:13], v[10:11], v[12:13], v[14:15]
	s_delay_alu instid0(VALU_DEP_2) | instskip(NEXT) | instid1(VALU_DEP_2)
	v_add_f64 v[38:39], v[38:39], v[42:43]
	v_add_f64 v[40:41], v[40:41], v[12:13]
	v_mul_f64 v[12:13], v[10:11], v[18:19]
	s_delay_alu instid0(VALU_DEP_1) | instskip(SKIP_1) | instid1(VALU_DEP_2)
	v_fma_f64 v[12:13], v[8:9], v[16:17], -v[12:13]
	v_mul_f64 v[8:9], v[8:9], v[18:19]
	v_add_f64 v[20:21], v[20:21], v[12:13]
	s_delay_alu instid0(VALU_DEP_2) | instskip(NEXT) | instid1(VALU_DEP_1)
	v_fma_f64 v[8:9], v[10:11], v[16:17], v[8:9]
	;; [unrolled: 39-line block ×3, first 2 shown]
	v_add_f64 v[50:51], v[22:23], v[8:9]
	ds_load_b128 v[8:11], v28 offset:112
	ds_load_b128 v[32:35], v27 offset:3584
	;; [unrolled: 1-line block ×3, first 2 shown]
	s_waitcnt lgkmcnt(1)
	v_mul_f64 v[12:13], v[10:11], v[34:35]
	v_mul_f64 v[16:17], v[8:9], v[34:35]
	s_delay_alu instid0(VALU_DEP_2) | instskip(NEXT) | instid1(VALU_DEP_2)
	v_fma_f64 v[12:13], v[8:9], v[32:33], -v[12:13]
	v_fma_f64 v[16:17], v[10:11], v[32:33], v[16:17]
	s_delay_alu instid0(VALU_DEP_2) | instskip(SKIP_2) | instid1(VALU_DEP_3)
	v_add_f64 v[20:21], v[1:2], v[12:13]
	s_waitcnt lgkmcnt(0)
	v_mul_f64 v[1:2], v[10:11], v[38:39]
	v_add_f64 v[22:23], v[42:43], v[16:17]
	s_delay_alu instid0(VALU_DEP_2) | instskip(SKIP_1) | instid1(VALU_DEP_2)
	v_fma_f64 v[1:2], v[8:9], v[36:37], -v[1:2]
	v_mul_f64 v[8:9], v[8:9], v[38:39]
	v_add_f64 v[12:13], v[44:45], v[1:2]
	s_delay_alu instid0(VALU_DEP_2) | instskip(NEXT) | instid1(VALU_DEP_1)
	v_fma_f64 v[8:9], v[10:11], v[36:37], v[8:9]
	v_add_f64 v[16:17], v[46:47], v[8:9]
	ds_load_b128 v[8:11], v28 offset:2160
	s_waitcnt lgkmcnt(0)
	s_barrier
	buffer_gl0_inv
	v_mul_f64 v[1:2], v[10:11], v[34:35]
	v_mul_f64 v[18:19], v[8:9], v[34:35]
	s_delay_alu instid0(VALU_DEP_2) | instskip(NEXT) | instid1(VALU_DEP_2)
	v_fma_f64 v[1:2], v[8:9], v[32:33], -v[1:2]
	v_fma_f64 v[18:19], v[10:11], v[32:33], v[18:19]
	s_delay_alu instid0(VALU_DEP_2) | instskip(SKIP_1) | instid1(VALU_DEP_3)
	v_add_f64 v[14:15], v[14:15], v[1:2]
	v_mul_f64 v[1:2], v[10:11], v[38:39]
	v_add_f64 v[18:19], v[40:41], v[18:19]
	s_delay_alu instid0(VALU_DEP_2) | instskip(SKIP_1) | instid1(VALU_DEP_1)
	v_fma_f64 v[1:2], v[8:9], v[36:37], -v[1:2]
	v_mul_f64 v[8:9], v[8:9], v[38:39]
	v_fma_f64 v[10:11], v[10:11], v[36:37], v[8:9]
	s_delay_alu instid0(VALU_DEP_3) | instskip(NEXT) | instid1(VALU_DEP_2)
	v_add_f64 v[8:9], v[48:49], v[1:2]
	v_add_f64 v[10:11], v[50:51], v[10:11]
	s_cbranch_scc1 .LBB299_11
.LBB299_3:                              ; =>This Inner Loop Header: Depth=1
	v_add_nc_u32_e32 v1, s14, v29
	s_delay_alu instid0(VALU_DEP_1) | instskip(SKIP_1) | instid1(SALU_CYCLE_1)
	v_cmp_le_i32_e32 vcc_lo, s25, v1
	s_or_b32 s4, s3, vcc_lo
	s_and_saveexec_b32 s5, s4
	s_delay_alu instid0(SALU_CYCLE_1)
	s_xor_b32 s4, exec_lo, s5
	s_cbranch_execz .LBB299_5
; %bb.4:                                ;   in Loop: Header=BB299_3 Depth=1
	v_mov_b32_e32 v1, v0
	v_mov_b32_e32 v2, v0
	;; [unrolled: 1-line block ×3, first 2 shown]
	ds_store_b128 v30, v[0:3]
.LBB299_5:                              ;   in Loop: Header=BB299_3 Depth=1
	s_and_not1_saveexec_b32 s4, s4
	s_cbranch_execz .LBB299_7
; %bb.6:                                ;   in Loop: Header=BB299_3 Depth=1
	global_load_b128 v[32:35], v[4:5], off
	s_waitcnt vmcnt(0)
	ds_store_2addr_b64 v30, v[32:33], v[34:35] offset1:1
.LBB299_7:                              ;   in Loop: Header=BB299_3 Depth=1
	s_or_b32 exec_lo, exec_lo, s4
	v_add_nc_u32_e32 v1, s14, v26
	s_delay_alu instid0(VALU_DEP_1) | instskip(SKIP_1) | instid1(SALU_CYCLE_1)
	v_cmp_le_i32_e32 vcc_lo, s25, v1
	s_or_b32 s4, vcc_lo, s2
	s_and_saveexec_b32 s5, s4
	s_delay_alu instid0(SALU_CYCLE_1)
	s_xor_b32 s4, exec_lo, s5
	s_cbranch_execz .LBB299_9
; %bb.8:                                ;   in Loop: Header=BB299_3 Depth=1
	v_mov_b32_e32 v1, v0
	v_mov_b32_e32 v2, v0
	;; [unrolled: 1-line block ×3, first 2 shown]
	ds_store_b128 v31, v[0:3]
.LBB299_9:                              ;   in Loop: Header=BB299_3 Depth=1
	s_and_not1_saveexec_b32 s4, s4
	s_cbranch_execz .LBB299_2
; %bb.10:                               ;   in Loop: Header=BB299_3 Depth=1
	global_load_b128 v[32:35], v[6:7], off
	s_waitcnt vmcnt(0)
	ds_store_2addr_b64 v31, v[32:33], v[34:35] offset1:1
	s_branch .LBB299_2
.LBB299_11:
	s_clause 0x1
	s_load_b32 s2, s[0:1], 0x60
	s_load_b64 s[4:5], s[0:1], 0x68
	v_add_nc_u32_e32 v4, s13, v25
	v_add_nc_u32_e32 v0, s12, v24
	s_delay_alu instid0(VALU_DEP_1)
	v_cmp_le_i32_e64 s0, v4, v0
	v_cmp_gt_i32_e32 vcc_lo, s24, v0
	s_waitcnt lgkmcnt(0)
	v_mad_i64_i32 v[1:2], null, v4, s2, 0
	s_mul_i32 s1, s15, s5
	s_mul_hi_u32 s3, s15, s4
	s_mul_i32 s4, s15, s4
	s_add_i32 s5, s3, s1
	s_delay_alu instid0(SALU_CYCLE_1) | instskip(NEXT) | instid1(VALU_DEP_1)
	s_lshl_b64 s[4:5], s[4:5], 4
	v_lshlrev_b64 v[1:2], 4, v[1:2]
	s_add_u32 s3, s10, s4
	s_addc_u32 s4, s11, s5
	s_and_b32 s0, s0, vcc_lo
	s_delay_alu instid0(VALU_DEP_1) | instskip(NEXT) | instid1(VALU_DEP_1)
	v_add_co_u32 v5, s1, s3, v1
	v_add_co_ci_u32_e64 v6, s1, s4, v2, s1
	s_and_saveexec_b32 s1, s0
	s_cbranch_execz .LBB299_13
; %bb.12:
	v_ashrrev_i32_e32 v1, 31, v0
	v_mul_f64 v[28:29], s[18:19], v[22:23]
	v_mul_f64 v[22:23], s[16:17], v[22:23]
	s_delay_alu instid0(VALU_DEP_3) | instskip(NEXT) | instid1(VALU_DEP_1)
	v_lshlrev_b64 v[1:2], 4, v[0:1]
	v_add_co_u32 v1, s0, v5, v1
	s_delay_alu instid0(VALU_DEP_1)
	v_add_co_ci_u32_e64 v2, s0, v6, v2, s0
	global_load_b128 v[24:27], v[1:2], off
	v_fma_f64 v[28:29], s[16:17], v[20:21], -v[28:29]
	v_fma_f64 v[22:23], s[18:19], v[20:21], v[22:23]
	s_waitcnt vmcnt(0)
	v_mul_f64 v[30:31], s[8:9], v[26:27]
	v_mul_f64 v[26:27], s[6:7], v[26:27]
	s_delay_alu instid0(VALU_DEP_2) | instskip(NEXT) | instid1(VALU_DEP_2)
	v_fma_f64 v[20:21], s[6:7], v[24:25], -v[30:31]
	v_fma_f64 v[24:25], s[8:9], v[24:25], v[26:27]
	s_delay_alu instid0(VALU_DEP_2) | instskip(NEXT) | instid1(VALU_DEP_2)
	v_add_f64 v[20:21], v[28:29], v[20:21]
	v_add_f64 v[22:23], v[22:23], v[24:25]
	global_store_b128 v[1:2], v[20:23], off
.LBB299_13:
	s_or_b32 exec_lo, exec_lo, s1
	v_add_nc_u32_e32 v2, 16, v0
	s_delay_alu instid0(VALU_DEP_1) | instskip(SKIP_1) | instid1(VALU_DEP_1)
	v_cmp_le_i32_e64 s1, v4, v2
	v_cmp_gt_i32_e64 s0, s24, v2
	s_and_b32 s1, s1, s0
	s_delay_alu instid0(SALU_CYCLE_1)
	s_and_saveexec_b32 s5, s1
	s_cbranch_execz .LBB299_15
; %bb.14:
	v_ashrrev_i32_e32 v3, 31, v2
	v_mul_f64 v[24:25], s[18:19], v[16:17]
	v_mul_f64 v[16:17], s[16:17], v[16:17]
	s_delay_alu instid0(VALU_DEP_3) | instskip(NEXT) | instid1(VALU_DEP_1)
	v_lshlrev_b64 v[20:21], 4, v[2:3]
	v_add_co_u32 v5, s1, v5, v20
	s_delay_alu instid0(VALU_DEP_1)
	v_add_co_ci_u32_e64 v6, s1, v6, v21, s1
	global_load_b128 v[20:23], v[5:6], off
	v_fma_f64 v[24:25], s[16:17], v[12:13], -v[24:25]
	v_fma_f64 v[12:13], s[18:19], v[12:13], v[16:17]
	s_waitcnt vmcnt(0)
	v_mul_f64 v[26:27], s[8:9], v[22:23]
	v_mul_f64 v[22:23], s[6:7], v[22:23]
	s_delay_alu instid0(VALU_DEP_2) | instskip(NEXT) | instid1(VALU_DEP_2)
	v_fma_f64 v[16:17], s[6:7], v[20:21], -v[26:27]
	v_fma_f64 v[22:23], s[8:9], v[20:21], v[22:23]
	s_delay_alu instid0(VALU_DEP_2) | instskip(NEXT) | instid1(VALU_DEP_2)
	v_add_f64 v[20:21], v[24:25], v[16:17]
	v_add_f64 v[22:23], v[12:13], v[22:23]
	global_store_b128 v[5:6], v[20:23], off
.LBB299_15:
	s_or_b32 exec_lo, exec_lo, s5
	v_add_nc_u32_e32 v3, 16, v4
	s_delay_alu instid0(VALU_DEP_1) | instskip(SKIP_1) | instid1(VALU_DEP_2)
	v_mad_i64_i32 v[4:5], null, v3, s2, 0
	v_cmp_le_i32_e64 s1, v3, v0
	v_lshlrev_b64 v[4:5], 4, v[4:5]
	s_delay_alu instid0(VALU_DEP_1) | instskip(NEXT) | instid1(VALU_DEP_1)
	v_add_co_u32 v4, s2, s3, v4
	v_add_co_ci_u32_e64 v5, s2, s4, v5, s2
	s_delay_alu instid0(VALU_DEP_4) | instskip(NEXT) | instid1(SALU_CYCLE_1)
	s_and_b32 s2, s1, vcc_lo
	s_and_saveexec_b32 s1, s2
	s_cbranch_execz .LBB299_17
; %bb.16:
	v_ashrrev_i32_e32 v1, 31, v0
	v_mul_f64 v[6:7], s[18:19], v[18:19]
	v_mul_f64 v[12:13], s[16:17], v[18:19]
	s_delay_alu instid0(VALU_DEP_3) | instskip(NEXT) | instid1(VALU_DEP_1)
	v_lshlrev_b64 v[0:1], 4, v[0:1]
	v_add_co_u32 v0, vcc_lo, v4, v0
	s_delay_alu instid0(VALU_DEP_2)
	v_add_co_ci_u32_e32 v1, vcc_lo, v5, v1, vcc_lo
	global_load_b128 v[20:23], v[0:1], off
	v_fma_f64 v[6:7], s[16:17], v[14:15], -v[6:7]
	v_fma_f64 v[14:15], s[18:19], v[14:15], v[12:13]
	s_waitcnt vmcnt(0)
	v_mul_f64 v[16:17], s[8:9], v[22:23]
	v_mul_f64 v[18:19], s[6:7], v[22:23]
	s_delay_alu instid0(VALU_DEP_2) | instskip(NEXT) | instid1(VALU_DEP_2)
	v_fma_f64 v[12:13], s[6:7], v[20:21], -v[16:17]
	v_fma_f64 v[16:17], s[8:9], v[20:21], v[18:19]
	s_delay_alu instid0(VALU_DEP_2) | instskip(NEXT) | instid1(VALU_DEP_2)
	v_add_f64 v[12:13], v[6:7], v[12:13]
	v_add_f64 v[14:15], v[14:15], v[16:17]
	global_store_b128 v[0:1], v[12:15], off
.LBB299_17:
	s_or_b32 exec_lo, exec_lo, s1
	v_cmp_le_i32_e32 vcc_lo, v3, v2
	s_and_b32 s0, vcc_lo, s0
	s_delay_alu instid0(SALU_CYCLE_1)
	s_and_saveexec_b32 s1, s0
	s_cbranch_execz .LBB299_19
; %bb.18:
	v_ashrrev_i32_e32 v3, 31, v2
	v_mul_f64 v[6:7], s[18:19], v[10:11]
	v_mul_f64 v[10:11], s[16:17], v[10:11]
	s_delay_alu instid0(VALU_DEP_3) | instskip(NEXT) | instid1(VALU_DEP_1)
	v_lshlrev_b64 v[0:1], 4, v[2:3]
	v_add_co_u32 v4, vcc_lo, v4, v0
	s_delay_alu instid0(VALU_DEP_2)
	v_add_co_ci_u32_e32 v5, vcc_lo, v5, v1, vcc_lo
	global_load_b128 v[0:3], v[4:5], off
	v_fma_f64 v[6:7], s[16:17], v[8:9], -v[6:7]
	v_fma_f64 v[8:9], s[18:19], v[8:9], v[10:11]
	s_waitcnt vmcnt(0)
	v_mul_f64 v[12:13], s[8:9], v[2:3]
	v_mul_f64 v[2:3], s[6:7], v[2:3]
	s_delay_alu instid0(VALU_DEP_2) | instskip(NEXT) | instid1(VALU_DEP_2)
	v_fma_f64 v[10:11], s[6:7], v[0:1], -v[12:13]
	v_fma_f64 v[2:3], s[8:9], v[0:1], v[2:3]
	s_delay_alu instid0(VALU_DEP_2) | instskip(NEXT) | instid1(VALU_DEP_2)
	v_add_f64 v[0:1], v[6:7], v[10:11]
	v_add_f64 v[2:3], v[8:9], v[2:3]
	global_store_b128 v[4:5], v[0:3], off
.LBB299_19:
	s_nop 0
	s_sendmsg sendmsg(MSG_DEALLOC_VGPRS)
	s_endpgm
	.section	.rodata,"a",@progbits
	.p2align	6, 0x0
	.amdhsa_kernel _ZL34rocblas_syrkx_herkx_general_kernelIi19rocblas_complex_numIdELi16ELi32ELi8ELb0ELb0ELc84ELc76EKS1_S1_EviT_T0_PT8_S3_lS6_S3_lS4_PT9_S3_li
		.amdhsa_group_segment_fixed_size 8192
		.amdhsa_private_segment_fixed_size 0
		.amdhsa_kernarg_size 116
		.amdhsa_user_sgpr_count 13
		.amdhsa_user_sgpr_dispatch_ptr 0
		.amdhsa_user_sgpr_queue_ptr 0
		.amdhsa_user_sgpr_kernarg_segment_ptr 1
		.amdhsa_user_sgpr_dispatch_id 0
		.amdhsa_user_sgpr_private_segment_size 0
		.amdhsa_wavefront_size32 1
		.amdhsa_uses_dynamic_stack 0
		.amdhsa_enable_private_segment 0
		.amdhsa_system_sgpr_workgroup_id_x 1
		.amdhsa_system_sgpr_workgroup_id_y 1
		.amdhsa_system_sgpr_workgroup_id_z 1
		.amdhsa_system_sgpr_workgroup_info 0
		.amdhsa_system_vgpr_workitem_id 1
		.amdhsa_next_free_vgpr 56
		.amdhsa_next_free_sgpr 29
		.amdhsa_reserve_vcc 1
		.amdhsa_float_round_mode_32 0
		.amdhsa_float_round_mode_16_64 0
		.amdhsa_float_denorm_mode_32 3
		.amdhsa_float_denorm_mode_16_64 3
		.amdhsa_dx10_clamp 1
		.amdhsa_ieee_mode 1
		.amdhsa_fp16_overflow 0
		.amdhsa_workgroup_processor_mode 1
		.amdhsa_memory_ordered 1
		.amdhsa_forward_progress 0
		.amdhsa_shared_vgpr_count 0
		.amdhsa_exception_fp_ieee_invalid_op 0
		.amdhsa_exception_fp_denorm_src 0
		.amdhsa_exception_fp_ieee_div_zero 0
		.amdhsa_exception_fp_ieee_overflow 0
		.amdhsa_exception_fp_ieee_underflow 0
		.amdhsa_exception_fp_ieee_inexact 0
		.amdhsa_exception_int_div_zero 0
	.end_amdhsa_kernel
	.section	.text._ZL34rocblas_syrkx_herkx_general_kernelIi19rocblas_complex_numIdELi16ELi32ELi8ELb0ELb0ELc84ELc76EKS1_S1_EviT_T0_PT8_S3_lS6_S3_lS4_PT9_S3_li,"axG",@progbits,_ZL34rocblas_syrkx_herkx_general_kernelIi19rocblas_complex_numIdELi16ELi32ELi8ELb0ELb0ELc84ELc76EKS1_S1_EviT_T0_PT8_S3_lS6_S3_lS4_PT9_S3_li,comdat
.Lfunc_end299:
	.size	_ZL34rocblas_syrkx_herkx_general_kernelIi19rocblas_complex_numIdELi16ELi32ELi8ELb0ELb0ELc84ELc76EKS1_S1_EviT_T0_PT8_S3_lS6_S3_lS4_PT9_S3_li, .Lfunc_end299-_ZL34rocblas_syrkx_herkx_general_kernelIi19rocblas_complex_numIdELi16ELi32ELi8ELb0ELb0ELc84ELc76EKS1_S1_EviT_T0_PT8_S3_lS6_S3_lS4_PT9_S3_li
                                        ; -- End function
	.section	.AMDGPU.csdata,"",@progbits
; Kernel info:
; codeLenInByte = 3792
; NumSgprs: 31
; NumVgprs: 56
; ScratchSize: 0
; MemoryBound: 0
; FloatMode: 240
; IeeeMode: 1
; LDSByteSize: 8192 bytes/workgroup (compile time only)
; SGPRBlocks: 3
; VGPRBlocks: 6
; NumSGPRsForWavesPerEU: 31
; NumVGPRsForWavesPerEU: 56
; Occupancy: 16
; WaveLimiterHint : 0
; COMPUTE_PGM_RSRC2:SCRATCH_EN: 0
; COMPUTE_PGM_RSRC2:USER_SGPR: 13
; COMPUTE_PGM_RSRC2:TRAP_HANDLER: 0
; COMPUTE_PGM_RSRC2:TGID_X_EN: 1
; COMPUTE_PGM_RSRC2:TGID_Y_EN: 1
; COMPUTE_PGM_RSRC2:TGID_Z_EN: 1
; COMPUTE_PGM_RSRC2:TIDIG_COMP_CNT: 1
	.section	.text._ZL34rocblas_syrkx_herkx_general_kernelIi19rocblas_complex_numIdELi16ELi32ELi8ELb0ELb0ELc67ELc76EKS1_S1_EviT_T0_PT8_S3_lS6_S3_lS4_PT9_S3_li,"axG",@progbits,_ZL34rocblas_syrkx_herkx_general_kernelIi19rocblas_complex_numIdELi16ELi32ELi8ELb0ELb0ELc67ELc76EKS1_S1_EviT_T0_PT8_S3_lS6_S3_lS4_PT9_S3_li,comdat
	.globl	_ZL34rocblas_syrkx_herkx_general_kernelIi19rocblas_complex_numIdELi16ELi32ELi8ELb0ELb0ELc67ELc76EKS1_S1_EviT_T0_PT8_S3_lS6_S3_lS4_PT9_S3_li ; -- Begin function _ZL34rocblas_syrkx_herkx_general_kernelIi19rocblas_complex_numIdELi16ELi32ELi8ELb0ELb0ELc67ELc76EKS1_S1_EviT_T0_PT8_S3_lS6_S3_lS4_PT9_S3_li
	.p2align	8
	.type	_ZL34rocblas_syrkx_herkx_general_kernelIi19rocblas_complex_numIdELi16ELi32ELi8ELb0ELb0ELc67ELc76EKS1_S1_EviT_T0_PT8_S3_lS6_S3_lS4_PT9_S3_li,@function
_ZL34rocblas_syrkx_herkx_general_kernelIi19rocblas_complex_numIdELi16ELi32ELi8ELb0ELb0ELc67ELc76EKS1_S1_EviT_T0_PT8_S3_lS6_S3_lS4_PT9_S3_li: ; @_ZL34rocblas_syrkx_herkx_general_kernelIi19rocblas_complex_numIdELi16ELi32ELi8ELb0ELb0ELc67ELc76EKS1_S1_EviT_T0_PT8_S3_lS6_S3_lS4_PT9_S3_li
; %bb.0:
	s_clause 0x3
	s_load_b64 s[24:25], s[0:1], 0x0
	s_load_b128 s[16:19], s[0:1], 0x8
	s_load_b64 s[26:27], s[0:1], 0x18
	s_load_b256 s[4:11], s[0:1], 0x40
	v_mov_b32_e32 v23, 0
	v_dual_mov_b32 v24, 0 :: v_dual_and_b32 v27, 0x3ff, v0
	v_bfe_u32 v28, v0, 10, 10
	s_delay_alu instid0(VALU_DEP_3) | instskip(NEXT) | instid1(VALU_DEP_3)
	v_mov_b32_e32 v19, v23
	v_dual_mov_b32 v21, v23 :: v_dual_mov_b32 v22, v24
	v_dual_mov_b32 v26, v24 :: v_dual_mov_b32 v25, v23
	;; [unrolled: 1-line block ×6, first 2 shown]
	v_mov_b32_e32 v14, v24
	s_lshl_b32 s12, s13, 5
	s_lshl_b32 s13, s14, 5
	s_waitcnt lgkmcnt(0)
	s_cmp_lt_i32 s25, 1
	s_mov_b32 s14, 0
	s_cbranch_scc1 .LBB300_9
; %bb.1:
	s_load_b32 s2, s[0:1], 0x20
	v_lshl_add_u32 v0, v28, 4, v27
	s_clause 0x1
	s_load_b128 s[20:23], s[0:1], 0x28
	s_load_b32 s3, s[0:1], 0x38
	v_and_b32_e32 v29, 7, v27
	s_mul_i32 s5, s5, s15
	v_lshlrev_b32_e32 v30, 4, v27
	v_and_b32_e32 v2, 31, v0
	v_lshrrev_b32_e32 v1, 3, v0
	v_lshlrev_b32_e32 v4, 4, v29
	v_lshrrev_b32_e32 v32, 5, v0
	v_lshl_add_u32 v31, v28, 7, 0x1000
	v_add_nc_u32_e32 v3, s12, v2
	v_add_nc_u32_e32 v5, s13, v1
	v_lshl_or_b32 v7, v1, 7, v4
	v_or_b32_e32 v6, s12, v2
	v_lshlrev_b32_e32 v2, 4, v2
	v_lshlrev_b32_e32 v8, 4, v32
	s_delay_alu instid0(VALU_DEP_4) | instskip(NEXT) | instid1(VALU_DEP_4)
	v_add_nc_u32_e32 v34, 0x1000, v7
	v_cmp_gt_i32_e32 vcc_lo, s24, v6
	s_waitcnt lgkmcnt(0)
	v_mad_i64_i32 v[0:1], null, s2, v3, 0
	s_mul_i32 s21, s21, s15
	s_mul_hi_u32 s28, s20, s15
	s_mul_i32 s20, s20, s15
	s_add_i32 s21, s28, s21
	v_lshl_or_b32 v33, v32, 9, v2
	s_lshl_b64 s[20:21], s[20:21], 4
	s_delay_alu instid0(VALU_DEP_2) | instskip(SKIP_2) | instid1(VALU_DEP_3)
	v_lshlrev_b64 v[0:1], 4, v[0:1]
	v_mad_i64_i32 v[2:3], null, s3, v5, 0
	v_cmp_gt_i32_e64 s2, s24, v5
	v_add_co_u32 v0, s3, v0, s20
	s_delay_alu instid0(VALU_DEP_1) | instskip(NEXT) | instid1(VALU_DEP_2)
	v_add_co_ci_u32_e64 v1, s3, s21, v1, s3
	v_add_co_u32 v5, s3, v0, v8
	s_delay_alu instid0(VALU_DEP_1)
	v_add_co_ci_u32_e64 v6, s3, 0, v1, s3
	s_mul_hi_u32 s3, s4, s15
	v_lshlrev_b64 v[0:1], 4, v[2:3]
	s_add_i32 s5, s3, s5
	s_mul_i32 s4, s4, s15
	v_add_co_u32 v2, s3, v5, s26
	s_lshl_b64 s[4:5], s[4:5], 4
	v_add_co_ci_u32_e64 v3, s3, s27, v6, s3
	v_mov_b32_e32 v7, 0
	v_add_co_u32 v0, s3, v0, s4
	v_mov_b32_e32 v8, 0
	v_add_co_ci_u32_e64 v1, s3, s5, v1, s3
	v_add_co_u32 v5, s3, v2, 8
	s_delay_alu instid0(VALU_DEP_1) | instskip(NEXT) | instid1(VALU_DEP_4)
	v_add_co_ci_u32_e64 v6, s3, 0, v3, s3
	v_dual_mov_b32 v12, v8 :: v_dual_mov_b32 v11, v7
	v_add_co_u32 v0, s3, v0, v4
	s_delay_alu instid0(VALU_DEP_1) | instskip(SKIP_1) | instid1(VALU_DEP_3)
	v_add_co_ci_u32_e64 v1, s3, 0, v1, s3
	v_mov_b32_e32 v14, v8
	v_add_co_u32 v9, s3, s22, v0
	v_mov_b32_e32 v18, v8
	v_mov_b32_e32 v16, v8
	v_mov_b32_e32 v22, v8
	v_mov_b32_e32 v20, v8
	v_mov_b32_e32 v26, v8
	v_dual_mov_b32 v24, v8 :: v_dual_mov_b32 v23, v7
	v_add_co_ci_u32_e64 v10, s3, s23, v1, s3
	v_dual_mov_b32 v0, 0 :: v_dual_mov_b32 v13, v7
	v_mov_b32_e32 v17, v7
	v_mov_b32_e32 v15, v7
	v_mov_b32_e32 v21, v7
	v_mov_b32_e32 v19, v7
	v_mov_b32_e32 v25, v7
	s_xor_b32 s3, s2, -1
	s_branch .LBB300_3
.LBB300_2:                              ;   in Loop: Header=BB300_3 Depth=1
	s_or_b32 exec_lo, exec_lo, s2
	s_waitcnt lgkmcnt(0)
	s_barrier
	buffer_gl0_inv
	ds_load_b128 v[1:4], v31
	ds_load_b128 v[35:38], v30
	ds_load_b128 v[39:42], v30 offset:256
	ds_load_b128 v[43:46], v31 offset:2048
	ds_load_b128 v[47:50], v31 offset:16
	ds_load_b128 v[51:54], v31 offset:2064
	ds_load_b128 v[55:58], v30 offset:512
	ds_load_b128 v[59:62], v30 offset:768
	ds_load_b128 v[63:66], v30 offset:1024
	ds_load_b128 v[67:70], v30 offset:1280
	ds_load_b128 v[71:74], v31 offset:2080
	v_add_co_u32 v5, s2, 0x80, v5
	s_delay_alu instid0(VALU_DEP_1) | instskip(SKIP_1) | instid1(VALU_DEP_1)
	v_add_co_ci_u32_e64 v6, s2, 0, v6, s2
	v_add_co_u32 v9, s2, 0x80, v9
	v_add_co_ci_u32_e64 v10, s2, 0, v10, s2
	s_add_i32 s14, s14, 8
	s_delay_alu instid0(SALU_CYCLE_1)
	s_cmp_ge_i32 s14, s25
	s_waitcnt lgkmcnt(9)
	v_mul_f64 v[75:76], v[3:4], v[37:38]
	v_mul_f64 v[77:78], v[1:2], v[37:38]
	s_waitcnt lgkmcnt(8)
	v_mul_f64 v[79:80], v[3:4], v[41:42]
	v_mul_f64 v[81:82], v[1:2], v[41:42]
	;; [unrolled: 3-line block ×3, first 2 shown]
	v_mul_f64 v[85:86], v[45:46], v[41:42]
	v_mul_f64 v[41:42], v[43:44], v[41:42]
	s_waitcnt lgkmcnt(4)
	v_mul_f64 v[87:88], v[49:50], v[57:58]
	v_mul_f64 v[89:90], v[47:48], v[57:58]
	s_waitcnt lgkmcnt(3)
	v_mul_f64 v[91:92], v[49:50], v[61:62]
	v_mul_f64 v[93:94], v[47:48], v[61:62]
	;; [unrolled: 1-line block ×6, first 2 shown]
	s_waitcnt lgkmcnt(0)
	v_mul_f64 v[115:116], v[73:74], v[65:66]
	v_mul_f64 v[117:118], v[73:74], v[69:70]
	v_fma_f64 v[99:100], v[1:2], v[35:36], -v[75:76]
	v_fma_f64 v[101:102], v[3:4], v[35:36], v[77:78]
	v_fma_f64 v[79:80], v[1:2], v[39:40], -v[79:80]
	v_fma_f64 v[81:82], v[3:4], v[39:40], v[81:82]
	;; [unrolled: 2-line block ×4, first 2 shown]
	ds_load_b128 v[75:78], v31 offset:32
	v_fma_f64 v[87:88], v[47:48], v[55:56], -v[87:88]
	v_fma_f64 v[89:90], v[49:50], v[55:56], v[89:90]
	v_fma_f64 v[47:48], v[47:48], v[59:60], -v[91:92]
	v_fma_f64 v[49:50], v[49:50], v[59:60], v[93:94]
	;; [unrolled: 2-line block ×4, first 2 shown]
	ds_load_b128 v[1:4], v31 offset:48
	ds_load_b128 v[35:38], v31 offset:2096
	;; [unrolled: 1-line block ×4, first 2 shown]
	s_waitcnt lgkmcnt(4)
	v_mul_f64 v[107:108], v[77:78], v[65:66]
	v_mul_f64 v[109:110], v[75:76], v[65:66]
	;; [unrolled: 1-line block ×6, first 2 shown]
	s_waitcnt lgkmcnt(1)
	v_mul_f64 v[93:94], v[1:2], v[41:42]
	s_waitcnt lgkmcnt(0)
	v_mul_f64 v[95:96], v[3:4], v[45:46]
	v_add_f64 v[23:24], v[23:24], v[99:100]
	v_add_f64 v[25:26], v[25:26], v[101:102]
	;; [unrolled: 1-line block ×8, first 2 shown]
	v_mul_f64 v[85:86], v[3:4], v[41:42]
	v_mul_f64 v[97:98], v[1:2], v[45:46]
	v_mul_f64 v[99:100], v[37:38], v[41:42]
	v_mul_f64 v[41:42], v[35:36], v[41:42]
	v_mul_f64 v[101:102], v[37:38], v[45:46]
	v_mul_f64 v[103:104], v[35:36], v[45:46]
	ds_load_b128 v[11:14], v30 offset:2048
	ds_load_b128 v[15:18], v30 offset:2304
	;; [unrolled: 1-line block ×3, first 2 shown]
	v_fma_f64 v[105:106], v[75:76], v[63:64], -v[107:108]
	v_fma_f64 v[107:108], v[77:78], v[63:64], v[109:110]
	v_fma_f64 v[75:76], v[75:76], v[67:68], -v[111:112]
	v_fma_f64 v[77:78], v[77:78], v[67:68], v[113:114]
	v_fma_f64 v[109:110], v[71:72], v[63:64], -v[115:116]
	v_fma_f64 v[63:64], v[73:74], v[63:64], v[65:66]
	v_fma_f64 v[65:66], v[71:72], v[67:68], -v[117:118]
	v_fma_f64 v[67:68], v[73:74], v[67:68], v[69:70]
	s_waitcnt lgkmcnt(0)
	v_mul_f64 v[115:116], v[21:22], v[13:14]
	v_mul_f64 v[117:118], v[21:22], v[17:18]
	v_add_f64 v[69:70], v[23:24], v[87:88]
	v_add_f64 v[71:72], v[25:26], v[89:90]
	;; [unrolled: 1-line block ×8, first 2 shown]
	ds_load_b128 v[23:26], v31 offset:64
	v_fma_f64 v[85:86], v[1:2], v[39:40], -v[85:86]
	v_fma_f64 v[93:94], v[3:4], v[39:40], v[93:94]
	v_fma_f64 v[95:96], v[1:2], v[43:44], -v[95:96]
	v_fma_f64 v[97:98], v[3:4], v[43:44], v[97:98]
	;; [unrolled: 2-line block ×4, first 2 shown]
	ds_load_b128 v[45:48], v31 offset:80
	ds_load_b128 v[49:52], v31 offset:2128
	;; [unrolled: 1-line block ×7, first 2 shown]
	s_waitcnt lgkmcnt(7)
	v_mul_f64 v[89:90], v[25:26], v[13:14]
	v_mul_f64 v[91:92], v[23:24], v[13:14]
	;; [unrolled: 1-line block ×6, first 2 shown]
	s_waitcnt lgkmcnt(3)
	v_mul_f64 v[103:104], v[51:52], v[59:60]
	v_add_f64 v[69:70], v[69:70], v[105:106]
	v_add_f64 v[71:72], v[71:72], v[107:108]
	v_add_f64 v[73:74], v[73:74], v[75:76]
	v_add_f64 v[75:76], v[87:88], v[77:78]
	v_add_f64 v[61:62], v[61:62], v[109:110]
	v_add_f64 v[63:64], v[79:80], v[63:64]
	v_add_f64 v[65:66], v[81:82], v[65:66]
	v_add_f64 v[67:68], v[83:84], v[67:68]
	v_mul_f64 v[77:78], v[47:48], v[55:56]
	v_mul_f64 v[79:80], v[45:46], v[55:56]
	;; [unrolled: 1-line block ×7, first 2 shown]
	v_fma_f64 v[89:90], v[23:24], v[11:12], -v[89:90]
	v_fma_f64 v[91:92], v[25:26], v[11:12], v[91:92]
	v_fma_f64 v[107:108], v[23:24], v[15:16], -v[111:112]
	v_fma_f64 v[109:110], v[25:26], v[15:16], v[113:114]
	;; [unrolled: 2-line block ×4, first 2 shown]
	ds_load_b128 v[11:14], v31 offset:96
	v_add_f64 v[69:70], v[69:70], v[85:86]
	v_add_f64 v[71:72], v[71:72], v[93:94]
	;; [unrolled: 1-line block ×8, first 2 shown]
	s_waitcnt lgkmcnt(1)
	v_mul_f64 v[99:100], v[41:42], v[3:4]
	v_mul_f64 v[101:102], v[41:42], v[37:38]
	v_fma_f64 v[77:78], v[45:46], v[53:54], -v[77:78]
	v_fma_f64 v[79:80], v[47:48], v[53:54], v[79:80]
	v_fma_f64 v[45:46], v[45:46], v[57:58], -v[81:82]
	v_fma_f64 v[47:48], v[47:48], v[57:58], v[83:84]
	;; [unrolled: 2-line block ×4, first 2 shown]
	s_waitcnt lgkmcnt(0)
	v_mul_f64 v[67:68], v[13:14], v[3:4]
	v_mul_f64 v[93:94], v[11:12], v[3:4]
	;; [unrolled: 1-line block ×6, first 2 shown]
	ds_load_b128 v[15:18], v31 offset:112
	ds_load_b128 v[19:22], v31 offset:2160
	;; [unrolled: 1-line block ×4, first 2 shown]
	s_waitcnt lgkmcnt(0)
	s_barrier
	buffer_gl0_inv
	v_add_f64 v[55:56], v[69:70], v[89:90]
	v_add_f64 v[57:58], v[71:72], v[91:92]
	;; [unrolled: 1-line block ×8, first 2 shown]
	v_mul_f64 v[75:76], v[17:18], v[25:26]
	v_mul_f64 v[83:84], v[15:16], v[25:26]
	;; [unrolled: 1-line block ×8, first 2 shown]
	v_fma_f64 v[67:68], v[11:12], v[1:2], -v[67:68]
	v_fma_f64 v[93:94], v[13:14], v[1:2], v[93:94]
	v_fma_f64 v[11:12], v[11:12], v[35:36], -v[95:96]
	v_fma_f64 v[13:14], v[13:14], v[35:36], v[97:98]
	;; [unrolled: 2-line block ×4, first 2 shown]
	v_add_f64 v[37:38], v[55:56], v[77:78]
	v_add_f64 v[39:40], v[57:58], v[79:80]
	;; [unrolled: 1-line block ×8, first 2 shown]
	v_fma_f64 v[51:52], v[15:16], v[23:24], -v[75:76]
	v_fma_f64 v[55:56], v[17:18], v[23:24], v[83:84]
	v_fma_f64 v[15:16], v[15:16], v[59:60], -v[85:86]
	v_fma_f64 v[17:18], v[17:18], v[59:60], v[87:88]
	;; [unrolled: 2-line block ×4, first 2 shown]
	v_add_f64 v[19:20], v[37:38], v[67:68]
	v_add_f64 v[21:22], v[39:40], v[93:94]
	;; [unrolled: 1-line block ×16, first 2 shown]
	s_cbranch_scc1 .LBB300_9
.LBB300_3:                              ; =>This Inner Loop Header: Depth=1
	v_add_nc_u32_e32 v1, s14, v32
	v_dual_mov_b32 v3, v7 :: v_dual_mov_b32 v4, v8
	s_delay_alu instid0(VALU_DEP_2) | instskip(SKIP_1) | instid1(VALU_DEP_2)
	v_cmp_gt_i32_e64 s2, s25, v1
	v_dual_mov_b32 v1, v7 :: v_dual_mov_b32 v2, v8
	s_and_b32 s4, vcc_lo, s2
	s_delay_alu instid0(SALU_CYCLE_1)
	s_and_saveexec_b32 s2, s4
	s_cbranch_execz .LBB300_5
; %bb.4:                                ;   in Loop: Header=BB300_3 Depth=1
	global_load_b128 v[1:4], v[5:6], off offset:-8
.LBB300_5:                              ;   in Loop: Header=BB300_3 Depth=1
	s_or_b32 exec_lo, exec_lo, s2
	v_add_nc_u32_e32 v35, s14, v29
	s_waitcnt vmcnt(0)
	ds_store_b128 v33, v[1:4]
	v_cmp_le_i32_e64 s2, s25, v35
	s_delay_alu instid0(VALU_DEP_1) | instskip(NEXT) | instid1(SALU_CYCLE_1)
	s_or_b32 s2, s2, s3
	s_and_saveexec_b32 s4, s2
	s_delay_alu instid0(SALU_CYCLE_1)
	s_xor_b32 s2, exec_lo, s4
	s_cbranch_execz .LBB300_7
; %bb.6:                                ;   in Loop: Header=BB300_3 Depth=1
	v_mov_b32_e32 v1, v0
	v_mov_b32_e32 v2, v0
	;; [unrolled: 1-line block ×3, first 2 shown]
	ds_store_b128 v34, v[0:3]
.LBB300_7:                              ;   in Loop: Header=BB300_3 Depth=1
	s_and_not1_saveexec_b32 s2, s2
	s_cbranch_execz .LBB300_2
; %bb.8:                                ;   in Loop: Header=BB300_3 Depth=1
	global_load_b128 v[1:4], v[9:10], off
	s_waitcnt vmcnt(0)
	ds_store_2addr_b64 v34, v[1:2], v[3:4] offset1:1
	s_branch .LBB300_2
.LBB300_9:
	s_clause 0x1
	s_load_b32 s2, s[0:1], 0x60
	s_load_b64 s[4:5], s[0:1], 0x68
	v_add_nc_u32_e32 v4, s13, v28
	v_add_nc_u32_e32 v0, s12, v27
	s_delay_alu instid0(VALU_DEP_1)
	v_cmp_le_i32_e64 s0, v4, v0
	v_cmp_gt_i32_e32 vcc_lo, s24, v0
	s_waitcnt lgkmcnt(0)
	v_mad_i64_i32 v[1:2], null, v4, s2, 0
	s_mul_i32 s1, s15, s5
	s_mul_hi_u32 s3, s15, s4
	s_mul_i32 s4, s15, s4
	s_add_i32 s5, s3, s1
	s_delay_alu instid0(SALU_CYCLE_1) | instskip(NEXT) | instid1(VALU_DEP_1)
	s_lshl_b64 s[4:5], s[4:5], 4
	v_lshlrev_b64 v[1:2], 4, v[1:2]
	s_add_u32 s3, s10, s4
	s_addc_u32 s4, s11, s5
	s_and_b32 s0, s0, vcc_lo
	s_delay_alu instid0(VALU_DEP_1) | instskip(NEXT) | instid1(VALU_DEP_1)
	v_add_co_u32 v5, s1, s3, v1
	v_add_co_ci_u32_e64 v6, s1, s4, v2, s1
	s_and_saveexec_b32 s1, s0
	s_cbranch_execz .LBB300_11
; %bb.10:
	v_ashrrev_i32_e32 v1, 31, v0
	v_mul_f64 v[27:28], s[18:19], v[25:26]
	v_mul_f64 v[25:26], s[16:17], v[25:26]
	s_delay_alu instid0(VALU_DEP_3) | instskip(NEXT) | instid1(VALU_DEP_1)
	v_lshlrev_b64 v[1:2], 4, v[0:1]
	v_add_co_u32 v1, s0, v5, v1
	s_delay_alu instid0(VALU_DEP_1)
	v_add_co_ci_u32_e64 v2, s0, v6, v2, s0
	global_load_b128 v[7:10], v[1:2], off
	v_fma_f64 v[27:28], s[16:17], v[23:24], -v[27:28]
	v_fma_f64 v[23:24], s[18:19], v[23:24], v[25:26]
	s_waitcnt vmcnt(0)
	v_mul_f64 v[29:30], s[8:9], v[9:10]
	v_mul_f64 v[9:10], s[6:7], v[9:10]
	s_delay_alu instid0(VALU_DEP_2) | instskip(NEXT) | instid1(VALU_DEP_2)
	v_fma_f64 v[25:26], s[6:7], v[7:8], -v[29:30]
	v_fma_f64 v[9:10], s[8:9], v[7:8], v[9:10]
	s_delay_alu instid0(VALU_DEP_2) | instskip(NEXT) | instid1(VALU_DEP_2)
	v_add_f64 v[7:8], v[27:28], v[25:26]
	v_add_f64 v[9:10], v[23:24], v[9:10]
	global_store_b128 v[1:2], v[7:10], off
.LBB300_11:
	s_or_b32 exec_lo, exec_lo, s1
	v_add_nc_u32_e32 v2, 16, v0
	s_delay_alu instid0(VALU_DEP_1) | instskip(SKIP_1) | instid1(VALU_DEP_1)
	v_cmp_le_i32_e64 s1, v4, v2
	v_cmp_gt_i32_e64 s0, s24, v2
	s_and_b32 s1, s1, s0
	s_delay_alu instid0(SALU_CYCLE_1)
	s_and_saveexec_b32 s5, s1
	s_cbranch_execz .LBB300_13
; %bb.12:
	v_ashrrev_i32_e32 v3, 31, v2
	v_mul_f64 v[23:24], s[18:19], v[21:22]
	v_mul_f64 v[21:22], s[16:17], v[21:22]
	s_delay_alu instid0(VALU_DEP_3) | instskip(NEXT) | instid1(VALU_DEP_1)
	v_lshlrev_b64 v[7:8], 4, v[2:3]
	v_add_co_u32 v9, s1, v5, v7
	s_delay_alu instid0(VALU_DEP_1)
	v_add_co_ci_u32_e64 v10, s1, v6, v8, s1
	global_load_b128 v[5:8], v[9:10], off
	v_fma_f64 v[23:24], s[16:17], v[19:20], -v[23:24]
	v_fma_f64 v[19:20], s[18:19], v[19:20], v[21:22]
	s_waitcnt vmcnt(0)
	v_mul_f64 v[25:26], s[8:9], v[7:8]
	v_mul_f64 v[7:8], s[6:7], v[7:8]
	s_delay_alu instid0(VALU_DEP_2) | instskip(NEXT) | instid1(VALU_DEP_2)
	v_fma_f64 v[21:22], s[6:7], v[5:6], -v[25:26]
	v_fma_f64 v[7:8], s[8:9], v[5:6], v[7:8]
	s_delay_alu instid0(VALU_DEP_2) | instskip(NEXT) | instid1(VALU_DEP_2)
	v_add_f64 v[5:6], v[23:24], v[21:22]
	v_add_f64 v[7:8], v[19:20], v[7:8]
	global_store_b128 v[9:10], v[5:8], off
.LBB300_13:
	s_or_b32 exec_lo, exec_lo, s5
	v_add_nc_u32_e32 v3, 16, v4
	s_delay_alu instid0(VALU_DEP_1) | instskip(SKIP_1) | instid1(VALU_DEP_2)
	v_mad_i64_i32 v[4:5], null, v3, s2, 0
	v_cmp_le_i32_e64 s1, v3, v0
	v_lshlrev_b64 v[4:5], 4, v[4:5]
	s_delay_alu instid0(VALU_DEP_1) | instskip(NEXT) | instid1(VALU_DEP_1)
	v_add_co_u32 v4, s2, s3, v4
	v_add_co_ci_u32_e64 v5, s2, s4, v5, s2
	s_delay_alu instid0(VALU_DEP_4) | instskip(NEXT) | instid1(SALU_CYCLE_1)
	s_and_b32 s2, s1, vcc_lo
	s_and_saveexec_b32 s1, s2
	s_cbranch_execz .LBB300_15
; %bb.14:
	v_ashrrev_i32_e32 v1, 31, v0
	v_mul_f64 v[19:20], s[18:19], v[17:18]
	v_mul_f64 v[17:18], s[16:17], v[17:18]
	s_delay_alu instid0(VALU_DEP_3) | instskip(NEXT) | instid1(VALU_DEP_1)
	v_lshlrev_b64 v[0:1], 4, v[0:1]
	v_add_co_u32 v0, vcc_lo, v4, v0
	s_delay_alu instid0(VALU_DEP_2)
	v_add_co_ci_u32_e32 v1, vcc_lo, v5, v1, vcc_lo
	global_load_b128 v[6:9], v[0:1], off
	v_fma_f64 v[19:20], s[16:17], v[15:16], -v[19:20]
	v_fma_f64 v[15:16], s[18:19], v[15:16], v[17:18]
	s_waitcnt vmcnt(0)
	v_mul_f64 v[21:22], s[8:9], v[8:9]
	v_mul_f64 v[8:9], s[6:7], v[8:9]
	s_delay_alu instid0(VALU_DEP_2) | instskip(NEXT) | instid1(VALU_DEP_2)
	v_fma_f64 v[17:18], s[6:7], v[6:7], -v[21:22]
	v_fma_f64 v[8:9], s[8:9], v[6:7], v[8:9]
	s_delay_alu instid0(VALU_DEP_2) | instskip(NEXT) | instid1(VALU_DEP_2)
	v_add_f64 v[6:7], v[19:20], v[17:18]
	v_add_f64 v[8:9], v[15:16], v[8:9]
	global_store_b128 v[0:1], v[6:9], off
.LBB300_15:
	s_or_b32 exec_lo, exec_lo, s1
	v_cmp_le_i32_e32 vcc_lo, v3, v2
	s_and_b32 s0, vcc_lo, s0
	s_delay_alu instid0(SALU_CYCLE_1)
	s_and_saveexec_b32 s1, s0
	s_cbranch_execz .LBB300_17
; %bb.16:
	v_ashrrev_i32_e32 v3, 31, v2
	v_mul_f64 v[6:7], s[18:19], v[13:14]
	v_mul_f64 v[8:9], s[16:17], v[13:14]
	s_delay_alu instid0(VALU_DEP_3) | instskip(NEXT) | instid1(VALU_DEP_1)
	v_lshlrev_b64 v[0:1], 4, v[2:3]
	v_add_co_u32 v4, vcc_lo, v4, v0
	s_delay_alu instid0(VALU_DEP_2)
	v_add_co_ci_u32_e32 v5, vcc_lo, v5, v1, vcc_lo
	global_load_b128 v[0:3], v[4:5], off
	v_fma_f64 v[6:7], s[16:17], v[11:12], -v[6:7]
	v_fma_f64 v[8:9], s[18:19], v[11:12], v[8:9]
	s_waitcnt vmcnt(0)
	v_mul_f64 v[13:14], s[8:9], v[2:3]
	v_mul_f64 v[2:3], s[6:7], v[2:3]
	s_delay_alu instid0(VALU_DEP_2) | instskip(NEXT) | instid1(VALU_DEP_2)
	v_fma_f64 v[10:11], s[6:7], v[0:1], -v[13:14]
	v_fma_f64 v[2:3], s[8:9], v[0:1], v[2:3]
	s_delay_alu instid0(VALU_DEP_2) | instskip(NEXT) | instid1(VALU_DEP_2)
	v_add_f64 v[0:1], v[6:7], v[10:11]
	v_add_f64 v[2:3], v[8:9], v[2:3]
	global_store_b128 v[4:5], v[0:3], off
.LBB300_17:
	s_nop 0
	s_sendmsg sendmsg(MSG_DEALLOC_VGPRS)
	s_endpgm
	.section	.rodata,"a",@progbits
	.p2align	6, 0x0
	.amdhsa_kernel _ZL34rocblas_syrkx_herkx_general_kernelIi19rocblas_complex_numIdELi16ELi32ELi8ELb0ELb0ELc67ELc76EKS1_S1_EviT_T0_PT8_S3_lS6_S3_lS4_PT9_S3_li
		.amdhsa_group_segment_fixed_size 8192
		.amdhsa_private_segment_fixed_size 0
		.amdhsa_kernarg_size 116
		.amdhsa_user_sgpr_count 13
		.amdhsa_user_sgpr_dispatch_ptr 0
		.amdhsa_user_sgpr_queue_ptr 0
		.amdhsa_user_sgpr_kernarg_segment_ptr 1
		.amdhsa_user_sgpr_dispatch_id 0
		.amdhsa_user_sgpr_private_segment_size 0
		.amdhsa_wavefront_size32 1
		.amdhsa_uses_dynamic_stack 0
		.amdhsa_enable_private_segment 0
		.amdhsa_system_sgpr_workgroup_id_x 1
		.amdhsa_system_sgpr_workgroup_id_y 1
		.amdhsa_system_sgpr_workgroup_id_z 1
		.amdhsa_system_sgpr_workgroup_info 0
		.amdhsa_system_vgpr_workitem_id 1
		.amdhsa_next_free_vgpr 121
		.amdhsa_next_free_sgpr 29
		.amdhsa_reserve_vcc 1
		.amdhsa_float_round_mode_32 0
		.amdhsa_float_round_mode_16_64 0
		.amdhsa_float_denorm_mode_32 3
		.amdhsa_float_denorm_mode_16_64 3
		.amdhsa_dx10_clamp 1
		.amdhsa_ieee_mode 1
		.amdhsa_fp16_overflow 0
		.amdhsa_workgroup_processor_mode 1
		.amdhsa_memory_ordered 1
		.amdhsa_forward_progress 0
		.amdhsa_shared_vgpr_count 0
		.amdhsa_exception_fp_ieee_invalid_op 0
		.amdhsa_exception_fp_denorm_src 0
		.amdhsa_exception_fp_ieee_div_zero 0
		.amdhsa_exception_fp_ieee_overflow 0
		.amdhsa_exception_fp_ieee_underflow 0
		.amdhsa_exception_fp_ieee_inexact 0
		.amdhsa_exception_int_div_zero 0
	.end_amdhsa_kernel
	.section	.text._ZL34rocblas_syrkx_herkx_general_kernelIi19rocblas_complex_numIdELi16ELi32ELi8ELb0ELb0ELc67ELc76EKS1_S1_EviT_T0_PT8_S3_lS6_S3_lS4_PT9_S3_li,"axG",@progbits,_ZL34rocblas_syrkx_herkx_general_kernelIi19rocblas_complex_numIdELi16ELi32ELi8ELb0ELb0ELc67ELc76EKS1_S1_EviT_T0_PT8_S3_lS6_S3_lS4_PT9_S3_li,comdat
.Lfunc_end300:
	.size	_ZL34rocblas_syrkx_herkx_general_kernelIi19rocblas_complex_numIdELi16ELi32ELi8ELb0ELb0ELc67ELc76EKS1_S1_EviT_T0_PT8_S3_lS6_S3_lS4_PT9_S3_li, .Lfunc_end300-_ZL34rocblas_syrkx_herkx_general_kernelIi19rocblas_complex_numIdELi16ELi32ELi8ELb0ELb0ELc67ELc76EKS1_S1_EviT_T0_PT8_S3_lS6_S3_lS4_PT9_S3_li
                                        ; -- End function
	.section	.AMDGPU.csdata,"",@progbits
; Kernel info:
; codeLenInByte = 3520
; NumSgprs: 31
; NumVgprs: 121
; ScratchSize: 0
; MemoryBound: 1
; FloatMode: 240
; IeeeMode: 1
; LDSByteSize: 8192 bytes/workgroup (compile time only)
; SGPRBlocks: 3
; VGPRBlocks: 15
; NumSGPRsForWavesPerEU: 31
; NumVGPRsForWavesPerEU: 121
; Occupancy: 10
; WaveLimiterHint : 0
; COMPUTE_PGM_RSRC2:SCRATCH_EN: 0
; COMPUTE_PGM_RSRC2:USER_SGPR: 13
; COMPUTE_PGM_RSRC2:TRAP_HANDLER: 0
; COMPUTE_PGM_RSRC2:TGID_X_EN: 1
; COMPUTE_PGM_RSRC2:TGID_Y_EN: 1
; COMPUTE_PGM_RSRC2:TGID_Z_EN: 1
; COMPUTE_PGM_RSRC2:TIDIG_COMP_CNT: 1
	.section	.text._ZL34rocblas_syrkx_herkx_general_kernelIi19rocblas_complex_numIdELi16ELi32ELi8ELb0ELb0ELc78ELc76EKS1_S1_EviT_T0_PT8_S3_lS6_S3_lS4_PT9_S3_li,"axG",@progbits,_ZL34rocblas_syrkx_herkx_general_kernelIi19rocblas_complex_numIdELi16ELi32ELi8ELb0ELb0ELc78ELc76EKS1_S1_EviT_T0_PT8_S3_lS6_S3_lS4_PT9_S3_li,comdat
	.globl	_ZL34rocblas_syrkx_herkx_general_kernelIi19rocblas_complex_numIdELi16ELi32ELi8ELb0ELb0ELc78ELc76EKS1_S1_EviT_T0_PT8_S3_lS6_S3_lS4_PT9_S3_li ; -- Begin function _ZL34rocblas_syrkx_herkx_general_kernelIi19rocblas_complex_numIdELi16ELi32ELi8ELb0ELb0ELc78ELc76EKS1_S1_EviT_T0_PT8_S3_lS6_S3_lS4_PT9_S3_li
	.p2align	8
	.type	_ZL34rocblas_syrkx_herkx_general_kernelIi19rocblas_complex_numIdELi16ELi32ELi8ELb0ELb0ELc78ELc76EKS1_S1_EviT_T0_PT8_S3_lS6_S3_lS4_PT9_S3_li,@function
_ZL34rocblas_syrkx_herkx_general_kernelIi19rocblas_complex_numIdELi16ELi32ELi8ELb0ELb0ELc78ELc76EKS1_S1_EviT_T0_PT8_S3_lS6_S3_lS4_PT9_S3_li: ; @_ZL34rocblas_syrkx_herkx_general_kernelIi19rocblas_complex_numIdELi16ELi32ELi8ELb0ELb0ELc78ELc76EKS1_S1_EviT_T0_PT8_S3_lS6_S3_lS4_PT9_S3_li
; %bb.0:
	s_clause 0x3
	s_load_b64 s[24:25], s[0:1], 0x0
	s_load_b128 s[16:19], s[0:1], 0x8
	s_load_b64 s[26:27], s[0:1], 0x18
	s_load_b256 s[4:11], s[0:1], 0x40
	v_mov_b32_e32 v21, 0
	v_dual_mov_b32 v22, 0 :: v_dual_and_b32 v25, 0x3ff, v0
	v_bfe_u32 v26, v0, 10, 10
	s_delay_alu instid0(VALU_DEP_3) | instskip(NEXT) | instid1(VALU_DEP_3)
	v_mov_b32_e32 v17, v21
	v_dual_mov_b32 v19, v21 :: v_dual_mov_b32 v20, v22
	v_dual_mov_b32 v24, v22 :: v_dual_mov_b32 v23, v21
	;; [unrolled: 1-line block ×6, first 2 shown]
	v_mov_b32_e32 v12, v22
	s_lshl_b32 s30, s13, 5
	s_lshl_b32 s14, s14, 5
	s_waitcnt lgkmcnt(0)
	s_cmp_lt_i32 s25, 1
	s_mov_b32 s31, 0
	s_cbranch_scc1 .LBB301_9
; %bb.1:
	s_load_b32 s12, s[0:1], 0x20
	v_lshl_add_u32 v0, v26, 4, v25
	s_clause 0x1
	s_load_b128 s[20:23], s[0:1], 0x28
	s_load_b32 s28, s[0:1], 0x38
	v_and_b32_e32 v27, 7, v25
	v_dual_mov_b32 v11, 0 :: v_dual_lshlrev_b32 v28, 4, v25
	v_and_b32_e32 v1, 31, v0
	v_lshrrev_b32_e32 v2, 3, v0
	v_lshrrev_b32_e32 v30, 5, v0
	v_dual_mov_b32 v12, 0 :: v_dual_lshlrev_b32 v3, 4, v27
	s_delay_alu instid0(VALU_DEP_4) | instskip(NEXT) | instid1(VALU_DEP_4)
	v_or_b32_e32 v4, s30, v1
	v_dual_mov_b32 v9, v11 :: v_dual_add_nc_u32 v0, s14, v2
	s_delay_alu instid0(VALU_DEP_3) | instskip(NEXT) | instid1(VALU_DEP_4)
	v_mov_b32_e32 v10, v12
	v_lshl_or_b32 v6, v2, 7, v3
	s_delay_alu instid0(VALU_DEP_4)
	v_cmp_gt_i32_e64 s2, s24, v4
	v_dual_mov_b32 v16, v12 :: v_dual_lshlrev_b32 v5, 4, v1
	v_dual_mov_b32 v15, v11 :: v_dual_add_nc_u32 v2, s30, v1
	s_waitcnt lgkmcnt(0)
	v_mad_i64_i32 v[3:4], null, v30, s12, 0
	s_mul_i32 s3, s21, s15
	s_mul_hi_u32 s21, s20, s15
	v_lshl_or_b32 v31, v30, 9, v5
	v_add_nc_u32_e32 v32, 0x1000, v6
	v_mad_i64_i32 v[5:6], null, s28, v27, 0
	s_delay_alu instid0(VALU_DEP_4)
	v_lshlrev_b64 v[3:4], 4, v[3:4]
	s_mul_i32 s20, s20, s15
	s_add_i32 s21, s21, s3
	v_ashrrev_i32_e32 v1, 31, v0
	s_lshl_b64 s[20:21], s[20:21], 4
	v_cmp_gt_i32_e32 vcc_lo, s24, v0
	v_add_co_u32 v7, s3, v3, s20
	v_ashrrev_i32_e32 v3, 31, v2
	v_add_co_ci_u32_e64 v8, s3, s21, v4, s3
	s_mul_i32 s3, s5, s15
	s_mul_hi_u32 s5, s4, s15
	v_lshlrev_b64 v[4:5], 4, v[5:6]
	s_add_i32 s5, s5, s3
	s_mul_i32 s4, s4, s15
	v_lshlrev_b64 v[2:3], 4, v[2:3]
	s_lshl_b64 s[4:5], s[4:5], 4
	v_lshlrev_b64 v[0:1], 4, v[0:1]
	v_add_co_u32 v4, s3, s4, v4
	s_delay_alu instid0(VALU_DEP_1) | instskip(NEXT) | instid1(VALU_DEP_4)
	v_add_co_ci_u32_e64 v5, s3, s5, v5, s3
	v_add_co_u32 v2, s3, v7, v2
	s_delay_alu instid0(VALU_DEP_1) | instskip(NEXT) | instid1(VALU_DEP_4)
	v_add_co_ci_u32_e64 v3, s3, v8, v3, s3
	;; [unrolled: 3-line block ×4, first 2 shown]
	v_add_co_u32 v0, s3, v0, s22
	s_delay_alu instid0(VALU_DEP_1) | instskip(SKIP_1) | instid1(VALU_DEP_3)
	v_add_co_ci_u32_e64 v1, s3, s23, v1, s3
	v_mov_b32_e32 v14, v12
	v_add_co_u32 v7, s3, v0, 8
	v_mov_b32_e32 v20, v12
	v_mov_b32_e32 v18, v12
	;; [unrolled: 1-line block ×3, first 2 shown]
	v_dual_mov_b32 v22, v12 :: v_dual_mov_b32 v21, v11
	v_lshl_add_u32 v29, v26, 7, 0x1000
	v_add_co_ci_u32_e64 v8, s3, 0, v1, s3
	v_dual_mov_b32 v0, 0 :: v_dual_mov_b32 v13, v11
	v_mov_b32_e32 v19, v11
	v_mov_b32_e32 v17, v11
	;; [unrolled: 1-line block ×3, first 2 shown]
	s_ashr_i32 s13, s12, 31
	s_ashr_i32 s29, s28, 31
	s_lshl_b64 s[4:5], s[12:13], 7
	s_lshl_b64 s[12:13], s[28:29], 7
	s_xor_b32 s3, s2, -1
	s_branch .LBB301_3
.LBB301_2:                              ;   in Loop: Header=BB301_3 Depth=1
	s_or_b32 exec_lo, exec_lo, s2
	s_waitcnt vmcnt(0)
	ds_store_b128 v32, v[1:4]
	s_waitcnt lgkmcnt(0)
	s_barrier
	buffer_gl0_inv
	ds_load_b128 v[1:4], v29
	ds_load_b128 v[33:36], v28
	ds_load_b128 v[37:40], v28 offset:256
	ds_load_b128 v[41:44], v29 offset:2048
	;; [unrolled: 1-line block ×9, first 2 shown]
	v_add_co_u32 v5, s2, v5, s4
	s_delay_alu instid0(VALU_DEP_1) | instskip(SKIP_1) | instid1(VALU_DEP_1)
	v_add_co_ci_u32_e64 v6, s2, s5, v6, s2
	v_add_co_u32 v7, s2, v7, s12
	v_add_co_ci_u32_e64 v8, s2, s13, v8, s2
	s_add_i32 s31, s31, 8
	s_delay_alu instid0(SALU_CYCLE_1)
	s_cmp_ge_i32 s31, s25
	s_waitcnt lgkmcnt(9)
	v_mul_f64 v[73:74], v[3:4], v[35:36]
	v_mul_f64 v[75:76], v[1:2], v[35:36]
	s_waitcnt lgkmcnt(8)
	v_mul_f64 v[77:78], v[3:4], v[39:40]
	v_mul_f64 v[79:80], v[1:2], v[39:40]
	;; [unrolled: 3-line block ×3, first 2 shown]
	v_mul_f64 v[83:84], v[43:44], v[39:40]
	v_mul_f64 v[39:40], v[41:42], v[39:40]
	s_waitcnt lgkmcnt(4)
	v_mul_f64 v[85:86], v[47:48], v[55:56]
	v_mul_f64 v[87:88], v[45:46], v[55:56]
	s_waitcnt lgkmcnt(3)
	v_mul_f64 v[89:90], v[47:48], v[59:60]
	v_mul_f64 v[91:92], v[45:46], v[59:60]
	;; [unrolled: 1-line block ×6, first 2 shown]
	v_fma_f64 v[97:98], v[1:2], v[33:34], -v[73:74]
	v_fma_f64 v[99:100], v[3:4], v[33:34], v[75:76]
	ds_load_b128 v[73:76], v29 offset:32
	v_fma_f64 v[77:78], v[1:2], v[37:38], -v[77:78]
	v_fma_f64 v[79:80], v[3:4], v[37:38], v[79:80]
	v_fma_f64 v[81:82], v[41:42], v[33:34], -v[81:82]
	v_fma_f64 v[101:102], v[43:44], v[33:34], v[35:36]
	;; [unrolled: 2-line block ×3, first 2 shown]
	s_waitcnt lgkmcnt(1)
	v_mul_f64 v[113:114], v[71:72], v[63:64]
	v_fma_f64 v[85:86], v[45:46], v[53:54], -v[85:86]
	v_fma_f64 v[87:88], v[47:48], v[53:54], v[87:88]
	v_fma_f64 v[45:46], v[45:46], v[57:58], -v[89:90]
	v_fma_f64 v[47:48], v[47:48], v[57:58], v[91:92]
	v_mul_f64 v[89:90], v[71:72], v[67:68]
	v_fma_f64 v[91:92], v[49:50], v[53:54], -v[93:94]
	v_fma_f64 v[53:54], v[51:52], v[53:54], v[55:56]
	v_fma_f64 v[49:50], v[49:50], v[57:58], -v[95:96]
	v_fma_f64 v[51:52], v[51:52], v[57:58], v[59:60]
	ds_load_b128 v[1:4], v29 offset:48
	ds_load_b128 v[33:36], v29 offset:2096
	;; [unrolled: 1-line block ×4, first 2 shown]
	s_waitcnt lgkmcnt(4)
	v_mul_f64 v[105:106], v[75:76], v[63:64]
	v_mul_f64 v[107:108], v[73:74], v[63:64]
	;; [unrolled: 1-line block ×6, first 2 shown]
	s_waitcnt lgkmcnt(1)
	v_mul_f64 v[93:94], v[1:2], v[39:40]
	v_add_f64 v[21:22], v[21:22], v[97:98]
	v_add_f64 v[23:24], v[23:24], v[99:100]
	;; [unrolled: 1-line block ×8, first 2 shown]
	v_mul_f64 v[83:84], v[3:4], v[39:40]
	s_waitcnt lgkmcnt(0)
	v_mul_f64 v[95:96], v[3:4], v[43:44]
	v_mul_f64 v[97:98], v[1:2], v[43:44]
	;; [unrolled: 1-line block ×6, first 2 shown]
	ds_load_b128 v[9:12], v28 offset:2048
	ds_load_b128 v[13:16], v28 offset:2304
	;; [unrolled: 1-line block ×3, first 2 shown]
	v_fma_f64 v[105:106], v[73:74], v[61:62], -v[105:106]
	v_fma_f64 v[107:108], v[75:76], v[61:62], v[107:108]
	v_fma_f64 v[73:74], v[73:74], v[65:66], -v[109:110]
	v_fma_f64 v[75:76], v[75:76], v[65:66], v[111:112]
	v_fma_f64 v[109:110], v[69:70], v[61:62], -v[113:114]
	v_fma_f64 v[61:62], v[71:72], v[61:62], v[63:64]
	v_fma_f64 v[63:64], v[69:70], v[65:66], -v[89:90]
	v_fma_f64 v[65:66], v[71:72], v[65:66], v[67:68]
	s_waitcnt lgkmcnt(0)
	v_mul_f64 v[113:114], v[19:20], v[11:12]
	v_mul_f64 v[115:116], v[19:20], v[15:16]
	v_fma_f64 v[93:94], v[3:4], v[37:38], v[93:94]
	v_add_f64 v[67:68], v[21:22], v[85:86]
	v_add_f64 v[69:70], v[23:24], v[87:88]
	v_add_f64 v[71:72], v[55:56], v[45:46]
	v_add_f64 v[85:86], v[57:58], v[47:48]
	v_add_f64 v[59:60], v[59:60], v[91:92]
	v_add_f64 v[77:78], v[77:78], v[53:54]
	v_add_f64 v[79:80], v[79:80], v[49:50]
	v_add_f64 v[81:82], v[81:82], v[51:52]
	ds_load_b128 v[21:24], v29 offset:64
	v_fma_f64 v[83:84], v[1:2], v[37:38], -v[83:84]
	v_fma_f64 v[95:96], v[1:2], v[41:42], -v[95:96]
	v_fma_f64 v[97:98], v[3:4], v[41:42], v[97:98]
	v_fma_f64 v[99:100], v[33:34], v[37:38], -v[99:100]
	v_fma_f64 v[117:118], v[35:36], v[37:38], v[39:40]
	;; [unrolled: 2-line block ×3, first 2 shown]
	ds_load_b128 v[43:46], v29 offset:80
	ds_load_b128 v[47:50], v29 offset:2128
	;; [unrolled: 1-line block ×7, first 2 shown]
	s_waitcnt lgkmcnt(7)
	v_mul_f64 v[87:88], v[23:24], v[11:12]
	v_mul_f64 v[89:90], v[21:22], v[11:12]
	v_mul_f64 v[91:92], v[23:24], v[15:16]
	v_mul_f64 v[111:112], v[21:22], v[15:16]
	v_mul_f64 v[11:12], v[17:18], v[11:12]
	v_mul_f64 v[15:16], v[17:18], v[15:16]
	s_waitcnt lgkmcnt(3)
	v_mul_f64 v[103:104], v[49:50], v[57:58]
	v_add_f64 v[67:68], v[67:68], v[105:106]
	v_add_f64 v[69:70], v[69:70], v[107:108]
	v_add_f64 v[71:72], v[71:72], v[73:74]
	v_add_f64 v[73:74], v[85:86], v[75:76]
	v_add_f64 v[59:60], v[59:60], v[109:110]
	v_add_f64 v[61:62], v[77:78], v[61:62]
	v_add_f64 v[63:64], v[79:80], v[63:64]
	v_add_f64 v[65:66], v[81:82], v[65:66]
	v_mul_f64 v[75:76], v[45:46], v[53:54]
	v_mul_f64 v[77:78], v[43:44], v[53:54]
	;; [unrolled: 1-line block ×7, first 2 shown]
	v_fma_f64 v[109:110], v[17:18], v[9:10], -v[113:114]
	v_fma_f64 v[113:114], v[17:18], v[13:14], -v[115:116]
	;; [unrolled: 1-line block ×3, first 2 shown]
	v_fma_f64 v[89:90], v[23:24], v[9:10], v[89:90]
	v_fma_f64 v[91:92], v[21:22], v[13:14], -v[91:92]
	v_fma_f64 v[107:108], v[23:24], v[13:14], v[111:112]
	v_fma_f64 v[111:112], v[19:20], v[9:10], v[11:12]
	;; [unrolled: 1-line block ×3, first 2 shown]
	ds_load_b128 v[9:12], v29 offset:96
	v_add_f64 v[67:68], v[67:68], v[83:84]
	v_add_f64 v[69:70], v[69:70], v[93:94]
	;; [unrolled: 1-line block ×8, first 2 shown]
	s_waitcnt lgkmcnt(1)
	v_mul_f64 v[99:100], v[39:40], v[3:4]
	v_fma_f64 v[75:76], v[43:44], v[51:52], -v[75:76]
	v_fma_f64 v[77:78], v[45:46], v[51:52], v[77:78]
	v_fma_f64 v[43:44], v[43:44], v[55:56], -v[79:80]
	v_fma_f64 v[45:46], v[45:46], v[55:56], v[81:82]
	v_mul_f64 v[79:80], v[39:40], v[35:36]
	v_fma_f64 v[81:82], v[47:48], v[51:52], -v[85:86]
	v_fma_f64 v[51:52], v[49:50], v[51:52], v[53:54]
	s_waitcnt lgkmcnt(0)
	v_mul_f64 v[65:66], v[11:12], v[3:4]
	v_mul_f64 v[93:94], v[9:10], v[3:4]
	;; [unrolled: 1-line block ×6, first 2 shown]
	v_fma_f64 v[47:48], v[47:48], v[55:56], -v[103:104]
	v_fma_f64 v[49:50], v[49:50], v[55:56], v[105:106]
	ds_load_b128 v[13:16], v29 offset:112
	ds_load_b128 v[17:20], v29 offset:2160
	;; [unrolled: 1-line block ×4, first 2 shown]
	s_waitcnt lgkmcnt(0)
	s_barrier
	buffer_gl0_inv
	v_add_f64 v[53:54], v[67:68], v[87:88]
	v_add_f64 v[55:56], v[69:70], v[89:90]
	;; [unrolled: 1-line block ×8, first 2 shown]
	v_mul_f64 v[73:74], v[15:16], v[23:24]
	v_mul_f64 v[83:84], v[13:14], v[23:24]
	;; [unrolled: 1-line block ×8, first 2 shown]
	v_fma_f64 v[65:66], v[9:10], v[1:2], -v[65:66]
	v_fma_f64 v[93:94], v[11:12], v[1:2], v[93:94]
	v_fma_f64 v[9:10], v[9:10], v[33:34], -v[95:96]
	v_fma_f64 v[11:12], v[11:12], v[33:34], v[97:98]
	;; [unrolled: 2-line block ×4, first 2 shown]
	v_add_f64 v[35:36], v[53:54], v[75:76]
	v_add_f64 v[37:38], v[55:56], v[77:78]
	;; [unrolled: 1-line block ×8, first 2 shown]
	v_fma_f64 v[49:50], v[13:14], v[21:22], -v[73:74]
	v_fma_f64 v[53:54], v[15:16], v[21:22], v[83:84]
	v_fma_f64 v[13:14], v[13:14], v[57:58], -v[85:86]
	v_fma_f64 v[15:16], v[15:16], v[57:58], v[87:88]
	;; [unrolled: 2-line block ×4, first 2 shown]
	v_add_f64 v[17:18], v[35:36], v[65:66]
	v_add_f64 v[19:20], v[37:38], v[93:94]
	;; [unrolled: 1-line block ×16, first 2 shown]
	s_cbranch_scc1 .LBB301_9
.LBB301_3:                              ; =>This Inner Loop Header: Depth=1
	v_add_nc_u32_e32 v1, s31, v30
	s_delay_alu instid0(VALU_DEP_1) | instskip(NEXT) | instid1(VALU_DEP_1)
	v_cmp_le_i32_e64 s2, s25, v1
	s_or_b32 s2, s3, s2
	s_delay_alu instid0(SALU_CYCLE_1) | instskip(NEXT) | instid1(SALU_CYCLE_1)
	s_and_saveexec_b32 s20, s2
	s_xor_b32 s2, exec_lo, s20
	s_cbranch_execz .LBB301_5
; %bb.4:                                ;   in Loop: Header=BB301_3 Depth=1
	v_mov_b32_e32 v1, v0
	v_mov_b32_e32 v2, v0
	;; [unrolled: 1-line block ×3, first 2 shown]
	ds_store_b128 v31, v[0:3]
.LBB301_5:                              ;   in Loop: Header=BB301_3 Depth=1
	s_and_not1_saveexec_b32 s2, s2
	s_cbranch_execz .LBB301_7
; %bb.6:                                ;   in Loop: Header=BB301_3 Depth=1
	global_load_b128 v[1:4], v[5:6], off
	s_waitcnt vmcnt(0)
	ds_store_2addr_b64 v31, v[1:2], v[3:4] offset1:1
.LBB301_7:                              ;   in Loop: Header=BB301_3 Depth=1
	s_or_b32 exec_lo, exec_lo, s2
	v_add_nc_u32_e32 v3, s31, v27
	v_mov_b32_e32 v1, 0
	v_mov_b32_e32 v2, 0
	s_delay_alu instid0(VALU_DEP_3) | instskip(NEXT) | instid1(VALU_DEP_2)
	v_cmp_gt_i32_e64 s2, s25, v3
	v_dual_mov_b32 v4, v2 :: v_dual_mov_b32 v3, v1
	s_delay_alu instid0(VALU_DEP_2) | instskip(NEXT) | instid1(SALU_CYCLE_1)
	s_and_b32 s20, s2, vcc_lo
	s_and_saveexec_b32 s2, s20
	s_cbranch_execz .LBB301_2
; %bb.8:                                ;   in Loop: Header=BB301_3 Depth=1
	global_load_b128 v[1:4], v[7:8], off offset:-8
	s_branch .LBB301_2
.LBB301_9:
	s_clause 0x1
	s_load_b32 s2, s[0:1], 0x60
	s_load_b64 s[4:5], s[0:1], 0x68
	v_add_nc_u32_e32 v4, s14, v26
	v_add_nc_u32_e32 v0, s30, v25
	s_delay_alu instid0(VALU_DEP_1)
	v_cmp_le_i32_e64 s0, v4, v0
	v_cmp_gt_i32_e32 vcc_lo, s24, v0
	s_waitcnt lgkmcnt(0)
	v_mad_i64_i32 v[1:2], null, v4, s2, 0
	s_mul_i32 s1, s15, s5
	s_mul_hi_u32 s3, s15, s4
	s_mul_i32 s4, s15, s4
	s_add_i32 s5, s3, s1
	s_delay_alu instid0(SALU_CYCLE_1) | instskip(NEXT) | instid1(VALU_DEP_1)
	s_lshl_b64 s[4:5], s[4:5], 4
	v_lshlrev_b64 v[1:2], 4, v[1:2]
	s_add_u32 s3, s10, s4
	s_addc_u32 s4, s11, s5
	s_and_b32 s0, s0, vcc_lo
	s_delay_alu instid0(VALU_DEP_1) | instskip(NEXT) | instid1(VALU_DEP_1)
	v_add_co_u32 v5, s1, s3, v1
	v_add_co_ci_u32_e64 v6, s1, s4, v2, s1
	s_and_saveexec_b32 s1, s0
	s_cbranch_execz .LBB301_11
; %bb.10:
	v_ashrrev_i32_e32 v1, 31, v0
	v_mul_f64 v[7:8], s[18:19], v[23:24]
	v_mul_f64 v[23:24], s[16:17], v[23:24]
	s_delay_alu instid0(VALU_DEP_3) | instskip(NEXT) | instid1(VALU_DEP_1)
	v_lshlrev_b64 v[1:2], 4, v[0:1]
	v_add_co_u32 v1, s0, v5, v1
	s_delay_alu instid0(VALU_DEP_1)
	v_add_co_ci_u32_e64 v2, s0, v6, v2, s0
	global_load_b128 v[25:28], v[1:2], off
	v_fma_f64 v[7:8], s[16:17], v[21:22], -v[7:8]
	v_fma_f64 v[23:24], s[18:19], v[21:22], v[23:24]
	s_waitcnt vmcnt(0)
	v_mul_f64 v[29:30], s[8:9], v[27:28]
	v_mul_f64 v[27:28], s[6:7], v[27:28]
	s_delay_alu instid0(VALU_DEP_2) | instskip(NEXT) | instid1(VALU_DEP_2)
	v_fma_f64 v[21:22], s[6:7], v[25:26], -v[29:30]
	v_fma_f64 v[25:26], s[8:9], v[25:26], v[27:28]
	s_delay_alu instid0(VALU_DEP_2) | instskip(NEXT) | instid1(VALU_DEP_2)
	v_add_f64 v[21:22], v[7:8], v[21:22]
	v_add_f64 v[23:24], v[23:24], v[25:26]
	global_store_b128 v[1:2], v[21:24], off
.LBB301_11:
	s_or_b32 exec_lo, exec_lo, s1
	v_add_nc_u32_e32 v2, 16, v0
	s_delay_alu instid0(VALU_DEP_1) | instskip(SKIP_1) | instid1(VALU_DEP_1)
	v_cmp_le_i32_e64 s1, v4, v2
	v_cmp_gt_i32_e64 s0, s24, v2
	s_and_b32 s1, s1, s0
	s_delay_alu instid0(SALU_CYCLE_1)
	s_and_saveexec_b32 s5, s1
	s_cbranch_execz .LBB301_13
; %bb.12:
	v_ashrrev_i32_e32 v3, 31, v2
	v_mul_f64 v[23:24], s[18:19], v[19:20]
	v_mul_f64 v[19:20], s[16:17], v[19:20]
	s_delay_alu instid0(VALU_DEP_3) | instskip(NEXT) | instid1(VALU_DEP_1)
	v_lshlrev_b64 v[7:8], 4, v[2:3]
	v_add_co_u32 v21, s1, v5, v7
	s_delay_alu instid0(VALU_DEP_1)
	v_add_co_ci_u32_e64 v22, s1, v6, v8, s1
	global_load_b128 v[5:8], v[21:22], off
	v_fma_f64 v[23:24], s[16:17], v[17:18], -v[23:24]
	v_fma_f64 v[17:18], s[18:19], v[17:18], v[19:20]
	s_waitcnt vmcnt(0)
	v_mul_f64 v[25:26], s[8:9], v[7:8]
	v_mul_f64 v[7:8], s[6:7], v[7:8]
	s_delay_alu instid0(VALU_DEP_2) | instskip(NEXT) | instid1(VALU_DEP_2)
	v_fma_f64 v[19:20], s[6:7], v[5:6], -v[25:26]
	v_fma_f64 v[7:8], s[8:9], v[5:6], v[7:8]
	s_delay_alu instid0(VALU_DEP_2) | instskip(NEXT) | instid1(VALU_DEP_2)
	v_add_f64 v[5:6], v[23:24], v[19:20]
	v_add_f64 v[7:8], v[17:18], v[7:8]
	global_store_b128 v[21:22], v[5:8], off
.LBB301_13:
	s_or_b32 exec_lo, exec_lo, s5
	v_add_nc_u32_e32 v3, 16, v4
	s_delay_alu instid0(VALU_DEP_1) | instskip(SKIP_1) | instid1(VALU_DEP_2)
	v_mad_i64_i32 v[4:5], null, v3, s2, 0
	v_cmp_le_i32_e64 s1, v3, v0
	v_lshlrev_b64 v[4:5], 4, v[4:5]
	s_delay_alu instid0(VALU_DEP_1) | instskip(NEXT) | instid1(VALU_DEP_1)
	v_add_co_u32 v4, s2, s3, v4
	v_add_co_ci_u32_e64 v5, s2, s4, v5, s2
	s_delay_alu instid0(VALU_DEP_4) | instskip(NEXT) | instid1(SALU_CYCLE_1)
	s_and_b32 s2, s1, vcc_lo
	s_and_saveexec_b32 s1, s2
	s_cbranch_execz .LBB301_15
; %bb.14:
	v_ashrrev_i32_e32 v1, 31, v0
	v_mul_f64 v[6:7], s[18:19], v[15:16]
	v_mul_f64 v[15:16], s[16:17], v[15:16]
	s_delay_alu instid0(VALU_DEP_3) | instskip(NEXT) | instid1(VALU_DEP_1)
	v_lshlrev_b64 v[0:1], 4, v[0:1]
	v_add_co_u32 v0, vcc_lo, v4, v0
	s_delay_alu instid0(VALU_DEP_2)
	v_add_co_ci_u32_e32 v1, vcc_lo, v5, v1, vcc_lo
	global_load_b128 v[17:20], v[0:1], off
	v_fma_f64 v[6:7], s[16:17], v[13:14], -v[6:7]
	v_fma_f64 v[15:16], s[18:19], v[13:14], v[15:16]
	s_waitcnt vmcnt(0)
	v_mul_f64 v[21:22], s[8:9], v[19:20]
	v_mul_f64 v[19:20], s[6:7], v[19:20]
	s_delay_alu instid0(VALU_DEP_2) | instskip(NEXT) | instid1(VALU_DEP_2)
	v_fma_f64 v[13:14], s[6:7], v[17:18], -v[21:22]
	v_fma_f64 v[17:18], s[8:9], v[17:18], v[19:20]
	s_delay_alu instid0(VALU_DEP_2) | instskip(NEXT) | instid1(VALU_DEP_2)
	v_add_f64 v[13:14], v[6:7], v[13:14]
	v_add_f64 v[15:16], v[15:16], v[17:18]
	global_store_b128 v[0:1], v[13:16], off
.LBB301_15:
	s_or_b32 exec_lo, exec_lo, s1
	v_cmp_le_i32_e32 vcc_lo, v3, v2
	s_and_b32 s0, vcc_lo, s0
	s_delay_alu instid0(SALU_CYCLE_1)
	s_and_saveexec_b32 s1, s0
	s_cbranch_execz .LBB301_17
; %bb.16:
	v_ashrrev_i32_e32 v3, 31, v2
	v_mul_f64 v[6:7], s[18:19], v[11:12]
	v_mul_f64 v[11:12], s[16:17], v[11:12]
	s_delay_alu instid0(VALU_DEP_3) | instskip(NEXT) | instid1(VALU_DEP_1)
	v_lshlrev_b64 v[0:1], 4, v[2:3]
	v_add_co_u32 v4, vcc_lo, v4, v0
	s_delay_alu instid0(VALU_DEP_2)
	v_add_co_ci_u32_e32 v5, vcc_lo, v5, v1, vcc_lo
	global_load_b128 v[0:3], v[4:5], off
	v_fma_f64 v[6:7], s[16:17], v[9:10], -v[6:7]
	v_fma_f64 v[8:9], s[18:19], v[9:10], v[11:12]
	s_waitcnt vmcnt(0)
	v_mul_f64 v[13:14], s[8:9], v[2:3]
	v_mul_f64 v[2:3], s[6:7], v[2:3]
	s_delay_alu instid0(VALU_DEP_2) | instskip(NEXT) | instid1(VALU_DEP_2)
	v_fma_f64 v[10:11], s[6:7], v[0:1], -v[13:14]
	v_fma_f64 v[2:3], s[8:9], v[0:1], v[2:3]
	s_delay_alu instid0(VALU_DEP_2) | instskip(NEXT) | instid1(VALU_DEP_2)
	v_add_f64 v[0:1], v[6:7], v[10:11]
	v_add_f64 v[2:3], v[8:9], v[2:3]
	global_store_b128 v[4:5], v[0:3], off
.LBB301_17:
	s_nop 0
	s_sendmsg sendmsg(MSG_DEALLOC_VGPRS)
	s_endpgm
	.section	.rodata,"a",@progbits
	.p2align	6, 0x0
	.amdhsa_kernel _ZL34rocblas_syrkx_herkx_general_kernelIi19rocblas_complex_numIdELi16ELi32ELi8ELb0ELb0ELc78ELc76EKS1_S1_EviT_T0_PT8_S3_lS6_S3_lS4_PT9_S3_li
		.amdhsa_group_segment_fixed_size 8192
		.amdhsa_private_segment_fixed_size 0
		.amdhsa_kernarg_size 116
		.amdhsa_user_sgpr_count 13
		.amdhsa_user_sgpr_dispatch_ptr 0
		.amdhsa_user_sgpr_queue_ptr 0
		.amdhsa_user_sgpr_kernarg_segment_ptr 1
		.amdhsa_user_sgpr_dispatch_id 0
		.amdhsa_user_sgpr_private_segment_size 0
		.amdhsa_wavefront_size32 1
		.amdhsa_uses_dynamic_stack 0
		.amdhsa_enable_private_segment 0
		.amdhsa_system_sgpr_workgroup_id_x 1
		.amdhsa_system_sgpr_workgroup_id_y 1
		.amdhsa_system_sgpr_workgroup_id_z 1
		.amdhsa_system_sgpr_workgroup_info 0
		.amdhsa_system_vgpr_workitem_id 1
		.amdhsa_next_free_vgpr 119
		.amdhsa_next_free_sgpr 32
		.amdhsa_reserve_vcc 1
		.amdhsa_float_round_mode_32 0
		.amdhsa_float_round_mode_16_64 0
		.amdhsa_float_denorm_mode_32 3
		.amdhsa_float_denorm_mode_16_64 3
		.amdhsa_dx10_clamp 1
		.amdhsa_ieee_mode 1
		.amdhsa_fp16_overflow 0
		.amdhsa_workgroup_processor_mode 1
		.amdhsa_memory_ordered 1
		.amdhsa_forward_progress 0
		.amdhsa_shared_vgpr_count 0
		.amdhsa_exception_fp_ieee_invalid_op 0
		.amdhsa_exception_fp_denorm_src 0
		.amdhsa_exception_fp_ieee_div_zero 0
		.amdhsa_exception_fp_ieee_overflow 0
		.amdhsa_exception_fp_ieee_underflow 0
		.amdhsa_exception_fp_ieee_inexact 0
		.amdhsa_exception_int_div_zero 0
	.end_amdhsa_kernel
	.section	.text._ZL34rocblas_syrkx_herkx_general_kernelIi19rocblas_complex_numIdELi16ELi32ELi8ELb0ELb0ELc78ELc76EKS1_S1_EviT_T0_PT8_S3_lS6_S3_lS4_PT9_S3_li,"axG",@progbits,_ZL34rocblas_syrkx_herkx_general_kernelIi19rocblas_complex_numIdELi16ELi32ELi8ELb0ELb0ELc78ELc76EKS1_S1_EviT_T0_PT8_S3_lS6_S3_lS4_PT9_S3_li,comdat
.Lfunc_end301:
	.size	_ZL34rocblas_syrkx_herkx_general_kernelIi19rocblas_complex_numIdELi16ELi32ELi8ELb0ELb0ELc78ELc76EKS1_S1_EviT_T0_PT8_S3_lS6_S3_lS4_PT9_S3_li, .Lfunc_end301-_ZL34rocblas_syrkx_herkx_general_kernelIi19rocblas_complex_numIdELi16ELi32ELi8ELb0ELb0ELc78ELc76EKS1_S1_EviT_T0_PT8_S3_lS6_S3_lS4_PT9_S3_li
                                        ; -- End function
	.section	.AMDGPU.csdata,"",@progbits
; Kernel info:
; codeLenInByte = 3552
; NumSgprs: 34
; NumVgprs: 119
; ScratchSize: 0
; MemoryBound: 1
; FloatMode: 240
; IeeeMode: 1
; LDSByteSize: 8192 bytes/workgroup (compile time only)
; SGPRBlocks: 4
; VGPRBlocks: 14
; NumSGPRsForWavesPerEU: 34
; NumVGPRsForWavesPerEU: 119
; Occupancy: 12
; WaveLimiterHint : 0
; COMPUTE_PGM_RSRC2:SCRATCH_EN: 0
; COMPUTE_PGM_RSRC2:USER_SGPR: 13
; COMPUTE_PGM_RSRC2:TRAP_HANDLER: 0
; COMPUTE_PGM_RSRC2:TGID_X_EN: 1
; COMPUTE_PGM_RSRC2:TGID_Y_EN: 1
; COMPUTE_PGM_RSRC2:TGID_Z_EN: 1
; COMPUTE_PGM_RSRC2:TIDIG_COMP_CNT: 1
	.section	.text._ZL34rocblas_syrkx_herkx_general_kernelIi19rocblas_complex_numIdELi16ELi32ELi8ELb0ELb0ELc84ELc85EKS1_S1_EviT_T0_PT8_S3_lS6_S3_lS4_PT9_S3_li,"axG",@progbits,_ZL34rocblas_syrkx_herkx_general_kernelIi19rocblas_complex_numIdELi16ELi32ELi8ELb0ELb0ELc84ELc85EKS1_S1_EviT_T0_PT8_S3_lS6_S3_lS4_PT9_S3_li,comdat
	.globl	_ZL34rocblas_syrkx_herkx_general_kernelIi19rocblas_complex_numIdELi16ELi32ELi8ELb0ELb0ELc84ELc85EKS1_S1_EviT_T0_PT8_S3_lS6_S3_lS4_PT9_S3_li ; -- Begin function _ZL34rocblas_syrkx_herkx_general_kernelIi19rocblas_complex_numIdELi16ELi32ELi8ELb0ELb0ELc84ELc85EKS1_S1_EviT_T0_PT8_S3_lS6_S3_lS4_PT9_S3_li
	.p2align	8
	.type	_ZL34rocblas_syrkx_herkx_general_kernelIi19rocblas_complex_numIdELi16ELi32ELi8ELb0ELb0ELc84ELc85EKS1_S1_EviT_T0_PT8_S3_lS6_S3_lS4_PT9_S3_li,@function
_ZL34rocblas_syrkx_herkx_general_kernelIi19rocblas_complex_numIdELi16ELi32ELi8ELb0ELb0ELc84ELc85EKS1_S1_EviT_T0_PT8_S3_lS6_S3_lS4_PT9_S3_li: ; @_ZL34rocblas_syrkx_herkx_general_kernelIi19rocblas_complex_numIdELi16ELi32ELi8ELb0ELb0ELc84ELc85EKS1_S1_EviT_T0_PT8_S3_lS6_S3_lS4_PT9_S3_li
; %bb.0:
	s_clause 0x3
	s_load_b64 s[24:25], s[0:1], 0x0
	s_load_b128 s[16:19], s[0:1], 0x8
	s_load_b64 s[26:27], s[0:1], 0x18
	s_load_b256 s[4:11], s[0:1], 0x40
	v_mov_b32_e32 v20, 0
	v_dual_mov_b32 v21, 0 :: v_dual_and_b32 v24, 0x3ff, v0
	v_bfe_u32 v25, v0, 10, 10
	s_delay_alu instid0(VALU_DEP_3) | instskip(NEXT) | instid1(VALU_DEP_3)
	v_mov_b32_e32 v12, v20
	v_dual_mov_b32 v16, v20 :: v_dual_mov_b32 v17, v21
	v_dual_mov_b32 v23, v21 :: v_dual_mov_b32 v22, v20
	;; [unrolled: 1-line block ×6, first 2 shown]
	v_mov_b32_e32 v11, v21
	s_lshl_b32 s12, s13, 5
	s_lshl_b32 s13, s14, 5
	s_waitcnt lgkmcnt(0)
	s_cmp_lt_i32 s25, 1
	s_mov_b32 s14, 0
	s_cbranch_scc1 .LBB302_11
; %bb.1:
	s_load_b32 s2, s[0:1], 0x20
	v_lshl_add_u32 v0, v25, 4, v24
	s_clause 0x1
	s_load_b128 s[20:23], s[0:1], 0x28
	s_load_b32 s3, s[0:1], 0x38
	v_dual_mov_b32 v10, 0 :: v_dual_lshlrev_b32 v27, 4, v24
	v_dual_mov_b32 v11, 0 :: v_dual_and_b32 v26, 7, v24
	v_and_b32_e32 v2, 31, v0
	v_lshrrev_b32_e32 v1, 3, v0
	v_lshrrev_b32_e32 v29, 5, v0
	s_delay_alu instid0(VALU_DEP_4) | instskip(NEXT) | instid1(VALU_DEP_4)
	v_dual_mov_b32 v19, v11 :: v_dual_lshlrev_b32 v6, 4, v26
	v_add_nc_u32_e32 v5, s12, v2
	s_delay_alu instid0(VALU_DEP_4) | instskip(NEXT) | instid1(VALU_DEP_3)
	v_dual_mov_b32 v15, v11 :: v_dual_add_nc_u32 v4, s13, v1
	v_lshl_or_b32 v7, v1, 7, v6
	v_or_b32_e32 v3, s12, v2
	v_dual_mov_b32 v17, v11 :: v_dual_lshlrev_b32 v2, 4, v2
	v_dual_mov_b32 v13, v11 :: v_dual_lshlrev_b32 v8, 4, v29
	s_waitcnt lgkmcnt(0)
	v_mad_i64_i32 v[0:1], null, s2, v5, 0
	s_mul_i32 s21, s21, s15
	s_mul_hi_u32 s28, s20, s15
	v_cmp_gt_i32_e32 vcc_lo, s24, v3
	v_lshl_or_b32 v30, v29, 9, v2
	v_mad_i64_i32 v[2:3], null, s3, v4, 0
	s_delay_alu instid0(VALU_DEP_4)
	v_lshlrev_b64 v[0:1], 4, v[0:1]
	s_mul_i32 s20, s20, s15
	s_add_i32 s21, s28, s21
	v_cmp_gt_i32_e64 s2, s24, v4
	s_lshl_b64 s[20:21], s[20:21], 4
	v_add_nc_u32_e32 v31, 0x1000, v7
	v_add_co_u32 v4, s3, v0, s20
	s_delay_alu instid0(VALU_DEP_1)
	v_add_co_ci_u32_e64 v5, s3, s21, v1, s3
	s_mul_i32 s3, s5, s15
	s_mul_hi_u32 s5, s4, s15
	v_lshlrev_b64 v[0:1], 4, v[2:3]
	s_add_i32 s5, s5, s3
	s_mul_i32 s4, s4, s15
	v_add_co_u32 v2, s3, v4, v8
	v_mov_b32_e32 v8, v10
	s_lshl_b64 s[4:5], s[4:5], 4
	v_add_co_ci_u32_e64 v3, s3, 0, v5, s3
	v_add_co_u32 v0, s3, v0, s4
	s_delay_alu instid0(VALU_DEP_1) | instskip(SKIP_1) | instid1(VALU_DEP_1)
	v_add_co_ci_u32_e64 v1, s3, s5, v1, s3
	v_add_co_u32 v4, s3, s26, v2
	v_add_co_ci_u32_e64 v5, s3, s27, v3, s3
	s_delay_alu instid0(VALU_DEP_4) | instskip(NEXT) | instid1(VALU_DEP_1)
	v_add_co_u32 v0, s3, v0, v6
	v_add_co_ci_u32_e64 v1, s3, 0, v1, s3
	v_dual_mov_b32 v18, v10 :: v_dual_mov_b32 v23, v11
	s_delay_alu instid0(VALU_DEP_3)
	v_add_co_u32 v6, s3, s22, v0
	v_dual_mov_b32 v14, v10 :: v_dual_mov_b32 v21, v11
	v_lshl_add_u32 v28, v25, 7, 0x1000
	v_add_co_ci_u32_e64 v7, s3, s23, v1, s3
	v_dual_mov_b32 v0, 0 :: v_dual_mov_b32 v9, v11
	v_mov_b32_e32 v16, v10
	v_mov_b32_e32 v12, v10
	;; [unrolled: 1-line block ×4, first 2 shown]
	s_xor_b32 s3, vcc_lo, -1
	s_xor_b32 s2, s2, -1
	s_branch .LBB302_3
.LBB302_2:                              ;   in Loop: Header=BB302_3 Depth=1
	s_or_b32 exec_lo, exec_lo, s4
	s_waitcnt lgkmcnt(0)
	s_barrier
	buffer_gl0_inv
	ds_load_b128 v[32:35], v28
	ds_load_b128 v[36:39], v28 offset:16
	ds_load_b128 v[40:43], v28 offset:32
	ds_load_b128 v[44:47], v28 offset:48
	ds_load_b128 v[48:51], v27
	v_add_co_u32 v4, vcc_lo, 0x80, v4
	v_add_co_ci_u32_e32 v5, vcc_lo, 0, v5, vcc_lo
	v_add_co_u32 v6, vcc_lo, 0x80, v6
	v_add_co_ci_u32_e32 v7, vcc_lo, 0, v7, vcc_lo
	s_add_i32 s14, s14, 8
	s_delay_alu instid0(SALU_CYCLE_1) | instskip(SKIP_3) | instid1(VALU_DEP_2)
	s_cmp_ge_i32 s14, s25
	s_waitcnt lgkmcnt(0)
	v_mul_f64 v[1:2], v[34:35], v[50:51]
	v_mul_f64 v[52:53], v[32:33], v[50:51]
	v_fma_f64 v[1:2], v[32:33], v[48:49], -v[1:2]
	s_delay_alu instid0(VALU_DEP_2) | instskip(NEXT) | instid1(VALU_DEP_2)
	v_fma_f64 v[52:53], v[34:35], v[48:49], v[52:53]
	v_add_f64 v[1:2], v[20:21], v[1:2]
	s_delay_alu instid0(VALU_DEP_2) | instskip(SKIP_3) | instid1(VALU_DEP_1)
	v_add_f64 v[52:53], v[22:23], v[52:53]
	ds_load_b128 v[20:23], v27 offset:256
	s_waitcnt lgkmcnt(0)
	v_mul_f64 v[54:55], v[34:35], v[22:23]
	v_fma_f64 v[54:55], v[32:33], v[20:21], -v[54:55]
	v_mul_f64 v[32:33], v[32:33], v[22:23]
	s_delay_alu instid0(VALU_DEP_2) | instskip(NEXT) | instid1(VALU_DEP_2)
	v_add_f64 v[54:55], v[12:13], v[54:55]
	v_fma_f64 v[32:33], v[34:35], v[20:21], v[32:33]
	s_delay_alu instid0(VALU_DEP_1) | instskip(SKIP_4) | instid1(VALU_DEP_2)
	v_add_f64 v[16:17], v[16:17], v[32:33]
	ds_load_b128 v[32:35], v28 offset:2048
	s_waitcnt lgkmcnt(0)
	v_mul_f64 v[12:13], v[34:35], v[50:51]
	v_mul_f64 v[50:51], v[32:33], v[50:51]
	v_fma_f64 v[12:13], v[32:33], v[48:49], -v[12:13]
	s_delay_alu instid0(VALU_DEP_2) | instskip(NEXT) | instid1(VALU_DEP_2)
	v_fma_f64 v[48:49], v[34:35], v[48:49], v[50:51]
	v_add_f64 v[50:51], v[14:15], v[12:13]
	v_mul_f64 v[12:13], v[34:35], v[22:23]
	v_mul_f64 v[14:15], v[32:33], v[22:23]
	s_delay_alu instid0(VALU_DEP_4) | instskip(NEXT) | instid1(VALU_DEP_3)
	v_add_f64 v[48:49], v[18:19], v[48:49]
	v_fma_f64 v[12:13], v[32:33], v[20:21], -v[12:13]
	s_delay_alu instid0(VALU_DEP_3) | instskip(NEXT) | instid1(VALU_DEP_2)
	v_fma_f64 v[14:15], v[34:35], v[20:21], v[14:15]
	v_add_f64 v[20:21], v[8:9], v[12:13]
	s_delay_alu instid0(VALU_DEP_2) | instskip(SKIP_4) | instid1(VALU_DEP_2)
	v_add_f64 v[22:23], v[10:11], v[14:15]
	ds_load_b128 v[8:11], v27 offset:512
	s_waitcnt lgkmcnt(0)
	v_mul_f64 v[12:13], v[38:39], v[10:11]
	v_mul_f64 v[14:15], v[36:37], v[10:11]
	v_fma_f64 v[12:13], v[36:37], v[8:9], -v[12:13]
	s_delay_alu instid0(VALU_DEP_2) | instskip(NEXT) | instid1(VALU_DEP_2)
	v_fma_f64 v[14:15], v[38:39], v[8:9], v[14:15]
	v_add_f64 v[1:2], v[1:2], v[12:13]
	s_delay_alu instid0(VALU_DEP_2) | instskip(SKIP_4) | instid1(VALU_DEP_2)
	v_add_f64 v[32:33], v[52:53], v[14:15]
	ds_load_b128 v[12:15], v27 offset:768
	s_waitcnt lgkmcnt(0)
	v_mul_f64 v[18:19], v[38:39], v[14:15]
	v_mul_f64 v[34:35], v[36:37], v[14:15]
	v_fma_f64 v[18:19], v[36:37], v[12:13], -v[18:19]
	s_delay_alu instid0(VALU_DEP_2) | instskip(NEXT) | instid1(VALU_DEP_2)
	v_fma_f64 v[34:35], v[38:39], v[12:13], v[34:35]
	v_add_f64 v[36:37], v[54:55], v[18:19]
	s_delay_alu instid0(VALU_DEP_2) | instskip(SKIP_4) | instid1(VALU_DEP_2)
	v_add_f64 v[34:35], v[16:17], v[34:35]
	ds_load_b128 v[16:19], v28 offset:2064
	s_waitcnt lgkmcnt(0)
	v_mul_f64 v[38:39], v[18:19], v[10:11]
	v_mul_f64 v[10:11], v[16:17], v[10:11]
	v_fma_f64 v[38:39], v[16:17], v[8:9], -v[38:39]
	s_delay_alu instid0(VALU_DEP_2) | instskip(SKIP_1) | instid1(VALU_DEP_3)
	v_fma_f64 v[8:9], v[18:19], v[8:9], v[10:11]
	v_mul_f64 v[10:11], v[16:17], v[14:15]
	v_add_f64 v[38:39], v[50:51], v[38:39]
	s_delay_alu instid0(VALU_DEP_3) | instskip(SKIP_1) | instid1(VALU_DEP_4)
	v_add_f64 v[48:49], v[48:49], v[8:9]
	v_mul_f64 v[8:9], v[18:19], v[14:15]
	v_fma_f64 v[10:11], v[18:19], v[12:13], v[10:11]
	s_delay_alu instid0(VALU_DEP_2) | instskip(NEXT) | instid1(VALU_DEP_2)
	v_fma_f64 v[8:9], v[16:17], v[12:13], -v[8:9]
	v_add_f64 v[22:23], v[22:23], v[10:11]
	s_delay_alu instid0(VALU_DEP_2) | instskip(SKIP_4) | instid1(VALU_DEP_2)
	v_add_f64 v[20:21], v[20:21], v[8:9]
	ds_load_b128 v[8:11], v27 offset:1024
	s_waitcnt lgkmcnt(0)
	v_mul_f64 v[12:13], v[42:43], v[10:11]
	v_mul_f64 v[14:15], v[40:41], v[10:11]
	v_fma_f64 v[12:13], v[40:41], v[8:9], -v[12:13]
	s_delay_alu instid0(VALU_DEP_2) | instskip(NEXT) | instid1(VALU_DEP_2)
	v_fma_f64 v[14:15], v[42:43], v[8:9], v[14:15]
	v_add_f64 v[1:2], v[1:2], v[12:13]
	s_delay_alu instid0(VALU_DEP_2) | instskip(SKIP_4) | instid1(VALU_DEP_2)
	v_add_f64 v[32:33], v[32:33], v[14:15]
	ds_load_b128 v[12:15], v27 offset:1280
	s_waitcnt lgkmcnt(0)
	v_mul_f64 v[16:17], v[42:43], v[14:15]
	v_mul_f64 v[18:19], v[40:41], v[14:15]
	v_fma_f64 v[16:17], v[40:41], v[12:13], -v[16:17]
	s_delay_alu instid0(VALU_DEP_2) | instskip(NEXT) | instid1(VALU_DEP_2)
	v_fma_f64 v[18:19], v[42:43], v[12:13], v[18:19]
	v_add_f64 v[36:37], v[36:37], v[16:17]
	s_delay_alu instid0(VALU_DEP_2) | instskip(SKIP_4) | instid1(VALU_DEP_2)
	v_add_f64 v[34:35], v[34:35], v[18:19]
	ds_load_b128 v[16:19], v28 offset:2080
	s_waitcnt lgkmcnt(0)
	v_mul_f64 v[40:41], v[18:19], v[10:11]
	v_mul_f64 v[10:11], v[16:17], v[10:11]
	v_fma_f64 v[40:41], v[16:17], v[8:9], -v[40:41]
	s_delay_alu instid0(VALU_DEP_2) | instskip(SKIP_1) | instid1(VALU_DEP_3)
	v_fma_f64 v[8:9], v[18:19], v[8:9], v[10:11]
	v_mul_f64 v[10:11], v[16:17], v[14:15]
	v_add_f64 v[38:39], v[38:39], v[40:41]
	s_delay_alu instid0(VALU_DEP_3) | instskip(SKIP_1) | instid1(VALU_DEP_4)
	v_add_f64 v[40:41], v[48:49], v[8:9]
	v_mul_f64 v[8:9], v[18:19], v[14:15]
	v_fma_f64 v[10:11], v[18:19], v[12:13], v[10:11]
	s_delay_alu instid0(VALU_DEP_2) | instskip(NEXT) | instid1(VALU_DEP_2)
	v_fma_f64 v[8:9], v[16:17], v[12:13], -v[8:9]
	;; [unrolled: 38-line block ×3, first 2 shown]
	v_add_f64 v[22:23], v[22:23], v[10:11]
	s_delay_alu instid0(VALU_DEP_2)
	v_add_f64 v[20:21], v[20:21], v[8:9]
	ds_load_b128 v[8:11], v28 offset:64
	ds_load_b128 v[12:15], v27 offset:2048
	s_waitcnt lgkmcnt(0)
	v_mul_f64 v[16:17], v[10:11], v[14:15]
	v_mul_f64 v[18:19], v[8:9], v[14:15]
	s_delay_alu instid0(VALU_DEP_2) | instskip(NEXT) | instid1(VALU_DEP_2)
	v_fma_f64 v[16:17], v[8:9], v[12:13], -v[16:17]
	v_fma_f64 v[18:19], v[10:11], v[12:13], v[18:19]
	s_delay_alu instid0(VALU_DEP_2) | instskip(NEXT) | instid1(VALU_DEP_2)
	v_add_f64 v[1:2], v[1:2], v[16:17]
	v_add_f64 v[32:33], v[32:33], v[18:19]
	ds_load_b128 v[16:19], v27 offset:2304
	s_waitcnt lgkmcnt(0)
	v_mul_f64 v[42:43], v[10:11], v[18:19]
	s_delay_alu instid0(VALU_DEP_1) | instskip(SKIP_1) | instid1(VALU_DEP_2)
	v_fma_f64 v[42:43], v[8:9], v[16:17], -v[42:43]
	v_mul_f64 v[8:9], v[8:9], v[18:19]
	v_add_f64 v[36:37], v[36:37], v[42:43]
	s_delay_alu instid0(VALU_DEP_2) | instskip(NEXT) | instid1(VALU_DEP_1)
	v_fma_f64 v[8:9], v[10:11], v[16:17], v[8:9]
	v_add_f64 v[34:35], v[34:35], v[8:9]
	ds_load_b128 v[8:11], v28 offset:2112
	s_waitcnt lgkmcnt(0)
	v_mul_f64 v[42:43], v[10:11], v[14:15]
	v_mul_f64 v[14:15], v[8:9], v[14:15]
	s_delay_alu instid0(VALU_DEP_2) | instskip(NEXT) | instid1(VALU_DEP_2)
	v_fma_f64 v[42:43], v[8:9], v[12:13], -v[42:43]
	v_fma_f64 v[12:13], v[10:11], v[12:13], v[14:15]
	s_delay_alu instid0(VALU_DEP_2) | instskip(NEXT) | instid1(VALU_DEP_2)
	v_add_f64 v[38:39], v[38:39], v[42:43]
	v_add_f64 v[40:41], v[40:41], v[12:13]
	v_mul_f64 v[12:13], v[10:11], v[18:19]
	s_delay_alu instid0(VALU_DEP_1) | instskip(SKIP_1) | instid1(VALU_DEP_2)
	v_fma_f64 v[12:13], v[8:9], v[16:17], -v[12:13]
	v_mul_f64 v[8:9], v[8:9], v[18:19]
	v_add_f64 v[20:21], v[20:21], v[12:13]
	s_delay_alu instid0(VALU_DEP_2) | instskip(NEXT) | instid1(VALU_DEP_1)
	v_fma_f64 v[8:9], v[10:11], v[16:17], v[8:9]
	v_add_f64 v[22:23], v[22:23], v[8:9]
	ds_load_b128 v[8:11], v28 offset:80
	ds_load_b128 v[12:15], v27 offset:2560
	s_waitcnt lgkmcnt(0)
	v_mul_f64 v[16:17], v[10:11], v[14:15]
	v_mul_f64 v[18:19], v[8:9], v[14:15]
	s_delay_alu instid0(VALU_DEP_2) | instskip(NEXT) | instid1(VALU_DEP_2)
	v_fma_f64 v[16:17], v[8:9], v[12:13], -v[16:17]
	v_fma_f64 v[18:19], v[10:11], v[12:13], v[18:19]
	s_delay_alu instid0(VALU_DEP_2) | instskip(NEXT) | instid1(VALU_DEP_2)
	v_add_f64 v[1:2], v[1:2], v[16:17]
	v_add_f64 v[32:33], v[32:33], v[18:19]
	ds_load_b128 v[16:19], v27 offset:2816
	s_waitcnt lgkmcnt(0)
	v_mul_f64 v[42:43], v[10:11], v[18:19]
	s_delay_alu instid0(VALU_DEP_1) | instskip(SKIP_1) | instid1(VALU_DEP_2)
	v_fma_f64 v[42:43], v[8:9], v[16:17], -v[42:43]
	v_mul_f64 v[8:9], v[8:9], v[18:19]
	v_add_f64 v[36:37], v[36:37], v[42:43]
	s_delay_alu instid0(VALU_DEP_2) | instskip(NEXT) | instid1(VALU_DEP_1)
	v_fma_f64 v[8:9], v[10:11], v[16:17], v[8:9]
	v_add_f64 v[34:35], v[34:35], v[8:9]
	ds_load_b128 v[8:11], v28 offset:2128
	s_waitcnt lgkmcnt(0)
	v_mul_f64 v[42:43], v[10:11], v[14:15]
	v_mul_f64 v[14:15], v[8:9], v[14:15]
	s_delay_alu instid0(VALU_DEP_2) | instskip(NEXT) | instid1(VALU_DEP_2)
	v_fma_f64 v[42:43], v[8:9], v[12:13], -v[42:43]
	v_fma_f64 v[12:13], v[10:11], v[12:13], v[14:15]
	s_delay_alu instid0(VALU_DEP_2) | instskip(NEXT) | instid1(VALU_DEP_2)
	v_add_f64 v[38:39], v[38:39], v[42:43]
	v_add_f64 v[40:41], v[40:41], v[12:13]
	v_mul_f64 v[12:13], v[10:11], v[18:19]
	s_delay_alu instid0(VALU_DEP_1) | instskip(SKIP_1) | instid1(VALU_DEP_2)
	v_fma_f64 v[12:13], v[8:9], v[16:17], -v[12:13]
	v_mul_f64 v[8:9], v[8:9], v[18:19]
	v_add_f64 v[20:21], v[20:21], v[12:13]
	s_delay_alu instid0(VALU_DEP_2) | instskip(NEXT) | instid1(VALU_DEP_1)
	v_fma_f64 v[8:9], v[10:11], v[16:17], v[8:9]
	;; [unrolled: 39-line block ×3, first 2 shown]
	v_add_f64 v[50:51], v[22:23], v[8:9]
	ds_load_b128 v[8:11], v28 offset:112
	ds_load_b128 v[32:35], v27 offset:3584
	;; [unrolled: 1-line block ×3, first 2 shown]
	s_waitcnt lgkmcnt(1)
	v_mul_f64 v[12:13], v[10:11], v[34:35]
	v_mul_f64 v[16:17], v[8:9], v[34:35]
	s_delay_alu instid0(VALU_DEP_2) | instskip(NEXT) | instid1(VALU_DEP_2)
	v_fma_f64 v[12:13], v[8:9], v[32:33], -v[12:13]
	v_fma_f64 v[16:17], v[10:11], v[32:33], v[16:17]
	s_delay_alu instid0(VALU_DEP_2) | instskip(SKIP_2) | instid1(VALU_DEP_3)
	v_add_f64 v[20:21], v[1:2], v[12:13]
	s_waitcnt lgkmcnt(0)
	v_mul_f64 v[1:2], v[10:11], v[38:39]
	v_add_f64 v[22:23], v[42:43], v[16:17]
	s_delay_alu instid0(VALU_DEP_2) | instskip(SKIP_1) | instid1(VALU_DEP_2)
	v_fma_f64 v[1:2], v[8:9], v[36:37], -v[1:2]
	v_mul_f64 v[8:9], v[8:9], v[38:39]
	v_add_f64 v[12:13], v[44:45], v[1:2]
	s_delay_alu instid0(VALU_DEP_2) | instskip(NEXT) | instid1(VALU_DEP_1)
	v_fma_f64 v[8:9], v[10:11], v[36:37], v[8:9]
	v_add_f64 v[16:17], v[46:47], v[8:9]
	ds_load_b128 v[8:11], v28 offset:2160
	s_waitcnt lgkmcnt(0)
	s_barrier
	buffer_gl0_inv
	v_mul_f64 v[1:2], v[10:11], v[34:35]
	v_mul_f64 v[18:19], v[8:9], v[34:35]
	s_delay_alu instid0(VALU_DEP_2) | instskip(NEXT) | instid1(VALU_DEP_2)
	v_fma_f64 v[1:2], v[8:9], v[32:33], -v[1:2]
	v_fma_f64 v[18:19], v[10:11], v[32:33], v[18:19]
	s_delay_alu instid0(VALU_DEP_2) | instskip(SKIP_1) | instid1(VALU_DEP_3)
	v_add_f64 v[14:15], v[14:15], v[1:2]
	v_mul_f64 v[1:2], v[10:11], v[38:39]
	v_add_f64 v[18:19], v[40:41], v[18:19]
	s_delay_alu instid0(VALU_DEP_2) | instskip(SKIP_1) | instid1(VALU_DEP_1)
	v_fma_f64 v[1:2], v[8:9], v[36:37], -v[1:2]
	v_mul_f64 v[8:9], v[8:9], v[38:39]
	v_fma_f64 v[10:11], v[10:11], v[36:37], v[8:9]
	s_delay_alu instid0(VALU_DEP_3) | instskip(NEXT) | instid1(VALU_DEP_2)
	v_add_f64 v[8:9], v[48:49], v[1:2]
	v_add_f64 v[10:11], v[50:51], v[10:11]
	s_cbranch_scc1 .LBB302_11
.LBB302_3:                              ; =>This Inner Loop Header: Depth=1
	v_add_nc_u32_e32 v1, s14, v29
	s_delay_alu instid0(VALU_DEP_1) | instskip(SKIP_1) | instid1(SALU_CYCLE_1)
	v_cmp_le_i32_e32 vcc_lo, s25, v1
	s_or_b32 s4, s3, vcc_lo
	s_and_saveexec_b32 s5, s4
	s_delay_alu instid0(SALU_CYCLE_1)
	s_xor_b32 s4, exec_lo, s5
	s_cbranch_execz .LBB302_5
; %bb.4:                                ;   in Loop: Header=BB302_3 Depth=1
	v_mov_b32_e32 v1, v0
	v_mov_b32_e32 v2, v0
	;; [unrolled: 1-line block ×3, first 2 shown]
	ds_store_b128 v30, v[0:3]
.LBB302_5:                              ;   in Loop: Header=BB302_3 Depth=1
	s_and_not1_saveexec_b32 s4, s4
	s_cbranch_execz .LBB302_7
; %bb.6:                                ;   in Loop: Header=BB302_3 Depth=1
	global_load_b128 v[32:35], v[4:5], off
	s_waitcnt vmcnt(0)
	ds_store_2addr_b64 v30, v[32:33], v[34:35] offset1:1
.LBB302_7:                              ;   in Loop: Header=BB302_3 Depth=1
	s_or_b32 exec_lo, exec_lo, s4
	v_add_nc_u32_e32 v1, s14, v26
	s_delay_alu instid0(VALU_DEP_1) | instskip(SKIP_1) | instid1(SALU_CYCLE_1)
	v_cmp_le_i32_e32 vcc_lo, s25, v1
	s_or_b32 s4, vcc_lo, s2
	s_and_saveexec_b32 s5, s4
	s_delay_alu instid0(SALU_CYCLE_1)
	s_xor_b32 s4, exec_lo, s5
	s_cbranch_execz .LBB302_9
; %bb.8:                                ;   in Loop: Header=BB302_3 Depth=1
	v_mov_b32_e32 v1, v0
	v_mov_b32_e32 v2, v0
	v_mov_b32_e32 v3, v0
	ds_store_b128 v31, v[0:3]
.LBB302_9:                              ;   in Loop: Header=BB302_3 Depth=1
	s_and_not1_saveexec_b32 s4, s4
	s_cbranch_execz .LBB302_2
; %bb.10:                               ;   in Loop: Header=BB302_3 Depth=1
	global_load_b128 v[32:35], v[6:7], off
	s_waitcnt vmcnt(0)
	ds_store_2addr_b64 v31, v[32:33], v[34:35] offset1:1
	s_branch .LBB302_2
.LBB302_11:
	s_clause 0x1
	s_load_b32 s2, s[0:1], 0x60
	s_load_b64 s[0:1], s[0:1], 0x68
	v_add_nc_u32_e32 v4, s13, v25
	v_add_nc_u32_e32 v0, s12, v24
	s_delay_alu instid0(VALU_DEP_2)
	v_cmp_gt_i32_e32 vcc_lo, s24, v4
	s_waitcnt lgkmcnt(0)
	v_mad_i64_i32 v[1:2], null, v4, s2, 0
	s_mul_i32 s1, s15, s1
	s_mul_hi_u32 s3, s15, s0
	s_mul_i32 s0, s15, s0
	s_add_i32 s1, s3, s1
	s_delay_alu instid0(SALU_CYCLE_1) | instskip(NEXT) | instid1(VALU_DEP_1)
	s_lshl_b64 s[4:5], s[0:1], 4
	v_lshlrev_b64 v[1:2], 4, v[1:2]
	s_add_u32 s3, s10, s4
	v_cmp_le_i32_e64 s0, v0, v4
	s_addc_u32 s4, s11, s5
	s_delay_alu instid0(VALU_DEP_2) | instskip(NEXT) | instid1(VALU_DEP_1)
	v_add_co_u32 v5, s1, s3, v1
	v_add_co_ci_u32_e64 v6, s1, s4, v2, s1
	s_delay_alu instid0(VALU_DEP_3) | instskip(NEXT) | instid1(SALU_CYCLE_1)
	s_and_b32 s0, vcc_lo, s0
	s_and_saveexec_b32 s1, s0
	s_cbranch_execz .LBB302_13
; %bb.12:
	v_ashrrev_i32_e32 v1, 31, v0
	v_mul_f64 v[28:29], s[18:19], v[22:23]
	v_mul_f64 v[22:23], s[16:17], v[22:23]
	s_delay_alu instid0(VALU_DEP_3) | instskip(NEXT) | instid1(VALU_DEP_1)
	v_lshlrev_b64 v[1:2], 4, v[0:1]
	v_add_co_u32 v1, s0, v5, v1
	s_delay_alu instid0(VALU_DEP_1)
	v_add_co_ci_u32_e64 v2, s0, v6, v2, s0
	global_load_b128 v[24:27], v[1:2], off
	v_fma_f64 v[28:29], s[16:17], v[20:21], -v[28:29]
	v_fma_f64 v[22:23], s[18:19], v[20:21], v[22:23]
	s_waitcnt vmcnt(0)
	v_mul_f64 v[30:31], s[8:9], v[26:27]
	v_mul_f64 v[26:27], s[6:7], v[26:27]
	s_delay_alu instid0(VALU_DEP_2) | instskip(NEXT) | instid1(VALU_DEP_2)
	v_fma_f64 v[20:21], s[6:7], v[24:25], -v[30:31]
	v_fma_f64 v[24:25], s[8:9], v[24:25], v[26:27]
	s_delay_alu instid0(VALU_DEP_2) | instskip(NEXT) | instid1(VALU_DEP_2)
	v_add_f64 v[20:21], v[28:29], v[20:21]
	v_add_f64 v[22:23], v[22:23], v[24:25]
	global_store_b128 v[1:2], v[20:23], off
.LBB302_13:
	s_or_b32 exec_lo, exec_lo, s1
	v_add_nc_u32_e32 v2, 16, v0
	s_delay_alu instid0(VALU_DEP_1) | instskip(NEXT) | instid1(VALU_DEP_1)
	v_cmp_le_i32_e64 s0, v2, v4
	s_and_b32 s1, vcc_lo, s0
	s_delay_alu instid0(SALU_CYCLE_1)
	s_and_saveexec_b32 s0, s1
	s_cbranch_execz .LBB302_15
; %bb.14:
	v_ashrrev_i32_e32 v3, 31, v2
	v_mul_f64 v[24:25], s[18:19], v[16:17]
	v_mul_f64 v[16:17], s[16:17], v[16:17]
	s_delay_alu instid0(VALU_DEP_3) | instskip(NEXT) | instid1(VALU_DEP_1)
	v_lshlrev_b64 v[20:21], 4, v[2:3]
	v_add_co_u32 v5, vcc_lo, v5, v20
	s_delay_alu instid0(VALU_DEP_2)
	v_add_co_ci_u32_e32 v6, vcc_lo, v6, v21, vcc_lo
	global_load_b128 v[20:23], v[5:6], off
	v_fma_f64 v[24:25], s[16:17], v[12:13], -v[24:25]
	v_fma_f64 v[12:13], s[18:19], v[12:13], v[16:17]
	s_waitcnt vmcnt(0)
	v_mul_f64 v[26:27], s[8:9], v[22:23]
	v_mul_f64 v[22:23], s[6:7], v[22:23]
	s_delay_alu instid0(VALU_DEP_2) | instskip(NEXT) | instid1(VALU_DEP_2)
	v_fma_f64 v[16:17], s[6:7], v[20:21], -v[26:27]
	v_fma_f64 v[22:23], s[8:9], v[20:21], v[22:23]
	s_delay_alu instid0(VALU_DEP_2) | instskip(NEXT) | instid1(VALU_DEP_2)
	v_add_f64 v[20:21], v[24:25], v[16:17]
	v_add_f64 v[22:23], v[12:13], v[22:23]
	global_store_b128 v[5:6], v[20:23], off
.LBB302_15:
	s_or_b32 exec_lo, exec_lo, s0
	v_add_nc_u32_e32 v3, 16, v4
	s_delay_alu instid0(VALU_DEP_1) | instskip(SKIP_2) | instid1(VALU_DEP_1)
	v_mad_i64_i32 v[4:5], null, v3, s2, 0
	v_cmp_gt_i32_e32 vcc_lo, s24, v3
	v_cmp_le_i32_e64 s0, v0, v3
	s_and_b32 s0, vcc_lo, s0
	s_delay_alu instid0(VALU_DEP_3) | instskip(NEXT) | instid1(VALU_DEP_1)
	v_lshlrev_b64 v[4:5], 4, v[4:5]
	v_add_co_u32 v4, s1, s3, v4
	s_delay_alu instid0(VALU_DEP_1)
	v_add_co_ci_u32_e64 v5, s1, s4, v5, s1
	s_and_saveexec_b32 s1, s0
	s_cbranch_execz .LBB302_17
; %bb.16:
	v_ashrrev_i32_e32 v1, 31, v0
	v_mul_f64 v[6:7], s[18:19], v[18:19]
	v_mul_f64 v[12:13], s[16:17], v[18:19]
	s_delay_alu instid0(VALU_DEP_3) | instskip(NEXT) | instid1(VALU_DEP_1)
	v_lshlrev_b64 v[0:1], 4, v[0:1]
	v_add_co_u32 v0, s0, v4, v0
	s_delay_alu instid0(VALU_DEP_1)
	v_add_co_ci_u32_e64 v1, s0, v5, v1, s0
	global_load_b128 v[20:23], v[0:1], off
	v_fma_f64 v[6:7], s[16:17], v[14:15], -v[6:7]
	v_fma_f64 v[14:15], s[18:19], v[14:15], v[12:13]
	s_waitcnt vmcnt(0)
	v_mul_f64 v[16:17], s[8:9], v[22:23]
	v_mul_f64 v[18:19], s[6:7], v[22:23]
	s_delay_alu instid0(VALU_DEP_2) | instskip(NEXT) | instid1(VALU_DEP_2)
	v_fma_f64 v[12:13], s[6:7], v[20:21], -v[16:17]
	v_fma_f64 v[16:17], s[8:9], v[20:21], v[18:19]
	s_delay_alu instid0(VALU_DEP_2) | instskip(NEXT) | instid1(VALU_DEP_2)
	v_add_f64 v[12:13], v[6:7], v[12:13]
	v_add_f64 v[14:15], v[14:15], v[16:17]
	global_store_b128 v[0:1], v[12:15], off
.LBB302_17:
	s_or_b32 exec_lo, exec_lo, s1
	v_cmp_le_i32_e64 s0, v2, v3
	s_delay_alu instid0(VALU_DEP_1) | instskip(NEXT) | instid1(SALU_CYCLE_1)
	s_and_b32 s0, vcc_lo, s0
	s_and_saveexec_b32 s1, s0
	s_cbranch_execz .LBB302_19
; %bb.18:
	v_ashrrev_i32_e32 v3, 31, v2
	v_mul_f64 v[6:7], s[18:19], v[10:11]
	v_mul_f64 v[10:11], s[16:17], v[10:11]
	s_delay_alu instid0(VALU_DEP_3) | instskip(NEXT) | instid1(VALU_DEP_1)
	v_lshlrev_b64 v[0:1], 4, v[2:3]
	v_add_co_u32 v4, vcc_lo, v4, v0
	s_delay_alu instid0(VALU_DEP_2)
	v_add_co_ci_u32_e32 v5, vcc_lo, v5, v1, vcc_lo
	global_load_b128 v[0:3], v[4:5], off
	v_fma_f64 v[6:7], s[16:17], v[8:9], -v[6:7]
	v_fma_f64 v[8:9], s[18:19], v[8:9], v[10:11]
	s_waitcnt vmcnt(0)
	v_mul_f64 v[12:13], s[8:9], v[2:3]
	v_mul_f64 v[2:3], s[6:7], v[2:3]
	s_delay_alu instid0(VALU_DEP_2) | instskip(NEXT) | instid1(VALU_DEP_2)
	v_fma_f64 v[10:11], s[6:7], v[0:1], -v[12:13]
	v_fma_f64 v[2:3], s[8:9], v[0:1], v[2:3]
	s_delay_alu instid0(VALU_DEP_2) | instskip(NEXT) | instid1(VALU_DEP_2)
	v_add_f64 v[0:1], v[6:7], v[10:11]
	v_add_f64 v[2:3], v[8:9], v[2:3]
	global_store_b128 v[4:5], v[0:3], off
.LBB302_19:
	s_nop 0
	s_sendmsg sendmsg(MSG_DEALLOC_VGPRS)
	s_endpgm
	.section	.rodata,"a",@progbits
	.p2align	6, 0x0
	.amdhsa_kernel _ZL34rocblas_syrkx_herkx_general_kernelIi19rocblas_complex_numIdELi16ELi32ELi8ELb0ELb0ELc84ELc85EKS1_S1_EviT_T0_PT8_S3_lS6_S3_lS4_PT9_S3_li
		.amdhsa_group_segment_fixed_size 8192
		.amdhsa_private_segment_fixed_size 0
		.amdhsa_kernarg_size 116
		.amdhsa_user_sgpr_count 13
		.amdhsa_user_sgpr_dispatch_ptr 0
		.amdhsa_user_sgpr_queue_ptr 0
		.amdhsa_user_sgpr_kernarg_segment_ptr 1
		.amdhsa_user_sgpr_dispatch_id 0
		.amdhsa_user_sgpr_private_segment_size 0
		.amdhsa_wavefront_size32 1
		.amdhsa_uses_dynamic_stack 0
		.amdhsa_enable_private_segment 0
		.amdhsa_system_sgpr_workgroup_id_x 1
		.amdhsa_system_sgpr_workgroup_id_y 1
		.amdhsa_system_sgpr_workgroup_id_z 1
		.amdhsa_system_sgpr_workgroup_info 0
		.amdhsa_system_vgpr_workitem_id 1
		.amdhsa_next_free_vgpr 56
		.amdhsa_next_free_sgpr 29
		.amdhsa_reserve_vcc 1
		.amdhsa_float_round_mode_32 0
		.amdhsa_float_round_mode_16_64 0
		.amdhsa_float_denorm_mode_32 3
		.amdhsa_float_denorm_mode_16_64 3
		.amdhsa_dx10_clamp 1
		.amdhsa_ieee_mode 1
		.amdhsa_fp16_overflow 0
		.amdhsa_workgroup_processor_mode 1
		.amdhsa_memory_ordered 1
		.amdhsa_forward_progress 0
		.amdhsa_shared_vgpr_count 0
		.amdhsa_exception_fp_ieee_invalid_op 0
		.amdhsa_exception_fp_denorm_src 0
		.amdhsa_exception_fp_ieee_div_zero 0
		.amdhsa_exception_fp_ieee_overflow 0
		.amdhsa_exception_fp_ieee_underflow 0
		.amdhsa_exception_fp_ieee_inexact 0
		.amdhsa_exception_int_div_zero 0
	.end_amdhsa_kernel
	.section	.text._ZL34rocblas_syrkx_herkx_general_kernelIi19rocblas_complex_numIdELi16ELi32ELi8ELb0ELb0ELc84ELc85EKS1_S1_EviT_T0_PT8_S3_lS6_S3_lS4_PT9_S3_li,"axG",@progbits,_ZL34rocblas_syrkx_herkx_general_kernelIi19rocblas_complex_numIdELi16ELi32ELi8ELb0ELb0ELc84ELc85EKS1_S1_EviT_T0_PT8_S3_lS6_S3_lS4_PT9_S3_li,comdat
.Lfunc_end302:
	.size	_ZL34rocblas_syrkx_herkx_general_kernelIi19rocblas_complex_numIdELi16ELi32ELi8ELb0ELb0ELc84ELc85EKS1_S1_EviT_T0_PT8_S3_lS6_S3_lS4_PT9_S3_li, .Lfunc_end302-_ZL34rocblas_syrkx_herkx_general_kernelIi19rocblas_complex_numIdELi16ELi32ELi8ELb0ELb0ELc84ELc85EKS1_S1_EviT_T0_PT8_S3_lS6_S3_lS4_PT9_S3_li
                                        ; -- End function
	.section	.AMDGPU.csdata,"",@progbits
; Kernel info:
; codeLenInByte = 3796
; NumSgprs: 31
; NumVgprs: 56
; ScratchSize: 0
; MemoryBound: 0
; FloatMode: 240
; IeeeMode: 1
; LDSByteSize: 8192 bytes/workgroup (compile time only)
; SGPRBlocks: 3
; VGPRBlocks: 6
; NumSGPRsForWavesPerEU: 31
; NumVGPRsForWavesPerEU: 56
; Occupancy: 16
; WaveLimiterHint : 0
; COMPUTE_PGM_RSRC2:SCRATCH_EN: 0
; COMPUTE_PGM_RSRC2:USER_SGPR: 13
; COMPUTE_PGM_RSRC2:TRAP_HANDLER: 0
; COMPUTE_PGM_RSRC2:TGID_X_EN: 1
; COMPUTE_PGM_RSRC2:TGID_Y_EN: 1
; COMPUTE_PGM_RSRC2:TGID_Z_EN: 1
; COMPUTE_PGM_RSRC2:TIDIG_COMP_CNT: 1
	.section	.text._ZL34rocblas_syrkx_herkx_general_kernelIi19rocblas_complex_numIdELi16ELi32ELi8ELb0ELb0ELc67ELc85EKS1_S1_EviT_T0_PT8_S3_lS6_S3_lS4_PT9_S3_li,"axG",@progbits,_ZL34rocblas_syrkx_herkx_general_kernelIi19rocblas_complex_numIdELi16ELi32ELi8ELb0ELb0ELc67ELc85EKS1_S1_EviT_T0_PT8_S3_lS6_S3_lS4_PT9_S3_li,comdat
	.globl	_ZL34rocblas_syrkx_herkx_general_kernelIi19rocblas_complex_numIdELi16ELi32ELi8ELb0ELb0ELc67ELc85EKS1_S1_EviT_T0_PT8_S3_lS6_S3_lS4_PT9_S3_li ; -- Begin function _ZL34rocblas_syrkx_herkx_general_kernelIi19rocblas_complex_numIdELi16ELi32ELi8ELb0ELb0ELc67ELc85EKS1_S1_EviT_T0_PT8_S3_lS6_S3_lS4_PT9_S3_li
	.p2align	8
	.type	_ZL34rocblas_syrkx_herkx_general_kernelIi19rocblas_complex_numIdELi16ELi32ELi8ELb0ELb0ELc67ELc85EKS1_S1_EviT_T0_PT8_S3_lS6_S3_lS4_PT9_S3_li,@function
_ZL34rocblas_syrkx_herkx_general_kernelIi19rocblas_complex_numIdELi16ELi32ELi8ELb0ELb0ELc67ELc85EKS1_S1_EviT_T0_PT8_S3_lS6_S3_lS4_PT9_S3_li: ; @_ZL34rocblas_syrkx_herkx_general_kernelIi19rocblas_complex_numIdELi16ELi32ELi8ELb0ELb0ELc67ELc85EKS1_S1_EviT_T0_PT8_S3_lS6_S3_lS4_PT9_S3_li
; %bb.0:
	s_clause 0x3
	s_load_b64 s[24:25], s[0:1], 0x0
	s_load_b128 s[16:19], s[0:1], 0x8
	s_load_b64 s[26:27], s[0:1], 0x18
	s_load_b256 s[4:11], s[0:1], 0x40
	v_mov_b32_e32 v23, 0
	v_dual_mov_b32 v24, 0 :: v_dual_and_b32 v27, 0x3ff, v0
	v_bfe_u32 v28, v0, 10, 10
	s_delay_alu instid0(VALU_DEP_3) | instskip(NEXT) | instid1(VALU_DEP_3)
	v_mov_b32_e32 v19, v23
	v_dual_mov_b32 v21, v23 :: v_dual_mov_b32 v22, v24
	v_dual_mov_b32 v26, v24 :: v_dual_mov_b32 v25, v23
	;; [unrolled: 1-line block ×6, first 2 shown]
	v_mov_b32_e32 v14, v24
	s_lshl_b32 s12, s13, 5
	s_lshl_b32 s13, s14, 5
	s_waitcnt lgkmcnt(0)
	s_cmp_lt_i32 s25, 1
	s_mov_b32 s14, 0
	s_cbranch_scc1 .LBB303_9
; %bb.1:
	s_load_b32 s2, s[0:1], 0x20
	v_lshl_add_u32 v0, v28, 4, v27
	s_clause 0x1
	s_load_b128 s[20:23], s[0:1], 0x28
	s_load_b32 s3, s[0:1], 0x38
	v_and_b32_e32 v29, 7, v27
	s_mul_i32 s5, s5, s15
	v_lshlrev_b32_e32 v30, 4, v27
	v_and_b32_e32 v2, 31, v0
	v_lshrrev_b32_e32 v1, 3, v0
	v_lshlrev_b32_e32 v4, 4, v29
	v_lshrrev_b32_e32 v32, 5, v0
	v_lshl_add_u32 v31, v28, 7, 0x1000
	v_add_nc_u32_e32 v3, s12, v2
	v_add_nc_u32_e32 v5, s13, v1
	v_lshl_or_b32 v7, v1, 7, v4
	v_or_b32_e32 v6, s12, v2
	v_lshlrev_b32_e32 v2, 4, v2
	v_lshlrev_b32_e32 v8, 4, v32
	s_delay_alu instid0(VALU_DEP_4) | instskip(NEXT) | instid1(VALU_DEP_4)
	v_add_nc_u32_e32 v34, 0x1000, v7
	v_cmp_gt_i32_e32 vcc_lo, s24, v6
	s_waitcnt lgkmcnt(0)
	v_mad_i64_i32 v[0:1], null, s2, v3, 0
	s_mul_i32 s21, s21, s15
	s_mul_hi_u32 s28, s20, s15
	s_mul_i32 s20, s20, s15
	s_add_i32 s21, s28, s21
	v_lshl_or_b32 v33, v32, 9, v2
	s_lshl_b64 s[20:21], s[20:21], 4
	s_delay_alu instid0(VALU_DEP_2) | instskip(SKIP_2) | instid1(VALU_DEP_3)
	v_lshlrev_b64 v[0:1], 4, v[0:1]
	v_mad_i64_i32 v[2:3], null, s3, v5, 0
	v_cmp_gt_i32_e64 s2, s24, v5
	v_add_co_u32 v0, s3, v0, s20
	s_delay_alu instid0(VALU_DEP_1) | instskip(NEXT) | instid1(VALU_DEP_2)
	v_add_co_ci_u32_e64 v1, s3, s21, v1, s3
	v_add_co_u32 v5, s3, v0, v8
	s_delay_alu instid0(VALU_DEP_1)
	v_add_co_ci_u32_e64 v6, s3, 0, v1, s3
	s_mul_hi_u32 s3, s4, s15
	v_lshlrev_b64 v[0:1], 4, v[2:3]
	s_add_i32 s5, s3, s5
	s_mul_i32 s4, s4, s15
	v_add_co_u32 v2, s3, v5, s26
	s_lshl_b64 s[4:5], s[4:5], 4
	v_add_co_ci_u32_e64 v3, s3, s27, v6, s3
	v_mov_b32_e32 v7, 0
	v_add_co_u32 v0, s3, v0, s4
	v_mov_b32_e32 v8, 0
	v_add_co_ci_u32_e64 v1, s3, s5, v1, s3
	v_add_co_u32 v5, s3, v2, 8
	s_delay_alu instid0(VALU_DEP_1) | instskip(NEXT) | instid1(VALU_DEP_4)
	v_add_co_ci_u32_e64 v6, s3, 0, v3, s3
	v_dual_mov_b32 v12, v8 :: v_dual_mov_b32 v11, v7
	v_add_co_u32 v0, s3, v0, v4
	s_delay_alu instid0(VALU_DEP_1) | instskip(SKIP_1) | instid1(VALU_DEP_3)
	v_add_co_ci_u32_e64 v1, s3, 0, v1, s3
	v_mov_b32_e32 v14, v8
	v_add_co_u32 v9, s3, s22, v0
	v_mov_b32_e32 v18, v8
	v_mov_b32_e32 v16, v8
	;; [unrolled: 1-line block ×5, first 2 shown]
	v_dual_mov_b32 v24, v8 :: v_dual_mov_b32 v23, v7
	v_add_co_ci_u32_e64 v10, s3, s23, v1, s3
	v_dual_mov_b32 v0, 0 :: v_dual_mov_b32 v13, v7
	v_mov_b32_e32 v17, v7
	v_mov_b32_e32 v15, v7
	;; [unrolled: 1-line block ×5, first 2 shown]
	s_xor_b32 s3, s2, -1
	s_branch .LBB303_3
.LBB303_2:                              ;   in Loop: Header=BB303_3 Depth=1
	s_or_b32 exec_lo, exec_lo, s2
	s_waitcnt lgkmcnt(0)
	s_barrier
	buffer_gl0_inv
	ds_load_b128 v[1:4], v31
	ds_load_b128 v[35:38], v30
	ds_load_b128 v[39:42], v30 offset:256
	ds_load_b128 v[43:46], v31 offset:2048
	ds_load_b128 v[47:50], v31 offset:16
	ds_load_b128 v[51:54], v31 offset:2064
	ds_load_b128 v[55:58], v30 offset:512
	ds_load_b128 v[59:62], v30 offset:768
	ds_load_b128 v[63:66], v30 offset:1024
	ds_load_b128 v[67:70], v30 offset:1280
	ds_load_b128 v[71:74], v31 offset:2080
	v_add_co_u32 v5, s2, 0x80, v5
	s_delay_alu instid0(VALU_DEP_1) | instskip(SKIP_1) | instid1(VALU_DEP_1)
	v_add_co_ci_u32_e64 v6, s2, 0, v6, s2
	v_add_co_u32 v9, s2, 0x80, v9
	v_add_co_ci_u32_e64 v10, s2, 0, v10, s2
	s_add_i32 s14, s14, 8
	s_delay_alu instid0(SALU_CYCLE_1)
	s_cmp_ge_i32 s14, s25
	s_waitcnt lgkmcnt(9)
	v_mul_f64 v[75:76], v[3:4], v[37:38]
	v_mul_f64 v[77:78], v[1:2], v[37:38]
	s_waitcnt lgkmcnt(8)
	v_mul_f64 v[79:80], v[3:4], v[41:42]
	v_mul_f64 v[81:82], v[1:2], v[41:42]
	;; [unrolled: 3-line block ×3, first 2 shown]
	v_mul_f64 v[85:86], v[45:46], v[41:42]
	v_mul_f64 v[41:42], v[43:44], v[41:42]
	s_waitcnt lgkmcnt(4)
	v_mul_f64 v[87:88], v[49:50], v[57:58]
	v_mul_f64 v[89:90], v[47:48], v[57:58]
	s_waitcnt lgkmcnt(3)
	v_mul_f64 v[91:92], v[49:50], v[61:62]
	v_mul_f64 v[93:94], v[47:48], v[61:62]
	;; [unrolled: 1-line block ×6, first 2 shown]
	s_waitcnt lgkmcnt(0)
	v_mul_f64 v[115:116], v[73:74], v[65:66]
	v_mul_f64 v[117:118], v[73:74], v[69:70]
	v_fma_f64 v[99:100], v[1:2], v[35:36], -v[75:76]
	v_fma_f64 v[101:102], v[3:4], v[35:36], v[77:78]
	v_fma_f64 v[79:80], v[1:2], v[39:40], -v[79:80]
	v_fma_f64 v[81:82], v[3:4], v[39:40], v[81:82]
	;; [unrolled: 2-line block ×4, first 2 shown]
	ds_load_b128 v[75:78], v31 offset:32
	v_fma_f64 v[87:88], v[47:48], v[55:56], -v[87:88]
	v_fma_f64 v[89:90], v[49:50], v[55:56], v[89:90]
	v_fma_f64 v[47:48], v[47:48], v[59:60], -v[91:92]
	v_fma_f64 v[49:50], v[49:50], v[59:60], v[93:94]
	;; [unrolled: 2-line block ×4, first 2 shown]
	ds_load_b128 v[1:4], v31 offset:48
	ds_load_b128 v[35:38], v31 offset:2096
	ds_load_b128 v[39:42], v30 offset:1536
	ds_load_b128 v[43:46], v30 offset:1792
	s_waitcnt lgkmcnt(4)
	v_mul_f64 v[107:108], v[77:78], v[65:66]
	v_mul_f64 v[109:110], v[75:76], v[65:66]
	;; [unrolled: 1-line block ×6, first 2 shown]
	s_waitcnt lgkmcnt(1)
	v_mul_f64 v[93:94], v[1:2], v[41:42]
	s_waitcnt lgkmcnt(0)
	v_mul_f64 v[95:96], v[3:4], v[45:46]
	v_add_f64 v[23:24], v[23:24], v[99:100]
	v_add_f64 v[25:26], v[25:26], v[101:102]
	;; [unrolled: 1-line block ×8, first 2 shown]
	v_mul_f64 v[85:86], v[3:4], v[41:42]
	v_mul_f64 v[97:98], v[1:2], v[45:46]
	;; [unrolled: 1-line block ×6, first 2 shown]
	ds_load_b128 v[11:14], v30 offset:2048
	ds_load_b128 v[15:18], v30 offset:2304
	;; [unrolled: 1-line block ×3, first 2 shown]
	v_fma_f64 v[105:106], v[75:76], v[63:64], -v[107:108]
	v_fma_f64 v[107:108], v[77:78], v[63:64], v[109:110]
	v_fma_f64 v[75:76], v[75:76], v[67:68], -v[111:112]
	v_fma_f64 v[77:78], v[77:78], v[67:68], v[113:114]
	;; [unrolled: 2-line block ×4, first 2 shown]
	s_waitcnt lgkmcnt(0)
	v_mul_f64 v[115:116], v[21:22], v[13:14]
	v_mul_f64 v[117:118], v[21:22], v[17:18]
	v_add_f64 v[69:70], v[23:24], v[87:88]
	v_add_f64 v[71:72], v[25:26], v[89:90]
	;; [unrolled: 1-line block ×8, first 2 shown]
	ds_load_b128 v[23:26], v31 offset:64
	v_fma_f64 v[85:86], v[1:2], v[39:40], -v[85:86]
	v_fma_f64 v[93:94], v[3:4], v[39:40], v[93:94]
	v_fma_f64 v[95:96], v[1:2], v[43:44], -v[95:96]
	v_fma_f64 v[97:98], v[3:4], v[43:44], v[97:98]
	;; [unrolled: 2-line block ×4, first 2 shown]
	ds_load_b128 v[45:48], v31 offset:80
	ds_load_b128 v[49:52], v31 offset:2128
	;; [unrolled: 1-line block ×7, first 2 shown]
	s_waitcnt lgkmcnt(7)
	v_mul_f64 v[89:90], v[25:26], v[13:14]
	v_mul_f64 v[91:92], v[23:24], v[13:14]
	v_mul_f64 v[111:112], v[25:26], v[17:18]
	v_mul_f64 v[113:114], v[23:24], v[17:18]
	v_mul_f64 v[13:14], v[19:20], v[13:14]
	v_mul_f64 v[17:18], v[19:20], v[17:18]
	s_waitcnt lgkmcnt(3)
	v_mul_f64 v[103:104], v[51:52], v[59:60]
	v_add_f64 v[69:70], v[69:70], v[105:106]
	v_add_f64 v[71:72], v[71:72], v[107:108]
	v_add_f64 v[73:74], v[73:74], v[75:76]
	v_add_f64 v[75:76], v[87:88], v[77:78]
	v_add_f64 v[61:62], v[61:62], v[109:110]
	v_add_f64 v[63:64], v[79:80], v[63:64]
	v_add_f64 v[65:66], v[81:82], v[65:66]
	v_add_f64 v[67:68], v[83:84], v[67:68]
	v_mul_f64 v[77:78], v[47:48], v[55:56]
	v_mul_f64 v[79:80], v[45:46], v[55:56]
	;; [unrolled: 1-line block ×7, first 2 shown]
	v_fma_f64 v[89:90], v[23:24], v[11:12], -v[89:90]
	v_fma_f64 v[91:92], v[25:26], v[11:12], v[91:92]
	v_fma_f64 v[107:108], v[23:24], v[15:16], -v[111:112]
	v_fma_f64 v[109:110], v[25:26], v[15:16], v[113:114]
	;; [unrolled: 2-line block ×4, first 2 shown]
	ds_load_b128 v[11:14], v31 offset:96
	v_add_f64 v[69:70], v[69:70], v[85:86]
	v_add_f64 v[71:72], v[71:72], v[93:94]
	;; [unrolled: 1-line block ×8, first 2 shown]
	s_waitcnt lgkmcnt(1)
	v_mul_f64 v[99:100], v[41:42], v[3:4]
	v_mul_f64 v[101:102], v[41:42], v[37:38]
	v_fma_f64 v[77:78], v[45:46], v[53:54], -v[77:78]
	v_fma_f64 v[79:80], v[47:48], v[53:54], v[79:80]
	v_fma_f64 v[45:46], v[45:46], v[57:58], -v[81:82]
	v_fma_f64 v[47:48], v[47:48], v[57:58], v[83:84]
	v_fma_f64 v[81:82], v[49:50], v[53:54], -v[87:88]
	v_fma_f64 v[53:54], v[51:52], v[53:54], v[55:56]
	v_fma_f64 v[49:50], v[49:50], v[57:58], -v[103:104]
	v_fma_f64 v[51:52], v[51:52], v[57:58], v[105:106]
	s_waitcnt lgkmcnt(0)
	v_mul_f64 v[67:68], v[13:14], v[3:4]
	v_mul_f64 v[93:94], v[11:12], v[3:4]
	v_mul_f64 v[95:96], v[13:14], v[37:38]
	v_mul_f64 v[97:98], v[11:12], v[37:38]
	v_mul_f64 v[3:4], v[39:40], v[3:4]
	v_mul_f64 v[37:38], v[39:40], v[37:38]
	ds_load_b128 v[15:18], v31 offset:112
	ds_load_b128 v[19:22], v31 offset:2160
	;; [unrolled: 1-line block ×4, first 2 shown]
	s_waitcnt lgkmcnt(0)
	s_barrier
	buffer_gl0_inv
	v_add_f64 v[55:56], v[69:70], v[89:90]
	v_add_f64 v[57:58], v[71:72], v[91:92]
	;; [unrolled: 1-line block ×8, first 2 shown]
	v_mul_f64 v[75:76], v[17:18], v[25:26]
	v_mul_f64 v[83:84], v[15:16], v[25:26]
	;; [unrolled: 1-line block ×8, first 2 shown]
	v_fma_f64 v[67:68], v[11:12], v[1:2], -v[67:68]
	v_fma_f64 v[93:94], v[13:14], v[1:2], v[93:94]
	v_fma_f64 v[11:12], v[11:12], v[35:36], -v[95:96]
	v_fma_f64 v[13:14], v[13:14], v[35:36], v[97:98]
	;; [unrolled: 2-line block ×4, first 2 shown]
	v_add_f64 v[37:38], v[55:56], v[77:78]
	v_add_f64 v[39:40], v[57:58], v[79:80]
	v_add_f64 v[41:42], v[69:70], v[45:46]
	v_add_f64 v[45:46], v[71:72], v[47:48]
	v_add_f64 v[47:48], v[73:74], v[81:82]
	v_add_f64 v[53:54], v[63:64], v[53:54]
	v_add_f64 v[49:50], v[65:66], v[49:50]
	v_add_f64 v[43:44], v[43:44], v[51:52]
	v_fma_f64 v[51:52], v[15:16], v[23:24], -v[75:76]
	v_fma_f64 v[55:56], v[17:18], v[23:24], v[83:84]
	v_fma_f64 v[15:16], v[15:16], v[59:60], -v[85:86]
	v_fma_f64 v[17:18], v[17:18], v[59:60], v[87:88]
	v_fma_f64 v[57:58], v[19:20], v[23:24], -v[89:90]
	v_fma_f64 v[63:64], v[21:22], v[23:24], v[25:26]
	v_fma_f64 v[65:66], v[19:20], v[59:60], -v[91:92]
	v_fma_f64 v[59:60], v[21:22], v[59:60], v[61:62]
	v_add_f64 v[19:20], v[37:38], v[67:68]
	v_add_f64 v[21:22], v[39:40], v[93:94]
	;; [unrolled: 1-line block ×16, first 2 shown]
	s_cbranch_scc1 .LBB303_9
.LBB303_3:                              ; =>This Inner Loop Header: Depth=1
	v_add_nc_u32_e32 v1, s14, v32
	v_dual_mov_b32 v3, v7 :: v_dual_mov_b32 v4, v8
	s_delay_alu instid0(VALU_DEP_2) | instskip(SKIP_1) | instid1(VALU_DEP_2)
	v_cmp_gt_i32_e64 s2, s25, v1
	v_dual_mov_b32 v1, v7 :: v_dual_mov_b32 v2, v8
	s_and_b32 s4, vcc_lo, s2
	s_delay_alu instid0(SALU_CYCLE_1)
	s_and_saveexec_b32 s2, s4
	s_cbranch_execz .LBB303_5
; %bb.4:                                ;   in Loop: Header=BB303_3 Depth=1
	global_load_b128 v[1:4], v[5:6], off offset:-8
.LBB303_5:                              ;   in Loop: Header=BB303_3 Depth=1
	s_or_b32 exec_lo, exec_lo, s2
	v_add_nc_u32_e32 v35, s14, v29
	s_waitcnt vmcnt(0)
	ds_store_b128 v33, v[1:4]
	v_cmp_le_i32_e64 s2, s25, v35
	s_delay_alu instid0(VALU_DEP_1) | instskip(NEXT) | instid1(SALU_CYCLE_1)
	s_or_b32 s2, s2, s3
	s_and_saveexec_b32 s4, s2
	s_delay_alu instid0(SALU_CYCLE_1)
	s_xor_b32 s2, exec_lo, s4
	s_cbranch_execz .LBB303_7
; %bb.6:                                ;   in Loop: Header=BB303_3 Depth=1
	v_mov_b32_e32 v1, v0
	v_mov_b32_e32 v2, v0
	;; [unrolled: 1-line block ×3, first 2 shown]
	ds_store_b128 v34, v[0:3]
.LBB303_7:                              ;   in Loop: Header=BB303_3 Depth=1
	s_and_not1_saveexec_b32 s2, s2
	s_cbranch_execz .LBB303_2
; %bb.8:                                ;   in Loop: Header=BB303_3 Depth=1
	global_load_b128 v[1:4], v[9:10], off
	s_waitcnt vmcnt(0)
	ds_store_2addr_b64 v34, v[1:2], v[3:4] offset1:1
	s_branch .LBB303_2
.LBB303_9:
	s_clause 0x1
	s_load_b32 s2, s[0:1], 0x60
	s_load_b64 s[0:1], s[0:1], 0x68
	v_add_nc_u32_e32 v4, s13, v28
	v_add_nc_u32_e32 v0, s12, v27
	s_delay_alu instid0(VALU_DEP_2)
	v_cmp_gt_i32_e32 vcc_lo, s24, v4
	s_waitcnt lgkmcnt(0)
	v_mad_i64_i32 v[1:2], null, v4, s2, 0
	s_mul_i32 s1, s15, s1
	s_mul_hi_u32 s3, s15, s0
	s_mul_i32 s0, s15, s0
	s_add_i32 s1, s3, s1
	s_delay_alu instid0(SALU_CYCLE_1) | instskip(NEXT) | instid1(VALU_DEP_1)
	s_lshl_b64 s[4:5], s[0:1], 4
	v_lshlrev_b64 v[1:2], 4, v[1:2]
	s_add_u32 s3, s10, s4
	v_cmp_le_i32_e64 s0, v0, v4
	s_addc_u32 s4, s11, s5
	s_delay_alu instid0(VALU_DEP_2) | instskip(NEXT) | instid1(VALU_DEP_1)
	v_add_co_u32 v5, s1, s3, v1
	v_add_co_ci_u32_e64 v6, s1, s4, v2, s1
	s_delay_alu instid0(VALU_DEP_3) | instskip(NEXT) | instid1(SALU_CYCLE_1)
	s_and_b32 s0, vcc_lo, s0
	s_and_saveexec_b32 s1, s0
	s_cbranch_execz .LBB303_11
; %bb.10:
	v_ashrrev_i32_e32 v1, 31, v0
	v_mul_f64 v[27:28], s[18:19], v[25:26]
	v_mul_f64 v[25:26], s[16:17], v[25:26]
	s_delay_alu instid0(VALU_DEP_3) | instskip(NEXT) | instid1(VALU_DEP_1)
	v_lshlrev_b64 v[1:2], 4, v[0:1]
	v_add_co_u32 v1, s0, v5, v1
	s_delay_alu instid0(VALU_DEP_1)
	v_add_co_ci_u32_e64 v2, s0, v6, v2, s0
	global_load_b128 v[7:10], v[1:2], off
	v_fma_f64 v[27:28], s[16:17], v[23:24], -v[27:28]
	v_fma_f64 v[23:24], s[18:19], v[23:24], v[25:26]
	s_waitcnt vmcnt(0)
	v_mul_f64 v[29:30], s[8:9], v[9:10]
	v_mul_f64 v[9:10], s[6:7], v[9:10]
	s_delay_alu instid0(VALU_DEP_2) | instskip(NEXT) | instid1(VALU_DEP_2)
	v_fma_f64 v[25:26], s[6:7], v[7:8], -v[29:30]
	v_fma_f64 v[9:10], s[8:9], v[7:8], v[9:10]
	s_delay_alu instid0(VALU_DEP_2) | instskip(NEXT) | instid1(VALU_DEP_2)
	v_add_f64 v[7:8], v[27:28], v[25:26]
	v_add_f64 v[9:10], v[23:24], v[9:10]
	global_store_b128 v[1:2], v[7:10], off
.LBB303_11:
	s_or_b32 exec_lo, exec_lo, s1
	v_add_nc_u32_e32 v2, 16, v0
	s_delay_alu instid0(VALU_DEP_1) | instskip(NEXT) | instid1(VALU_DEP_1)
	v_cmp_le_i32_e64 s0, v2, v4
	s_and_b32 s1, vcc_lo, s0
	s_delay_alu instid0(SALU_CYCLE_1)
	s_and_saveexec_b32 s0, s1
	s_cbranch_execz .LBB303_13
; %bb.12:
	v_ashrrev_i32_e32 v3, 31, v2
	v_mul_f64 v[23:24], s[18:19], v[21:22]
	v_mul_f64 v[21:22], s[16:17], v[21:22]
	s_delay_alu instid0(VALU_DEP_3) | instskip(NEXT) | instid1(VALU_DEP_1)
	v_lshlrev_b64 v[7:8], 4, v[2:3]
	v_add_co_u32 v9, vcc_lo, v5, v7
	s_delay_alu instid0(VALU_DEP_2)
	v_add_co_ci_u32_e32 v10, vcc_lo, v6, v8, vcc_lo
	global_load_b128 v[5:8], v[9:10], off
	v_fma_f64 v[23:24], s[16:17], v[19:20], -v[23:24]
	v_fma_f64 v[19:20], s[18:19], v[19:20], v[21:22]
	s_waitcnt vmcnt(0)
	v_mul_f64 v[25:26], s[8:9], v[7:8]
	v_mul_f64 v[7:8], s[6:7], v[7:8]
	s_delay_alu instid0(VALU_DEP_2) | instskip(NEXT) | instid1(VALU_DEP_2)
	v_fma_f64 v[21:22], s[6:7], v[5:6], -v[25:26]
	v_fma_f64 v[7:8], s[8:9], v[5:6], v[7:8]
	s_delay_alu instid0(VALU_DEP_2) | instskip(NEXT) | instid1(VALU_DEP_2)
	v_add_f64 v[5:6], v[23:24], v[21:22]
	v_add_f64 v[7:8], v[19:20], v[7:8]
	global_store_b128 v[9:10], v[5:8], off
.LBB303_13:
	s_or_b32 exec_lo, exec_lo, s0
	v_add_nc_u32_e32 v3, 16, v4
	s_delay_alu instid0(VALU_DEP_1) | instskip(SKIP_2) | instid1(VALU_DEP_1)
	v_mad_i64_i32 v[4:5], null, v3, s2, 0
	v_cmp_gt_i32_e32 vcc_lo, s24, v3
	v_cmp_le_i32_e64 s0, v0, v3
	s_and_b32 s0, vcc_lo, s0
	s_delay_alu instid0(VALU_DEP_3) | instskip(NEXT) | instid1(VALU_DEP_1)
	v_lshlrev_b64 v[4:5], 4, v[4:5]
	v_add_co_u32 v4, s1, s3, v4
	s_delay_alu instid0(VALU_DEP_1)
	v_add_co_ci_u32_e64 v5, s1, s4, v5, s1
	s_and_saveexec_b32 s1, s0
	s_cbranch_execz .LBB303_15
; %bb.14:
	v_ashrrev_i32_e32 v1, 31, v0
	v_mul_f64 v[19:20], s[18:19], v[17:18]
	v_mul_f64 v[17:18], s[16:17], v[17:18]
	s_delay_alu instid0(VALU_DEP_3) | instskip(NEXT) | instid1(VALU_DEP_1)
	v_lshlrev_b64 v[0:1], 4, v[0:1]
	v_add_co_u32 v0, s0, v4, v0
	s_delay_alu instid0(VALU_DEP_1)
	v_add_co_ci_u32_e64 v1, s0, v5, v1, s0
	global_load_b128 v[6:9], v[0:1], off
	v_fma_f64 v[19:20], s[16:17], v[15:16], -v[19:20]
	v_fma_f64 v[15:16], s[18:19], v[15:16], v[17:18]
	s_waitcnt vmcnt(0)
	v_mul_f64 v[21:22], s[8:9], v[8:9]
	v_mul_f64 v[8:9], s[6:7], v[8:9]
	s_delay_alu instid0(VALU_DEP_2) | instskip(NEXT) | instid1(VALU_DEP_2)
	v_fma_f64 v[17:18], s[6:7], v[6:7], -v[21:22]
	v_fma_f64 v[8:9], s[8:9], v[6:7], v[8:9]
	s_delay_alu instid0(VALU_DEP_2) | instskip(NEXT) | instid1(VALU_DEP_2)
	v_add_f64 v[6:7], v[19:20], v[17:18]
	v_add_f64 v[8:9], v[15:16], v[8:9]
	global_store_b128 v[0:1], v[6:9], off
.LBB303_15:
	s_or_b32 exec_lo, exec_lo, s1
	v_cmp_le_i32_e64 s0, v2, v3
	s_delay_alu instid0(VALU_DEP_1) | instskip(NEXT) | instid1(SALU_CYCLE_1)
	s_and_b32 s0, vcc_lo, s0
	s_and_saveexec_b32 s1, s0
	s_cbranch_execz .LBB303_17
; %bb.16:
	v_ashrrev_i32_e32 v3, 31, v2
	v_mul_f64 v[6:7], s[18:19], v[13:14]
	v_mul_f64 v[8:9], s[16:17], v[13:14]
	s_delay_alu instid0(VALU_DEP_3) | instskip(NEXT) | instid1(VALU_DEP_1)
	v_lshlrev_b64 v[0:1], 4, v[2:3]
	v_add_co_u32 v4, vcc_lo, v4, v0
	s_delay_alu instid0(VALU_DEP_2)
	v_add_co_ci_u32_e32 v5, vcc_lo, v5, v1, vcc_lo
	global_load_b128 v[0:3], v[4:5], off
	v_fma_f64 v[6:7], s[16:17], v[11:12], -v[6:7]
	v_fma_f64 v[8:9], s[18:19], v[11:12], v[8:9]
	s_waitcnt vmcnt(0)
	v_mul_f64 v[13:14], s[8:9], v[2:3]
	v_mul_f64 v[2:3], s[6:7], v[2:3]
	s_delay_alu instid0(VALU_DEP_2) | instskip(NEXT) | instid1(VALU_DEP_2)
	v_fma_f64 v[10:11], s[6:7], v[0:1], -v[13:14]
	v_fma_f64 v[2:3], s[8:9], v[0:1], v[2:3]
	s_delay_alu instid0(VALU_DEP_2) | instskip(NEXT) | instid1(VALU_DEP_2)
	v_add_f64 v[0:1], v[6:7], v[10:11]
	v_add_f64 v[2:3], v[8:9], v[2:3]
	global_store_b128 v[4:5], v[0:3], off
.LBB303_17:
	s_nop 0
	s_sendmsg sendmsg(MSG_DEALLOC_VGPRS)
	s_endpgm
	.section	.rodata,"a",@progbits
	.p2align	6, 0x0
	.amdhsa_kernel _ZL34rocblas_syrkx_herkx_general_kernelIi19rocblas_complex_numIdELi16ELi32ELi8ELb0ELb0ELc67ELc85EKS1_S1_EviT_T0_PT8_S3_lS6_S3_lS4_PT9_S3_li
		.amdhsa_group_segment_fixed_size 8192
		.amdhsa_private_segment_fixed_size 0
		.amdhsa_kernarg_size 116
		.amdhsa_user_sgpr_count 13
		.amdhsa_user_sgpr_dispatch_ptr 0
		.amdhsa_user_sgpr_queue_ptr 0
		.amdhsa_user_sgpr_kernarg_segment_ptr 1
		.amdhsa_user_sgpr_dispatch_id 0
		.amdhsa_user_sgpr_private_segment_size 0
		.amdhsa_wavefront_size32 1
		.amdhsa_uses_dynamic_stack 0
		.amdhsa_enable_private_segment 0
		.amdhsa_system_sgpr_workgroup_id_x 1
		.amdhsa_system_sgpr_workgroup_id_y 1
		.amdhsa_system_sgpr_workgroup_id_z 1
		.amdhsa_system_sgpr_workgroup_info 0
		.amdhsa_system_vgpr_workitem_id 1
		.amdhsa_next_free_vgpr 121
		.amdhsa_next_free_sgpr 29
		.amdhsa_reserve_vcc 1
		.amdhsa_float_round_mode_32 0
		.amdhsa_float_round_mode_16_64 0
		.amdhsa_float_denorm_mode_32 3
		.amdhsa_float_denorm_mode_16_64 3
		.amdhsa_dx10_clamp 1
		.amdhsa_ieee_mode 1
		.amdhsa_fp16_overflow 0
		.amdhsa_workgroup_processor_mode 1
		.amdhsa_memory_ordered 1
		.amdhsa_forward_progress 0
		.amdhsa_shared_vgpr_count 0
		.amdhsa_exception_fp_ieee_invalid_op 0
		.amdhsa_exception_fp_denorm_src 0
		.amdhsa_exception_fp_ieee_div_zero 0
		.amdhsa_exception_fp_ieee_overflow 0
		.amdhsa_exception_fp_ieee_underflow 0
		.amdhsa_exception_fp_ieee_inexact 0
		.amdhsa_exception_int_div_zero 0
	.end_amdhsa_kernel
	.section	.text._ZL34rocblas_syrkx_herkx_general_kernelIi19rocblas_complex_numIdELi16ELi32ELi8ELb0ELb0ELc67ELc85EKS1_S1_EviT_T0_PT8_S3_lS6_S3_lS4_PT9_S3_li,"axG",@progbits,_ZL34rocblas_syrkx_herkx_general_kernelIi19rocblas_complex_numIdELi16ELi32ELi8ELb0ELb0ELc67ELc85EKS1_S1_EviT_T0_PT8_S3_lS6_S3_lS4_PT9_S3_li,comdat
.Lfunc_end303:
	.size	_ZL34rocblas_syrkx_herkx_general_kernelIi19rocblas_complex_numIdELi16ELi32ELi8ELb0ELb0ELc67ELc85EKS1_S1_EviT_T0_PT8_S3_lS6_S3_lS4_PT9_S3_li, .Lfunc_end303-_ZL34rocblas_syrkx_herkx_general_kernelIi19rocblas_complex_numIdELi16ELi32ELi8ELb0ELb0ELc67ELc85EKS1_S1_EviT_T0_PT8_S3_lS6_S3_lS4_PT9_S3_li
                                        ; -- End function
	.section	.AMDGPU.csdata,"",@progbits
; Kernel info:
; codeLenInByte = 3524
; NumSgprs: 31
; NumVgprs: 121
; ScratchSize: 0
; MemoryBound: 1
; FloatMode: 240
; IeeeMode: 1
; LDSByteSize: 8192 bytes/workgroup (compile time only)
; SGPRBlocks: 3
; VGPRBlocks: 15
; NumSGPRsForWavesPerEU: 31
; NumVGPRsForWavesPerEU: 121
; Occupancy: 10
; WaveLimiterHint : 0
; COMPUTE_PGM_RSRC2:SCRATCH_EN: 0
; COMPUTE_PGM_RSRC2:USER_SGPR: 13
; COMPUTE_PGM_RSRC2:TRAP_HANDLER: 0
; COMPUTE_PGM_RSRC2:TGID_X_EN: 1
; COMPUTE_PGM_RSRC2:TGID_Y_EN: 1
; COMPUTE_PGM_RSRC2:TGID_Z_EN: 1
; COMPUTE_PGM_RSRC2:TIDIG_COMP_CNT: 1
	.section	.text._ZL34rocblas_syrkx_herkx_general_kernelIi19rocblas_complex_numIdELi16ELi32ELi8ELb0ELb0ELc78ELc85EKS1_S1_EviT_T0_PT8_S3_lS6_S3_lS4_PT9_S3_li,"axG",@progbits,_ZL34rocblas_syrkx_herkx_general_kernelIi19rocblas_complex_numIdELi16ELi32ELi8ELb0ELb0ELc78ELc85EKS1_S1_EviT_T0_PT8_S3_lS6_S3_lS4_PT9_S3_li,comdat
	.globl	_ZL34rocblas_syrkx_herkx_general_kernelIi19rocblas_complex_numIdELi16ELi32ELi8ELb0ELb0ELc78ELc85EKS1_S1_EviT_T0_PT8_S3_lS6_S3_lS4_PT9_S3_li ; -- Begin function _ZL34rocblas_syrkx_herkx_general_kernelIi19rocblas_complex_numIdELi16ELi32ELi8ELb0ELb0ELc78ELc85EKS1_S1_EviT_T0_PT8_S3_lS6_S3_lS4_PT9_S3_li
	.p2align	8
	.type	_ZL34rocblas_syrkx_herkx_general_kernelIi19rocblas_complex_numIdELi16ELi32ELi8ELb0ELb0ELc78ELc85EKS1_S1_EviT_T0_PT8_S3_lS6_S3_lS4_PT9_S3_li,@function
_ZL34rocblas_syrkx_herkx_general_kernelIi19rocblas_complex_numIdELi16ELi32ELi8ELb0ELb0ELc78ELc85EKS1_S1_EviT_T0_PT8_S3_lS6_S3_lS4_PT9_S3_li: ; @_ZL34rocblas_syrkx_herkx_general_kernelIi19rocblas_complex_numIdELi16ELi32ELi8ELb0ELb0ELc78ELc85EKS1_S1_EviT_T0_PT8_S3_lS6_S3_lS4_PT9_S3_li
; %bb.0:
	s_clause 0x3
	s_load_b64 s[24:25], s[0:1], 0x0
	s_load_b128 s[16:19], s[0:1], 0x8
	s_load_b64 s[26:27], s[0:1], 0x18
	s_load_b256 s[4:11], s[0:1], 0x40
	v_mov_b32_e32 v21, 0
	v_dual_mov_b32 v22, 0 :: v_dual_and_b32 v25, 0x3ff, v0
	v_bfe_u32 v26, v0, 10, 10
	s_delay_alu instid0(VALU_DEP_3) | instskip(NEXT) | instid1(VALU_DEP_3)
	v_mov_b32_e32 v17, v21
	v_dual_mov_b32 v19, v21 :: v_dual_mov_b32 v20, v22
	v_dual_mov_b32 v24, v22 :: v_dual_mov_b32 v23, v21
	;; [unrolled: 1-line block ×6, first 2 shown]
	v_mov_b32_e32 v12, v22
	s_lshl_b32 s30, s13, 5
	s_lshl_b32 s14, s14, 5
	s_waitcnt lgkmcnt(0)
	s_cmp_lt_i32 s25, 1
	s_mov_b32 s31, 0
	s_cbranch_scc1 .LBB304_9
; %bb.1:
	s_load_b32 s12, s[0:1], 0x20
	v_lshl_add_u32 v0, v26, 4, v25
	s_clause 0x1
	s_load_b128 s[20:23], s[0:1], 0x28
	s_load_b32 s28, s[0:1], 0x38
	v_and_b32_e32 v27, 7, v25
	v_dual_mov_b32 v11, 0 :: v_dual_lshlrev_b32 v28, 4, v25
	v_and_b32_e32 v1, 31, v0
	v_lshrrev_b32_e32 v2, 3, v0
	v_lshrrev_b32_e32 v30, 5, v0
	v_dual_mov_b32 v12, 0 :: v_dual_lshlrev_b32 v3, 4, v27
	s_delay_alu instid0(VALU_DEP_4) | instskip(NEXT) | instid1(VALU_DEP_4)
	v_or_b32_e32 v4, s30, v1
	v_dual_mov_b32 v9, v11 :: v_dual_add_nc_u32 v0, s14, v2
	s_delay_alu instid0(VALU_DEP_3) | instskip(NEXT) | instid1(VALU_DEP_4)
	v_mov_b32_e32 v10, v12
	v_lshl_or_b32 v6, v2, 7, v3
	s_delay_alu instid0(VALU_DEP_4)
	v_cmp_gt_i32_e64 s2, s24, v4
	v_dual_mov_b32 v16, v12 :: v_dual_lshlrev_b32 v5, 4, v1
	v_dual_mov_b32 v15, v11 :: v_dual_add_nc_u32 v2, s30, v1
	s_waitcnt lgkmcnt(0)
	v_mad_i64_i32 v[3:4], null, v30, s12, 0
	s_mul_i32 s3, s21, s15
	s_mul_hi_u32 s21, s20, s15
	v_lshl_or_b32 v31, v30, 9, v5
	v_add_nc_u32_e32 v32, 0x1000, v6
	v_mad_i64_i32 v[5:6], null, s28, v27, 0
	s_delay_alu instid0(VALU_DEP_4)
	v_lshlrev_b64 v[3:4], 4, v[3:4]
	s_mul_i32 s20, s20, s15
	s_add_i32 s21, s21, s3
	v_ashrrev_i32_e32 v1, 31, v0
	s_lshl_b64 s[20:21], s[20:21], 4
	v_cmp_gt_i32_e32 vcc_lo, s24, v0
	v_add_co_u32 v7, s3, v3, s20
	v_ashrrev_i32_e32 v3, 31, v2
	v_add_co_ci_u32_e64 v8, s3, s21, v4, s3
	s_mul_i32 s3, s5, s15
	s_mul_hi_u32 s5, s4, s15
	v_lshlrev_b64 v[4:5], 4, v[5:6]
	s_add_i32 s5, s5, s3
	s_mul_i32 s4, s4, s15
	v_lshlrev_b64 v[2:3], 4, v[2:3]
	s_lshl_b64 s[4:5], s[4:5], 4
	v_lshlrev_b64 v[0:1], 4, v[0:1]
	v_add_co_u32 v4, s3, s4, v4
	s_delay_alu instid0(VALU_DEP_1) | instskip(NEXT) | instid1(VALU_DEP_4)
	v_add_co_ci_u32_e64 v5, s3, s5, v5, s3
	v_add_co_u32 v2, s3, v7, v2
	s_delay_alu instid0(VALU_DEP_1) | instskip(NEXT) | instid1(VALU_DEP_4)
	v_add_co_ci_u32_e64 v3, s3, v8, v3, s3
	;; [unrolled: 3-line block ×4, first 2 shown]
	v_add_co_u32 v0, s3, v0, s22
	s_delay_alu instid0(VALU_DEP_1) | instskip(SKIP_1) | instid1(VALU_DEP_3)
	v_add_co_ci_u32_e64 v1, s3, s23, v1, s3
	v_mov_b32_e32 v14, v12
	v_add_co_u32 v7, s3, v0, 8
	v_mov_b32_e32 v20, v12
	v_mov_b32_e32 v18, v12
	;; [unrolled: 1-line block ×3, first 2 shown]
	v_dual_mov_b32 v22, v12 :: v_dual_mov_b32 v21, v11
	v_lshl_add_u32 v29, v26, 7, 0x1000
	v_add_co_ci_u32_e64 v8, s3, 0, v1, s3
	v_dual_mov_b32 v0, 0 :: v_dual_mov_b32 v13, v11
	v_mov_b32_e32 v19, v11
	v_mov_b32_e32 v17, v11
	;; [unrolled: 1-line block ×3, first 2 shown]
	s_ashr_i32 s13, s12, 31
	s_ashr_i32 s29, s28, 31
	s_lshl_b64 s[4:5], s[12:13], 7
	s_lshl_b64 s[12:13], s[28:29], 7
	s_xor_b32 s3, s2, -1
	s_branch .LBB304_3
.LBB304_2:                              ;   in Loop: Header=BB304_3 Depth=1
	s_or_b32 exec_lo, exec_lo, s2
	s_waitcnt vmcnt(0)
	ds_store_b128 v32, v[1:4]
	s_waitcnt lgkmcnt(0)
	s_barrier
	buffer_gl0_inv
	ds_load_b128 v[1:4], v29
	ds_load_b128 v[33:36], v28
	ds_load_b128 v[37:40], v28 offset:256
	ds_load_b128 v[41:44], v29 offset:2048
	;; [unrolled: 1-line block ×9, first 2 shown]
	v_add_co_u32 v5, s2, v5, s4
	s_delay_alu instid0(VALU_DEP_1) | instskip(SKIP_1) | instid1(VALU_DEP_1)
	v_add_co_ci_u32_e64 v6, s2, s5, v6, s2
	v_add_co_u32 v7, s2, v7, s12
	v_add_co_ci_u32_e64 v8, s2, s13, v8, s2
	s_add_i32 s31, s31, 8
	s_delay_alu instid0(SALU_CYCLE_1)
	s_cmp_ge_i32 s31, s25
	s_waitcnt lgkmcnt(9)
	v_mul_f64 v[73:74], v[3:4], v[35:36]
	v_mul_f64 v[75:76], v[1:2], v[35:36]
	s_waitcnt lgkmcnt(8)
	v_mul_f64 v[77:78], v[3:4], v[39:40]
	v_mul_f64 v[79:80], v[1:2], v[39:40]
	s_waitcnt lgkmcnt(7)
	v_mul_f64 v[81:82], v[43:44], v[35:36]
	v_mul_f64 v[35:36], v[41:42], v[35:36]
	v_mul_f64 v[83:84], v[43:44], v[39:40]
	v_mul_f64 v[39:40], v[41:42], v[39:40]
	s_waitcnt lgkmcnt(4)
	v_mul_f64 v[85:86], v[47:48], v[55:56]
	v_mul_f64 v[87:88], v[45:46], v[55:56]
	s_waitcnt lgkmcnt(3)
	v_mul_f64 v[89:90], v[47:48], v[59:60]
	v_mul_f64 v[91:92], v[45:46], v[59:60]
	;; [unrolled: 1-line block ×6, first 2 shown]
	v_fma_f64 v[97:98], v[1:2], v[33:34], -v[73:74]
	v_fma_f64 v[99:100], v[3:4], v[33:34], v[75:76]
	ds_load_b128 v[73:76], v29 offset:32
	v_fma_f64 v[77:78], v[1:2], v[37:38], -v[77:78]
	v_fma_f64 v[79:80], v[3:4], v[37:38], v[79:80]
	v_fma_f64 v[81:82], v[41:42], v[33:34], -v[81:82]
	v_fma_f64 v[101:102], v[43:44], v[33:34], v[35:36]
	;; [unrolled: 2-line block ×3, first 2 shown]
	s_waitcnt lgkmcnt(1)
	v_mul_f64 v[113:114], v[71:72], v[63:64]
	v_fma_f64 v[85:86], v[45:46], v[53:54], -v[85:86]
	v_fma_f64 v[87:88], v[47:48], v[53:54], v[87:88]
	v_fma_f64 v[45:46], v[45:46], v[57:58], -v[89:90]
	v_fma_f64 v[47:48], v[47:48], v[57:58], v[91:92]
	v_mul_f64 v[89:90], v[71:72], v[67:68]
	v_fma_f64 v[91:92], v[49:50], v[53:54], -v[93:94]
	v_fma_f64 v[53:54], v[51:52], v[53:54], v[55:56]
	v_fma_f64 v[49:50], v[49:50], v[57:58], -v[95:96]
	v_fma_f64 v[51:52], v[51:52], v[57:58], v[59:60]
	ds_load_b128 v[1:4], v29 offset:48
	ds_load_b128 v[33:36], v29 offset:2096
	;; [unrolled: 1-line block ×4, first 2 shown]
	s_waitcnt lgkmcnt(4)
	v_mul_f64 v[105:106], v[75:76], v[63:64]
	v_mul_f64 v[107:108], v[73:74], v[63:64]
	;; [unrolled: 1-line block ×6, first 2 shown]
	s_waitcnt lgkmcnt(1)
	v_mul_f64 v[93:94], v[1:2], v[39:40]
	v_add_f64 v[21:22], v[21:22], v[97:98]
	v_add_f64 v[23:24], v[23:24], v[99:100]
	;; [unrolled: 1-line block ×8, first 2 shown]
	v_mul_f64 v[83:84], v[3:4], v[39:40]
	s_waitcnt lgkmcnt(0)
	v_mul_f64 v[95:96], v[3:4], v[43:44]
	v_mul_f64 v[97:98], v[1:2], v[43:44]
	;; [unrolled: 1-line block ×6, first 2 shown]
	ds_load_b128 v[9:12], v28 offset:2048
	ds_load_b128 v[13:16], v28 offset:2304
	;; [unrolled: 1-line block ×3, first 2 shown]
	v_fma_f64 v[105:106], v[73:74], v[61:62], -v[105:106]
	v_fma_f64 v[107:108], v[75:76], v[61:62], v[107:108]
	v_fma_f64 v[73:74], v[73:74], v[65:66], -v[109:110]
	v_fma_f64 v[75:76], v[75:76], v[65:66], v[111:112]
	;; [unrolled: 2-line block ×4, first 2 shown]
	s_waitcnt lgkmcnt(0)
	v_mul_f64 v[113:114], v[19:20], v[11:12]
	v_mul_f64 v[115:116], v[19:20], v[15:16]
	v_fma_f64 v[93:94], v[3:4], v[37:38], v[93:94]
	v_add_f64 v[67:68], v[21:22], v[85:86]
	v_add_f64 v[69:70], v[23:24], v[87:88]
	;; [unrolled: 1-line block ×8, first 2 shown]
	ds_load_b128 v[21:24], v29 offset:64
	v_fma_f64 v[83:84], v[1:2], v[37:38], -v[83:84]
	v_fma_f64 v[95:96], v[1:2], v[41:42], -v[95:96]
	v_fma_f64 v[97:98], v[3:4], v[41:42], v[97:98]
	v_fma_f64 v[99:100], v[33:34], v[37:38], -v[99:100]
	v_fma_f64 v[117:118], v[35:36], v[37:38], v[39:40]
	;; [unrolled: 2-line block ×3, first 2 shown]
	ds_load_b128 v[43:46], v29 offset:80
	ds_load_b128 v[47:50], v29 offset:2128
	;; [unrolled: 1-line block ×7, first 2 shown]
	s_waitcnt lgkmcnt(7)
	v_mul_f64 v[87:88], v[23:24], v[11:12]
	v_mul_f64 v[89:90], v[21:22], v[11:12]
	;; [unrolled: 1-line block ×6, first 2 shown]
	s_waitcnt lgkmcnt(3)
	v_mul_f64 v[103:104], v[49:50], v[57:58]
	v_add_f64 v[67:68], v[67:68], v[105:106]
	v_add_f64 v[69:70], v[69:70], v[107:108]
	;; [unrolled: 1-line block ×8, first 2 shown]
	v_mul_f64 v[75:76], v[45:46], v[53:54]
	v_mul_f64 v[77:78], v[43:44], v[53:54]
	;; [unrolled: 1-line block ×7, first 2 shown]
	v_fma_f64 v[109:110], v[17:18], v[9:10], -v[113:114]
	v_fma_f64 v[113:114], v[17:18], v[13:14], -v[115:116]
	v_fma_f64 v[87:88], v[21:22], v[9:10], -v[87:88]
	v_fma_f64 v[89:90], v[23:24], v[9:10], v[89:90]
	v_fma_f64 v[91:92], v[21:22], v[13:14], -v[91:92]
	v_fma_f64 v[107:108], v[23:24], v[13:14], v[111:112]
	v_fma_f64 v[111:112], v[19:20], v[9:10], v[11:12]
	;; [unrolled: 1-line block ×3, first 2 shown]
	ds_load_b128 v[9:12], v29 offset:96
	v_add_f64 v[67:68], v[67:68], v[83:84]
	v_add_f64 v[69:70], v[69:70], v[93:94]
	;; [unrolled: 1-line block ×8, first 2 shown]
	s_waitcnt lgkmcnt(1)
	v_mul_f64 v[99:100], v[39:40], v[3:4]
	v_fma_f64 v[75:76], v[43:44], v[51:52], -v[75:76]
	v_fma_f64 v[77:78], v[45:46], v[51:52], v[77:78]
	v_fma_f64 v[43:44], v[43:44], v[55:56], -v[79:80]
	v_fma_f64 v[45:46], v[45:46], v[55:56], v[81:82]
	v_mul_f64 v[79:80], v[39:40], v[35:36]
	v_fma_f64 v[81:82], v[47:48], v[51:52], -v[85:86]
	v_fma_f64 v[51:52], v[49:50], v[51:52], v[53:54]
	s_waitcnt lgkmcnt(0)
	v_mul_f64 v[65:66], v[11:12], v[3:4]
	v_mul_f64 v[93:94], v[9:10], v[3:4]
	;; [unrolled: 1-line block ×6, first 2 shown]
	v_fma_f64 v[47:48], v[47:48], v[55:56], -v[103:104]
	v_fma_f64 v[49:50], v[49:50], v[55:56], v[105:106]
	ds_load_b128 v[13:16], v29 offset:112
	ds_load_b128 v[17:20], v29 offset:2160
	;; [unrolled: 1-line block ×4, first 2 shown]
	s_waitcnt lgkmcnt(0)
	s_barrier
	buffer_gl0_inv
	v_add_f64 v[53:54], v[67:68], v[87:88]
	v_add_f64 v[55:56], v[69:70], v[89:90]
	;; [unrolled: 1-line block ×8, first 2 shown]
	v_mul_f64 v[73:74], v[15:16], v[23:24]
	v_mul_f64 v[83:84], v[13:14], v[23:24]
	;; [unrolled: 1-line block ×8, first 2 shown]
	v_fma_f64 v[65:66], v[9:10], v[1:2], -v[65:66]
	v_fma_f64 v[93:94], v[11:12], v[1:2], v[93:94]
	v_fma_f64 v[9:10], v[9:10], v[33:34], -v[95:96]
	v_fma_f64 v[11:12], v[11:12], v[33:34], v[97:98]
	;; [unrolled: 2-line block ×4, first 2 shown]
	v_add_f64 v[35:36], v[53:54], v[75:76]
	v_add_f64 v[37:38], v[55:56], v[77:78]
	;; [unrolled: 1-line block ×8, first 2 shown]
	v_fma_f64 v[49:50], v[13:14], v[21:22], -v[73:74]
	v_fma_f64 v[53:54], v[15:16], v[21:22], v[83:84]
	v_fma_f64 v[13:14], v[13:14], v[57:58], -v[85:86]
	v_fma_f64 v[15:16], v[15:16], v[57:58], v[87:88]
	;; [unrolled: 2-line block ×4, first 2 shown]
	v_add_f64 v[17:18], v[35:36], v[65:66]
	v_add_f64 v[19:20], v[37:38], v[93:94]
	;; [unrolled: 1-line block ×16, first 2 shown]
	s_cbranch_scc1 .LBB304_9
.LBB304_3:                              ; =>This Inner Loop Header: Depth=1
	v_add_nc_u32_e32 v1, s31, v30
	s_delay_alu instid0(VALU_DEP_1) | instskip(NEXT) | instid1(VALU_DEP_1)
	v_cmp_le_i32_e64 s2, s25, v1
	s_or_b32 s2, s3, s2
	s_delay_alu instid0(SALU_CYCLE_1) | instskip(NEXT) | instid1(SALU_CYCLE_1)
	s_and_saveexec_b32 s20, s2
	s_xor_b32 s2, exec_lo, s20
	s_cbranch_execz .LBB304_5
; %bb.4:                                ;   in Loop: Header=BB304_3 Depth=1
	v_mov_b32_e32 v1, v0
	v_mov_b32_e32 v2, v0
	;; [unrolled: 1-line block ×3, first 2 shown]
	ds_store_b128 v31, v[0:3]
.LBB304_5:                              ;   in Loop: Header=BB304_3 Depth=1
	s_and_not1_saveexec_b32 s2, s2
	s_cbranch_execz .LBB304_7
; %bb.6:                                ;   in Loop: Header=BB304_3 Depth=1
	global_load_b128 v[1:4], v[5:6], off
	s_waitcnt vmcnt(0)
	ds_store_2addr_b64 v31, v[1:2], v[3:4] offset1:1
.LBB304_7:                              ;   in Loop: Header=BB304_3 Depth=1
	s_or_b32 exec_lo, exec_lo, s2
	v_add_nc_u32_e32 v3, s31, v27
	v_mov_b32_e32 v1, 0
	v_mov_b32_e32 v2, 0
	s_delay_alu instid0(VALU_DEP_3) | instskip(NEXT) | instid1(VALU_DEP_2)
	v_cmp_gt_i32_e64 s2, s25, v3
	v_dual_mov_b32 v4, v2 :: v_dual_mov_b32 v3, v1
	s_delay_alu instid0(VALU_DEP_2) | instskip(NEXT) | instid1(SALU_CYCLE_1)
	s_and_b32 s20, s2, vcc_lo
	s_and_saveexec_b32 s2, s20
	s_cbranch_execz .LBB304_2
; %bb.8:                                ;   in Loop: Header=BB304_3 Depth=1
	global_load_b128 v[1:4], v[7:8], off offset:-8
	s_branch .LBB304_2
.LBB304_9:
	s_clause 0x1
	s_load_b32 s2, s[0:1], 0x60
	s_load_b64 s[0:1], s[0:1], 0x68
	v_add_nc_u32_e32 v4, s14, v26
	v_add_nc_u32_e32 v0, s30, v25
	s_delay_alu instid0(VALU_DEP_2)
	v_cmp_gt_i32_e32 vcc_lo, s24, v4
	s_waitcnt lgkmcnt(0)
	v_mad_i64_i32 v[1:2], null, v4, s2, 0
	s_mul_i32 s1, s15, s1
	s_mul_hi_u32 s3, s15, s0
	s_mul_i32 s0, s15, s0
	s_add_i32 s1, s3, s1
	s_delay_alu instid0(SALU_CYCLE_1) | instskip(NEXT) | instid1(VALU_DEP_1)
	s_lshl_b64 s[4:5], s[0:1], 4
	v_lshlrev_b64 v[1:2], 4, v[1:2]
	s_add_u32 s3, s10, s4
	v_cmp_le_i32_e64 s0, v0, v4
	s_addc_u32 s4, s11, s5
	s_delay_alu instid0(VALU_DEP_2) | instskip(NEXT) | instid1(VALU_DEP_1)
	v_add_co_u32 v5, s1, s3, v1
	v_add_co_ci_u32_e64 v6, s1, s4, v2, s1
	s_delay_alu instid0(VALU_DEP_3) | instskip(NEXT) | instid1(SALU_CYCLE_1)
	s_and_b32 s0, vcc_lo, s0
	s_and_saveexec_b32 s1, s0
	s_cbranch_execz .LBB304_11
; %bb.10:
	v_ashrrev_i32_e32 v1, 31, v0
	v_mul_f64 v[7:8], s[18:19], v[23:24]
	v_mul_f64 v[23:24], s[16:17], v[23:24]
	s_delay_alu instid0(VALU_DEP_3) | instskip(NEXT) | instid1(VALU_DEP_1)
	v_lshlrev_b64 v[1:2], 4, v[0:1]
	v_add_co_u32 v1, s0, v5, v1
	s_delay_alu instid0(VALU_DEP_1)
	v_add_co_ci_u32_e64 v2, s0, v6, v2, s0
	global_load_b128 v[25:28], v[1:2], off
	v_fma_f64 v[7:8], s[16:17], v[21:22], -v[7:8]
	v_fma_f64 v[23:24], s[18:19], v[21:22], v[23:24]
	s_waitcnt vmcnt(0)
	v_mul_f64 v[29:30], s[8:9], v[27:28]
	v_mul_f64 v[27:28], s[6:7], v[27:28]
	s_delay_alu instid0(VALU_DEP_2) | instskip(NEXT) | instid1(VALU_DEP_2)
	v_fma_f64 v[21:22], s[6:7], v[25:26], -v[29:30]
	v_fma_f64 v[25:26], s[8:9], v[25:26], v[27:28]
	s_delay_alu instid0(VALU_DEP_2) | instskip(NEXT) | instid1(VALU_DEP_2)
	v_add_f64 v[21:22], v[7:8], v[21:22]
	v_add_f64 v[23:24], v[23:24], v[25:26]
	global_store_b128 v[1:2], v[21:24], off
.LBB304_11:
	s_or_b32 exec_lo, exec_lo, s1
	v_add_nc_u32_e32 v2, 16, v0
	s_delay_alu instid0(VALU_DEP_1) | instskip(NEXT) | instid1(VALU_DEP_1)
	v_cmp_le_i32_e64 s0, v2, v4
	s_and_b32 s1, vcc_lo, s0
	s_delay_alu instid0(SALU_CYCLE_1)
	s_and_saveexec_b32 s0, s1
	s_cbranch_execz .LBB304_13
; %bb.12:
	v_ashrrev_i32_e32 v3, 31, v2
	v_mul_f64 v[23:24], s[18:19], v[19:20]
	v_mul_f64 v[19:20], s[16:17], v[19:20]
	s_delay_alu instid0(VALU_DEP_3) | instskip(NEXT) | instid1(VALU_DEP_1)
	v_lshlrev_b64 v[7:8], 4, v[2:3]
	v_add_co_u32 v21, vcc_lo, v5, v7
	s_delay_alu instid0(VALU_DEP_2)
	v_add_co_ci_u32_e32 v22, vcc_lo, v6, v8, vcc_lo
	global_load_b128 v[5:8], v[21:22], off
	v_fma_f64 v[23:24], s[16:17], v[17:18], -v[23:24]
	v_fma_f64 v[17:18], s[18:19], v[17:18], v[19:20]
	s_waitcnt vmcnt(0)
	v_mul_f64 v[25:26], s[8:9], v[7:8]
	v_mul_f64 v[7:8], s[6:7], v[7:8]
	s_delay_alu instid0(VALU_DEP_2) | instskip(NEXT) | instid1(VALU_DEP_2)
	v_fma_f64 v[19:20], s[6:7], v[5:6], -v[25:26]
	v_fma_f64 v[7:8], s[8:9], v[5:6], v[7:8]
	s_delay_alu instid0(VALU_DEP_2) | instskip(NEXT) | instid1(VALU_DEP_2)
	v_add_f64 v[5:6], v[23:24], v[19:20]
	v_add_f64 v[7:8], v[17:18], v[7:8]
	global_store_b128 v[21:22], v[5:8], off
.LBB304_13:
	s_or_b32 exec_lo, exec_lo, s0
	v_add_nc_u32_e32 v3, 16, v4
	s_delay_alu instid0(VALU_DEP_1) | instskip(SKIP_2) | instid1(VALU_DEP_1)
	v_mad_i64_i32 v[4:5], null, v3, s2, 0
	v_cmp_gt_i32_e32 vcc_lo, s24, v3
	v_cmp_le_i32_e64 s0, v0, v3
	s_and_b32 s0, vcc_lo, s0
	s_delay_alu instid0(VALU_DEP_3) | instskip(NEXT) | instid1(VALU_DEP_1)
	v_lshlrev_b64 v[4:5], 4, v[4:5]
	v_add_co_u32 v4, s1, s3, v4
	s_delay_alu instid0(VALU_DEP_1)
	v_add_co_ci_u32_e64 v5, s1, s4, v5, s1
	s_and_saveexec_b32 s1, s0
	s_cbranch_execz .LBB304_15
; %bb.14:
	v_ashrrev_i32_e32 v1, 31, v0
	v_mul_f64 v[6:7], s[18:19], v[15:16]
	v_mul_f64 v[15:16], s[16:17], v[15:16]
	s_delay_alu instid0(VALU_DEP_3) | instskip(NEXT) | instid1(VALU_DEP_1)
	v_lshlrev_b64 v[0:1], 4, v[0:1]
	v_add_co_u32 v0, s0, v4, v0
	s_delay_alu instid0(VALU_DEP_1)
	v_add_co_ci_u32_e64 v1, s0, v5, v1, s0
	global_load_b128 v[17:20], v[0:1], off
	v_fma_f64 v[6:7], s[16:17], v[13:14], -v[6:7]
	v_fma_f64 v[15:16], s[18:19], v[13:14], v[15:16]
	s_waitcnt vmcnt(0)
	v_mul_f64 v[21:22], s[8:9], v[19:20]
	v_mul_f64 v[19:20], s[6:7], v[19:20]
	s_delay_alu instid0(VALU_DEP_2) | instskip(NEXT) | instid1(VALU_DEP_2)
	v_fma_f64 v[13:14], s[6:7], v[17:18], -v[21:22]
	v_fma_f64 v[17:18], s[8:9], v[17:18], v[19:20]
	s_delay_alu instid0(VALU_DEP_2) | instskip(NEXT) | instid1(VALU_DEP_2)
	v_add_f64 v[13:14], v[6:7], v[13:14]
	v_add_f64 v[15:16], v[15:16], v[17:18]
	global_store_b128 v[0:1], v[13:16], off
.LBB304_15:
	s_or_b32 exec_lo, exec_lo, s1
	v_cmp_le_i32_e64 s0, v2, v3
	s_delay_alu instid0(VALU_DEP_1) | instskip(NEXT) | instid1(SALU_CYCLE_1)
	s_and_b32 s0, vcc_lo, s0
	s_and_saveexec_b32 s1, s0
	s_cbranch_execz .LBB304_17
; %bb.16:
	v_ashrrev_i32_e32 v3, 31, v2
	v_mul_f64 v[6:7], s[18:19], v[11:12]
	v_mul_f64 v[11:12], s[16:17], v[11:12]
	s_delay_alu instid0(VALU_DEP_3) | instskip(NEXT) | instid1(VALU_DEP_1)
	v_lshlrev_b64 v[0:1], 4, v[2:3]
	v_add_co_u32 v4, vcc_lo, v4, v0
	s_delay_alu instid0(VALU_DEP_2)
	v_add_co_ci_u32_e32 v5, vcc_lo, v5, v1, vcc_lo
	global_load_b128 v[0:3], v[4:5], off
	v_fma_f64 v[6:7], s[16:17], v[9:10], -v[6:7]
	v_fma_f64 v[8:9], s[18:19], v[9:10], v[11:12]
	s_waitcnt vmcnt(0)
	v_mul_f64 v[13:14], s[8:9], v[2:3]
	v_mul_f64 v[2:3], s[6:7], v[2:3]
	s_delay_alu instid0(VALU_DEP_2) | instskip(NEXT) | instid1(VALU_DEP_2)
	v_fma_f64 v[10:11], s[6:7], v[0:1], -v[13:14]
	v_fma_f64 v[2:3], s[8:9], v[0:1], v[2:3]
	s_delay_alu instid0(VALU_DEP_2) | instskip(NEXT) | instid1(VALU_DEP_2)
	v_add_f64 v[0:1], v[6:7], v[10:11]
	v_add_f64 v[2:3], v[8:9], v[2:3]
	global_store_b128 v[4:5], v[0:3], off
.LBB304_17:
	s_nop 0
	s_sendmsg sendmsg(MSG_DEALLOC_VGPRS)
	s_endpgm
	.section	.rodata,"a",@progbits
	.p2align	6, 0x0
	.amdhsa_kernel _ZL34rocblas_syrkx_herkx_general_kernelIi19rocblas_complex_numIdELi16ELi32ELi8ELb0ELb0ELc78ELc85EKS1_S1_EviT_T0_PT8_S3_lS6_S3_lS4_PT9_S3_li
		.amdhsa_group_segment_fixed_size 8192
		.amdhsa_private_segment_fixed_size 0
		.amdhsa_kernarg_size 116
		.amdhsa_user_sgpr_count 13
		.amdhsa_user_sgpr_dispatch_ptr 0
		.amdhsa_user_sgpr_queue_ptr 0
		.amdhsa_user_sgpr_kernarg_segment_ptr 1
		.amdhsa_user_sgpr_dispatch_id 0
		.amdhsa_user_sgpr_private_segment_size 0
		.amdhsa_wavefront_size32 1
		.amdhsa_uses_dynamic_stack 0
		.amdhsa_enable_private_segment 0
		.amdhsa_system_sgpr_workgroup_id_x 1
		.amdhsa_system_sgpr_workgroup_id_y 1
		.amdhsa_system_sgpr_workgroup_id_z 1
		.amdhsa_system_sgpr_workgroup_info 0
		.amdhsa_system_vgpr_workitem_id 1
		.amdhsa_next_free_vgpr 119
		.amdhsa_next_free_sgpr 32
		.amdhsa_reserve_vcc 1
		.amdhsa_float_round_mode_32 0
		.amdhsa_float_round_mode_16_64 0
		.amdhsa_float_denorm_mode_32 3
		.amdhsa_float_denorm_mode_16_64 3
		.amdhsa_dx10_clamp 1
		.amdhsa_ieee_mode 1
		.amdhsa_fp16_overflow 0
		.amdhsa_workgroup_processor_mode 1
		.amdhsa_memory_ordered 1
		.amdhsa_forward_progress 0
		.amdhsa_shared_vgpr_count 0
		.amdhsa_exception_fp_ieee_invalid_op 0
		.amdhsa_exception_fp_denorm_src 0
		.amdhsa_exception_fp_ieee_div_zero 0
		.amdhsa_exception_fp_ieee_overflow 0
		.amdhsa_exception_fp_ieee_underflow 0
		.amdhsa_exception_fp_ieee_inexact 0
		.amdhsa_exception_int_div_zero 0
	.end_amdhsa_kernel
	.section	.text._ZL34rocblas_syrkx_herkx_general_kernelIi19rocblas_complex_numIdELi16ELi32ELi8ELb0ELb0ELc78ELc85EKS1_S1_EviT_T0_PT8_S3_lS6_S3_lS4_PT9_S3_li,"axG",@progbits,_ZL34rocblas_syrkx_herkx_general_kernelIi19rocblas_complex_numIdELi16ELi32ELi8ELb0ELb0ELc78ELc85EKS1_S1_EviT_T0_PT8_S3_lS6_S3_lS4_PT9_S3_li,comdat
.Lfunc_end304:
	.size	_ZL34rocblas_syrkx_herkx_general_kernelIi19rocblas_complex_numIdELi16ELi32ELi8ELb0ELb0ELc78ELc85EKS1_S1_EviT_T0_PT8_S3_lS6_S3_lS4_PT9_S3_li, .Lfunc_end304-_ZL34rocblas_syrkx_herkx_general_kernelIi19rocblas_complex_numIdELi16ELi32ELi8ELb0ELb0ELc78ELc85EKS1_S1_EviT_T0_PT8_S3_lS6_S3_lS4_PT9_S3_li
                                        ; -- End function
	.section	.AMDGPU.csdata,"",@progbits
; Kernel info:
; codeLenInByte = 3556
; NumSgprs: 34
; NumVgprs: 119
; ScratchSize: 0
; MemoryBound: 1
; FloatMode: 240
; IeeeMode: 1
; LDSByteSize: 8192 bytes/workgroup (compile time only)
; SGPRBlocks: 4
; VGPRBlocks: 14
; NumSGPRsForWavesPerEU: 34
; NumVGPRsForWavesPerEU: 119
; Occupancy: 12
; WaveLimiterHint : 0
; COMPUTE_PGM_RSRC2:SCRATCH_EN: 0
; COMPUTE_PGM_RSRC2:USER_SGPR: 13
; COMPUTE_PGM_RSRC2:TRAP_HANDLER: 0
; COMPUTE_PGM_RSRC2:TGID_X_EN: 1
; COMPUTE_PGM_RSRC2:TGID_Y_EN: 1
; COMPUTE_PGM_RSRC2:TGID_Z_EN: 1
; COMPUTE_PGM_RSRC2:TIDIG_COMP_CNT: 1
	.section	.text._ZL26rocblas_syr2k_scale_kernelIiLi128ELi8ELb0E19rocblas_complex_numIdES1_PS1_EvbiT_T3_T4_T5_S3_li,"axG",@progbits,_ZL26rocblas_syr2k_scale_kernelIiLi128ELi8ELb0E19rocblas_complex_numIdES1_PS1_EvbiT_T3_T4_T5_S3_li,comdat
	.globl	_ZL26rocblas_syr2k_scale_kernelIiLi128ELi8ELb0E19rocblas_complex_numIdES1_PS1_EvbiT_T3_T4_T5_S3_li ; -- Begin function _ZL26rocblas_syr2k_scale_kernelIiLi128ELi8ELb0E19rocblas_complex_numIdES1_PS1_EvbiT_T3_T4_T5_S3_li
	.p2align	8
	.type	_ZL26rocblas_syr2k_scale_kernelIiLi128ELi8ELb0E19rocblas_complex_numIdES1_PS1_EvbiT_T3_T4_T5_S3_li,@function
_ZL26rocblas_syr2k_scale_kernelIiLi128ELi8ELb0E19rocblas_complex_numIdES1_PS1_EvbiT_T3_T4_T5_S3_li: ; @_ZL26rocblas_syr2k_scale_kernelIiLi128ELi8ELb0E19rocblas_complex_numIdES1_PS1_EvbiT_T3_T4_T5_S3_li
; %bb.0:
	s_load_b128 s[4:7], s[0:1], 0x20
	s_waitcnt lgkmcnt(0)
	v_cmp_eq_f64_e64 s2, s[4:5], 1.0
	v_cmp_eq_f64_e64 s3, s[6:7], 0
	s_delay_alu instid0(VALU_DEP_1) | instskip(NEXT) | instid1(SALU_CYCLE_1)
	s_and_b32 s2, s2, s3
	s_and_b32 vcc_lo, exec_lo, s2
	s_cbranch_vccnz .LBB305_5
; %bb.1:
	s_clause 0x1
	s_load_b64 s[2:3], s[0:1], 0x0
	s_load_b32 s8, s[0:1], 0x5c
	v_and_b32_e32 v2, 0x3ff, v0
	v_bfe_u32 v3, v0, 10, 10
	s_waitcnt lgkmcnt(0)
	s_bitcmp1_b32 s2, 0
	s_cselect_b32 vcc_lo, -1, 0
	s_lshr_b32 s2, s8, 16
	s_and_b32 s8, s8, 0xffff
	s_delay_alu instid0(SALU_CYCLE_1) | instskip(SKIP_1) | instid1(VALU_DEP_1)
	v_mad_u64_u32 v[0:1], null, s13, s8, v[2:3]
	v_mad_u64_u32 v[1:2], null, s14, s2, v[3:4]
	v_cndmask_b32_e32 v2, v1, v0, vcc_lo
	v_max_u32_e32 v3, v0, v1
	v_cndmask_b32_e32 v4, v0, v1, vcc_lo
	s_delay_alu instid0(VALU_DEP_2) | instskip(NEXT) | instid1(VALU_DEP_2)
	v_cmp_gt_u32_e32 vcc_lo, s3, v3
	v_cmp_le_i32_e64 s2, v2, v4
	s_delay_alu instid0(VALU_DEP_1) | instskip(NEXT) | instid1(SALU_CYCLE_1)
	s_and_b32 s2, vcc_lo, s2
	s_and_saveexec_b32 s3, s2
	s_cbranch_execz .LBB305_5
; %bb.2:
	s_clause 0x1
	s_load_b32 s8, s[0:1], 0x38
	s_load_b64 s[2:3], s[0:1], 0x40
	v_cmp_neq_f64_e64 s9, s[4:5], 0
	v_cmp_neq_f64_e64 s10, s[6:7], 0
	s_load_b64 s[0:1], s[0:1], 0x30
	s_waitcnt lgkmcnt(0)
	v_mad_u64_u32 v[4:5], null, v1, s8, 0
	s_ashr_i32 s8, s8, 31
	s_mul_i32 s3, s15, s3
	s_delay_alu instid0(VALU_DEP_1) | instskip(NEXT) | instid1(VALU_DEP_1)
	v_mov_b32_e32 v2, v5
	v_mad_u64_u32 v[5:6], null, v1, s8, v[2:3]
	v_mov_b32_e32 v1, 0
	s_mul_hi_u32 s8, s15, s2
	s_mul_i32 s2, s15, s2
	s_add_i32 s3, s8, s3
	v_mov_b32_e32 v2, 0
	s_lshl_b64 s[2:3], s[2:3], 4
	s_delay_alu instid0(VALU_DEP_3)
	v_lshlrev_b64 v[4:5], 4, v[4:5]
	s_add_u32 s0, s0, s2
	v_lshlrev_b64 v[0:1], 4, v[0:1]
	s_addc_u32 s1, s1, s3
	v_mov_b32_e32 v3, 0
	s_or_b32 s2, s9, s10
	v_add_co_u32 v4, vcc_lo, s0, v4
	v_add_co_ci_u32_e32 v5, vcc_lo, s1, v5, vcc_lo
	s_delay_alu instid0(VALU_DEP_2) | instskip(NEXT) | instid1(VALU_DEP_2)
	v_add_co_u32 v4, vcc_lo, v4, v0
	v_add_co_ci_u32_e32 v5, vcc_lo, v5, v1, vcc_lo
	v_dual_mov_b32 v0, v2 :: v_dual_mov_b32 v1, v3
	s_and_not1_b32 vcc_lo, exec_lo, s2
	s_cbranch_vccnz .LBB305_4
; %bb.3:
	global_load_b128 v[6:9], v[4:5], off
	s_waitcnt vmcnt(0)
	v_mul_f64 v[0:1], s[6:7], v[8:9]
	v_mul_f64 v[2:3], s[4:5], v[8:9]
	s_delay_alu instid0(VALU_DEP_2) | instskip(NEXT) | instid1(VALU_DEP_2)
	v_fma_f64 v[0:1], s[4:5], v[6:7], -v[0:1]
	v_fma_f64 v[2:3], s[6:7], v[6:7], v[2:3]
.LBB305_4:
	global_store_b128 v[4:5], v[0:3], off
.LBB305_5:
	s_nop 0
	s_sendmsg sendmsg(MSG_DEALLOC_VGPRS)
	s_endpgm
	.section	.rodata,"a",@progbits
	.p2align	6, 0x0
	.amdhsa_kernel _ZL26rocblas_syr2k_scale_kernelIiLi128ELi8ELb0E19rocblas_complex_numIdES1_PS1_EvbiT_T3_T4_T5_S3_li
		.amdhsa_group_segment_fixed_size 0
		.amdhsa_private_segment_fixed_size 0
		.amdhsa_kernarg_size 336
		.amdhsa_user_sgpr_count 13
		.amdhsa_user_sgpr_dispatch_ptr 0
		.amdhsa_user_sgpr_queue_ptr 0
		.amdhsa_user_sgpr_kernarg_segment_ptr 1
		.amdhsa_user_sgpr_dispatch_id 0
		.amdhsa_user_sgpr_private_segment_size 0
		.amdhsa_wavefront_size32 1
		.amdhsa_uses_dynamic_stack 0
		.amdhsa_enable_private_segment 0
		.amdhsa_system_sgpr_workgroup_id_x 1
		.amdhsa_system_sgpr_workgroup_id_y 1
		.amdhsa_system_sgpr_workgroup_id_z 1
		.amdhsa_system_sgpr_workgroup_info 0
		.amdhsa_system_vgpr_workitem_id 1
		.amdhsa_next_free_vgpr 10
		.amdhsa_next_free_sgpr 16
		.amdhsa_reserve_vcc 1
		.amdhsa_float_round_mode_32 0
		.amdhsa_float_round_mode_16_64 0
		.amdhsa_float_denorm_mode_32 3
		.amdhsa_float_denorm_mode_16_64 3
		.amdhsa_dx10_clamp 1
		.amdhsa_ieee_mode 1
		.amdhsa_fp16_overflow 0
		.amdhsa_workgroup_processor_mode 1
		.amdhsa_memory_ordered 1
		.amdhsa_forward_progress 0
		.amdhsa_shared_vgpr_count 0
		.amdhsa_exception_fp_ieee_invalid_op 0
		.amdhsa_exception_fp_denorm_src 0
		.amdhsa_exception_fp_ieee_div_zero 0
		.amdhsa_exception_fp_ieee_overflow 0
		.amdhsa_exception_fp_ieee_underflow 0
		.amdhsa_exception_fp_ieee_inexact 0
		.amdhsa_exception_int_div_zero 0
	.end_amdhsa_kernel
	.section	.text._ZL26rocblas_syr2k_scale_kernelIiLi128ELi8ELb0E19rocblas_complex_numIdES1_PS1_EvbiT_T3_T4_T5_S3_li,"axG",@progbits,_ZL26rocblas_syr2k_scale_kernelIiLi128ELi8ELb0E19rocblas_complex_numIdES1_PS1_EvbiT_T3_T4_T5_S3_li,comdat
.Lfunc_end305:
	.size	_ZL26rocblas_syr2k_scale_kernelIiLi128ELi8ELb0E19rocblas_complex_numIdES1_PS1_EvbiT_T3_T4_T5_S3_li, .Lfunc_end305-_ZL26rocblas_syr2k_scale_kernelIiLi128ELi8ELb0E19rocblas_complex_numIdES1_PS1_EvbiT_T3_T4_T5_S3_li
                                        ; -- End function
	.section	.AMDGPU.csdata,"",@progbits
; Kernel info:
; codeLenInByte = 420
; NumSgprs: 18
; NumVgprs: 10
; ScratchSize: 0
; MemoryBound: 0
; FloatMode: 240
; IeeeMode: 1
; LDSByteSize: 0 bytes/workgroup (compile time only)
; SGPRBlocks: 2
; VGPRBlocks: 1
; NumSGPRsForWavesPerEU: 18
; NumVGPRsForWavesPerEU: 10
; Occupancy: 16
; WaveLimiterHint : 0
; COMPUTE_PGM_RSRC2:SCRATCH_EN: 0
; COMPUTE_PGM_RSRC2:USER_SGPR: 13
; COMPUTE_PGM_RSRC2:TRAP_HANDLER: 0
; COMPUTE_PGM_RSRC2:TGID_X_EN: 1
; COMPUTE_PGM_RSRC2:TGID_Y_EN: 1
; COMPUTE_PGM_RSRC2:TGID_Z_EN: 1
; COMPUTE_PGM_RSRC2:TIDIG_COMP_CNT: 1
	.section	.text._ZL26rocblas_syr2k_her2k_kernelIiLb0ELb0ELb0ELi32EPK19rocblas_complex_numIdES3_PS1_EvbiT_T4_T5_S5_lS7_S5_lT6_S5_li,"axG",@progbits,_ZL26rocblas_syr2k_her2k_kernelIiLb0ELb0ELb0ELi32EPK19rocblas_complex_numIdES3_PS1_EvbiT_T4_T5_S5_lS7_S5_lT6_S5_li,comdat
	.globl	_ZL26rocblas_syr2k_her2k_kernelIiLb0ELb0ELb0ELi32EPK19rocblas_complex_numIdES3_PS1_EvbiT_T4_T5_S5_lS7_S5_lT6_S5_li ; -- Begin function _ZL26rocblas_syr2k_her2k_kernelIiLb0ELb0ELb0ELi32EPK19rocblas_complex_numIdES3_PS1_EvbiT_T4_T5_S5_lS7_S5_lT6_S5_li
	.p2align	8
	.type	_ZL26rocblas_syr2k_her2k_kernelIiLb0ELb0ELb0ELi32EPK19rocblas_complex_numIdES3_PS1_EvbiT_T4_T5_S5_lS7_S5_lT6_S5_li,@function
_ZL26rocblas_syr2k_her2k_kernelIiLb0ELb0ELb0ELi32EPK19rocblas_complex_numIdES3_PS1_EvbiT_T4_T5_S5_lS7_S5_lT6_S5_li: ; @_ZL26rocblas_syr2k_her2k_kernelIiLb0ELb0ELb0ELi32EPK19rocblas_complex_numIdES3_PS1_EvbiT_T4_T5_S5_lS7_S5_lT6_S5_li
; %bb.0:
	s_load_b128 s[16:19], s[0:1], 0x10
	s_waitcnt lgkmcnt(0)
	s_load_b128 s[4:7], s[16:17], 0x0
	s_waitcnt lgkmcnt(0)
	v_cmp_eq_f64_e64 s2, s[4:5], 0
	v_cmp_eq_f64_e64 s3, s[6:7], 0
	s_delay_alu instid0(VALU_DEP_1) | instskip(NEXT) | instid1(SALU_CYCLE_1)
	s_and_b32 s2, s2, s3
	s_and_b32 vcc_lo, exec_lo, s2
	s_cbranch_vccnz .LBB306_11
; %bb.1:
	s_load_b128 s[8:11], s[0:1], 0x0
	s_lshl_b32 s2, s14, 5
	s_waitcnt lgkmcnt(0)
	s_and_b32 s3, 1, s8
	s_lshl_b32 s8, s13, 5
	s_cmp_eq_u32 s3, 1
	s_cselect_b32 vcc_lo, -1, 0
	s_delay_alu instid0(SALU_CYCLE_1) | instskip(SKIP_2) | instid1(SALU_CYCLE_1)
	s_and_b32 s3, vcc_lo, exec_lo
	s_cselect_b32 s3, s8, s2
	s_cselect_b32 s11, s2, s8
	s_cmp_gt_i32 s3, s11
	s_cbranch_scc1 .LBB306_11
; %bb.2:
	s_cmp_lt_i32 s10, 1
	s_cbranch_scc1 .LBB306_11
; %bb.3:
	s_clause 0x1
	s_load_b128 s[24:27], s[0:1], 0x28
	s_load_b128 s[20:23], s[0:1], 0x40
	v_bfe_u32 v10, v0, 10, 10
	v_and_b32_e32 v11, 0x3ff, v0
	s_clause 0x1
	s_load_b64 s[12:13], s[0:1], 0x58
	s_load_b32 s3, s[0:1], 0x20
	v_add_nc_u32_e32 v0, s2, v10
	v_add_nc_u32_e32 v1, s8, v11
	s_clause 0x1
	s_load_b32 s8, s[0:1], 0x38
	s_load_b32 s2, s[0:1], 0x50
	s_delay_alu instid0(VALU_DEP_1)
	v_dual_cndmask_b32 v9, v1, v0 :: v_dual_lshlrev_b32 v8, 4, v10
	v_ashrrev_i32_e32 v2, 31, v1
	v_cndmask_b32_e32 v20, v0, v1, vcc_lo
	v_cmp_gt_i32_e32 vcc_lo, s9, v1
	v_lshlrev_b32_e32 v12, 9, v11
	v_or_b32_e32 v16, 0x4000, v8
	v_lshlrev_b64 v[2:3], 4, v[1:2]
	s_waitcnt lgkmcnt(0)
	s_mul_i32 s1, s15, s25
	s_mul_hi_u32 s11, s15, s24
	s_mul_i32 s0, s15, s24
	s_add_i32 s1, s11, s1
	s_mul_i32 s14, s15, s21
	s_lshl_b64 s[0:1], s[0:1], 4
	s_mul_hi_u32 s17, s15, s20
	s_add_u32 s18, s18, s0
	s_mul_i32 s16, s15, s20
	s_addc_u32 s19, s19, s1
	s_add_i32 s17, s17, s14
	s_mul_i32 s11, s15, s13
	s_lshl_b64 s[0:1], s[16:17], 4
	s_mul_hi_u32 s13, s15, s12
	s_add_u32 s14, s26, s0
	v_mad_i64_i32 v[4:5], null, s2, v0, 0
	s_mul_i32 s12, s15, s12
	s_addc_u32 s15, s27, s1
	s_add_i32 s13, s13, s11
	v_ashrrev_i32_e32 v1, 31, v0
	s_lshl_b64 s[0:1], s[12:13], 4
	v_add_nc_u32_e32 v15, v12, v8
	s_add_u32 s11, s22, s0
	v_add_co_u32 v13, s0, s18, v2
	s_delay_alu instid0(VALU_DEP_1)
	v_add_co_ci_u32_e64 v14, s0, s19, v3, s0
	v_lshlrev_b64 v[6:7], 4, v[0:1]
	v_cmp_gt_i32_e64 s0, s9, v0
	v_lshlrev_b64 v[0:1], 4, v[4:5]
	s_addc_u32 s12, s23, s1
	v_add_nc_u32_e32 v19, v16, v12
	s_delay_alu instid0(VALU_DEP_4) | instskip(NEXT) | instid1(VALU_DEP_3)
	v_add_co_u32 v17, s1, s14, v6
	v_add_co_u32 v0, s2, s11, v0
	s_delay_alu instid0(VALU_DEP_1) | instskip(SKIP_2) | instid1(VALU_DEP_4)
	v_add_co_ci_u32_e64 v1, s2, s12, v1, s2
	v_add_co_ci_u32_e64 v18, s1, s15, v7, s1
	v_cmp_le_i32_e64 s1, v20, v9
	v_add_co_u32 v8, s2, v0, v2
	s_delay_alu instid0(VALU_DEP_1)
	v_add_co_ci_u32_e64 v9, s2, v1, v3, s2
	s_and_b32 s9, s0, vcc_lo
	s_delay_alu instid0(VALU_DEP_3) | instid1(SALU_CYCLE_1)
	s_and_b32 s2, s9, s1
	s_mov_b32 s9, 0
	s_branch .LBB306_5
.LBB306_4:                              ;   in Loop: Header=BB306_5 Depth=1
	s_or_b32 exec_lo, exec_lo, s1
	s_add_i32 s9, s9, 32
	s_waitcnt_vscnt null, 0x0
	s_cmp_lt_i32 s9, s10
	s_barrier
	buffer_gl0_inv
	s_cbranch_scc0 .LBB306_11
.LBB306_5:                              ; =>This Inner Loop Header: Depth=1
	v_add_nc_u32_e32 v2, s9, v10
	v_mov_b32_e32 v0, 0
	v_mov_b32_e32 v1, 0
	s_delay_alu instid0(VALU_DEP_3) | instskip(NEXT) | instid1(VALU_DEP_2)
	v_cmp_gt_i32_e64 s1, s10, v2
	v_dual_mov_b32 v5, v1 :: v_dual_mov_b32 v4, v0
	v_dual_mov_b32 v7, v1 :: v_dual_mov_b32 v6, v0
	s_delay_alu instid0(VALU_DEP_3) | instskip(NEXT) | instid1(SALU_CYCLE_1)
	s_and_b32 s1, vcc_lo, s1
	s_and_saveexec_b32 s11, s1
	s_cbranch_execz .LBB306_7
; %bb.6:                                ;   in Loop: Header=BB306_5 Depth=1
	v_mad_i64_i32 v[3:4], null, v2, s3, 0
	s_delay_alu instid0(VALU_DEP_1) | instskip(NEXT) | instid1(VALU_DEP_1)
	v_lshlrev_b64 v[2:3], 4, v[3:4]
	v_add_co_u32 v2, s1, v13, v2
	s_delay_alu instid0(VALU_DEP_1)
	v_add_co_ci_u32_e64 v3, s1, v14, v3, s1
	global_load_b128 v[4:7], v[2:3], off
.LBB306_7:                              ;   in Loop: Header=BB306_5 Depth=1
	s_or_b32 exec_lo, exec_lo, s11
	v_dual_mov_b32 v3, v1 :: v_dual_add_nc_u32 v20, s9, v11
	v_mov_b32_e32 v2, v0
	s_waitcnt vmcnt(0)
	ds_store_b128 v15, v[4:7]
	v_cmp_gt_i32_e64 s1, s10, v20
	s_delay_alu instid0(VALU_DEP_1) | instskip(NEXT) | instid1(SALU_CYCLE_1)
	s_and_b32 s1, s0, s1
	s_and_saveexec_b32 s11, s1
	s_cbranch_execz .LBB306_9
; %bb.8:                                ;   in Loop: Header=BB306_5 Depth=1
	v_mad_i64_i32 v[0:1], null, v20, s8, 0
	s_delay_alu instid0(VALU_DEP_1) | instskip(NEXT) | instid1(VALU_DEP_1)
	v_lshlrev_b64 v[0:1], 4, v[0:1]
	v_add_co_u32 v0, s1, v17, v0
	s_delay_alu instid0(VALU_DEP_1)
	v_add_co_ci_u32_e64 v1, s1, v18, v1, s1
	global_load_b128 v[0:3], v[0:1], off
.LBB306_9:                              ;   in Loop: Header=BB306_5 Depth=1
	s_or_b32 exec_lo, exec_lo, s11
	s_waitcnt vmcnt(0)
	ds_store_b128 v19, v[0:3]
	s_waitcnt lgkmcnt(0)
	s_barrier
	buffer_gl0_inv
	s_and_saveexec_b32 s1, s2
	s_cbranch_execz .LBB306_4
; %bb.10:                               ;   in Loop: Header=BB306_5 Depth=1
	ds_load_b128 v[0:3], v16
	ds_load_b128 v[4:7], v12
	ds_load_b128 v[20:23], v12 offset:16
	ds_load_b128 v[24:27], v16 offset:512
	s_waitcnt lgkmcnt(2)
	v_mul_f64 v[28:29], v[0:1], v[6:7]
	v_mul_f64 v[6:7], v[2:3], v[6:7]
	s_waitcnt lgkmcnt(0)
	v_mul_f64 v[36:37], v[26:27], v[22:23]
	v_mul_f64 v[22:23], v[24:25], v[22:23]
	s_delay_alu instid0(VALU_DEP_4) | instskip(NEXT) | instid1(VALU_DEP_4)
	v_fma_f64 v[38:39], v[2:3], v[4:5], v[28:29]
	v_fma_f64 v[40:41], v[0:1], v[4:5], -v[6:7]
	ds_load_b128 v[0:3], v16 offset:1024
	ds_load_b128 v[4:7], v12 offset:32
	;; [unrolled: 1-line block ×4, first 2 shown]
	v_fma_f64 v[24:25], v[24:25], v[20:21], -v[36:37]
	v_fma_f64 v[20:21], v[26:27], v[20:21], v[22:23]
	s_waitcnt lgkmcnt(2)
	v_mul_f64 v[42:43], v[2:3], v[6:7]
	v_mul_f64 v[6:7], v[0:1], v[6:7]
	s_waitcnt lgkmcnt(0)
	v_mul_f64 v[36:37], v[34:35], v[30:31]
	v_mul_f64 v[30:31], v[32:33], v[30:31]
	v_add_f64 v[22:23], v[38:39], 0
	v_add_f64 v[26:27], v[40:41], 0
	v_fma_f64 v[38:39], v[0:1], v[4:5], -v[42:43]
	v_fma_f64 v[40:41], v[2:3], v[4:5], v[6:7]
	v_fma_f64 v[32:33], v[32:33], v[28:29], -v[36:37]
	v_fma_f64 v[28:29], v[34:35], v[28:29], v[30:31]
	v_add_f64 v[42:43], v[22:23], v[20:21]
	v_add_f64 v[44:45], v[26:27], v[24:25]
	ds_load_b128 v[0:3], v12 offset:64
	ds_load_b128 v[4:7], v16 offset:2048
	ds_load_b128 v[20:23], v16 offset:2560
	ds_load_b128 v[24:27], v12 offset:80
	s_waitcnt lgkmcnt(2)
	v_mul_f64 v[46:47], v[6:7], v[2:3]
	v_mul_f64 v[2:3], v[4:5], v[2:3]
	s_waitcnt lgkmcnt(0)
	v_mul_f64 v[36:37], v[22:23], v[26:27]
	v_add_f64 v[30:31], v[42:43], v[40:41]
	v_add_f64 v[34:35], v[44:45], v[38:39]
	v_mul_f64 v[38:39], v[20:21], v[26:27]
	v_fma_f64 v[40:41], v[4:5], v[0:1], -v[46:47]
	v_fma_f64 v[42:43], v[6:7], v[0:1], v[2:3]
	v_fma_f64 v[20:21], v[20:21], v[24:25], -v[36:37]
	v_add_f64 v[44:45], v[30:31], v[28:29]
	v_add_f64 v[34:35], v[34:35], v[32:33]
	ds_load_b128 v[0:3], v12 offset:96
	ds_load_b128 v[4:7], v16 offset:3072
	ds_load_b128 v[26:29], v16 offset:3584
	ds_load_b128 v[30:33], v12 offset:112
	v_fma_f64 v[22:23], v[22:23], v[24:25], v[38:39]
	s_waitcnt lgkmcnt(2)
	v_mul_f64 v[46:47], v[6:7], v[2:3]
	v_mul_f64 v[2:3], v[4:5], v[2:3]
	s_waitcnt lgkmcnt(0)
	v_mul_f64 v[36:37], v[28:29], v[32:33]
	v_mul_f64 v[38:39], v[26:27], v[32:33]
	v_add_f64 v[24:25], v[44:45], v[42:43]
	v_add_f64 v[34:35], v[34:35], v[40:41]
	v_fma_f64 v[40:41], v[4:5], v[0:1], -v[46:47]
	v_fma_f64 v[42:43], v[6:7], v[0:1], v[2:3]
	v_fma_f64 v[26:27], v[26:27], v[30:31], -v[36:37]
	v_fma_f64 v[28:29], v[28:29], v[30:31], v[38:39]
	v_add_f64 v[24:25], v[24:25], v[22:23]
	v_add_f64 v[44:45], v[34:35], v[20:21]
	ds_load_b128 v[0:3], v12 offset:128
	ds_load_b128 v[4:7], v16 offset:4096
	ds_load_b128 v[20:23], v16 offset:4608
	ds_load_b128 v[32:35], v12 offset:144
	s_waitcnt lgkmcnt(2)
	v_mul_f64 v[46:47], v[6:7], v[2:3]
	v_mul_f64 v[2:3], v[4:5], v[2:3]
	s_waitcnt lgkmcnt(0)
	v_mul_f64 v[36:37], v[22:23], v[34:35]
	v_mul_f64 v[34:35], v[20:21], v[34:35]
	v_add_f64 v[24:25], v[24:25], v[42:43]
	v_add_f64 v[30:31], v[44:45], v[40:41]
	v_fma_f64 v[38:39], v[4:5], v[0:1], -v[46:47]
	v_fma_f64 v[40:41], v[6:7], v[0:1], v[2:3]
	v_fma_f64 v[20:21], v[20:21], v[32:33], -v[36:37]
	v_fma_f64 v[22:23], v[22:23], v[32:33], v[34:35]
	v_add_f64 v[42:43], v[24:25], v[28:29]
	v_add_f64 v[44:45], v[30:31], v[26:27]
	ds_load_b128 v[0:3], v12 offset:160
	ds_load_b128 v[4:7], v16 offset:5120
	ds_load_b128 v[24:27], v16 offset:5632
	ds_load_b128 v[28:31], v12 offset:176
	s_waitcnt lgkmcnt(2)
	v_mul_f64 v[46:47], v[6:7], v[2:3]
	v_mul_f64 v[2:3], v[4:5], v[2:3]
	s_waitcnt lgkmcnt(0)
	v_mul_f64 v[36:37], v[26:27], v[30:31]
	v_add_f64 v[32:33], v[42:43], v[40:41]
	v_add_f64 v[34:35], v[44:45], v[38:39]
	v_mul_f64 v[38:39], v[24:25], v[30:31]
	v_fma_f64 v[40:41], v[4:5], v[0:1], -v[46:47]
	v_fma_f64 v[42:43], v[6:7], v[0:1], v[2:3]
	v_fma_f64 v[24:25], v[24:25], v[28:29], -v[36:37]
	v_add_f64 v[44:45], v[32:33], v[22:23]
	v_add_f64 v[34:35], v[34:35], v[20:21]
	ds_load_b128 v[0:3], v12 offset:192
	ds_load_b128 v[4:7], v16 offset:6144
	ds_load_b128 v[20:23], v16 offset:6656
	ds_load_b128 v[30:33], v12 offset:208
	v_fma_f64 v[26:27], v[26:27], v[28:29], v[38:39]
	s_waitcnt lgkmcnt(2)
	v_mul_f64 v[46:47], v[6:7], v[2:3]
	v_mul_f64 v[2:3], v[4:5], v[2:3]
	s_waitcnt lgkmcnt(0)
	v_mul_f64 v[36:37], v[22:23], v[32:33]
	v_mul_f64 v[38:39], v[20:21], v[32:33]
	v_add_f64 v[28:29], v[44:45], v[42:43]
	v_add_f64 v[34:35], v[34:35], v[40:41]
	v_fma_f64 v[40:41], v[4:5], v[0:1], -v[46:47]
	v_fma_f64 v[42:43], v[6:7], v[0:1], v[2:3]
	v_fma_f64 v[20:21], v[20:21], v[30:31], -v[36:37]
	v_fma_f64 v[22:23], v[22:23], v[30:31], v[38:39]
	v_add_f64 v[28:29], v[28:29], v[26:27]
	v_add_f64 v[44:45], v[34:35], v[24:25]
	ds_load_b128 v[0:3], v12 offset:224
	ds_load_b128 v[4:7], v16 offset:7168
	ds_load_b128 v[24:27], v16 offset:7680
	ds_load_b128 v[32:35], v12 offset:240
	;; [unrolled: 54-line block ×4, first 2 shown]
	s_waitcnt lgkmcnt(2)
	v_mul_f64 v[46:47], v[6:7], v[2:3]
	v_mul_f64 v[2:3], v[4:5], v[2:3]
	s_waitcnt lgkmcnt(0)
	v_mul_f64 v[38:39], v[26:27], v[34:35]
	v_add_f64 v[28:29], v[28:29], v[42:43]
	v_add_f64 v[30:31], v[44:45], v[40:41]
	v_mul_f64 v[40:41], v[24:25], v[34:35]
	v_fma_f64 v[42:43], v[4:5], v[0:1], -v[46:47]
	v_fma_f64 v[44:45], v[6:7], v[0:1], v[2:3]
	ds_load_b128 v[0:3], v12 offset:448
	ds_load_b128 v[4:7], v16 offset:14336
	v_fma_f64 v[24:25], v[24:25], v[32:33], -v[38:39]
	v_add_f64 v[46:47], v[28:29], v[22:23]
	v_add_f64 v[48:49], v[30:31], v[20:21]
	global_load_b128 v[20:23], v[8:9], off
	v_fma_f64 v[26:27], v[26:27], v[32:33], v[40:41]
	s_waitcnt lgkmcnt(0)
	v_mul_f64 v[50:51], v[6:7], v[2:3]
	v_mul_f64 v[2:3], v[4:5], v[2:3]
	ds_load_b128 v[28:31], v16 offset:14848
	ds_load_b128 v[34:37], v12 offset:464
	s_waitcnt lgkmcnt(0)
	v_mul_f64 v[40:41], v[30:31], v[36:37]
	v_add_f64 v[32:33], v[46:47], v[44:45]
	v_add_f64 v[38:39], v[48:49], v[42:43]
	v_mul_f64 v[42:43], v[28:29], v[36:37]
	v_fma_f64 v[44:45], v[4:5], v[0:1], -v[50:51]
	v_fma_f64 v[46:47], v[6:7], v[0:1], v[2:3]
	v_fma_f64 v[28:29], v[28:29], v[34:35], -v[40:41]
	v_add_f64 v[32:33], v[32:33], v[26:27]
	v_add_f64 v[48:49], v[38:39], v[24:25]
	ds_load_b128 v[0:3], v12 offset:480
	ds_load_b128 v[4:7], v16 offset:15360
	;; [unrolled: 1-line block ×4, first 2 shown]
	v_fma_f64 v[30:31], v[30:31], v[34:35], v[42:43]
	s_waitcnt lgkmcnt(2)
	v_mul_f64 v[50:51], v[6:7], v[2:3]
	v_mul_f64 v[2:3], v[4:5], v[2:3]
	s_waitcnt lgkmcnt(0)
	v_mul_f64 v[40:41], v[26:27], v[38:39]
	v_mul_f64 v[38:39], v[24:25], v[38:39]
	v_add_f64 v[32:33], v[32:33], v[46:47]
	v_add_f64 v[34:35], v[48:49], v[44:45]
	v_fma_f64 v[4:5], v[4:5], v[0:1], -v[50:51]
	v_fma_f64 v[0:1], v[6:7], v[0:1], v[2:3]
	v_fma_f64 v[24:25], v[24:25], v[36:37], -v[40:41]
	v_fma_f64 v[26:27], v[26:27], v[36:37], v[38:39]
	v_add_f64 v[2:3], v[32:33], v[30:31]
	v_add_f64 v[6:7], v[34:35], v[28:29]
	s_delay_alu instid0(VALU_DEP_2) | instskip(NEXT) | instid1(VALU_DEP_2)
	v_add_f64 v[0:1], v[2:3], v[0:1]
	v_add_f64 v[2:3], v[6:7], v[4:5]
	s_delay_alu instid0(VALU_DEP_2) | instskip(NEXT) | instid1(VALU_DEP_2)
	;; [unrolled: 3-line block ×3, first 2 shown]
	v_mul_f64 v[4:5], s[6:7], v[0:1]
	v_mul_f64 v[6:7], s[6:7], v[2:3]
	s_delay_alu instid0(VALU_DEP_2) | instskip(NEXT) | instid1(VALU_DEP_2)
	v_fma_f64 v[2:3], s[4:5], v[2:3], -v[4:5]
	v_fma_f64 v[4:5], s[4:5], v[0:1], v[6:7]
	s_waitcnt vmcnt(0)
	s_delay_alu instid0(VALU_DEP_2) | instskip(NEXT) | instid1(VALU_DEP_2)
	v_add_f64 v[0:1], v[20:21], v[2:3]
	v_add_f64 v[2:3], v[22:23], v[4:5]
	global_store_b128 v[8:9], v[0:3], off
	s_branch .LBB306_4
.LBB306_11:
	s_endpgm
	.section	.rodata,"a",@progbits
	.p2align	6, 0x0
	.amdhsa_kernel _ZL26rocblas_syr2k_her2k_kernelIiLb0ELb0ELb0ELi32EPK19rocblas_complex_numIdES3_PS1_EvbiT_T4_T5_S5_lS7_S5_lT6_S5_li
		.amdhsa_group_segment_fixed_size 32768
		.amdhsa_private_segment_fixed_size 0
		.amdhsa_kernarg_size 100
		.amdhsa_user_sgpr_count 13
		.amdhsa_user_sgpr_dispatch_ptr 0
		.amdhsa_user_sgpr_queue_ptr 0
		.amdhsa_user_sgpr_kernarg_segment_ptr 1
		.amdhsa_user_sgpr_dispatch_id 0
		.amdhsa_user_sgpr_private_segment_size 0
		.amdhsa_wavefront_size32 1
		.amdhsa_uses_dynamic_stack 0
		.amdhsa_enable_private_segment 0
		.amdhsa_system_sgpr_workgroup_id_x 1
		.amdhsa_system_sgpr_workgroup_id_y 1
		.amdhsa_system_sgpr_workgroup_id_z 1
		.amdhsa_system_sgpr_workgroup_info 0
		.amdhsa_system_vgpr_workitem_id 1
		.amdhsa_next_free_vgpr 52
		.amdhsa_next_free_sgpr 28
		.amdhsa_reserve_vcc 1
		.amdhsa_float_round_mode_32 0
		.amdhsa_float_round_mode_16_64 0
		.amdhsa_float_denorm_mode_32 3
		.amdhsa_float_denorm_mode_16_64 3
		.amdhsa_dx10_clamp 1
		.amdhsa_ieee_mode 1
		.amdhsa_fp16_overflow 0
		.amdhsa_workgroup_processor_mode 1
		.amdhsa_memory_ordered 1
		.amdhsa_forward_progress 0
		.amdhsa_shared_vgpr_count 0
		.amdhsa_exception_fp_ieee_invalid_op 0
		.amdhsa_exception_fp_denorm_src 0
		.amdhsa_exception_fp_ieee_div_zero 0
		.amdhsa_exception_fp_ieee_overflow 0
		.amdhsa_exception_fp_ieee_underflow 0
		.amdhsa_exception_fp_ieee_inexact 0
		.amdhsa_exception_int_div_zero 0
	.end_amdhsa_kernel
	.section	.text._ZL26rocblas_syr2k_her2k_kernelIiLb0ELb0ELb0ELi32EPK19rocblas_complex_numIdES3_PS1_EvbiT_T4_T5_S5_lS7_S5_lT6_S5_li,"axG",@progbits,_ZL26rocblas_syr2k_her2k_kernelIiLb0ELb0ELb0ELi32EPK19rocblas_complex_numIdES3_PS1_EvbiT_T4_T5_S5_lS7_S5_lT6_S5_li,comdat
.Lfunc_end306:
	.size	_ZL26rocblas_syr2k_her2k_kernelIiLb0ELb0ELb0ELi32EPK19rocblas_complex_numIdES3_PS1_EvbiT_T4_T5_S5_lS7_S5_lT6_S5_li, .Lfunc_end306-_ZL26rocblas_syr2k_her2k_kernelIiLb0ELb0ELb0ELi32EPK19rocblas_complex_numIdES3_PS1_EvbiT_T4_T5_S5_lS7_S5_lT6_S5_li
                                        ; -- End function
	.section	.AMDGPU.csdata,"",@progbits
; Kernel info:
; codeLenInByte = 3040
; NumSgprs: 30
; NumVgprs: 52
; ScratchSize: 0
; MemoryBound: 1
; FloatMode: 240
; IeeeMode: 1
; LDSByteSize: 32768 bytes/workgroup (compile time only)
; SGPRBlocks: 3
; VGPRBlocks: 6
; NumSGPRsForWavesPerEU: 30
; NumVGPRsForWavesPerEU: 52
; Occupancy: 16
; WaveLimiterHint : 0
; COMPUTE_PGM_RSRC2:SCRATCH_EN: 0
; COMPUTE_PGM_RSRC2:USER_SGPR: 13
; COMPUTE_PGM_RSRC2:TRAP_HANDLER: 0
; COMPUTE_PGM_RSRC2:TGID_X_EN: 1
; COMPUTE_PGM_RSRC2:TGID_Y_EN: 1
; COMPUTE_PGM_RSRC2:TGID_Z_EN: 1
; COMPUTE_PGM_RSRC2:TIDIG_COMP_CNT: 1
	.section	.text._ZL26rocblas_syr2k_her2k_kernelIiLb0ELb0ELb1ELi32EPK19rocblas_complex_numIdES3_PS1_EvbiT_T4_T5_S5_lS7_S5_lT6_S5_li,"axG",@progbits,_ZL26rocblas_syr2k_her2k_kernelIiLb0ELb0ELb1ELi32EPK19rocblas_complex_numIdES3_PS1_EvbiT_T4_T5_S5_lS7_S5_lT6_S5_li,comdat
	.globl	_ZL26rocblas_syr2k_her2k_kernelIiLb0ELb0ELb1ELi32EPK19rocblas_complex_numIdES3_PS1_EvbiT_T4_T5_S5_lS7_S5_lT6_S5_li ; -- Begin function _ZL26rocblas_syr2k_her2k_kernelIiLb0ELb0ELb1ELi32EPK19rocblas_complex_numIdES3_PS1_EvbiT_T4_T5_S5_lS7_S5_lT6_S5_li
	.p2align	8
	.type	_ZL26rocblas_syr2k_her2k_kernelIiLb0ELb0ELb1ELi32EPK19rocblas_complex_numIdES3_PS1_EvbiT_T4_T5_S5_lS7_S5_lT6_S5_li,@function
_ZL26rocblas_syr2k_her2k_kernelIiLb0ELb0ELb1ELi32EPK19rocblas_complex_numIdES3_PS1_EvbiT_T4_T5_S5_lS7_S5_lT6_S5_li: ; @_ZL26rocblas_syr2k_her2k_kernelIiLb0ELb0ELb1ELi32EPK19rocblas_complex_numIdES3_PS1_EvbiT_T4_T5_S5_lS7_S5_lT6_S5_li
; %bb.0:
	s_load_b128 s[16:19], s[0:1], 0x10
	s_waitcnt lgkmcnt(0)
	s_load_b128 s[4:7], s[16:17], 0x0
	s_waitcnt lgkmcnt(0)
	v_cmp_eq_f64_e64 s2, s[4:5], 0
	v_cmp_eq_f64_e64 s3, s[6:7], 0
	s_delay_alu instid0(VALU_DEP_1) | instskip(NEXT) | instid1(SALU_CYCLE_1)
	s_and_b32 s2, s2, s3
	s_and_b32 vcc_lo, exec_lo, s2
	s_cbranch_vccnz .LBB307_11
; %bb.1:
	s_load_b128 s[8:11], s[0:1], 0x0
	s_lshl_b32 s2, s14, 5
	s_lshl_b32 s3, s13, 5
	s_waitcnt lgkmcnt(0)
	s_and_b32 s8, 1, s8
	s_delay_alu instid0(SALU_CYCLE_1) | instskip(SKIP_1) | instid1(SALU_CYCLE_1)
	s_cmp_eq_u32 s8, 1
	s_cselect_b32 vcc_lo, -1, 0
	s_and_b32 s8, vcc_lo, exec_lo
	s_cselect_b32 s8, s3, s2
	s_cselect_b32 s11, s2, s3
	s_delay_alu instid0(SALU_CYCLE_1)
	s_cmp_gt_i32 s8, s11
	s_cbranch_scc1 .LBB307_11
; %bb.2:
	s_cmp_lt_i32 s10, 1
	s_cbranch_scc1 .LBB307_11
; %bb.3:
	s_clause 0x5
	s_load_b128 s[24:27], s[0:1], 0x28
	s_load_b128 s[20:23], s[0:1], 0x40
	s_load_b32 s8, s[0:1], 0x20
	s_load_b32 s11, s[0:1], 0x38
	;; [unrolled: 1-line block ×3, first 2 shown]
	s_load_b64 s[12:13], s[0:1], 0x58
	v_and_b32_e32 v12, 0x3ff, v0
	v_bfe_u32 v13, v0, 10, 10
	s_delay_alu instid0(VALU_DEP_2) | instskip(NEXT) | instid1(VALU_DEP_2)
	v_add_nc_u32_e32 v0, s3, v12
	v_add_nc_u32_e32 v8, s2, v13
	v_lshlrev_b32_e32 v11, 4, v13
	v_lshlrev_b32_e32 v14, 9, v12
	s_delay_alu instid0(VALU_DEP_4) | instskip(NEXT) | instid1(VALU_DEP_4)
	v_ashrrev_i32_e32 v1, 31, v0
	v_cndmask_b32_e32 v10, v8, v0, vcc_lo
	v_cndmask_b32_e32 v9, v0, v8, vcc_lo
	v_cmp_gt_i32_e32 vcc_lo, s9, v0
	v_or_b32_e32 v18, 0x4000, v11
	v_add_nc_u32_e32 v17, v14, v11
	s_waitcnt lgkmcnt(0)
	s_mul_i32 s1, s15, s25
	s_mul_hi_u32 s3, s15, s24
	s_mul_i32 s0, s15, s24
	s_add_i32 s1, s3, s1
	v_mad_i64_i32 v[2:3], null, s8, v0, 0
	s_lshl_b64 s[0:1], s[0:1], 4
	s_mul_i32 s16, s15, s21
	s_mul_hi_u32 s17, s15, s20
	s_add_u32 s18, s18, s0
	s_mul_i32 s2, s15, s20
	s_addc_u32 s19, s19, s1
	s_add_i32 s3, s17, s16
	s_mul_i32 s13, s15, s13
	s_lshl_b64 s[0:1], s[2:3], 4
	s_mul_hi_u32 s20, s15, s12
	v_lshlrev_b64 v[2:3], 4, v[2:3]
	v_mad_i64_i32 v[4:5], null, s11, v8, 0
	v_mad_i64_i32 v[6:7], null, s14, v8, 0
	s_add_u32 s8, s26, s0
	s_mul_i32 s2, s15, s12
	s_addc_u32 s12, s27, s1
	s_add_i32 s3, s20, s13
	v_lshlrev_b64 v[0:1], 4, v[0:1]
	s_lshl_b64 s[0:1], s[2:3], 4
	v_add_nc_u32_e32 v21, v18, v14
	s_add_u32 s2, s22, s0
	v_add_co_u32 v15, s0, s18, v2
	s_delay_alu instid0(VALU_DEP_1) | instskip(SKIP_4) | instid1(VALU_DEP_3)
	v_add_co_ci_u32_e64 v16, s0, s19, v3, s0
	v_lshlrev_b64 v[2:3], 4, v[4:5]
	v_lshlrev_b64 v[4:5], 4, v[6:7]
	s_addc_u32 s3, s23, s1
	v_cmp_gt_i32_e64 s0, s9, v8
	v_add_co_u32 v19, s1, s8, v2
	s_delay_alu instid0(VALU_DEP_3) | instskip(SKIP_3) | instid1(VALU_DEP_4)
	v_add_co_u32 v2, s2, s2, v4
	v_add_co_ci_u32_e64 v20, s1, s12, v3, s1
	v_add_co_ci_u32_e64 v3, s2, s3, v5, s2
	v_cmp_le_i32_e64 s1, v10, v9
	v_add_co_u32 v8, s2, v2, v0
	s_delay_alu instid0(VALU_DEP_1)
	v_add_co_ci_u32_e64 v9, s2, v3, v1, s2
	s_and_b32 s3, s0, vcc_lo
	s_delay_alu instid0(VALU_DEP_3) | instid1(SALU_CYCLE_1)
	s_and_b32 s2, s3, s1
	s_mov_b32 s3, 0
	s_branch .LBB307_5
.LBB307_4:                              ;   in Loop: Header=BB307_5 Depth=1
	s_or_b32 exec_lo, exec_lo, s1
	s_add_i32 s3, s3, 32
	s_waitcnt_vscnt null, 0x0
	s_cmp_lt_i32 s3, s10
	s_barrier
	buffer_gl0_inv
	s_cbranch_scc0 .LBB307_11
.LBB307_5:                              ; =>This Inner Loop Header: Depth=1
	v_add_nc_u32_e32 v2, s3, v13
	v_mov_b32_e32 v0, 0
	v_mov_b32_e32 v1, 0
	s_delay_alu instid0(VALU_DEP_3) | instskip(NEXT) | instid1(VALU_DEP_2)
	v_cmp_gt_i32_e64 s1, s10, v2
	v_dual_mov_b32 v5, v1 :: v_dual_mov_b32 v4, v0
	v_dual_mov_b32 v7, v1 :: v_dual_mov_b32 v6, v0
	s_delay_alu instid0(VALU_DEP_3) | instskip(NEXT) | instid1(SALU_CYCLE_1)
	s_and_b32 s1, vcc_lo, s1
	s_and_saveexec_b32 s8, s1
	s_cbranch_execz .LBB307_7
; %bb.6:                                ;   in Loop: Header=BB307_5 Depth=1
	v_ashrrev_i32_e32 v3, 31, v2
	s_delay_alu instid0(VALU_DEP_1) | instskip(NEXT) | instid1(VALU_DEP_1)
	v_lshlrev_b64 v[2:3], 4, v[2:3]
	v_add_co_u32 v2, s1, v15, v2
	s_delay_alu instid0(VALU_DEP_1)
	v_add_co_ci_u32_e64 v3, s1, v16, v3, s1
	global_load_b128 v[4:7], v[2:3], off
.LBB307_7:                              ;   in Loop: Header=BB307_5 Depth=1
	s_or_b32 exec_lo, exec_lo, s8
	v_dual_mov_b32 v3, v1 :: v_dual_add_nc_u32 v10, s3, v12
	v_mov_b32_e32 v2, v0
	s_waitcnt vmcnt(0)
	ds_store_b128 v17, v[4:7]
	v_cmp_gt_i32_e64 s1, s10, v10
	s_delay_alu instid0(VALU_DEP_1) | instskip(NEXT) | instid1(SALU_CYCLE_1)
	s_and_b32 s1, s0, s1
	s_and_saveexec_b32 s8, s1
	s_cbranch_execz .LBB307_9
; %bb.8:                                ;   in Loop: Header=BB307_5 Depth=1
	v_ashrrev_i32_e32 v11, 31, v10
	s_delay_alu instid0(VALU_DEP_1) | instskip(NEXT) | instid1(VALU_DEP_1)
	v_lshlrev_b64 v[0:1], 4, v[10:11]
	v_add_co_u32 v0, s1, v19, v0
	s_delay_alu instid0(VALU_DEP_1)
	v_add_co_ci_u32_e64 v1, s1, v20, v1, s1
	global_load_b128 v[0:3], v[0:1], off
.LBB307_9:                              ;   in Loop: Header=BB307_5 Depth=1
	s_or_b32 exec_lo, exec_lo, s8
	s_waitcnt vmcnt(0)
	ds_store_b128 v21, v[0:3]
	s_waitcnt lgkmcnt(0)
	s_barrier
	buffer_gl0_inv
	s_and_saveexec_b32 s1, s2
	s_cbranch_execz .LBB307_4
; %bb.10:                               ;   in Loop: Header=BB307_5 Depth=1
	ds_load_b128 v[0:3], v18
	ds_load_b128 v[4:7], v14
	ds_load_b128 v[22:25], v14 offset:16
	ds_load_b128 v[26:29], v18 offset:512
	s_waitcnt lgkmcnt(2)
	v_mul_f64 v[10:11], v[0:1], v[6:7]
	v_mul_f64 v[6:7], v[2:3], v[6:7]
	s_waitcnt lgkmcnt(0)
	v_mul_f64 v[38:39], v[28:29], v[24:25]
	v_mul_f64 v[24:25], v[26:27], v[24:25]
	s_delay_alu instid0(VALU_DEP_4) | instskip(NEXT) | instid1(VALU_DEP_4)
	v_fma_f64 v[10:11], v[2:3], v[4:5], v[10:11]
	v_fma_f64 v[40:41], v[0:1], v[4:5], -v[6:7]
	ds_load_b128 v[0:3], v18 offset:1024
	ds_load_b128 v[4:7], v14 offset:32
	;; [unrolled: 1-line block ×4, first 2 shown]
	v_fma_f64 v[26:27], v[26:27], v[22:23], -v[38:39]
	v_fma_f64 v[22:23], v[28:29], v[22:23], v[24:25]
	s_waitcnt lgkmcnt(2)
	v_mul_f64 v[42:43], v[2:3], v[6:7]
	v_mul_f64 v[6:7], v[0:1], v[6:7]
	s_waitcnt lgkmcnt(0)
	v_mul_f64 v[38:39], v[36:37], v[32:33]
	v_mul_f64 v[32:33], v[34:35], v[32:33]
	v_add_f64 v[10:11], v[10:11], 0
	v_add_f64 v[24:25], v[40:41], 0
	v_fma_f64 v[40:41], v[0:1], v[4:5], -v[42:43]
	v_fma_f64 v[42:43], v[2:3], v[4:5], v[6:7]
	v_fma_f64 v[34:35], v[34:35], v[30:31], -v[38:39]
	v_fma_f64 v[30:31], v[36:37], v[30:31], v[32:33]
	v_add_f64 v[10:11], v[10:11], v[22:23]
	v_add_f64 v[44:45], v[24:25], v[26:27]
	ds_load_b128 v[0:3], v14 offset:64
	ds_load_b128 v[4:7], v18 offset:2048
	ds_load_b128 v[22:25], v18 offset:2560
	ds_load_b128 v[26:29], v14 offset:80
	s_waitcnt lgkmcnt(2)
	v_mul_f64 v[46:47], v[6:7], v[2:3]
	v_mul_f64 v[2:3], v[4:5], v[2:3]
	s_waitcnt lgkmcnt(0)
	v_mul_f64 v[36:37], v[24:25], v[28:29]
	v_mul_f64 v[38:39], v[22:23], v[28:29]
	v_add_f64 v[10:11], v[10:11], v[42:43]
	v_add_f64 v[32:33], v[44:45], v[40:41]
	v_fma_f64 v[40:41], v[4:5], v[0:1], -v[46:47]
	v_fma_f64 v[42:43], v[6:7], v[0:1], v[2:3]
	v_fma_f64 v[22:23], v[22:23], v[26:27], -v[36:37]
	v_fma_f64 v[24:25], v[24:25], v[26:27], v[38:39]
	v_add_f64 v[10:11], v[10:11], v[30:31]
	v_add_f64 v[44:45], v[32:33], v[34:35]
	ds_load_b128 v[0:3], v14 offset:96
	ds_load_b128 v[4:7], v18 offset:3072
	ds_load_b128 v[28:31], v18 offset:3584
	ds_load_b128 v[32:35], v14 offset:112
	s_waitcnt lgkmcnt(2)
	v_mul_f64 v[46:47], v[6:7], v[2:3]
	v_mul_f64 v[2:3], v[4:5], v[2:3]
	s_waitcnt lgkmcnt(0)
	v_mul_f64 v[38:39], v[30:31], v[34:35]
	v_add_f64 v[10:11], v[10:11], v[42:43]
	v_add_f64 v[26:27], v[44:45], v[40:41]
	v_mul_f64 v[40:41], v[28:29], v[34:35]
	v_fma_f64 v[42:43], v[4:5], v[0:1], -v[46:47]
	v_fma_f64 v[44:45], v[6:7], v[0:1], v[2:3]
	v_fma_f64 v[28:29], v[28:29], v[32:33], -v[38:39]
	v_add_f64 v[10:11], v[10:11], v[24:25]
	v_add_f64 v[26:27], v[26:27], v[22:23]
	ds_load_b128 v[0:3], v14 offset:128
	ds_load_b128 v[4:7], v18 offset:4096
	ds_load_b128 v[22:25], v18 offset:4608
	ds_load_b128 v[34:37], v14 offset:144
	v_fma_f64 v[30:31], v[30:31], v[32:33], v[40:41]
	s_waitcnt lgkmcnt(2)
	v_mul_f64 v[46:47], v[6:7], v[2:3]
	v_mul_f64 v[2:3], v[4:5], v[2:3]
	s_waitcnt lgkmcnt(0)
	v_mul_f64 v[38:39], v[24:25], v[36:37]
	v_mul_f64 v[36:37], v[22:23], v[36:37]
	v_add_f64 v[10:11], v[10:11], v[44:45]
	v_add_f64 v[26:27], v[26:27], v[42:43]
	v_fma_f64 v[40:41], v[4:5], v[0:1], -v[46:47]
	v_fma_f64 v[42:43], v[6:7], v[0:1], v[2:3]
	v_fma_f64 v[22:23], v[22:23], v[34:35], -v[38:39]
	v_fma_f64 v[24:25], v[24:25], v[34:35], v[36:37]
	v_add_f64 v[10:11], v[10:11], v[30:31]
	v_add_f64 v[44:45], v[26:27], v[28:29]
	ds_load_b128 v[0:3], v14 offset:160
	ds_load_b128 v[4:7], v18 offset:5120
	ds_load_b128 v[26:29], v18 offset:5632
	ds_load_b128 v[30:33], v14 offset:176
	s_waitcnt lgkmcnt(2)
	v_mul_f64 v[46:47], v[6:7], v[2:3]
	v_mul_f64 v[2:3], v[4:5], v[2:3]
	s_waitcnt lgkmcnt(0)
	v_mul_f64 v[36:37], v[28:29], v[32:33]
	v_mul_f64 v[38:39], v[26:27], v[32:33]
	v_add_f64 v[10:11], v[10:11], v[42:43]
	v_add_f64 v[34:35], v[44:45], v[40:41]
	v_fma_f64 v[40:41], v[4:5], v[0:1], -v[46:47]
	v_fma_f64 v[42:43], v[6:7], v[0:1], v[2:3]
	v_fma_f64 v[26:27], v[26:27], v[30:31], -v[36:37]
	v_fma_f64 v[28:29], v[28:29], v[30:31], v[38:39]
	v_add_f64 v[10:11], v[10:11], v[24:25]
	v_add_f64 v[44:45], v[34:35], v[22:23]
	ds_load_b128 v[0:3], v14 offset:192
	ds_load_b128 v[4:7], v18 offset:6144
	ds_load_b128 v[22:25], v18 offset:6656
	ds_load_b128 v[32:35], v14 offset:208
	s_waitcnt lgkmcnt(2)
	v_mul_f64 v[46:47], v[6:7], v[2:3]
	v_mul_f64 v[2:3], v[4:5], v[2:3]
	s_waitcnt lgkmcnt(0)
	v_mul_f64 v[38:39], v[24:25], v[34:35]
	v_add_f64 v[10:11], v[10:11], v[42:43]
	v_add_f64 v[30:31], v[44:45], v[40:41]
	v_mul_f64 v[40:41], v[22:23], v[34:35]
	v_fma_f64 v[42:43], v[4:5], v[0:1], -v[46:47]
	v_fma_f64 v[44:45], v[6:7], v[0:1], v[2:3]
	v_fma_f64 v[22:23], v[22:23], v[32:33], -v[38:39]
	v_add_f64 v[10:11], v[10:11], v[28:29]
	v_add_f64 v[30:31], v[30:31], v[26:27]
	ds_load_b128 v[0:3], v14 offset:224
	ds_load_b128 v[4:7], v18 offset:7168
	ds_load_b128 v[26:29], v18 offset:7680
	ds_load_b128 v[34:37], v14 offset:240
	;; [unrolled: 54-line block ×4, first 2 shown]
	v_fma_f64 v[24:25], v[24:25], v[32:33], v[40:41]
	s_waitcnt lgkmcnt(2)
	v_mul_f64 v[46:47], v[6:7], v[2:3]
	v_mul_f64 v[2:3], v[4:5], v[2:3]
	s_waitcnt lgkmcnt(0)
	v_mul_f64 v[40:41], v[28:29], v[36:37]
	v_add_f64 v[10:11], v[10:11], v[44:45]
	v_add_f64 v[30:31], v[30:31], v[42:43]
	v_mul_f64 v[42:43], v[26:27], v[36:37]
	v_fma_f64 v[44:45], v[4:5], v[0:1], -v[46:47]
	v_fma_f64 v[46:47], v[6:7], v[0:1], v[2:3]
	ds_load_b128 v[0:3], v14 offset:448
	ds_load_b128 v[4:7], v18 offset:14336
	v_fma_f64 v[26:27], v[26:27], v[34:35], -v[40:41]
	v_add_f64 v[10:11], v[10:11], v[24:25]
	v_add_f64 v[48:49], v[30:31], v[22:23]
	global_load_b128 v[22:25], v[8:9], off
	v_fma_f64 v[28:29], v[28:29], v[34:35], v[42:43]
	s_waitcnt lgkmcnt(0)
	v_mul_f64 v[50:51], v[6:7], v[2:3]
	v_mul_f64 v[2:3], v[4:5], v[2:3]
	ds_load_b128 v[30:33], v18 offset:14848
	ds_load_b128 v[36:39], v14 offset:464
	s_waitcnt lgkmcnt(0)
	v_mul_f64 v[42:43], v[32:33], v[38:39]
	v_add_f64 v[10:11], v[10:11], v[46:47]
	v_add_f64 v[34:35], v[48:49], v[44:45]
	v_mul_f64 v[44:45], v[30:31], v[38:39]
	v_fma_f64 v[46:47], v[4:5], v[0:1], -v[50:51]
	v_fma_f64 v[48:49], v[6:7], v[0:1], v[2:3]
	v_fma_f64 v[30:31], v[30:31], v[36:37], -v[42:43]
	v_add_f64 v[10:11], v[10:11], v[28:29]
	v_add_f64 v[34:35], v[34:35], v[26:27]
	ds_load_b128 v[0:3], v14 offset:480
	ds_load_b128 v[4:7], v18 offset:15360
	;; [unrolled: 1-line block ×4, first 2 shown]
	v_fma_f64 v[32:33], v[32:33], v[36:37], v[44:45]
	s_waitcnt lgkmcnt(2)
	v_mul_f64 v[50:51], v[6:7], v[2:3]
	v_mul_f64 v[2:3], v[4:5], v[2:3]
	s_waitcnt lgkmcnt(0)
	v_mul_f64 v[36:37], v[28:29], v[40:41]
	v_mul_f64 v[40:41], v[26:27], v[40:41]
	v_add_f64 v[10:11], v[10:11], v[48:49]
	v_add_f64 v[34:35], v[34:35], v[46:47]
	v_fma_f64 v[4:5], v[4:5], v[0:1], -v[50:51]
	v_fma_f64 v[0:1], v[6:7], v[0:1], v[2:3]
	s_delay_alu instid0(VALU_DEP_4) | instskip(NEXT) | instid1(VALU_DEP_4)
	v_add_f64 v[2:3], v[10:11], v[32:33]
	v_add_f64 v[6:7], v[34:35], v[30:31]
	v_fma_f64 v[10:11], v[26:27], v[38:39], -v[36:37]
	v_fma_f64 v[26:27], v[28:29], v[38:39], v[40:41]
	s_delay_alu instid0(VALU_DEP_4) | instskip(NEXT) | instid1(VALU_DEP_4)
	v_add_f64 v[0:1], v[2:3], v[0:1]
	v_add_f64 v[2:3], v[6:7], v[4:5]
	s_delay_alu instid0(VALU_DEP_2) | instskip(NEXT) | instid1(VALU_DEP_2)
	v_add_f64 v[0:1], v[0:1], v[26:27]
	v_add_f64 v[2:3], v[2:3], v[10:11]
	s_delay_alu instid0(VALU_DEP_2) | instskip(NEXT) | instid1(VALU_DEP_2)
	v_mul_f64 v[4:5], s[6:7], v[0:1]
	v_mul_f64 v[6:7], s[6:7], v[2:3]
	s_delay_alu instid0(VALU_DEP_2) | instskip(NEXT) | instid1(VALU_DEP_2)
	v_fma_f64 v[2:3], s[4:5], v[2:3], -v[4:5]
	v_fma_f64 v[4:5], s[4:5], v[0:1], v[6:7]
	s_waitcnt vmcnt(0)
	s_delay_alu instid0(VALU_DEP_2) | instskip(NEXT) | instid1(VALU_DEP_2)
	v_add_f64 v[0:1], v[22:23], v[2:3]
	v_add_f64 v[2:3], v[24:25], v[4:5]
	global_store_b128 v[8:9], v[0:3], off
	s_branch .LBB307_4
.LBB307_11:
	s_endpgm
	.section	.rodata,"a",@progbits
	.p2align	6, 0x0
	.amdhsa_kernel _ZL26rocblas_syr2k_her2k_kernelIiLb0ELb0ELb1ELi32EPK19rocblas_complex_numIdES3_PS1_EvbiT_T4_T5_S5_lS7_S5_lT6_S5_li
		.amdhsa_group_segment_fixed_size 32768
		.amdhsa_private_segment_fixed_size 0
		.amdhsa_kernarg_size 100
		.amdhsa_user_sgpr_count 13
		.amdhsa_user_sgpr_dispatch_ptr 0
		.amdhsa_user_sgpr_queue_ptr 0
		.amdhsa_user_sgpr_kernarg_segment_ptr 1
		.amdhsa_user_sgpr_dispatch_id 0
		.amdhsa_user_sgpr_private_segment_size 0
		.amdhsa_wavefront_size32 1
		.amdhsa_uses_dynamic_stack 0
		.amdhsa_enable_private_segment 0
		.amdhsa_system_sgpr_workgroup_id_x 1
		.amdhsa_system_sgpr_workgroup_id_y 1
		.amdhsa_system_sgpr_workgroup_id_z 1
		.amdhsa_system_sgpr_workgroup_info 0
		.amdhsa_system_vgpr_workitem_id 1
		.amdhsa_next_free_vgpr 52
		.amdhsa_next_free_sgpr 28
		.amdhsa_reserve_vcc 1
		.amdhsa_float_round_mode_32 0
		.amdhsa_float_round_mode_16_64 0
		.amdhsa_float_denorm_mode_32 3
		.amdhsa_float_denorm_mode_16_64 3
		.amdhsa_dx10_clamp 1
		.amdhsa_ieee_mode 1
		.amdhsa_fp16_overflow 0
		.amdhsa_workgroup_processor_mode 1
		.amdhsa_memory_ordered 1
		.amdhsa_forward_progress 0
		.amdhsa_shared_vgpr_count 0
		.amdhsa_exception_fp_ieee_invalid_op 0
		.amdhsa_exception_fp_denorm_src 0
		.amdhsa_exception_fp_ieee_div_zero 0
		.amdhsa_exception_fp_ieee_overflow 0
		.amdhsa_exception_fp_ieee_underflow 0
		.amdhsa_exception_fp_ieee_inexact 0
		.amdhsa_exception_int_div_zero 0
	.end_amdhsa_kernel
	.section	.text._ZL26rocblas_syr2k_her2k_kernelIiLb0ELb0ELb1ELi32EPK19rocblas_complex_numIdES3_PS1_EvbiT_T4_T5_S5_lS7_S5_lT6_S5_li,"axG",@progbits,_ZL26rocblas_syr2k_her2k_kernelIiLb0ELb0ELb1ELi32EPK19rocblas_complex_numIdES3_PS1_EvbiT_T4_T5_S5_lS7_S5_lT6_S5_li,comdat
.Lfunc_end307:
	.size	_ZL26rocblas_syr2k_her2k_kernelIiLb0ELb0ELb1ELi32EPK19rocblas_complex_numIdES3_PS1_EvbiT_T4_T5_S5_lS7_S5_lT6_S5_li, .Lfunc_end307-_ZL26rocblas_syr2k_her2k_kernelIiLb0ELb0ELb1ELi32EPK19rocblas_complex_numIdES3_PS1_EvbiT_T4_T5_S5_lS7_S5_lT6_S5_li
                                        ; -- End function
	.section	.AMDGPU.csdata,"",@progbits
; Kernel info:
; codeLenInByte = 3052
; NumSgprs: 30
; NumVgprs: 52
; ScratchSize: 0
; MemoryBound: 1
; FloatMode: 240
; IeeeMode: 1
; LDSByteSize: 32768 bytes/workgroup (compile time only)
; SGPRBlocks: 3
; VGPRBlocks: 6
; NumSGPRsForWavesPerEU: 30
; NumVGPRsForWavesPerEU: 52
; Occupancy: 16
; WaveLimiterHint : 0
; COMPUTE_PGM_RSRC2:SCRATCH_EN: 0
; COMPUTE_PGM_RSRC2:USER_SGPR: 13
; COMPUTE_PGM_RSRC2:TRAP_HANDLER: 0
; COMPUTE_PGM_RSRC2:TGID_X_EN: 1
; COMPUTE_PGM_RSRC2:TGID_Y_EN: 1
; COMPUTE_PGM_RSRC2:TGID_Z_EN: 1
; COMPUTE_PGM_RSRC2:TIDIG_COMP_CNT: 1
	.section	.text._ZL26rocblas_syr2k_her2k_kernelIiLb0ELb1ELb0ELi32E19rocblas_complex_numIfEPKS1_PS1_EvbiT_T4_T5_S5_lS7_S5_lT6_S5_li,"axG",@progbits,_ZL26rocblas_syr2k_her2k_kernelIiLb0ELb1ELb0ELi32E19rocblas_complex_numIfEPKS1_PS1_EvbiT_T4_T5_S5_lS7_S5_lT6_S5_li,comdat
	.globl	_ZL26rocblas_syr2k_her2k_kernelIiLb0ELb1ELb0ELi32E19rocblas_complex_numIfEPKS1_PS1_EvbiT_T4_T5_S5_lS7_S5_lT6_S5_li ; -- Begin function _ZL26rocblas_syr2k_her2k_kernelIiLb0ELb1ELb0ELi32E19rocblas_complex_numIfEPKS1_PS1_EvbiT_T4_T5_S5_lS7_S5_lT6_S5_li
	.p2align	8
	.type	_ZL26rocblas_syr2k_her2k_kernelIiLb0ELb1ELb0ELi32E19rocblas_complex_numIfEPKS1_PS1_EvbiT_T4_T5_S5_lS7_S5_lT6_S5_li,@function
_ZL26rocblas_syr2k_her2k_kernelIiLb0ELb1ELb0ELi32E19rocblas_complex_numIfEPKS1_PS1_EvbiT_T4_T5_S5_lS7_S5_lT6_S5_li: ; @_ZL26rocblas_syr2k_her2k_kernelIiLb0ELb1ELb0ELi32E19rocblas_complex_numIfEPKS1_PS1_EvbiT_T4_T5_S5_lS7_S5_lT6_S5_li
; %bb.0:
	s_clause 0x1
	s_load_b128 s[4:7], s[0:1], 0x0
	s_load_b32 s3, s[0:1], 0x10
	s_waitcnt lgkmcnt(0)
	v_cmp_eq_f32_e64 s2, s7, 0
	v_cmp_eq_f32_e64 s8, s3, 0
	s_delay_alu instid0(VALU_DEP_1) | instskip(NEXT) | instid1(SALU_CYCLE_1)
	s_and_b32 s2, s2, s8
	s_and_b32 vcc_lo, exec_lo, s2
	s_cbranch_vccnz .LBB308_13
; %bb.1:
	s_and_b32 s2, 1, s4
	s_lshl_b32 s8, s14, 5
	s_lshl_b32 s9, s13, 5
	s_cmp_eq_u32 s2, 1
	s_cselect_b32 s2, -1, 0
	s_delay_alu instid0(SALU_CYCLE_1) | instskip(SKIP_2) | instid1(SALU_CYCLE_1)
	s_and_b32 s4, s2, exec_lo
	s_cselect_b32 s4, s9, s8
	s_cselect_b32 s10, s8, s9
	s_cmp_gt_i32 s4, s10
	s_cbranch_scc1 .LBB308_13
; %bb.2:
	s_clause 0x2
	s_load_b64 s[10:11], s[0:1], 0x58
	s_load_b128 s[16:19], s[0:1], 0x40
	s_load_b32 s4, s[0:1], 0x50
	v_and_b32_e32 v9, 0x3ff, v0
	v_bfe_u32 v10, v0, 10, 10
	s_delay_alu instid0(VALU_DEP_2) | instskip(NEXT) | instid1(VALU_DEP_2)
	v_add_nc_u32_e32 v0, s9, v9
	v_add_nc_u32_e32 v2, s8, v10
	s_delay_alu instid0(VALU_DEP_2)
	v_cmp_gt_i32_e32 vcc_lo, s5, v0
	v_ashrrev_i32_e32 v1, 31, v0
	s_waitcnt lgkmcnt(0)
	s_mul_i32 s9, s15, s11
	s_mul_hi_u32 s11, s15, s10
	s_mul_i32 s10, s15, s10
	s_add_i32 s11, s11, s9
	s_delay_alu instid0(SALU_CYCLE_1) | instskip(NEXT) | instid1(SALU_CYCLE_1)
	s_lshl_b64 s[8:9], s[10:11], 3
	s_add_u32 s12, s18, s8
	s_addc_u32 s13, s19, s9
	s_cmp_lt_i32 s6, 1
	s_cbranch_scc1 .LBB308_11
; %bb.3:
	s_clause 0x3
	s_load_b128 s[8:11], s[0:1], 0x28
	s_load_b64 s[20:21], s[0:1], 0x18
	s_load_b32 s14, s[0:1], 0x20
	s_load_b32 s18, s[0:1], 0x38
	v_cndmask_b32_e64 v8, v0, v2, s2
	v_cndmask_b32_e64 v19, v2, v0, s2
	v_lshlrev_b64 v[4:5], 3, v[0:1]
	v_ashrrev_i32_e32 v3, 31, v2
	v_mad_i64_i32 v[6:7], null, s4, v2, 0
	s_mul_i32 s1, s15, s17
	s_mul_hi_u32 s17, s15, s16
	s_mul_i32 s16, s15, s16
	v_lshlrev_b64 v[16:17], 3, v[2:3]
	v_lshlrev_b32_e32 v15, 3, v10
	v_lshlrev_b32_e32 v11, 8, v9
	s_delay_alu instid0(VALU_DEP_4) | instskip(SKIP_1) | instid1(VALU_DEP_3)
	v_lshlrev_b64 v[6:7], 3, v[6:7]
	v_cmp_gt_i32_e64 s0, s5, v2
	v_add_nc_u32_e32 v12, v11, v15
	s_waitcnt lgkmcnt(0)
	s_mul_i32 s2, s15, s9
	s_mul_hi_u32 s9, s15, s8
	s_mul_i32 s8, s15, s8
	s_add_i32 s9, s9, s2
	v_or_b32_e32 v15, 0x2000, v15
	s_lshl_b64 s[8:9], s[8:9], 3
	s_delay_alu instid0(SALU_CYCLE_1)
	s_add_u32 s2, s20, s8
	s_addc_u32 s15, s21, s9
	s_add_i32 s17, s17, s1
	v_add_co_u32 v13, s1, s2, v4
	s_lshl_b64 s[8:9], s[16:17], 3
	v_add_co_ci_u32_e64 v14, s1, s15, v5, s1
	s_add_u32 s1, s10, s8
	s_addc_u32 s2, s11, s9
	v_add_co_u32 v16, s1, s1, v16
	s_delay_alu instid0(VALU_DEP_1) | instskip(SKIP_1) | instid1(VALU_DEP_1)
	v_add_co_ci_u32_e64 v17, s1, s2, v17, s1
	v_add_co_u32 v3, s1, s12, v6
	v_add_co_ci_u32_e64 v6, s1, s13, v7, s1
	v_cmp_le_i32_e64 s1, v19, v8
	s_delay_alu instid0(VALU_DEP_3) | instskip(SKIP_1) | instid1(VALU_DEP_4)
	v_add_co_u32 v3, s2, v3, v4
	v_add_nc_u32_e32 v18, v15, v11
	v_add_co_ci_u32_e64 v4, s2, v6, v5, s2
	v_add_nc_u32_e32 v19, 0x800, v15
	v_add_nc_u32_e32 v20, 0x1000, v15
	;; [unrolled: 1-line block ×3, first 2 shown]
	s_and_b32 s8, s0, vcc_lo
	s_mov_b32 s2, 0
	s_and_b32 s8, s8, s1
	s_branch .LBB308_5
.LBB308_4:                              ;   in Loop: Header=BB308_5 Depth=1
	s_or_b32 exec_lo, exec_lo, s1
	s_add_i32 s2, s2, 32
	s_waitcnt_vscnt null, 0x0
	s_cmp_ge_i32 s2, s6
	s_barrier
	buffer_gl0_inv
	s_cbranch_scc1 .LBB308_11
.LBB308_5:                              ; =>This Inner Loop Header: Depth=1
	v_dual_mov_b32 v5, 0 :: v_dual_add_nc_u32 v6, s2, v10
	v_dual_mov_b32 v7, 0 :: v_dual_mov_b32 v8, 0
	s_delay_alu instid0(VALU_DEP_2) | instskip(NEXT) | instid1(VALU_DEP_1)
	v_cmp_gt_i32_e64 s1, s6, v6
	s_and_b32 s1, vcc_lo, s1
	s_delay_alu instid0(SALU_CYCLE_1)
	s_and_saveexec_b32 s9, s1
	s_cbranch_execz .LBB308_7
; %bb.6:                                ;   in Loop: Header=BB308_5 Depth=1
	v_mad_i64_i32 v[7:8], null, v6, s14, 0
	s_delay_alu instid0(VALU_DEP_1) | instskip(NEXT) | instid1(VALU_DEP_1)
	v_lshlrev_b64 v[6:7], 3, v[7:8]
	v_add_co_u32 v6, s1, v13, v6
	s_delay_alu instid0(VALU_DEP_1)
	v_add_co_ci_u32_e64 v7, s1, v14, v7, s1
	global_load_b64 v[7:8], v[6:7], off
.LBB308_7:                              ;   in Loop: Header=BB308_5 Depth=1
	s_or_b32 exec_lo, exec_lo, s9
	v_add_nc_u32_e32 v22, s2, v9
	v_mov_b32_e32 v6, 0
	s_waitcnt vmcnt(0)
	ds_store_b64 v12, v[7:8]
	v_cmp_gt_i32_e64 s1, s6, v22
	s_delay_alu instid0(VALU_DEP_1) | instskip(NEXT) | instid1(SALU_CYCLE_1)
	s_and_b32 s1, s0, s1
	s_and_saveexec_b32 s9, s1
	s_cbranch_execz .LBB308_9
; %bb.8:                                ;   in Loop: Header=BB308_5 Depth=1
	v_mad_i64_i32 v[5:6], null, v22, s18, 0
	s_delay_alu instid0(VALU_DEP_1) | instskip(NEXT) | instid1(VALU_DEP_1)
	v_lshlrev_b64 v[5:6], 3, v[5:6]
	v_add_co_u32 v5, s1, v16, v5
	s_delay_alu instid0(VALU_DEP_1)
	v_add_co_ci_u32_e64 v6, s1, v17, v6, s1
	global_load_b64 v[5:6], v[5:6], off
	s_waitcnt vmcnt(0)
	v_xor_b32_e32 v6, 0x80000000, v6
.LBB308_9:                              ;   in Loop: Header=BB308_5 Depth=1
	s_or_b32 exec_lo, exec_lo, s9
	ds_store_b64 v18, v[5:6]
	s_waitcnt lgkmcnt(0)
	s_barrier
	buffer_gl0_inv
	s_and_saveexec_b32 s1, s8
	s_cbranch_execz .LBB308_4
; %bb.10:                               ;   in Loop: Header=BB308_5 Depth=1
	ds_load_b128 v[5:8], v11
	ds_load_b128 v[22:25], v11 offset:16
	ds_load_b128 v[26:29], v11 offset:32
	;; [unrolled: 1-line block ×3, first 2 shown]
	ds_load_2addr_b64 v[34:37], v15 offset1:32
	s_waitcnt lgkmcnt(0)
	v_mul_f32_e32 v38, v35, v6
	v_mul_f32_e32 v6, v34, v6
	s_delay_alu instid0(VALU_DEP_2) | instskip(NEXT) | instid1(VALU_DEP_2)
	v_fma_f32 v38, v34, v5, -v38
	v_fmac_f32_e32 v6, v35, v5
	v_mul_f32_e32 v34, v37, v8
	s_delay_alu instid0(VALU_DEP_3) | instskip(NEXT) | instid1(VALU_DEP_3)
	v_dual_mul_f32 v8, v36, v8 :: v_dual_add_f32 v5, 0, v38
	v_add_f32_e32 v6, 0, v6
	s_delay_alu instid0(VALU_DEP_3) | instskip(NEXT) | instid1(VALU_DEP_3)
	v_fma_f32 v34, v36, v7, -v34
	v_fmac_f32_e32 v8, v37, v7
	s_delay_alu instid0(VALU_DEP_1) | instskip(SKIP_3) | instid1(VALU_DEP_1)
	v_dual_add_f32 v34, v5, v34 :: v_dual_add_f32 v35, v6, v8
	ds_load_2addr_b64 v[5:8], v15 offset0:64 offset1:96
	s_waitcnt lgkmcnt(0)
	v_mul_f32_e32 v36, v6, v23
	v_fma_f32 v36, v5, v22, -v36
	v_mul_f32_e32 v5, v5, v23
	s_delay_alu instid0(VALU_DEP_1) | instskip(NEXT) | instid1(VALU_DEP_1)
	v_dual_fmac_f32 v5, v6, v22 :: v_dual_mul_f32 v22, v8, v25
	v_add_f32_e32 v5, v35, v5
	s_delay_alu instid0(VALU_DEP_2) | instskip(SKIP_1) | instid1(VALU_DEP_1)
	v_fma_f32 v22, v7, v24, -v22
	v_mul_f32_e32 v7, v7, v25
	v_fmac_f32_e32 v7, v8, v24
	s_delay_alu instid0(VALU_DEP_1) | instskip(NEXT) | instid1(VALU_DEP_1)
	v_dual_add_f32 v6, v34, v36 :: v_dual_add_f32 v23, v5, v7
	v_add_f32_e32 v22, v6, v22
	ds_load_2addr_b64 v[5:8], v15 offset0:128 offset1:160
	s_waitcnt lgkmcnt(0)
	v_mul_f32_e32 v24, v6, v27
	s_delay_alu instid0(VALU_DEP_1) | instskip(SKIP_1) | instid1(VALU_DEP_1)
	v_fma_f32 v24, v5, v26, -v24
	v_mul_f32_e32 v5, v5, v27
	v_fmac_f32_e32 v5, v6, v26
	s_delay_alu instid0(VALU_DEP_1) | instskip(SKIP_1) | instid1(VALU_DEP_1)
	v_dual_add_f32 v5, v23, v5 :: v_dual_add_f32 v6, v22, v24
	v_mul_f32_e32 v22, v8, v29
	v_fma_f32 v22, v7, v28, -v22
	v_mul_f32_e32 v7, v7, v29
	s_delay_alu instid0(VALU_DEP_1) | instskip(NEXT) | instid1(VALU_DEP_1)
	v_fmac_f32_e32 v7, v8, v28
	v_dual_add_f32 v23, v5, v7 :: v_dual_add_f32 v22, v6, v22
	ds_load_2addr_b64 v[5:8], v15 offset0:192 offset1:224
	s_waitcnt lgkmcnt(0)
	v_mul_f32_e32 v24, v6, v31
	s_delay_alu instid0(VALU_DEP_1) | instskip(SKIP_1) | instid1(VALU_DEP_1)
	v_fma_f32 v24, v5, v30, -v24
	v_mul_f32_e32 v5, v5, v31
	v_fmac_f32_e32 v5, v6, v30
	s_delay_alu instid0(VALU_DEP_1) | instskip(SKIP_1) | instid1(VALU_DEP_1)
	v_dual_add_f32 v5, v23, v5 :: v_dual_add_f32 v6, v22, v24
	v_mul_f32_e32 v22, v8, v33
	v_fma_f32 v22, v7, v32, -v22
	v_mul_f32_e32 v7, v7, v33
	s_delay_alu instid0(VALU_DEP_1) | instskip(NEXT) | instid1(VALU_DEP_1)
	v_fmac_f32_e32 v7, v8, v32
	v_dual_add_f32 v27, v5, v7 :: v_dual_add_f32 v26, v6, v22
	ds_load_b128 v[5:8], v11 offset:64
	ds_load_2addr_b64 v[22:25], v19 offset1:32
	s_waitcnt lgkmcnt(0)
	v_mul_f32_e32 v28, v23, v6
	v_mul_f32_e32 v6, v22, v6
	s_delay_alu instid0(VALU_DEP_2) | instskip(SKIP_1) | instid1(VALU_DEP_3)
	v_fma_f32 v28, v22, v5, -v28
	v_mul_f32_e32 v22, v25, v8
	v_fmac_f32_e32 v6, v23, v5
	v_mul_f32_e32 v8, v24, v8
	s_delay_alu instid0(VALU_DEP_4) | instskip(NEXT) | instid1(VALU_DEP_4)
	v_add_f32_e32 v5, v26, v28
	v_fma_f32 v22, v24, v7, -v22
	s_delay_alu instid0(VALU_DEP_3) | instskip(NEXT) | instid1(VALU_DEP_2)
	v_fmac_f32_e32 v8, v25, v7
	v_add_f32_e32 v26, v5, v22
	v_add_f32_e32 v6, v27, v6
	s_delay_alu instid0(VALU_DEP_1)
	v_add_f32_e32 v27, v6, v8
	ds_load_b128 v[5:8], v11 offset:80
	ds_load_2addr_b64 v[22:25], v19 offset0:64 offset1:96
	s_waitcnt lgkmcnt(0)
	v_mul_f32_e32 v28, v23, v6
	v_mul_f32_e32 v6, v22, v6
	s_delay_alu instid0(VALU_DEP_2) | instskip(NEXT) | instid1(VALU_DEP_2)
	v_fma_f32 v28, v22, v5, -v28
	v_fmac_f32_e32 v6, v23, v5
	v_mul_f32_e32 v22, v25, v8
	v_mul_f32_e32 v8, v24, v8
	s_delay_alu instid0(VALU_DEP_3) | instskip(NEXT) | instid1(VALU_DEP_3)
	v_add_f32_e32 v6, v27, v6
	v_fma_f32 v22, v24, v7, -v22
	s_delay_alu instid0(VALU_DEP_3) | instskip(NEXT) | instid1(VALU_DEP_1)
	v_fmac_f32_e32 v8, v25, v7
	v_add_f32_e32 v27, v6, v8
	v_add_f32_e32 v5, v26, v28
	s_delay_alu instid0(VALU_DEP_1)
	v_add_f32_e32 v26, v5, v22
	ds_load_b128 v[5:8], v11 offset:96
	ds_load_2addr_b64 v[22:25], v19 offset0:128 offset1:160
	s_waitcnt lgkmcnt(0)
	v_mul_f32_e32 v28, v23, v6
	v_mul_f32_e32 v6, v22, v6
	s_delay_alu instid0(VALU_DEP_2) | instskip(NEXT) | instid1(VALU_DEP_2)
	v_fma_f32 v28, v22, v5, -v28
	v_fmac_f32_e32 v6, v23, v5
	v_mul_f32_e32 v22, v25, v8
	v_mul_f32_e32 v8, v24, v8
	s_delay_alu instid0(VALU_DEP_3) | instskip(NEXT) | instid1(VALU_DEP_3)
	v_dual_add_f32 v5, v26, v28 :: v_dual_add_f32 v6, v27, v6
	v_fma_f32 v22, v24, v7, -v22
	s_delay_alu instid0(VALU_DEP_3) | instskip(NEXT) | instid1(VALU_DEP_1)
	v_fmac_f32_e32 v8, v25, v7
	v_dual_add_f32 v26, v5, v22 :: v_dual_add_f32 v27, v6, v8
	ds_load_b128 v[5:8], v11 offset:112
	ds_load_2addr_b64 v[22:25], v19 offset0:192 offset1:224
	s_waitcnt lgkmcnt(0)
	v_mul_f32_e32 v28, v23, v6
	v_mul_f32_e32 v6, v22, v6
	s_delay_alu instid0(VALU_DEP_2) | instskip(NEXT) | instid1(VALU_DEP_2)
	v_fma_f32 v28, v22, v5, -v28
	v_fmac_f32_e32 v6, v23, v5
	v_mul_f32_e32 v22, v25, v8
	v_mul_f32_e32 v8, v24, v8
	s_delay_alu instid0(VALU_DEP_3) | instskip(NEXT) | instid1(VALU_DEP_3)
	v_dual_add_f32 v5, v26, v28 :: v_dual_add_f32 v6, v27, v6
	v_fma_f32 v22, v24, v7, -v22
	s_delay_alu instid0(VALU_DEP_3) | instskip(NEXT) | instid1(VALU_DEP_1)
	v_fmac_f32_e32 v8, v25, v7
	v_dual_add_f32 v26, v5, v22 :: v_dual_add_f32 v27, v6, v8
	ds_load_b128 v[5:8], v11 offset:128
	ds_load_2addr_b64 v[22:25], v20 offset1:32
	s_waitcnt lgkmcnt(0)
	v_mul_f32_e32 v28, v23, v6
	v_mul_f32_e32 v6, v22, v6
	s_delay_alu instid0(VALU_DEP_2) | instskip(NEXT) | instid1(VALU_DEP_2)
	v_fma_f32 v28, v22, v5, -v28
	v_fmac_f32_e32 v6, v23, v5
	v_mul_f32_e32 v22, v25, v8
	v_mul_f32_e32 v8, v24, v8
	s_delay_alu instid0(VALU_DEP_3) | instskip(NEXT) | instid1(VALU_DEP_3)
	v_dual_add_f32 v5, v26, v28 :: v_dual_add_f32 v6, v27, v6
	v_fma_f32 v22, v24, v7, -v22
	s_delay_alu instid0(VALU_DEP_3) | instskip(NEXT) | instid1(VALU_DEP_1)
	v_fmac_f32_e32 v8, v25, v7
	v_dual_add_f32 v26, v5, v22 :: v_dual_add_f32 v27, v6, v8
	ds_load_b128 v[5:8], v11 offset:144
	ds_load_2addr_b64 v[22:25], v20 offset0:64 offset1:96
	s_waitcnt lgkmcnt(0)
	v_mul_f32_e32 v28, v23, v6
	v_mul_f32_e32 v6, v22, v6
	s_delay_alu instid0(VALU_DEP_2) | instskip(NEXT) | instid1(VALU_DEP_2)
	v_fma_f32 v28, v22, v5, -v28
	v_fmac_f32_e32 v6, v23, v5
	v_mul_f32_e32 v22, v25, v8
	v_mul_f32_e32 v8, v24, v8
	s_delay_alu instid0(VALU_DEP_3) | instskip(NEXT) | instid1(VALU_DEP_3)
	v_dual_add_f32 v5, v26, v28 :: v_dual_add_f32 v6, v27, v6
	v_fma_f32 v22, v24, v7, -v22
	s_delay_alu instid0(VALU_DEP_3) | instskip(NEXT) | instid1(VALU_DEP_1)
	v_fmac_f32_e32 v8, v25, v7
	v_dual_add_f32 v26, v5, v22 :: v_dual_add_f32 v27, v6, v8
	ds_load_b128 v[5:8], v11 offset:160
	ds_load_2addr_b64 v[22:25], v20 offset0:128 offset1:160
	;; [unrolled: 16-line block ×3, first 2 shown]
	s_waitcnt lgkmcnt(0)
	v_mul_f32_e32 v28, v23, v6
	v_mul_f32_e32 v6, v22, v6
	s_delay_alu instid0(VALU_DEP_2) | instskip(NEXT) | instid1(VALU_DEP_2)
	v_fma_f32 v28, v22, v5, -v28
	v_fmac_f32_e32 v6, v23, v5
	v_mul_f32_e32 v22, v25, v8
	v_mul_f32_e32 v8, v24, v8
	s_delay_alu instid0(VALU_DEP_3) | instskip(NEXT) | instid1(VALU_DEP_3)
	v_dual_add_f32 v5, v26, v28 :: v_dual_add_f32 v6, v27, v6
	v_fma_f32 v22, v24, v7, -v22
	s_delay_alu instid0(VALU_DEP_3) | instskip(NEXT) | instid1(VALU_DEP_1)
	v_fmac_f32_e32 v8, v25, v7
	v_dual_add_f32 v26, v5, v22 :: v_dual_add_f32 v27, v6, v8
	ds_load_b128 v[5:8], v11 offset:192
	ds_load_2addr_b64 v[22:25], v21 offset1:32
	s_waitcnt lgkmcnt(0)
	v_mul_f32_e32 v28, v23, v6
	v_mul_f32_e32 v6, v22, v6
	s_delay_alu instid0(VALU_DEP_2) | instskip(NEXT) | instid1(VALU_DEP_2)
	v_fma_f32 v28, v22, v5, -v28
	v_fmac_f32_e32 v6, v23, v5
	v_mul_f32_e32 v22, v25, v8
	v_mul_f32_e32 v8, v24, v8
	s_delay_alu instid0(VALU_DEP_3) | instskip(NEXT) | instid1(VALU_DEP_3)
	v_dual_add_f32 v5, v26, v28 :: v_dual_add_f32 v6, v27, v6
	v_fma_f32 v22, v24, v7, -v22
	s_delay_alu instid0(VALU_DEP_3) | instskip(NEXT) | instid1(VALU_DEP_1)
	v_fmac_f32_e32 v8, v25, v7
	v_dual_add_f32 v26, v5, v22 :: v_dual_add_f32 v27, v6, v8
	ds_load_b128 v[5:8], v11 offset:208
	ds_load_2addr_b64 v[22:25], v21 offset0:64 offset1:96
	s_waitcnt lgkmcnt(0)
	v_mul_f32_e32 v28, v23, v6
	v_mul_f32_e32 v6, v22, v6
	s_delay_alu instid0(VALU_DEP_2) | instskip(NEXT) | instid1(VALU_DEP_2)
	v_fma_f32 v28, v22, v5, -v28
	v_fmac_f32_e32 v6, v23, v5
	v_mul_f32_e32 v22, v25, v8
	v_mul_f32_e32 v8, v24, v8
	s_delay_alu instid0(VALU_DEP_3) | instskip(NEXT) | instid1(VALU_DEP_3)
	v_dual_add_f32 v5, v26, v28 :: v_dual_add_f32 v6, v27, v6
	v_fma_f32 v22, v24, v7, -v22
	s_delay_alu instid0(VALU_DEP_3) | instskip(NEXT) | instid1(VALU_DEP_1)
	v_fmac_f32_e32 v8, v25, v7
	v_dual_add_f32 v26, v5, v22 :: v_dual_add_f32 v27, v6, v8
	ds_load_b128 v[5:8], v11 offset:224
	ds_load_2addr_b64 v[22:25], v21 offset0:128 offset1:160
	;; [unrolled: 16-line block ×3, first 2 shown]
	s_waitcnt lgkmcnt(0)
	v_mul_f32_e32 v28, v23, v6
	v_mul_f32_e32 v6, v22, v6
	s_delay_alu instid0(VALU_DEP_2) | instskip(NEXT) | instid1(VALU_DEP_2)
	v_fma_f32 v28, v22, v5, -v28
	v_fmac_f32_e32 v6, v23, v5
	v_mul_f32_e32 v22, v25, v8
	v_mul_f32_e32 v8, v24, v8
	s_delay_alu instid0(VALU_DEP_3) | instskip(NEXT) | instid1(VALU_DEP_3)
	v_dual_add_f32 v5, v26, v28 :: v_dual_add_f32 v6, v27, v6
	v_fma_f32 v22, v24, v7, -v22
	s_delay_alu instid0(VALU_DEP_3) | instskip(NEXT) | instid1(VALU_DEP_1)
	v_fmac_f32_e32 v8, v25, v7
	v_dual_add_f32 v7, v5, v22 :: v_dual_add_f32 v6, v6, v8
	s_delay_alu instid0(VALU_DEP_1) | instskip(SKIP_1) | instid1(VALU_DEP_2)
	v_mul_f32_e32 v5, s3, v6
	v_mul_f32_e32 v6, s7, v6
	v_fma_f32 v5, s7, v7, -v5
	s_delay_alu instid0(VALU_DEP_2)
	v_fmac_f32_e32 v6, s3, v7
	global_load_b64 v[7:8], v[3:4], off
	s_waitcnt vmcnt(0)
	v_dual_add_f32 v5, v7, v5 :: v_dual_add_f32 v6, v8, v6
	global_store_b64 v[3:4], v[5:6], off
	s_branch .LBB308_4
.LBB308_11:
	v_cmp_eq_u32_e32 vcc_lo, v0, v2
	v_cmp_gt_i32_e64 s0, s5, v0
	s_delay_alu instid0(VALU_DEP_1) | instskip(NEXT) | instid1(SALU_CYCLE_1)
	s_and_b32 s0, vcc_lo, s0
	s_and_saveexec_b32 s1, s0
	s_cbranch_execz .LBB308_13
; %bb.12:
	v_mad_i64_i32 v[2:3], null, s4, v0, 0
	v_lshlrev_b64 v[0:1], 3, v[0:1]
	s_delay_alu instid0(VALU_DEP_2) | instskip(NEXT) | instid1(VALU_DEP_1)
	v_lshlrev_b64 v[2:3], 3, v[2:3]
	v_add_co_u32 v2, vcc_lo, s12, v2
	s_delay_alu instid0(VALU_DEP_2) | instskip(NEXT) | instid1(VALU_DEP_2)
	v_add_co_ci_u32_e32 v3, vcc_lo, s13, v3, vcc_lo
	v_add_co_u32 v0, vcc_lo, v2, v0
	s_delay_alu instid0(VALU_DEP_2)
	v_add_co_ci_u32_e32 v1, vcc_lo, v3, v1, vcc_lo
	v_mov_b32_e32 v2, 0
	global_store_b32 v[0:1], v2, off offset:4
.LBB308_13:
	s_nop 0
	s_sendmsg sendmsg(MSG_DEALLOC_VGPRS)
	s_endpgm
	.section	.rodata,"a",@progbits
	.p2align	6, 0x0
	.amdhsa_kernel _ZL26rocblas_syr2k_her2k_kernelIiLb0ELb1ELb0ELi32E19rocblas_complex_numIfEPKS1_PS1_EvbiT_T4_T5_S5_lS7_S5_lT6_S5_li
		.amdhsa_group_segment_fixed_size 16384
		.amdhsa_private_segment_fixed_size 0
		.amdhsa_kernarg_size 100
		.amdhsa_user_sgpr_count 13
		.amdhsa_user_sgpr_dispatch_ptr 0
		.amdhsa_user_sgpr_queue_ptr 0
		.amdhsa_user_sgpr_kernarg_segment_ptr 1
		.amdhsa_user_sgpr_dispatch_id 0
		.amdhsa_user_sgpr_private_segment_size 0
		.amdhsa_wavefront_size32 1
		.amdhsa_uses_dynamic_stack 0
		.amdhsa_enable_private_segment 0
		.amdhsa_system_sgpr_workgroup_id_x 1
		.amdhsa_system_sgpr_workgroup_id_y 1
		.amdhsa_system_sgpr_workgroup_id_z 1
		.amdhsa_system_sgpr_workgroup_info 0
		.amdhsa_system_vgpr_workitem_id 1
		.amdhsa_next_free_vgpr 39
		.amdhsa_next_free_sgpr 22
		.amdhsa_reserve_vcc 1
		.amdhsa_float_round_mode_32 0
		.amdhsa_float_round_mode_16_64 0
		.amdhsa_float_denorm_mode_32 3
		.amdhsa_float_denorm_mode_16_64 3
		.amdhsa_dx10_clamp 1
		.amdhsa_ieee_mode 1
		.amdhsa_fp16_overflow 0
		.amdhsa_workgroup_processor_mode 1
		.amdhsa_memory_ordered 1
		.amdhsa_forward_progress 0
		.amdhsa_shared_vgpr_count 0
		.amdhsa_exception_fp_ieee_invalid_op 0
		.amdhsa_exception_fp_denorm_src 0
		.amdhsa_exception_fp_ieee_div_zero 0
		.amdhsa_exception_fp_ieee_overflow 0
		.amdhsa_exception_fp_ieee_underflow 0
		.amdhsa_exception_fp_ieee_inexact 0
		.amdhsa_exception_int_div_zero 0
	.end_amdhsa_kernel
	.section	.text._ZL26rocblas_syr2k_her2k_kernelIiLb0ELb1ELb0ELi32E19rocblas_complex_numIfEPKS1_PS1_EvbiT_T4_T5_S5_lS7_S5_lT6_S5_li,"axG",@progbits,_ZL26rocblas_syr2k_her2k_kernelIiLb0ELb1ELb0ELi32E19rocblas_complex_numIfEPKS1_PS1_EvbiT_T4_T5_S5_lS7_S5_lT6_S5_li,comdat
.Lfunc_end308:
	.size	_ZL26rocblas_syr2k_her2k_kernelIiLb0ELb1ELb0ELi32E19rocblas_complex_numIfEPKS1_PS1_EvbiT_T4_T5_S5_lS7_S5_lT6_S5_li, .Lfunc_end308-_ZL26rocblas_syr2k_her2k_kernelIiLb0ELb1ELb0ELi32E19rocblas_complex_numIfEPKS1_PS1_EvbiT_T4_T5_S5_lS7_S5_lT6_S5_li
                                        ; -- End function
	.section	.AMDGPU.csdata,"",@progbits
; Kernel info:
; codeLenInByte = 2380
; NumSgprs: 24
; NumVgprs: 39
; ScratchSize: 0
; MemoryBound: 0
; FloatMode: 240
; IeeeMode: 1
; LDSByteSize: 16384 bytes/workgroup (compile time only)
; SGPRBlocks: 2
; VGPRBlocks: 4
; NumSGPRsForWavesPerEU: 24
; NumVGPRsForWavesPerEU: 39
; Occupancy: 16
; WaveLimiterHint : 0
; COMPUTE_PGM_RSRC2:SCRATCH_EN: 0
; COMPUTE_PGM_RSRC2:USER_SGPR: 13
; COMPUTE_PGM_RSRC2:TRAP_HANDLER: 0
; COMPUTE_PGM_RSRC2:TGID_X_EN: 1
; COMPUTE_PGM_RSRC2:TGID_Y_EN: 1
; COMPUTE_PGM_RSRC2:TGID_Z_EN: 1
; COMPUTE_PGM_RSRC2:TIDIG_COMP_CNT: 1
	.section	.text._ZL26rocblas_syr2k_her2k_kernelIiLb0ELb1ELb1ELi32E19rocblas_complex_numIfEPKS1_PS1_EvbiT_T4_T5_S5_lS7_S5_lT6_S5_li,"axG",@progbits,_ZL26rocblas_syr2k_her2k_kernelIiLb0ELb1ELb1ELi32E19rocblas_complex_numIfEPKS1_PS1_EvbiT_T4_T5_S5_lS7_S5_lT6_S5_li,comdat
	.globl	_ZL26rocblas_syr2k_her2k_kernelIiLb0ELb1ELb1ELi32E19rocblas_complex_numIfEPKS1_PS1_EvbiT_T4_T5_S5_lS7_S5_lT6_S5_li ; -- Begin function _ZL26rocblas_syr2k_her2k_kernelIiLb0ELb1ELb1ELi32E19rocblas_complex_numIfEPKS1_PS1_EvbiT_T4_T5_S5_lS7_S5_lT6_S5_li
	.p2align	8
	.type	_ZL26rocblas_syr2k_her2k_kernelIiLb0ELb1ELb1ELi32E19rocblas_complex_numIfEPKS1_PS1_EvbiT_T4_T5_S5_lS7_S5_lT6_S5_li,@function
_ZL26rocblas_syr2k_her2k_kernelIiLb0ELb1ELb1ELi32E19rocblas_complex_numIfEPKS1_PS1_EvbiT_T4_T5_S5_lS7_S5_lT6_S5_li: ; @_ZL26rocblas_syr2k_her2k_kernelIiLb0ELb1ELb1ELi32E19rocblas_complex_numIfEPKS1_PS1_EvbiT_T4_T5_S5_lS7_S5_lT6_S5_li
; %bb.0:
	s_clause 0x1
	s_load_b128 s[4:7], s[0:1], 0x0
	s_load_b32 s3, s[0:1], 0x10
	s_waitcnt lgkmcnt(0)
	v_cmp_eq_f32_e64 s2, s7, 0
	v_cmp_eq_f32_e64 s8, s3, 0
	s_delay_alu instid0(VALU_DEP_1) | instskip(NEXT) | instid1(SALU_CYCLE_1)
	s_and_b32 s2, s2, s8
	s_and_b32 vcc_lo, exec_lo, s2
	s_cbranch_vccnz .LBB309_13
; %bb.1:
	s_and_b32 s2, 1, s4
	s_lshl_b32 s8, s14, 5
	s_lshl_b32 s9, s13, 5
	s_cmp_eq_u32 s2, 1
	s_cselect_b32 s2, -1, 0
	s_delay_alu instid0(SALU_CYCLE_1) | instskip(SKIP_2) | instid1(SALU_CYCLE_1)
	s_and_b32 s4, s2, exec_lo
	s_cselect_b32 s4, s9, s8
	s_cselect_b32 s10, s8, s9
	s_cmp_gt_i32 s4, s10
	s_cbranch_scc1 .LBB309_13
; %bb.2:
	s_clause 0x2
	s_load_b64 s[10:11], s[0:1], 0x58
	s_load_b128 s[16:19], s[0:1], 0x40
	s_load_b32 s4, s[0:1], 0x50
	v_and_b32_e32 v10, 0x3ff, v0
	v_bfe_u32 v11, v0, 10, 10
	s_delay_alu instid0(VALU_DEP_2) | instskip(NEXT) | instid1(VALU_DEP_2)
	v_add_nc_u32_e32 v0, s9, v10
	v_add_nc_u32_e32 v12, s8, v11
	s_delay_alu instid0(VALU_DEP_2)
	v_cmp_gt_i32_e32 vcc_lo, s5, v0
	v_ashrrev_i32_e32 v1, 31, v0
	s_waitcnt lgkmcnt(0)
	s_mul_i32 s9, s15, s11
	s_mul_hi_u32 s11, s15, s10
	s_mul_i32 s10, s15, s10
	s_add_i32 s11, s11, s9
	s_delay_alu instid0(SALU_CYCLE_1) | instskip(NEXT) | instid1(SALU_CYCLE_1)
	s_lshl_b64 s[8:9], s[10:11], 3
	s_add_u32 s12, s18, s8
	s_addc_u32 s13, s19, s9
	s_cmp_lt_i32 s6, 1
	s_cbranch_scc1 .LBB309_11
; %bb.3:
	s_clause 0x3
	s_load_b128 s[8:11], s[0:1], 0x28
	s_load_b32 s18, s[0:1], 0x20
	s_load_b32 s19, s[0:1], 0x38
	s_load_b64 s[0:1], s[0:1], 0x18
	v_cndmask_b32_e64 v8, v0, v12, s2
	v_cndmask_b32_e64 v9, v12, v0, s2
	v_mad_i64_i32 v[2:3], null, s4, v12, 0
	s_mul_i32 s17, s15, s17
	s_mul_hi_u32 s20, s15, s16
	s_mul_i32 s14, s15, s16
	v_lshlrev_b32_e32 v17, 3, v11
	v_lshlrev_b32_e32 v13, 8, v10
	s_delay_alu instid0(VALU_DEP_3) | instskip(NEXT) | instid1(VALU_DEP_2)
	v_lshlrev_b64 v[2:3], 3, v[2:3]
	v_add_nc_u32_e32 v14, v13, v17
	v_or_b32_e32 v17, 0x2000, v17
	s_waitcnt lgkmcnt(0)
	s_mul_i32 s2, s15, s9
	v_mad_i64_i32 v[4:5], null, s18, v0, 0
	v_mad_i64_i32 v[6:7], null, s19, v12, 0
	s_mul_hi_u32 s9, s15, s8
	s_mul_i32 s8, s15, s8
	s_add_i32 s9, s9, s2
	v_add_nc_u32_e32 v20, v17, v13
	s_lshl_b64 s[8:9], s[8:9], 3
	s_delay_alu instid0(VALU_DEP_3)
	v_lshlrev_b64 v[4:5], 3, v[4:5]
	s_add_u32 s2, s0, s8
	s_addc_u32 s8, s1, s9
	s_add_i32 s15, s20, s17
	v_lshlrev_b64 v[6:7], 3, v[6:7]
	s_lshl_b64 s[0:1], s[14:15], 3
	v_add_nc_u32_e32 v21, 0x800, v17
	s_add_u32 s9, s10, s0
	s_addc_u32 s10, s11, s1
	v_add_co_u32 v15, s0, s2, v4
	v_add_co_u32 v18, s1, s9, v6
	v_add_co_ci_u32_e64 v16, s0, s8, v5, s0
	v_add_co_ci_u32_e64 v19, s1, s10, v7, s1
	v_lshlrev_b64 v[4:5], 3, v[0:1]
	v_add_co_u32 v2, s1, s12, v2
	s_delay_alu instid0(VALU_DEP_1) | instskip(SKIP_2) | instid1(VALU_DEP_4)
	v_add_co_ci_u32_e64 v3, s1, s13, v3, s1
	v_cmp_gt_i32_e64 s0, s5, v12
	v_cmp_le_i32_e64 s1, v9, v8
	v_add_co_u32 v2, s2, v2, v4
	s_delay_alu instid0(VALU_DEP_1)
	v_add_co_ci_u32_e64 v3, s2, v3, v5, s2
	v_add_nc_u32_e32 v22, 0x1000, v17
	v_add_nc_u32_e32 v23, 0x1800, v17
	s_and_b32 s8, s0, vcc_lo
	s_mov_b32 s2, 0
	s_and_b32 s8, s8, s1
	s_branch .LBB309_5
.LBB309_4:                              ;   in Loop: Header=BB309_5 Depth=1
	s_or_b32 exec_lo, exec_lo, s1
	s_add_i32 s2, s2, 32
	s_waitcnt_vscnt null, 0x0
	s_cmp_ge_i32 s2, s6
	s_barrier
	buffer_gl0_inv
	s_cbranch_scc1 .LBB309_11
.LBB309_5:                              ; =>This Inner Loop Header: Depth=1
	v_dual_mov_b32 v4, 0 :: v_dual_add_nc_u32 v5, s2, v11
	v_dual_mov_b32 v6, 0 :: v_dual_mov_b32 v7, 0
	s_delay_alu instid0(VALU_DEP_2) | instskip(NEXT) | instid1(VALU_DEP_1)
	v_cmp_gt_i32_e64 s1, s6, v5
	s_and_b32 s1, vcc_lo, s1
	s_delay_alu instid0(SALU_CYCLE_1)
	s_and_saveexec_b32 s9, s1
	s_cbranch_execz .LBB309_7
; %bb.6:                                ;   in Loop: Header=BB309_5 Depth=1
	v_ashrrev_i32_e32 v6, 31, v5
	s_delay_alu instid0(VALU_DEP_1) | instskip(NEXT) | instid1(VALU_DEP_1)
	v_lshlrev_b64 v[5:6], 3, v[5:6]
	v_add_co_u32 v5, s1, v15, v5
	s_delay_alu instid0(VALU_DEP_1)
	v_add_co_ci_u32_e64 v6, s1, v16, v6, s1
	global_load_b64 v[6:7], v[5:6], off
	s_waitcnt vmcnt(0)
	v_xor_b32_e32 v7, 0x80000000, v7
.LBB309_7:                              ;   in Loop: Header=BB309_5 Depth=1
	s_or_b32 exec_lo, exec_lo, s9
	v_dual_mov_b32 v5, 0 :: v_dual_add_nc_u32 v8, s2, v10
	ds_store_b64 v14, v[6:7]
	v_cmp_gt_i32_e64 s1, s6, v8
	s_delay_alu instid0(VALU_DEP_1) | instskip(NEXT) | instid1(SALU_CYCLE_1)
	s_and_b32 s1, s0, s1
	s_and_saveexec_b32 s9, s1
	s_cbranch_execz .LBB309_9
; %bb.8:                                ;   in Loop: Header=BB309_5 Depth=1
	v_ashrrev_i32_e32 v9, 31, v8
	s_delay_alu instid0(VALU_DEP_1) | instskip(NEXT) | instid1(VALU_DEP_1)
	v_lshlrev_b64 v[4:5], 3, v[8:9]
	v_add_co_u32 v4, s1, v18, v4
	s_delay_alu instid0(VALU_DEP_1)
	v_add_co_ci_u32_e64 v5, s1, v19, v5, s1
	global_load_b64 v[4:5], v[4:5], off
.LBB309_9:                              ;   in Loop: Header=BB309_5 Depth=1
	s_or_b32 exec_lo, exec_lo, s9
	s_waitcnt vmcnt(0)
	ds_store_b64 v20, v[4:5]
	s_waitcnt lgkmcnt(0)
	s_barrier
	buffer_gl0_inv
	s_and_saveexec_b32 s1, s8
	s_cbranch_execz .LBB309_4
; %bb.10:                               ;   in Loop: Header=BB309_5 Depth=1
	ds_load_b128 v[4:7], v13
	ds_load_b128 v[24:27], v13 offset:16
	ds_load_b128 v[28:31], v13 offset:32
	;; [unrolled: 1-line block ×3, first 2 shown]
	ds_load_2addr_b64 v[36:39], v17 offset1:32
	s_waitcnt lgkmcnt(0)
	v_mul_f32_e32 v8, v37, v5
	s_delay_alu instid0(VALU_DEP_1) | instskip(SKIP_1) | instid1(VALU_DEP_1)
	v_fma_f32 v8, v36, v4, -v8
	v_mul_f32_e32 v5, v36, v5
	v_fmac_f32_e32 v5, v37, v4
	s_delay_alu instid0(VALU_DEP_3) | instskip(SKIP_2) | instid1(VALU_DEP_2)
	v_add_f32_e32 v4, 0, v8
	v_mul_f32_e32 v8, v39, v7
	v_mul_f32_e32 v7, v38, v7
	v_fma_f32 v8, v38, v6, -v8
	v_add_f32_e32 v5, 0, v5
	s_delay_alu instid0(VALU_DEP_2) | instskip(NEXT) | instid1(VALU_DEP_1)
	v_dual_fmac_f32 v7, v39, v6 :: v_dual_add_f32 v8, v4, v8
	v_add_f32_e32 v9, v5, v7
	ds_load_2addr_b64 v[4:7], v17 offset0:64 offset1:96
	s_waitcnt lgkmcnt(0)
	v_mul_f32_e32 v36, v5, v25
	s_delay_alu instid0(VALU_DEP_1) | instskip(SKIP_1) | instid1(VALU_DEP_1)
	v_fma_f32 v36, v4, v24, -v36
	v_mul_f32_e32 v4, v4, v25
	v_fmac_f32_e32 v4, v5, v24
	s_delay_alu instid0(VALU_DEP_3) | instskip(NEXT) | instid1(VALU_DEP_2)
	v_dual_add_f32 v5, v8, v36 :: v_dual_mul_f32 v8, v7, v27
	v_add_f32_e32 v4, v9, v4
	s_delay_alu instid0(VALU_DEP_2) | instskip(NEXT) | instid1(VALU_DEP_1)
	v_fma_f32 v8, v6, v26, -v8
	v_add_f32_e32 v8, v5, v8
	v_mul_f32_e32 v6, v6, v27
	s_delay_alu instid0(VALU_DEP_1) | instskip(NEXT) | instid1(VALU_DEP_1)
	v_fmac_f32_e32 v6, v7, v26
	v_add_f32_e32 v9, v4, v6
	ds_load_2addr_b64 v[4:7], v17 offset0:128 offset1:160
	s_waitcnt lgkmcnt(0)
	v_mul_f32_e32 v24, v5, v29
	s_delay_alu instid0(VALU_DEP_1) | instskip(SKIP_1) | instid1(VALU_DEP_1)
	v_fma_f32 v24, v4, v28, -v24
	v_mul_f32_e32 v4, v4, v29
	v_fmac_f32_e32 v4, v5, v28
	s_delay_alu instid0(VALU_DEP_3) | instskip(NEXT) | instid1(VALU_DEP_2)
	v_dual_add_f32 v5, v8, v24 :: v_dual_mul_f32 v8, v7, v31
	v_add_f32_e32 v4, v9, v4
	s_delay_alu instid0(VALU_DEP_2) | instskip(SKIP_1) | instid1(VALU_DEP_2)
	v_fma_f32 v8, v6, v30, -v8
	v_mul_f32_e32 v6, v6, v31
	v_add_f32_e32 v8, v5, v8
	s_delay_alu instid0(VALU_DEP_2) | instskip(NEXT) | instid1(VALU_DEP_1)
	v_fmac_f32_e32 v6, v7, v30
	v_add_f32_e32 v9, v4, v6
	ds_load_2addr_b64 v[4:7], v17 offset0:192 offset1:224
	s_waitcnt lgkmcnt(0)
	v_mul_f32_e32 v24, v5, v33
	s_delay_alu instid0(VALU_DEP_1) | instskip(SKIP_1) | instid1(VALU_DEP_1)
	v_fma_f32 v24, v4, v32, -v24
	v_mul_f32_e32 v4, v4, v33
	v_fmac_f32_e32 v4, v5, v32
	s_delay_alu instid0(VALU_DEP_3) | instskip(NEXT) | instid1(VALU_DEP_2)
	v_dual_add_f32 v5, v8, v24 :: v_dual_mul_f32 v8, v7, v35
	v_add_f32_e32 v4, v9, v4
	s_delay_alu instid0(VALU_DEP_2) | instskip(SKIP_1) | instid1(VALU_DEP_2)
	v_fma_f32 v8, v6, v34, -v8
	v_mul_f32_e32 v6, v6, v35
	v_add_f32_e32 v8, v5, v8
	s_delay_alu instid0(VALU_DEP_2) | instskip(NEXT) | instid1(VALU_DEP_1)
	v_fmac_f32_e32 v6, v7, v34
	v_add_f32_e32 v9, v4, v6
	ds_load_b128 v[4:7], v13 offset:64
	ds_load_2addr_b64 v[24:27], v21 offset1:32
	s_waitcnt lgkmcnt(0)
	v_mul_f32_e32 v28, v25, v5
	v_mul_f32_e32 v5, v24, v5
	s_delay_alu instid0(VALU_DEP_2) | instskip(NEXT) | instid1(VALU_DEP_2)
	v_fma_f32 v28, v24, v4, -v28
	v_fmac_f32_e32 v5, v25, v4
	s_delay_alu instid0(VALU_DEP_2) | instskip(SKIP_2) | instid1(VALU_DEP_4)
	v_add_f32_e32 v4, v8, v28
	v_mul_f32_e32 v8, v27, v7
	v_mul_f32_e32 v7, v26, v7
	v_add_f32_e32 v5, v9, v5
	s_delay_alu instid0(VALU_DEP_3) | instskip(NEXT) | instid1(VALU_DEP_1)
	v_fma_f32 v8, v26, v6, -v8
	v_dual_fmac_f32 v7, v27, v6 :: v_dual_add_f32 v8, v4, v8
	s_delay_alu instid0(VALU_DEP_1)
	v_add_f32_e32 v9, v5, v7
	ds_load_b128 v[4:7], v13 offset:80
	ds_load_2addr_b64 v[24:27], v21 offset0:64 offset1:96
	s_waitcnt lgkmcnt(0)
	v_mul_f32_e32 v28, v25, v5
	v_mul_f32_e32 v5, v24, v5
	s_delay_alu instid0(VALU_DEP_2) | instskip(NEXT) | instid1(VALU_DEP_2)
	v_fma_f32 v28, v24, v4, -v28
	v_fmac_f32_e32 v5, v25, v4
	s_delay_alu instid0(VALU_DEP_2) | instskip(SKIP_2) | instid1(VALU_DEP_4)
	v_add_f32_e32 v4, v8, v28
	v_mul_f32_e32 v8, v27, v7
	v_mul_f32_e32 v7, v26, v7
	v_add_f32_e32 v5, v9, v5
	s_delay_alu instid0(VALU_DEP_3) | instskip(NEXT) | instid1(VALU_DEP_1)
	v_fma_f32 v8, v26, v6, -v8
	v_dual_fmac_f32 v7, v27, v6 :: v_dual_add_f32 v8, v4, v8
	s_delay_alu instid0(VALU_DEP_1)
	v_add_f32_e32 v9, v5, v7
	ds_load_b128 v[4:7], v13 offset:96
	ds_load_2addr_b64 v[24:27], v21 offset0:128 offset1:160
	;; [unrolled: 18-line block ×3, first 2 shown]
	s_waitcnt lgkmcnt(0)
	v_mul_f32_e32 v28, v25, v5
	v_mul_f32_e32 v5, v24, v5
	s_delay_alu instid0(VALU_DEP_2) | instskip(NEXT) | instid1(VALU_DEP_2)
	v_fma_f32 v28, v24, v4, -v28
	v_fmac_f32_e32 v5, v25, v4
	s_delay_alu instid0(VALU_DEP_2) | instskip(SKIP_2) | instid1(VALU_DEP_4)
	v_add_f32_e32 v4, v8, v28
	v_mul_f32_e32 v8, v27, v7
	v_mul_f32_e32 v7, v26, v7
	v_add_f32_e32 v5, v9, v5
	s_delay_alu instid0(VALU_DEP_3) | instskip(NEXT) | instid1(VALU_DEP_1)
	v_fma_f32 v8, v26, v6, -v8
	v_dual_fmac_f32 v7, v27, v6 :: v_dual_add_f32 v8, v4, v8
	s_delay_alu instid0(VALU_DEP_1)
	v_add_f32_e32 v9, v5, v7
	ds_load_b128 v[4:7], v13 offset:128
	ds_load_2addr_b64 v[24:27], v22 offset1:32
	s_waitcnt lgkmcnt(0)
	v_mul_f32_e32 v28, v25, v5
	v_mul_f32_e32 v5, v24, v5
	s_delay_alu instid0(VALU_DEP_2) | instskip(NEXT) | instid1(VALU_DEP_2)
	v_fma_f32 v28, v24, v4, -v28
	v_fmac_f32_e32 v5, v25, v4
	s_delay_alu instid0(VALU_DEP_2) | instskip(SKIP_2) | instid1(VALU_DEP_4)
	v_add_f32_e32 v4, v8, v28
	v_mul_f32_e32 v8, v27, v7
	v_mul_f32_e32 v7, v26, v7
	v_add_f32_e32 v5, v9, v5
	s_delay_alu instid0(VALU_DEP_3) | instskip(NEXT) | instid1(VALU_DEP_1)
	v_fma_f32 v8, v26, v6, -v8
	v_dual_fmac_f32 v7, v27, v6 :: v_dual_add_f32 v8, v4, v8
	s_delay_alu instid0(VALU_DEP_1)
	v_add_f32_e32 v9, v5, v7
	ds_load_b128 v[4:7], v13 offset:144
	ds_load_2addr_b64 v[24:27], v22 offset0:64 offset1:96
	s_waitcnt lgkmcnt(0)
	v_mul_f32_e32 v28, v25, v5
	v_mul_f32_e32 v5, v24, v5
	s_delay_alu instid0(VALU_DEP_2) | instskip(NEXT) | instid1(VALU_DEP_2)
	v_fma_f32 v28, v24, v4, -v28
	v_fmac_f32_e32 v5, v25, v4
	s_delay_alu instid0(VALU_DEP_2) | instskip(SKIP_2) | instid1(VALU_DEP_4)
	v_add_f32_e32 v4, v8, v28
	v_mul_f32_e32 v8, v27, v7
	v_mul_f32_e32 v7, v26, v7
	v_add_f32_e32 v5, v9, v5
	s_delay_alu instid0(VALU_DEP_3) | instskip(NEXT) | instid1(VALU_DEP_1)
	v_fma_f32 v8, v26, v6, -v8
	v_dual_fmac_f32 v7, v27, v6 :: v_dual_add_f32 v8, v4, v8
	s_delay_alu instid0(VALU_DEP_1)
	v_add_f32_e32 v9, v5, v7
	ds_load_b128 v[4:7], v13 offset:160
	ds_load_2addr_b64 v[24:27], v22 offset0:128 offset1:160
	;; [unrolled: 18-line block ×3, first 2 shown]
	s_waitcnt lgkmcnt(0)
	v_mul_f32_e32 v28, v25, v5
	v_mul_f32_e32 v5, v24, v5
	s_delay_alu instid0(VALU_DEP_2) | instskip(NEXT) | instid1(VALU_DEP_2)
	v_fma_f32 v28, v24, v4, -v28
	v_fmac_f32_e32 v5, v25, v4
	s_delay_alu instid0(VALU_DEP_1) | instskip(SKIP_2) | instid1(VALU_DEP_2)
	v_dual_add_f32 v5, v9, v5 :: v_dual_add_f32 v4, v8, v28
	v_mul_f32_e32 v8, v27, v7
	v_mul_f32_e32 v7, v26, v7
	v_fma_f32 v8, v26, v6, -v8
	s_delay_alu instid0(VALU_DEP_2) | instskip(NEXT) | instid1(VALU_DEP_1)
	v_fmac_f32_e32 v7, v27, v6
	v_dual_add_f32 v9, v5, v7 :: v_dual_add_f32 v8, v4, v8
	ds_load_b128 v[4:7], v13 offset:192
	ds_load_2addr_b64 v[24:27], v23 offset1:32
	s_waitcnt lgkmcnt(0)
	v_mul_f32_e32 v28, v25, v5
	v_mul_f32_e32 v5, v24, v5
	s_delay_alu instid0(VALU_DEP_2) | instskip(NEXT) | instid1(VALU_DEP_2)
	v_fma_f32 v28, v24, v4, -v28
	v_fmac_f32_e32 v5, v25, v4
	s_delay_alu instid0(VALU_DEP_1) | instskip(SKIP_2) | instid1(VALU_DEP_2)
	v_dual_add_f32 v5, v9, v5 :: v_dual_add_f32 v4, v8, v28
	v_mul_f32_e32 v8, v27, v7
	v_mul_f32_e32 v7, v26, v7
	v_fma_f32 v8, v26, v6, -v8
	s_delay_alu instid0(VALU_DEP_2) | instskip(NEXT) | instid1(VALU_DEP_1)
	v_fmac_f32_e32 v7, v27, v6
	v_dual_add_f32 v9, v5, v7 :: v_dual_add_f32 v8, v4, v8
	ds_load_b128 v[4:7], v13 offset:208
	ds_load_2addr_b64 v[24:27], v23 offset0:64 offset1:96
	s_waitcnt lgkmcnt(0)
	v_mul_f32_e32 v28, v25, v5
	v_mul_f32_e32 v5, v24, v5
	s_delay_alu instid0(VALU_DEP_2) | instskip(NEXT) | instid1(VALU_DEP_2)
	v_fma_f32 v28, v24, v4, -v28
	v_fmac_f32_e32 v5, v25, v4
	s_delay_alu instid0(VALU_DEP_1) | instskip(SKIP_2) | instid1(VALU_DEP_2)
	v_dual_add_f32 v5, v9, v5 :: v_dual_add_f32 v4, v8, v28
	v_mul_f32_e32 v8, v27, v7
	v_mul_f32_e32 v7, v26, v7
	v_fma_f32 v8, v26, v6, -v8
	s_delay_alu instid0(VALU_DEP_1) | instskip(NEXT) | instid1(VALU_DEP_1)
	v_dual_fmac_f32 v7, v27, v6 :: v_dual_add_f32 v8, v4, v8
	v_add_f32_e32 v9, v5, v7
	ds_load_b128 v[4:7], v13 offset:224
	ds_load_2addr_b64 v[24:27], v23 offset0:128 offset1:160
	s_waitcnt lgkmcnt(0)
	v_mul_f32_e32 v28, v25, v5
	v_mul_f32_e32 v5, v24, v5
	s_delay_alu instid0(VALU_DEP_2) | instskip(NEXT) | instid1(VALU_DEP_2)
	v_fma_f32 v28, v24, v4, -v28
	v_fmac_f32_e32 v5, v25, v4
	s_delay_alu instid0(VALU_DEP_1) | instskip(SKIP_2) | instid1(VALU_DEP_2)
	v_dual_add_f32 v4, v8, v28 :: v_dual_add_f32 v5, v9, v5
	v_mul_f32_e32 v8, v27, v7
	v_mul_f32_e32 v7, v26, v7
	v_fma_f32 v8, v26, v6, -v8
	s_delay_alu instid0(VALU_DEP_1) | instskip(NEXT) | instid1(VALU_DEP_1)
	v_dual_fmac_f32 v7, v27, v6 :: v_dual_add_f32 v8, v4, v8
	v_add_f32_e32 v9, v5, v7
	ds_load_b128 v[4:7], v13 offset:240
	ds_load_2addr_b64 v[24:27], v23 offset0:192 offset1:224
	s_waitcnt lgkmcnt(0)
	v_mul_f32_e32 v28, v25, v5
	v_mul_f32_e32 v5, v24, v5
	s_delay_alu instid0(VALU_DEP_2) | instskip(NEXT) | instid1(VALU_DEP_2)
	v_fma_f32 v28, v24, v4, -v28
	v_fmac_f32_e32 v5, v25, v4
	s_delay_alu instid0(VALU_DEP_2) | instskip(SKIP_2) | instid1(VALU_DEP_2)
	v_add_f32_e32 v4, v8, v28
	v_mul_f32_e32 v8, v27, v7
	v_mul_f32_e32 v7, v26, v7
	v_fma_f32 v8, v26, v6, -v8
	v_add_f32_e32 v5, v9, v5
	s_delay_alu instid0(VALU_DEP_2) | instskip(NEXT) | instid1(VALU_DEP_1)
	v_dual_fmac_f32 v7, v27, v6 :: v_dual_add_f32 v6, v4, v8
	v_add_f32_e32 v5, v5, v7
	s_delay_alu instid0(VALU_DEP_1) | instskip(SKIP_1) | instid1(VALU_DEP_2)
	v_mul_f32_e32 v4, s3, v5
	v_mul_f32_e32 v5, s7, v5
	v_fma_f32 v4, s7, v6, -v4
	s_delay_alu instid0(VALU_DEP_2)
	v_fmac_f32_e32 v5, s3, v6
	global_load_b64 v[6:7], v[2:3], off
	s_waitcnt vmcnt(0)
	v_dual_add_f32 v4, v6, v4 :: v_dual_add_f32 v5, v7, v5
	global_store_b64 v[2:3], v[4:5], off
	s_branch .LBB309_4
.LBB309_11:
	v_cmp_eq_u32_e32 vcc_lo, v0, v12
	v_cmp_gt_i32_e64 s0, s5, v0
	s_delay_alu instid0(VALU_DEP_1) | instskip(NEXT) | instid1(SALU_CYCLE_1)
	s_and_b32 s0, vcc_lo, s0
	s_and_saveexec_b32 s1, s0
	s_cbranch_execz .LBB309_13
; %bb.12:
	v_mad_i64_i32 v[2:3], null, s4, v0, 0
	v_lshlrev_b64 v[0:1], 3, v[0:1]
	s_delay_alu instid0(VALU_DEP_2) | instskip(NEXT) | instid1(VALU_DEP_1)
	v_lshlrev_b64 v[2:3], 3, v[2:3]
	v_add_co_u32 v2, vcc_lo, s12, v2
	s_delay_alu instid0(VALU_DEP_2) | instskip(NEXT) | instid1(VALU_DEP_2)
	v_add_co_ci_u32_e32 v3, vcc_lo, s13, v3, vcc_lo
	v_add_co_u32 v0, vcc_lo, v2, v0
	s_delay_alu instid0(VALU_DEP_2)
	v_add_co_ci_u32_e32 v1, vcc_lo, v3, v1, vcc_lo
	v_mov_b32_e32 v2, 0
	global_store_b32 v[0:1], v2, off offset:4
.LBB309_13:
	s_nop 0
	s_sendmsg sendmsg(MSG_DEALLOC_VGPRS)
	s_endpgm
	.section	.rodata,"a",@progbits
	.p2align	6, 0x0
	.amdhsa_kernel _ZL26rocblas_syr2k_her2k_kernelIiLb0ELb1ELb1ELi32E19rocblas_complex_numIfEPKS1_PS1_EvbiT_T4_T5_S5_lS7_S5_lT6_S5_li
		.amdhsa_group_segment_fixed_size 16384
		.amdhsa_private_segment_fixed_size 0
		.amdhsa_kernarg_size 100
		.amdhsa_user_sgpr_count 13
		.amdhsa_user_sgpr_dispatch_ptr 0
		.amdhsa_user_sgpr_queue_ptr 0
		.amdhsa_user_sgpr_kernarg_segment_ptr 1
		.amdhsa_user_sgpr_dispatch_id 0
		.amdhsa_user_sgpr_private_segment_size 0
		.amdhsa_wavefront_size32 1
		.amdhsa_uses_dynamic_stack 0
		.amdhsa_enable_private_segment 0
		.amdhsa_system_sgpr_workgroup_id_x 1
		.amdhsa_system_sgpr_workgroup_id_y 1
		.amdhsa_system_sgpr_workgroup_id_z 1
		.amdhsa_system_sgpr_workgroup_info 0
		.amdhsa_system_vgpr_workitem_id 1
		.amdhsa_next_free_vgpr 40
		.amdhsa_next_free_sgpr 21
		.amdhsa_reserve_vcc 1
		.amdhsa_float_round_mode_32 0
		.amdhsa_float_round_mode_16_64 0
		.amdhsa_float_denorm_mode_32 3
		.amdhsa_float_denorm_mode_16_64 3
		.amdhsa_dx10_clamp 1
		.amdhsa_ieee_mode 1
		.amdhsa_fp16_overflow 0
		.amdhsa_workgroup_processor_mode 1
		.amdhsa_memory_ordered 1
		.amdhsa_forward_progress 0
		.amdhsa_shared_vgpr_count 0
		.amdhsa_exception_fp_ieee_invalid_op 0
		.amdhsa_exception_fp_denorm_src 0
		.amdhsa_exception_fp_ieee_div_zero 0
		.amdhsa_exception_fp_ieee_overflow 0
		.amdhsa_exception_fp_ieee_underflow 0
		.amdhsa_exception_fp_ieee_inexact 0
		.amdhsa_exception_int_div_zero 0
	.end_amdhsa_kernel
	.section	.text._ZL26rocblas_syr2k_her2k_kernelIiLb0ELb1ELb1ELi32E19rocblas_complex_numIfEPKS1_PS1_EvbiT_T4_T5_S5_lS7_S5_lT6_S5_li,"axG",@progbits,_ZL26rocblas_syr2k_her2k_kernelIiLb0ELb1ELb1ELi32E19rocblas_complex_numIfEPKS1_PS1_EvbiT_T4_T5_S5_lS7_S5_lT6_S5_li,comdat
.Lfunc_end309:
	.size	_ZL26rocblas_syr2k_her2k_kernelIiLb0ELb1ELb1ELi32E19rocblas_complex_numIfEPKS1_PS1_EvbiT_T4_T5_S5_lS7_S5_lT6_S5_li, .Lfunc_end309-_ZL26rocblas_syr2k_her2k_kernelIiLb0ELb1ELb1ELi32E19rocblas_complex_numIfEPKS1_PS1_EvbiT_T4_T5_S5_lS7_S5_lT6_S5_li
                                        ; -- End function
	.section	.AMDGPU.csdata,"",@progbits
; Kernel info:
; codeLenInByte = 2420
; NumSgprs: 23
; NumVgprs: 40
; ScratchSize: 0
; MemoryBound: 0
; FloatMode: 240
; IeeeMode: 1
; LDSByteSize: 16384 bytes/workgroup (compile time only)
; SGPRBlocks: 2
; VGPRBlocks: 4
; NumSGPRsForWavesPerEU: 23
; NumVGPRsForWavesPerEU: 40
; Occupancy: 16
; WaveLimiterHint : 0
; COMPUTE_PGM_RSRC2:SCRATCH_EN: 0
; COMPUTE_PGM_RSRC2:USER_SGPR: 13
; COMPUTE_PGM_RSRC2:TRAP_HANDLER: 0
; COMPUTE_PGM_RSRC2:TGID_X_EN: 1
; COMPUTE_PGM_RSRC2:TGID_Y_EN: 1
; COMPUTE_PGM_RSRC2:TGID_Z_EN: 1
; COMPUTE_PGM_RSRC2:TIDIG_COMP_CNT: 1
	.section	.text._ZL37rocblas_syrkx_herkx_restricted_kernelIi19rocblas_complex_numIfELi16ELi32ELi8ELi1ELi1ELb1ELc84ELc76EKS1_S1_EviT_PT9_S3_lS5_S3_lPT10_S3_li,"axG",@progbits,_ZL37rocblas_syrkx_herkx_restricted_kernelIi19rocblas_complex_numIfELi16ELi32ELi8ELi1ELi1ELb1ELc84ELc76EKS1_S1_EviT_PT9_S3_lS5_S3_lPT10_S3_li,comdat
	.globl	_ZL37rocblas_syrkx_herkx_restricted_kernelIi19rocblas_complex_numIfELi16ELi32ELi8ELi1ELi1ELb1ELc84ELc76EKS1_S1_EviT_PT9_S3_lS5_S3_lPT10_S3_li ; -- Begin function _ZL37rocblas_syrkx_herkx_restricted_kernelIi19rocblas_complex_numIfELi16ELi32ELi8ELi1ELi1ELb1ELc84ELc76EKS1_S1_EviT_PT9_S3_lS5_S3_lPT10_S3_li
	.p2align	8
	.type	_ZL37rocblas_syrkx_herkx_restricted_kernelIi19rocblas_complex_numIfELi16ELi32ELi8ELi1ELi1ELb1ELc84ELc76EKS1_S1_EviT_PT9_S3_lS5_S3_lPT10_S3_li,@function
_ZL37rocblas_syrkx_herkx_restricted_kernelIi19rocblas_complex_numIfELi16ELi32ELi8ELi1ELi1ELb1ELc84ELc76EKS1_S1_EviT_PT9_S3_lS5_S3_lPT10_S3_li: ; @_ZL37rocblas_syrkx_herkx_restricted_kernelIi19rocblas_complex_numIfELi16ELi32ELi8ELi1ELi1ELb1ELc84ELc76EKS1_S1_EviT_PT9_S3_lS5_S3_lPT10_S3_li
; %bb.0:
	s_clause 0x1
	s_load_b64 s[2:3], s[0:1], 0x0
	s_load_b128 s[4:7], s[0:1], 0x30
	v_dual_mov_b32 v15, 0 :: v_dual_and_b32 v6, 0x3ff, v0
	v_bfe_u32 v7, v0, 10, 10
	v_dual_mov_b32 v16, 0 :: v_dual_mov_b32 v11, 0
	v_dual_mov_b32 v12, 0 :: v_dual_mov_b32 v9, 0
	;; [unrolled: 1-line block ×3, first 2 shown]
	v_mov_b32_e32 v0, 0
	s_lshl_b32 s12, s13, 5
	s_lshl_b32 s13, s14, 5
	s_mov_b32 s14, 0
	s_waitcnt lgkmcnt(0)
	s_cmp_lt_i32 s3, 1
	s_cbranch_scc1 .LBB310_3
; %bb.1:
	s_clause 0x3
	s_load_b32 s18, s[0:1], 0x10
	s_load_b128 s[8:11], s[0:1], 0x18
	s_load_b64 s[16:17], s[0:1], 0x8
	s_load_b32 s19, s[0:1], 0x28
	v_lshl_add_u32 v2, v7, 4, v6
	v_dual_mov_b32 v1, 0 :: v_dual_and_b32 v0, 7, v6
	v_lshlrev_b32_e32 v10, 3, v6
	s_mul_i32 s5, s5, s15
	s_delay_alu instid0(VALU_DEP_3)
	v_lshrrev_b32_e32 v4, 3, v2
	v_and_b32_e32 v5, 31, v2
	v_lshlrev_b32_e32 v3, 3, v0
	v_lshrrev_b32_e32 v2, 5, v2
	v_lshl_add_u32 v17, v7, 6, 0x800
	v_add_nc_u32_e32 v12, s13, v4
	v_add_nc_u32_e32 v11, s12, v5
	v_lshl_or_b32 v9, v4, 6, v3
	v_dual_mov_b32 v3, v1 :: v_dual_lshlrev_b32 v8, 3, v5
	v_mov_b32_e32 v16, v1
	s_delay_alu instid0(VALU_DEP_3) | instskip(SKIP_1) | instid1(VALU_DEP_3)
	v_dual_mov_b32 v15, v1 :: v_dual_add_nc_u32 v14, 0x800, v9
	s_waitcnt lgkmcnt(0)
	v_mad_i64_i32 v[4:5], null, s18, v11, v[2:3]
	s_mul_i32 s9, s9, s15
	s_mul_hi_u32 s18, s8, s15
	v_mov_b32_e32 v9, v1
	v_lshl_or_b32 v13, v2, 8, v8
	v_mov_b32_e32 v11, v1
	v_mad_i64_i32 v[2:3], null, s19, v12, v[0:1]
	s_mul_i32 s8, s8, s15
	s_add_i32 s9, s18, s9
	v_lshlrev_b64 v[4:5], 3, v[4:5]
	s_lshl_b64 s[8:9], s[8:9], 3
	v_mov_b32_e32 v12, v1
	s_add_u32 s8, s16, s8
	s_mul_hi_u32 s16, s4, s15
	s_addc_u32 s9, s17, s9
	s_add_i32 s5, s16, s5
	s_mul_i32 s4, s4, s15
	v_lshlrev_b64 v[2:3], 3, v[2:3]
	s_lshl_b64 s[4:5], s[4:5], 3
	v_add_co_u32 v0, vcc_lo, s8, v4
	s_add_u32 s4, s10, s4
	v_add_co_ci_u32_e32 v4, vcc_lo, s9, v5, vcc_lo
	s_addc_u32 s5, s11, s5
	v_add_co_u32 v5, vcc_lo, s4, v2
	v_add_co_ci_u32_e32 v8, vcc_lo, s5, v3, vcc_lo
	v_add_co_u32 v2, vcc_lo, v0, 4
	v_add_co_ci_u32_e32 v3, vcc_lo, 0, v4, vcc_lo
	s_delay_alu instid0(VALU_DEP_4) | instskip(NEXT) | instid1(VALU_DEP_4)
	v_add_co_u32 v4, vcc_lo, v5, 4
	v_add_co_ci_u32_e32 v5, vcc_lo, 0, v8, vcc_lo
	v_mov_b32_e32 v0, v1
	v_mov_b32_e32 v8, v1
.LBB310_2:                              ; =>This Inner Loop Header: Depth=1
	global_load_b64 v[18:19], v[2:3], off offset:-4
	global_load_b64 v[20:21], v[4:5], off offset:-4
	v_add_co_u32 v2, vcc_lo, v2, 64
	v_add_co_ci_u32_e32 v3, vcc_lo, 0, v3, vcc_lo
	v_add_co_u32 v4, vcc_lo, v4, 64
	v_add_co_ci_u32_e32 v5, vcc_lo, 0, v5, vcc_lo
	s_add_i32 s14, s14, 8
	s_waitcnt vmcnt(1)
	ds_store_b64 v13, v[18:19]
	s_waitcnt vmcnt(0)
	ds_store_b64 v14, v[20:21]
	s_waitcnt lgkmcnt(0)
	s_barrier
	buffer_gl0_inv
	ds_load_2addr_b64 v[18:21], v10 offset1:16
	ds_load_b128 v[22:25], v17
	ds_load_b128 v[26:29], v17 offset:1024
	ds_load_b128 v[30:33], v17 offset:16
	ds_load_2addr_b64 v[34:37], v10 offset0:32 offset1:48
	ds_load_b128 v[38:41], v17 offset:32
	ds_load_b128 v[42:45], v17 offset:48
	ds_load_2addr_b64 v[46:49], v10 offset0:64 offset1:80
	ds_load_b128 v[50:53], v17 offset:1040
	ds_load_2addr_b64 v[54:57], v10 offset0:96 offset1:112
	ds_load_2addr_b64 v[58:61], v10 offset0:128 offset1:144
	;; [unrolled: 1-line block ×4, first 2 shown]
	ds_load_b128 v[70:73], v17 offset:1056
	ds_load_b128 v[74:77], v17 offset:1072
	ds_load_2addr_b64 v[78:81], v10 offset0:224 offset1:240
	s_cmp_ge_i32 s14, s3
	s_waitcnt lgkmcnt(0)
	s_barrier
	buffer_gl0_inv
	v_dual_mul_f32 v82, v23, v19 :: v_dual_mul_f32 v85, v22, v21
	v_dual_mul_f32 v83, v22, v19 :: v_dual_mul_f32 v84, v23, v21
	v_mul_f32_e32 v86, v27, v19
	v_dual_mul_f32 v19, v26, v19 :: v_dual_mul_f32 v90, v25, v37
	v_dual_mul_f32 v87, v27, v21 :: v_dual_mul_f32 v88, v25, v35
	v_mul_f32_e32 v21, v26, v21
	v_fma_f32 v82, v22, v18, -v82
	v_fmac_f32_e32 v83, v23, v18
	v_fma_f32 v22, v22, v20, -v84
	v_fmac_f32_e32 v85, v23, v20
	v_fma_f32 v23, v26, v18, -v86
	v_dual_fmac_f32 v19, v27, v18 :: v_dual_mul_f32 v86, v30, v47
	v_fma_f32 v18, v26, v20, -v87
	v_dual_fmac_f32 v21, v27, v20 :: v_dual_mul_f32 v20, v24, v37
	v_mul_f32_e32 v89, v24, v35
	v_mul_f32_e32 v26, v29, v35
	;; [unrolled: 1-line block ×4, first 2 shown]
	v_fmac_f32_e32 v20, v25, v36
	v_fmac_f32_e32 v89, v25, v34
	v_dual_mul_f32 v25, v28, v37 :: v_dual_fmac_f32 v86, v31, v46
	v_fma_f32 v84, v24, v34, -v88
	v_fma_f32 v24, v24, v36, -v90
	v_dual_mul_f32 v37, v31, v47 :: v_dual_mul_f32 v90, v33, v57
	v_fma_f32 v26, v28, v34, -v26
	v_fma_f32 v28, v28, v36, -v35
	v_fmac_f32_e32 v25, v29, v36
	v_dual_mul_f32 v35, v50, v47 :: v_dual_mul_f32 v36, v51, v49
	v_dual_fmac_f32 v27, v29, v34 :: v_dual_mul_f32 v34, v51, v47
	v_dual_mul_f32 v88, v32, v55 :: v_dual_mul_f32 v29, v30, v49
	v_mul_f32_e32 v87, v31, v49
	v_fma_f32 v37, v30, v46, -v37
	v_add_f32_e32 v16, v16, v83
	s_delay_alu instid0(VALU_DEP_4)
	v_dual_fmac_f32 v88, v33, v54 :: v_dual_fmac_f32 v29, v31, v48
	v_fma_f32 v31, v50, v46, -v34
	v_fma_f32 v34, v50, v48, -v36
	v_mul_f32_e32 v36, v32, v57
	v_mul_f32_e32 v47, v50, v49
	v_dual_mul_f32 v50, v53, v57 :: v_dual_fmac_f32 v35, v51, v46
	v_mul_f32_e32 v46, v53, v55
	v_mul_f32_e32 v49, v33, v55
	v_fma_f32 v30, v30, v48, -v87
	v_fmac_f32_e32 v36, v33, v56
	v_dual_fmac_f32 v47, v51, v48 :: v_dual_mul_f32 v48, v52, v55
	v_mul_f32_e32 v33, v52, v57
	v_fma_f32 v46, v52, v54, -v46
	v_fma_f32 v50, v52, v56, -v50
	v_mul_f32_e32 v52, v38, v61
	v_fma_f32 v49, v32, v54, -v49
	v_fma_f32 v32, v32, v56, -v90
	v_dual_mul_f32 v51, v39, v59 :: v_dual_fmac_f32 v48, v53, v54
	v_mul_f32_e32 v54, v70, v59
	v_dual_mul_f32 v55, v38, v59 :: v_dual_fmac_f32 v52, v39, v60
	v_fmac_f32_e32 v33, v53, v56
	v_mul_f32_e32 v53, v71, v59
	v_mul_f32_e32 v56, v71, v61
	;; [unrolled: 1-line block ×3, first 2 shown]
	v_fmac_f32_e32 v54, v71, v58
	v_fmac_f32_e32 v55, v39, v58
	v_fma_f32 v39, v70, v58, -v53
	v_fma_f32 v53, v70, v60, -v56
	v_mul_f32_e32 v56, v40, v65
	v_mul_f32_e32 v59, v70, v61
	v_fma_f32 v51, v38, v58, -v51
	v_mul_f32_e32 v58, v72, v63
	v_mul_f32_e32 v87, v40, v63
	;; [unrolled: 1-line block ×4, first 2 shown]
	v_fma_f32 v38, v38, v60, -v57
	v_mul_f32_e32 v57, v73, v63
	v_fmac_f32_e32 v56, v41, v64
	v_dual_fmac_f32 v59, v71, v60 :: v_dual_mul_f32 v60, v73, v65
	v_mul_f32_e32 v63, v43, v67
	v_mul_f32_e32 v70, v43, v69
	v_fmac_f32_e32 v58, v73, v62
	v_fmac_f32_e32 v87, v41, v62
	v_mul_f32_e32 v41, v72, v65
	v_fma_f32 v61, v40, v62, -v61
	v_fma_f32 v40, v40, v64, -v90
	v_mul_f32_e32 v65, v42, v67
	v_fma_f32 v57, v72, v62, -v57
	v_fma_f32 v60, v72, v64, -v60
	v_dual_fmac_f32 v41, v73, v64 :: v_dual_mul_f32 v62, v42, v69
	v_mul_f32_e32 v64, v75, v67
	v_fma_f32 v63, v42, v66, -v63
	v_fma_f32 v42, v42, v68, -v70
	v_mul_f32_e32 v70, v76, v79
	v_mul_f32_e32 v67, v74, v67
	;; [unrolled: 1-line block ×3, first 2 shown]
	v_dual_mul_f32 v69, v74, v69 :: v_dual_add_f32 v12, v12, v22
	v_mul_f32_e32 v73, v44, v79
	v_dual_fmac_f32 v65, v43, v66 :: v_dual_add_f32 v8, v8, v19
	v_fmac_f32_e32 v62, v43, v68
	v_fma_f32 v43, v74, v66, -v64
	v_fmac_f32_e32 v70, v77, v78
	v_dual_fmac_f32 v67, v75, v66 :: v_dual_add_f32 v16, v16, v89
	v_mul_f32_e32 v66, v44, v81
	v_mul_f32_e32 v72, v45, v79
	v_dual_mul_f32 v90, v45, v81 :: v_dual_fmac_f32 v69, v75, v68
	v_add_f32_e32 v0, v0, v18
	v_dual_fmac_f32 v73, v45, v78 :: v_dual_add_f32 v8, v8, v27
	v_dual_fmac_f32 v66, v45, v80 :: v_dual_mul_f32 v45, v76, v81
	v_fma_f32 v64, v74, v68, -v71
	v_dual_mul_f32 v71, v77, v81 :: v_dual_add_f32 v12, v12, v24
	v_dual_add_f32 v15, v15, v82 :: v_dual_add_f32 v0, v0, v28
	s_delay_alu instid0(VALU_DEP_4) | instskip(NEXT) | instid1(VALU_DEP_3)
	v_dual_fmac_f32 v45, v77, v80 :: v_dual_add_f32 v16, v16, v86
	v_dual_add_f32 v11, v11, v85 :: v_dual_add_f32 v12, v12, v30
	s_delay_alu instid0(VALU_DEP_3) | instskip(SKIP_2) | instid1(VALU_DEP_3)
	v_dual_add_f32 v9, v9, v23 :: v_dual_add_f32 v0, v0, v34
	v_dual_add_f32 v1, v1, v21 :: v_dual_add_f32 v8, v8, v35
	v_add_f32_e32 v15, v15, v84
	v_dual_add_f32 v9, v9, v26 :: v_dual_add_f32 v16, v16, v88
	v_add_f32_e32 v11, v11, v20
	s_delay_alu instid0(VALU_DEP_4) | instskip(NEXT) | instid1(VALU_DEP_3)
	v_dual_add_f32 v1, v1, v25 :: v_dual_add_f32 v12, v12, v32
	v_dual_add_f32 v8, v8, v48 :: v_dual_add_f32 v9, v9, v31
	;; [unrolled: 1-line block ×3, first 2 shown]
	s_delay_alu instid0(VALU_DEP_3) | instskip(SKIP_1) | instid1(VALU_DEP_3)
	v_add_f32_e32 v1, v1, v47
	v_dual_add_f32 v16, v16, v55 :: v_dual_add_f32 v11, v11, v29
	v_dual_add_f32 v12, v12, v38 :: v_dual_add_f32 v15, v15, v49
	v_add_f32_e32 v8, v8, v54
	s_delay_alu instid0(VALU_DEP_3) | instskip(NEXT) | instid1(VALU_DEP_3)
	v_dual_add_f32 v16, v16, v87 :: v_dual_add_f32 v11, v11, v36
	v_dual_add_f32 v9, v9, v46 :: v_dual_add_f32 v12, v12, v40
	v_add_f32_e32 v0, v0, v53
	v_add_f32_e32 v1, v1, v33
	s_delay_alu instid0(VALU_DEP_4) | instskip(SKIP_3) | instid1(VALU_DEP_4)
	v_dual_add_f32 v15, v15, v51 :: v_dual_add_f32 v16, v16, v65
	v_dual_add_f32 v8, v8, v58 :: v_dual_add_f32 v11, v11, v52
	v_add_f32_e32 v12, v12, v42
	v_dual_add_f32 v0, v0, v60 :: v_dual_add_f32 v9, v9, v39
	v_dual_add_f32 v1, v1, v59 :: v_dual_add_f32 v16, v16, v73
	v_mul_f32_e32 v68, v77, v79
	v_fma_f32 v72, v44, v78, -v72
	v_fma_f32 v44, v44, v80, -v90
	;; [unrolled: 1-line block ×3, first 2 shown]
	v_dual_add_f32 v15, v15, v61 :: v_dual_add_f32 v8, v8, v67
	v_add_f32_e32 v11, v11, v56
	v_dual_add_f32 v0, v0, v64 :: v_dual_add_f32 v9, v9, v57
	v_dual_add_f32 v12, v12, v44 :: v_dual_add_f32 v1, v1, v41
	v_fma_f32 v68, v76, v78, -v68
	s_delay_alu instid0(VALU_DEP_3) | instskip(SKIP_4) | instid1(VALU_DEP_4)
	v_add_f32_e32 v0, v0, v71
	v_add_f32_e32 v15, v15, v63
	;; [unrolled: 1-line block ×3, first 2 shown]
	v_dual_add_f32 v1, v1, v69 :: v_dual_add_f32 v8, v8, v70
	v_add_f32_e32 v11, v11, v62
	v_add_f32_e32 v15, v15, v72
	s_delay_alu instid0(VALU_DEP_4) | instskip(NEXT) | instid1(VALU_DEP_4)
	v_add_f32_e32 v9, v9, v68
	v_add_f32_e32 v1, v1, v45
	s_delay_alu instid0(VALU_DEP_4)
	v_add_f32_e32 v11, v11, v66
	s_cbranch_scc0 .LBB310_2
.LBB310_3:
	s_clause 0x1
	s_load_b32 s3, s[0:1], 0x40
	s_load_b64 s[4:5], s[0:1], 0x48
	v_add_nc_u32_e32 v7, s13, v7
	v_add_nc_u32_e32 v2, s12, v6
	s_delay_alu instid0(VALU_DEP_1)
	v_cmp_le_i32_e64 s0, v7, v2
	v_cmp_gt_i32_e32 vcc_lo, s2, v2
	s_waitcnt lgkmcnt(0)
	v_mad_i64_i32 v[3:4], null, v7, s3, 0
	s_mul_i32 s1, s15, s5
	s_mul_hi_u32 s5, s15, s4
	s_mul_i32 s4, s15, s4
	s_add_i32 s5, s5, s1
	s_delay_alu instid0(SALU_CYCLE_1) | instskip(NEXT) | instid1(VALU_DEP_1)
	s_lshl_b64 s[4:5], s[4:5], 3
	v_lshlrev_b64 v[3:4], 3, v[3:4]
	s_add_u32 s4, s6, s4
	s_addc_u32 s5, s7, s5
	s_and_b32 s0, s0, vcc_lo
	s_delay_alu instid0(VALU_DEP_1) | instskip(NEXT) | instid1(VALU_DEP_1)
	v_add_co_u32 v6, s1, s4, v3
	v_add_co_ci_u32_e64 v10, s1, s5, v4, s1
	s_and_saveexec_b32 s1, s0
	s_cbranch_execz .LBB310_6
; %bb.4:
	v_ashrrev_i32_e32 v3, 31, v2
	s_delay_alu instid0(VALU_DEP_1) | instskip(NEXT) | instid1(VALU_DEP_1)
	v_lshlrev_b64 v[3:4], 3, v[2:3]
	v_add_co_u32 v3, s0, v6, v3
	s_delay_alu instid0(VALU_DEP_1)
	v_add_co_ci_u32_e64 v4, s0, v10, v4, s0
	v_cmp_eq_u32_e64 s0, v7, v2
	global_load_b64 v[13:14], v[3:4], off
	s_waitcnt vmcnt(0)
	v_dual_add_f32 v13, v15, v13 :: v_dual_add_f32 v14, v16, v14
	global_store_b64 v[3:4], v[13:14], off
	s_and_b32 exec_lo, exec_lo, s0
	s_cbranch_execz .LBB310_6
; %bb.5:
	v_mov_b32_e32 v5, 0
	global_store_b32 v[3:4], v5, off offset:4
.LBB310_6:
	s_or_b32 exec_lo, exec_lo, s1
	v_add_nc_u32_e32 v4, 16, v2
	s_delay_alu instid0(VALU_DEP_1) | instskip(SKIP_1) | instid1(VALU_DEP_1)
	v_cmp_le_i32_e64 s1, v7, v4
	v_cmp_gt_i32_e64 s0, s2, v4
	s_and_b32 s1, s1, s0
	s_delay_alu instid0(SALU_CYCLE_1)
	s_and_saveexec_b32 s2, s1
	s_cbranch_execz .LBB310_9
; %bb.7:
	v_ashrrev_i32_e32 v5, 31, v4
	s_delay_alu instid0(VALU_DEP_1) | instskip(NEXT) | instid1(VALU_DEP_1)
	v_lshlrev_b64 v[13:14], 3, v[4:5]
	v_add_co_u32 v5, s1, v6, v13
	s_delay_alu instid0(VALU_DEP_1)
	v_add_co_ci_u32_e64 v6, s1, v10, v14, s1
	v_cmp_eq_u32_e64 s1, v7, v4
	global_load_b64 v[13:14], v[5:6], off
	s_waitcnt vmcnt(0)
	v_dual_add_f32 v10, v12, v13 :: v_dual_add_f32 v11, v11, v14
	global_store_b64 v[5:6], v[10:11], off
	s_and_b32 exec_lo, exec_lo, s1
	s_cbranch_execz .LBB310_9
; %bb.8:
	v_mov_b32_e32 v3, 0
	global_store_b32 v[5:6], v3, off offset:4
.LBB310_9:
	s_or_b32 exec_lo, exec_lo, s2
	v_add_nc_u32_e32 v12, 16, v7
	s_delay_alu instid0(VALU_DEP_1) | instskip(SKIP_1) | instid1(VALU_DEP_2)
	v_mad_i64_i32 v[5:6], null, v12, s3, 0
	v_cmp_le_i32_e64 s1, v12, v2
	v_lshlrev_b64 v[5:6], 3, v[5:6]
	s_delay_alu instid0(VALU_DEP_1) | instskip(NEXT) | instid1(VALU_DEP_1)
	v_add_co_u32 v10, s2, s4, v5
	v_add_co_ci_u32_e64 v11, s2, s5, v6, s2
	s_delay_alu instid0(VALU_DEP_4) | instskip(NEXT) | instid1(SALU_CYCLE_1)
	s_and_b32 s2, s1, vcc_lo
	s_and_saveexec_b32 s1, s2
	s_cbranch_execz .LBB310_12
; %bb.10:
	v_ashrrev_i32_e32 v3, 31, v2
	s_delay_alu instid0(VALU_DEP_1) | instskip(NEXT) | instid1(VALU_DEP_1)
	v_lshlrev_b64 v[5:6], 3, v[2:3]
	v_add_co_u32 v5, vcc_lo, v10, v5
	s_delay_alu instid0(VALU_DEP_2)
	v_add_co_ci_u32_e32 v6, vcc_lo, v11, v6, vcc_lo
	v_cmp_eq_u32_e32 vcc_lo, v12, v2
	global_load_b64 v[13:14], v[5:6], off
	s_waitcnt vmcnt(0)
	v_dual_add_f32 v13, v9, v13 :: v_dual_add_f32 v14, v8, v14
	global_store_b64 v[5:6], v[13:14], off
	s_and_b32 exec_lo, exec_lo, vcc_lo
	s_cbranch_execz .LBB310_12
; %bb.11:
	v_mov_b32_e32 v3, 0
	global_store_b32 v[5:6], v3, off offset:4
.LBB310_12:
	s_or_b32 exec_lo, exec_lo, s1
	v_cmp_le_i32_e32 vcc_lo, v12, v4
	s_and_b32 s0, vcc_lo, s0
	s_delay_alu instid0(SALU_CYCLE_1)
	s_and_saveexec_b32 s1, s0
	s_cbranch_execz .LBB310_15
; %bb.13:
	v_ashrrev_i32_e32 v5, 31, v4
	s_delay_alu instid0(VALU_DEP_1) | instskip(NEXT) | instid1(VALU_DEP_1)
	v_lshlrev_b64 v[3:4], 3, v[4:5]
	v_add_co_u32 v3, vcc_lo, v10, v3
	s_delay_alu instid0(VALU_DEP_2)
	v_add_co_ci_u32_e32 v4, vcc_lo, v11, v4, vcc_lo
	v_cmp_eq_u32_e32 vcc_lo, v7, v2
	global_load_b64 v[5:6], v[3:4], off
	s_waitcnt vmcnt(0)
	v_dual_add_f32 v0, v0, v5 :: v_dual_add_f32 v1, v1, v6
	global_store_b64 v[3:4], v[0:1], off
	s_and_b32 exec_lo, exec_lo, vcc_lo
	s_cbranch_execz .LBB310_15
; %bb.14:
	v_mov_b32_e32 v0, 0
	global_store_b32 v[3:4], v0, off offset:4
.LBB310_15:
	s_nop 0
	s_sendmsg sendmsg(MSG_DEALLOC_VGPRS)
	s_endpgm
	.section	.rodata,"a",@progbits
	.p2align	6, 0x0
	.amdhsa_kernel _ZL37rocblas_syrkx_herkx_restricted_kernelIi19rocblas_complex_numIfELi16ELi32ELi8ELi1ELi1ELb1ELc84ELc76EKS1_S1_EviT_PT9_S3_lS5_S3_lPT10_S3_li
		.amdhsa_group_segment_fixed_size 4096
		.amdhsa_private_segment_fixed_size 0
		.amdhsa_kernarg_size 84
		.amdhsa_user_sgpr_count 13
		.amdhsa_user_sgpr_dispatch_ptr 0
		.amdhsa_user_sgpr_queue_ptr 0
		.amdhsa_user_sgpr_kernarg_segment_ptr 1
		.amdhsa_user_sgpr_dispatch_id 0
		.amdhsa_user_sgpr_private_segment_size 0
		.amdhsa_wavefront_size32 1
		.amdhsa_uses_dynamic_stack 0
		.amdhsa_enable_private_segment 0
		.amdhsa_system_sgpr_workgroup_id_x 1
		.amdhsa_system_sgpr_workgroup_id_y 1
		.amdhsa_system_sgpr_workgroup_id_z 1
		.amdhsa_system_sgpr_workgroup_info 0
		.amdhsa_system_vgpr_workitem_id 1
		.amdhsa_next_free_vgpr 91
		.amdhsa_next_free_sgpr 20
		.amdhsa_reserve_vcc 1
		.amdhsa_float_round_mode_32 0
		.amdhsa_float_round_mode_16_64 0
		.amdhsa_float_denorm_mode_32 3
		.amdhsa_float_denorm_mode_16_64 3
		.amdhsa_dx10_clamp 1
		.amdhsa_ieee_mode 1
		.amdhsa_fp16_overflow 0
		.amdhsa_workgroup_processor_mode 1
		.amdhsa_memory_ordered 1
		.amdhsa_forward_progress 0
		.amdhsa_shared_vgpr_count 0
		.amdhsa_exception_fp_ieee_invalid_op 0
		.amdhsa_exception_fp_denorm_src 0
		.amdhsa_exception_fp_ieee_div_zero 0
		.amdhsa_exception_fp_ieee_overflow 0
		.amdhsa_exception_fp_ieee_underflow 0
		.amdhsa_exception_fp_ieee_inexact 0
		.amdhsa_exception_int_div_zero 0
	.end_amdhsa_kernel
	.section	.text._ZL37rocblas_syrkx_herkx_restricted_kernelIi19rocblas_complex_numIfELi16ELi32ELi8ELi1ELi1ELb1ELc84ELc76EKS1_S1_EviT_PT9_S3_lS5_S3_lPT10_S3_li,"axG",@progbits,_ZL37rocblas_syrkx_herkx_restricted_kernelIi19rocblas_complex_numIfELi16ELi32ELi8ELi1ELi1ELb1ELc84ELc76EKS1_S1_EviT_PT9_S3_lS5_S3_lPT10_S3_li,comdat
.Lfunc_end310:
	.size	_ZL37rocblas_syrkx_herkx_restricted_kernelIi19rocblas_complex_numIfELi16ELi32ELi8ELi1ELi1ELb1ELc84ELc76EKS1_S1_EviT_PT9_S3_lS5_S3_lPT10_S3_li, .Lfunc_end310-_ZL37rocblas_syrkx_herkx_restricted_kernelIi19rocblas_complex_numIfELi16ELi32ELi8ELi1ELi1ELb1ELc84ELc76EKS1_S1_EviT_PT9_S3_lS5_S3_lPT10_S3_li
                                        ; -- End function
	.section	.AMDGPU.csdata,"",@progbits
; Kernel info:
; codeLenInByte = 2200
; NumSgprs: 22
; NumVgprs: 91
; ScratchSize: 0
; MemoryBound: 0
; FloatMode: 240
; IeeeMode: 1
; LDSByteSize: 4096 bytes/workgroup (compile time only)
; SGPRBlocks: 2
; VGPRBlocks: 11
; NumSGPRsForWavesPerEU: 22
; NumVGPRsForWavesPerEU: 91
; Occupancy: 16
; WaveLimiterHint : 0
; COMPUTE_PGM_RSRC2:SCRATCH_EN: 0
; COMPUTE_PGM_RSRC2:USER_SGPR: 13
; COMPUTE_PGM_RSRC2:TRAP_HANDLER: 0
; COMPUTE_PGM_RSRC2:TGID_X_EN: 1
; COMPUTE_PGM_RSRC2:TGID_Y_EN: 1
; COMPUTE_PGM_RSRC2:TGID_Z_EN: 1
; COMPUTE_PGM_RSRC2:TIDIG_COMP_CNT: 1
	.section	.text._ZL37rocblas_syrkx_herkx_restricted_kernelIi19rocblas_complex_numIfELi16ELi32ELi8ELi1ELi1ELb1ELc67ELc76EKS1_S1_EviT_PT9_S3_lS5_S3_lPT10_S3_li,"axG",@progbits,_ZL37rocblas_syrkx_herkx_restricted_kernelIi19rocblas_complex_numIfELi16ELi32ELi8ELi1ELi1ELb1ELc67ELc76EKS1_S1_EviT_PT9_S3_lS5_S3_lPT10_S3_li,comdat
	.globl	_ZL37rocblas_syrkx_herkx_restricted_kernelIi19rocblas_complex_numIfELi16ELi32ELi8ELi1ELi1ELb1ELc67ELc76EKS1_S1_EviT_PT9_S3_lS5_S3_lPT10_S3_li ; -- Begin function _ZL37rocblas_syrkx_herkx_restricted_kernelIi19rocblas_complex_numIfELi16ELi32ELi8ELi1ELi1ELb1ELc67ELc76EKS1_S1_EviT_PT9_S3_lS5_S3_lPT10_S3_li
	.p2align	8
	.type	_ZL37rocblas_syrkx_herkx_restricted_kernelIi19rocblas_complex_numIfELi16ELi32ELi8ELi1ELi1ELb1ELc67ELc76EKS1_S1_EviT_PT9_S3_lS5_S3_lPT10_S3_li,@function
_ZL37rocblas_syrkx_herkx_restricted_kernelIi19rocblas_complex_numIfELi16ELi32ELi8ELi1ELi1ELb1ELc67ELc76EKS1_S1_EviT_PT9_S3_lS5_S3_lPT10_S3_li: ; @_ZL37rocblas_syrkx_herkx_restricted_kernelIi19rocblas_complex_numIfELi16ELi32ELi8ELi1ELi1ELb1ELc67ELc76EKS1_S1_EviT_PT9_S3_lS5_S3_lPT10_S3_li
; %bb.0:
	s_clause 0x1
	s_load_b64 s[2:3], s[0:1], 0x0
	s_load_b128 s[4:7], s[0:1], 0x30
	v_dual_mov_b32 v15, 0 :: v_dual_and_b32 v6, 0x3ff, v0
	v_bfe_u32 v7, v0, 10, 10
	v_dual_mov_b32 v16, 0 :: v_dual_mov_b32 v11, 0
	v_dual_mov_b32 v12, 0 :: v_dual_mov_b32 v9, 0
	;; [unrolled: 1-line block ×3, first 2 shown]
	v_mov_b32_e32 v0, 0
	s_lshl_b32 s12, s13, 5
	s_lshl_b32 s13, s14, 5
	s_mov_b32 s14, 0
	s_waitcnt lgkmcnt(0)
	s_cmp_lt_i32 s3, 1
	s_cbranch_scc1 .LBB311_3
; %bb.1:
	s_clause 0x3
	s_load_b32 s18, s[0:1], 0x10
	s_load_b128 s[8:11], s[0:1], 0x18
	s_load_b64 s[16:17], s[0:1], 0x8
	s_load_b32 s19, s[0:1], 0x28
	v_lshl_add_u32 v2, v7, 4, v6
	v_dual_mov_b32 v1, 0 :: v_dual_and_b32 v0, 7, v6
	v_lshlrev_b32_e32 v10, 3, v6
	s_mul_i32 s5, s5, s15
	s_delay_alu instid0(VALU_DEP_3)
	v_lshrrev_b32_e32 v4, 3, v2
	v_and_b32_e32 v5, 31, v2
	v_lshlrev_b32_e32 v3, 3, v0
	v_lshrrev_b32_e32 v2, 5, v2
	v_lshl_add_u32 v17, v7, 6, 0x800
	v_add_nc_u32_e32 v12, s13, v4
	v_add_nc_u32_e32 v11, s12, v5
	v_lshl_or_b32 v9, v4, 6, v3
	v_dual_mov_b32 v3, v1 :: v_dual_lshlrev_b32 v8, 3, v5
	v_mov_b32_e32 v16, v1
	s_delay_alu instid0(VALU_DEP_3) | instskip(SKIP_1) | instid1(VALU_DEP_3)
	v_dual_mov_b32 v15, v1 :: v_dual_add_nc_u32 v14, 0x800, v9
	s_waitcnt lgkmcnt(0)
	v_mad_i64_i32 v[4:5], null, s18, v11, v[2:3]
	s_mul_i32 s9, s9, s15
	s_mul_hi_u32 s18, s8, s15
	v_mov_b32_e32 v9, v1
	v_lshl_or_b32 v13, v2, 8, v8
	v_mov_b32_e32 v11, v1
	v_mad_i64_i32 v[2:3], null, s19, v12, v[0:1]
	s_mul_i32 s8, s8, s15
	s_add_i32 s9, s18, s9
	v_lshlrev_b64 v[4:5], 3, v[4:5]
	s_lshl_b64 s[8:9], s[8:9], 3
	v_mov_b32_e32 v12, v1
	s_add_u32 s8, s16, s8
	s_mul_hi_u32 s16, s4, s15
	s_addc_u32 s9, s17, s9
	s_add_i32 s5, s16, s5
	s_mul_i32 s4, s4, s15
	v_lshlrev_b64 v[2:3], 3, v[2:3]
	s_lshl_b64 s[4:5], s[4:5], 3
	v_add_co_u32 v0, vcc_lo, s8, v4
	s_add_u32 s4, s10, s4
	v_add_co_ci_u32_e32 v4, vcc_lo, s9, v5, vcc_lo
	s_addc_u32 s5, s11, s5
	v_add_co_u32 v5, vcc_lo, s4, v2
	v_add_co_ci_u32_e32 v8, vcc_lo, s5, v3, vcc_lo
	v_add_co_u32 v2, vcc_lo, v0, 4
	v_add_co_ci_u32_e32 v3, vcc_lo, 0, v4, vcc_lo
	s_delay_alu instid0(VALU_DEP_4) | instskip(NEXT) | instid1(VALU_DEP_4)
	v_add_co_u32 v4, vcc_lo, v5, 4
	v_add_co_ci_u32_e32 v5, vcc_lo, 0, v8, vcc_lo
	v_mov_b32_e32 v0, v1
	v_mov_b32_e32 v8, v1
.LBB311_2:                              ; =>This Inner Loop Header: Depth=1
	global_load_b64 v[18:19], v[2:3], off offset:-4
	global_load_b64 v[20:21], v[4:5], off offset:-4
	v_add_co_u32 v2, vcc_lo, v2, 64
	v_add_co_ci_u32_e32 v3, vcc_lo, 0, v3, vcc_lo
	v_add_co_u32 v4, vcc_lo, v4, 64
	v_add_co_ci_u32_e32 v5, vcc_lo, 0, v5, vcc_lo
	s_add_i32 s14, s14, 8
	s_delay_alu instid0(SALU_CYCLE_1)
	s_cmp_ge_i32 s14, s3
	s_waitcnt vmcnt(1)
	v_xor_b32_e32 v19, 0x80000000, v19
	ds_store_b64 v13, v[18:19]
	s_waitcnt vmcnt(0)
	ds_store_b64 v14, v[20:21]
	s_waitcnt lgkmcnt(0)
	s_barrier
	buffer_gl0_inv
	ds_load_2addr_b64 v[18:21], v10 offset1:16
	ds_load_b128 v[22:25], v17
	ds_load_b128 v[26:29], v17 offset:1024
	ds_load_b128 v[30:33], v17 offset:16
	ds_load_2addr_b64 v[34:37], v10 offset0:32 offset1:48
	ds_load_b128 v[38:41], v17 offset:32
	ds_load_b128 v[42:45], v17 offset:48
	ds_load_2addr_b64 v[46:49], v10 offset0:64 offset1:80
	ds_load_b128 v[50:53], v17 offset:1040
	ds_load_2addr_b64 v[54:57], v10 offset0:96 offset1:112
	ds_load_2addr_b64 v[58:61], v10 offset0:128 offset1:144
	;; [unrolled: 1-line block ×4, first 2 shown]
	ds_load_b128 v[70:73], v17 offset:1056
	ds_load_b128 v[74:77], v17 offset:1072
	ds_load_2addr_b64 v[78:81], v10 offset0:224 offset1:240
	s_waitcnt lgkmcnt(0)
	s_barrier
	buffer_gl0_inv
	v_dual_mul_f32 v82, v23, v19 :: v_dual_mul_f32 v85, v22, v21
	v_dual_mul_f32 v83, v22, v19 :: v_dual_mul_f32 v84, v23, v21
	v_mul_f32_e32 v86, v27, v19
	v_dual_mul_f32 v19, v26, v19 :: v_dual_mul_f32 v90, v25, v37
	v_dual_mul_f32 v87, v27, v21 :: v_dual_mul_f32 v88, v25, v35
	v_mul_f32_e32 v21, v26, v21
	v_fma_f32 v82, v22, v18, -v82
	v_fmac_f32_e32 v83, v23, v18
	v_fma_f32 v22, v22, v20, -v84
	v_fmac_f32_e32 v85, v23, v20
	v_fma_f32 v23, v26, v18, -v86
	v_dual_fmac_f32 v19, v27, v18 :: v_dual_mul_f32 v86, v30, v47
	v_fma_f32 v18, v26, v20, -v87
	v_dual_fmac_f32 v21, v27, v20 :: v_dual_mul_f32 v20, v24, v37
	v_mul_f32_e32 v89, v24, v35
	v_mul_f32_e32 v26, v29, v35
	v_mul_f32_e32 v27, v28, v35
	v_mul_f32_e32 v35, v29, v37
	v_fmac_f32_e32 v20, v25, v36
	v_fmac_f32_e32 v89, v25, v34
	v_dual_mul_f32 v25, v28, v37 :: v_dual_fmac_f32 v86, v31, v46
	v_fma_f32 v84, v24, v34, -v88
	v_fma_f32 v24, v24, v36, -v90
	v_dual_mul_f32 v37, v31, v47 :: v_dual_mul_f32 v90, v33, v57
	v_fma_f32 v26, v28, v34, -v26
	v_fma_f32 v28, v28, v36, -v35
	v_fmac_f32_e32 v25, v29, v36
	v_dual_mul_f32 v35, v50, v47 :: v_dual_mul_f32 v36, v51, v49
	v_dual_fmac_f32 v27, v29, v34 :: v_dual_mul_f32 v34, v51, v47
	v_dual_mul_f32 v88, v32, v55 :: v_dual_mul_f32 v29, v30, v49
	v_mul_f32_e32 v87, v31, v49
	v_fma_f32 v37, v30, v46, -v37
	v_add_f32_e32 v16, v16, v83
	s_delay_alu instid0(VALU_DEP_4)
	v_dual_fmac_f32 v88, v33, v54 :: v_dual_fmac_f32 v29, v31, v48
	v_fma_f32 v31, v50, v46, -v34
	v_fma_f32 v34, v50, v48, -v36
	v_mul_f32_e32 v36, v32, v57
	v_mul_f32_e32 v47, v50, v49
	v_dual_mul_f32 v50, v53, v57 :: v_dual_fmac_f32 v35, v51, v46
	v_mul_f32_e32 v46, v53, v55
	v_mul_f32_e32 v49, v33, v55
	v_fma_f32 v30, v30, v48, -v87
	v_fmac_f32_e32 v36, v33, v56
	v_dual_fmac_f32 v47, v51, v48 :: v_dual_mul_f32 v48, v52, v55
	v_mul_f32_e32 v33, v52, v57
	v_fma_f32 v46, v52, v54, -v46
	v_fma_f32 v50, v52, v56, -v50
	v_mul_f32_e32 v52, v38, v61
	v_fma_f32 v49, v32, v54, -v49
	v_fma_f32 v32, v32, v56, -v90
	v_dual_mul_f32 v51, v39, v59 :: v_dual_fmac_f32 v48, v53, v54
	v_mul_f32_e32 v54, v70, v59
	v_dual_mul_f32 v55, v38, v59 :: v_dual_fmac_f32 v52, v39, v60
	v_fmac_f32_e32 v33, v53, v56
	v_mul_f32_e32 v53, v71, v59
	v_mul_f32_e32 v56, v71, v61
	v_mul_f32_e32 v57, v39, v61
	v_fmac_f32_e32 v54, v71, v58
	v_fmac_f32_e32 v55, v39, v58
	v_fma_f32 v39, v70, v58, -v53
	v_fma_f32 v53, v70, v60, -v56
	v_mul_f32_e32 v56, v40, v65
	v_mul_f32_e32 v59, v70, v61
	v_fma_f32 v51, v38, v58, -v51
	v_mul_f32_e32 v58, v72, v63
	v_mul_f32_e32 v87, v40, v63
	v_mul_f32_e32 v61, v41, v63
	v_mul_f32_e32 v90, v41, v65
	v_fma_f32 v38, v38, v60, -v57
	v_mul_f32_e32 v57, v73, v63
	v_fmac_f32_e32 v56, v41, v64
	v_dual_fmac_f32 v59, v71, v60 :: v_dual_mul_f32 v60, v73, v65
	v_mul_f32_e32 v63, v43, v67
	v_mul_f32_e32 v70, v43, v69
	v_fmac_f32_e32 v58, v73, v62
	v_fmac_f32_e32 v87, v41, v62
	v_mul_f32_e32 v41, v72, v65
	v_fma_f32 v61, v40, v62, -v61
	v_fma_f32 v40, v40, v64, -v90
	v_mul_f32_e32 v65, v42, v67
	v_fma_f32 v57, v72, v62, -v57
	v_fma_f32 v60, v72, v64, -v60
	v_dual_fmac_f32 v41, v73, v64 :: v_dual_mul_f32 v62, v42, v69
	v_mul_f32_e32 v64, v75, v67
	v_fma_f32 v63, v42, v66, -v63
	v_fma_f32 v42, v42, v68, -v70
	v_mul_f32_e32 v70, v76, v79
	v_mul_f32_e32 v67, v74, v67
	;; [unrolled: 1-line block ×3, first 2 shown]
	v_dual_mul_f32 v69, v74, v69 :: v_dual_add_f32 v12, v12, v22
	v_mul_f32_e32 v73, v44, v79
	v_dual_fmac_f32 v65, v43, v66 :: v_dual_add_f32 v8, v8, v19
	v_fmac_f32_e32 v62, v43, v68
	v_fma_f32 v43, v74, v66, -v64
	v_fmac_f32_e32 v70, v77, v78
	v_dual_fmac_f32 v67, v75, v66 :: v_dual_add_f32 v16, v16, v89
	v_mul_f32_e32 v66, v44, v81
	v_mul_f32_e32 v72, v45, v79
	v_dual_mul_f32 v90, v45, v81 :: v_dual_fmac_f32 v69, v75, v68
	v_add_f32_e32 v0, v0, v18
	v_dual_fmac_f32 v73, v45, v78 :: v_dual_add_f32 v8, v8, v27
	v_dual_fmac_f32 v66, v45, v80 :: v_dual_mul_f32 v45, v76, v81
	v_fma_f32 v64, v74, v68, -v71
	v_dual_mul_f32 v71, v77, v81 :: v_dual_add_f32 v12, v12, v24
	v_dual_add_f32 v15, v15, v82 :: v_dual_add_f32 v0, v0, v28
	s_delay_alu instid0(VALU_DEP_4) | instskip(NEXT) | instid1(VALU_DEP_3)
	v_dual_fmac_f32 v45, v77, v80 :: v_dual_add_f32 v16, v16, v86
	v_dual_add_f32 v11, v11, v85 :: v_dual_add_f32 v12, v12, v30
	s_delay_alu instid0(VALU_DEP_3) | instskip(SKIP_2) | instid1(VALU_DEP_3)
	v_dual_add_f32 v9, v9, v23 :: v_dual_add_f32 v0, v0, v34
	v_dual_add_f32 v1, v1, v21 :: v_dual_add_f32 v8, v8, v35
	v_add_f32_e32 v15, v15, v84
	v_dual_add_f32 v9, v9, v26 :: v_dual_add_f32 v16, v16, v88
	v_add_f32_e32 v11, v11, v20
	s_delay_alu instid0(VALU_DEP_4) | instskip(NEXT) | instid1(VALU_DEP_3)
	v_dual_add_f32 v1, v1, v25 :: v_dual_add_f32 v12, v12, v32
	v_dual_add_f32 v8, v8, v48 :: v_dual_add_f32 v9, v9, v31
	;; [unrolled: 1-line block ×3, first 2 shown]
	s_delay_alu instid0(VALU_DEP_3) | instskip(SKIP_1) | instid1(VALU_DEP_3)
	v_add_f32_e32 v1, v1, v47
	v_dual_add_f32 v16, v16, v55 :: v_dual_add_f32 v11, v11, v29
	v_dual_add_f32 v12, v12, v38 :: v_dual_add_f32 v15, v15, v49
	v_add_f32_e32 v8, v8, v54
	s_delay_alu instid0(VALU_DEP_3) | instskip(NEXT) | instid1(VALU_DEP_3)
	v_dual_add_f32 v16, v16, v87 :: v_dual_add_f32 v11, v11, v36
	v_dual_add_f32 v9, v9, v46 :: v_dual_add_f32 v12, v12, v40
	v_add_f32_e32 v0, v0, v53
	v_add_f32_e32 v1, v1, v33
	s_delay_alu instid0(VALU_DEP_4) | instskip(SKIP_3) | instid1(VALU_DEP_4)
	v_dual_add_f32 v15, v15, v51 :: v_dual_add_f32 v16, v16, v65
	v_dual_add_f32 v8, v8, v58 :: v_dual_add_f32 v11, v11, v52
	v_add_f32_e32 v12, v12, v42
	v_dual_add_f32 v0, v0, v60 :: v_dual_add_f32 v9, v9, v39
	v_dual_add_f32 v1, v1, v59 :: v_dual_add_f32 v16, v16, v73
	v_mul_f32_e32 v68, v77, v79
	v_fma_f32 v72, v44, v78, -v72
	v_fma_f32 v44, v44, v80, -v90
	;; [unrolled: 1-line block ×3, first 2 shown]
	v_dual_add_f32 v15, v15, v61 :: v_dual_add_f32 v8, v8, v67
	v_add_f32_e32 v11, v11, v56
	v_dual_add_f32 v0, v0, v64 :: v_dual_add_f32 v9, v9, v57
	v_dual_add_f32 v12, v12, v44 :: v_dual_add_f32 v1, v1, v41
	v_fma_f32 v68, v76, v78, -v68
	s_delay_alu instid0(VALU_DEP_3) | instskip(SKIP_4) | instid1(VALU_DEP_4)
	v_add_f32_e32 v0, v0, v71
	v_add_f32_e32 v15, v15, v63
	;; [unrolled: 1-line block ×3, first 2 shown]
	v_dual_add_f32 v1, v1, v69 :: v_dual_add_f32 v8, v8, v70
	v_add_f32_e32 v11, v11, v62
	v_add_f32_e32 v15, v15, v72
	s_delay_alu instid0(VALU_DEP_4) | instskip(NEXT) | instid1(VALU_DEP_4)
	v_add_f32_e32 v9, v9, v68
	v_add_f32_e32 v1, v1, v45
	s_delay_alu instid0(VALU_DEP_4)
	v_add_f32_e32 v11, v11, v66
	s_cbranch_scc0 .LBB311_2
.LBB311_3:
	s_clause 0x1
	s_load_b32 s3, s[0:1], 0x40
	s_load_b64 s[4:5], s[0:1], 0x48
	v_add_nc_u32_e32 v7, s13, v7
	v_add_nc_u32_e32 v2, s12, v6
	s_delay_alu instid0(VALU_DEP_1)
	v_cmp_le_i32_e64 s0, v7, v2
	v_cmp_gt_i32_e32 vcc_lo, s2, v2
	s_waitcnt lgkmcnt(0)
	v_mad_i64_i32 v[3:4], null, v7, s3, 0
	s_mul_i32 s1, s15, s5
	s_mul_hi_u32 s5, s15, s4
	s_mul_i32 s4, s15, s4
	s_add_i32 s5, s5, s1
	s_delay_alu instid0(SALU_CYCLE_1) | instskip(NEXT) | instid1(VALU_DEP_1)
	s_lshl_b64 s[4:5], s[4:5], 3
	v_lshlrev_b64 v[3:4], 3, v[3:4]
	s_add_u32 s4, s6, s4
	s_addc_u32 s5, s7, s5
	s_and_b32 s0, s0, vcc_lo
	s_delay_alu instid0(VALU_DEP_1) | instskip(NEXT) | instid1(VALU_DEP_1)
	v_add_co_u32 v6, s1, s4, v3
	v_add_co_ci_u32_e64 v10, s1, s5, v4, s1
	s_and_saveexec_b32 s1, s0
	s_cbranch_execz .LBB311_6
; %bb.4:
	v_ashrrev_i32_e32 v3, 31, v2
	s_delay_alu instid0(VALU_DEP_1) | instskip(NEXT) | instid1(VALU_DEP_1)
	v_lshlrev_b64 v[3:4], 3, v[2:3]
	v_add_co_u32 v3, s0, v6, v3
	s_delay_alu instid0(VALU_DEP_1)
	v_add_co_ci_u32_e64 v4, s0, v10, v4, s0
	v_cmp_eq_u32_e64 s0, v7, v2
	global_load_b64 v[13:14], v[3:4], off
	s_waitcnt vmcnt(0)
	v_dual_add_f32 v13, v15, v13 :: v_dual_add_f32 v14, v16, v14
	global_store_b64 v[3:4], v[13:14], off
	s_and_b32 exec_lo, exec_lo, s0
	s_cbranch_execz .LBB311_6
; %bb.5:
	v_mov_b32_e32 v5, 0
	global_store_b32 v[3:4], v5, off offset:4
.LBB311_6:
	s_or_b32 exec_lo, exec_lo, s1
	v_add_nc_u32_e32 v4, 16, v2
	s_delay_alu instid0(VALU_DEP_1) | instskip(SKIP_1) | instid1(VALU_DEP_1)
	v_cmp_le_i32_e64 s1, v7, v4
	v_cmp_gt_i32_e64 s0, s2, v4
	s_and_b32 s1, s1, s0
	s_delay_alu instid0(SALU_CYCLE_1)
	s_and_saveexec_b32 s2, s1
	s_cbranch_execz .LBB311_9
; %bb.7:
	v_ashrrev_i32_e32 v5, 31, v4
	s_delay_alu instid0(VALU_DEP_1) | instskip(NEXT) | instid1(VALU_DEP_1)
	v_lshlrev_b64 v[13:14], 3, v[4:5]
	v_add_co_u32 v5, s1, v6, v13
	s_delay_alu instid0(VALU_DEP_1)
	v_add_co_ci_u32_e64 v6, s1, v10, v14, s1
	v_cmp_eq_u32_e64 s1, v7, v4
	global_load_b64 v[13:14], v[5:6], off
	s_waitcnt vmcnt(0)
	v_dual_add_f32 v10, v12, v13 :: v_dual_add_f32 v11, v11, v14
	global_store_b64 v[5:6], v[10:11], off
	s_and_b32 exec_lo, exec_lo, s1
	s_cbranch_execz .LBB311_9
; %bb.8:
	v_mov_b32_e32 v3, 0
	global_store_b32 v[5:6], v3, off offset:4
.LBB311_9:
	s_or_b32 exec_lo, exec_lo, s2
	v_add_nc_u32_e32 v12, 16, v7
	s_delay_alu instid0(VALU_DEP_1) | instskip(SKIP_1) | instid1(VALU_DEP_2)
	v_mad_i64_i32 v[5:6], null, v12, s3, 0
	v_cmp_le_i32_e64 s1, v12, v2
	v_lshlrev_b64 v[5:6], 3, v[5:6]
	s_delay_alu instid0(VALU_DEP_1) | instskip(NEXT) | instid1(VALU_DEP_1)
	v_add_co_u32 v10, s2, s4, v5
	v_add_co_ci_u32_e64 v11, s2, s5, v6, s2
	s_delay_alu instid0(VALU_DEP_4) | instskip(NEXT) | instid1(SALU_CYCLE_1)
	s_and_b32 s2, s1, vcc_lo
	s_and_saveexec_b32 s1, s2
	s_cbranch_execz .LBB311_12
; %bb.10:
	v_ashrrev_i32_e32 v3, 31, v2
	s_delay_alu instid0(VALU_DEP_1) | instskip(NEXT) | instid1(VALU_DEP_1)
	v_lshlrev_b64 v[5:6], 3, v[2:3]
	v_add_co_u32 v5, vcc_lo, v10, v5
	s_delay_alu instid0(VALU_DEP_2)
	v_add_co_ci_u32_e32 v6, vcc_lo, v11, v6, vcc_lo
	v_cmp_eq_u32_e32 vcc_lo, v12, v2
	global_load_b64 v[13:14], v[5:6], off
	s_waitcnt vmcnt(0)
	v_dual_add_f32 v13, v9, v13 :: v_dual_add_f32 v14, v8, v14
	global_store_b64 v[5:6], v[13:14], off
	s_and_b32 exec_lo, exec_lo, vcc_lo
	s_cbranch_execz .LBB311_12
; %bb.11:
	v_mov_b32_e32 v3, 0
	global_store_b32 v[5:6], v3, off offset:4
.LBB311_12:
	s_or_b32 exec_lo, exec_lo, s1
	v_cmp_le_i32_e32 vcc_lo, v12, v4
	s_and_b32 s0, vcc_lo, s0
	s_delay_alu instid0(SALU_CYCLE_1)
	s_and_saveexec_b32 s1, s0
	s_cbranch_execz .LBB311_15
; %bb.13:
	v_ashrrev_i32_e32 v5, 31, v4
	s_delay_alu instid0(VALU_DEP_1) | instskip(NEXT) | instid1(VALU_DEP_1)
	v_lshlrev_b64 v[3:4], 3, v[4:5]
	v_add_co_u32 v3, vcc_lo, v10, v3
	s_delay_alu instid0(VALU_DEP_2)
	v_add_co_ci_u32_e32 v4, vcc_lo, v11, v4, vcc_lo
	v_cmp_eq_u32_e32 vcc_lo, v7, v2
	global_load_b64 v[5:6], v[3:4], off
	s_waitcnt vmcnt(0)
	v_dual_add_f32 v0, v0, v5 :: v_dual_add_f32 v1, v1, v6
	global_store_b64 v[3:4], v[0:1], off
	s_and_b32 exec_lo, exec_lo, vcc_lo
	s_cbranch_execz .LBB311_15
; %bb.14:
	v_mov_b32_e32 v0, 0
	global_store_b32 v[3:4], v0, off offset:4
.LBB311_15:
	s_nop 0
	s_sendmsg sendmsg(MSG_DEALLOC_VGPRS)
	s_endpgm
	.section	.rodata,"a",@progbits
	.p2align	6, 0x0
	.amdhsa_kernel _ZL37rocblas_syrkx_herkx_restricted_kernelIi19rocblas_complex_numIfELi16ELi32ELi8ELi1ELi1ELb1ELc67ELc76EKS1_S1_EviT_PT9_S3_lS5_S3_lPT10_S3_li
		.amdhsa_group_segment_fixed_size 4096
		.amdhsa_private_segment_fixed_size 0
		.amdhsa_kernarg_size 84
		.amdhsa_user_sgpr_count 13
		.amdhsa_user_sgpr_dispatch_ptr 0
		.amdhsa_user_sgpr_queue_ptr 0
		.amdhsa_user_sgpr_kernarg_segment_ptr 1
		.amdhsa_user_sgpr_dispatch_id 0
		.amdhsa_user_sgpr_private_segment_size 0
		.amdhsa_wavefront_size32 1
		.amdhsa_uses_dynamic_stack 0
		.amdhsa_enable_private_segment 0
		.amdhsa_system_sgpr_workgroup_id_x 1
		.amdhsa_system_sgpr_workgroup_id_y 1
		.amdhsa_system_sgpr_workgroup_id_z 1
		.amdhsa_system_sgpr_workgroup_info 0
		.amdhsa_system_vgpr_workitem_id 1
		.amdhsa_next_free_vgpr 91
		.amdhsa_next_free_sgpr 20
		.amdhsa_reserve_vcc 1
		.amdhsa_float_round_mode_32 0
		.amdhsa_float_round_mode_16_64 0
		.amdhsa_float_denorm_mode_32 3
		.amdhsa_float_denorm_mode_16_64 3
		.amdhsa_dx10_clamp 1
		.amdhsa_ieee_mode 1
		.amdhsa_fp16_overflow 0
		.amdhsa_workgroup_processor_mode 1
		.amdhsa_memory_ordered 1
		.amdhsa_forward_progress 0
		.amdhsa_shared_vgpr_count 0
		.amdhsa_exception_fp_ieee_invalid_op 0
		.amdhsa_exception_fp_denorm_src 0
		.amdhsa_exception_fp_ieee_div_zero 0
		.amdhsa_exception_fp_ieee_overflow 0
		.amdhsa_exception_fp_ieee_underflow 0
		.amdhsa_exception_fp_ieee_inexact 0
		.amdhsa_exception_int_div_zero 0
	.end_amdhsa_kernel
	.section	.text._ZL37rocblas_syrkx_herkx_restricted_kernelIi19rocblas_complex_numIfELi16ELi32ELi8ELi1ELi1ELb1ELc67ELc76EKS1_S1_EviT_PT9_S3_lS5_S3_lPT10_S3_li,"axG",@progbits,_ZL37rocblas_syrkx_herkx_restricted_kernelIi19rocblas_complex_numIfELi16ELi32ELi8ELi1ELi1ELb1ELc67ELc76EKS1_S1_EviT_PT9_S3_lS5_S3_lPT10_S3_li,comdat
.Lfunc_end311:
	.size	_ZL37rocblas_syrkx_herkx_restricted_kernelIi19rocblas_complex_numIfELi16ELi32ELi8ELi1ELi1ELb1ELc67ELc76EKS1_S1_EviT_PT9_S3_lS5_S3_lPT10_S3_li, .Lfunc_end311-_ZL37rocblas_syrkx_herkx_restricted_kernelIi19rocblas_complex_numIfELi16ELi32ELi8ELi1ELi1ELb1ELc67ELc76EKS1_S1_EviT_PT9_S3_lS5_S3_lPT10_S3_li
                                        ; -- End function
	.section	.AMDGPU.csdata,"",@progbits
; Kernel info:
; codeLenInByte = 2212
; NumSgprs: 22
; NumVgprs: 91
; ScratchSize: 0
; MemoryBound: 0
; FloatMode: 240
; IeeeMode: 1
; LDSByteSize: 4096 bytes/workgroup (compile time only)
; SGPRBlocks: 2
; VGPRBlocks: 11
; NumSGPRsForWavesPerEU: 22
; NumVGPRsForWavesPerEU: 91
; Occupancy: 16
; WaveLimiterHint : 0
; COMPUTE_PGM_RSRC2:SCRATCH_EN: 0
; COMPUTE_PGM_RSRC2:USER_SGPR: 13
; COMPUTE_PGM_RSRC2:TRAP_HANDLER: 0
; COMPUTE_PGM_RSRC2:TGID_X_EN: 1
; COMPUTE_PGM_RSRC2:TGID_Y_EN: 1
; COMPUTE_PGM_RSRC2:TGID_Z_EN: 1
; COMPUTE_PGM_RSRC2:TIDIG_COMP_CNT: 1
	.section	.text._ZL37rocblas_syrkx_herkx_restricted_kernelIi19rocblas_complex_numIfELi16ELi32ELi8ELi1ELi1ELb1ELc78ELc76EKS1_S1_EviT_PT9_S3_lS5_S3_lPT10_S3_li,"axG",@progbits,_ZL37rocblas_syrkx_herkx_restricted_kernelIi19rocblas_complex_numIfELi16ELi32ELi8ELi1ELi1ELb1ELc78ELc76EKS1_S1_EviT_PT9_S3_lS5_S3_lPT10_S3_li,comdat
	.globl	_ZL37rocblas_syrkx_herkx_restricted_kernelIi19rocblas_complex_numIfELi16ELi32ELi8ELi1ELi1ELb1ELc78ELc76EKS1_S1_EviT_PT9_S3_lS5_S3_lPT10_S3_li ; -- Begin function _ZL37rocblas_syrkx_herkx_restricted_kernelIi19rocblas_complex_numIfELi16ELi32ELi8ELi1ELi1ELb1ELc78ELc76EKS1_S1_EviT_PT9_S3_lS5_S3_lPT10_S3_li
	.p2align	8
	.type	_ZL37rocblas_syrkx_herkx_restricted_kernelIi19rocblas_complex_numIfELi16ELi32ELi8ELi1ELi1ELb1ELc78ELc76EKS1_S1_EviT_PT9_S3_lS5_S3_lPT10_S3_li,@function
_ZL37rocblas_syrkx_herkx_restricted_kernelIi19rocblas_complex_numIfELi16ELi32ELi8ELi1ELi1ELb1ELc78ELc76EKS1_S1_EviT_PT9_S3_lS5_S3_lPT10_S3_li: ; @_ZL37rocblas_syrkx_herkx_restricted_kernelIi19rocblas_complex_numIfELi16ELi32ELi8ELi1ELi1ELb1ELc78ELc76EKS1_S1_EviT_PT9_S3_lS5_S3_lPT10_S3_li
; %bb.0:
	s_clause 0x1
	s_load_b64 s[2:3], s[0:1], 0x0
	s_load_b128 s[4:7], s[0:1], 0x30
	v_dual_mov_b32 v17, 0 :: v_dual_and_b32 v4, 0x3ff, v0
	v_bfe_u32 v5, v0, 10, 10
	v_dual_mov_b32 v16, 0 :: v_dual_mov_b32 v11, 0
	v_dual_mov_b32 v10, 0 :: v_dual_mov_b32 v9, 0
	;; [unrolled: 1-line block ×3, first 2 shown]
	v_mov_b32_e32 v6, 0
	s_lshl_b32 s12, s13, 5
	s_lshl_b32 s13, s14, 5
	s_mov_b32 s14, 0
	s_waitcnt lgkmcnt(0)
	s_cmp_lt_i32 s3, 1
	s_cbranch_scc1 .LBB312_3
; %bb.1:
	s_clause 0x1
	s_load_b32 s16, s[0:1], 0x10
	s_load_b32 s18, s[0:1], 0x28
	v_lshl_add_u32 v0, v5, 4, v4
	v_and_b32_e32 v8, 7, v4
	s_clause 0x1
	s_load_b128 s[8:11], s[0:1], 0x18
	s_load_b64 s[20:21], s[0:1], 0x8
	s_mul_i32 s5, s5, s15
	v_lshrrev_b32_e32 v1, 3, v0
	v_and_b32_e32 v2, 31, v0
	v_lshrrev_b32_e32 v9, 5, v0
	v_lshlrev_b32_e32 v3, 3, v8
	s_delay_alu instid0(VALU_DEP_4) | instskip(NEXT) | instid1(VALU_DEP_4)
	v_dual_mov_b32 v11, 0 :: v_dual_add_nc_u32 v0, s13, v1
	v_dual_mov_b32 v17, 0 :: v_dual_lshlrev_b32 v6, 3, v2
	v_add_nc_u32_e32 v2, s12, v2
	s_delay_alu instid0(VALU_DEP_4) | instskip(NEXT) | instid1(VALU_DEP_4)
	v_lshl_or_b32 v10, v1, 6, v3
	v_ashrrev_i32_e32 v1, 31, v0
	s_delay_alu instid0(VALU_DEP_4)
	v_lshl_or_b32 v12, v9, 8, v6
	v_lshlrev_b32_e32 v14, 3, v4
	v_ashrrev_i32_e32 v3, 31, v2
	s_waitcnt lgkmcnt(0)
	s_ashr_i32 s17, s16, 31
	v_mad_i64_i32 v[6:7], null, s18, v8, v[0:1]
	s_mul_i32 s9, s9, s15
	v_mad_i64_i32 v[0:1], null, s16, v9, v[2:3]
	s_mul_hi_u32 s22, s8, s15
	s_mul_i32 s8, s8, s15
	s_add_i32 s9, s22, s9
	s_ashr_i32 s19, s18, 31
	s_lshl_b64 s[8:9], s[8:9], 3
	v_dual_mov_b32 v8, 0 :: v_dual_add_nc_u32 v13, 0x800, v10
	s_delay_alu instid0(VALU_DEP_2)
	v_lshlrev_b64 v[0:1], 3, v[0:1]
	s_add_u32 s8, s20, s8
	s_addc_u32 s9, s21, s9
	s_mul_hi_u32 s20, s4, s15
	s_mul_i32 s4, s4, s15
	s_add_i32 s5, s20, s5
	v_add_co_u32 v2, vcc_lo, s8, v0
	v_add_co_ci_u32_e32 v3, vcc_lo, s9, v1, vcc_lo
	v_lshlrev_b64 v[0:1], 3, v[6:7]
	s_lshl_b64 s[8:9], s[4:5], 3
	s_lshl_b64 s[4:5], s[16:17], 6
	s_add_u32 s8, s10, s8
	s_addc_u32 s9, s11, s9
	v_lshl_add_u32 v15, v5, 6, 0x800
	v_add_co_u32 v6, vcc_lo, s8, v0
	v_add_co_ci_u32_e32 v7, vcc_lo, s9, v1, vcc_lo
	v_add_co_u32 v0, vcc_lo, v2, 4
	v_add_co_ci_u32_e32 v1, vcc_lo, 0, v3, vcc_lo
	s_delay_alu instid0(VALU_DEP_4) | instskip(NEXT) | instid1(VALU_DEP_4)
	v_add_co_u32 v2, vcc_lo, v6, 4
	v_add_co_ci_u32_e32 v3, vcc_lo, 0, v7, vcc_lo
	v_dual_mov_b32 v6, 0 :: v_dual_mov_b32 v7, 0
	v_dual_mov_b32 v9, 0 :: v_dual_mov_b32 v10, 0
	v_mov_b32_e32 v16, 0
	s_lshl_b64 s[8:9], s[18:19], 6
.LBB312_2:                              ; =>This Inner Loop Header: Depth=1
	global_load_b64 v[18:19], v[2:3], off offset:-4
	global_load_b64 v[20:21], v[0:1], off offset:-4
	v_add_co_u32 v0, vcc_lo, v0, s4
	v_add_co_ci_u32_e32 v1, vcc_lo, s5, v1, vcc_lo
	v_add_co_u32 v2, vcc_lo, v2, s8
	v_add_co_ci_u32_e32 v3, vcc_lo, s9, v3, vcc_lo
	s_add_i32 s14, s14, 8
	s_delay_alu instid0(SALU_CYCLE_1)
	s_cmp_ge_i32 s14, s3
	s_waitcnt vmcnt(1)
	v_xor_b32_e32 v19, 0x80000000, v19
	s_waitcnt vmcnt(0)
	ds_store_b64 v12, v[20:21]
	ds_store_b64 v13, v[18:19]
	s_waitcnt lgkmcnt(0)
	s_barrier
	buffer_gl0_inv
	ds_load_2addr_b64 v[18:21], v14 offset1:16
	ds_load_b128 v[22:25], v15
	ds_load_b128 v[26:29], v15 offset:1024
	ds_load_b128 v[30:33], v15 offset:16
	ds_load_2addr_b64 v[34:37], v14 offset0:32 offset1:48
	ds_load_b128 v[38:41], v15 offset:32
	ds_load_b128 v[42:45], v15 offset:48
	ds_load_2addr_b64 v[46:49], v14 offset0:64 offset1:80
	ds_load_b128 v[50:53], v15 offset:1040
	ds_load_2addr_b64 v[54:57], v14 offset0:96 offset1:112
	ds_load_2addr_b64 v[58:61], v14 offset0:128 offset1:144
	;; [unrolled: 1-line block ×4, first 2 shown]
	ds_load_b128 v[70:73], v15 offset:1056
	ds_load_b128 v[74:77], v15 offset:1072
	ds_load_2addr_b64 v[78:81], v14 offset0:224 offset1:240
	s_waitcnt lgkmcnt(0)
	s_barrier
	buffer_gl0_inv
	v_dual_mul_f32 v82, v23, v19 :: v_dual_mul_f32 v85, v22, v21
	v_dual_mul_f32 v83, v22, v19 :: v_dual_mul_f32 v84, v23, v21
	v_mul_f32_e32 v86, v27, v19
	v_dual_mul_f32 v19, v26, v19 :: v_dual_mul_f32 v90, v25, v37
	v_dual_mul_f32 v87, v27, v21 :: v_dual_mul_f32 v88, v25, v35
	v_mul_f32_e32 v21, v26, v21
	v_mul_f32_e32 v89, v24, v35
	;; [unrolled: 1-line block ×3, first 2 shown]
	v_fma_f32 v82, v22, v18, -v82
	v_fmac_f32_e32 v83, v23, v18
	v_fma_f32 v22, v22, v20, -v84
	v_dual_fmac_f32 v85, v23, v20 :: v_dual_mul_f32 v84, v30, v47
	v_fma_f32 v23, v26, v18, -v86
	v_fmac_f32_e32 v19, v27, v18
	v_fma_f32 v18, v26, v20, -v87
	v_dual_mul_f32 v26, v28, v35 :: v_dual_fmac_f32 v21, v27, v20
	v_mul_f32_e32 v20, v29, v35
	v_mul_f32_e32 v27, v29, v37
	v_dual_mul_f32 v35, v28, v37 :: v_dual_fmac_f32 v84, v31, v46
	v_fma_f32 v37, v24, v34, -v88
	v_fma_f32 v24, v24, v36, -v90
	v_dual_fmac_f32 v91, v25, v36 :: v_dual_mul_f32 v90, v32, v57
	v_dual_mul_f32 v86, v31, v49 :: v_dual_fmac_f32 v89, v25, v34
	v_dual_mul_f32 v25, v31, v47 :: v_dual_mul_f32 v88, v33, v57
	v_fma_f32 v20, v28, v34, -v20
	v_fmac_f32_e32 v26, v29, v34
	v_fma_f32 v27, v28, v36, -v27
	v_dual_fmac_f32 v35, v29, v36 :: v_dual_mul_f32 v28, v51, v47
	v_dual_mul_f32 v29, v50, v47 :: v_dual_mul_f32 v34, v51, v49
	v_mul_f32_e32 v36, v50, v49
	v_mul_f32_e32 v87, v30, v49
	v_mul_f32_e32 v47, v33, v55
	v_dual_mul_f32 v49, v32, v55 :: v_dual_fmac_f32 v90, v33, v56
	v_fma_f32 v25, v30, v46, -v25
	v_fma_f32 v30, v30, v48, -v86
	;; [unrolled: 1-line block ×3, first 2 shown]
	v_fmac_f32_e32 v36, v51, v48
	v_fmac_f32_e32 v87, v31, v48
	v_fma_f32 v31, v50, v48, -v34
	v_mul_f32_e32 v34, v53, v55
	v_mul_f32_e32 v48, v53, v57
	v_dual_mul_f32 v50, v52, v57 :: v_dual_fmac_f32 v29, v51, v46
	v_mul_f32_e32 v46, v52, v55
	v_fma_f32 v47, v32, v54, -v47
	v_fmac_f32_e32 v49, v33, v54
	v_fma_f32 v32, v32, v56, -v88
	s_delay_alu instid0(VALU_DEP_4)
	v_dual_mul_f32 v33, v39, v59 :: v_dual_fmac_f32 v46, v53, v54
	v_mul_f32_e32 v51, v38, v59
	v_mul_f32_e32 v55, v39, v61
	v_fma_f32 v34, v52, v54, -v34
	v_fma_f32 v48, v52, v56, -v48
	v_fmac_f32_e32 v50, v53, v56
	v_mul_f32_e32 v52, v71, v59
	v_dual_mul_f32 v53, v70, v59 :: v_dual_mul_f32 v86, v41, v65
	v_mul_f32_e32 v54, v71, v61
	v_dual_mul_f32 v56, v70, v61 :: v_dual_mul_f32 v59, v41, v63
	v_mul_f32_e32 v57, v38, v61
	v_mul_f32_e32 v61, v40, v63
	v_dual_mul_f32 v88, v40, v65 :: v_dual_fmac_f32 v51, v39, v58
	v_fma_f32 v33, v38, v58, -v33
	v_fmac_f32_e32 v53, v71, v58
	v_fmac_f32_e32 v56, v71, v60
	s_delay_alu instid0(VALU_DEP_4)
	v_fmac_f32_e32 v88, v41, v64
	v_fmac_f32_e32 v57, v39, v60
	v_fma_f32 v39, v70, v58, -v52
	v_fma_f32 v52, v70, v60, -v54
	v_mul_f32_e32 v54, v73, v63
	v_fma_f32 v38, v38, v60, -v55
	v_mul_f32_e32 v60, v72, v65
	v_dual_mul_f32 v55, v72, v63 :: v_dual_mul_f32 v70, v42, v69
	v_mul_f32_e32 v58, v73, v65
	v_fma_f32 v59, v40, v62, -v59
	v_fmac_f32_e32 v61, v41, v62
	v_fma_f32 v40, v40, v64, -v86
	v_dual_mul_f32 v41, v43, v67 :: v_dual_fmac_f32 v60, v73, v64
	v_dual_mul_f32 v63, v42, v67 :: v_dual_mul_f32 v86, v44, v81
	v_mul_f32_e32 v65, v43, v69
	v_fma_f32 v54, v72, v62, -v54
	v_fmac_f32_e32 v55, v73, v62
	v_fma_f32 v58, v72, v64, -v58
	v_mul_f32_e32 v72, v44, v79
	v_mul_f32_e32 v62, v75, v67
	v_dual_mul_f32 v64, v74, v67 :: v_dual_mul_f32 v67, v75, v69
	v_dual_mul_f32 v69, v74, v69 :: v_dual_fmac_f32 v70, v43, v68
	s_delay_alu instid0(VALU_DEP_2)
	v_dual_mul_f32 v71, v45, v79 :: v_dual_fmac_f32 v64, v75, v66
	v_fma_f32 v41, v42, v66, -v41
	v_fmac_f32_e32 v63, v43, v66
	v_fma_f32 v42, v42, v68, -v65
	v_fma_f32 v43, v74, v66, -v62
	v_dual_fmac_f32 v69, v75, v68 :: v_dual_fmac_f32 v72, v45, v78
	v_mul_f32_e32 v66, v76, v79
	v_fma_f32 v62, v74, v68, -v67
	v_mul_f32_e32 v68, v76, v81
	v_dual_mul_f32 v73, v45, v81 :: v_dual_add_f32 v16, v16, v82
	v_dual_mul_f32 v65, v77, v79 :: v_dual_add_f32 v10, v10, v85
	;; [unrolled: 1-line block ×3, first 2 shown]
	v_dual_fmac_f32 v86, v45, v80 :: v_dual_add_f32 v11, v11, v22
	v_dual_fmac_f32 v68, v77, v80 :: v_dual_add_f32 v7, v7, v18
	v_dual_add_f32 v17, v17, v83 :: v_dual_add_f32 v6, v6, v21
	v_dual_add_f32 v9, v9, v23 :: v_dual_add_f32 v16, v16, v37
	s_delay_alu instid0(VALU_DEP_4) | instskip(NEXT) | instid1(VALU_DEP_3)
	v_dual_fmac_f32 v66, v77, v78 :: v_dual_add_f32 v11, v11, v24
	v_dual_add_f32 v17, v17, v89 :: v_dual_add_f32 v10, v10, v91
	s_delay_alu instid0(VALU_DEP_3) | instskip(NEXT) | instid1(VALU_DEP_4)
	v_dual_add_f32 v9, v9, v20 :: v_dual_add_f32 v8, v8, v26
	v_dual_add_f32 v7, v7, v27 :: v_dual_add_f32 v16, v16, v25
	s_delay_alu instid0(VALU_DEP_3) | instskip(NEXT) | instid1(VALU_DEP_4)
	v_dual_add_f32 v6, v6, v35 :: v_dual_add_f32 v17, v17, v84
	v_dual_add_f32 v11, v11, v30 :: v_dual_add_f32 v10, v10, v87
	s_delay_alu instid0(VALU_DEP_4) | instskip(NEXT) | instid1(VALU_DEP_3)
	v_dual_add_f32 v9, v9, v28 :: v_dual_add_f32 v8, v8, v29
	v_dual_add_f32 v7, v7, v31 :: v_dual_add_f32 v6, v6, v36
	s_delay_alu instid0(VALU_DEP_4) | instskip(NEXT) | instid1(VALU_DEP_4)
	v_dual_add_f32 v16, v16, v47 :: v_dual_add_f32 v17, v17, v49
	v_dual_add_f32 v11, v11, v32 :: v_dual_add_f32 v10, v10, v90
	s_delay_alu instid0(VALU_DEP_2) | instskip(NEXT) | instid1(VALU_DEP_4)
	v_dual_add_f32 v9, v9, v34 :: v_dual_add_f32 v16, v16, v33
	v_dual_add_f32 v8, v8, v46 :: v_dual_add_f32 v7, v7, v48
	s_delay_alu instid0(VALU_DEP_4) | instskip(NEXT) | instid1(VALU_DEP_4)
	v_dual_add_f32 v6, v6, v50 :: v_dual_add_f32 v17, v17, v51
	v_dual_add_f32 v11, v11, v38 :: v_dual_add_f32 v10, v10, v57
	s_delay_alu instid0(VALU_DEP_3) | instskip(NEXT) | instid1(VALU_DEP_4)
	v_dual_add_f32 v9, v9, v39 :: v_dual_add_f32 v8, v8, v53
	v_dual_add_f32 v7, v7, v52 :: v_dual_add_f32 v16, v16, v59
	s_delay_alu instid0(VALU_DEP_4) | instskip(NEXT) | instid1(VALU_DEP_3)
	v_dual_add_f32 v6, v6, v56 :: v_dual_add_f32 v17, v17, v61
	v_dual_add_f32 v11, v11, v40 :: v_dual_add_f32 v8, v8, v55
	s_delay_alu instid0(VALU_DEP_4) | instskip(NEXT) | instid1(VALU_DEP_3)
	v_dual_add_f32 v10, v10, v88 :: v_dual_add_f32 v9, v9, v54
	v_dual_add_f32 v7, v7, v58 :: v_dual_add_f32 v6, v6, v60
	v_fma_f32 v71, v44, v78, -v71
	v_fma_f32 v44, v44, v80, -v73
	;; [unrolled: 1-line block ×4, first 2 shown]
	v_dual_add_f32 v16, v16, v41 :: v_dual_add_f32 v17, v17, v63
	v_dual_add_f32 v11, v11, v42 :: v_dual_add_f32 v8, v8, v64
	;; [unrolled: 1-line block ×4, first 2 shown]
	s_delay_alu instid0(VALU_DEP_4) | instskip(NEXT) | instid1(VALU_DEP_3)
	v_dual_add_f32 v16, v16, v71 :: v_dual_add_f32 v17, v17, v72
	v_dual_add_f32 v11, v11, v44 :: v_dual_add_f32 v10, v10, v86
	s_delay_alu instid0(VALU_DEP_4) | instskip(NEXT) | instid1(VALU_DEP_4)
	v_dual_add_f32 v9, v9, v45 :: v_dual_add_f32 v8, v8, v66
	v_dual_add_f32 v7, v7, v65 :: v_dual_add_f32 v6, v6, v68
	s_cbranch_scc0 .LBB312_2
.LBB312_3:
	s_clause 0x1
	s_load_b32 s3, s[0:1], 0x40
	s_load_b64 s[4:5], s[0:1], 0x48
	v_add_nc_u32_e32 v5, s13, v5
	v_add_nc_u32_e32 v0, s12, v4
	s_delay_alu instid0(VALU_DEP_1)
	v_cmp_le_i32_e64 s0, v5, v0
	v_cmp_gt_i32_e32 vcc_lo, s2, v0
	s_waitcnt lgkmcnt(0)
	v_mad_i64_i32 v[1:2], null, v5, s3, 0
	s_mul_i32 s1, s15, s5
	s_mul_hi_u32 s5, s15, s4
	s_mul_i32 s4, s15, s4
	s_add_i32 s5, s5, s1
	s_delay_alu instid0(SALU_CYCLE_1) | instskip(NEXT) | instid1(VALU_DEP_1)
	s_lshl_b64 s[4:5], s[4:5], 3
	v_lshlrev_b64 v[1:2], 3, v[1:2]
	s_add_u32 s4, s6, s4
	s_addc_u32 s5, s7, s5
	s_and_b32 s0, s0, vcc_lo
	s_delay_alu instid0(VALU_DEP_1) | instskip(NEXT) | instid1(VALU_DEP_1)
	v_add_co_u32 v4, s1, s4, v1
	v_add_co_ci_u32_e64 v12, s1, s5, v2, s1
	s_and_saveexec_b32 s1, s0
	s_cbranch_execz .LBB312_6
; %bb.4:
	v_ashrrev_i32_e32 v1, 31, v0
	s_delay_alu instid0(VALU_DEP_1) | instskip(NEXT) | instid1(VALU_DEP_1)
	v_lshlrev_b64 v[1:2], 3, v[0:1]
	v_add_co_u32 v1, s0, v4, v1
	s_delay_alu instid0(VALU_DEP_1)
	v_add_co_ci_u32_e64 v2, s0, v12, v2, s0
	v_cmp_eq_u32_e64 s0, v5, v0
	global_load_b64 v[13:14], v[1:2], off
	s_waitcnt vmcnt(0)
	v_dual_add_f32 v13, v16, v13 :: v_dual_add_f32 v14, v17, v14
	global_store_b64 v[1:2], v[13:14], off
	s_and_b32 exec_lo, exec_lo, s0
	s_cbranch_execz .LBB312_6
; %bb.5:
	v_mov_b32_e32 v3, 0
	global_store_b32 v[1:2], v3, off offset:4
.LBB312_6:
	s_or_b32 exec_lo, exec_lo, s1
	v_add_nc_u32_e32 v2, 16, v0
	s_delay_alu instid0(VALU_DEP_1) | instskip(SKIP_1) | instid1(VALU_DEP_1)
	v_cmp_le_i32_e64 s1, v5, v2
	v_cmp_gt_i32_e64 s0, s2, v2
	s_and_b32 s1, s1, s0
	s_delay_alu instid0(SALU_CYCLE_1)
	s_and_saveexec_b32 s2, s1
	s_cbranch_execz .LBB312_9
; %bb.7:
	v_ashrrev_i32_e32 v3, 31, v2
	s_delay_alu instid0(VALU_DEP_1) | instskip(NEXT) | instid1(VALU_DEP_1)
	v_lshlrev_b64 v[13:14], 3, v[2:3]
	v_add_co_u32 v3, s1, v4, v13
	s_delay_alu instid0(VALU_DEP_1)
	v_add_co_ci_u32_e64 v4, s1, v12, v14, s1
	v_cmp_eq_u32_e64 s1, v5, v2
	global_load_b64 v[12:13], v[3:4], off
	s_waitcnt vmcnt(0)
	v_dual_add_f32 v11, v11, v12 :: v_dual_add_f32 v12, v10, v13
	global_store_b64 v[3:4], v[11:12], off
	s_and_b32 exec_lo, exec_lo, s1
	s_cbranch_execz .LBB312_9
; %bb.8:
	v_mov_b32_e32 v1, 0
	global_store_b32 v[3:4], v1, off offset:4
.LBB312_9:
	s_or_b32 exec_lo, exec_lo, s2
	v_add_nc_u32_e32 v12, 16, v5
	s_delay_alu instid0(VALU_DEP_1) | instskip(SKIP_1) | instid1(VALU_DEP_2)
	v_mad_i64_i32 v[3:4], null, v12, s3, 0
	v_cmp_le_i32_e64 s1, v12, v0
	v_lshlrev_b64 v[3:4], 3, v[3:4]
	s_delay_alu instid0(VALU_DEP_1) | instskip(NEXT) | instid1(VALU_DEP_1)
	v_add_co_u32 v10, s2, s4, v3
	v_add_co_ci_u32_e64 v11, s2, s5, v4, s2
	s_delay_alu instid0(VALU_DEP_4) | instskip(NEXT) | instid1(SALU_CYCLE_1)
	s_and_b32 s2, s1, vcc_lo
	s_and_saveexec_b32 s1, s2
	s_cbranch_execz .LBB312_12
; %bb.10:
	v_ashrrev_i32_e32 v1, 31, v0
	s_delay_alu instid0(VALU_DEP_1) | instskip(NEXT) | instid1(VALU_DEP_1)
	v_lshlrev_b64 v[3:4], 3, v[0:1]
	v_add_co_u32 v3, vcc_lo, v10, v3
	s_delay_alu instid0(VALU_DEP_2)
	v_add_co_ci_u32_e32 v4, vcc_lo, v11, v4, vcc_lo
	v_cmp_eq_u32_e32 vcc_lo, v12, v0
	global_load_b64 v[13:14], v[3:4], off
	s_waitcnt vmcnt(0)
	v_dual_add_f32 v13, v9, v13 :: v_dual_add_f32 v14, v8, v14
	global_store_b64 v[3:4], v[13:14], off
	s_and_b32 exec_lo, exec_lo, vcc_lo
	s_cbranch_execz .LBB312_12
; %bb.11:
	v_mov_b32_e32 v1, 0
	global_store_b32 v[3:4], v1, off offset:4
.LBB312_12:
	s_or_b32 exec_lo, exec_lo, s1
	v_cmp_le_i32_e32 vcc_lo, v12, v2
	s_and_b32 s0, vcc_lo, s0
	s_delay_alu instid0(SALU_CYCLE_1)
	s_and_saveexec_b32 s1, s0
	s_cbranch_execz .LBB312_15
; %bb.13:
	v_ashrrev_i32_e32 v3, 31, v2
	s_delay_alu instid0(VALU_DEP_1) | instskip(NEXT) | instid1(VALU_DEP_1)
	v_lshlrev_b64 v[1:2], 3, v[2:3]
	v_add_co_u32 v1, vcc_lo, v10, v1
	s_delay_alu instid0(VALU_DEP_2)
	v_add_co_ci_u32_e32 v2, vcc_lo, v11, v2, vcc_lo
	v_cmp_eq_u32_e32 vcc_lo, v5, v0
	global_load_b64 v[3:4], v[1:2], off
	s_waitcnt vmcnt(0)
	v_dual_add_f32 v3, v7, v3 :: v_dual_add_f32 v4, v6, v4
	global_store_b64 v[1:2], v[3:4], off
	s_and_b32 exec_lo, exec_lo, vcc_lo
	s_cbranch_execz .LBB312_15
; %bb.14:
	v_mov_b32_e32 v0, 0
	global_store_b32 v[1:2], v0, off offset:4
.LBB312_15:
	s_nop 0
	s_sendmsg sendmsg(MSG_DEALLOC_VGPRS)
	s_endpgm
	.section	.rodata,"a",@progbits
	.p2align	6, 0x0
	.amdhsa_kernel _ZL37rocblas_syrkx_herkx_restricted_kernelIi19rocblas_complex_numIfELi16ELi32ELi8ELi1ELi1ELb1ELc78ELc76EKS1_S1_EviT_PT9_S3_lS5_S3_lPT10_S3_li
		.amdhsa_group_segment_fixed_size 4096
		.amdhsa_private_segment_fixed_size 0
		.amdhsa_kernarg_size 84
		.amdhsa_user_sgpr_count 13
		.amdhsa_user_sgpr_dispatch_ptr 0
		.amdhsa_user_sgpr_queue_ptr 0
		.amdhsa_user_sgpr_kernarg_segment_ptr 1
		.amdhsa_user_sgpr_dispatch_id 0
		.amdhsa_user_sgpr_private_segment_size 0
		.amdhsa_wavefront_size32 1
		.amdhsa_uses_dynamic_stack 0
		.amdhsa_enable_private_segment 0
		.amdhsa_system_sgpr_workgroup_id_x 1
		.amdhsa_system_sgpr_workgroup_id_y 1
		.amdhsa_system_sgpr_workgroup_id_z 1
		.amdhsa_system_sgpr_workgroup_info 0
		.amdhsa_system_vgpr_workitem_id 1
		.amdhsa_next_free_vgpr 92
		.amdhsa_next_free_sgpr 23
		.amdhsa_reserve_vcc 1
		.amdhsa_float_round_mode_32 0
		.amdhsa_float_round_mode_16_64 0
		.amdhsa_float_denorm_mode_32 3
		.amdhsa_float_denorm_mode_16_64 3
		.amdhsa_dx10_clamp 1
		.amdhsa_ieee_mode 1
		.amdhsa_fp16_overflow 0
		.amdhsa_workgroup_processor_mode 1
		.amdhsa_memory_ordered 1
		.amdhsa_forward_progress 0
		.amdhsa_shared_vgpr_count 0
		.amdhsa_exception_fp_ieee_invalid_op 0
		.amdhsa_exception_fp_denorm_src 0
		.amdhsa_exception_fp_ieee_div_zero 0
		.amdhsa_exception_fp_ieee_overflow 0
		.amdhsa_exception_fp_ieee_underflow 0
		.amdhsa_exception_fp_ieee_inexact 0
		.amdhsa_exception_int_div_zero 0
	.end_amdhsa_kernel
	.section	.text._ZL37rocblas_syrkx_herkx_restricted_kernelIi19rocblas_complex_numIfELi16ELi32ELi8ELi1ELi1ELb1ELc78ELc76EKS1_S1_EviT_PT9_S3_lS5_S3_lPT10_S3_li,"axG",@progbits,_ZL37rocblas_syrkx_herkx_restricted_kernelIi19rocblas_complex_numIfELi16ELi32ELi8ELi1ELi1ELb1ELc78ELc76EKS1_S1_EviT_PT9_S3_lS5_S3_lPT10_S3_li,comdat
.Lfunc_end312:
	.size	_ZL37rocblas_syrkx_herkx_restricted_kernelIi19rocblas_complex_numIfELi16ELi32ELi8ELi1ELi1ELb1ELc78ELc76EKS1_S1_EviT_PT9_S3_lS5_S3_lPT10_S3_li, .Lfunc_end312-_ZL37rocblas_syrkx_herkx_restricted_kernelIi19rocblas_complex_numIfELi16ELi32ELi8ELi1ELi1ELb1ELc78ELc76EKS1_S1_EviT_PT9_S3_lS5_S3_lPT10_S3_li
                                        ; -- End function
	.section	.AMDGPU.csdata,"",@progbits
; Kernel info:
; codeLenInByte = 2264
; NumSgprs: 25
; NumVgprs: 92
; ScratchSize: 0
; MemoryBound: 0
; FloatMode: 240
; IeeeMode: 1
; LDSByteSize: 4096 bytes/workgroup (compile time only)
; SGPRBlocks: 3
; VGPRBlocks: 11
; NumSGPRsForWavesPerEU: 25
; NumVGPRsForWavesPerEU: 92
; Occupancy: 16
; WaveLimiterHint : 0
; COMPUTE_PGM_RSRC2:SCRATCH_EN: 0
; COMPUTE_PGM_RSRC2:USER_SGPR: 13
; COMPUTE_PGM_RSRC2:TRAP_HANDLER: 0
; COMPUTE_PGM_RSRC2:TGID_X_EN: 1
; COMPUTE_PGM_RSRC2:TGID_Y_EN: 1
; COMPUTE_PGM_RSRC2:TGID_Z_EN: 1
; COMPUTE_PGM_RSRC2:TIDIG_COMP_CNT: 1
	.section	.text._ZL37rocblas_syrkx_herkx_restricted_kernelIi19rocblas_complex_numIfELi16ELi32ELi8ELi1ELi1ELb1ELc84ELc85EKS1_S1_EviT_PT9_S3_lS5_S3_lPT10_S3_li,"axG",@progbits,_ZL37rocblas_syrkx_herkx_restricted_kernelIi19rocblas_complex_numIfELi16ELi32ELi8ELi1ELi1ELb1ELc84ELc85EKS1_S1_EviT_PT9_S3_lS5_S3_lPT10_S3_li,comdat
	.globl	_ZL37rocblas_syrkx_herkx_restricted_kernelIi19rocblas_complex_numIfELi16ELi32ELi8ELi1ELi1ELb1ELc84ELc85EKS1_S1_EviT_PT9_S3_lS5_S3_lPT10_S3_li ; -- Begin function _ZL37rocblas_syrkx_herkx_restricted_kernelIi19rocblas_complex_numIfELi16ELi32ELi8ELi1ELi1ELb1ELc84ELc85EKS1_S1_EviT_PT9_S3_lS5_S3_lPT10_S3_li
	.p2align	8
	.type	_ZL37rocblas_syrkx_herkx_restricted_kernelIi19rocblas_complex_numIfELi16ELi32ELi8ELi1ELi1ELb1ELc84ELc85EKS1_S1_EviT_PT9_S3_lS5_S3_lPT10_S3_li,@function
_ZL37rocblas_syrkx_herkx_restricted_kernelIi19rocblas_complex_numIfELi16ELi32ELi8ELi1ELi1ELb1ELc84ELc85EKS1_S1_EviT_PT9_S3_lS5_S3_lPT10_S3_li: ; @_ZL37rocblas_syrkx_herkx_restricted_kernelIi19rocblas_complex_numIfELi16ELi32ELi8ELi1ELi1ELb1ELc84ELc85EKS1_S1_EviT_PT9_S3_lS5_S3_lPT10_S3_li
; %bb.0:
	s_clause 0x1
	s_load_b64 s[2:3], s[0:1], 0x0
	s_load_b128 s[4:7], s[0:1], 0x30
	v_dual_mov_b32 v15, 0 :: v_dual_and_b32 v6, 0x3ff, v0
	v_bfe_u32 v7, v0, 10, 10
	v_dual_mov_b32 v16, 0 :: v_dual_mov_b32 v11, 0
	v_dual_mov_b32 v12, 0 :: v_dual_mov_b32 v9, 0
	;; [unrolled: 1-line block ×3, first 2 shown]
	v_mov_b32_e32 v0, 0
	s_lshl_b32 s12, s13, 5
	s_lshl_b32 s13, s14, 5
	s_mov_b32 s14, 0
	s_waitcnt lgkmcnt(0)
	s_cmp_lt_i32 s3, 1
	s_cbranch_scc1 .LBB313_3
; %bb.1:
	s_clause 0x3
	s_load_b32 s18, s[0:1], 0x10
	s_load_b128 s[8:11], s[0:1], 0x18
	s_load_b64 s[16:17], s[0:1], 0x8
	s_load_b32 s19, s[0:1], 0x28
	v_lshl_add_u32 v2, v7, 4, v6
	v_dual_mov_b32 v1, 0 :: v_dual_and_b32 v0, 7, v6
	v_lshlrev_b32_e32 v10, 3, v6
	s_mul_i32 s5, s5, s15
	s_delay_alu instid0(VALU_DEP_3)
	v_lshrrev_b32_e32 v4, 3, v2
	v_and_b32_e32 v5, 31, v2
	v_lshlrev_b32_e32 v3, 3, v0
	v_lshrrev_b32_e32 v2, 5, v2
	v_lshl_add_u32 v17, v7, 6, 0x800
	v_add_nc_u32_e32 v12, s13, v4
	v_add_nc_u32_e32 v11, s12, v5
	v_lshl_or_b32 v9, v4, 6, v3
	v_dual_mov_b32 v3, v1 :: v_dual_lshlrev_b32 v8, 3, v5
	v_mov_b32_e32 v16, v1
	s_delay_alu instid0(VALU_DEP_3) | instskip(SKIP_1) | instid1(VALU_DEP_3)
	v_dual_mov_b32 v15, v1 :: v_dual_add_nc_u32 v14, 0x800, v9
	s_waitcnt lgkmcnt(0)
	v_mad_i64_i32 v[4:5], null, s18, v11, v[2:3]
	s_mul_i32 s9, s9, s15
	s_mul_hi_u32 s18, s8, s15
	v_mov_b32_e32 v9, v1
	v_lshl_or_b32 v13, v2, 8, v8
	v_mov_b32_e32 v11, v1
	v_mad_i64_i32 v[2:3], null, s19, v12, v[0:1]
	s_mul_i32 s8, s8, s15
	s_add_i32 s9, s18, s9
	v_lshlrev_b64 v[4:5], 3, v[4:5]
	s_lshl_b64 s[8:9], s[8:9], 3
	v_mov_b32_e32 v12, v1
	s_add_u32 s8, s16, s8
	s_mul_hi_u32 s16, s4, s15
	s_addc_u32 s9, s17, s9
	s_add_i32 s5, s16, s5
	s_mul_i32 s4, s4, s15
	v_lshlrev_b64 v[2:3], 3, v[2:3]
	s_lshl_b64 s[4:5], s[4:5], 3
	v_add_co_u32 v0, vcc_lo, s8, v4
	s_add_u32 s4, s10, s4
	v_add_co_ci_u32_e32 v4, vcc_lo, s9, v5, vcc_lo
	s_addc_u32 s5, s11, s5
	v_add_co_u32 v5, vcc_lo, s4, v2
	v_add_co_ci_u32_e32 v8, vcc_lo, s5, v3, vcc_lo
	v_add_co_u32 v2, vcc_lo, v0, 4
	v_add_co_ci_u32_e32 v3, vcc_lo, 0, v4, vcc_lo
	s_delay_alu instid0(VALU_DEP_4) | instskip(NEXT) | instid1(VALU_DEP_4)
	v_add_co_u32 v4, vcc_lo, v5, 4
	v_add_co_ci_u32_e32 v5, vcc_lo, 0, v8, vcc_lo
	v_mov_b32_e32 v0, v1
	v_mov_b32_e32 v8, v1
.LBB313_2:                              ; =>This Inner Loop Header: Depth=1
	global_load_b64 v[18:19], v[2:3], off offset:-4
	global_load_b64 v[20:21], v[4:5], off offset:-4
	v_add_co_u32 v2, vcc_lo, v2, 64
	v_add_co_ci_u32_e32 v3, vcc_lo, 0, v3, vcc_lo
	v_add_co_u32 v4, vcc_lo, v4, 64
	v_add_co_ci_u32_e32 v5, vcc_lo, 0, v5, vcc_lo
	s_add_i32 s14, s14, 8
	s_waitcnt vmcnt(1)
	ds_store_b64 v13, v[18:19]
	s_waitcnt vmcnt(0)
	ds_store_b64 v14, v[20:21]
	s_waitcnt lgkmcnt(0)
	s_barrier
	buffer_gl0_inv
	ds_load_2addr_b64 v[18:21], v10 offset1:16
	ds_load_b128 v[22:25], v17
	ds_load_b128 v[26:29], v17 offset:1024
	ds_load_b128 v[30:33], v17 offset:16
	ds_load_2addr_b64 v[34:37], v10 offset0:32 offset1:48
	ds_load_b128 v[38:41], v17 offset:32
	ds_load_b128 v[42:45], v17 offset:48
	ds_load_2addr_b64 v[46:49], v10 offset0:64 offset1:80
	ds_load_b128 v[50:53], v17 offset:1040
	ds_load_2addr_b64 v[54:57], v10 offset0:96 offset1:112
	ds_load_2addr_b64 v[58:61], v10 offset0:128 offset1:144
	;; [unrolled: 1-line block ×4, first 2 shown]
	ds_load_b128 v[70:73], v17 offset:1056
	ds_load_b128 v[74:77], v17 offset:1072
	ds_load_2addr_b64 v[78:81], v10 offset0:224 offset1:240
	s_cmp_ge_i32 s14, s3
	s_waitcnt lgkmcnt(0)
	s_barrier
	buffer_gl0_inv
	v_dual_mul_f32 v82, v23, v19 :: v_dual_mul_f32 v85, v22, v21
	v_dual_mul_f32 v83, v22, v19 :: v_dual_mul_f32 v84, v23, v21
	v_mul_f32_e32 v86, v27, v19
	v_dual_mul_f32 v19, v26, v19 :: v_dual_mul_f32 v90, v25, v37
	v_dual_mul_f32 v87, v27, v21 :: v_dual_mul_f32 v88, v25, v35
	v_mul_f32_e32 v21, v26, v21
	v_fma_f32 v82, v22, v18, -v82
	v_fmac_f32_e32 v83, v23, v18
	v_fma_f32 v22, v22, v20, -v84
	v_fmac_f32_e32 v85, v23, v20
	v_fma_f32 v23, v26, v18, -v86
	v_dual_fmac_f32 v19, v27, v18 :: v_dual_mul_f32 v86, v30, v47
	v_fma_f32 v18, v26, v20, -v87
	v_dual_fmac_f32 v21, v27, v20 :: v_dual_mul_f32 v20, v24, v37
	v_mul_f32_e32 v89, v24, v35
	v_mul_f32_e32 v26, v29, v35
	;; [unrolled: 1-line block ×4, first 2 shown]
	v_fmac_f32_e32 v20, v25, v36
	v_fmac_f32_e32 v89, v25, v34
	v_dual_mul_f32 v25, v28, v37 :: v_dual_fmac_f32 v86, v31, v46
	v_fma_f32 v84, v24, v34, -v88
	v_fma_f32 v24, v24, v36, -v90
	v_dual_mul_f32 v37, v31, v47 :: v_dual_mul_f32 v90, v33, v57
	v_fma_f32 v26, v28, v34, -v26
	v_fma_f32 v28, v28, v36, -v35
	v_fmac_f32_e32 v25, v29, v36
	v_dual_mul_f32 v35, v50, v47 :: v_dual_mul_f32 v36, v51, v49
	v_dual_fmac_f32 v27, v29, v34 :: v_dual_mul_f32 v34, v51, v47
	v_dual_mul_f32 v88, v32, v55 :: v_dual_mul_f32 v29, v30, v49
	v_mul_f32_e32 v87, v31, v49
	v_fma_f32 v37, v30, v46, -v37
	v_add_f32_e32 v16, v16, v83
	s_delay_alu instid0(VALU_DEP_4)
	v_dual_fmac_f32 v88, v33, v54 :: v_dual_fmac_f32 v29, v31, v48
	v_fma_f32 v31, v50, v46, -v34
	v_fma_f32 v34, v50, v48, -v36
	v_mul_f32_e32 v36, v32, v57
	v_mul_f32_e32 v47, v50, v49
	v_dual_mul_f32 v50, v53, v57 :: v_dual_fmac_f32 v35, v51, v46
	v_mul_f32_e32 v46, v53, v55
	v_mul_f32_e32 v49, v33, v55
	v_fma_f32 v30, v30, v48, -v87
	v_fmac_f32_e32 v36, v33, v56
	v_dual_fmac_f32 v47, v51, v48 :: v_dual_mul_f32 v48, v52, v55
	v_mul_f32_e32 v33, v52, v57
	v_fma_f32 v46, v52, v54, -v46
	v_fma_f32 v50, v52, v56, -v50
	v_mul_f32_e32 v52, v38, v61
	v_fma_f32 v49, v32, v54, -v49
	v_fma_f32 v32, v32, v56, -v90
	v_dual_mul_f32 v51, v39, v59 :: v_dual_fmac_f32 v48, v53, v54
	v_mul_f32_e32 v54, v70, v59
	v_dual_mul_f32 v55, v38, v59 :: v_dual_fmac_f32 v52, v39, v60
	v_fmac_f32_e32 v33, v53, v56
	v_mul_f32_e32 v53, v71, v59
	v_mul_f32_e32 v56, v71, v61
	;; [unrolled: 1-line block ×3, first 2 shown]
	v_fmac_f32_e32 v54, v71, v58
	v_fmac_f32_e32 v55, v39, v58
	v_fma_f32 v39, v70, v58, -v53
	v_fma_f32 v53, v70, v60, -v56
	v_mul_f32_e32 v56, v40, v65
	v_mul_f32_e32 v59, v70, v61
	v_fma_f32 v51, v38, v58, -v51
	v_mul_f32_e32 v58, v72, v63
	v_mul_f32_e32 v87, v40, v63
	;; [unrolled: 1-line block ×4, first 2 shown]
	v_fma_f32 v38, v38, v60, -v57
	v_mul_f32_e32 v57, v73, v63
	v_fmac_f32_e32 v56, v41, v64
	v_dual_fmac_f32 v59, v71, v60 :: v_dual_mul_f32 v60, v73, v65
	v_mul_f32_e32 v63, v43, v67
	v_mul_f32_e32 v70, v43, v69
	v_fmac_f32_e32 v58, v73, v62
	v_fmac_f32_e32 v87, v41, v62
	v_mul_f32_e32 v41, v72, v65
	v_fma_f32 v61, v40, v62, -v61
	v_fma_f32 v40, v40, v64, -v90
	v_mul_f32_e32 v65, v42, v67
	v_fma_f32 v57, v72, v62, -v57
	v_fma_f32 v60, v72, v64, -v60
	v_dual_fmac_f32 v41, v73, v64 :: v_dual_mul_f32 v62, v42, v69
	v_mul_f32_e32 v64, v75, v67
	v_fma_f32 v63, v42, v66, -v63
	v_fma_f32 v42, v42, v68, -v70
	v_mul_f32_e32 v70, v76, v79
	v_mul_f32_e32 v67, v74, v67
	;; [unrolled: 1-line block ×3, first 2 shown]
	v_dual_mul_f32 v69, v74, v69 :: v_dual_add_f32 v12, v12, v22
	v_mul_f32_e32 v73, v44, v79
	v_dual_fmac_f32 v65, v43, v66 :: v_dual_add_f32 v8, v8, v19
	v_fmac_f32_e32 v62, v43, v68
	v_fma_f32 v43, v74, v66, -v64
	v_fmac_f32_e32 v70, v77, v78
	v_dual_fmac_f32 v67, v75, v66 :: v_dual_add_f32 v16, v16, v89
	v_mul_f32_e32 v66, v44, v81
	v_mul_f32_e32 v72, v45, v79
	v_dual_mul_f32 v90, v45, v81 :: v_dual_fmac_f32 v69, v75, v68
	v_add_f32_e32 v0, v0, v18
	v_dual_fmac_f32 v73, v45, v78 :: v_dual_add_f32 v8, v8, v27
	v_dual_fmac_f32 v66, v45, v80 :: v_dual_mul_f32 v45, v76, v81
	v_fma_f32 v64, v74, v68, -v71
	v_dual_mul_f32 v71, v77, v81 :: v_dual_add_f32 v12, v12, v24
	v_dual_add_f32 v15, v15, v82 :: v_dual_add_f32 v0, v0, v28
	s_delay_alu instid0(VALU_DEP_4) | instskip(NEXT) | instid1(VALU_DEP_3)
	v_dual_fmac_f32 v45, v77, v80 :: v_dual_add_f32 v16, v16, v86
	v_dual_add_f32 v11, v11, v85 :: v_dual_add_f32 v12, v12, v30
	s_delay_alu instid0(VALU_DEP_3) | instskip(SKIP_2) | instid1(VALU_DEP_3)
	v_dual_add_f32 v9, v9, v23 :: v_dual_add_f32 v0, v0, v34
	v_dual_add_f32 v1, v1, v21 :: v_dual_add_f32 v8, v8, v35
	v_add_f32_e32 v15, v15, v84
	v_dual_add_f32 v9, v9, v26 :: v_dual_add_f32 v16, v16, v88
	v_add_f32_e32 v11, v11, v20
	s_delay_alu instid0(VALU_DEP_4) | instskip(NEXT) | instid1(VALU_DEP_3)
	v_dual_add_f32 v1, v1, v25 :: v_dual_add_f32 v12, v12, v32
	v_dual_add_f32 v8, v8, v48 :: v_dual_add_f32 v9, v9, v31
	;; [unrolled: 1-line block ×3, first 2 shown]
	s_delay_alu instid0(VALU_DEP_3) | instskip(SKIP_1) | instid1(VALU_DEP_3)
	v_add_f32_e32 v1, v1, v47
	v_dual_add_f32 v16, v16, v55 :: v_dual_add_f32 v11, v11, v29
	v_dual_add_f32 v12, v12, v38 :: v_dual_add_f32 v15, v15, v49
	v_add_f32_e32 v8, v8, v54
	s_delay_alu instid0(VALU_DEP_3) | instskip(NEXT) | instid1(VALU_DEP_3)
	v_dual_add_f32 v16, v16, v87 :: v_dual_add_f32 v11, v11, v36
	v_dual_add_f32 v9, v9, v46 :: v_dual_add_f32 v12, v12, v40
	v_add_f32_e32 v0, v0, v53
	v_add_f32_e32 v1, v1, v33
	s_delay_alu instid0(VALU_DEP_4) | instskip(SKIP_3) | instid1(VALU_DEP_4)
	v_dual_add_f32 v15, v15, v51 :: v_dual_add_f32 v16, v16, v65
	v_dual_add_f32 v8, v8, v58 :: v_dual_add_f32 v11, v11, v52
	v_add_f32_e32 v12, v12, v42
	v_dual_add_f32 v0, v0, v60 :: v_dual_add_f32 v9, v9, v39
	v_dual_add_f32 v1, v1, v59 :: v_dual_add_f32 v16, v16, v73
	v_mul_f32_e32 v68, v77, v79
	v_fma_f32 v72, v44, v78, -v72
	v_fma_f32 v44, v44, v80, -v90
	;; [unrolled: 1-line block ×3, first 2 shown]
	v_dual_add_f32 v15, v15, v61 :: v_dual_add_f32 v8, v8, v67
	v_add_f32_e32 v11, v11, v56
	v_dual_add_f32 v0, v0, v64 :: v_dual_add_f32 v9, v9, v57
	v_dual_add_f32 v12, v12, v44 :: v_dual_add_f32 v1, v1, v41
	v_fma_f32 v68, v76, v78, -v68
	s_delay_alu instid0(VALU_DEP_3) | instskip(SKIP_4) | instid1(VALU_DEP_4)
	v_add_f32_e32 v0, v0, v71
	v_add_f32_e32 v15, v15, v63
	;; [unrolled: 1-line block ×3, first 2 shown]
	v_dual_add_f32 v1, v1, v69 :: v_dual_add_f32 v8, v8, v70
	v_add_f32_e32 v11, v11, v62
	v_add_f32_e32 v15, v15, v72
	s_delay_alu instid0(VALU_DEP_4) | instskip(NEXT) | instid1(VALU_DEP_4)
	v_add_f32_e32 v9, v9, v68
	v_add_f32_e32 v1, v1, v45
	s_delay_alu instid0(VALU_DEP_4)
	v_add_f32_e32 v11, v11, v66
	s_cbranch_scc0 .LBB313_2
.LBB313_3:
	s_clause 0x1
	s_load_b32 s3, s[0:1], 0x40
	s_load_b64 s[0:1], s[0:1], 0x48
	v_add_nc_u32_e32 v7, s13, v7
	v_add_nc_u32_e32 v2, s12, v6
	s_delay_alu instid0(VALU_DEP_2)
	v_cmp_gt_i32_e32 vcc_lo, s2, v7
	s_waitcnt lgkmcnt(0)
	v_mad_i64_i32 v[3:4], null, v7, s3, 0
	s_mul_i32 s1, s15, s1
	s_mul_hi_u32 s4, s15, s0
	s_mul_i32 s0, s15, s0
	s_add_i32 s1, s4, s1
	s_delay_alu instid0(SALU_CYCLE_1) | instskip(NEXT) | instid1(VALU_DEP_1)
	s_lshl_b64 s[4:5], s[0:1], 3
	v_lshlrev_b64 v[3:4], 3, v[3:4]
	s_add_u32 s4, s6, s4
	v_cmp_le_i32_e64 s0, v2, v7
	s_addc_u32 s5, s7, s5
	s_delay_alu instid0(VALU_DEP_2) | instskip(NEXT) | instid1(VALU_DEP_1)
	v_add_co_u32 v6, s1, s4, v3
	v_add_co_ci_u32_e64 v10, s1, s5, v4, s1
	s_delay_alu instid0(VALU_DEP_3) | instskip(NEXT) | instid1(SALU_CYCLE_1)
	s_and_b32 s0, vcc_lo, s0
	s_and_saveexec_b32 s1, s0
	s_cbranch_execz .LBB313_6
; %bb.4:
	v_ashrrev_i32_e32 v3, 31, v2
	s_delay_alu instid0(VALU_DEP_1) | instskip(NEXT) | instid1(VALU_DEP_1)
	v_lshlrev_b64 v[3:4], 3, v[2:3]
	v_add_co_u32 v3, s0, v6, v3
	s_delay_alu instid0(VALU_DEP_1)
	v_add_co_ci_u32_e64 v4, s0, v10, v4, s0
	v_cmp_eq_u32_e64 s0, v7, v2
	global_load_b64 v[13:14], v[3:4], off
	s_waitcnt vmcnt(0)
	v_dual_add_f32 v13, v15, v13 :: v_dual_add_f32 v14, v16, v14
	global_store_b64 v[3:4], v[13:14], off
	s_and_b32 exec_lo, exec_lo, s0
	s_cbranch_execz .LBB313_6
; %bb.5:
	v_mov_b32_e32 v5, 0
	global_store_b32 v[3:4], v5, off offset:4
.LBB313_6:
	s_or_b32 exec_lo, exec_lo, s1
	v_add_nc_u32_e32 v4, 16, v2
	s_delay_alu instid0(VALU_DEP_1) | instskip(NEXT) | instid1(VALU_DEP_1)
	v_cmp_le_i32_e64 s0, v4, v7
	s_and_b32 s1, vcc_lo, s0
	s_delay_alu instid0(SALU_CYCLE_1)
	s_and_saveexec_b32 s0, s1
	s_cbranch_execz .LBB313_9
; %bb.7:
	v_ashrrev_i32_e32 v5, 31, v4
	s_delay_alu instid0(VALU_DEP_1) | instskip(NEXT) | instid1(VALU_DEP_1)
	v_lshlrev_b64 v[13:14], 3, v[4:5]
	v_add_co_u32 v5, vcc_lo, v6, v13
	s_delay_alu instid0(VALU_DEP_2)
	v_add_co_ci_u32_e32 v6, vcc_lo, v10, v14, vcc_lo
	v_cmp_eq_u32_e32 vcc_lo, v7, v4
	global_load_b64 v[13:14], v[5:6], off
	s_waitcnt vmcnt(0)
	v_dual_add_f32 v10, v12, v13 :: v_dual_add_f32 v11, v11, v14
	global_store_b64 v[5:6], v[10:11], off
	s_and_b32 exec_lo, exec_lo, vcc_lo
	s_cbranch_execz .LBB313_9
; %bb.8:
	v_mov_b32_e32 v3, 0
	global_store_b32 v[5:6], v3, off offset:4
.LBB313_9:
	s_or_b32 exec_lo, exec_lo, s0
	v_add_nc_u32_e32 v12, 16, v7
	s_delay_alu instid0(VALU_DEP_1) | instskip(SKIP_2) | instid1(VALU_DEP_1)
	v_mad_i64_i32 v[5:6], null, v12, s3, 0
	v_cmp_gt_i32_e32 vcc_lo, s2, v12
	v_cmp_le_i32_e64 s0, v2, v12
	s_and_b32 s0, vcc_lo, s0
	s_delay_alu instid0(VALU_DEP_3) | instskip(NEXT) | instid1(VALU_DEP_1)
	v_lshlrev_b64 v[5:6], 3, v[5:6]
	v_add_co_u32 v10, s1, s4, v5
	s_delay_alu instid0(VALU_DEP_1)
	v_add_co_ci_u32_e64 v11, s1, s5, v6, s1
	s_and_saveexec_b32 s1, s0
	s_cbranch_execz .LBB313_12
; %bb.10:
	v_ashrrev_i32_e32 v3, 31, v2
	s_delay_alu instid0(VALU_DEP_1) | instskip(NEXT) | instid1(VALU_DEP_1)
	v_lshlrev_b64 v[5:6], 3, v[2:3]
	v_add_co_u32 v5, s0, v10, v5
	s_delay_alu instid0(VALU_DEP_1)
	v_add_co_ci_u32_e64 v6, s0, v11, v6, s0
	v_cmp_eq_u32_e64 s0, v12, v2
	global_load_b64 v[13:14], v[5:6], off
	s_waitcnt vmcnt(0)
	v_dual_add_f32 v13, v9, v13 :: v_dual_add_f32 v14, v8, v14
	global_store_b64 v[5:6], v[13:14], off
	s_and_b32 exec_lo, exec_lo, s0
	s_cbranch_execz .LBB313_12
; %bb.11:
	v_mov_b32_e32 v3, 0
	global_store_b32 v[5:6], v3, off offset:4
.LBB313_12:
	s_or_b32 exec_lo, exec_lo, s1
	v_cmp_le_i32_e64 s0, v4, v12
	s_delay_alu instid0(VALU_DEP_1) | instskip(NEXT) | instid1(SALU_CYCLE_1)
	s_and_b32 s0, vcc_lo, s0
	s_and_saveexec_b32 s1, s0
	s_cbranch_execz .LBB313_15
; %bb.13:
	v_ashrrev_i32_e32 v5, 31, v4
	s_delay_alu instid0(VALU_DEP_1) | instskip(NEXT) | instid1(VALU_DEP_1)
	v_lshlrev_b64 v[3:4], 3, v[4:5]
	v_add_co_u32 v3, vcc_lo, v10, v3
	s_delay_alu instid0(VALU_DEP_2)
	v_add_co_ci_u32_e32 v4, vcc_lo, v11, v4, vcc_lo
	v_cmp_eq_u32_e32 vcc_lo, v7, v2
	global_load_b64 v[5:6], v[3:4], off
	s_waitcnt vmcnt(0)
	v_dual_add_f32 v0, v0, v5 :: v_dual_add_f32 v1, v1, v6
	global_store_b64 v[3:4], v[0:1], off
	s_and_b32 exec_lo, exec_lo, vcc_lo
	s_cbranch_execz .LBB313_15
; %bb.14:
	v_mov_b32_e32 v0, 0
	global_store_b32 v[3:4], v0, off offset:4
.LBB313_15:
	s_nop 0
	s_sendmsg sendmsg(MSG_DEALLOC_VGPRS)
	s_endpgm
	.section	.rodata,"a",@progbits
	.p2align	6, 0x0
	.amdhsa_kernel _ZL37rocblas_syrkx_herkx_restricted_kernelIi19rocblas_complex_numIfELi16ELi32ELi8ELi1ELi1ELb1ELc84ELc85EKS1_S1_EviT_PT9_S3_lS5_S3_lPT10_S3_li
		.amdhsa_group_segment_fixed_size 4096
		.amdhsa_private_segment_fixed_size 0
		.amdhsa_kernarg_size 84
		.amdhsa_user_sgpr_count 13
		.amdhsa_user_sgpr_dispatch_ptr 0
		.amdhsa_user_sgpr_queue_ptr 0
		.amdhsa_user_sgpr_kernarg_segment_ptr 1
		.amdhsa_user_sgpr_dispatch_id 0
		.amdhsa_user_sgpr_private_segment_size 0
		.amdhsa_wavefront_size32 1
		.amdhsa_uses_dynamic_stack 0
		.amdhsa_enable_private_segment 0
		.amdhsa_system_sgpr_workgroup_id_x 1
		.amdhsa_system_sgpr_workgroup_id_y 1
		.amdhsa_system_sgpr_workgroup_id_z 1
		.amdhsa_system_sgpr_workgroup_info 0
		.amdhsa_system_vgpr_workitem_id 1
		.amdhsa_next_free_vgpr 91
		.amdhsa_next_free_sgpr 20
		.amdhsa_reserve_vcc 1
		.amdhsa_float_round_mode_32 0
		.amdhsa_float_round_mode_16_64 0
		.amdhsa_float_denorm_mode_32 3
		.amdhsa_float_denorm_mode_16_64 3
		.amdhsa_dx10_clamp 1
		.amdhsa_ieee_mode 1
		.amdhsa_fp16_overflow 0
		.amdhsa_workgroup_processor_mode 1
		.amdhsa_memory_ordered 1
		.amdhsa_forward_progress 0
		.amdhsa_shared_vgpr_count 0
		.amdhsa_exception_fp_ieee_invalid_op 0
		.amdhsa_exception_fp_denorm_src 0
		.amdhsa_exception_fp_ieee_div_zero 0
		.amdhsa_exception_fp_ieee_overflow 0
		.amdhsa_exception_fp_ieee_underflow 0
		.amdhsa_exception_fp_ieee_inexact 0
		.amdhsa_exception_int_div_zero 0
	.end_amdhsa_kernel
	.section	.text._ZL37rocblas_syrkx_herkx_restricted_kernelIi19rocblas_complex_numIfELi16ELi32ELi8ELi1ELi1ELb1ELc84ELc85EKS1_S1_EviT_PT9_S3_lS5_S3_lPT10_S3_li,"axG",@progbits,_ZL37rocblas_syrkx_herkx_restricted_kernelIi19rocblas_complex_numIfELi16ELi32ELi8ELi1ELi1ELb1ELc84ELc85EKS1_S1_EviT_PT9_S3_lS5_S3_lPT10_S3_li,comdat
.Lfunc_end313:
	.size	_ZL37rocblas_syrkx_herkx_restricted_kernelIi19rocblas_complex_numIfELi16ELi32ELi8ELi1ELi1ELb1ELc84ELc85EKS1_S1_EviT_PT9_S3_lS5_S3_lPT10_S3_li, .Lfunc_end313-_ZL37rocblas_syrkx_herkx_restricted_kernelIi19rocblas_complex_numIfELi16ELi32ELi8ELi1ELi1ELb1ELc84ELc85EKS1_S1_EviT_PT9_S3_lS5_S3_lPT10_S3_li
                                        ; -- End function
	.section	.AMDGPU.csdata,"",@progbits
; Kernel info:
; codeLenInByte = 2204
; NumSgprs: 22
; NumVgprs: 91
; ScratchSize: 0
; MemoryBound: 0
; FloatMode: 240
; IeeeMode: 1
; LDSByteSize: 4096 bytes/workgroup (compile time only)
; SGPRBlocks: 2
; VGPRBlocks: 11
; NumSGPRsForWavesPerEU: 22
; NumVGPRsForWavesPerEU: 91
; Occupancy: 16
; WaveLimiterHint : 0
; COMPUTE_PGM_RSRC2:SCRATCH_EN: 0
; COMPUTE_PGM_RSRC2:USER_SGPR: 13
; COMPUTE_PGM_RSRC2:TRAP_HANDLER: 0
; COMPUTE_PGM_RSRC2:TGID_X_EN: 1
; COMPUTE_PGM_RSRC2:TGID_Y_EN: 1
; COMPUTE_PGM_RSRC2:TGID_Z_EN: 1
; COMPUTE_PGM_RSRC2:TIDIG_COMP_CNT: 1
	.section	.text._ZL37rocblas_syrkx_herkx_restricted_kernelIi19rocblas_complex_numIfELi16ELi32ELi8ELi1ELi1ELb1ELc67ELc85EKS1_S1_EviT_PT9_S3_lS5_S3_lPT10_S3_li,"axG",@progbits,_ZL37rocblas_syrkx_herkx_restricted_kernelIi19rocblas_complex_numIfELi16ELi32ELi8ELi1ELi1ELb1ELc67ELc85EKS1_S1_EviT_PT9_S3_lS5_S3_lPT10_S3_li,comdat
	.globl	_ZL37rocblas_syrkx_herkx_restricted_kernelIi19rocblas_complex_numIfELi16ELi32ELi8ELi1ELi1ELb1ELc67ELc85EKS1_S1_EviT_PT9_S3_lS5_S3_lPT10_S3_li ; -- Begin function _ZL37rocblas_syrkx_herkx_restricted_kernelIi19rocblas_complex_numIfELi16ELi32ELi8ELi1ELi1ELb1ELc67ELc85EKS1_S1_EviT_PT9_S3_lS5_S3_lPT10_S3_li
	.p2align	8
	.type	_ZL37rocblas_syrkx_herkx_restricted_kernelIi19rocblas_complex_numIfELi16ELi32ELi8ELi1ELi1ELb1ELc67ELc85EKS1_S1_EviT_PT9_S3_lS5_S3_lPT10_S3_li,@function
_ZL37rocblas_syrkx_herkx_restricted_kernelIi19rocblas_complex_numIfELi16ELi32ELi8ELi1ELi1ELb1ELc67ELc85EKS1_S1_EviT_PT9_S3_lS5_S3_lPT10_S3_li: ; @_ZL37rocblas_syrkx_herkx_restricted_kernelIi19rocblas_complex_numIfELi16ELi32ELi8ELi1ELi1ELb1ELc67ELc85EKS1_S1_EviT_PT9_S3_lS5_S3_lPT10_S3_li
; %bb.0:
	s_clause 0x1
	s_load_b64 s[2:3], s[0:1], 0x0
	s_load_b128 s[4:7], s[0:1], 0x30
	v_dual_mov_b32 v15, 0 :: v_dual_and_b32 v6, 0x3ff, v0
	v_bfe_u32 v7, v0, 10, 10
	v_dual_mov_b32 v16, 0 :: v_dual_mov_b32 v11, 0
	v_dual_mov_b32 v12, 0 :: v_dual_mov_b32 v9, 0
	;; [unrolled: 1-line block ×3, first 2 shown]
	v_mov_b32_e32 v0, 0
	s_lshl_b32 s12, s13, 5
	s_lshl_b32 s13, s14, 5
	s_mov_b32 s14, 0
	s_waitcnt lgkmcnt(0)
	s_cmp_lt_i32 s3, 1
	s_cbranch_scc1 .LBB314_3
; %bb.1:
	s_clause 0x3
	s_load_b32 s18, s[0:1], 0x10
	s_load_b128 s[8:11], s[0:1], 0x18
	s_load_b64 s[16:17], s[0:1], 0x8
	s_load_b32 s19, s[0:1], 0x28
	v_lshl_add_u32 v2, v7, 4, v6
	v_dual_mov_b32 v1, 0 :: v_dual_and_b32 v0, 7, v6
	v_lshlrev_b32_e32 v10, 3, v6
	s_mul_i32 s5, s5, s15
	s_delay_alu instid0(VALU_DEP_3)
	v_lshrrev_b32_e32 v4, 3, v2
	v_and_b32_e32 v5, 31, v2
	v_lshlrev_b32_e32 v3, 3, v0
	v_lshrrev_b32_e32 v2, 5, v2
	v_lshl_add_u32 v17, v7, 6, 0x800
	v_add_nc_u32_e32 v12, s13, v4
	v_add_nc_u32_e32 v11, s12, v5
	v_lshl_or_b32 v9, v4, 6, v3
	v_dual_mov_b32 v3, v1 :: v_dual_lshlrev_b32 v8, 3, v5
	v_mov_b32_e32 v16, v1
	s_delay_alu instid0(VALU_DEP_3) | instskip(SKIP_1) | instid1(VALU_DEP_3)
	v_dual_mov_b32 v15, v1 :: v_dual_add_nc_u32 v14, 0x800, v9
	s_waitcnt lgkmcnt(0)
	v_mad_i64_i32 v[4:5], null, s18, v11, v[2:3]
	s_mul_i32 s9, s9, s15
	s_mul_hi_u32 s18, s8, s15
	v_mov_b32_e32 v9, v1
	v_lshl_or_b32 v13, v2, 8, v8
	v_mov_b32_e32 v11, v1
	v_mad_i64_i32 v[2:3], null, s19, v12, v[0:1]
	s_mul_i32 s8, s8, s15
	s_add_i32 s9, s18, s9
	v_lshlrev_b64 v[4:5], 3, v[4:5]
	s_lshl_b64 s[8:9], s[8:9], 3
	v_mov_b32_e32 v12, v1
	s_add_u32 s8, s16, s8
	s_mul_hi_u32 s16, s4, s15
	s_addc_u32 s9, s17, s9
	s_add_i32 s5, s16, s5
	s_mul_i32 s4, s4, s15
	v_lshlrev_b64 v[2:3], 3, v[2:3]
	s_lshl_b64 s[4:5], s[4:5], 3
	v_add_co_u32 v0, vcc_lo, s8, v4
	s_add_u32 s4, s10, s4
	v_add_co_ci_u32_e32 v4, vcc_lo, s9, v5, vcc_lo
	s_addc_u32 s5, s11, s5
	v_add_co_u32 v5, vcc_lo, s4, v2
	v_add_co_ci_u32_e32 v8, vcc_lo, s5, v3, vcc_lo
	v_add_co_u32 v2, vcc_lo, v0, 4
	v_add_co_ci_u32_e32 v3, vcc_lo, 0, v4, vcc_lo
	s_delay_alu instid0(VALU_DEP_4) | instskip(NEXT) | instid1(VALU_DEP_4)
	v_add_co_u32 v4, vcc_lo, v5, 4
	v_add_co_ci_u32_e32 v5, vcc_lo, 0, v8, vcc_lo
	v_mov_b32_e32 v0, v1
	v_mov_b32_e32 v8, v1
.LBB314_2:                              ; =>This Inner Loop Header: Depth=1
	global_load_b64 v[18:19], v[2:3], off offset:-4
	global_load_b64 v[20:21], v[4:5], off offset:-4
	v_add_co_u32 v2, vcc_lo, v2, 64
	v_add_co_ci_u32_e32 v3, vcc_lo, 0, v3, vcc_lo
	v_add_co_u32 v4, vcc_lo, v4, 64
	v_add_co_ci_u32_e32 v5, vcc_lo, 0, v5, vcc_lo
	s_add_i32 s14, s14, 8
	s_delay_alu instid0(SALU_CYCLE_1)
	s_cmp_ge_i32 s14, s3
	s_waitcnt vmcnt(1)
	v_xor_b32_e32 v19, 0x80000000, v19
	ds_store_b64 v13, v[18:19]
	s_waitcnt vmcnt(0)
	ds_store_b64 v14, v[20:21]
	s_waitcnt lgkmcnt(0)
	s_barrier
	buffer_gl0_inv
	ds_load_2addr_b64 v[18:21], v10 offset1:16
	ds_load_b128 v[22:25], v17
	ds_load_b128 v[26:29], v17 offset:1024
	ds_load_b128 v[30:33], v17 offset:16
	ds_load_2addr_b64 v[34:37], v10 offset0:32 offset1:48
	ds_load_b128 v[38:41], v17 offset:32
	ds_load_b128 v[42:45], v17 offset:48
	ds_load_2addr_b64 v[46:49], v10 offset0:64 offset1:80
	ds_load_b128 v[50:53], v17 offset:1040
	ds_load_2addr_b64 v[54:57], v10 offset0:96 offset1:112
	ds_load_2addr_b64 v[58:61], v10 offset0:128 offset1:144
	;; [unrolled: 1-line block ×4, first 2 shown]
	ds_load_b128 v[70:73], v17 offset:1056
	ds_load_b128 v[74:77], v17 offset:1072
	ds_load_2addr_b64 v[78:81], v10 offset0:224 offset1:240
	s_waitcnt lgkmcnt(0)
	s_barrier
	buffer_gl0_inv
	v_dual_mul_f32 v82, v23, v19 :: v_dual_mul_f32 v85, v22, v21
	v_dual_mul_f32 v83, v22, v19 :: v_dual_mul_f32 v84, v23, v21
	v_mul_f32_e32 v86, v27, v19
	v_dual_mul_f32 v19, v26, v19 :: v_dual_mul_f32 v90, v25, v37
	v_dual_mul_f32 v87, v27, v21 :: v_dual_mul_f32 v88, v25, v35
	v_mul_f32_e32 v21, v26, v21
	v_fma_f32 v82, v22, v18, -v82
	v_fmac_f32_e32 v83, v23, v18
	v_fma_f32 v22, v22, v20, -v84
	v_fmac_f32_e32 v85, v23, v20
	v_fma_f32 v23, v26, v18, -v86
	v_dual_fmac_f32 v19, v27, v18 :: v_dual_mul_f32 v86, v30, v47
	v_fma_f32 v18, v26, v20, -v87
	v_dual_fmac_f32 v21, v27, v20 :: v_dual_mul_f32 v20, v24, v37
	v_mul_f32_e32 v89, v24, v35
	v_mul_f32_e32 v26, v29, v35
	;; [unrolled: 1-line block ×4, first 2 shown]
	v_fmac_f32_e32 v20, v25, v36
	v_fmac_f32_e32 v89, v25, v34
	v_dual_mul_f32 v25, v28, v37 :: v_dual_fmac_f32 v86, v31, v46
	v_fma_f32 v84, v24, v34, -v88
	v_fma_f32 v24, v24, v36, -v90
	v_dual_mul_f32 v37, v31, v47 :: v_dual_mul_f32 v90, v33, v57
	v_fma_f32 v26, v28, v34, -v26
	v_fma_f32 v28, v28, v36, -v35
	v_fmac_f32_e32 v25, v29, v36
	v_dual_mul_f32 v35, v50, v47 :: v_dual_mul_f32 v36, v51, v49
	v_dual_fmac_f32 v27, v29, v34 :: v_dual_mul_f32 v34, v51, v47
	v_dual_mul_f32 v88, v32, v55 :: v_dual_mul_f32 v29, v30, v49
	v_mul_f32_e32 v87, v31, v49
	v_fma_f32 v37, v30, v46, -v37
	v_add_f32_e32 v16, v16, v83
	s_delay_alu instid0(VALU_DEP_4)
	v_dual_fmac_f32 v88, v33, v54 :: v_dual_fmac_f32 v29, v31, v48
	v_fma_f32 v31, v50, v46, -v34
	v_fma_f32 v34, v50, v48, -v36
	v_mul_f32_e32 v36, v32, v57
	v_mul_f32_e32 v47, v50, v49
	v_dual_mul_f32 v50, v53, v57 :: v_dual_fmac_f32 v35, v51, v46
	v_mul_f32_e32 v46, v53, v55
	v_mul_f32_e32 v49, v33, v55
	v_fma_f32 v30, v30, v48, -v87
	v_fmac_f32_e32 v36, v33, v56
	v_dual_fmac_f32 v47, v51, v48 :: v_dual_mul_f32 v48, v52, v55
	v_mul_f32_e32 v33, v52, v57
	v_fma_f32 v46, v52, v54, -v46
	v_fma_f32 v50, v52, v56, -v50
	v_mul_f32_e32 v52, v38, v61
	v_fma_f32 v49, v32, v54, -v49
	v_fma_f32 v32, v32, v56, -v90
	v_dual_mul_f32 v51, v39, v59 :: v_dual_fmac_f32 v48, v53, v54
	v_mul_f32_e32 v54, v70, v59
	v_dual_mul_f32 v55, v38, v59 :: v_dual_fmac_f32 v52, v39, v60
	v_fmac_f32_e32 v33, v53, v56
	v_mul_f32_e32 v53, v71, v59
	v_mul_f32_e32 v56, v71, v61
	;; [unrolled: 1-line block ×3, first 2 shown]
	v_fmac_f32_e32 v54, v71, v58
	v_fmac_f32_e32 v55, v39, v58
	v_fma_f32 v39, v70, v58, -v53
	v_fma_f32 v53, v70, v60, -v56
	v_mul_f32_e32 v56, v40, v65
	v_mul_f32_e32 v59, v70, v61
	v_fma_f32 v51, v38, v58, -v51
	v_mul_f32_e32 v58, v72, v63
	v_mul_f32_e32 v87, v40, v63
	;; [unrolled: 1-line block ×4, first 2 shown]
	v_fma_f32 v38, v38, v60, -v57
	v_mul_f32_e32 v57, v73, v63
	v_fmac_f32_e32 v56, v41, v64
	v_dual_fmac_f32 v59, v71, v60 :: v_dual_mul_f32 v60, v73, v65
	v_mul_f32_e32 v63, v43, v67
	v_mul_f32_e32 v70, v43, v69
	v_fmac_f32_e32 v58, v73, v62
	v_fmac_f32_e32 v87, v41, v62
	v_mul_f32_e32 v41, v72, v65
	v_fma_f32 v61, v40, v62, -v61
	v_fma_f32 v40, v40, v64, -v90
	v_mul_f32_e32 v65, v42, v67
	v_fma_f32 v57, v72, v62, -v57
	v_fma_f32 v60, v72, v64, -v60
	v_dual_fmac_f32 v41, v73, v64 :: v_dual_mul_f32 v62, v42, v69
	v_mul_f32_e32 v64, v75, v67
	v_fma_f32 v63, v42, v66, -v63
	v_fma_f32 v42, v42, v68, -v70
	v_mul_f32_e32 v70, v76, v79
	v_mul_f32_e32 v67, v74, v67
	;; [unrolled: 1-line block ×3, first 2 shown]
	v_dual_mul_f32 v69, v74, v69 :: v_dual_add_f32 v12, v12, v22
	v_mul_f32_e32 v73, v44, v79
	v_dual_fmac_f32 v65, v43, v66 :: v_dual_add_f32 v8, v8, v19
	v_fmac_f32_e32 v62, v43, v68
	v_fma_f32 v43, v74, v66, -v64
	v_fmac_f32_e32 v70, v77, v78
	v_dual_fmac_f32 v67, v75, v66 :: v_dual_add_f32 v16, v16, v89
	v_mul_f32_e32 v66, v44, v81
	v_mul_f32_e32 v72, v45, v79
	v_dual_mul_f32 v90, v45, v81 :: v_dual_fmac_f32 v69, v75, v68
	v_add_f32_e32 v0, v0, v18
	v_dual_fmac_f32 v73, v45, v78 :: v_dual_add_f32 v8, v8, v27
	v_dual_fmac_f32 v66, v45, v80 :: v_dual_mul_f32 v45, v76, v81
	v_fma_f32 v64, v74, v68, -v71
	v_dual_mul_f32 v71, v77, v81 :: v_dual_add_f32 v12, v12, v24
	v_dual_add_f32 v15, v15, v82 :: v_dual_add_f32 v0, v0, v28
	s_delay_alu instid0(VALU_DEP_4) | instskip(NEXT) | instid1(VALU_DEP_3)
	v_dual_fmac_f32 v45, v77, v80 :: v_dual_add_f32 v16, v16, v86
	v_dual_add_f32 v11, v11, v85 :: v_dual_add_f32 v12, v12, v30
	s_delay_alu instid0(VALU_DEP_3) | instskip(SKIP_2) | instid1(VALU_DEP_3)
	v_dual_add_f32 v9, v9, v23 :: v_dual_add_f32 v0, v0, v34
	v_dual_add_f32 v1, v1, v21 :: v_dual_add_f32 v8, v8, v35
	v_add_f32_e32 v15, v15, v84
	v_dual_add_f32 v9, v9, v26 :: v_dual_add_f32 v16, v16, v88
	v_add_f32_e32 v11, v11, v20
	s_delay_alu instid0(VALU_DEP_4) | instskip(NEXT) | instid1(VALU_DEP_3)
	v_dual_add_f32 v1, v1, v25 :: v_dual_add_f32 v12, v12, v32
	v_dual_add_f32 v8, v8, v48 :: v_dual_add_f32 v9, v9, v31
	;; [unrolled: 1-line block ×3, first 2 shown]
	s_delay_alu instid0(VALU_DEP_3) | instskip(SKIP_1) | instid1(VALU_DEP_3)
	v_add_f32_e32 v1, v1, v47
	v_dual_add_f32 v16, v16, v55 :: v_dual_add_f32 v11, v11, v29
	v_dual_add_f32 v12, v12, v38 :: v_dual_add_f32 v15, v15, v49
	v_add_f32_e32 v8, v8, v54
	s_delay_alu instid0(VALU_DEP_3) | instskip(NEXT) | instid1(VALU_DEP_3)
	v_dual_add_f32 v16, v16, v87 :: v_dual_add_f32 v11, v11, v36
	v_dual_add_f32 v9, v9, v46 :: v_dual_add_f32 v12, v12, v40
	v_add_f32_e32 v0, v0, v53
	v_add_f32_e32 v1, v1, v33
	s_delay_alu instid0(VALU_DEP_4) | instskip(SKIP_3) | instid1(VALU_DEP_4)
	v_dual_add_f32 v15, v15, v51 :: v_dual_add_f32 v16, v16, v65
	v_dual_add_f32 v8, v8, v58 :: v_dual_add_f32 v11, v11, v52
	v_add_f32_e32 v12, v12, v42
	v_dual_add_f32 v0, v0, v60 :: v_dual_add_f32 v9, v9, v39
	v_dual_add_f32 v1, v1, v59 :: v_dual_add_f32 v16, v16, v73
	v_mul_f32_e32 v68, v77, v79
	v_fma_f32 v72, v44, v78, -v72
	v_fma_f32 v44, v44, v80, -v90
	;; [unrolled: 1-line block ×3, first 2 shown]
	v_dual_add_f32 v15, v15, v61 :: v_dual_add_f32 v8, v8, v67
	v_add_f32_e32 v11, v11, v56
	v_dual_add_f32 v0, v0, v64 :: v_dual_add_f32 v9, v9, v57
	v_dual_add_f32 v12, v12, v44 :: v_dual_add_f32 v1, v1, v41
	v_fma_f32 v68, v76, v78, -v68
	s_delay_alu instid0(VALU_DEP_3) | instskip(SKIP_4) | instid1(VALU_DEP_4)
	v_add_f32_e32 v0, v0, v71
	v_add_f32_e32 v15, v15, v63
	;; [unrolled: 1-line block ×3, first 2 shown]
	v_dual_add_f32 v1, v1, v69 :: v_dual_add_f32 v8, v8, v70
	v_add_f32_e32 v11, v11, v62
	v_add_f32_e32 v15, v15, v72
	s_delay_alu instid0(VALU_DEP_4) | instskip(NEXT) | instid1(VALU_DEP_4)
	v_add_f32_e32 v9, v9, v68
	v_add_f32_e32 v1, v1, v45
	s_delay_alu instid0(VALU_DEP_4)
	v_add_f32_e32 v11, v11, v66
	s_cbranch_scc0 .LBB314_2
.LBB314_3:
	s_clause 0x1
	s_load_b32 s3, s[0:1], 0x40
	s_load_b64 s[0:1], s[0:1], 0x48
	v_add_nc_u32_e32 v7, s13, v7
	v_add_nc_u32_e32 v2, s12, v6
	s_delay_alu instid0(VALU_DEP_2)
	v_cmp_gt_i32_e32 vcc_lo, s2, v7
	s_waitcnt lgkmcnt(0)
	v_mad_i64_i32 v[3:4], null, v7, s3, 0
	s_mul_i32 s1, s15, s1
	s_mul_hi_u32 s4, s15, s0
	s_mul_i32 s0, s15, s0
	s_add_i32 s1, s4, s1
	s_delay_alu instid0(SALU_CYCLE_1) | instskip(NEXT) | instid1(VALU_DEP_1)
	s_lshl_b64 s[4:5], s[0:1], 3
	v_lshlrev_b64 v[3:4], 3, v[3:4]
	s_add_u32 s4, s6, s4
	v_cmp_le_i32_e64 s0, v2, v7
	s_addc_u32 s5, s7, s5
	s_delay_alu instid0(VALU_DEP_2) | instskip(NEXT) | instid1(VALU_DEP_1)
	v_add_co_u32 v6, s1, s4, v3
	v_add_co_ci_u32_e64 v10, s1, s5, v4, s1
	s_delay_alu instid0(VALU_DEP_3) | instskip(NEXT) | instid1(SALU_CYCLE_1)
	s_and_b32 s0, vcc_lo, s0
	s_and_saveexec_b32 s1, s0
	s_cbranch_execz .LBB314_6
; %bb.4:
	v_ashrrev_i32_e32 v3, 31, v2
	s_delay_alu instid0(VALU_DEP_1) | instskip(NEXT) | instid1(VALU_DEP_1)
	v_lshlrev_b64 v[3:4], 3, v[2:3]
	v_add_co_u32 v3, s0, v6, v3
	s_delay_alu instid0(VALU_DEP_1)
	v_add_co_ci_u32_e64 v4, s0, v10, v4, s0
	v_cmp_eq_u32_e64 s0, v7, v2
	global_load_b64 v[13:14], v[3:4], off
	s_waitcnt vmcnt(0)
	v_dual_add_f32 v13, v15, v13 :: v_dual_add_f32 v14, v16, v14
	global_store_b64 v[3:4], v[13:14], off
	s_and_b32 exec_lo, exec_lo, s0
	s_cbranch_execz .LBB314_6
; %bb.5:
	v_mov_b32_e32 v5, 0
	global_store_b32 v[3:4], v5, off offset:4
.LBB314_6:
	s_or_b32 exec_lo, exec_lo, s1
	v_add_nc_u32_e32 v4, 16, v2
	s_delay_alu instid0(VALU_DEP_1) | instskip(NEXT) | instid1(VALU_DEP_1)
	v_cmp_le_i32_e64 s0, v4, v7
	s_and_b32 s1, vcc_lo, s0
	s_delay_alu instid0(SALU_CYCLE_1)
	s_and_saveexec_b32 s0, s1
	s_cbranch_execz .LBB314_9
; %bb.7:
	v_ashrrev_i32_e32 v5, 31, v4
	s_delay_alu instid0(VALU_DEP_1) | instskip(NEXT) | instid1(VALU_DEP_1)
	v_lshlrev_b64 v[13:14], 3, v[4:5]
	v_add_co_u32 v5, vcc_lo, v6, v13
	s_delay_alu instid0(VALU_DEP_2)
	v_add_co_ci_u32_e32 v6, vcc_lo, v10, v14, vcc_lo
	v_cmp_eq_u32_e32 vcc_lo, v7, v4
	global_load_b64 v[13:14], v[5:6], off
	s_waitcnt vmcnt(0)
	v_dual_add_f32 v10, v12, v13 :: v_dual_add_f32 v11, v11, v14
	global_store_b64 v[5:6], v[10:11], off
	s_and_b32 exec_lo, exec_lo, vcc_lo
	s_cbranch_execz .LBB314_9
; %bb.8:
	v_mov_b32_e32 v3, 0
	global_store_b32 v[5:6], v3, off offset:4
.LBB314_9:
	s_or_b32 exec_lo, exec_lo, s0
	v_add_nc_u32_e32 v12, 16, v7
	s_delay_alu instid0(VALU_DEP_1) | instskip(SKIP_2) | instid1(VALU_DEP_1)
	v_mad_i64_i32 v[5:6], null, v12, s3, 0
	v_cmp_gt_i32_e32 vcc_lo, s2, v12
	v_cmp_le_i32_e64 s0, v2, v12
	s_and_b32 s0, vcc_lo, s0
	s_delay_alu instid0(VALU_DEP_3) | instskip(NEXT) | instid1(VALU_DEP_1)
	v_lshlrev_b64 v[5:6], 3, v[5:6]
	v_add_co_u32 v10, s1, s4, v5
	s_delay_alu instid0(VALU_DEP_1)
	v_add_co_ci_u32_e64 v11, s1, s5, v6, s1
	s_and_saveexec_b32 s1, s0
	s_cbranch_execz .LBB314_12
; %bb.10:
	v_ashrrev_i32_e32 v3, 31, v2
	s_delay_alu instid0(VALU_DEP_1) | instskip(NEXT) | instid1(VALU_DEP_1)
	v_lshlrev_b64 v[5:6], 3, v[2:3]
	v_add_co_u32 v5, s0, v10, v5
	s_delay_alu instid0(VALU_DEP_1)
	v_add_co_ci_u32_e64 v6, s0, v11, v6, s0
	v_cmp_eq_u32_e64 s0, v12, v2
	global_load_b64 v[13:14], v[5:6], off
	s_waitcnt vmcnt(0)
	v_dual_add_f32 v13, v9, v13 :: v_dual_add_f32 v14, v8, v14
	global_store_b64 v[5:6], v[13:14], off
	s_and_b32 exec_lo, exec_lo, s0
	s_cbranch_execz .LBB314_12
; %bb.11:
	v_mov_b32_e32 v3, 0
	global_store_b32 v[5:6], v3, off offset:4
.LBB314_12:
	s_or_b32 exec_lo, exec_lo, s1
	v_cmp_le_i32_e64 s0, v4, v12
	s_delay_alu instid0(VALU_DEP_1) | instskip(NEXT) | instid1(SALU_CYCLE_1)
	s_and_b32 s0, vcc_lo, s0
	s_and_saveexec_b32 s1, s0
	s_cbranch_execz .LBB314_15
; %bb.13:
	v_ashrrev_i32_e32 v5, 31, v4
	s_delay_alu instid0(VALU_DEP_1) | instskip(NEXT) | instid1(VALU_DEP_1)
	v_lshlrev_b64 v[3:4], 3, v[4:5]
	v_add_co_u32 v3, vcc_lo, v10, v3
	s_delay_alu instid0(VALU_DEP_2)
	v_add_co_ci_u32_e32 v4, vcc_lo, v11, v4, vcc_lo
	v_cmp_eq_u32_e32 vcc_lo, v7, v2
	global_load_b64 v[5:6], v[3:4], off
	s_waitcnt vmcnt(0)
	v_dual_add_f32 v0, v0, v5 :: v_dual_add_f32 v1, v1, v6
	global_store_b64 v[3:4], v[0:1], off
	s_and_b32 exec_lo, exec_lo, vcc_lo
	s_cbranch_execz .LBB314_15
; %bb.14:
	v_mov_b32_e32 v0, 0
	global_store_b32 v[3:4], v0, off offset:4
.LBB314_15:
	s_nop 0
	s_sendmsg sendmsg(MSG_DEALLOC_VGPRS)
	s_endpgm
	.section	.rodata,"a",@progbits
	.p2align	6, 0x0
	.amdhsa_kernel _ZL37rocblas_syrkx_herkx_restricted_kernelIi19rocblas_complex_numIfELi16ELi32ELi8ELi1ELi1ELb1ELc67ELc85EKS1_S1_EviT_PT9_S3_lS5_S3_lPT10_S3_li
		.amdhsa_group_segment_fixed_size 4096
		.amdhsa_private_segment_fixed_size 0
		.amdhsa_kernarg_size 84
		.amdhsa_user_sgpr_count 13
		.amdhsa_user_sgpr_dispatch_ptr 0
		.amdhsa_user_sgpr_queue_ptr 0
		.amdhsa_user_sgpr_kernarg_segment_ptr 1
		.amdhsa_user_sgpr_dispatch_id 0
		.amdhsa_user_sgpr_private_segment_size 0
		.amdhsa_wavefront_size32 1
		.amdhsa_uses_dynamic_stack 0
		.amdhsa_enable_private_segment 0
		.amdhsa_system_sgpr_workgroup_id_x 1
		.amdhsa_system_sgpr_workgroup_id_y 1
		.amdhsa_system_sgpr_workgroup_id_z 1
		.amdhsa_system_sgpr_workgroup_info 0
		.amdhsa_system_vgpr_workitem_id 1
		.amdhsa_next_free_vgpr 91
		.amdhsa_next_free_sgpr 20
		.amdhsa_reserve_vcc 1
		.amdhsa_float_round_mode_32 0
		.amdhsa_float_round_mode_16_64 0
		.amdhsa_float_denorm_mode_32 3
		.amdhsa_float_denorm_mode_16_64 3
		.amdhsa_dx10_clamp 1
		.amdhsa_ieee_mode 1
		.amdhsa_fp16_overflow 0
		.amdhsa_workgroup_processor_mode 1
		.amdhsa_memory_ordered 1
		.amdhsa_forward_progress 0
		.amdhsa_shared_vgpr_count 0
		.amdhsa_exception_fp_ieee_invalid_op 0
		.amdhsa_exception_fp_denorm_src 0
		.amdhsa_exception_fp_ieee_div_zero 0
		.amdhsa_exception_fp_ieee_overflow 0
		.amdhsa_exception_fp_ieee_underflow 0
		.amdhsa_exception_fp_ieee_inexact 0
		.amdhsa_exception_int_div_zero 0
	.end_amdhsa_kernel
	.section	.text._ZL37rocblas_syrkx_herkx_restricted_kernelIi19rocblas_complex_numIfELi16ELi32ELi8ELi1ELi1ELb1ELc67ELc85EKS1_S1_EviT_PT9_S3_lS5_S3_lPT10_S3_li,"axG",@progbits,_ZL37rocblas_syrkx_herkx_restricted_kernelIi19rocblas_complex_numIfELi16ELi32ELi8ELi1ELi1ELb1ELc67ELc85EKS1_S1_EviT_PT9_S3_lS5_S3_lPT10_S3_li,comdat
.Lfunc_end314:
	.size	_ZL37rocblas_syrkx_herkx_restricted_kernelIi19rocblas_complex_numIfELi16ELi32ELi8ELi1ELi1ELb1ELc67ELc85EKS1_S1_EviT_PT9_S3_lS5_S3_lPT10_S3_li, .Lfunc_end314-_ZL37rocblas_syrkx_herkx_restricted_kernelIi19rocblas_complex_numIfELi16ELi32ELi8ELi1ELi1ELb1ELc67ELc85EKS1_S1_EviT_PT9_S3_lS5_S3_lPT10_S3_li
                                        ; -- End function
	.section	.AMDGPU.csdata,"",@progbits
; Kernel info:
; codeLenInByte = 2216
; NumSgprs: 22
; NumVgprs: 91
; ScratchSize: 0
; MemoryBound: 0
; FloatMode: 240
; IeeeMode: 1
; LDSByteSize: 4096 bytes/workgroup (compile time only)
; SGPRBlocks: 2
; VGPRBlocks: 11
; NumSGPRsForWavesPerEU: 22
; NumVGPRsForWavesPerEU: 91
; Occupancy: 16
; WaveLimiterHint : 0
; COMPUTE_PGM_RSRC2:SCRATCH_EN: 0
; COMPUTE_PGM_RSRC2:USER_SGPR: 13
; COMPUTE_PGM_RSRC2:TRAP_HANDLER: 0
; COMPUTE_PGM_RSRC2:TGID_X_EN: 1
; COMPUTE_PGM_RSRC2:TGID_Y_EN: 1
; COMPUTE_PGM_RSRC2:TGID_Z_EN: 1
; COMPUTE_PGM_RSRC2:TIDIG_COMP_CNT: 1
	.section	.text._ZL37rocblas_syrkx_herkx_restricted_kernelIi19rocblas_complex_numIfELi16ELi32ELi8ELi1ELi1ELb1ELc78ELc85EKS1_S1_EviT_PT9_S3_lS5_S3_lPT10_S3_li,"axG",@progbits,_ZL37rocblas_syrkx_herkx_restricted_kernelIi19rocblas_complex_numIfELi16ELi32ELi8ELi1ELi1ELb1ELc78ELc85EKS1_S1_EviT_PT9_S3_lS5_S3_lPT10_S3_li,comdat
	.globl	_ZL37rocblas_syrkx_herkx_restricted_kernelIi19rocblas_complex_numIfELi16ELi32ELi8ELi1ELi1ELb1ELc78ELc85EKS1_S1_EviT_PT9_S3_lS5_S3_lPT10_S3_li ; -- Begin function _ZL37rocblas_syrkx_herkx_restricted_kernelIi19rocblas_complex_numIfELi16ELi32ELi8ELi1ELi1ELb1ELc78ELc85EKS1_S1_EviT_PT9_S3_lS5_S3_lPT10_S3_li
	.p2align	8
	.type	_ZL37rocblas_syrkx_herkx_restricted_kernelIi19rocblas_complex_numIfELi16ELi32ELi8ELi1ELi1ELb1ELc78ELc85EKS1_S1_EviT_PT9_S3_lS5_S3_lPT10_S3_li,@function
_ZL37rocblas_syrkx_herkx_restricted_kernelIi19rocblas_complex_numIfELi16ELi32ELi8ELi1ELi1ELb1ELc78ELc85EKS1_S1_EviT_PT9_S3_lS5_S3_lPT10_S3_li: ; @_ZL37rocblas_syrkx_herkx_restricted_kernelIi19rocblas_complex_numIfELi16ELi32ELi8ELi1ELi1ELb1ELc78ELc85EKS1_S1_EviT_PT9_S3_lS5_S3_lPT10_S3_li
; %bb.0:
	s_clause 0x1
	s_load_b64 s[2:3], s[0:1], 0x0
	s_load_b128 s[4:7], s[0:1], 0x30
	v_dual_mov_b32 v17, 0 :: v_dual_and_b32 v4, 0x3ff, v0
	v_bfe_u32 v5, v0, 10, 10
	v_dual_mov_b32 v16, 0 :: v_dual_mov_b32 v11, 0
	v_dual_mov_b32 v10, 0 :: v_dual_mov_b32 v9, 0
	;; [unrolled: 1-line block ×3, first 2 shown]
	v_mov_b32_e32 v6, 0
	s_lshl_b32 s12, s13, 5
	s_lshl_b32 s13, s14, 5
	s_mov_b32 s14, 0
	s_waitcnt lgkmcnt(0)
	s_cmp_lt_i32 s3, 1
	s_cbranch_scc1 .LBB315_3
; %bb.1:
	s_clause 0x1
	s_load_b32 s16, s[0:1], 0x10
	s_load_b32 s18, s[0:1], 0x28
	v_lshl_add_u32 v0, v5, 4, v4
	v_and_b32_e32 v8, 7, v4
	s_clause 0x1
	s_load_b128 s[8:11], s[0:1], 0x18
	s_load_b64 s[20:21], s[0:1], 0x8
	s_mul_i32 s5, s5, s15
	v_lshrrev_b32_e32 v1, 3, v0
	v_and_b32_e32 v2, 31, v0
	v_lshrrev_b32_e32 v9, 5, v0
	v_lshlrev_b32_e32 v3, 3, v8
	s_delay_alu instid0(VALU_DEP_4) | instskip(NEXT) | instid1(VALU_DEP_4)
	v_dual_mov_b32 v11, 0 :: v_dual_add_nc_u32 v0, s13, v1
	v_dual_mov_b32 v17, 0 :: v_dual_lshlrev_b32 v6, 3, v2
	v_add_nc_u32_e32 v2, s12, v2
	s_delay_alu instid0(VALU_DEP_4) | instskip(NEXT) | instid1(VALU_DEP_4)
	v_lshl_or_b32 v10, v1, 6, v3
	v_ashrrev_i32_e32 v1, 31, v0
	s_delay_alu instid0(VALU_DEP_4)
	v_lshl_or_b32 v12, v9, 8, v6
	v_lshlrev_b32_e32 v14, 3, v4
	v_ashrrev_i32_e32 v3, 31, v2
	s_waitcnt lgkmcnt(0)
	s_ashr_i32 s17, s16, 31
	v_mad_i64_i32 v[6:7], null, s18, v8, v[0:1]
	s_mul_i32 s9, s9, s15
	v_mad_i64_i32 v[0:1], null, s16, v9, v[2:3]
	s_mul_hi_u32 s22, s8, s15
	s_mul_i32 s8, s8, s15
	s_add_i32 s9, s22, s9
	s_ashr_i32 s19, s18, 31
	s_lshl_b64 s[8:9], s[8:9], 3
	v_dual_mov_b32 v8, 0 :: v_dual_add_nc_u32 v13, 0x800, v10
	s_delay_alu instid0(VALU_DEP_2)
	v_lshlrev_b64 v[0:1], 3, v[0:1]
	s_add_u32 s8, s20, s8
	s_addc_u32 s9, s21, s9
	s_mul_hi_u32 s20, s4, s15
	s_mul_i32 s4, s4, s15
	s_add_i32 s5, s20, s5
	v_add_co_u32 v2, vcc_lo, s8, v0
	v_add_co_ci_u32_e32 v3, vcc_lo, s9, v1, vcc_lo
	v_lshlrev_b64 v[0:1], 3, v[6:7]
	s_lshl_b64 s[8:9], s[4:5], 3
	s_lshl_b64 s[4:5], s[16:17], 6
	s_add_u32 s8, s10, s8
	s_addc_u32 s9, s11, s9
	v_lshl_add_u32 v15, v5, 6, 0x800
	v_add_co_u32 v6, vcc_lo, s8, v0
	v_add_co_ci_u32_e32 v7, vcc_lo, s9, v1, vcc_lo
	v_add_co_u32 v0, vcc_lo, v2, 4
	v_add_co_ci_u32_e32 v1, vcc_lo, 0, v3, vcc_lo
	s_delay_alu instid0(VALU_DEP_4) | instskip(NEXT) | instid1(VALU_DEP_4)
	v_add_co_u32 v2, vcc_lo, v6, 4
	v_add_co_ci_u32_e32 v3, vcc_lo, 0, v7, vcc_lo
	v_dual_mov_b32 v6, 0 :: v_dual_mov_b32 v7, 0
	v_dual_mov_b32 v9, 0 :: v_dual_mov_b32 v10, 0
	v_mov_b32_e32 v16, 0
	s_lshl_b64 s[8:9], s[18:19], 6
.LBB315_2:                              ; =>This Inner Loop Header: Depth=1
	global_load_b64 v[18:19], v[2:3], off offset:-4
	global_load_b64 v[20:21], v[0:1], off offset:-4
	v_add_co_u32 v0, vcc_lo, v0, s4
	v_add_co_ci_u32_e32 v1, vcc_lo, s5, v1, vcc_lo
	v_add_co_u32 v2, vcc_lo, v2, s8
	v_add_co_ci_u32_e32 v3, vcc_lo, s9, v3, vcc_lo
	s_add_i32 s14, s14, 8
	s_delay_alu instid0(SALU_CYCLE_1)
	s_cmp_ge_i32 s14, s3
	s_waitcnt vmcnt(1)
	v_xor_b32_e32 v19, 0x80000000, v19
	s_waitcnt vmcnt(0)
	ds_store_b64 v12, v[20:21]
	ds_store_b64 v13, v[18:19]
	s_waitcnt lgkmcnt(0)
	s_barrier
	buffer_gl0_inv
	ds_load_2addr_b64 v[18:21], v14 offset1:16
	ds_load_b128 v[22:25], v15
	ds_load_b128 v[26:29], v15 offset:1024
	ds_load_b128 v[30:33], v15 offset:16
	ds_load_2addr_b64 v[34:37], v14 offset0:32 offset1:48
	ds_load_b128 v[38:41], v15 offset:32
	ds_load_b128 v[42:45], v15 offset:48
	ds_load_2addr_b64 v[46:49], v14 offset0:64 offset1:80
	ds_load_b128 v[50:53], v15 offset:1040
	ds_load_2addr_b64 v[54:57], v14 offset0:96 offset1:112
	ds_load_2addr_b64 v[58:61], v14 offset0:128 offset1:144
	;; [unrolled: 1-line block ×4, first 2 shown]
	ds_load_b128 v[70:73], v15 offset:1056
	ds_load_b128 v[74:77], v15 offset:1072
	ds_load_2addr_b64 v[78:81], v14 offset0:224 offset1:240
	s_waitcnt lgkmcnt(0)
	s_barrier
	buffer_gl0_inv
	v_dual_mul_f32 v82, v23, v19 :: v_dual_mul_f32 v85, v22, v21
	v_dual_mul_f32 v83, v22, v19 :: v_dual_mul_f32 v84, v23, v21
	v_mul_f32_e32 v86, v27, v19
	v_dual_mul_f32 v19, v26, v19 :: v_dual_mul_f32 v90, v25, v37
	v_dual_mul_f32 v87, v27, v21 :: v_dual_mul_f32 v88, v25, v35
	v_mul_f32_e32 v21, v26, v21
	v_mul_f32_e32 v89, v24, v35
	;; [unrolled: 1-line block ×3, first 2 shown]
	v_fma_f32 v82, v22, v18, -v82
	v_fmac_f32_e32 v83, v23, v18
	v_fma_f32 v22, v22, v20, -v84
	v_dual_fmac_f32 v85, v23, v20 :: v_dual_mul_f32 v84, v30, v47
	v_fma_f32 v23, v26, v18, -v86
	v_fmac_f32_e32 v19, v27, v18
	v_fma_f32 v18, v26, v20, -v87
	v_dual_mul_f32 v26, v28, v35 :: v_dual_fmac_f32 v21, v27, v20
	v_mul_f32_e32 v20, v29, v35
	v_mul_f32_e32 v27, v29, v37
	v_dual_mul_f32 v35, v28, v37 :: v_dual_fmac_f32 v84, v31, v46
	v_fma_f32 v37, v24, v34, -v88
	v_fma_f32 v24, v24, v36, -v90
	v_dual_fmac_f32 v91, v25, v36 :: v_dual_mul_f32 v90, v32, v57
	v_dual_mul_f32 v86, v31, v49 :: v_dual_fmac_f32 v89, v25, v34
	v_dual_mul_f32 v25, v31, v47 :: v_dual_mul_f32 v88, v33, v57
	v_fma_f32 v20, v28, v34, -v20
	v_fmac_f32_e32 v26, v29, v34
	v_fma_f32 v27, v28, v36, -v27
	v_dual_fmac_f32 v35, v29, v36 :: v_dual_mul_f32 v28, v51, v47
	v_dual_mul_f32 v29, v50, v47 :: v_dual_mul_f32 v34, v51, v49
	v_mul_f32_e32 v36, v50, v49
	v_mul_f32_e32 v87, v30, v49
	;; [unrolled: 1-line block ×3, first 2 shown]
	v_dual_mul_f32 v49, v32, v55 :: v_dual_fmac_f32 v90, v33, v56
	v_fma_f32 v25, v30, v46, -v25
	v_fma_f32 v30, v30, v48, -v86
	;; [unrolled: 1-line block ×3, first 2 shown]
	v_fmac_f32_e32 v36, v51, v48
	v_fmac_f32_e32 v87, v31, v48
	v_fma_f32 v31, v50, v48, -v34
	v_mul_f32_e32 v34, v53, v55
	v_mul_f32_e32 v48, v53, v57
	v_dual_mul_f32 v50, v52, v57 :: v_dual_fmac_f32 v29, v51, v46
	v_mul_f32_e32 v46, v52, v55
	v_fma_f32 v47, v32, v54, -v47
	v_fmac_f32_e32 v49, v33, v54
	v_fma_f32 v32, v32, v56, -v88
	s_delay_alu instid0(VALU_DEP_4)
	v_dual_mul_f32 v33, v39, v59 :: v_dual_fmac_f32 v46, v53, v54
	v_mul_f32_e32 v51, v38, v59
	v_mul_f32_e32 v55, v39, v61
	v_fma_f32 v34, v52, v54, -v34
	v_fma_f32 v48, v52, v56, -v48
	v_fmac_f32_e32 v50, v53, v56
	v_mul_f32_e32 v52, v71, v59
	v_dual_mul_f32 v53, v70, v59 :: v_dual_mul_f32 v86, v41, v65
	v_mul_f32_e32 v54, v71, v61
	v_dual_mul_f32 v56, v70, v61 :: v_dual_mul_f32 v59, v41, v63
	v_mul_f32_e32 v57, v38, v61
	v_mul_f32_e32 v61, v40, v63
	v_dual_mul_f32 v88, v40, v65 :: v_dual_fmac_f32 v51, v39, v58
	v_fma_f32 v33, v38, v58, -v33
	v_fmac_f32_e32 v53, v71, v58
	v_fmac_f32_e32 v56, v71, v60
	s_delay_alu instid0(VALU_DEP_4)
	v_fmac_f32_e32 v88, v41, v64
	v_fmac_f32_e32 v57, v39, v60
	v_fma_f32 v39, v70, v58, -v52
	v_fma_f32 v52, v70, v60, -v54
	v_mul_f32_e32 v54, v73, v63
	v_fma_f32 v38, v38, v60, -v55
	v_mul_f32_e32 v60, v72, v65
	v_dual_mul_f32 v55, v72, v63 :: v_dual_mul_f32 v70, v42, v69
	v_mul_f32_e32 v58, v73, v65
	v_fma_f32 v59, v40, v62, -v59
	v_fmac_f32_e32 v61, v41, v62
	v_fma_f32 v40, v40, v64, -v86
	v_dual_mul_f32 v41, v43, v67 :: v_dual_fmac_f32 v60, v73, v64
	v_dual_mul_f32 v63, v42, v67 :: v_dual_mul_f32 v86, v44, v81
	v_mul_f32_e32 v65, v43, v69
	v_fma_f32 v54, v72, v62, -v54
	v_fmac_f32_e32 v55, v73, v62
	v_fma_f32 v58, v72, v64, -v58
	v_mul_f32_e32 v72, v44, v79
	v_mul_f32_e32 v62, v75, v67
	v_dual_mul_f32 v64, v74, v67 :: v_dual_mul_f32 v67, v75, v69
	v_dual_mul_f32 v69, v74, v69 :: v_dual_fmac_f32 v70, v43, v68
	s_delay_alu instid0(VALU_DEP_2)
	v_dual_mul_f32 v71, v45, v79 :: v_dual_fmac_f32 v64, v75, v66
	v_fma_f32 v41, v42, v66, -v41
	v_fmac_f32_e32 v63, v43, v66
	v_fma_f32 v42, v42, v68, -v65
	v_fma_f32 v43, v74, v66, -v62
	v_dual_fmac_f32 v69, v75, v68 :: v_dual_fmac_f32 v72, v45, v78
	v_mul_f32_e32 v66, v76, v79
	v_fma_f32 v62, v74, v68, -v67
	v_mul_f32_e32 v68, v76, v81
	v_dual_mul_f32 v73, v45, v81 :: v_dual_add_f32 v16, v16, v82
	v_dual_mul_f32 v65, v77, v79 :: v_dual_add_f32 v10, v10, v85
	;; [unrolled: 1-line block ×3, first 2 shown]
	v_dual_fmac_f32 v86, v45, v80 :: v_dual_add_f32 v11, v11, v22
	v_dual_fmac_f32 v68, v77, v80 :: v_dual_add_f32 v7, v7, v18
	v_dual_add_f32 v17, v17, v83 :: v_dual_add_f32 v6, v6, v21
	v_dual_add_f32 v9, v9, v23 :: v_dual_add_f32 v16, v16, v37
	s_delay_alu instid0(VALU_DEP_4) | instskip(NEXT) | instid1(VALU_DEP_3)
	v_dual_fmac_f32 v66, v77, v78 :: v_dual_add_f32 v11, v11, v24
	v_dual_add_f32 v17, v17, v89 :: v_dual_add_f32 v10, v10, v91
	s_delay_alu instid0(VALU_DEP_3) | instskip(NEXT) | instid1(VALU_DEP_4)
	v_dual_add_f32 v9, v9, v20 :: v_dual_add_f32 v8, v8, v26
	v_dual_add_f32 v7, v7, v27 :: v_dual_add_f32 v16, v16, v25
	s_delay_alu instid0(VALU_DEP_3) | instskip(NEXT) | instid1(VALU_DEP_4)
	v_dual_add_f32 v6, v6, v35 :: v_dual_add_f32 v17, v17, v84
	v_dual_add_f32 v11, v11, v30 :: v_dual_add_f32 v10, v10, v87
	s_delay_alu instid0(VALU_DEP_4) | instskip(NEXT) | instid1(VALU_DEP_3)
	v_dual_add_f32 v9, v9, v28 :: v_dual_add_f32 v8, v8, v29
	v_dual_add_f32 v7, v7, v31 :: v_dual_add_f32 v6, v6, v36
	s_delay_alu instid0(VALU_DEP_4) | instskip(NEXT) | instid1(VALU_DEP_4)
	v_dual_add_f32 v16, v16, v47 :: v_dual_add_f32 v17, v17, v49
	v_dual_add_f32 v11, v11, v32 :: v_dual_add_f32 v10, v10, v90
	s_delay_alu instid0(VALU_DEP_2) | instskip(NEXT) | instid1(VALU_DEP_4)
	v_dual_add_f32 v9, v9, v34 :: v_dual_add_f32 v16, v16, v33
	v_dual_add_f32 v8, v8, v46 :: v_dual_add_f32 v7, v7, v48
	s_delay_alu instid0(VALU_DEP_4) | instskip(NEXT) | instid1(VALU_DEP_4)
	v_dual_add_f32 v6, v6, v50 :: v_dual_add_f32 v17, v17, v51
	v_dual_add_f32 v11, v11, v38 :: v_dual_add_f32 v10, v10, v57
	s_delay_alu instid0(VALU_DEP_3) | instskip(NEXT) | instid1(VALU_DEP_4)
	v_dual_add_f32 v9, v9, v39 :: v_dual_add_f32 v8, v8, v53
	v_dual_add_f32 v7, v7, v52 :: v_dual_add_f32 v16, v16, v59
	s_delay_alu instid0(VALU_DEP_4) | instskip(NEXT) | instid1(VALU_DEP_3)
	v_dual_add_f32 v6, v6, v56 :: v_dual_add_f32 v17, v17, v61
	v_dual_add_f32 v11, v11, v40 :: v_dual_add_f32 v8, v8, v55
	s_delay_alu instid0(VALU_DEP_4) | instskip(NEXT) | instid1(VALU_DEP_3)
	v_dual_add_f32 v10, v10, v88 :: v_dual_add_f32 v9, v9, v54
	v_dual_add_f32 v7, v7, v58 :: v_dual_add_f32 v6, v6, v60
	v_fma_f32 v71, v44, v78, -v71
	v_fma_f32 v44, v44, v80, -v73
	;; [unrolled: 1-line block ×4, first 2 shown]
	v_dual_add_f32 v16, v16, v41 :: v_dual_add_f32 v17, v17, v63
	v_dual_add_f32 v11, v11, v42 :: v_dual_add_f32 v8, v8, v64
	;; [unrolled: 1-line block ×4, first 2 shown]
	s_delay_alu instid0(VALU_DEP_4) | instskip(NEXT) | instid1(VALU_DEP_3)
	v_dual_add_f32 v16, v16, v71 :: v_dual_add_f32 v17, v17, v72
	v_dual_add_f32 v11, v11, v44 :: v_dual_add_f32 v10, v10, v86
	s_delay_alu instid0(VALU_DEP_4) | instskip(NEXT) | instid1(VALU_DEP_4)
	v_dual_add_f32 v9, v9, v45 :: v_dual_add_f32 v8, v8, v66
	v_dual_add_f32 v7, v7, v65 :: v_dual_add_f32 v6, v6, v68
	s_cbranch_scc0 .LBB315_2
.LBB315_3:
	s_clause 0x1
	s_load_b32 s3, s[0:1], 0x40
	s_load_b64 s[0:1], s[0:1], 0x48
	v_add_nc_u32_e32 v5, s13, v5
	v_add_nc_u32_e32 v0, s12, v4
	s_delay_alu instid0(VALU_DEP_2)
	v_cmp_gt_i32_e32 vcc_lo, s2, v5
	s_waitcnt lgkmcnt(0)
	v_mad_i64_i32 v[1:2], null, v5, s3, 0
	s_mul_i32 s1, s15, s1
	s_mul_hi_u32 s4, s15, s0
	s_mul_i32 s0, s15, s0
	s_add_i32 s1, s4, s1
	s_delay_alu instid0(SALU_CYCLE_1) | instskip(NEXT) | instid1(VALU_DEP_1)
	s_lshl_b64 s[4:5], s[0:1], 3
	v_lshlrev_b64 v[1:2], 3, v[1:2]
	s_add_u32 s4, s6, s4
	v_cmp_le_i32_e64 s0, v0, v5
	s_addc_u32 s5, s7, s5
	s_delay_alu instid0(VALU_DEP_2) | instskip(NEXT) | instid1(VALU_DEP_1)
	v_add_co_u32 v4, s1, s4, v1
	v_add_co_ci_u32_e64 v12, s1, s5, v2, s1
	s_delay_alu instid0(VALU_DEP_3) | instskip(NEXT) | instid1(SALU_CYCLE_1)
	s_and_b32 s0, vcc_lo, s0
	s_and_saveexec_b32 s1, s0
	s_cbranch_execz .LBB315_6
; %bb.4:
	v_ashrrev_i32_e32 v1, 31, v0
	s_delay_alu instid0(VALU_DEP_1) | instskip(NEXT) | instid1(VALU_DEP_1)
	v_lshlrev_b64 v[1:2], 3, v[0:1]
	v_add_co_u32 v1, s0, v4, v1
	s_delay_alu instid0(VALU_DEP_1)
	v_add_co_ci_u32_e64 v2, s0, v12, v2, s0
	v_cmp_eq_u32_e64 s0, v5, v0
	global_load_b64 v[13:14], v[1:2], off
	s_waitcnt vmcnt(0)
	v_dual_add_f32 v13, v16, v13 :: v_dual_add_f32 v14, v17, v14
	global_store_b64 v[1:2], v[13:14], off
	s_and_b32 exec_lo, exec_lo, s0
	s_cbranch_execz .LBB315_6
; %bb.5:
	v_mov_b32_e32 v3, 0
	global_store_b32 v[1:2], v3, off offset:4
.LBB315_6:
	s_or_b32 exec_lo, exec_lo, s1
	v_add_nc_u32_e32 v2, 16, v0
	s_delay_alu instid0(VALU_DEP_1) | instskip(NEXT) | instid1(VALU_DEP_1)
	v_cmp_le_i32_e64 s0, v2, v5
	s_and_b32 s1, vcc_lo, s0
	s_delay_alu instid0(SALU_CYCLE_1)
	s_and_saveexec_b32 s0, s1
	s_cbranch_execz .LBB315_9
; %bb.7:
	v_ashrrev_i32_e32 v3, 31, v2
	s_delay_alu instid0(VALU_DEP_1) | instskip(NEXT) | instid1(VALU_DEP_1)
	v_lshlrev_b64 v[13:14], 3, v[2:3]
	v_add_co_u32 v3, vcc_lo, v4, v13
	s_delay_alu instid0(VALU_DEP_2)
	v_add_co_ci_u32_e32 v4, vcc_lo, v12, v14, vcc_lo
	v_cmp_eq_u32_e32 vcc_lo, v5, v2
	global_load_b64 v[12:13], v[3:4], off
	s_waitcnt vmcnt(0)
	v_dual_add_f32 v11, v11, v12 :: v_dual_add_f32 v12, v10, v13
	global_store_b64 v[3:4], v[11:12], off
	s_and_b32 exec_lo, exec_lo, vcc_lo
	s_cbranch_execz .LBB315_9
; %bb.8:
	v_mov_b32_e32 v1, 0
	global_store_b32 v[3:4], v1, off offset:4
.LBB315_9:
	s_or_b32 exec_lo, exec_lo, s0
	v_add_nc_u32_e32 v12, 16, v5
	s_delay_alu instid0(VALU_DEP_1) | instskip(SKIP_2) | instid1(VALU_DEP_1)
	v_mad_i64_i32 v[3:4], null, v12, s3, 0
	v_cmp_gt_i32_e32 vcc_lo, s2, v12
	v_cmp_le_i32_e64 s0, v0, v12
	s_and_b32 s0, vcc_lo, s0
	s_delay_alu instid0(VALU_DEP_3) | instskip(NEXT) | instid1(VALU_DEP_1)
	v_lshlrev_b64 v[3:4], 3, v[3:4]
	v_add_co_u32 v10, s1, s4, v3
	s_delay_alu instid0(VALU_DEP_1)
	v_add_co_ci_u32_e64 v11, s1, s5, v4, s1
	s_and_saveexec_b32 s1, s0
	s_cbranch_execz .LBB315_12
; %bb.10:
	v_ashrrev_i32_e32 v1, 31, v0
	s_delay_alu instid0(VALU_DEP_1) | instskip(NEXT) | instid1(VALU_DEP_1)
	v_lshlrev_b64 v[3:4], 3, v[0:1]
	v_add_co_u32 v3, s0, v10, v3
	s_delay_alu instid0(VALU_DEP_1)
	v_add_co_ci_u32_e64 v4, s0, v11, v4, s0
	v_cmp_eq_u32_e64 s0, v12, v0
	global_load_b64 v[13:14], v[3:4], off
	s_waitcnt vmcnt(0)
	v_dual_add_f32 v13, v9, v13 :: v_dual_add_f32 v14, v8, v14
	global_store_b64 v[3:4], v[13:14], off
	s_and_b32 exec_lo, exec_lo, s0
	s_cbranch_execz .LBB315_12
; %bb.11:
	v_mov_b32_e32 v1, 0
	global_store_b32 v[3:4], v1, off offset:4
.LBB315_12:
	s_or_b32 exec_lo, exec_lo, s1
	v_cmp_le_i32_e64 s0, v2, v12
	s_delay_alu instid0(VALU_DEP_1) | instskip(NEXT) | instid1(SALU_CYCLE_1)
	s_and_b32 s0, vcc_lo, s0
	s_and_saveexec_b32 s1, s0
	s_cbranch_execz .LBB315_15
; %bb.13:
	v_ashrrev_i32_e32 v3, 31, v2
	s_delay_alu instid0(VALU_DEP_1) | instskip(NEXT) | instid1(VALU_DEP_1)
	v_lshlrev_b64 v[1:2], 3, v[2:3]
	v_add_co_u32 v1, vcc_lo, v10, v1
	s_delay_alu instid0(VALU_DEP_2)
	v_add_co_ci_u32_e32 v2, vcc_lo, v11, v2, vcc_lo
	v_cmp_eq_u32_e32 vcc_lo, v5, v0
	global_load_b64 v[3:4], v[1:2], off
	s_waitcnt vmcnt(0)
	v_dual_add_f32 v3, v7, v3 :: v_dual_add_f32 v4, v6, v4
	global_store_b64 v[1:2], v[3:4], off
	s_and_b32 exec_lo, exec_lo, vcc_lo
	s_cbranch_execz .LBB315_15
; %bb.14:
	v_mov_b32_e32 v0, 0
	global_store_b32 v[1:2], v0, off offset:4
.LBB315_15:
	s_nop 0
	s_sendmsg sendmsg(MSG_DEALLOC_VGPRS)
	s_endpgm
	.section	.rodata,"a",@progbits
	.p2align	6, 0x0
	.amdhsa_kernel _ZL37rocblas_syrkx_herkx_restricted_kernelIi19rocblas_complex_numIfELi16ELi32ELi8ELi1ELi1ELb1ELc78ELc85EKS1_S1_EviT_PT9_S3_lS5_S3_lPT10_S3_li
		.amdhsa_group_segment_fixed_size 4096
		.amdhsa_private_segment_fixed_size 0
		.amdhsa_kernarg_size 84
		.amdhsa_user_sgpr_count 13
		.amdhsa_user_sgpr_dispatch_ptr 0
		.amdhsa_user_sgpr_queue_ptr 0
		.amdhsa_user_sgpr_kernarg_segment_ptr 1
		.amdhsa_user_sgpr_dispatch_id 0
		.amdhsa_user_sgpr_private_segment_size 0
		.amdhsa_wavefront_size32 1
		.amdhsa_uses_dynamic_stack 0
		.amdhsa_enable_private_segment 0
		.amdhsa_system_sgpr_workgroup_id_x 1
		.amdhsa_system_sgpr_workgroup_id_y 1
		.amdhsa_system_sgpr_workgroup_id_z 1
		.amdhsa_system_sgpr_workgroup_info 0
		.amdhsa_system_vgpr_workitem_id 1
		.amdhsa_next_free_vgpr 92
		.amdhsa_next_free_sgpr 23
		.amdhsa_reserve_vcc 1
		.amdhsa_float_round_mode_32 0
		.amdhsa_float_round_mode_16_64 0
		.amdhsa_float_denorm_mode_32 3
		.amdhsa_float_denorm_mode_16_64 3
		.amdhsa_dx10_clamp 1
		.amdhsa_ieee_mode 1
		.amdhsa_fp16_overflow 0
		.amdhsa_workgroup_processor_mode 1
		.amdhsa_memory_ordered 1
		.amdhsa_forward_progress 0
		.amdhsa_shared_vgpr_count 0
		.amdhsa_exception_fp_ieee_invalid_op 0
		.amdhsa_exception_fp_denorm_src 0
		.amdhsa_exception_fp_ieee_div_zero 0
		.amdhsa_exception_fp_ieee_overflow 0
		.amdhsa_exception_fp_ieee_underflow 0
		.amdhsa_exception_fp_ieee_inexact 0
		.amdhsa_exception_int_div_zero 0
	.end_amdhsa_kernel
	.section	.text._ZL37rocblas_syrkx_herkx_restricted_kernelIi19rocblas_complex_numIfELi16ELi32ELi8ELi1ELi1ELb1ELc78ELc85EKS1_S1_EviT_PT9_S3_lS5_S3_lPT10_S3_li,"axG",@progbits,_ZL37rocblas_syrkx_herkx_restricted_kernelIi19rocblas_complex_numIfELi16ELi32ELi8ELi1ELi1ELb1ELc78ELc85EKS1_S1_EviT_PT9_S3_lS5_S3_lPT10_S3_li,comdat
.Lfunc_end315:
	.size	_ZL37rocblas_syrkx_herkx_restricted_kernelIi19rocblas_complex_numIfELi16ELi32ELi8ELi1ELi1ELb1ELc78ELc85EKS1_S1_EviT_PT9_S3_lS5_S3_lPT10_S3_li, .Lfunc_end315-_ZL37rocblas_syrkx_herkx_restricted_kernelIi19rocblas_complex_numIfELi16ELi32ELi8ELi1ELi1ELb1ELc78ELc85EKS1_S1_EviT_PT9_S3_lS5_S3_lPT10_S3_li
                                        ; -- End function
	.section	.AMDGPU.csdata,"",@progbits
; Kernel info:
; codeLenInByte = 2268
; NumSgprs: 25
; NumVgprs: 92
; ScratchSize: 0
; MemoryBound: 0
; FloatMode: 240
; IeeeMode: 1
; LDSByteSize: 4096 bytes/workgroup (compile time only)
; SGPRBlocks: 3
; VGPRBlocks: 11
; NumSGPRsForWavesPerEU: 25
; NumVGPRsForWavesPerEU: 92
; Occupancy: 16
; WaveLimiterHint : 0
; COMPUTE_PGM_RSRC2:SCRATCH_EN: 0
; COMPUTE_PGM_RSRC2:USER_SGPR: 13
; COMPUTE_PGM_RSRC2:TRAP_HANDLER: 0
; COMPUTE_PGM_RSRC2:TGID_X_EN: 1
; COMPUTE_PGM_RSRC2:TGID_Y_EN: 1
; COMPUTE_PGM_RSRC2:TGID_Z_EN: 1
; COMPUTE_PGM_RSRC2:TIDIG_COMP_CNT: 1
	.section	.text._ZL37rocblas_syrkx_herkx_restricted_kernelIi19rocblas_complex_numIfELi16ELi32ELi8ELi1ELin1ELb1ELc84ELc76EKS1_S1_EviT_PT9_S3_lS5_S3_lPT10_S3_li,"axG",@progbits,_ZL37rocblas_syrkx_herkx_restricted_kernelIi19rocblas_complex_numIfELi16ELi32ELi8ELi1ELin1ELb1ELc84ELc76EKS1_S1_EviT_PT9_S3_lS5_S3_lPT10_S3_li,comdat
	.globl	_ZL37rocblas_syrkx_herkx_restricted_kernelIi19rocblas_complex_numIfELi16ELi32ELi8ELi1ELin1ELb1ELc84ELc76EKS1_S1_EviT_PT9_S3_lS5_S3_lPT10_S3_li ; -- Begin function _ZL37rocblas_syrkx_herkx_restricted_kernelIi19rocblas_complex_numIfELi16ELi32ELi8ELi1ELin1ELb1ELc84ELc76EKS1_S1_EviT_PT9_S3_lS5_S3_lPT10_S3_li
	.p2align	8
	.type	_ZL37rocblas_syrkx_herkx_restricted_kernelIi19rocblas_complex_numIfELi16ELi32ELi8ELi1ELin1ELb1ELc84ELc76EKS1_S1_EviT_PT9_S3_lS5_S3_lPT10_S3_li,@function
_ZL37rocblas_syrkx_herkx_restricted_kernelIi19rocblas_complex_numIfELi16ELi32ELi8ELi1ELin1ELb1ELc84ELc76EKS1_S1_EviT_PT9_S3_lS5_S3_lPT10_S3_li: ; @_ZL37rocblas_syrkx_herkx_restricted_kernelIi19rocblas_complex_numIfELi16ELi32ELi8ELi1ELin1ELb1ELc84ELc76EKS1_S1_EviT_PT9_S3_lS5_S3_lPT10_S3_li
; %bb.0:
	s_clause 0x1
	s_load_b64 s[2:3], s[0:1], 0x0
	s_load_b128 s[4:7], s[0:1], 0x30
	v_dual_mov_b32 v15, 0 :: v_dual_and_b32 v6, 0x3ff, v0
	v_bfe_u32 v7, v0, 10, 10
	v_dual_mov_b32 v16, 0 :: v_dual_mov_b32 v11, 0
	v_dual_mov_b32 v12, 0 :: v_dual_mov_b32 v9, 0
	v_dual_mov_b32 v8, 0 :: v_dual_mov_b32 v1, 0
	v_mov_b32_e32 v0, 0
	s_lshl_b32 s12, s13, 5
	s_lshl_b32 s13, s14, 5
	s_mov_b32 s14, 0
	s_waitcnt lgkmcnt(0)
	s_cmp_lt_i32 s3, 1
	s_cbranch_scc1 .LBB316_3
; %bb.1:
	s_clause 0x3
	s_load_b32 s18, s[0:1], 0x10
	s_load_b128 s[8:11], s[0:1], 0x18
	s_load_b64 s[16:17], s[0:1], 0x8
	s_load_b32 s19, s[0:1], 0x28
	v_lshl_add_u32 v2, v7, 4, v6
	v_dual_mov_b32 v1, 0 :: v_dual_and_b32 v0, 7, v6
	v_lshlrev_b32_e32 v10, 3, v6
	s_mul_i32 s5, s5, s15
	s_delay_alu instid0(VALU_DEP_3)
	v_lshrrev_b32_e32 v4, 3, v2
	v_and_b32_e32 v5, 31, v2
	v_lshlrev_b32_e32 v3, 3, v0
	v_lshrrev_b32_e32 v2, 5, v2
	v_lshl_add_u32 v17, v7, 6, 0x800
	v_add_nc_u32_e32 v12, s13, v4
	v_add_nc_u32_e32 v11, s12, v5
	v_lshl_or_b32 v9, v4, 6, v3
	v_dual_mov_b32 v3, v1 :: v_dual_lshlrev_b32 v8, 3, v5
	v_mov_b32_e32 v16, v1
	s_delay_alu instid0(VALU_DEP_3) | instskip(SKIP_1) | instid1(VALU_DEP_3)
	v_dual_mov_b32 v15, v1 :: v_dual_add_nc_u32 v14, 0x800, v9
	s_waitcnt lgkmcnt(0)
	v_mad_i64_i32 v[4:5], null, s18, v11, v[2:3]
	s_mul_i32 s9, s9, s15
	s_mul_hi_u32 s18, s8, s15
	v_mov_b32_e32 v9, v1
	v_lshl_or_b32 v13, v2, 8, v8
	v_mov_b32_e32 v11, v1
	v_mad_i64_i32 v[2:3], null, s19, v12, v[0:1]
	s_mul_i32 s8, s8, s15
	s_add_i32 s9, s18, s9
	v_lshlrev_b64 v[4:5], 3, v[4:5]
	s_lshl_b64 s[8:9], s[8:9], 3
	v_mov_b32_e32 v12, v1
	s_add_u32 s8, s16, s8
	s_mul_hi_u32 s16, s4, s15
	s_addc_u32 s9, s17, s9
	s_add_i32 s5, s16, s5
	s_mul_i32 s4, s4, s15
	v_lshlrev_b64 v[2:3], 3, v[2:3]
	s_lshl_b64 s[4:5], s[4:5], 3
	v_add_co_u32 v0, vcc_lo, s8, v4
	s_add_u32 s4, s10, s4
	v_add_co_ci_u32_e32 v4, vcc_lo, s9, v5, vcc_lo
	s_addc_u32 s5, s11, s5
	v_add_co_u32 v5, vcc_lo, s4, v2
	v_add_co_ci_u32_e32 v8, vcc_lo, s5, v3, vcc_lo
	v_add_co_u32 v2, vcc_lo, v0, 4
	v_add_co_ci_u32_e32 v3, vcc_lo, 0, v4, vcc_lo
	s_delay_alu instid0(VALU_DEP_4) | instskip(NEXT) | instid1(VALU_DEP_4)
	v_add_co_u32 v4, vcc_lo, v5, 4
	v_add_co_ci_u32_e32 v5, vcc_lo, 0, v8, vcc_lo
	v_mov_b32_e32 v0, v1
	v_mov_b32_e32 v8, v1
.LBB316_2:                              ; =>This Inner Loop Header: Depth=1
	global_load_b64 v[18:19], v[2:3], off offset:-4
	global_load_b64 v[20:21], v[4:5], off offset:-4
	v_add_co_u32 v2, vcc_lo, v2, 64
	v_add_co_ci_u32_e32 v3, vcc_lo, 0, v3, vcc_lo
	v_add_co_u32 v4, vcc_lo, v4, 64
	v_add_co_ci_u32_e32 v5, vcc_lo, 0, v5, vcc_lo
	s_add_i32 s14, s14, 8
	s_waitcnt vmcnt(1)
	ds_store_b64 v13, v[18:19]
	s_waitcnt vmcnt(0)
	ds_store_b64 v14, v[20:21]
	s_waitcnt lgkmcnt(0)
	s_barrier
	buffer_gl0_inv
	ds_load_2addr_b64 v[18:21], v10 offset1:16
	ds_load_b128 v[22:25], v17
	ds_load_b128 v[26:29], v17 offset:1024
	ds_load_b128 v[30:33], v17 offset:16
	ds_load_2addr_b64 v[34:37], v10 offset0:32 offset1:48
	ds_load_b128 v[38:41], v17 offset:32
	ds_load_b128 v[42:45], v17 offset:48
	ds_load_2addr_b64 v[46:49], v10 offset0:64 offset1:80
	ds_load_b128 v[50:53], v17 offset:1040
	ds_load_2addr_b64 v[54:57], v10 offset0:96 offset1:112
	ds_load_2addr_b64 v[58:61], v10 offset0:128 offset1:144
	;; [unrolled: 1-line block ×4, first 2 shown]
	ds_load_b128 v[70:73], v17 offset:1056
	ds_load_b128 v[74:77], v17 offset:1072
	ds_load_2addr_b64 v[78:81], v10 offset0:224 offset1:240
	s_cmp_ge_i32 s14, s3
	s_waitcnt lgkmcnt(0)
	s_barrier
	buffer_gl0_inv
	v_dual_mul_f32 v82, v23, v19 :: v_dual_mul_f32 v85, v22, v21
	v_dual_mul_f32 v83, v22, v19 :: v_dual_mul_f32 v84, v23, v21
	v_mul_f32_e32 v86, v27, v19
	v_dual_mul_f32 v19, v26, v19 :: v_dual_mul_f32 v90, v25, v37
	v_dual_mul_f32 v87, v27, v21 :: v_dual_mul_f32 v88, v25, v35
	v_mul_f32_e32 v21, v26, v21
	v_fma_f32 v82, v22, v18, -v82
	v_fmac_f32_e32 v83, v23, v18
	v_fma_f32 v22, v22, v20, -v84
	v_fmac_f32_e32 v85, v23, v20
	v_fma_f32 v23, v26, v18, -v86
	v_dual_fmac_f32 v19, v27, v18 :: v_dual_mul_f32 v86, v30, v47
	v_fma_f32 v18, v26, v20, -v87
	v_dual_fmac_f32 v21, v27, v20 :: v_dual_mul_f32 v20, v24, v37
	v_mul_f32_e32 v89, v24, v35
	v_mul_f32_e32 v26, v29, v35
	;; [unrolled: 1-line block ×4, first 2 shown]
	v_fmac_f32_e32 v20, v25, v36
	v_fmac_f32_e32 v89, v25, v34
	v_dual_mul_f32 v25, v28, v37 :: v_dual_fmac_f32 v86, v31, v46
	v_fma_f32 v84, v24, v34, -v88
	v_fma_f32 v24, v24, v36, -v90
	v_dual_mul_f32 v37, v31, v47 :: v_dual_mul_f32 v90, v33, v57
	v_fma_f32 v26, v28, v34, -v26
	v_fma_f32 v28, v28, v36, -v35
	v_fmac_f32_e32 v25, v29, v36
	v_dual_mul_f32 v35, v50, v47 :: v_dual_mul_f32 v36, v51, v49
	v_dual_fmac_f32 v27, v29, v34 :: v_dual_mul_f32 v34, v51, v47
	v_dual_mul_f32 v88, v32, v55 :: v_dual_mul_f32 v29, v30, v49
	v_mul_f32_e32 v87, v31, v49
	v_fma_f32 v37, v30, v46, -v37
	v_add_f32_e32 v16, v16, v83
	s_delay_alu instid0(VALU_DEP_4)
	v_dual_fmac_f32 v88, v33, v54 :: v_dual_fmac_f32 v29, v31, v48
	v_fma_f32 v31, v50, v46, -v34
	v_fma_f32 v34, v50, v48, -v36
	v_mul_f32_e32 v36, v32, v57
	v_mul_f32_e32 v47, v50, v49
	v_dual_mul_f32 v50, v53, v57 :: v_dual_fmac_f32 v35, v51, v46
	v_mul_f32_e32 v46, v53, v55
	v_mul_f32_e32 v49, v33, v55
	v_fma_f32 v30, v30, v48, -v87
	v_fmac_f32_e32 v36, v33, v56
	v_dual_fmac_f32 v47, v51, v48 :: v_dual_mul_f32 v48, v52, v55
	v_mul_f32_e32 v33, v52, v57
	v_fma_f32 v46, v52, v54, -v46
	v_fma_f32 v50, v52, v56, -v50
	v_mul_f32_e32 v52, v38, v61
	v_fma_f32 v49, v32, v54, -v49
	v_fma_f32 v32, v32, v56, -v90
	v_dual_mul_f32 v51, v39, v59 :: v_dual_fmac_f32 v48, v53, v54
	v_mul_f32_e32 v54, v70, v59
	v_dual_mul_f32 v55, v38, v59 :: v_dual_fmac_f32 v52, v39, v60
	v_fmac_f32_e32 v33, v53, v56
	v_mul_f32_e32 v53, v71, v59
	v_mul_f32_e32 v56, v71, v61
	;; [unrolled: 1-line block ×3, first 2 shown]
	v_fmac_f32_e32 v54, v71, v58
	v_fmac_f32_e32 v55, v39, v58
	v_fma_f32 v39, v70, v58, -v53
	v_fma_f32 v53, v70, v60, -v56
	v_mul_f32_e32 v56, v40, v65
	v_mul_f32_e32 v59, v70, v61
	v_fma_f32 v51, v38, v58, -v51
	v_mul_f32_e32 v58, v72, v63
	v_mul_f32_e32 v87, v40, v63
	;; [unrolled: 1-line block ×4, first 2 shown]
	v_fma_f32 v38, v38, v60, -v57
	v_mul_f32_e32 v57, v73, v63
	v_fmac_f32_e32 v56, v41, v64
	v_dual_fmac_f32 v59, v71, v60 :: v_dual_mul_f32 v60, v73, v65
	v_mul_f32_e32 v63, v43, v67
	v_mul_f32_e32 v70, v43, v69
	v_fmac_f32_e32 v58, v73, v62
	v_fmac_f32_e32 v87, v41, v62
	v_mul_f32_e32 v41, v72, v65
	v_fma_f32 v61, v40, v62, -v61
	v_fma_f32 v40, v40, v64, -v90
	v_mul_f32_e32 v65, v42, v67
	v_fma_f32 v57, v72, v62, -v57
	v_fma_f32 v60, v72, v64, -v60
	v_dual_fmac_f32 v41, v73, v64 :: v_dual_mul_f32 v62, v42, v69
	v_mul_f32_e32 v64, v75, v67
	v_fma_f32 v63, v42, v66, -v63
	v_fma_f32 v42, v42, v68, -v70
	v_mul_f32_e32 v70, v76, v79
	v_mul_f32_e32 v67, v74, v67
	;; [unrolled: 1-line block ×3, first 2 shown]
	v_dual_mul_f32 v69, v74, v69 :: v_dual_add_f32 v12, v12, v22
	v_mul_f32_e32 v73, v44, v79
	v_dual_fmac_f32 v65, v43, v66 :: v_dual_add_f32 v8, v8, v19
	v_fmac_f32_e32 v62, v43, v68
	v_fma_f32 v43, v74, v66, -v64
	v_fmac_f32_e32 v70, v77, v78
	v_dual_fmac_f32 v67, v75, v66 :: v_dual_add_f32 v16, v16, v89
	v_mul_f32_e32 v66, v44, v81
	v_mul_f32_e32 v72, v45, v79
	v_dual_mul_f32 v90, v45, v81 :: v_dual_fmac_f32 v69, v75, v68
	v_add_f32_e32 v0, v0, v18
	v_dual_fmac_f32 v73, v45, v78 :: v_dual_add_f32 v8, v8, v27
	v_dual_fmac_f32 v66, v45, v80 :: v_dual_mul_f32 v45, v76, v81
	v_fma_f32 v64, v74, v68, -v71
	v_dual_mul_f32 v71, v77, v81 :: v_dual_add_f32 v12, v12, v24
	v_dual_add_f32 v15, v15, v82 :: v_dual_add_f32 v0, v0, v28
	s_delay_alu instid0(VALU_DEP_4) | instskip(NEXT) | instid1(VALU_DEP_3)
	v_dual_fmac_f32 v45, v77, v80 :: v_dual_add_f32 v16, v16, v86
	v_dual_add_f32 v11, v11, v85 :: v_dual_add_f32 v12, v12, v30
	s_delay_alu instid0(VALU_DEP_3) | instskip(SKIP_2) | instid1(VALU_DEP_3)
	v_dual_add_f32 v9, v9, v23 :: v_dual_add_f32 v0, v0, v34
	v_dual_add_f32 v1, v1, v21 :: v_dual_add_f32 v8, v8, v35
	v_add_f32_e32 v15, v15, v84
	v_dual_add_f32 v9, v9, v26 :: v_dual_add_f32 v16, v16, v88
	v_add_f32_e32 v11, v11, v20
	s_delay_alu instid0(VALU_DEP_4) | instskip(NEXT) | instid1(VALU_DEP_3)
	v_dual_add_f32 v1, v1, v25 :: v_dual_add_f32 v12, v12, v32
	v_dual_add_f32 v8, v8, v48 :: v_dual_add_f32 v9, v9, v31
	;; [unrolled: 1-line block ×3, first 2 shown]
	s_delay_alu instid0(VALU_DEP_3) | instskip(SKIP_1) | instid1(VALU_DEP_3)
	v_add_f32_e32 v1, v1, v47
	v_dual_add_f32 v16, v16, v55 :: v_dual_add_f32 v11, v11, v29
	v_dual_add_f32 v12, v12, v38 :: v_dual_add_f32 v15, v15, v49
	v_add_f32_e32 v8, v8, v54
	s_delay_alu instid0(VALU_DEP_3) | instskip(NEXT) | instid1(VALU_DEP_3)
	v_dual_add_f32 v16, v16, v87 :: v_dual_add_f32 v11, v11, v36
	v_dual_add_f32 v9, v9, v46 :: v_dual_add_f32 v12, v12, v40
	v_add_f32_e32 v0, v0, v53
	v_add_f32_e32 v1, v1, v33
	s_delay_alu instid0(VALU_DEP_4) | instskip(SKIP_3) | instid1(VALU_DEP_4)
	v_dual_add_f32 v15, v15, v51 :: v_dual_add_f32 v16, v16, v65
	v_dual_add_f32 v8, v8, v58 :: v_dual_add_f32 v11, v11, v52
	v_add_f32_e32 v12, v12, v42
	v_dual_add_f32 v0, v0, v60 :: v_dual_add_f32 v9, v9, v39
	v_dual_add_f32 v1, v1, v59 :: v_dual_add_f32 v16, v16, v73
	v_mul_f32_e32 v68, v77, v79
	v_fma_f32 v72, v44, v78, -v72
	v_fma_f32 v44, v44, v80, -v90
	;; [unrolled: 1-line block ×3, first 2 shown]
	v_dual_add_f32 v15, v15, v61 :: v_dual_add_f32 v8, v8, v67
	v_add_f32_e32 v11, v11, v56
	v_dual_add_f32 v0, v0, v64 :: v_dual_add_f32 v9, v9, v57
	v_dual_add_f32 v12, v12, v44 :: v_dual_add_f32 v1, v1, v41
	v_fma_f32 v68, v76, v78, -v68
	s_delay_alu instid0(VALU_DEP_3) | instskip(SKIP_4) | instid1(VALU_DEP_4)
	v_add_f32_e32 v0, v0, v71
	v_add_f32_e32 v15, v15, v63
	v_add_f32_e32 v9, v9, v43
	v_dual_add_f32 v1, v1, v69 :: v_dual_add_f32 v8, v8, v70
	v_add_f32_e32 v11, v11, v62
	v_add_f32_e32 v15, v15, v72
	s_delay_alu instid0(VALU_DEP_4) | instskip(NEXT) | instid1(VALU_DEP_4)
	v_add_f32_e32 v9, v9, v68
	v_add_f32_e32 v1, v1, v45
	s_delay_alu instid0(VALU_DEP_4)
	v_add_f32_e32 v11, v11, v66
	s_cbranch_scc0 .LBB316_2
.LBB316_3:
	s_clause 0x1
	s_load_b32 s3, s[0:1], 0x40
	s_load_b64 s[4:5], s[0:1], 0x48
	v_add_nc_u32_e32 v7, s13, v7
	v_add_nc_u32_e32 v2, s12, v6
	s_delay_alu instid0(VALU_DEP_1)
	v_cmp_le_i32_e64 s0, v7, v2
	v_cmp_gt_i32_e32 vcc_lo, s2, v2
	s_waitcnt lgkmcnt(0)
	v_mad_i64_i32 v[3:4], null, v7, s3, 0
	s_mul_i32 s1, s15, s5
	s_mul_hi_u32 s5, s15, s4
	s_mul_i32 s4, s15, s4
	s_add_i32 s5, s5, s1
	s_delay_alu instid0(SALU_CYCLE_1) | instskip(NEXT) | instid1(VALU_DEP_1)
	s_lshl_b64 s[4:5], s[4:5], 3
	v_lshlrev_b64 v[3:4], 3, v[3:4]
	s_add_u32 s4, s6, s4
	s_addc_u32 s5, s7, s5
	s_and_b32 s0, s0, vcc_lo
	s_delay_alu instid0(VALU_DEP_1) | instskip(NEXT) | instid1(VALU_DEP_1)
	v_add_co_u32 v6, s1, s4, v3
	v_add_co_ci_u32_e64 v10, s1, s5, v4, s1
	s_and_saveexec_b32 s1, s0
	s_cbranch_execz .LBB316_6
; %bb.4:
	v_ashrrev_i32_e32 v3, 31, v2
	s_delay_alu instid0(VALU_DEP_1) | instskip(NEXT) | instid1(VALU_DEP_1)
	v_lshlrev_b64 v[3:4], 3, v[2:3]
	v_add_co_u32 v3, s0, v6, v3
	s_delay_alu instid0(VALU_DEP_1)
	v_add_co_ci_u32_e64 v4, s0, v10, v4, s0
	v_cmp_eq_u32_e64 s0, v7, v2
	global_load_b64 v[13:14], v[3:4], off
	s_waitcnt vmcnt(0)
	v_dual_sub_f32 v13, v15, v13 :: v_dual_sub_f32 v14, v16, v14
	global_store_b64 v[3:4], v[13:14], off
	s_and_b32 exec_lo, exec_lo, s0
	s_cbranch_execz .LBB316_6
; %bb.5:
	v_mov_b32_e32 v5, 0
	global_store_b32 v[3:4], v5, off offset:4
.LBB316_6:
	s_or_b32 exec_lo, exec_lo, s1
	v_add_nc_u32_e32 v4, 16, v2
	s_delay_alu instid0(VALU_DEP_1) | instskip(SKIP_1) | instid1(VALU_DEP_1)
	v_cmp_le_i32_e64 s1, v7, v4
	v_cmp_gt_i32_e64 s0, s2, v4
	s_and_b32 s1, s1, s0
	s_delay_alu instid0(SALU_CYCLE_1)
	s_and_saveexec_b32 s2, s1
	s_cbranch_execz .LBB316_9
; %bb.7:
	v_ashrrev_i32_e32 v5, 31, v4
	s_delay_alu instid0(VALU_DEP_1) | instskip(NEXT) | instid1(VALU_DEP_1)
	v_lshlrev_b64 v[13:14], 3, v[4:5]
	v_add_co_u32 v5, s1, v6, v13
	s_delay_alu instid0(VALU_DEP_1)
	v_add_co_ci_u32_e64 v6, s1, v10, v14, s1
	v_cmp_eq_u32_e64 s1, v7, v4
	global_load_b64 v[13:14], v[5:6], off
	s_waitcnt vmcnt(0)
	v_dual_sub_f32 v10, v12, v13 :: v_dual_sub_f32 v11, v11, v14
	global_store_b64 v[5:6], v[10:11], off
	s_and_b32 exec_lo, exec_lo, s1
	s_cbranch_execz .LBB316_9
; %bb.8:
	v_mov_b32_e32 v3, 0
	global_store_b32 v[5:6], v3, off offset:4
.LBB316_9:
	s_or_b32 exec_lo, exec_lo, s2
	v_add_nc_u32_e32 v12, 16, v7
	s_delay_alu instid0(VALU_DEP_1) | instskip(SKIP_1) | instid1(VALU_DEP_2)
	v_mad_i64_i32 v[5:6], null, v12, s3, 0
	v_cmp_le_i32_e64 s1, v12, v2
	v_lshlrev_b64 v[5:6], 3, v[5:6]
	s_delay_alu instid0(VALU_DEP_1) | instskip(NEXT) | instid1(VALU_DEP_1)
	v_add_co_u32 v10, s2, s4, v5
	v_add_co_ci_u32_e64 v11, s2, s5, v6, s2
	s_delay_alu instid0(VALU_DEP_4) | instskip(NEXT) | instid1(SALU_CYCLE_1)
	s_and_b32 s2, s1, vcc_lo
	s_and_saveexec_b32 s1, s2
	s_cbranch_execz .LBB316_12
; %bb.10:
	v_ashrrev_i32_e32 v3, 31, v2
	s_delay_alu instid0(VALU_DEP_1) | instskip(NEXT) | instid1(VALU_DEP_1)
	v_lshlrev_b64 v[5:6], 3, v[2:3]
	v_add_co_u32 v5, vcc_lo, v10, v5
	s_delay_alu instid0(VALU_DEP_2)
	v_add_co_ci_u32_e32 v6, vcc_lo, v11, v6, vcc_lo
	v_cmp_eq_u32_e32 vcc_lo, v12, v2
	global_load_b64 v[13:14], v[5:6], off
	s_waitcnt vmcnt(0)
	v_dual_sub_f32 v13, v9, v13 :: v_dual_sub_f32 v14, v8, v14
	global_store_b64 v[5:6], v[13:14], off
	s_and_b32 exec_lo, exec_lo, vcc_lo
	s_cbranch_execz .LBB316_12
; %bb.11:
	v_mov_b32_e32 v3, 0
	global_store_b32 v[5:6], v3, off offset:4
.LBB316_12:
	s_or_b32 exec_lo, exec_lo, s1
	v_cmp_le_i32_e32 vcc_lo, v12, v4
	s_and_b32 s0, vcc_lo, s0
	s_delay_alu instid0(SALU_CYCLE_1)
	s_and_saveexec_b32 s1, s0
	s_cbranch_execz .LBB316_15
; %bb.13:
	v_ashrrev_i32_e32 v5, 31, v4
	s_delay_alu instid0(VALU_DEP_1) | instskip(NEXT) | instid1(VALU_DEP_1)
	v_lshlrev_b64 v[3:4], 3, v[4:5]
	v_add_co_u32 v3, vcc_lo, v10, v3
	s_delay_alu instid0(VALU_DEP_2)
	v_add_co_ci_u32_e32 v4, vcc_lo, v11, v4, vcc_lo
	v_cmp_eq_u32_e32 vcc_lo, v7, v2
	global_load_b64 v[5:6], v[3:4], off
	s_waitcnt vmcnt(0)
	v_dual_sub_f32 v0, v0, v5 :: v_dual_sub_f32 v1, v1, v6
	global_store_b64 v[3:4], v[0:1], off
	s_and_b32 exec_lo, exec_lo, vcc_lo
	s_cbranch_execz .LBB316_15
; %bb.14:
	v_mov_b32_e32 v0, 0
	global_store_b32 v[3:4], v0, off offset:4
.LBB316_15:
	s_nop 0
	s_sendmsg sendmsg(MSG_DEALLOC_VGPRS)
	s_endpgm
	.section	.rodata,"a",@progbits
	.p2align	6, 0x0
	.amdhsa_kernel _ZL37rocblas_syrkx_herkx_restricted_kernelIi19rocblas_complex_numIfELi16ELi32ELi8ELi1ELin1ELb1ELc84ELc76EKS1_S1_EviT_PT9_S3_lS5_S3_lPT10_S3_li
		.amdhsa_group_segment_fixed_size 4096
		.amdhsa_private_segment_fixed_size 0
		.amdhsa_kernarg_size 84
		.amdhsa_user_sgpr_count 13
		.amdhsa_user_sgpr_dispatch_ptr 0
		.amdhsa_user_sgpr_queue_ptr 0
		.amdhsa_user_sgpr_kernarg_segment_ptr 1
		.amdhsa_user_sgpr_dispatch_id 0
		.amdhsa_user_sgpr_private_segment_size 0
		.amdhsa_wavefront_size32 1
		.amdhsa_uses_dynamic_stack 0
		.amdhsa_enable_private_segment 0
		.amdhsa_system_sgpr_workgroup_id_x 1
		.amdhsa_system_sgpr_workgroup_id_y 1
		.amdhsa_system_sgpr_workgroup_id_z 1
		.amdhsa_system_sgpr_workgroup_info 0
		.amdhsa_system_vgpr_workitem_id 1
		.amdhsa_next_free_vgpr 91
		.amdhsa_next_free_sgpr 20
		.amdhsa_reserve_vcc 1
		.amdhsa_float_round_mode_32 0
		.amdhsa_float_round_mode_16_64 0
		.amdhsa_float_denorm_mode_32 3
		.amdhsa_float_denorm_mode_16_64 3
		.amdhsa_dx10_clamp 1
		.amdhsa_ieee_mode 1
		.amdhsa_fp16_overflow 0
		.amdhsa_workgroup_processor_mode 1
		.amdhsa_memory_ordered 1
		.amdhsa_forward_progress 0
		.amdhsa_shared_vgpr_count 0
		.amdhsa_exception_fp_ieee_invalid_op 0
		.amdhsa_exception_fp_denorm_src 0
		.amdhsa_exception_fp_ieee_div_zero 0
		.amdhsa_exception_fp_ieee_overflow 0
		.amdhsa_exception_fp_ieee_underflow 0
		.amdhsa_exception_fp_ieee_inexact 0
		.amdhsa_exception_int_div_zero 0
	.end_amdhsa_kernel
	.section	.text._ZL37rocblas_syrkx_herkx_restricted_kernelIi19rocblas_complex_numIfELi16ELi32ELi8ELi1ELin1ELb1ELc84ELc76EKS1_S1_EviT_PT9_S3_lS5_S3_lPT10_S3_li,"axG",@progbits,_ZL37rocblas_syrkx_herkx_restricted_kernelIi19rocblas_complex_numIfELi16ELi32ELi8ELi1ELin1ELb1ELc84ELc76EKS1_S1_EviT_PT9_S3_lS5_S3_lPT10_S3_li,comdat
.Lfunc_end316:
	.size	_ZL37rocblas_syrkx_herkx_restricted_kernelIi19rocblas_complex_numIfELi16ELi32ELi8ELi1ELin1ELb1ELc84ELc76EKS1_S1_EviT_PT9_S3_lS5_S3_lPT10_S3_li, .Lfunc_end316-_ZL37rocblas_syrkx_herkx_restricted_kernelIi19rocblas_complex_numIfELi16ELi32ELi8ELi1ELin1ELb1ELc84ELc76EKS1_S1_EviT_PT9_S3_lS5_S3_lPT10_S3_li
                                        ; -- End function
	.section	.AMDGPU.csdata,"",@progbits
; Kernel info:
; codeLenInByte = 2200
; NumSgprs: 22
; NumVgprs: 91
; ScratchSize: 0
; MemoryBound: 0
; FloatMode: 240
; IeeeMode: 1
; LDSByteSize: 4096 bytes/workgroup (compile time only)
; SGPRBlocks: 2
; VGPRBlocks: 11
; NumSGPRsForWavesPerEU: 22
; NumVGPRsForWavesPerEU: 91
; Occupancy: 16
; WaveLimiterHint : 0
; COMPUTE_PGM_RSRC2:SCRATCH_EN: 0
; COMPUTE_PGM_RSRC2:USER_SGPR: 13
; COMPUTE_PGM_RSRC2:TRAP_HANDLER: 0
; COMPUTE_PGM_RSRC2:TGID_X_EN: 1
; COMPUTE_PGM_RSRC2:TGID_Y_EN: 1
; COMPUTE_PGM_RSRC2:TGID_Z_EN: 1
; COMPUTE_PGM_RSRC2:TIDIG_COMP_CNT: 1
	.section	.text._ZL37rocblas_syrkx_herkx_restricted_kernelIi19rocblas_complex_numIfELi16ELi32ELi8ELi1ELin1ELb1ELc67ELc76EKS1_S1_EviT_PT9_S3_lS5_S3_lPT10_S3_li,"axG",@progbits,_ZL37rocblas_syrkx_herkx_restricted_kernelIi19rocblas_complex_numIfELi16ELi32ELi8ELi1ELin1ELb1ELc67ELc76EKS1_S1_EviT_PT9_S3_lS5_S3_lPT10_S3_li,comdat
	.globl	_ZL37rocblas_syrkx_herkx_restricted_kernelIi19rocblas_complex_numIfELi16ELi32ELi8ELi1ELin1ELb1ELc67ELc76EKS1_S1_EviT_PT9_S3_lS5_S3_lPT10_S3_li ; -- Begin function _ZL37rocblas_syrkx_herkx_restricted_kernelIi19rocblas_complex_numIfELi16ELi32ELi8ELi1ELin1ELb1ELc67ELc76EKS1_S1_EviT_PT9_S3_lS5_S3_lPT10_S3_li
	.p2align	8
	.type	_ZL37rocblas_syrkx_herkx_restricted_kernelIi19rocblas_complex_numIfELi16ELi32ELi8ELi1ELin1ELb1ELc67ELc76EKS1_S1_EviT_PT9_S3_lS5_S3_lPT10_S3_li,@function
_ZL37rocblas_syrkx_herkx_restricted_kernelIi19rocblas_complex_numIfELi16ELi32ELi8ELi1ELin1ELb1ELc67ELc76EKS1_S1_EviT_PT9_S3_lS5_S3_lPT10_S3_li: ; @_ZL37rocblas_syrkx_herkx_restricted_kernelIi19rocblas_complex_numIfELi16ELi32ELi8ELi1ELin1ELb1ELc67ELc76EKS1_S1_EviT_PT9_S3_lS5_S3_lPT10_S3_li
; %bb.0:
	s_clause 0x1
	s_load_b64 s[2:3], s[0:1], 0x0
	s_load_b128 s[4:7], s[0:1], 0x30
	v_dual_mov_b32 v15, 0 :: v_dual_and_b32 v6, 0x3ff, v0
	v_bfe_u32 v7, v0, 10, 10
	v_dual_mov_b32 v16, 0 :: v_dual_mov_b32 v11, 0
	v_dual_mov_b32 v12, 0 :: v_dual_mov_b32 v9, 0
	;; [unrolled: 1-line block ×3, first 2 shown]
	v_mov_b32_e32 v0, 0
	s_lshl_b32 s12, s13, 5
	s_lshl_b32 s13, s14, 5
	s_mov_b32 s14, 0
	s_waitcnt lgkmcnt(0)
	s_cmp_lt_i32 s3, 1
	s_cbranch_scc1 .LBB317_3
; %bb.1:
	s_clause 0x3
	s_load_b32 s18, s[0:1], 0x10
	s_load_b128 s[8:11], s[0:1], 0x18
	s_load_b64 s[16:17], s[0:1], 0x8
	s_load_b32 s19, s[0:1], 0x28
	v_lshl_add_u32 v2, v7, 4, v6
	v_dual_mov_b32 v1, 0 :: v_dual_and_b32 v0, 7, v6
	v_lshlrev_b32_e32 v10, 3, v6
	s_mul_i32 s5, s5, s15
	s_delay_alu instid0(VALU_DEP_3)
	v_lshrrev_b32_e32 v4, 3, v2
	v_and_b32_e32 v5, 31, v2
	v_lshlrev_b32_e32 v3, 3, v0
	v_lshrrev_b32_e32 v2, 5, v2
	v_lshl_add_u32 v17, v7, 6, 0x800
	v_add_nc_u32_e32 v12, s13, v4
	v_add_nc_u32_e32 v11, s12, v5
	v_lshl_or_b32 v9, v4, 6, v3
	v_dual_mov_b32 v3, v1 :: v_dual_lshlrev_b32 v8, 3, v5
	v_mov_b32_e32 v16, v1
	s_delay_alu instid0(VALU_DEP_3) | instskip(SKIP_1) | instid1(VALU_DEP_3)
	v_dual_mov_b32 v15, v1 :: v_dual_add_nc_u32 v14, 0x800, v9
	s_waitcnt lgkmcnt(0)
	v_mad_i64_i32 v[4:5], null, s18, v11, v[2:3]
	s_mul_i32 s9, s9, s15
	s_mul_hi_u32 s18, s8, s15
	v_mov_b32_e32 v9, v1
	v_lshl_or_b32 v13, v2, 8, v8
	v_mov_b32_e32 v11, v1
	v_mad_i64_i32 v[2:3], null, s19, v12, v[0:1]
	s_mul_i32 s8, s8, s15
	s_add_i32 s9, s18, s9
	v_lshlrev_b64 v[4:5], 3, v[4:5]
	s_lshl_b64 s[8:9], s[8:9], 3
	v_mov_b32_e32 v12, v1
	s_add_u32 s8, s16, s8
	s_mul_hi_u32 s16, s4, s15
	s_addc_u32 s9, s17, s9
	s_add_i32 s5, s16, s5
	s_mul_i32 s4, s4, s15
	v_lshlrev_b64 v[2:3], 3, v[2:3]
	s_lshl_b64 s[4:5], s[4:5], 3
	v_add_co_u32 v0, vcc_lo, s8, v4
	s_add_u32 s4, s10, s4
	v_add_co_ci_u32_e32 v4, vcc_lo, s9, v5, vcc_lo
	s_addc_u32 s5, s11, s5
	v_add_co_u32 v5, vcc_lo, s4, v2
	v_add_co_ci_u32_e32 v8, vcc_lo, s5, v3, vcc_lo
	v_add_co_u32 v2, vcc_lo, v0, 4
	v_add_co_ci_u32_e32 v3, vcc_lo, 0, v4, vcc_lo
	s_delay_alu instid0(VALU_DEP_4) | instskip(NEXT) | instid1(VALU_DEP_4)
	v_add_co_u32 v4, vcc_lo, v5, 4
	v_add_co_ci_u32_e32 v5, vcc_lo, 0, v8, vcc_lo
	v_mov_b32_e32 v0, v1
	v_mov_b32_e32 v8, v1
.LBB317_2:                              ; =>This Inner Loop Header: Depth=1
	global_load_b64 v[18:19], v[2:3], off offset:-4
	global_load_b64 v[20:21], v[4:5], off offset:-4
	v_add_co_u32 v2, vcc_lo, v2, 64
	v_add_co_ci_u32_e32 v3, vcc_lo, 0, v3, vcc_lo
	v_add_co_u32 v4, vcc_lo, v4, 64
	v_add_co_ci_u32_e32 v5, vcc_lo, 0, v5, vcc_lo
	s_add_i32 s14, s14, 8
	s_delay_alu instid0(SALU_CYCLE_1)
	s_cmp_ge_i32 s14, s3
	s_waitcnt vmcnt(1)
	v_xor_b32_e32 v19, 0x80000000, v19
	ds_store_b64 v13, v[18:19]
	s_waitcnt vmcnt(0)
	ds_store_b64 v14, v[20:21]
	s_waitcnt lgkmcnt(0)
	s_barrier
	buffer_gl0_inv
	ds_load_2addr_b64 v[18:21], v10 offset1:16
	ds_load_b128 v[22:25], v17
	ds_load_b128 v[26:29], v17 offset:1024
	ds_load_b128 v[30:33], v17 offset:16
	ds_load_2addr_b64 v[34:37], v10 offset0:32 offset1:48
	ds_load_b128 v[38:41], v17 offset:32
	ds_load_b128 v[42:45], v17 offset:48
	ds_load_2addr_b64 v[46:49], v10 offset0:64 offset1:80
	ds_load_b128 v[50:53], v17 offset:1040
	ds_load_2addr_b64 v[54:57], v10 offset0:96 offset1:112
	ds_load_2addr_b64 v[58:61], v10 offset0:128 offset1:144
	;; [unrolled: 1-line block ×4, first 2 shown]
	ds_load_b128 v[70:73], v17 offset:1056
	ds_load_b128 v[74:77], v17 offset:1072
	ds_load_2addr_b64 v[78:81], v10 offset0:224 offset1:240
	s_waitcnt lgkmcnt(0)
	s_barrier
	buffer_gl0_inv
	v_dual_mul_f32 v82, v23, v19 :: v_dual_mul_f32 v85, v22, v21
	v_dual_mul_f32 v83, v22, v19 :: v_dual_mul_f32 v84, v23, v21
	v_mul_f32_e32 v86, v27, v19
	v_dual_mul_f32 v19, v26, v19 :: v_dual_mul_f32 v90, v25, v37
	v_dual_mul_f32 v87, v27, v21 :: v_dual_mul_f32 v88, v25, v35
	v_mul_f32_e32 v21, v26, v21
	v_fma_f32 v82, v22, v18, -v82
	v_fmac_f32_e32 v83, v23, v18
	v_fma_f32 v22, v22, v20, -v84
	v_fmac_f32_e32 v85, v23, v20
	v_fma_f32 v23, v26, v18, -v86
	v_dual_fmac_f32 v19, v27, v18 :: v_dual_mul_f32 v86, v30, v47
	v_fma_f32 v18, v26, v20, -v87
	v_dual_fmac_f32 v21, v27, v20 :: v_dual_mul_f32 v20, v24, v37
	v_mul_f32_e32 v89, v24, v35
	v_mul_f32_e32 v26, v29, v35
	;; [unrolled: 1-line block ×4, first 2 shown]
	v_fmac_f32_e32 v20, v25, v36
	v_fmac_f32_e32 v89, v25, v34
	v_dual_mul_f32 v25, v28, v37 :: v_dual_fmac_f32 v86, v31, v46
	v_fma_f32 v84, v24, v34, -v88
	v_fma_f32 v24, v24, v36, -v90
	v_dual_mul_f32 v37, v31, v47 :: v_dual_mul_f32 v90, v33, v57
	v_fma_f32 v26, v28, v34, -v26
	v_fma_f32 v28, v28, v36, -v35
	v_fmac_f32_e32 v25, v29, v36
	v_dual_mul_f32 v35, v50, v47 :: v_dual_mul_f32 v36, v51, v49
	v_dual_fmac_f32 v27, v29, v34 :: v_dual_mul_f32 v34, v51, v47
	v_dual_mul_f32 v88, v32, v55 :: v_dual_mul_f32 v29, v30, v49
	v_mul_f32_e32 v87, v31, v49
	v_fma_f32 v37, v30, v46, -v37
	v_add_f32_e32 v16, v16, v83
	s_delay_alu instid0(VALU_DEP_4)
	v_dual_fmac_f32 v88, v33, v54 :: v_dual_fmac_f32 v29, v31, v48
	v_fma_f32 v31, v50, v46, -v34
	v_fma_f32 v34, v50, v48, -v36
	v_mul_f32_e32 v36, v32, v57
	v_mul_f32_e32 v47, v50, v49
	v_dual_mul_f32 v50, v53, v57 :: v_dual_fmac_f32 v35, v51, v46
	v_mul_f32_e32 v46, v53, v55
	v_mul_f32_e32 v49, v33, v55
	v_fma_f32 v30, v30, v48, -v87
	v_fmac_f32_e32 v36, v33, v56
	v_dual_fmac_f32 v47, v51, v48 :: v_dual_mul_f32 v48, v52, v55
	v_mul_f32_e32 v33, v52, v57
	v_fma_f32 v46, v52, v54, -v46
	v_fma_f32 v50, v52, v56, -v50
	v_mul_f32_e32 v52, v38, v61
	v_fma_f32 v49, v32, v54, -v49
	v_fma_f32 v32, v32, v56, -v90
	v_dual_mul_f32 v51, v39, v59 :: v_dual_fmac_f32 v48, v53, v54
	v_mul_f32_e32 v54, v70, v59
	v_dual_mul_f32 v55, v38, v59 :: v_dual_fmac_f32 v52, v39, v60
	v_fmac_f32_e32 v33, v53, v56
	v_mul_f32_e32 v53, v71, v59
	v_mul_f32_e32 v56, v71, v61
	;; [unrolled: 1-line block ×3, first 2 shown]
	v_fmac_f32_e32 v54, v71, v58
	v_fmac_f32_e32 v55, v39, v58
	v_fma_f32 v39, v70, v58, -v53
	v_fma_f32 v53, v70, v60, -v56
	v_mul_f32_e32 v56, v40, v65
	v_mul_f32_e32 v59, v70, v61
	v_fma_f32 v51, v38, v58, -v51
	v_mul_f32_e32 v58, v72, v63
	v_mul_f32_e32 v87, v40, v63
	;; [unrolled: 1-line block ×4, first 2 shown]
	v_fma_f32 v38, v38, v60, -v57
	v_mul_f32_e32 v57, v73, v63
	v_fmac_f32_e32 v56, v41, v64
	v_dual_fmac_f32 v59, v71, v60 :: v_dual_mul_f32 v60, v73, v65
	v_mul_f32_e32 v63, v43, v67
	v_mul_f32_e32 v70, v43, v69
	v_fmac_f32_e32 v58, v73, v62
	v_fmac_f32_e32 v87, v41, v62
	v_mul_f32_e32 v41, v72, v65
	v_fma_f32 v61, v40, v62, -v61
	v_fma_f32 v40, v40, v64, -v90
	v_mul_f32_e32 v65, v42, v67
	v_fma_f32 v57, v72, v62, -v57
	v_fma_f32 v60, v72, v64, -v60
	v_dual_fmac_f32 v41, v73, v64 :: v_dual_mul_f32 v62, v42, v69
	v_mul_f32_e32 v64, v75, v67
	v_fma_f32 v63, v42, v66, -v63
	v_fma_f32 v42, v42, v68, -v70
	v_mul_f32_e32 v70, v76, v79
	v_mul_f32_e32 v67, v74, v67
	;; [unrolled: 1-line block ×3, first 2 shown]
	v_dual_mul_f32 v69, v74, v69 :: v_dual_add_f32 v12, v12, v22
	v_mul_f32_e32 v73, v44, v79
	v_dual_fmac_f32 v65, v43, v66 :: v_dual_add_f32 v8, v8, v19
	v_fmac_f32_e32 v62, v43, v68
	v_fma_f32 v43, v74, v66, -v64
	v_fmac_f32_e32 v70, v77, v78
	v_dual_fmac_f32 v67, v75, v66 :: v_dual_add_f32 v16, v16, v89
	v_mul_f32_e32 v66, v44, v81
	v_mul_f32_e32 v72, v45, v79
	v_dual_mul_f32 v90, v45, v81 :: v_dual_fmac_f32 v69, v75, v68
	v_add_f32_e32 v0, v0, v18
	v_dual_fmac_f32 v73, v45, v78 :: v_dual_add_f32 v8, v8, v27
	v_dual_fmac_f32 v66, v45, v80 :: v_dual_mul_f32 v45, v76, v81
	v_fma_f32 v64, v74, v68, -v71
	v_dual_mul_f32 v71, v77, v81 :: v_dual_add_f32 v12, v12, v24
	v_dual_add_f32 v15, v15, v82 :: v_dual_add_f32 v0, v0, v28
	s_delay_alu instid0(VALU_DEP_4) | instskip(NEXT) | instid1(VALU_DEP_3)
	v_dual_fmac_f32 v45, v77, v80 :: v_dual_add_f32 v16, v16, v86
	v_dual_add_f32 v11, v11, v85 :: v_dual_add_f32 v12, v12, v30
	s_delay_alu instid0(VALU_DEP_3) | instskip(SKIP_2) | instid1(VALU_DEP_3)
	v_dual_add_f32 v9, v9, v23 :: v_dual_add_f32 v0, v0, v34
	v_dual_add_f32 v1, v1, v21 :: v_dual_add_f32 v8, v8, v35
	v_add_f32_e32 v15, v15, v84
	v_dual_add_f32 v9, v9, v26 :: v_dual_add_f32 v16, v16, v88
	v_add_f32_e32 v11, v11, v20
	s_delay_alu instid0(VALU_DEP_4) | instskip(NEXT) | instid1(VALU_DEP_3)
	v_dual_add_f32 v1, v1, v25 :: v_dual_add_f32 v12, v12, v32
	v_dual_add_f32 v8, v8, v48 :: v_dual_add_f32 v9, v9, v31
	;; [unrolled: 1-line block ×3, first 2 shown]
	s_delay_alu instid0(VALU_DEP_3) | instskip(SKIP_1) | instid1(VALU_DEP_3)
	v_add_f32_e32 v1, v1, v47
	v_dual_add_f32 v16, v16, v55 :: v_dual_add_f32 v11, v11, v29
	v_dual_add_f32 v12, v12, v38 :: v_dual_add_f32 v15, v15, v49
	v_add_f32_e32 v8, v8, v54
	s_delay_alu instid0(VALU_DEP_3) | instskip(NEXT) | instid1(VALU_DEP_3)
	v_dual_add_f32 v16, v16, v87 :: v_dual_add_f32 v11, v11, v36
	v_dual_add_f32 v9, v9, v46 :: v_dual_add_f32 v12, v12, v40
	v_add_f32_e32 v0, v0, v53
	v_add_f32_e32 v1, v1, v33
	s_delay_alu instid0(VALU_DEP_4) | instskip(SKIP_3) | instid1(VALU_DEP_4)
	v_dual_add_f32 v15, v15, v51 :: v_dual_add_f32 v16, v16, v65
	v_dual_add_f32 v8, v8, v58 :: v_dual_add_f32 v11, v11, v52
	v_add_f32_e32 v12, v12, v42
	v_dual_add_f32 v0, v0, v60 :: v_dual_add_f32 v9, v9, v39
	v_dual_add_f32 v1, v1, v59 :: v_dual_add_f32 v16, v16, v73
	v_mul_f32_e32 v68, v77, v79
	v_fma_f32 v72, v44, v78, -v72
	v_fma_f32 v44, v44, v80, -v90
	v_fma_f32 v71, v76, v80, -v71
	v_dual_add_f32 v15, v15, v61 :: v_dual_add_f32 v8, v8, v67
	v_add_f32_e32 v11, v11, v56
	v_dual_add_f32 v0, v0, v64 :: v_dual_add_f32 v9, v9, v57
	v_dual_add_f32 v12, v12, v44 :: v_dual_add_f32 v1, v1, v41
	v_fma_f32 v68, v76, v78, -v68
	s_delay_alu instid0(VALU_DEP_3) | instskip(SKIP_4) | instid1(VALU_DEP_4)
	v_add_f32_e32 v0, v0, v71
	v_add_f32_e32 v15, v15, v63
	;; [unrolled: 1-line block ×3, first 2 shown]
	v_dual_add_f32 v1, v1, v69 :: v_dual_add_f32 v8, v8, v70
	v_add_f32_e32 v11, v11, v62
	v_add_f32_e32 v15, v15, v72
	s_delay_alu instid0(VALU_DEP_4) | instskip(NEXT) | instid1(VALU_DEP_4)
	v_add_f32_e32 v9, v9, v68
	v_add_f32_e32 v1, v1, v45
	s_delay_alu instid0(VALU_DEP_4)
	v_add_f32_e32 v11, v11, v66
	s_cbranch_scc0 .LBB317_2
.LBB317_3:
	s_clause 0x1
	s_load_b32 s3, s[0:1], 0x40
	s_load_b64 s[4:5], s[0:1], 0x48
	v_add_nc_u32_e32 v7, s13, v7
	v_add_nc_u32_e32 v2, s12, v6
	s_delay_alu instid0(VALU_DEP_1)
	v_cmp_le_i32_e64 s0, v7, v2
	v_cmp_gt_i32_e32 vcc_lo, s2, v2
	s_waitcnt lgkmcnt(0)
	v_mad_i64_i32 v[3:4], null, v7, s3, 0
	s_mul_i32 s1, s15, s5
	s_mul_hi_u32 s5, s15, s4
	s_mul_i32 s4, s15, s4
	s_add_i32 s5, s5, s1
	s_delay_alu instid0(SALU_CYCLE_1) | instskip(NEXT) | instid1(VALU_DEP_1)
	s_lshl_b64 s[4:5], s[4:5], 3
	v_lshlrev_b64 v[3:4], 3, v[3:4]
	s_add_u32 s4, s6, s4
	s_addc_u32 s5, s7, s5
	s_and_b32 s0, s0, vcc_lo
	s_delay_alu instid0(VALU_DEP_1) | instskip(NEXT) | instid1(VALU_DEP_1)
	v_add_co_u32 v6, s1, s4, v3
	v_add_co_ci_u32_e64 v10, s1, s5, v4, s1
	s_and_saveexec_b32 s1, s0
	s_cbranch_execz .LBB317_6
; %bb.4:
	v_ashrrev_i32_e32 v3, 31, v2
	s_delay_alu instid0(VALU_DEP_1) | instskip(NEXT) | instid1(VALU_DEP_1)
	v_lshlrev_b64 v[3:4], 3, v[2:3]
	v_add_co_u32 v3, s0, v6, v3
	s_delay_alu instid0(VALU_DEP_1)
	v_add_co_ci_u32_e64 v4, s0, v10, v4, s0
	v_cmp_eq_u32_e64 s0, v7, v2
	global_load_b64 v[13:14], v[3:4], off
	s_waitcnt vmcnt(0)
	v_dual_sub_f32 v13, v15, v13 :: v_dual_sub_f32 v14, v16, v14
	global_store_b64 v[3:4], v[13:14], off
	s_and_b32 exec_lo, exec_lo, s0
	s_cbranch_execz .LBB317_6
; %bb.5:
	v_mov_b32_e32 v5, 0
	global_store_b32 v[3:4], v5, off offset:4
.LBB317_6:
	s_or_b32 exec_lo, exec_lo, s1
	v_add_nc_u32_e32 v4, 16, v2
	s_delay_alu instid0(VALU_DEP_1) | instskip(SKIP_1) | instid1(VALU_DEP_1)
	v_cmp_le_i32_e64 s1, v7, v4
	v_cmp_gt_i32_e64 s0, s2, v4
	s_and_b32 s1, s1, s0
	s_delay_alu instid0(SALU_CYCLE_1)
	s_and_saveexec_b32 s2, s1
	s_cbranch_execz .LBB317_9
; %bb.7:
	v_ashrrev_i32_e32 v5, 31, v4
	s_delay_alu instid0(VALU_DEP_1) | instskip(NEXT) | instid1(VALU_DEP_1)
	v_lshlrev_b64 v[13:14], 3, v[4:5]
	v_add_co_u32 v5, s1, v6, v13
	s_delay_alu instid0(VALU_DEP_1)
	v_add_co_ci_u32_e64 v6, s1, v10, v14, s1
	v_cmp_eq_u32_e64 s1, v7, v4
	global_load_b64 v[13:14], v[5:6], off
	s_waitcnt vmcnt(0)
	v_dual_sub_f32 v10, v12, v13 :: v_dual_sub_f32 v11, v11, v14
	global_store_b64 v[5:6], v[10:11], off
	s_and_b32 exec_lo, exec_lo, s1
	s_cbranch_execz .LBB317_9
; %bb.8:
	v_mov_b32_e32 v3, 0
	global_store_b32 v[5:6], v3, off offset:4
.LBB317_9:
	s_or_b32 exec_lo, exec_lo, s2
	v_add_nc_u32_e32 v12, 16, v7
	s_delay_alu instid0(VALU_DEP_1) | instskip(SKIP_1) | instid1(VALU_DEP_2)
	v_mad_i64_i32 v[5:6], null, v12, s3, 0
	v_cmp_le_i32_e64 s1, v12, v2
	v_lshlrev_b64 v[5:6], 3, v[5:6]
	s_delay_alu instid0(VALU_DEP_1) | instskip(NEXT) | instid1(VALU_DEP_1)
	v_add_co_u32 v10, s2, s4, v5
	v_add_co_ci_u32_e64 v11, s2, s5, v6, s2
	s_delay_alu instid0(VALU_DEP_4) | instskip(NEXT) | instid1(SALU_CYCLE_1)
	s_and_b32 s2, s1, vcc_lo
	s_and_saveexec_b32 s1, s2
	s_cbranch_execz .LBB317_12
; %bb.10:
	v_ashrrev_i32_e32 v3, 31, v2
	s_delay_alu instid0(VALU_DEP_1) | instskip(NEXT) | instid1(VALU_DEP_1)
	v_lshlrev_b64 v[5:6], 3, v[2:3]
	v_add_co_u32 v5, vcc_lo, v10, v5
	s_delay_alu instid0(VALU_DEP_2)
	v_add_co_ci_u32_e32 v6, vcc_lo, v11, v6, vcc_lo
	v_cmp_eq_u32_e32 vcc_lo, v12, v2
	global_load_b64 v[13:14], v[5:6], off
	s_waitcnt vmcnt(0)
	v_dual_sub_f32 v13, v9, v13 :: v_dual_sub_f32 v14, v8, v14
	global_store_b64 v[5:6], v[13:14], off
	s_and_b32 exec_lo, exec_lo, vcc_lo
	s_cbranch_execz .LBB317_12
; %bb.11:
	v_mov_b32_e32 v3, 0
	global_store_b32 v[5:6], v3, off offset:4
.LBB317_12:
	s_or_b32 exec_lo, exec_lo, s1
	v_cmp_le_i32_e32 vcc_lo, v12, v4
	s_and_b32 s0, vcc_lo, s0
	s_delay_alu instid0(SALU_CYCLE_1)
	s_and_saveexec_b32 s1, s0
	s_cbranch_execz .LBB317_15
; %bb.13:
	v_ashrrev_i32_e32 v5, 31, v4
	s_delay_alu instid0(VALU_DEP_1) | instskip(NEXT) | instid1(VALU_DEP_1)
	v_lshlrev_b64 v[3:4], 3, v[4:5]
	v_add_co_u32 v3, vcc_lo, v10, v3
	s_delay_alu instid0(VALU_DEP_2)
	v_add_co_ci_u32_e32 v4, vcc_lo, v11, v4, vcc_lo
	v_cmp_eq_u32_e32 vcc_lo, v7, v2
	global_load_b64 v[5:6], v[3:4], off
	s_waitcnt vmcnt(0)
	v_dual_sub_f32 v0, v0, v5 :: v_dual_sub_f32 v1, v1, v6
	global_store_b64 v[3:4], v[0:1], off
	s_and_b32 exec_lo, exec_lo, vcc_lo
	s_cbranch_execz .LBB317_15
; %bb.14:
	v_mov_b32_e32 v0, 0
	global_store_b32 v[3:4], v0, off offset:4
.LBB317_15:
	s_nop 0
	s_sendmsg sendmsg(MSG_DEALLOC_VGPRS)
	s_endpgm
	.section	.rodata,"a",@progbits
	.p2align	6, 0x0
	.amdhsa_kernel _ZL37rocblas_syrkx_herkx_restricted_kernelIi19rocblas_complex_numIfELi16ELi32ELi8ELi1ELin1ELb1ELc67ELc76EKS1_S1_EviT_PT9_S3_lS5_S3_lPT10_S3_li
		.amdhsa_group_segment_fixed_size 4096
		.amdhsa_private_segment_fixed_size 0
		.amdhsa_kernarg_size 84
		.amdhsa_user_sgpr_count 13
		.amdhsa_user_sgpr_dispatch_ptr 0
		.amdhsa_user_sgpr_queue_ptr 0
		.amdhsa_user_sgpr_kernarg_segment_ptr 1
		.amdhsa_user_sgpr_dispatch_id 0
		.amdhsa_user_sgpr_private_segment_size 0
		.amdhsa_wavefront_size32 1
		.amdhsa_uses_dynamic_stack 0
		.amdhsa_enable_private_segment 0
		.amdhsa_system_sgpr_workgroup_id_x 1
		.amdhsa_system_sgpr_workgroup_id_y 1
		.amdhsa_system_sgpr_workgroup_id_z 1
		.amdhsa_system_sgpr_workgroup_info 0
		.amdhsa_system_vgpr_workitem_id 1
		.amdhsa_next_free_vgpr 91
		.amdhsa_next_free_sgpr 20
		.amdhsa_reserve_vcc 1
		.amdhsa_float_round_mode_32 0
		.amdhsa_float_round_mode_16_64 0
		.amdhsa_float_denorm_mode_32 3
		.amdhsa_float_denorm_mode_16_64 3
		.amdhsa_dx10_clamp 1
		.amdhsa_ieee_mode 1
		.amdhsa_fp16_overflow 0
		.amdhsa_workgroup_processor_mode 1
		.amdhsa_memory_ordered 1
		.amdhsa_forward_progress 0
		.amdhsa_shared_vgpr_count 0
		.amdhsa_exception_fp_ieee_invalid_op 0
		.amdhsa_exception_fp_denorm_src 0
		.amdhsa_exception_fp_ieee_div_zero 0
		.amdhsa_exception_fp_ieee_overflow 0
		.amdhsa_exception_fp_ieee_underflow 0
		.amdhsa_exception_fp_ieee_inexact 0
		.amdhsa_exception_int_div_zero 0
	.end_amdhsa_kernel
	.section	.text._ZL37rocblas_syrkx_herkx_restricted_kernelIi19rocblas_complex_numIfELi16ELi32ELi8ELi1ELin1ELb1ELc67ELc76EKS1_S1_EviT_PT9_S3_lS5_S3_lPT10_S3_li,"axG",@progbits,_ZL37rocblas_syrkx_herkx_restricted_kernelIi19rocblas_complex_numIfELi16ELi32ELi8ELi1ELin1ELb1ELc67ELc76EKS1_S1_EviT_PT9_S3_lS5_S3_lPT10_S3_li,comdat
.Lfunc_end317:
	.size	_ZL37rocblas_syrkx_herkx_restricted_kernelIi19rocblas_complex_numIfELi16ELi32ELi8ELi1ELin1ELb1ELc67ELc76EKS1_S1_EviT_PT9_S3_lS5_S3_lPT10_S3_li, .Lfunc_end317-_ZL37rocblas_syrkx_herkx_restricted_kernelIi19rocblas_complex_numIfELi16ELi32ELi8ELi1ELin1ELb1ELc67ELc76EKS1_S1_EviT_PT9_S3_lS5_S3_lPT10_S3_li
                                        ; -- End function
	.section	.AMDGPU.csdata,"",@progbits
; Kernel info:
; codeLenInByte = 2212
; NumSgprs: 22
; NumVgprs: 91
; ScratchSize: 0
; MemoryBound: 0
; FloatMode: 240
; IeeeMode: 1
; LDSByteSize: 4096 bytes/workgroup (compile time only)
; SGPRBlocks: 2
; VGPRBlocks: 11
; NumSGPRsForWavesPerEU: 22
; NumVGPRsForWavesPerEU: 91
; Occupancy: 16
; WaveLimiterHint : 0
; COMPUTE_PGM_RSRC2:SCRATCH_EN: 0
; COMPUTE_PGM_RSRC2:USER_SGPR: 13
; COMPUTE_PGM_RSRC2:TRAP_HANDLER: 0
; COMPUTE_PGM_RSRC2:TGID_X_EN: 1
; COMPUTE_PGM_RSRC2:TGID_Y_EN: 1
; COMPUTE_PGM_RSRC2:TGID_Z_EN: 1
; COMPUTE_PGM_RSRC2:TIDIG_COMP_CNT: 1
	.section	.text._ZL37rocblas_syrkx_herkx_restricted_kernelIi19rocblas_complex_numIfELi16ELi32ELi8ELi1ELin1ELb1ELc78ELc76EKS1_S1_EviT_PT9_S3_lS5_S3_lPT10_S3_li,"axG",@progbits,_ZL37rocblas_syrkx_herkx_restricted_kernelIi19rocblas_complex_numIfELi16ELi32ELi8ELi1ELin1ELb1ELc78ELc76EKS1_S1_EviT_PT9_S3_lS5_S3_lPT10_S3_li,comdat
	.globl	_ZL37rocblas_syrkx_herkx_restricted_kernelIi19rocblas_complex_numIfELi16ELi32ELi8ELi1ELin1ELb1ELc78ELc76EKS1_S1_EviT_PT9_S3_lS5_S3_lPT10_S3_li ; -- Begin function _ZL37rocblas_syrkx_herkx_restricted_kernelIi19rocblas_complex_numIfELi16ELi32ELi8ELi1ELin1ELb1ELc78ELc76EKS1_S1_EviT_PT9_S3_lS5_S3_lPT10_S3_li
	.p2align	8
	.type	_ZL37rocblas_syrkx_herkx_restricted_kernelIi19rocblas_complex_numIfELi16ELi32ELi8ELi1ELin1ELb1ELc78ELc76EKS1_S1_EviT_PT9_S3_lS5_S3_lPT10_S3_li,@function
_ZL37rocblas_syrkx_herkx_restricted_kernelIi19rocblas_complex_numIfELi16ELi32ELi8ELi1ELin1ELb1ELc78ELc76EKS1_S1_EviT_PT9_S3_lS5_S3_lPT10_S3_li: ; @_ZL37rocblas_syrkx_herkx_restricted_kernelIi19rocblas_complex_numIfELi16ELi32ELi8ELi1ELin1ELb1ELc78ELc76EKS1_S1_EviT_PT9_S3_lS5_S3_lPT10_S3_li
; %bb.0:
	s_clause 0x1
	s_load_b64 s[2:3], s[0:1], 0x0
	s_load_b128 s[4:7], s[0:1], 0x30
	v_dual_mov_b32 v17, 0 :: v_dual_and_b32 v4, 0x3ff, v0
	v_bfe_u32 v5, v0, 10, 10
	v_dual_mov_b32 v16, 0 :: v_dual_mov_b32 v11, 0
	v_dual_mov_b32 v10, 0 :: v_dual_mov_b32 v9, 0
	;; [unrolled: 1-line block ×3, first 2 shown]
	v_mov_b32_e32 v6, 0
	s_lshl_b32 s12, s13, 5
	s_lshl_b32 s13, s14, 5
	s_mov_b32 s14, 0
	s_waitcnt lgkmcnt(0)
	s_cmp_lt_i32 s3, 1
	s_cbranch_scc1 .LBB318_3
; %bb.1:
	s_clause 0x1
	s_load_b32 s16, s[0:1], 0x10
	s_load_b32 s18, s[0:1], 0x28
	v_lshl_add_u32 v0, v5, 4, v4
	v_and_b32_e32 v8, 7, v4
	s_clause 0x1
	s_load_b128 s[8:11], s[0:1], 0x18
	s_load_b64 s[20:21], s[0:1], 0x8
	s_mul_i32 s5, s5, s15
	v_lshrrev_b32_e32 v1, 3, v0
	v_and_b32_e32 v2, 31, v0
	v_lshrrev_b32_e32 v9, 5, v0
	v_lshlrev_b32_e32 v3, 3, v8
	s_delay_alu instid0(VALU_DEP_4) | instskip(NEXT) | instid1(VALU_DEP_4)
	v_dual_mov_b32 v11, 0 :: v_dual_add_nc_u32 v0, s13, v1
	v_dual_mov_b32 v17, 0 :: v_dual_lshlrev_b32 v6, 3, v2
	v_add_nc_u32_e32 v2, s12, v2
	s_delay_alu instid0(VALU_DEP_4) | instskip(NEXT) | instid1(VALU_DEP_4)
	v_lshl_or_b32 v10, v1, 6, v3
	v_ashrrev_i32_e32 v1, 31, v0
	s_delay_alu instid0(VALU_DEP_4)
	v_lshl_or_b32 v12, v9, 8, v6
	v_lshlrev_b32_e32 v14, 3, v4
	v_ashrrev_i32_e32 v3, 31, v2
	s_waitcnt lgkmcnt(0)
	s_ashr_i32 s17, s16, 31
	v_mad_i64_i32 v[6:7], null, s18, v8, v[0:1]
	s_mul_i32 s9, s9, s15
	v_mad_i64_i32 v[0:1], null, s16, v9, v[2:3]
	s_mul_hi_u32 s22, s8, s15
	s_mul_i32 s8, s8, s15
	s_add_i32 s9, s22, s9
	s_ashr_i32 s19, s18, 31
	s_lshl_b64 s[8:9], s[8:9], 3
	v_dual_mov_b32 v8, 0 :: v_dual_add_nc_u32 v13, 0x800, v10
	s_delay_alu instid0(VALU_DEP_2)
	v_lshlrev_b64 v[0:1], 3, v[0:1]
	s_add_u32 s8, s20, s8
	s_addc_u32 s9, s21, s9
	s_mul_hi_u32 s20, s4, s15
	s_mul_i32 s4, s4, s15
	s_add_i32 s5, s20, s5
	v_add_co_u32 v2, vcc_lo, s8, v0
	v_add_co_ci_u32_e32 v3, vcc_lo, s9, v1, vcc_lo
	v_lshlrev_b64 v[0:1], 3, v[6:7]
	s_lshl_b64 s[8:9], s[4:5], 3
	s_lshl_b64 s[4:5], s[16:17], 6
	s_add_u32 s8, s10, s8
	s_addc_u32 s9, s11, s9
	v_lshl_add_u32 v15, v5, 6, 0x800
	v_add_co_u32 v6, vcc_lo, s8, v0
	v_add_co_ci_u32_e32 v7, vcc_lo, s9, v1, vcc_lo
	v_add_co_u32 v0, vcc_lo, v2, 4
	v_add_co_ci_u32_e32 v1, vcc_lo, 0, v3, vcc_lo
	s_delay_alu instid0(VALU_DEP_4) | instskip(NEXT) | instid1(VALU_DEP_4)
	v_add_co_u32 v2, vcc_lo, v6, 4
	v_add_co_ci_u32_e32 v3, vcc_lo, 0, v7, vcc_lo
	v_dual_mov_b32 v6, 0 :: v_dual_mov_b32 v7, 0
	v_dual_mov_b32 v9, 0 :: v_dual_mov_b32 v10, 0
	v_mov_b32_e32 v16, 0
	s_lshl_b64 s[8:9], s[18:19], 6
.LBB318_2:                              ; =>This Inner Loop Header: Depth=1
	global_load_b64 v[18:19], v[2:3], off offset:-4
	global_load_b64 v[20:21], v[0:1], off offset:-4
	v_add_co_u32 v0, vcc_lo, v0, s4
	v_add_co_ci_u32_e32 v1, vcc_lo, s5, v1, vcc_lo
	v_add_co_u32 v2, vcc_lo, v2, s8
	v_add_co_ci_u32_e32 v3, vcc_lo, s9, v3, vcc_lo
	s_add_i32 s14, s14, 8
	s_delay_alu instid0(SALU_CYCLE_1)
	s_cmp_ge_i32 s14, s3
	s_waitcnt vmcnt(1)
	v_xor_b32_e32 v19, 0x80000000, v19
	s_waitcnt vmcnt(0)
	ds_store_b64 v12, v[20:21]
	ds_store_b64 v13, v[18:19]
	s_waitcnt lgkmcnt(0)
	s_barrier
	buffer_gl0_inv
	ds_load_2addr_b64 v[18:21], v14 offset1:16
	ds_load_b128 v[22:25], v15
	ds_load_b128 v[26:29], v15 offset:1024
	ds_load_b128 v[30:33], v15 offset:16
	ds_load_2addr_b64 v[34:37], v14 offset0:32 offset1:48
	ds_load_b128 v[38:41], v15 offset:32
	ds_load_b128 v[42:45], v15 offset:48
	ds_load_2addr_b64 v[46:49], v14 offset0:64 offset1:80
	ds_load_b128 v[50:53], v15 offset:1040
	ds_load_2addr_b64 v[54:57], v14 offset0:96 offset1:112
	ds_load_2addr_b64 v[58:61], v14 offset0:128 offset1:144
	;; [unrolled: 1-line block ×4, first 2 shown]
	ds_load_b128 v[70:73], v15 offset:1056
	ds_load_b128 v[74:77], v15 offset:1072
	ds_load_2addr_b64 v[78:81], v14 offset0:224 offset1:240
	s_waitcnt lgkmcnt(0)
	s_barrier
	buffer_gl0_inv
	v_dual_mul_f32 v82, v23, v19 :: v_dual_mul_f32 v85, v22, v21
	v_dual_mul_f32 v83, v22, v19 :: v_dual_mul_f32 v84, v23, v21
	v_mul_f32_e32 v86, v27, v19
	v_dual_mul_f32 v19, v26, v19 :: v_dual_mul_f32 v90, v25, v37
	v_dual_mul_f32 v87, v27, v21 :: v_dual_mul_f32 v88, v25, v35
	v_mul_f32_e32 v21, v26, v21
	v_mul_f32_e32 v89, v24, v35
	v_mul_f32_e32 v91, v24, v37
	v_fma_f32 v82, v22, v18, -v82
	v_fmac_f32_e32 v83, v23, v18
	v_fma_f32 v22, v22, v20, -v84
	v_dual_fmac_f32 v85, v23, v20 :: v_dual_mul_f32 v84, v30, v47
	v_fma_f32 v23, v26, v18, -v86
	v_fmac_f32_e32 v19, v27, v18
	v_fma_f32 v18, v26, v20, -v87
	v_dual_mul_f32 v26, v28, v35 :: v_dual_fmac_f32 v21, v27, v20
	v_mul_f32_e32 v20, v29, v35
	v_mul_f32_e32 v27, v29, v37
	v_dual_mul_f32 v35, v28, v37 :: v_dual_fmac_f32 v84, v31, v46
	v_fma_f32 v37, v24, v34, -v88
	v_fma_f32 v24, v24, v36, -v90
	v_dual_fmac_f32 v91, v25, v36 :: v_dual_mul_f32 v90, v32, v57
	v_dual_mul_f32 v86, v31, v49 :: v_dual_fmac_f32 v89, v25, v34
	v_dual_mul_f32 v25, v31, v47 :: v_dual_mul_f32 v88, v33, v57
	v_fma_f32 v20, v28, v34, -v20
	v_fmac_f32_e32 v26, v29, v34
	v_fma_f32 v27, v28, v36, -v27
	v_dual_fmac_f32 v35, v29, v36 :: v_dual_mul_f32 v28, v51, v47
	v_dual_mul_f32 v29, v50, v47 :: v_dual_mul_f32 v34, v51, v49
	v_mul_f32_e32 v36, v50, v49
	v_mul_f32_e32 v87, v30, v49
	;; [unrolled: 1-line block ×3, first 2 shown]
	v_dual_mul_f32 v49, v32, v55 :: v_dual_fmac_f32 v90, v33, v56
	v_fma_f32 v25, v30, v46, -v25
	v_fma_f32 v30, v30, v48, -v86
	;; [unrolled: 1-line block ×3, first 2 shown]
	v_fmac_f32_e32 v36, v51, v48
	v_fmac_f32_e32 v87, v31, v48
	v_fma_f32 v31, v50, v48, -v34
	v_mul_f32_e32 v34, v53, v55
	v_mul_f32_e32 v48, v53, v57
	v_dual_mul_f32 v50, v52, v57 :: v_dual_fmac_f32 v29, v51, v46
	v_mul_f32_e32 v46, v52, v55
	v_fma_f32 v47, v32, v54, -v47
	v_fmac_f32_e32 v49, v33, v54
	v_fma_f32 v32, v32, v56, -v88
	s_delay_alu instid0(VALU_DEP_4)
	v_dual_mul_f32 v33, v39, v59 :: v_dual_fmac_f32 v46, v53, v54
	v_mul_f32_e32 v51, v38, v59
	v_mul_f32_e32 v55, v39, v61
	v_fma_f32 v34, v52, v54, -v34
	v_fma_f32 v48, v52, v56, -v48
	v_fmac_f32_e32 v50, v53, v56
	v_mul_f32_e32 v52, v71, v59
	v_dual_mul_f32 v53, v70, v59 :: v_dual_mul_f32 v86, v41, v65
	v_mul_f32_e32 v54, v71, v61
	v_dual_mul_f32 v56, v70, v61 :: v_dual_mul_f32 v59, v41, v63
	v_mul_f32_e32 v57, v38, v61
	v_mul_f32_e32 v61, v40, v63
	v_dual_mul_f32 v88, v40, v65 :: v_dual_fmac_f32 v51, v39, v58
	v_fma_f32 v33, v38, v58, -v33
	v_fmac_f32_e32 v53, v71, v58
	v_fmac_f32_e32 v56, v71, v60
	s_delay_alu instid0(VALU_DEP_4)
	v_fmac_f32_e32 v88, v41, v64
	v_fmac_f32_e32 v57, v39, v60
	v_fma_f32 v39, v70, v58, -v52
	v_fma_f32 v52, v70, v60, -v54
	v_mul_f32_e32 v54, v73, v63
	v_fma_f32 v38, v38, v60, -v55
	v_mul_f32_e32 v60, v72, v65
	v_dual_mul_f32 v55, v72, v63 :: v_dual_mul_f32 v70, v42, v69
	v_mul_f32_e32 v58, v73, v65
	v_fma_f32 v59, v40, v62, -v59
	v_fmac_f32_e32 v61, v41, v62
	v_fma_f32 v40, v40, v64, -v86
	v_dual_mul_f32 v41, v43, v67 :: v_dual_fmac_f32 v60, v73, v64
	v_dual_mul_f32 v63, v42, v67 :: v_dual_mul_f32 v86, v44, v81
	v_mul_f32_e32 v65, v43, v69
	v_fma_f32 v54, v72, v62, -v54
	v_fmac_f32_e32 v55, v73, v62
	v_fma_f32 v58, v72, v64, -v58
	v_mul_f32_e32 v72, v44, v79
	v_mul_f32_e32 v62, v75, v67
	v_dual_mul_f32 v64, v74, v67 :: v_dual_mul_f32 v67, v75, v69
	v_dual_mul_f32 v69, v74, v69 :: v_dual_fmac_f32 v70, v43, v68
	s_delay_alu instid0(VALU_DEP_2)
	v_dual_mul_f32 v71, v45, v79 :: v_dual_fmac_f32 v64, v75, v66
	v_fma_f32 v41, v42, v66, -v41
	v_fmac_f32_e32 v63, v43, v66
	v_fma_f32 v42, v42, v68, -v65
	v_fma_f32 v43, v74, v66, -v62
	v_dual_fmac_f32 v69, v75, v68 :: v_dual_fmac_f32 v72, v45, v78
	v_mul_f32_e32 v66, v76, v79
	v_fma_f32 v62, v74, v68, -v67
	v_mul_f32_e32 v68, v76, v81
	v_dual_mul_f32 v73, v45, v81 :: v_dual_add_f32 v16, v16, v82
	v_dual_mul_f32 v65, v77, v79 :: v_dual_add_f32 v10, v10, v85
	;; [unrolled: 1-line block ×3, first 2 shown]
	v_dual_fmac_f32 v86, v45, v80 :: v_dual_add_f32 v11, v11, v22
	v_dual_fmac_f32 v68, v77, v80 :: v_dual_add_f32 v7, v7, v18
	v_dual_add_f32 v17, v17, v83 :: v_dual_add_f32 v6, v6, v21
	v_dual_add_f32 v9, v9, v23 :: v_dual_add_f32 v16, v16, v37
	s_delay_alu instid0(VALU_DEP_4) | instskip(NEXT) | instid1(VALU_DEP_3)
	v_dual_fmac_f32 v66, v77, v78 :: v_dual_add_f32 v11, v11, v24
	v_dual_add_f32 v17, v17, v89 :: v_dual_add_f32 v10, v10, v91
	s_delay_alu instid0(VALU_DEP_3) | instskip(NEXT) | instid1(VALU_DEP_4)
	v_dual_add_f32 v9, v9, v20 :: v_dual_add_f32 v8, v8, v26
	v_dual_add_f32 v7, v7, v27 :: v_dual_add_f32 v16, v16, v25
	s_delay_alu instid0(VALU_DEP_3) | instskip(NEXT) | instid1(VALU_DEP_4)
	v_dual_add_f32 v6, v6, v35 :: v_dual_add_f32 v17, v17, v84
	v_dual_add_f32 v11, v11, v30 :: v_dual_add_f32 v10, v10, v87
	s_delay_alu instid0(VALU_DEP_4) | instskip(NEXT) | instid1(VALU_DEP_3)
	v_dual_add_f32 v9, v9, v28 :: v_dual_add_f32 v8, v8, v29
	v_dual_add_f32 v7, v7, v31 :: v_dual_add_f32 v6, v6, v36
	s_delay_alu instid0(VALU_DEP_4) | instskip(NEXT) | instid1(VALU_DEP_4)
	v_dual_add_f32 v16, v16, v47 :: v_dual_add_f32 v17, v17, v49
	v_dual_add_f32 v11, v11, v32 :: v_dual_add_f32 v10, v10, v90
	s_delay_alu instid0(VALU_DEP_2) | instskip(NEXT) | instid1(VALU_DEP_4)
	v_dual_add_f32 v9, v9, v34 :: v_dual_add_f32 v16, v16, v33
	v_dual_add_f32 v8, v8, v46 :: v_dual_add_f32 v7, v7, v48
	s_delay_alu instid0(VALU_DEP_4) | instskip(NEXT) | instid1(VALU_DEP_4)
	v_dual_add_f32 v6, v6, v50 :: v_dual_add_f32 v17, v17, v51
	v_dual_add_f32 v11, v11, v38 :: v_dual_add_f32 v10, v10, v57
	s_delay_alu instid0(VALU_DEP_3) | instskip(NEXT) | instid1(VALU_DEP_4)
	v_dual_add_f32 v9, v9, v39 :: v_dual_add_f32 v8, v8, v53
	v_dual_add_f32 v7, v7, v52 :: v_dual_add_f32 v16, v16, v59
	s_delay_alu instid0(VALU_DEP_4) | instskip(NEXT) | instid1(VALU_DEP_3)
	v_dual_add_f32 v6, v6, v56 :: v_dual_add_f32 v17, v17, v61
	v_dual_add_f32 v11, v11, v40 :: v_dual_add_f32 v8, v8, v55
	s_delay_alu instid0(VALU_DEP_4) | instskip(NEXT) | instid1(VALU_DEP_3)
	v_dual_add_f32 v10, v10, v88 :: v_dual_add_f32 v9, v9, v54
	v_dual_add_f32 v7, v7, v58 :: v_dual_add_f32 v6, v6, v60
	v_fma_f32 v71, v44, v78, -v71
	v_fma_f32 v44, v44, v80, -v73
	;; [unrolled: 1-line block ×4, first 2 shown]
	v_dual_add_f32 v16, v16, v41 :: v_dual_add_f32 v17, v17, v63
	v_dual_add_f32 v11, v11, v42 :: v_dual_add_f32 v8, v8, v64
	;; [unrolled: 1-line block ×4, first 2 shown]
	s_delay_alu instid0(VALU_DEP_4) | instskip(NEXT) | instid1(VALU_DEP_3)
	v_dual_add_f32 v16, v16, v71 :: v_dual_add_f32 v17, v17, v72
	v_dual_add_f32 v11, v11, v44 :: v_dual_add_f32 v10, v10, v86
	s_delay_alu instid0(VALU_DEP_4) | instskip(NEXT) | instid1(VALU_DEP_4)
	v_dual_add_f32 v9, v9, v45 :: v_dual_add_f32 v8, v8, v66
	v_dual_add_f32 v7, v7, v65 :: v_dual_add_f32 v6, v6, v68
	s_cbranch_scc0 .LBB318_2
.LBB318_3:
	s_clause 0x1
	s_load_b32 s3, s[0:1], 0x40
	s_load_b64 s[4:5], s[0:1], 0x48
	v_add_nc_u32_e32 v5, s13, v5
	v_add_nc_u32_e32 v0, s12, v4
	s_delay_alu instid0(VALU_DEP_1)
	v_cmp_le_i32_e64 s0, v5, v0
	v_cmp_gt_i32_e32 vcc_lo, s2, v0
	s_waitcnt lgkmcnt(0)
	v_mad_i64_i32 v[1:2], null, v5, s3, 0
	s_mul_i32 s1, s15, s5
	s_mul_hi_u32 s5, s15, s4
	s_mul_i32 s4, s15, s4
	s_add_i32 s5, s5, s1
	s_delay_alu instid0(SALU_CYCLE_1) | instskip(NEXT) | instid1(VALU_DEP_1)
	s_lshl_b64 s[4:5], s[4:5], 3
	v_lshlrev_b64 v[1:2], 3, v[1:2]
	s_add_u32 s4, s6, s4
	s_addc_u32 s5, s7, s5
	s_and_b32 s0, s0, vcc_lo
	s_delay_alu instid0(VALU_DEP_1) | instskip(NEXT) | instid1(VALU_DEP_1)
	v_add_co_u32 v4, s1, s4, v1
	v_add_co_ci_u32_e64 v12, s1, s5, v2, s1
	s_and_saveexec_b32 s1, s0
	s_cbranch_execz .LBB318_6
; %bb.4:
	v_ashrrev_i32_e32 v1, 31, v0
	s_delay_alu instid0(VALU_DEP_1) | instskip(NEXT) | instid1(VALU_DEP_1)
	v_lshlrev_b64 v[1:2], 3, v[0:1]
	v_add_co_u32 v1, s0, v4, v1
	s_delay_alu instid0(VALU_DEP_1)
	v_add_co_ci_u32_e64 v2, s0, v12, v2, s0
	v_cmp_eq_u32_e64 s0, v5, v0
	global_load_b64 v[13:14], v[1:2], off
	s_waitcnt vmcnt(0)
	v_dual_sub_f32 v13, v16, v13 :: v_dual_sub_f32 v14, v17, v14
	global_store_b64 v[1:2], v[13:14], off
	s_and_b32 exec_lo, exec_lo, s0
	s_cbranch_execz .LBB318_6
; %bb.5:
	v_mov_b32_e32 v3, 0
	global_store_b32 v[1:2], v3, off offset:4
.LBB318_6:
	s_or_b32 exec_lo, exec_lo, s1
	v_add_nc_u32_e32 v2, 16, v0
	s_delay_alu instid0(VALU_DEP_1) | instskip(SKIP_1) | instid1(VALU_DEP_1)
	v_cmp_le_i32_e64 s1, v5, v2
	v_cmp_gt_i32_e64 s0, s2, v2
	s_and_b32 s1, s1, s0
	s_delay_alu instid0(SALU_CYCLE_1)
	s_and_saveexec_b32 s2, s1
	s_cbranch_execz .LBB318_9
; %bb.7:
	v_ashrrev_i32_e32 v3, 31, v2
	s_delay_alu instid0(VALU_DEP_1) | instskip(NEXT) | instid1(VALU_DEP_1)
	v_lshlrev_b64 v[13:14], 3, v[2:3]
	v_add_co_u32 v3, s1, v4, v13
	s_delay_alu instid0(VALU_DEP_1)
	v_add_co_ci_u32_e64 v4, s1, v12, v14, s1
	v_cmp_eq_u32_e64 s1, v5, v2
	global_load_b64 v[12:13], v[3:4], off
	s_waitcnt vmcnt(0)
	v_dual_sub_f32 v11, v11, v12 :: v_dual_sub_f32 v12, v10, v13
	global_store_b64 v[3:4], v[11:12], off
	s_and_b32 exec_lo, exec_lo, s1
	s_cbranch_execz .LBB318_9
; %bb.8:
	v_mov_b32_e32 v1, 0
	global_store_b32 v[3:4], v1, off offset:4
.LBB318_9:
	s_or_b32 exec_lo, exec_lo, s2
	v_add_nc_u32_e32 v12, 16, v5
	s_delay_alu instid0(VALU_DEP_1) | instskip(SKIP_1) | instid1(VALU_DEP_2)
	v_mad_i64_i32 v[3:4], null, v12, s3, 0
	v_cmp_le_i32_e64 s1, v12, v0
	v_lshlrev_b64 v[3:4], 3, v[3:4]
	s_delay_alu instid0(VALU_DEP_1) | instskip(NEXT) | instid1(VALU_DEP_1)
	v_add_co_u32 v10, s2, s4, v3
	v_add_co_ci_u32_e64 v11, s2, s5, v4, s2
	s_delay_alu instid0(VALU_DEP_4) | instskip(NEXT) | instid1(SALU_CYCLE_1)
	s_and_b32 s2, s1, vcc_lo
	s_and_saveexec_b32 s1, s2
	s_cbranch_execz .LBB318_12
; %bb.10:
	v_ashrrev_i32_e32 v1, 31, v0
	s_delay_alu instid0(VALU_DEP_1) | instskip(NEXT) | instid1(VALU_DEP_1)
	v_lshlrev_b64 v[3:4], 3, v[0:1]
	v_add_co_u32 v3, vcc_lo, v10, v3
	s_delay_alu instid0(VALU_DEP_2)
	v_add_co_ci_u32_e32 v4, vcc_lo, v11, v4, vcc_lo
	v_cmp_eq_u32_e32 vcc_lo, v12, v0
	global_load_b64 v[13:14], v[3:4], off
	s_waitcnt vmcnt(0)
	v_dual_sub_f32 v13, v9, v13 :: v_dual_sub_f32 v14, v8, v14
	global_store_b64 v[3:4], v[13:14], off
	s_and_b32 exec_lo, exec_lo, vcc_lo
	s_cbranch_execz .LBB318_12
; %bb.11:
	v_mov_b32_e32 v1, 0
	global_store_b32 v[3:4], v1, off offset:4
.LBB318_12:
	s_or_b32 exec_lo, exec_lo, s1
	v_cmp_le_i32_e32 vcc_lo, v12, v2
	s_and_b32 s0, vcc_lo, s0
	s_delay_alu instid0(SALU_CYCLE_1)
	s_and_saveexec_b32 s1, s0
	s_cbranch_execz .LBB318_15
; %bb.13:
	v_ashrrev_i32_e32 v3, 31, v2
	s_delay_alu instid0(VALU_DEP_1) | instskip(NEXT) | instid1(VALU_DEP_1)
	v_lshlrev_b64 v[1:2], 3, v[2:3]
	v_add_co_u32 v1, vcc_lo, v10, v1
	s_delay_alu instid0(VALU_DEP_2)
	v_add_co_ci_u32_e32 v2, vcc_lo, v11, v2, vcc_lo
	v_cmp_eq_u32_e32 vcc_lo, v5, v0
	global_load_b64 v[3:4], v[1:2], off
	s_waitcnt vmcnt(0)
	v_dual_sub_f32 v3, v7, v3 :: v_dual_sub_f32 v4, v6, v4
	global_store_b64 v[1:2], v[3:4], off
	s_and_b32 exec_lo, exec_lo, vcc_lo
	s_cbranch_execz .LBB318_15
; %bb.14:
	v_mov_b32_e32 v0, 0
	global_store_b32 v[1:2], v0, off offset:4
.LBB318_15:
	s_nop 0
	s_sendmsg sendmsg(MSG_DEALLOC_VGPRS)
	s_endpgm
	.section	.rodata,"a",@progbits
	.p2align	6, 0x0
	.amdhsa_kernel _ZL37rocblas_syrkx_herkx_restricted_kernelIi19rocblas_complex_numIfELi16ELi32ELi8ELi1ELin1ELb1ELc78ELc76EKS1_S1_EviT_PT9_S3_lS5_S3_lPT10_S3_li
		.amdhsa_group_segment_fixed_size 4096
		.amdhsa_private_segment_fixed_size 0
		.amdhsa_kernarg_size 84
		.amdhsa_user_sgpr_count 13
		.amdhsa_user_sgpr_dispatch_ptr 0
		.amdhsa_user_sgpr_queue_ptr 0
		.amdhsa_user_sgpr_kernarg_segment_ptr 1
		.amdhsa_user_sgpr_dispatch_id 0
		.amdhsa_user_sgpr_private_segment_size 0
		.amdhsa_wavefront_size32 1
		.amdhsa_uses_dynamic_stack 0
		.amdhsa_enable_private_segment 0
		.amdhsa_system_sgpr_workgroup_id_x 1
		.amdhsa_system_sgpr_workgroup_id_y 1
		.amdhsa_system_sgpr_workgroup_id_z 1
		.amdhsa_system_sgpr_workgroup_info 0
		.amdhsa_system_vgpr_workitem_id 1
		.amdhsa_next_free_vgpr 92
		.amdhsa_next_free_sgpr 23
		.amdhsa_reserve_vcc 1
		.amdhsa_float_round_mode_32 0
		.amdhsa_float_round_mode_16_64 0
		.amdhsa_float_denorm_mode_32 3
		.amdhsa_float_denorm_mode_16_64 3
		.amdhsa_dx10_clamp 1
		.amdhsa_ieee_mode 1
		.amdhsa_fp16_overflow 0
		.amdhsa_workgroup_processor_mode 1
		.amdhsa_memory_ordered 1
		.amdhsa_forward_progress 0
		.amdhsa_shared_vgpr_count 0
		.amdhsa_exception_fp_ieee_invalid_op 0
		.amdhsa_exception_fp_denorm_src 0
		.amdhsa_exception_fp_ieee_div_zero 0
		.amdhsa_exception_fp_ieee_overflow 0
		.amdhsa_exception_fp_ieee_underflow 0
		.amdhsa_exception_fp_ieee_inexact 0
		.amdhsa_exception_int_div_zero 0
	.end_amdhsa_kernel
	.section	.text._ZL37rocblas_syrkx_herkx_restricted_kernelIi19rocblas_complex_numIfELi16ELi32ELi8ELi1ELin1ELb1ELc78ELc76EKS1_S1_EviT_PT9_S3_lS5_S3_lPT10_S3_li,"axG",@progbits,_ZL37rocblas_syrkx_herkx_restricted_kernelIi19rocblas_complex_numIfELi16ELi32ELi8ELi1ELin1ELb1ELc78ELc76EKS1_S1_EviT_PT9_S3_lS5_S3_lPT10_S3_li,comdat
.Lfunc_end318:
	.size	_ZL37rocblas_syrkx_herkx_restricted_kernelIi19rocblas_complex_numIfELi16ELi32ELi8ELi1ELin1ELb1ELc78ELc76EKS1_S1_EviT_PT9_S3_lS5_S3_lPT10_S3_li, .Lfunc_end318-_ZL37rocblas_syrkx_herkx_restricted_kernelIi19rocblas_complex_numIfELi16ELi32ELi8ELi1ELin1ELb1ELc78ELc76EKS1_S1_EviT_PT9_S3_lS5_S3_lPT10_S3_li
                                        ; -- End function
	.section	.AMDGPU.csdata,"",@progbits
; Kernel info:
; codeLenInByte = 2264
; NumSgprs: 25
; NumVgprs: 92
; ScratchSize: 0
; MemoryBound: 0
; FloatMode: 240
; IeeeMode: 1
; LDSByteSize: 4096 bytes/workgroup (compile time only)
; SGPRBlocks: 3
; VGPRBlocks: 11
; NumSGPRsForWavesPerEU: 25
; NumVGPRsForWavesPerEU: 92
; Occupancy: 16
; WaveLimiterHint : 0
; COMPUTE_PGM_RSRC2:SCRATCH_EN: 0
; COMPUTE_PGM_RSRC2:USER_SGPR: 13
; COMPUTE_PGM_RSRC2:TRAP_HANDLER: 0
; COMPUTE_PGM_RSRC2:TGID_X_EN: 1
; COMPUTE_PGM_RSRC2:TGID_Y_EN: 1
; COMPUTE_PGM_RSRC2:TGID_Z_EN: 1
; COMPUTE_PGM_RSRC2:TIDIG_COMP_CNT: 1
	.section	.text._ZL37rocblas_syrkx_herkx_restricted_kernelIi19rocblas_complex_numIfELi16ELi32ELi8ELi1ELin1ELb1ELc84ELc85EKS1_S1_EviT_PT9_S3_lS5_S3_lPT10_S3_li,"axG",@progbits,_ZL37rocblas_syrkx_herkx_restricted_kernelIi19rocblas_complex_numIfELi16ELi32ELi8ELi1ELin1ELb1ELc84ELc85EKS1_S1_EviT_PT9_S3_lS5_S3_lPT10_S3_li,comdat
	.globl	_ZL37rocblas_syrkx_herkx_restricted_kernelIi19rocblas_complex_numIfELi16ELi32ELi8ELi1ELin1ELb1ELc84ELc85EKS1_S1_EviT_PT9_S3_lS5_S3_lPT10_S3_li ; -- Begin function _ZL37rocblas_syrkx_herkx_restricted_kernelIi19rocblas_complex_numIfELi16ELi32ELi8ELi1ELin1ELb1ELc84ELc85EKS1_S1_EviT_PT9_S3_lS5_S3_lPT10_S3_li
	.p2align	8
	.type	_ZL37rocblas_syrkx_herkx_restricted_kernelIi19rocblas_complex_numIfELi16ELi32ELi8ELi1ELin1ELb1ELc84ELc85EKS1_S1_EviT_PT9_S3_lS5_S3_lPT10_S3_li,@function
_ZL37rocblas_syrkx_herkx_restricted_kernelIi19rocblas_complex_numIfELi16ELi32ELi8ELi1ELin1ELb1ELc84ELc85EKS1_S1_EviT_PT9_S3_lS5_S3_lPT10_S3_li: ; @_ZL37rocblas_syrkx_herkx_restricted_kernelIi19rocblas_complex_numIfELi16ELi32ELi8ELi1ELin1ELb1ELc84ELc85EKS1_S1_EviT_PT9_S3_lS5_S3_lPT10_S3_li
; %bb.0:
	s_clause 0x1
	s_load_b64 s[2:3], s[0:1], 0x0
	s_load_b128 s[4:7], s[0:1], 0x30
	v_dual_mov_b32 v15, 0 :: v_dual_and_b32 v6, 0x3ff, v0
	v_bfe_u32 v7, v0, 10, 10
	v_dual_mov_b32 v16, 0 :: v_dual_mov_b32 v11, 0
	v_dual_mov_b32 v12, 0 :: v_dual_mov_b32 v9, 0
	;; [unrolled: 1-line block ×3, first 2 shown]
	v_mov_b32_e32 v0, 0
	s_lshl_b32 s12, s13, 5
	s_lshl_b32 s13, s14, 5
	s_mov_b32 s14, 0
	s_waitcnt lgkmcnt(0)
	s_cmp_lt_i32 s3, 1
	s_cbranch_scc1 .LBB319_3
; %bb.1:
	s_clause 0x3
	s_load_b32 s18, s[0:1], 0x10
	s_load_b128 s[8:11], s[0:1], 0x18
	s_load_b64 s[16:17], s[0:1], 0x8
	s_load_b32 s19, s[0:1], 0x28
	v_lshl_add_u32 v2, v7, 4, v6
	v_dual_mov_b32 v1, 0 :: v_dual_and_b32 v0, 7, v6
	v_lshlrev_b32_e32 v10, 3, v6
	s_mul_i32 s5, s5, s15
	s_delay_alu instid0(VALU_DEP_3)
	v_lshrrev_b32_e32 v4, 3, v2
	v_and_b32_e32 v5, 31, v2
	v_lshlrev_b32_e32 v3, 3, v0
	v_lshrrev_b32_e32 v2, 5, v2
	v_lshl_add_u32 v17, v7, 6, 0x800
	v_add_nc_u32_e32 v12, s13, v4
	v_add_nc_u32_e32 v11, s12, v5
	v_lshl_or_b32 v9, v4, 6, v3
	v_dual_mov_b32 v3, v1 :: v_dual_lshlrev_b32 v8, 3, v5
	v_mov_b32_e32 v16, v1
	s_delay_alu instid0(VALU_DEP_3) | instskip(SKIP_1) | instid1(VALU_DEP_3)
	v_dual_mov_b32 v15, v1 :: v_dual_add_nc_u32 v14, 0x800, v9
	s_waitcnt lgkmcnt(0)
	v_mad_i64_i32 v[4:5], null, s18, v11, v[2:3]
	s_mul_i32 s9, s9, s15
	s_mul_hi_u32 s18, s8, s15
	v_mov_b32_e32 v9, v1
	v_lshl_or_b32 v13, v2, 8, v8
	v_mov_b32_e32 v11, v1
	v_mad_i64_i32 v[2:3], null, s19, v12, v[0:1]
	s_mul_i32 s8, s8, s15
	s_add_i32 s9, s18, s9
	v_lshlrev_b64 v[4:5], 3, v[4:5]
	s_lshl_b64 s[8:9], s[8:9], 3
	v_mov_b32_e32 v12, v1
	s_add_u32 s8, s16, s8
	s_mul_hi_u32 s16, s4, s15
	s_addc_u32 s9, s17, s9
	s_add_i32 s5, s16, s5
	s_mul_i32 s4, s4, s15
	v_lshlrev_b64 v[2:3], 3, v[2:3]
	s_lshl_b64 s[4:5], s[4:5], 3
	v_add_co_u32 v0, vcc_lo, s8, v4
	s_add_u32 s4, s10, s4
	v_add_co_ci_u32_e32 v4, vcc_lo, s9, v5, vcc_lo
	s_addc_u32 s5, s11, s5
	v_add_co_u32 v5, vcc_lo, s4, v2
	v_add_co_ci_u32_e32 v8, vcc_lo, s5, v3, vcc_lo
	v_add_co_u32 v2, vcc_lo, v0, 4
	v_add_co_ci_u32_e32 v3, vcc_lo, 0, v4, vcc_lo
	s_delay_alu instid0(VALU_DEP_4) | instskip(NEXT) | instid1(VALU_DEP_4)
	v_add_co_u32 v4, vcc_lo, v5, 4
	v_add_co_ci_u32_e32 v5, vcc_lo, 0, v8, vcc_lo
	v_mov_b32_e32 v0, v1
	v_mov_b32_e32 v8, v1
.LBB319_2:                              ; =>This Inner Loop Header: Depth=1
	global_load_b64 v[18:19], v[2:3], off offset:-4
	global_load_b64 v[20:21], v[4:5], off offset:-4
	v_add_co_u32 v2, vcc_lo, v2, 64
	v_add_co_ci_u32_e32 v3, vcc_lo, 0, v3, vcc_lo
	v_add_co_u32 v4, vcc_lo, v4, 64
	v_add_co_ci_u32_e32 v5, vcc_lo, 0, v5, vcc_lo
	s_add_i32 s14, s14, 8
	s_waitcnt vmcnt(1)
	ds_store_b64 v13, v[18:19]
	s_waitcnt vmcnt(0)
	ds_store_b64 v14, v[20:21]
	s_waitcnt lgkmcnt(0)
	s_barrier
	buffer_gl0_inv
	ds_load_2addr_b64 v[18:21], v10 offset1:16
	ds_load_b128 v[22:25], v17
	ds_load_b128 v[26:29], v17 offset:1024
	ds_load_b128 v[30:33], v17 offset:16
	ds_load_2addr_b64 v[34:37], v10 offset0:32 offset1:48
	ds_load_b128 v[38:41], v17 offset:32
	ds_load_b128 v[42:45], v17 offset:48
	ds_load_2addr_b64 v[46:49], v10 offset0:64 offset1:80
	ds_load_b128 v[50:53], v17 offset:1040
	ds_load_2addr_b64 v[54:57], v10 offset0:96 offset1:112
	ds_load_2addr_b64 v[58:61], v10 offset0:128 offset1:144
	;; [unrolled: 1-line block ×4, first 2 shown]
	ds_load_b128 v[70:73], v17 offset:1056
	ds_load_b128 v[74:77], v17 offset:1072
	ds_load_2addr_b64 v[78:81], v10 offset0:224 offset1:240
	s_cmp_ge_i32 s14, s3
	s_waitcnt lgkmcnt(0)
	s_barrier
	buffer_gl0_inv
	v_dual_mul_f32 v82, v23, v19 :: v_dual_mul_f32 v85, v22, v21
	v_dual_mul_f32 v83, v22, v19 :: v_dual_mul_f32 v84, v23, v21
	v_mul_f32_e32 v86, v27, v19
	v_dual_mul_f32 v19, v26, v19 :: v_dual_mul_f32 v90, v25, v37
	v_dual_mul_f32 v87, v27, v21 :: v_dual_mul_f32 v88, v25, v35
	v_mul_f32_e32 v21, v26, v21
	v_fma_f32 v82, v22, v18, -v82
	v_fmac_f32_e32 v83, v23, v18
	v_fma_f32 v22, v22, v20, -v84
	v_fmac_f32_e32 v85, v23, v20
	v_fma_f32 v23, v26, v18, -v86
	v_dual_fmac_f32 v19, v27, v18 :: v_dual_mul_f32 v86, v30, v47
	v_fma_f32 v18, v26, v20, -v87
	v_dual_fmac_f32 v21, v27, v20 :: v_dual_mul_f32 v20, v24, v37
	v_mul_f32_e32 v89, v24, v35
	v_mul_f32_e32 v26, v29, v35
	;; [unrolled: 1-line block ×4, first 2 shown]
	v_fmac_f32_e32 v20, v25, v36
	v_fmac_f32_e32 v89, v25, v34
	v_dual_mul_f32 v25, v28, v37 :: v_dual_fmac_f32 v86, v31, v46
	v_fma_f32 v84, v24, v34, -v88
	v_fma_f32 v24, v24, v36, -v90
	v_dual_mul_f32 v37, v31, v47 :: v_dual_mul_f32 v90, v33, v57
	v_fma_f32 v26, v28, v34, -v26
	v_fma_f32 v28, v28, v36, -v35
	v_fmac_f32_e32 v25, v29, v36
	v_dual_mul_f32 v35, v50, v47 :: v_dual_mul_f32 v36, v51, v49
	v_dual_fmac_f32 v27, v29, v34 :: v_dual_mul_f32 v34, v51, v47
	v_dual_mul_f32 v88, v32, v55 :: v_dual_mul_f32 v29, v30, v49
	v_mul_f32_e32 v87, v31, v49
	v_fma_f32 v37, v30, v46, -v37
	v_add_f32_e32 v16, v16, v83
	s_delay_alu instid0(VALU_DEP_4)
	v_dual_fmac_f32 v88, v33, v54 :: v_dual_fmac_f32 v29, v31, v48
	v_fma_f32 v31, v50, v46, -v34
	v_fma_f32 v34, v50, v48, -v36
	v_mul_f32_e32 v36, v32, v57
	v_mul_f32_e32 v47, v50, v49
	v_dual_mul_f32 v50, v53, v57 :: v_dual_fmac_f32 v35, v51, v46
	v_mul_f32_e32 v46, v53, v55
	v_mul_f32_e32 v49, v33, v55
	v_fma_f32 v30, v30, v48, -v87
	v_fmac_f32_e32 v36, v33, v56
	v_dual_fmac_f32 v47, v51, v48 :: v_dual_mul_f32 v48, v52, v55
	v_mul_f32_e32 v33, v52, v57
	v_fma_f32 v46, v52, v54, -v46
	v_fma_f32 v50, v52, v56, -v50
	v_mul_f32_e32 v52, v38, v61
	v_fma_f32 v49, v32, v54, -v49
	v_fma_f32 v32, v32, v56, -v90
	v_dual_mul_f32 v51, v39, v59 :: v_dual_fmac_f32 v48, v53, v54
	v_mul_f32_e32 v54, v70, v59
	v_dual_mul_f32 v55, v38, v59 :: v_dual_fmac_f32 v52, v39, v60
	v_fmac_f32_e32 v33, v53, v56
	v_mul_f32_e32 v53, v71, v59
	v_mul_f32_e32 v56, v71, v61
	;; [unrolled: 1-line block ×3, first 2 shown]
	v_fmac_f32_e32 v54, v71, v58
	v_fmac_f32_e32 v55, v39, v58
	v_fma_f32 v39, v70, v58, -v53
	v_fma_f32 v53, v70, v60, -v56
	v_mul_f32_e32 v56, v40, v65
	v_mul_f32_e32 v59, v70, v61
	v_fma_f32 v51, v38, v58, -v51
	v_mul_f32_e32 v58, v72, v63
	v_mul_f32_e32 v87, v40, v63
	;; [unrolled: 1-line block ×4, first 2 shown]
	v_fma_f32 v38, v38, v60, -v57
	v_mul_f32_e32 v57, v73, v63
	v_fmac_f32_e32 v56, v41, v64
	v_dual_fmac_f32 v59, v71, v60 :: v_dual_mul_f32 v60, v73, v65
	v_mul_f32_e32 v63, v43, v67
	v_mul_f32_e32 v70, v43, v69
	v_fmac_f32_e32 v58, v73, v62
	v_fmac_f32_e32 v87, v41, v62
	v_mul_f32_e32 v41, v72, v65
	v_fma_f32 v61, v40, v62, -v61
	v_fma_f32 v40, v40, v64, -v90
	v_mul_f32_e32 v65, v42, v67
	v_fma_f32 v57, v72, v62, -v57
	v_fma_f32 v60, v72, v64, -v60
	v_dual_fmac_f32 v41, v73, v64 :: v_dual_mul_f32 v62, v42, v69
	v_mul_f32_e32 v64, v75, v67
	v_fma_f32 v63, v42, v66, -v63
	v_fma_f32 v42, v42, v68, -v70
	v_mul_f32_e32 v70, v76, v79
	v_mul_f32_e32 v67, v74, v67
	;; [unrolled: 1-line block ×3, first 2 shown]
	v_dual_mul_f32 v69, v74, v69 :: v_dual_add_f32 v12, v12, v22
	v_mul_f32_e32 v73, v44, v79
	v_dual_fmac_f32 v65, v43, v66 :: v_dual_add_f32 v8, v8, v19
	v_fmac_f32_e32 v62, v43, v68
	v_fma_f32 v43, v74, v66, -v64
	v_fmac_f32_e32 v70, v77, v78
	v_dual_fmac_f32 v67, v75, v66 :: v_dual_add_f32 v16, v16, v89
	v_mul_f32_e32 v66, v44, v81
	v_mul_f32_e32 v72, v45, v79
	v_dual_mul_f32 v90, v45, v81 :: v_dual_fmac_f32 v69, v75, v68
	v_add_f32_e32 v0, v0, v18
	v_dual_fmac_f32 v73, v45, v78 :: v_dual_add_f32 v8, v8, v27
	v_dual_fmac_f32 v66, v45, v80 :: v_dual_mul_f32 v45, v76, v81
	v_fma_f32 v64, v74, v68, -v71
	v_dual_mul_f32 v71, v77, v81 :: v_dual_add_f32 v12, v12, v24
	v_dual_add_f32 v15, v15, v82 :: v_dual_add_f32 v0, v0, v28
	s_delay_alu instid0(VALU_DEP_4) | instskip(NEXT) | instid1(VALU_DEP_3)
	v_dual_fmac_f32 v45, v77, v80 :: v_dual_add_f32 v16, v16, v86
	v_dual_add_f32 v11, v11, v85 :: v_dual_add_f32 v12, v12, v30
	s_delay_alu instid0(VALU_DEP_3) | instskip(SKIP_2) | instid1(VALU_DEP_3)
	v_dual_add_f32 v9, v9, v23 :: v_dual_add_f32 v0, v0, v34
	v_dual_add_f32 v1, v1, v21 :: v_dual_add_f32 v8, v8, v35
	v_add_f32_e32 v15, v15, v84
	v_dual_add_f32 v9, v9, v26 :: v_dual_add_f32 v16, v16, v88
	v_add_f32_e32 v11, v11, v20
	s_delay_alu instid0(VALU_DEP_4) | instskip(NEXT) | instid1(VALU_DEP_3)
	v_dual_add_f32 v1, v1, v25 :: v_dual_add_f32 v12, v12, v32
	v_dual_add_f32 v8, v8, v48 :: v_dual_add_f32 v9, v9, v31
	;; [unrolled: 1-line block ×3, first 2 shown]
	s_delay_alu instid0(VALU_DEP_3) | instskip(SKIP_1) | instid1(VALU_DEP_3)
	v_add_f32_e32 v1, v1, v47
	v_dual_add_f32 v16, v16, v55 :: v_dual_add_f32 v11, v11, v29
	v_dual_add_f32 v12, v12, v38 :: v_dual_add_f32 v15, v15, v49
	v_add_f32_e32 v8, v8, v54
	s_delay_alu instid0(VALU_DEP_3) | instskip(NEXT) | instid1(VALU_DEP_3)
	v_dual_add_f32 v16, v16, v87 :: v_dual_add_f32 v11, v11, v36
	v_dual_add_f32 v9, v9, v46 :: v_dual_add_f32 v12, v12, v40
	v_add_f32_e32 v0, v0, v53
	v_add_f32_e32 v1, v1, v33
	s_delay_alu instid0(VALU_DEP_4) | instskip(SKIP_3) | instid1(VALU_DEP_4)
	v_dual_add_f32 v15, v15, v51 :: v_dual_add_f32 v16, v16, v65
	v_dual_add_f32 v8, v8, v58 :: v_dual_add_f32 v11, v11, v52
	v_add_f32_e32 v12, v12, v42
	v_dual_add_f32 v0, v0, v60 :: v_dual_add_f32 v9, v9, v39
	v_dual_add_f32 v1, v1, v59 :: v_dual_add_f32 v16, v16, v73
	v_mul_f32_e32 v68, v77, v79
	v_fma_f32 v72, v44, v78, -v72
	v_fma_f32 v44, v44, v80, -v90
	;; [unrolled: 1-line block ×3, first 2 shown]
	v_dual_add_f32 v15, v15, v61 :: v_dual_add_f32 v8, v8, v67
	v_add_f32_e32 v11, v11, v56
	v_dual_add_f32 v0, v0, v64 :: v_dual_add_f32 v9, v9, v57
	v_dual_add_f32 v12, v12, v44 :: v_dual_add_f32 v1, v1, v41
	v_fma_f32 v68, v76, v78, -v68
	s_delay_alu instid0(VALU_DEP_3) | instskip(SKIP_4) | instid1(VALU_DEP_4)
	v_add_f32_e32 v0, v0, v71
	v_add_f32_e32 v15, v15, v63
	;; [unrolled: 1-line block ×3, first 2 shown]
	v_dual_add_f32 v1, v1, v69 :: v_dual_add_f32 v8, v8, v70
	v_add_f32_e32 v11, v11, v62
	v_add_f32_e32 v15, v15, v72
	s_delay_alu instid0(VALU_DEP_4) | instskip(NEXT) | instid1(VALU_DEP_4)
	v_add_f32_e32 v9, v9, v68
	v_add_f32_e32 v1, v1, v45
	s_delay_alu instid0(VALU_DEP_4)
	v_add_f32_e32 v11, v11, v66
	s_cbranch_scc0 .LBB319_2
.LBB319_3:
	s_clause 0x1
	s_load_b32 s3, s[0:1], 0x40
	s_load_b64 s[0:1], s[0:1], 0x48
	v_add_nc_u32_e32 v7, s13, v7
	v_add_nc_u32_e32 v2, s12, v6
	s_delay_alu instid0(VALU_DEP_2)
	v_cmp_gt_i32_e32 vcc_lo, s2, v7
	s_waitcnt lgkmcnt(0)
	v_mad_i64_i32 v[3:4], null, v7, s3, 0
	s_mul_i32 s1, s15, s1
	s_mul_hi_u32 s4, s15, s0
	s_mul_i32 s0, s15, s0
	s_add_i32 s1, s4, s1
	s_delay_alu instid0(SALU_CYCLE_1) | instskip(NEXT) | instid1(VALU_DEP_1)
	s_lshl_b64 s[4:5], s[0:1], 3
	v_lshlrev_b64 v[3:4], 3, v[3:4]
	s_add_u32 s4, s6, s4
	v_cmp_le_i32_e64 s0, v2, v7
	s_addc_u32 s5, s7, s5
	s_delay_alu instid0(VALU_DEP_2) | instskip(NEXT) | instid1(VALU_DEP_1)
	v_add_co_u32 v6, s1, s4, v3
	v_add_co_ci_u32_e64 v10, s1, s5, v4, s1
	s_delay_alu instid0(VALU_DEP_3) | instskip(NEXT) | instid1(SALU_CYCLE_1)
	s_and_b32 s0, vcc_lo, s0
	s_and_saveexec_b32 s1, s0
	s_cbranch_execz .LBB319_6
; %bb.4:
	v_ashrrev_i32_e32 v3, 31, v2
	s_delay_alu instid0(VALU_DEP_1) | instskip(NEXT) | instid1(VALU_DEP_1)
	v_lshlrev_b64 v[3:4], 3, v[2:3]
	v_add_co_u32 v3, s0, v6, v3
	s_delay_alu instid0(VALU_DEP_1)
	v_add_co_ci_u32_e64 v4, s0, v10, v4, s0
	v_cmp_eq_u32_e64 s0, v7, v2
	global_load_b64 v[13:14], v[3:4], off
	s_waitcnt vmcnt(0)
	v_dual_sub_f32 v13, v15, v13 :: v_dual_sub_f32 v14, v16, v14
	global_store_b64 v[3:4], v[13:14], off
	s_and_b32 exec_lo, exec_lo, s0
	s_cbranch_execz .LBB319_6
; %bb.5:
	v_mov_b32_e32 v5, 0
	global_store_b32 v[3:4], v5, off offset:4
.LBB319_6:
	s_or_b32 exec_lo, exec_lo, s1
	v_add_nc_u32_e32 v4, 16, v2
	s_delay_alu instid0(VALU_DEP_1) | instskip(NEXT) | instid1(VALU_DEP_1)
	v_cmp_le_i32_e64 s0, v4, v7
	s_and_b32 s1, vcc_lo, s0
	s_delay_alu instid0(SALU_CYCLE_1)
	s_and_saveexec_b32 s0, s1
	s_cbranch_execz .LBB319_9
; %bb.7:
	v_ashrrev_i32_e32 v5, 31, v4
	s_delay_alu instid0(VALU_DEP_1) | instskip(NEXT) | instid1(VALU_DEP_1)
	v_lshlrev_b64 v[13:14], 3, v[4:5]
	v_add_co_u32 v5, vcc_lo, v6, v13
	s_delay_alu instid0(VALU_DEP_2)
	v_add_co_ci_u32_e32 v6, vcc_lo, v10, v14, vcc_lo
	v_cmp_eq_u32_e32 vcc_lo, v7, v4
	global_load_b64 v[13:14], v[5:6], off
	s_waitcnt vmcnt(0)
	v_dual_sub_f32 v10, v12, v13 :: v_dual_sub_f32 v11, v11, v14
	global_store_b64 v[5:6], v[10:11], off
	s_and_b32 exec_lo, exec_lo, vcc_lo
	s_cbranch_execz .LBB319_9
; %bb.8:
	v_mov_b32_e32 v3, 0
	global_store_b32 v[5:6], v3, off offset:4
.LBB319_9:
	s_or_b32 exec_lo, exec_lo, s0
	v_add_nc_u32_e32 v12, 16, v7
	s_delay_alu instid0(VALU_DEP_1) | instskip(SKIP_2) | instid1(VALU_DEP_1)
	v_mad_i64_i32 v[5:6], null, v12, s3, 0
	v_cmp_gt_i32_e32 vcc_lo, s2, v12
	v_cmp_le_i32_e64 s0, v2, v12
	s_and_b32 s0, vcc_lo, s0
	s_delay_alu instid0(VALU_DEP_3) | instskip(NEXT) | instid1(VALU_DEP_1)
	v_lshlrev_b64 v[5:6], 3, v[5:6]
	v_add_co_u32 v10, s1, s4, v5
	s_delay_alu instid0(VALU_DEP_1)
	v_add_co_ci_u32_e64 v11, s1, s5, v6, s1
	s_and_saveexec_b32 s1, s0
	s_cbranch_execz .LBB319_12
; %bb.10:
	v_ashrrev_i32_e32 v3, 31, v2
	s_delay_alu instid0(VALU_DEP_1) | instskip(NEXT) | instid1(VALU_DEP_1)
	v_lshlrev_b64 v[5:6], 3, v[2:3]
	v_add_co_u32 v5, s0, v10, v5
	s_delay_alu instid0(VALU_DEP_1)
	v_add_co_ci_u32_e64 v6, s0, v11, v6, s0
	v_cmp_eq_u32_e64 s0, v12, v2
	global_load_b64 v[13:14], v[5:6], off
	s_waitcnt vmcnt(0)
	v_dual_sub_f32 v13, v9, v13 :: v_dual_sub_f32 v14, v8, v14
	global_store_b64 v[5:6], v[13:14], off
	s_and_b32 exec_lo, exec_lo, s0
	s_cbranch_execz .LBB319_12
; %bb.11:
	v_mov_b32_e32 v3, 0
	global_store_b32 v[5:6], v3, off offset:4
.LBB319_12:
	s_or_b32 exec_lo, exec_lo, s1
	v_cmp_le_i32_e64 s0, v4, v12
	s_delay_alu instid0(VALU_DEP_1) | instskip(NEXT) | instid1(SALU_CYCLE_1)
	s_and_b32 s0, vcc_lo, s0
	s_and_saveexec_b32 s1, s0
	s_cbranch_execz .LBB319_15
; %bb.13:
	v_ashrrev_i32_e32 v5, 31, v4
	s_delay_alu instid0(VALU_DEP_1) | instskip(NEXT) | instid1(VALU_DEP_1)
	v_lshlrev_b64 v[3:4], 3, v[4:5]
	v_add_co_u32 v3, vcc_lo, v10, v3
	s_delay_alu instid0(VALU_DEP_2)
	v_add_co_ci_u32_e32 v4, vcc_lo, v11, v4, vcc_lo
	v_cmp_eq_u32_e32 vcc_lo, v7, v2
	global_load_b64 v[5:6], v[3:4], off
	s_waitcnt vmcnt(0)
	v_dual_sub_f32 v0, v0, v5 :: v_dual_sub_f32 v1, v1, v6
	global_store_b64 v[3:4], v[0:1], off
	s_and_b32 exec_lo, exec_lo, vcc_lo
	s_cbranch_execz .LBB319_15
; %bb.14:
	v_mov_b32_e32 v0, 0
	global_store_b32 v[3:4], v0, off offset:4
.LBB319_15:
	s_nop 0
	s_sendmsg sendmsg(MSG_DEALLOC_VGPRS)
	s_endpgm
	.section	.rodata,"a",@progbits
	.p2align	6, 0x0
	.amdhsa_kernel _ZL37rocblas_syrkx_herkx_restricted_kernelIi19rocblas_complex_numIfELi16ELi32ELi8ELi1ELin1ELb1ELc84ELc85EKS1_S1_EviT_PT9_S3_lS5_S3_lPT10_S3_li
		.amdhsa_group_segment_fixed_size 4096
		.amdhsa_private_segment_fixed_size 0
		.amdhsa_kernarg_size 84
		.amdhsa_user_sgpr_count 13
		.amdhsa_user_sgpr_dispatch_ptr 0
		.amdhsa_user_sgpr_queue_ptr 0
		.amdhsa_user_sgpr_kernarg_segment_ptr 1
		.amdhsa_user_sgpr_dispatch_id 0
		.amdhsa_user_sgpr_private_segment_size 0
		.amdhsa_wavefront_size32 1
		.amdhsa_uses_dynamic_stack 0
		.amdhsa_enable_private_segment 0
		.amdhsa_system_sgpr_workgroup_id_x 1
		.amdhsa_system_sgpr_workgroup_id_y 1
		.amdhsa_system_sgpr_workgroup_id_z 1
		.amdhsa_system_sgpr_workgroup_info 0
		.amdhsa_system_vgpr_workitem_id 1
		.amdhsa_next_free_vgpr 91
		.amdhsa_next_free_sgpr 20
		.amdhsa_reserve_vcc 1
		.amdhsa_float_round_mode_32 0
		.amdhsa_float_round_mode_16_64 0
		.amdhsa_float_denorm_mode_32 3
		.amdhsa_float_denorm_mode_16_64 3
		.amdhsa_dx10_clamp 1
		.amdhsa_ieee_mode 1
		.amdhsa_fp16_overflow 0
		.amdhsa_workgroup_processor_mode 1
		.amdhsa_memory_ordered 1
		.amdhsa_forward_progress 0
		.amdhsa_shared_vgpr_count 0
		.amdhsa_exception_fp_ieee_invalid_op 0
		.amdhsa_exception_fp_denorm_src 0
		.amdhsa_exception_fp_ieee_div_zero 0
		.amdhsa_exception_fp_ieee_overflow 0
		.amdhsa_exception_fp_ieee_underflow 0
		.amdhsa_exception_fp_ieee_inexact 0
		.amdhsa_exception_int_div_zero 0
	.end_amdhsa_kernel
	.section	.text._ZL37rocblas_syrkx_herkx_restricted_kernelIi19rocblas_complex_numIfELi16ELi32ELi8ELi1ELin1ELb1ELc84ELc85EKS1_S1_EviT_PT9_S3_lS5_S3_lPT10_S3_li,"axG",@progbits,_ZL37rocblas_syrkx_herkx_restricted_kernelIi19rocblas_complex_numIfELi16ELi32ELi8ELi1ELin1ELb1ELc84ELc85EKS1_S1_EviT_PT9_S3_lS5_S3_lPT10_S3_li,comdat
.Lfunc_end319:
	.size	_ZL37rocblas_syrkx_herkx_restricted_kernelIi19rocblas_complex_numIfELi16ELi32ELi8ELi1ELin1ELb1ELc84ELc85EKS1_S1_EviT_PT9_S3_lS5_S3_lPT10_S3_li, .Lfunc_end319-_ZL37rocblas_syrkx_herkx_restricted_kernelIi19rocblas_complex_numIfELi16ELi32ELi8ELi1ELin1ELb1ELc84ELc85EKS1_S1_EviT_PT9_S3_lS5_S3_lPT10_S3_li
                                        ; -- End function
	.section	.AMDGPU.csdata,"",@progbits
; Kernel info:
; codeLenInByte = 2204
; NumSgprs: 22
; NumVgprs: 91
; ScratchSize: 0
; MemoryBound: 0
; FloatMode: 240
; IeeeMode: 1
; LDSByteSize: 4096 bytes/workgroup (compile time only)
; SGPRBlocks: 2
; VGPRBlocks: 11
; NumSGPRsForWavesPerEU: 22
; NumVGPRsForWavesPerEU: 91
; Occupancy: 16
; WaveLimiterHint : 0
; COMPUTE_PGM_RSRC2:SCRATCH_EN: 0
; COMPUTE_PGM_RSRC2:USER_SGPR: 13
; COMPUTE_PGM_RSRC2:TRAP_HANDLER: 0
; COMPUTE_PGM_RSRC2:TGID_X_EN: 1
; COMPUTE_PGM_RSRC2:TGID_Y_EN: 1
; COMPUTE_PGM_RSRC2:TGID_Z_EN: 1
; COMPUTE_PGM_RSRC2:TIDIG_COMP_CNT: 1
	.section	.text._ZL37rocblas_syrkx_herkx_restricted_kernelIi19rocblas_complex_numIfELi16ELi32ELi8ELi1ELin1ELb1ELc67ELc85EKS1_S1_EviT_PT9_S3_lS5_S3_lPT10_S3_li,"axG",@progbits,_ZL37rocblas_syrkx_herkx_restricted_kernelIi19rocblas_complex_numIfELi16ELi32ELi8ELi1ELin1ELb1ELc67ELc85EKS1_S1_EviT_PT9_S3_lS5_S3_lPT10_S3_li,comdat
	.globl	_ZL37rocblas_syrkx_herkx_restricted_kernelIi19rocblas_complex_numIfELi16ELi32ELi8ELi1ELin1ELb1ELc67ELc85EKS1_S1_EviT_PT9_S3_lS5_S3_lPT10_S3_li ; -- Begin function _ZL37rocblas_syrkx_herkx_restricted_kernelIi19rocblas_complex_numIfELi16ELi32ELi8ELi1ELin1ELb1ELc67ELc85EKS1_S1_EviT_PT9_S3_lS5_S3_lPT10_S3_li
	.p2align	8
	.type	_ZL37rocblas_syrkx_herkx_restricted_kernelIi19rocblas_complex_numIfELi16ELi32ELi8ELi1ELin1ELb1ELc67ELc85EKS1_S1_EviT_PT9_S3_lS5_S3_lPT10_S3_li,@function
_ZL37rocblas_syrkx_herkx_restricted_kernelIi19rocblas_complex_numIfELi16ELi32ELi8ELi1ELin1ELb1ELc67ELc85EKS1_S1_EviT_PT9_S3_lS5_S3_lPT10_S3_li: ; @_ZL37rocblas_syrkx_herkx_restricted_kernelIi19rocblas_complex_numIfELi16ELi32ELi8ELi1ELin1ELb1ELc67ELc85EKS1_S1_EviT_PT9_S3_lS5_S3_lPT10_S3_li
; %bb.0:
	s_clause 0x1
	s_load_b64 s[2:3], s[0:1], 0x0
	s_load_b128 s[4:7], s[0:1], 0x30
	v_dual_mov_b32 v15, 0 :: v_dual_and_b32 v6, 0x3ff, v0
	v_bfe_u32 v7, v0, 10, 10
	v_dual_mov_b32 v16, 0 :: v_dual_mov_b32 v11, 0
	v_dual_mov_b32 v12, 0 :: v_dual_mov_b32 v9, 0
	;; [unrolled: 1-line block ×3, first 2 shown]
	v_mov_b32_e32 v0, 0
	s_lshl_b32 s12, s13, 5
	s_lshl_b32 s13, s14, 5
	s_mov_b32 s14, 0
	s_waitcnt lgkmcnt(0)
	s_cmp_lt_i32 s3, 1
	s_cbranch_scc1 .LBB320_3
; %bb.1:
	s_clause 0x3
	s_load_b32 s18, s[0:1], 0x10
	s_load_b128 s[8:11], s[0:1], 0x18
	s_load_b64 s[16:17], s[0:1], 0x8
	s_load_b32 s19, s[0:1], 0x28
	v_lshl_add_u32 v2, v7, 4, v6
	v_dual_mov_b32 v1, 0 :: v_dual_and_b32 v0, 7, v6
	v_lshlrev_b32_e32 v10, 3, v6
	s_mul_i32 s5, s5, s15
	s_delay_alu instid0(VALU_DEP_3)
	v_lshrrev_b32_e32 v4, 3, v2
	v_and_b32_e32 v5, 31, v2
	v_lshlrev_b32_e32 v3, 3, v0
	v_lshrrev_b32_e32 v2, 5, v2
	v_lshl_add_u32 v17, v7, 6, 0x800
	v_add_nc_u32_e32 v12, s13, v4
	v_add_nc_u32_e32 v11, s12, v5
	v_lshl_or_b32 v9, v4, 6, v3
	v_dual_mov_b32 v3, v1 :: v_dual_lshlrev_b32 v8, 3, v5
	v_mov_b32_e32 v16, v1
	s_delay_alu instid0(VALU_DEP_3) | instskip(SKIP_1) | instid1(VALU_DEP_3)
	v_dual_mov_b32 v15, v1 :: v_dual_add_nc_u32 v14, 0x800, v9
	s_waitcnt lgkmcnt(0)
	v_mad_i64_i32 v[4:5], null, s18, v11, v[2:3]
	s_mul_i32 s9, s9, s15
	s_mul_hi_u32 s18, s8, s15
	v_mov_b32_e32 v9, v1
	v_lshl_or_b32 v13, v2, 8, v8
	v_mov_b32_e32 v11, v1
	v_mad_i64_i32 v[2:3], null, s19, v12, v[0:1]
	s_mul_i32 s8, s8, s15
	s_add_i32 s9, s18, s9
	v_lshlrev_b64 v[4:5], 3, v[4:5]
	s_lshl_b64 s[8:9], s[8:9], 3
	v_mov_b32_e32 v12, v1
	s_add_u32 s8, s16, s8
	s_mul_hi_u32 s16, s4, s15
	s_addc_u32 s9, s17, s9
	s_add_i32 s5, s16, s5
	s_mul_i32 s4, s4, s15
	v_lshlrev_b64 v[2:3], 3, v[2:3]
	s_lshl_b64 s[4:5], s[4:5], 3
	v_add_co_u32 v0, vcc_lo, s8, v4
	s_add_u32 s4, s10, s4
	v_add_co_ci_u32_e32 v4, vcc_lo, s9, v5, vcc_lo
	s_addc_u32 s5, s11, s5
	v_add_co_u32 v5, vcc_lo, s4, v2
	v_add_co_ci_u32_e32 v8, vcc_lo, s5, v3, vcc_lo
	v_add_co_u32 v2, vcc_lo, v0, 4
	v_add_co_ci_u32_e32 v3, vcc_lo, 0, v4, vcc_lo
	s_delay_alu instid0(VALU_DEP_4) | instskip(NEXT) | instid1(VALU_DEP_4)
	v_add_co_u32 v4, vcc_lo, v5, 4
	v_add_co_ci_u32_e32 v5, vcc_lo, 0, v8, vcc_lo
	v_mov_b32_e32 v0, v1
	v_mov_b32_e32 v8, v1
.LBB320_2:                              ; =>This Inner Loop Header: Depth=1
	global_load_b64 v[18:19], v[2:3], off offset:-4
	global_load_b64 v[20:21], v[4:5], off offset:-4
	v_add_co_u32 v2, vcc_lo, v2, 64
	v_add_co_ci_u32_e32 v3, vcc_lo, 0, v3, vcc_lo
	v_add_co_u32 v4, vcc_lo, v4, 64
	v_add_co_ci_u32_e32 v5, vcc_lo, 0, v5, vcc_lo
	s_add_i32 s14, s14, 8
	s_delay_alu instid0(SALU_CYCLE_1)
	s_cmp_ge_i32 s14, s3
	s_waitcnt vmcnt(1)
	v_xor_b32_e32 v19, 0x80000000, v19
	ds_store_b64 v13, v[18:19]
	s_waitcnt vmcnt(0)
	ds_store_b64 v14, v[20:21]
	s_waitcnt lgkmcnt(0)
	s_barrier
	buffer_gl0_inv
	ds_load_2addr_b64 v[18:21], v10 offset1:16
	ds_load_b128 v[22:25], v17
	ds_load_b128 v[26:29], v17 offset:1024
	ds_load_b128 v[30:33], v17 offset:16
	ds_load_2addr_b64 v[34:37], v10 offset0:32 offset1:48
	ds_load_b128 v[38:41], v17 offset:32
	ds_load_b128 v[42:45], v17 offset:48
	ds_load_2addr_b64 v[46:49], v10 offset0:64 offset1:80
	ds_load_b128 v[50:53], v17 offset:1040
	ds_load_2addr_b64 v[54:57], v10 offset0:96 offset1:112
	ds_load_2addr_b64 v[58:61], v10 offset0:128 offset1:144
	;; [unrolled: 1-line block ×4, first 2 shown]
	ds_load_b128 v[70:73], v17 offset:1056
	ds_load_b128 v[74:77], v17 offset:1072
	ds_load_2addr_b64 v[78:81], v10 offset0:224 offset1:240
	s_waitcnt lgkmcnt(0)
	s_barrier
	buffer_gl0_inv
	v_dual_mul_f32 v82, v23, v19 :: v_dual_mul_f32 v85, v22, v21
	v_dual_mul_f32 v83, v22, v19 :: v_dual_mul_f32 v84, v23, v21
	v_mul_f32_e32 v86, v27, v19
	v_dual_mul_f32 v19, v26, v19 :: v_dual_mul_f32 v90, v25, v37
	v_dual_mul_f32 v87, v27, v21 :: v_dual_mul_f32 v88, v25, v35
	v_mul_f32_e32 v21, v26, v21
	v_fma_f32 v82, v22, v18, -v82
	v_fmac_f32_e32 v83, v23, v18
	v_fma_f32 v22, v22, v20, -v84
	v_fmac_f32_e32 v85, v23, v20
	v_fma_f32 v23, v26, v18, -v86
	v_dual_fmac_f32 v19, v27, v18 :: v_dual_mul_f32 v86, v30, v47
	v_fma_f32 v18, v26, v20, -v87
	v_dual_fmac_f32 v21, v27, v20 :: v_dual_mul_f32 v20, v24, v37
	v_mul_f32_e32 v89, v24, v35
	v_mul_f32_e32 v26, v29, v35
	;; [unrolled: 1-line block ×4, first 2 shown]
	v_fmac_f32_e32 v20, v25, v36
	v_fmac_f32_e32 v89, v25, v34
	v_dual_mul_f32 v25, v28, v37 :: v_dual_fmac_f32 v86, v31, v46
	v_fma_f32 v84, v24, v34, -v88
	v_fma_f32 v24, v24, v36, -v90
	v_dual_mul_f32 v37, v31, v47 :: v_dual_mul_f32 v90, v33, v57
	v_fma_f32 v26, v28, v34, -v26
	v_fma_f32 v28, v28, v36, -v35
	v_fmac_f32_e32 v25, v29, v36
	v_dual_mul_f32 v35, v50, v47 :: v_dual_mul_f32 v36, v51, v49
	v_dual_fmac_f32 v27, v29, v34 :: v_dual_mul_f32 v34, v51, v47
	v_dual_mul_f32 v88, v32, v55 :: v_dual_mul_f32 v29, v30, v49
	v_mul_f32_e32 v87, v31, v49
	v_fma_f32 v37, v30, v46, -v37
	v_add_f32_e32 v16, v16, v83
	s_delay_alu instid0(VALU_DEP_4)
	v_dual_fmac_f32 v88, v33, v54 :: v_dual_fmac_f32 v29, v31, v48
	v_fma_f32 v31, v50, v46, -v34
	v_fma_f32 v34, v50, v48, -v36
	v_mul_f32_e32 v36, v32, v57
	v_mul_f32_e32 v47, v50, v49
	v_dual_mul_f32 v50, v53, v57 :: v_dual_fmac_f32 v35, v51, v46
	v_mul_f32_e32 v46, v53, v55
	v_mul_f32_e32 v49, v33, v55
	v_fma_f32 v30, v30, v48, -v87
	v_fmac_f32_e32 v36, v33, v56
	v_dual_fmac_f32 v47, v51, v48 :: v_dual_mul_f32 v48, v52, v55
	v_mul_f32_e32 v33, v52, v57
	v_fma_f32 v46, v52, v54, -v46
	v_fma_f32 v50, v52, v56, -v50
	v_mul_f32_e32 v52, v38, v61
	v_fma_f32 v49, v32, v54, -v49
	v_fma_f32 v32, v32, v56, -v90
	v_dual_mul_f32 v51, v39, v59 :: v_dual_fmac_f32 v48, v53, v54
	v_mul_f32_e32 v54, v70, v59
	v_dual_mul_f32 v55, v38, v59 :: v_dual_fmac_f32 v52, v39, v60
	v_fmac_f32_e32 v33, v53, v56
	v_mul_f32_e32 v53, v71, v59
	v_mul_f32_e32 v56, v71, v61
	;; [unrolled: 1-line block ×3, first 2 shown]
	v_fmac_f32_e32 v54, v71, v58
	v_fmac_f32_e32 v55, v39, v58
	v_fma_f32 v39, v70, v58, -v53
	v_fma_f32 v53, v70, v60, -v56
	v_mul_f32_e32 v56, v40, v65
	v_mul_f32_e32 v59, v70, v61
	v_fma_f32 v51, v38, v58, -v51
	v_mul_f32_e32 v58, v72, v63
	v_mul_f32_e32 v87, v40, v63
	v_mul_f32_e32 v61, v41, v63
	v_mul_f32_e32 v90, v41, v65
	v_fma_f32 v38, v38, v60, -v57
	v_mul_f32_e32 v57, v73, v63
	v_fmac_f32_e32 v56, v41, v64
	v_dual_fmac_f32 v59, v71, v60 :: v_dual_mul_f32 v60, v73, v65
	v_mul_f32_e32 v63, v43, v67
	v_mul_f32_e32 v70, v43, v69
	v_fmac_f32_e32 v58, v73, v62
	v_fmac_f32_e32 v87, v41, v62
	v_mul_f32_e32 v41, v72, v65
	v_fma_f32 v61, v40, v62, -v61
	v_fma_f32 v40, v40, v64, -v90
	v_mul_f32_e32 v65, v42, v67
	v_fma_f32 v57, v72, v62, -v57
	v_fma_f32 v60, v72, v64, -v60
	v_dual_fmac_f32 v41, v73, v64 :: v_dual_mul_f32 v62, v42, v69
	v_mul_f32_e32 v64, v75, v67
	v_fma_f32 v63, v42, v66, -v63
	v_fma_f32 v42, v42, v68, -v70
	v_mul_f32_e32 v70, v76, v79
	v_mul_f32_e32 v67, v74, v67
	;; [unrolled: 1-line block ×3, first 2 shown]
	v_dual_mul_f32 v69, v74, v69 :: v_dual_add_f32 v12, v12, v22
	v_mul_f32_e32 v73, v44, v79
	v_dual_fmac_f32 v65, v43, v66 :: v_dual_add_f32 v8, v8, v19
	v_fmac_f32_e32 v62, v43, v68
	v_fma_f32 v43, v74, v66, -v64
	v_fmac_f32_e32 v70, v77, v78
	v_dual_fmac_f32 v67, v75, v66 :: v_dual_add_f32 v16, v16, v89
	v_mul_f32_e32 v66, v44, v81
	v_mul_f32_e32 v72, v45, v79
	v_dual_mul_f32 v90, v45, v81 :: v_dual_fmac_f32 v69, v75, v68
	v_add_f32_e32 v0, v0, v18
	v_dual_fmac_f32 v73, v45, v78 :: v_dual_add_f32 v8, v8, v27
	v_dual_fmac_f32 v66, v45, v80 :: v_dual_mul_f32 v45, v76, v81
	v_fma_f32 v64, v74, v68, -v71
	v_dual_mul_f32 v71, v77, v81 :: v_dual_add_f32 v12, v12, v24
	v_dual_add_f32 v15, v15, v82 :: v_dual_add_f32 v0, v0, v28
	s_delay_alu instid0(VALU_DEP_4) | instskip(NEXT) | instid1(VALU_DEP_3)
	v_dual_fmac_f32 v45, v77, v80 :: v_dual_add_f32 v16, v16, v86
	v_dual_add_f32 v11, v11, v85 :: v_dual_add_f32 v12, v12, v30
	s_delay_alu instid0(VALU_DEP_3) | instskip(SKIP_2) | instid1(VALU_DEP_3)
	v_dual_add_f32 v9, v9, v23 :: v_dual_add_f32 v0, v0, v34
	v_dual_add_f32 v1, v1, v21 :: v_dual_add_f32 v8, v8, v35
	v_add_f32_e32 v15, v15, v84
	v_dual_add_f32 v9, v9, v26 :: v_dual_add_f32 v16, v16, v88
	v_add_f32_e32 v11, v11, v20
	s_delay_alu instid0(VALU_DEP_4) | instskip(NEXT) | instid1(VALU_DEP_3)
	v_dual_add_f32 v1, v1, v25 :: v_dual_add_f32 v12, v12, v32
	v_dual_add_f32 v8, v8, v48 :: v_dual_add_f32 v9, v9, v31
	;; [unrolled: 1-line block ×3, first 2 shown]
	s_delay_alu instid0(VALU_DEP_3) | instskip(SKIP_1) | instid1(VALU_DEP_3)
	v_add_f32_e32 v1, v1, v47
	v_dual_add_f32 v16, v16, v55 :: v_dual_add_f32 v11, v11, v29
	v_dual_add_f32 v12, v12, v38 :: v_dual_add_f32 v15, v15, v49
	v_add_f32_e32 v8, v8, v54
	s_delay_alu instid0(VALU_DEP_3) | instskip(NEXT) | instid1(VALU_DEP_3)
	v_dual_add_f32 v16, v16, v87 :: v_dual_add_f32 v11, v11, v36
	v_dual_add_f32 v9, v9, v46 :: v_dual_add_f32 v12, v12, v40
	v_add_f32_e32 v0, v0, v53
	v_add_f32_e32 v1, v1, v33
	s_delay_alu instid0(VALU_DEP_4) | instskip(SKIP_3) | instid1(VALU_DEP_4)
	v_dual_add_f32 v15, v15, v51 :: v_dual_add_f32 v16, v16, v65
	v_dual_add_f32 v8, v8, v58 :: v_dual_add_f32 v11, v11, v52
	v_add_f32_e32 v12, v12, v42
	v_dual_add_f32 v0, v0, v60 :: v_dual_add_f32 v9, v9, v39
	v_dual_add_f32 v1, v1, v59 :: v_dual_add_f32 v16, v16, v73
	v_mul_f32_e32 v68, v77, v79
	v_fma_f32 v72, v44, v78, -v72
	v_fma_f32 v44, v44, v80, -v90
	;; [unrolled: 1-line block ×3, first 2 shown]
	v_dual_add_f32 v15, v15, v61 :: v_dual_add_f32 v8, v8, v67
	v_add_f32_e32 v11, v11, v56
	v_dual_add_f32 v0, v0, v64 :: v_dual_add_f32 v9, v9, v57
	v_dual_add_f32 v12, v12, v44 :: v_dual_add_f32 v1, v1, v41
	v_fma_f32 v68, v76, v78, -v68
	s_delay_alu instid0(VALU_DEP_3) | instskip(SKIP_4) | instid1(VALU_DEP_4)
	v_add_f32_e32 v0, v0, v71
	v_add_f32_e32 v15, v15, v63
	;; [unrolled: 1-line block ×3, first 2 shown]
	v_dual_add_f32 v1, v1, v69 :: v_dual_add_f32 v8, v8, v70
	v_add_f32_e32 v11, v11, v62
	v_add_f32_e32 v15, v15, v72
	s_delay_alu instid0(VALU_DEP_4) | instskip(NEXT) | instid1(VALU_DEP_4)
	v_add_f32_e32 v9, v9, v68
	v_add_f32_e32 v1, v1, v45
	s_delay_alu instid0(VALU_DEP_4)
	v_add_f32_e32 v11, v11, v66
	s_cbranch_scc0 .LBB320_2
.LBB320_3:
	s_clause 0x1
	s_load_b32 s3, s[0:1], 0x40
	s_load_b64 s[0:1], s[0:1], 0x48
	v_add_nc_u32_e32 v7, s13, v7
	v_add_nc_u32_e32 v2, s12, v6
	s_delay_alu instid0(VALU_DEP_2)
	v_cmp_gt_i32_e32 vcc_lo, s2, v7
	s_waitcnt lgkmcnt(0)
	v_mad_i64_i32 v[3:4], null, v7, s3, 0
	s_mul_i32 s1, s15, s1
	s_mul_hi_u32 s4, s15, s0
	s_mul_i32 s0, s15, s0
	s_add_i32 s1, s4, s1
	s_delay_alu instid0(SALU_CYCLE_1) | instskip(NEXT) | instid1(VALU_DEP_1)
	s_lshl_b64 s[4:5], s[0:1], 3
	v_lshlrev_b64 v[3:4], 3, v[3:4]
	s_add_u32 s4, s6, s4
	v_cmp_le_i32_e64 s0, v2, v7
	s_addc_u32 s5, s7, s5
	s_delay_alu instid0(VALU_DEP_2) | instskip(NEXT) | instid1(VALU_DEP_1)
	v_add_co_u32 v6, s1, s4, v3
	v_add_co_ci_u32_e64 v10, s1, s5, v4, s1
	s_delay_alu instid0(VALU_DEP_3) | instskip(NEXT) | instid1(SALU_CYCLE_1)
	s_and_b32 s0, vcc_lo, s0
	s_and_saveexec_b32 s1, s0
	s_cbranch_execz .LBB320_6
; %bb.4:
	v_ashrrev_i32_e32 v3, 31, v2
	s_delay_alu instid0(VALU_DEP_1) | instskip(NEXT) | instid1(VALU_DEP_1)
	v_lshlrev_b64 v[3:4], 3, v[2:3]
	v_add_co_u32 v3, s0, v6, v3
	s_delay_alu instid0(VALU_DEP_1)
	v_add_co_ci_u32_e64 v4, s0, v10, v4, s0
	v_cmp_eq_u32_e64 s0, v7, v2
	global_load_b64 v[13:14], v[3:4], off
	s_waitcnt vmcnt(0)
	v_dual_sub_f32 v13, v15, v13 :: v_dual_sub_f32 v14, v16, v14
	global_store_b64 v[3:4], v[13:14], off
	s_and_b32 exec_lo, exec_lo, s0
	s_cbranch_execz .LBB320_6
; %bb.5:
	v_mov_b32_e32 v5, 0
	global_store_b32 v[3:4], v5, off offset:4
.LBB320_6:
	s_or_b32 exec_lo, exec_lo, s1
	v_add_nc_u32_e32 v4, 16, v2
	s_delay_alu instid0(VALU_DEP_1) | instskip(NEXT) | instid1(VALU_DEP_1)
	v_cmp_le_i32_e64 s0, v4, v7
	s_and_b32 s1, vcc_lo, s0
	s_delay_alu instid0(SALU_CYCLE_1)
	s_and_saveexec_b32 s0, s1
	s_cbranch_execz .LBB320_9
; %bb.7:
	v_ashrrev_i32_e32 v5, 31, v4
	s_delay_alu instid0(VALU_DEP_1) | instskip(NEXT) | instid1(VALU_DEP_1)
	v_lshlrev_b64 v[13:14], 3, v[4:5]
	v_add_co_u32 v5, vcc_lo, v6, v13
	s_delay_alu instid0(VALU_DEP_2)
	v_add_co_ci_u32_e32 v6, vcc_lo, v10, v14, vcc_lo
	v_cmp_eq_u32_e32 vcc_lo, v7, v4
	global_load_b64 v[13:14], v[5:6], off
	s_waitcnt vmcnt(0)
	v_dual_sub_f32 v10, v12, v13 :: v_dual_sub_f32 v11, v11, v14
	global_store_b64 v[5:6], v[10:11], off
	s_and_b32 exec_lo, exec_lo, vcc_lo
	s_cbranch_execz .LBB320_9
; %bb.8:
	v_mov_b32_e32 v3, 0
	global_store_b32 v[5:6], v3, off offset:4
.LBB320_9:
	s_or_b32 exec_lo, exec_lo, s0
	v_add_nc_u32_e32 v12, 16, v7
	s_delay_alu instid0(VALU_DEP_1) | instskip(SKIP_2) | instid1(VALU_DEP_1)
	v_mad_i64_i32 v[5:6], null, v12, s3, 0
	v_cmp_gt_i32_e32 vcc_lo, s2, v12
	v_cmp_le_i32_e64 s0, v2, v12
	s_and_b32 s0, vcc_lo, s0
	s_delay_alu instid0(VALU_DEP_3) | instskip(NEXT) | instid1(VALU_DEP_1)
	v_lshlrev_b64 v[5:6], 3, v[5:6]
	v_add_co_u32 v10, s1, s4, v5
	s_delay_alu instid0(VALU_DEP_1)
	v_add_co_ci_u32_e64 v11, s1, s5, v6, s1
	s_and_saveexec_b32 s1, s0
	s_cbranch_execz .LBB320_12
; %bb.10:
	v_ashrrev_i32_e32 v3, 31, v2
	s_delay_alu instid0(VALU_DEP_1) | instskip(NEXT) | instid1(VALU_DEP_1)
	v_lshlrev_b64 v[5:6], 3, v[2:3]
	v_add_co_u32 v5, s0, v10, v5
	s_delay_alu instid0(VALU_DEP_1)
	v_add_co_ci_u32_e64 v6, s0, v11, v6, s0
	v_cmp_eq_u32_e64 s0, v12, v2
	global_load_b64 v[13:14], v[5:6], off
	s_waitcnt vmcnt(0)
	v_dual_sub_f32 v13, v9, v13 :: v_dual_sub_f32 v14, v8, v14
	global_store_b64 v[5:6], v[13:14], off
	s_and_b32 exec_lo, exec_lo, s0
	s_cbranch_execz .LBB320_12
; %bb.11:
	v_mov_b32_e32 v3, 0
	global_store_b32 v[5:6], v3, off offset:4
.LBB320_12:
	s_or_b32 exec_lo, exec_lo, s1
	v_cmp_le_i32_e64 s0, v4, v12
	s_delay_alu instid0(VALU_DEP_1) | instskip(NEXT) | instid1(SALU_CYCLE_1)
	s_and_b32 s0, vcc_lo, s0
	s_and_saveexec_b32 s1, s0
	s_cbranch_execz .LBB320_15
; %bb.13:
	v_ashrrev_i32_e32 v5, 31, v4
	s_delay_alu instid0(VALU_DEP_1) | instskip(NEXT) | instid1(VALU_DEP_1)
	v_lshlrev_b64 v[3:4], 3, v[4:5]
	v_add_co_u32 v3, vcc_lo, v10, v3
	s_delay_alu instid0(VALU_DEP_2)
	v_add_co_ci_u32_e32 v4, vcc_lo, v11, v4, vcc_lo
	v_cmp_eq_u32_e32 vcc_lo, v7, v2
	global_load_b64 v[5:6], v[3:4], off
	s_waitcnt vmcnt(0)
	v_dual_sub_f32 v0, v0, v5 :: v_dual_sub_f32 v1, v1, v6
	global_store_b64 v[3:4], v[0:1], off
	s_and_b32 exec_lo, exec_lo, vcc_lo
	s_cbranch_execz .LBB320_15
; %bb.14:
	v_mov_b32_e32 v0, 0
	global_store_b32 v[3:4], v0, off offset:4
.LBB320_15:
	s_nop 0
	s_sendmsg sendmsg(MSG_DEALLOC_VGPRS)
	s_endpgm
	.section	.rodata,"a",@progbits
	.p2align	6, 0x0
	.amdhsa_kernel _ZL37rocblas_syrkx_herkx_restricted_kernelIi19rocblas_complex_numIfELi16ELi32ELi8ELi1ELin1ELb1ELc67ELc85EKS1_S1_EviT_PT9_S3_lS5_S3_lPT10_S3_li
		.amdhsa_group_segment_fixed_size 4096
		.amdhsa_private_segment_fixed_size 0
		.amdhsa_kernarg_size 84
		.amdhsa_user_sgpr_count 13
		.amdhsa_user_sgpr_dispatch_ptr 0
		.amdhsa_user_sgpr_queue_ptr 0
		.amdhsa_user_sgpr_kernarg_segment_ptr 1
		.amdhsa_user_sgpr_dispatch_id 0
		.amdhsa_user_sgpr_private_segment_size 0
		.amdhsa_wavefront_size32 1
		.amdhsa_uses_dynamic_stack 0
		.amdhsa_enable_private_segment 0
		.amdhsa_system_sgpr_workgroup_id_x 1
		.amdhsa_system_sgpr_workgroup_id_y 1
		.amdhsa_system_sgpr_workgroup_id_z 1
		.amdhsa_system_sgpr_workgroup_info 0
		.amdhsa_system_vgpr_workitem_id 1
		.amdhsa_next_free_vgpr 91
		.amdhsa_next_free_sgpr 20
		.amdhsa_reserve_vcc 1
		.amdhsa_float_round_mode_32 0
		.amdhsa_float_round_mode_16_64 0
		.amdhsa_float_denorm_mode_32 3
		.amdhsa_float_denorm_mode_16_64 3
		.amdhsa_dx10_clamp 1
		.amdhsa_ieee_mode 1
		.amdhsa_fp16_overflow 0
		.amdhsa_workgroup_processor_mode 1
		.amdhsa_memory_ordered 1
		.amdhsa_forward_progress 0
		.amdhsa_shared_vgpr_count 0
		.amdhsa_exception_fp_ieee_invalid_op 0
		.amdhsa_exception_fp_denorm_src 0
		.amdhsa_exception_fp_ieee_div_zero 0
		.amdhsa_exception_fp_ieee_overflow 0
		.amdhsa_exception_fp_ieee_underflow 0
		.amdhsa_exception_fp_ieee_inexact 0
		.amdhsa_exception_int_div_zero 0
	.end_amdhsa_kernel
	.section	.text._ZL37rocblas_syrkx_herkx_restricted_kernelIi19rocblas_complex_numIfELi16ELi32ELi8ELi1ELin1ELb1ELc67ELc85EKS1_S1_EviT_PT9_S3_lS5_S3_lPT10_S3_li,"axG",@progbits,_ZL37rocblas_syrkx_herkx_restricted_kernelIi19rocblas_complex_numIfELi16ELi32ELi8ELi1ELin1ELb1ELc67ELc85EKS1_S1_EviT_PT9_S3_lS5_S3_lPT10_S3_li,comdat
.Lfunc_end320:
	.size	_ZL37rocblas_syrkx_herkx_restricted_kernelIi19rocblas_complex_numIfELi16ELi32ELi8ELi1ELin1ELb1ELc67ELc85EKS1_S1_EviT_PT9_S3_lS5_S3_lPT10_S3_li, .Lfunc_end320-_ZL37rocblas_syrkx_herkx_restricted_kernelIi19rocblas_complex_numIfELi16ELi32ELi8ELi1ELin1ELb1ELc67ELc85EKS1_S1_EviT_PT9_S3_lS5_S3_lPT10_S3_li
                                        ; -- End function
	.section	.AMDGPU.csdata,"",@progbits
; Kernel info:
; codeLenInByte = 2216
; NumSgprs: 22
; NumVgprs: 91
; ScratchSize: 0
; MemoryBound: 0
; FloatMode: 240
; IeeeMode: 1
; LDSByteSize: 4096 bytes/workgroup (compile time only)
; SGPRBlocks: 2
; VGPRBlocks: 11
; NumSGPRsForWavesPerEU: 22
; NumVGPRsForWavesPerEU: 91
; Occupancy: 16
; WaveLimiterHint : 0
; COMPUTE_PGM_RSRC2:SCRATCH_EN: 0
; COMPUTE_PGM_RSRC2:USER_SGPR: 13
; COMPUTE_PGM_RSRC2:TRAP_HANDLER: 0
; COMPUTE_PGM_RSRC2:TGID_X_EN: 1
; COMPUTE_PGM_RSRC2:TGID_Y_EN: 1
; COMPUTE_PGM_RSRC2:TGID_Z_EN: 1
; COMPUTE_PGM_RSRC2:TIDIG_COMP_CNT: 1
	.section	.text._ZL37rocblas_syrkx_herkx_restricted_kernelIi19rocblas_complex_numIfELi16ELi32ELi8ELi1ELin1ELb1ELc78ELc85EKS1_S1_EviT_PT9_S3_lS5_S3_lPT10_S3_li,"axG",@progbits,_ZL37rocblas_syrkx_herkx_restricted_kernelIi19rocblas_complex_numIfELi16ELi32ELi8ELi1ELin1ELb1ELc78ELc85EKS1_S1_EviT_PT9_S3_lS5_S3_lPT10_S3_li,comdat
	.globl	_ZL37rocblas_syrkx_herkx_restricted_kernelIi19rocblas_complex_numIfELi16ELi32ELi8ELi1ELin1ELb1ELc78ELc85EKS1_S1_EviT_PT9_S3_lS5_S3_lPT10_S3_li ; -- Begin function _ZL37rocblas_syrkx_herkx_restricted_kernelIi19rocblas_complex_numIfELi16ELi32ELi8ELi1ELin1ELb1ELc78ELc85EKS1_S1_EviT_PT9_S3_lS5_S3_lPT10_S3_li
	.p2align	8
	.type	_ZL37rocblas_syrkx_herkx_restricted_kernelIi19rocblas_complex_numIfELi16ELi32ELi8ELi1ELin1ELb1ELc78ELc85EKS1_S1_EviT_PT9_S3_lS5_S3_lPT10_S3_li,@function
_ZL37rocblas_syrkx_herkx_restricted_kernelIi19rocblas_complex_numIfELi16ELi32ELi8ELi1ELin1ELb1ELc78ELc85EKS1_S1_EviT_PT9_S3_lS5_S3_lPT10_S3_li: ; @_ZL37rocblas_syrkx_herkx_restricted_kernelIi19rocblas_complex_numIfELi16ELi32ELi8ELi1ELin1ELb1ELc78ELc85EKS1_S1_EviT_PT9_S3_lS5_S3_lPT10_S3_li
; %bb.0:
	s_clause 0x1
	s_load_b64 s[2:3], s[0:1], 0x0
	s_load_b128 s[4:7], s[0:1], 0x30
	v_dual_mov_b32 v17, 0 :: v_dual_and_b32 v4, 0x3ff, v0
	v_bfe_u32 v5, v0, 10, 10
	v_dual_mov_b32 v16, 0 :: v_dual_mov_b32 v11, 0
	v_dual_mov_b32 v10, 0 :: v_dual_mov_b32 v9, 0
	;; [unrolled: 1-line block ×3, first 2 shown]
	v_mov_b32_e32 v6, 0
	s_lshl_b32 s12, s13, 5
	s_lshl_b32 s13, s14, 5
	s_mov_b32 s14, 0
	s_waitcnt lgkmcnt(0)
	s_cmp_lt_i32 s3, 1
	s_cbranch_scc1 .LBB321_3
; %bb.1:
	s_clause 0x1
	s_load_b32 s16, s[0:1], 0x10
	s_load_b32 s18, s[0:1], 0x28
	v_lshl_add_u32 v0, v5, 4, v4
	v_and_b32_e32 v8, 7, v4
	s_clause 0x1
	s_load_b128 s[8:11], s[0:1], 0x18
	s_load_b64 s[20:21], s[0:1], 0x8
	s_mul_i32 s5, s5, s15
	v_lshrrev_b32_e32 v1, 3, v0
	v_and_b32_e32 v2, 31, v0
	v_lshrrev_b32_e32 v9, 5, v0
	v_lshlrev_b32_e32 v3, 3, v8
	s_delay_alu instid0(VALU_DEP_4) | instskip(NEXT) | instid1(VALU_DEP_4)
	v_dual_mov_b32 v11, 0 :: v_dual_add_nc_u32 v0, s13, v1
	v_dual_mov_b32 v17, 0 :: v_dual_lshlrev_b32 v6, 3, v2
	v_add_nc_u32_e32 v2, s12, v2
	s_delay_alu instid0(VALU_DEP_4) | instskip(NEXT) | instid1(VALU_DEP_4)
	v_lshl_or_b32 v10, v1, 6, v3
	v_ashrrev_i32_e32 v1, 31, v0
	s_delay_alu instid0(VALU_DEP_4)
	v_lshl_or_b32 v12, v9, 8, v6
	v_lshlrev_b32_e32 v14, 3, v4
	v_ashrrev_i32_e32 v3, 31, v2
	s_waitcnt lgkmcnt(0)
	s_ashr_i32 s17, s16, 31
	v_mad_i64_i32 v[6:7], null, s18, v8, v[0:1]
	s_mul_i32 s9, s9, s15
	v_mad_i64_i32 v[0:1], null, s16, v9, v[2:3]
	s_mul_hi_u32 s22, s8, s15
	s_mul_i32 s8, s8, s15
	s_add_i32 s9, s22, s9
	s_ashr_i32 s19, s18, 31
	s_lshl_b64 s[8:9], s[8:9], 3
	v_dual_mov_b32 v8, 0 :: v_dual_add_nc_u32 v13, 0x800, v10
	s_delay_alu instid0(VALU_DEP_2)
	v_lshlrev_b64 v[0:1], 3, v[0:1]
	s_add_u32 s8, s20, s8
	s_addc_u32 s9, s21, s9
	s_mul_hi_u32 s20, s4, s15
	s_mul_i32 s4, s4, s15
	s_add_i32 s5, s20, s5
	v_add_co_u32 v2, vcc_lo, s8, v0
	v_add_co_ci_u32_e32 v3, vcc_lo, s9, v1, vcc_lo
	v_lshlrev_b64 v[0:1], 3, v[6:7]
	s_lshl_b64 s[8:9], s[4:5], 3
	s_lshl_b64 s[4:5], s[16:17], 6
	s_add_u32 s8, s10, s8
	s_addc_u32 s9, s11, s9
	v_lshl_add_u32 v15, v5, 6, 0x800
	v_add_co_u32 v6, vcc_lo, s8, v0
	v_add_co_ci_u32_e32 v7, vcc_lo, s9, v1, vcc_lo
	v_add_co_u32 v0, vcc_lo, v2, 4
	v_add_co_ci_u32_e32 v1, vcc_lo, 0, v3, vcc_lo
	s_delay_alu instid0(VALU_DEP_4) | instskip(NEXT) | instid1(VALU_DEP_4)
	v_add_co_u32 v2, vcc_lo, v6, 4
	v_add_co_ci_u32_e32 v3, vcc_lo, 0, v7, vcc_lo
	v_dual_mov_b32 v6, 0 :: v_dual_mov_b32 v7, 0
	v_dual_mov_b32 v9, 0 :: v_dual_mov_b32 v10, 0
	v_mov_b32_e32 v16, 0
	s_lshl_b64 s[8:9], s[18:19], 6
.LBB321_2:                              ; =>This Inner Loop Header: Depth=1
	global_load_b64 v[18:19], v[2:3], off offset:-4
	global_load_b64 v[20:21], v[0:1], off offset:-4
	v_add_co_u32 v0, vcc_lo, v0, s4
	v_add_co_ci_u32_e32 v1, vcc_lo, s5, v1, vcc_lo
	v_add_co_u32 v2, vcc_lo, v2, s8
	v_add_co_ci_u32_e32 v3, vcc_lo, s9, v3, vcc_lo
	s_add_i32 s14, s14, 8
	s_delay_alu instid0(SALU_CYCLE_1)
	s_cmp_ge_i32 s14, s3
	s_waitcnt vmcnt(1)
	v_xor_b32_e32 v19, 0x80000000, v19
	s_waitcnt vmcnt(0)
	ds_store_b64 v12, v[20:21]
	ds_store_b64 v13, v[18:19]
	s_waitcnt lgkmcnt(0)
	s_barrier
	buffer_gl0_inv
	ds_load_2addr_b64 v[18:21], v14 offset1:16
	ds_load_b128 v[22:25], v15
	ds_load_b128 v[26:29], v15 offset:1024
	ds_load_b128 v[30:33], v15 offset:16
	ds_load_2addr_b64 v[34:37], v14 offset0:32 offset1:48
	ds_load_b128 v[38:41], v15 offset:32
	ds_load_b128 v[42:45], v15 offset:48
	ds_load_2addr_b64 v[46:49], v14 offset0:64 offset1:80
	ds_load_b128 v[50:53], v15 offset:1040
	ds_load_2addr_b64 v[54:57], v14 offset0:96 offset1:112
	ds_load_2addr_b64 v[58:61], v14 offset0:128 offset1:144
	;; [unrolled: 1-line block ×4, first 2 shown]
	ds_load_b128 v[70:73], v15 offset:1056
	ds_load_b128 v[74:77], v15 offset:1072
	ds_load_2addr_b64 v[78:81], v14 offset0:224 offset1:240
	s_waitcnt lgkmcnt(0)
	s_barrier
	buffer_gl0_inv
	v_dual_mul_f32 v82, v23, v19 :: v_dual_mul_f32 v85, v22, v21
	v_dual_mul_f32 v83, v22, v19 :: v_dual_mul_f32 v84, v23, v21
	v_mul_f32_e32 v86, v27, v19
	v_dual_mul_f32 v19, v26, v19 :: v_dual_mul_f32 v90, v25, v37
	v_dual_mul_f32 v87, v27, v21 :: v_dual_mul_f32 v88, v25, v35
	v_mul_f32_e32 v21, v26, v21
	v_mul_f32_e32 v89, v24, v35
	;; [unrolled: 1-line block ×3, first 2 shown]
	v_fma_f32 v82, v22, v18, -v82
	v_fmac_f32_e32 v83, v23, v18
	v_fma_f32 v22, v22, v20, -v84
	v_dual_fmac_f32 v85, v23, v20 :: v_dual_mul_f32 v84, v30, v47
	v_fma_f32 v23, v26, v18, -v86
	v_fmac_f32_e32 v19, v27, v18
	v_fma_f32 v18, v26, v20, -v87
	v_dual_mul_f32 v26, v28, v35 :: v_dual_fmac_f32 v21, v27, v20
	v_mul_f32_e32 v20, v29, v35
	v_mul_f32_e32 v27, v29, v37
	v_dual_mul_f32 v35, v28, v37 :: v_dual_fmac_f32 v84, v31, v46
	v_fma_f32 v37, v24, v34, -v88
	v_fma_f32 v24, v24, v36, -v90
	v_dual_fmac_f32 v91, v25, v36 :: v_dual_mul_f32 v90, v32, v57
	v_dual_mul_f32 v86, v31, v49 :: v_dual_fmac_f32 v89, v25, v34
	v_dual_mul_f32 v25, v31, v47 :: v_dual_mul_f32 v88, v33, v57
	v_fma_f32 v20, v28, v34, -v20
	v_fmac_f32_e32 v26, v29, v34
	v_fma_f32 v27, v28, v36, -v27
	v_dual_fmac_f32 v35, v29, v36 :: v_dual_mul_f32 v28, v51, v47
	v_dual_mul_f32 v29, v50, v47 :: v_dual_mul_f32 v34, v51, v49
	v_mul_f32_e32 v36, v50, v49
	v_mul_f32_e32 v87, v30, v49
	;; [unrolled: 1-line block ×3, first 2 shown]
	v_dual_mul_f32 v49, v32, v55 :: v_dual_fmac_f32 v90, v33, v56
	v_fma_f32 v25, v30, v46, -v25
	v_fma_f32 v30, v30, v48, -v86
	;; [unrolled: 1-line block ×3, first 2 shown]
	v_fmac_f32_e32 v36, v51, v48
	v_fmac_f32_e32 v87, v31, v48
	v_fma_f32 v31, v50, v48, -v34
	v_mul_f32_e32 v34, v53, v55
	v_mul_f32_e32 v48, v53, v57
	v_dual_mul_f32 v50, v52, v57 :: v_dual_fmac_f32 v29, v51, v46
	v_mul_f32_e32 v46, v52, v55
	v_fma_f32 v47, v32, v54, -v47
	v_fmac_f32_e32 v49, v33, v54
	v_fma_f32 v32, v32, v56, -v88
	s_delay_alu instid0(VALU_DEP_4)
	v_dual_mul_f32 v33, v39, v59 :: v_dual_fmac_f32 v46, v53, v54
	v_mul_f32_e32 v51, v38, v59
	v_mul_f32_e32 v55, v39, v61
	v_fma_f32 v34, v52, v54, -v34
	v_fma_f32 v48, v52, v56, -v48
	v_fmac_f32_e32 v50, v53, v56
	v_mul_f32_e32 v52, v71, v59
	v_dual_mul_f32 v53, v70, v59 :: v_dual_mul_f32 v86, v41, v65
	v_mul_f32_e32 v54, v71, v61
	v_dual_mul_f32 v56, v70, v61 :: v_dual_mul_f32 v59, v41, v63
	v_mul_f32_e32 v57, v38, v61
	v_mul_f32_e32 v61, v40, v63
	v_dual_mul_f32 v88, v40, v65 :: v_dual_fmac_f32 v51, v39, v58
	v_fma_f32 v33, v38, v58, -v33
	v_fmac_f32_e32 v53, v71, v58
	v_fmac_f32_e32 v56, v71, v60
	s_delay_alu instid0(VALU_DEP_4)
	v_fmac_f32_e32 v88, v41, v64
	v_fmac_f32_e32 v57, v39, v60
	v_fma_f32 v39, v70, v58, -v52
	v_fma_f32 v52, v70, v60, -v54
	v_mul_f32_e32 v54, v73, v63
	v_fma_f32 v38, v38, v60, -v55
	v_mul_f32_e32 v60, v72, v65
	v_dual_mul_f32 v55, v72, v63 :: v_dual_mul_f32 v70, v42, v69
	v_mul_f32_e32 v58, v73, v65
	v_fma_f32 v59, v40, v62, -v59
	v_fmac_f32_e32 v61, v41, v62
	v_fma_f32 v40, v40, v64, -v86
	v_dual_mul_f32 v41, v43, v67 :: v_dual_fmac_f32 v60, v73, v64
	v_dual_mul_f32 v63, v42, v67 :: v_dual_mul_f32 v86, v44, v81
	v_mul_f32_e32 v65, v43, v69
	v_fma_f32 v54, v72, v62, -v54
	v_fmac_f32_e32 v55, v73, v62
	v_fma_f32 v58, v72, v64, -v58
	v_mul_f32_e32 v72, v44, v79
	v_mul_f32_e32 v62, v75, v67
	v_dual_mul_f32 v64, v74, v67 :: v_dual_mul_f32 v67, v75, v69
	v_dual_mul_f32 v69, v74, v69 :: v_dual_fmac_f32 v70, v43, v68
	s_delay_alu instid0(VALU_DEP_2)
	v_dual_mul_f32 v71, v45, v79 :: v_dual_fmac_f32 v64, v75, v66
	v_fma_f32 v41, v42, v66, -v41
	v_fmac_f32_e32 v63, v43, v66
	v_fma_f32 v42, v42, v68, -v65
	v_fma_f32 v43, v74, v66, -v62
	v_dual_fmac_f32 v69, v75, v68 :: v_dual_fmac_f32 v72, v45, v78
	v_mul_f32_e32 v66, v76, v79
	v_fma_f32 v62, v74, v68, -v67
	v_mul_f32_e32 v68, v76, v81
	v_dual_mul_f32 v73, v45, v81 :: v_dual_add_f32 v16, v16, v82
	v_dual_mul_f32 v65, v77, v79 :: v_dual_add_f32 v10, v10, v85
	;; [unrolled: 1-line block ×3, first 2 shown]
	v_dual_fmac_f32 v86, v45, v80 :: v_dual_add_f32 v11, v11, v22
	v_dual_fmac_f32 v68, v77, v80 :: v_dual_add_f32 v7, v7, v18
	v_dual_add_f32 v17, v17, v83 :: v_dual_add_f32 v6, v6, v21
	v_dual_add_f32 v9, v9, v23 :: v_dual_add_f32 v16, v16, v37
	s_delay_alu instid0(VALU_DEP_4) | instskip(NEXT) | instid1(VALU_DEP_3)
	v_dual_fmac_f32 v66, v77, v78 :: v_dual_add_f32 v11, v11, v24
	v_dual_add_f32 v17, v17, v89 :: v_dual_add_f32 v10, v10, v91
	s_delay_alu instid0(VALU_DEP_3) | instskip(NEXT) | instid1(VALU_DEP_4)
	v_dual_add_f32 v9, v9, v20 :: v_dual_add_f32 v8, v8, v26
	v_dual_add_f32 v7, v7, v27 :: v_dual_add_f32 v16, v16, v25
	s_delay_alu instid0(VALU_DEP_3) | instskip(NEXT) | instid1(VALU_DEP_4)
	v_dual_add_f32 v6, v6, v35 :: v_dual_add_f32 v17, v17, v84
	v_dual_add_f32 v11, v11, v30 :: v_dual_add_f32 v10, v10, v87
	s_delay_alu instid0(VALU_DEP_4) | instskip(NEXT) | instid1(VALU_DEP_3)
	v_dual_add_f32 v9, v9, v28 :: v_dual_add_f32 v8, v8, v29
	v_dual_add_f32 v7, v7, v31 :: v_dual_add_f32 v6, v6, v36
	s_delay_alu instid0(VALU_DEP_4) | instskip(NEXT) | instid1(VALU_DEP_4)
	v_dual_add_f32 v16, v16, v47 :: v_dual_add_f32 v17, v17, v49
	v_dual_add_f32 v11, v11, v32 :: v_dual_add_f32 v10, v10, v90
	s_delay_alu instid0(VALU_DEP_2) | instskip(NEXT) | instid1(VALU_DEP_4)
	v_dual_add_f32 v9, v9, v34 :: v_dual_add_f32 v16, v16, v33
	v_dual_add_f32 v8, v8, v46 :: v_dual_add_f32 v7, v7, v48
	s_delay_alu instid0(VALU_DEP_4) | instskip(NEXT) | instid1(VALU_DEP_4)
	v_dual_add_f32 v6, v6, v50 :: v_dual_add_f32 v17, v17, v51
	v_dual_add_f32 v11, v11, v38 :: v_dual_add_f32 v10, v10, v57
	s_delay_alu instid0(VALU_DEP_3) | instskip(NEXT) | instid1(VALU_DEP_4)
	v_dual_add_f32 v9, v9, v39 :: v_dual_add_f32 v8, v8, v53
	v_dual_add_f32 v7, v7, v52 :: v_dual_add_f32 v16, v16, v59
	s_delay_alu instid0(VALU_DEP_4) | instskip(NEXT) | instid1(VALU_DEP_3)
	v_dual_add_f32 v6, v6, v56 :: v_dual_add_f32 v17, v17, v61
	v_dual_add_f32 v11, v11, v40 :: v_dual_add_f32 v8, v8, v55
	s_delay_alu instid0(VALU_DEP_4) | instskip(NEXT) | instid1(VALU_DEP_3)
	v_dual_add_f32 v10, v10, v88 :: v_dual_add_f32 v9, v9, v54
	v_dual_add_f32 v7, v7, v58 :: v_dual_add_f32 v6, v6, v60
	v_fma_f32 v71, v44, v78, -v71
	v_fma_f32 v44, v44, v80, -v73
	;; [unrolled: 1-line block ×4, first 2 shown]
	v_dual_add_f32 v16, v16, v41 :: v_dual_add_f32 v17, v17, v63
	v_dual_add_f32 v11, v11, v42 :: v_dual_add_f32 v8, v8, v64
	;; [unrolled: 1-line block ×4, first 2 shown]
	s_delay_alu instid0(VALU_DEP_4) | instskip(NEXT) | instid1(VALU_DEP_3)
	v_dual_add_f32 v16, v16, v71 :: v_dual_add_f32 v17, v17, v72
	v_dual_add_f32 v11, v11, v44 :: v_dual_add_f32 v10, v10, v86
	s_delay_alu instid0(VALU_DEP_4) | instskip(NEXT) | instid1(VALU_DEP_4)
	v_dual_add_f32 v9, v9, v45 :: v_dual_add_f32 v8, v8, v66
	v_dual_add_f32 v7, v7, v65 :: v_dual_add_f32 v6, v6, v68
	s_cbranch_scc0 .LBB321_2
.LBB321_3:
	s_clause 0x1
	s_load_b32 s3, s[0:1], 0x40
	s_load_b64 s[0:1], s[0:1], 0x48
	v_add_nc_u32_e32 v5, s13, v5
	v_add_nc_u32_e32 v0, s12, v4
	s_delay_alu instid0(VALU_DEP_2)
	v_cmp_gt_i32_e32 vcc_lo, s2, v5
	s_waitcnt lgkmcnt(0)
	v_mad_i64_i32 v[1:2], null, v5, s3, 0
	s_mul_i32 s1, s15, s1
	s_mul_hi_u32 s4, s15, s0
	s_mul_i32 s0, s15, s0
	s_add_i32 s1, s4, s1
	s_delay_alu instid0(SALU_CYCLE_1) | instskip(NEXT) | instid1(VALU_DEP_1)
	s_lshl_b64 s[4:5], s[0:1], 3
	v_lshlrev_b64 v[1:2], 3, v[1:2]
	s_add_u32 s4, s6, s4
	v_cmp_le_i32_e64 s0, v0, v5
	s_addc_u32 s5, s7, s5
	s_delay_alu instid0(VALU_DEP_2) | instskip(NEXT) | instid1(VALU_DEP_1)
	v_add_co_u32 v4, s1, s4, v1
	v_add_co_ci_u32_e64 v12, s1, s5, v2, s1
	s_delay_alu instid0(VALU_DEP_3) | instskip(NEXT) | instid1(SALU_CYCLE_1)
	s_and_b32 s0, vcc_lo, s0
	s_and_saveexec_b32 s1, s0
	s_cbranch_execz .LBB321_6
; %bb.4:
	v_ashrrev_i32_e32 v1, 31, v0
	s_delay_alu instid0(VALU_DEP_1) | instskip(NEXT) | instid1(VALU_DEP_1)
	v_lshlrev_b64 v[1:2], 3, v[0:1]
	v_add_co_u32 v1, s0, v4, v1
	s_delay_alu instid0(VALU_DEP_1)
	v_add_co_ci_u32_e64 v2, s0, v12, v2, s0
	v_cmp_eq_u32_e64 s0, v5, v0
	global_load_b64 v[13:14], v[1:2], off
	s_waitcnt vmcnt(0)
	v_dual_sub_f32 v13, v16, v13 :: v_dual_sub_f32 v14, v17, v14
	global_store_b64 v[1:2], v[13:14], off
	s_and_b32 exec_lo, exec_lo, s0
	s_cbranch_execz .LBB321_6
; %bb.5:
	v_mov_b32_e32 v3, 0
	global_store_b32 v[1:2], v3, off offset:4
.LBB321_6:
	s_or_b32 exec_lo, exec_lo, s1
	v_add_nc_u32_e32 v2, 16, v0
	s_delay_alu instid0(VALU_DEP_1) | instskip(NEXT) | instid1(VALU_DEP_1)
	v_cmp_le_i32_e64 s0, v2, v5
	s_and_b32 s1, vcc_lo, s0
	s_delay_alu instid0(SALU_CYCLE_1)
	s_and_saveexec_b32 s0, s1
	s_cbranch_execz .LBB321_9
; %bb.7:
	v_ashrrev_i32_e32 v3, 31, v2
	s_delay_alu instid0(VALU_DEP_1) | instskip(NEXT) | instid1(VALU_DEP_1)
	v_lshlrev_b64 v[13:14], 3, v[2:3]
	v_add_co_u32 v3, vcc_lo, v4, v13
	s_delay_alu instid0(VALU_DEP_2)
	v_add_co_ci_u32_e32 v4, vcc_lo, v12, v14, vcc_lo
	v_cmp_eq_u32_e32 vcc_lo, v5, v2
	global_load_b64 v[12:13], v[3:4], off
	s_waitcnt vmcnt(0)
	v_dual_sub_f32 v11, v11, v12 :: v_dual_sub_f32 v12, v10, v13
	global_store_b64 v[3:4], v[11:12], off
	s_and_b32 exec_lo, exec_lo, vcc_lo
	s_cbranch_execz .LBB321_9
; %bb.8:
	v_mov_b32_e32 v1, 0
	global_store_b32 v[3:4], v1, off offset:4
.LBB321_9:
	s_or_b32 exec_lo, exec_lo, s0
	v_add_nc_u32_e32 v12, 16, v5
	s_delay_alu instid0(VALU_DEP_1) | instskip(SKIP_2) | instid1(VALU_DEP_1)
	v_mad_i64_i32 v[3:4], null, v12, s3, 0
	v_cmp_gt_i32_e32 vcc_lo, s2, v12
	v_cmp_le_i32_e64 s0, v0, v12
	s_and_b32 s0, vcc_lo, s0
	s_delay_alu instid0(VALU_DEP_3) | instskip(NEXT) | instid1(VALU_DEP_1)
	v_lshlrev_b64 v[3:4], 3, v[3:4]
	v_add_co_u32 v10, s1, s4, v3
	s_delay_alu instid0(VALU_DEP_1)
	v_add_co_ci_u32_e64 v11, s1, s5, v4, s1
	s_and_saveexec_b32 s1, s0
	s_cbranch_execz .LBB321_12
; %bb.10:
	v_ashrrev_i32_e32 v1, 31, v0
	s_delay_alu instid0(VALU_DEP_1) | instskip(NEXT) | instid1(VALU_DEP_1)
	v_lshlrev_b64 v[3:4], 3, v[0:1]
	v_add_co_u32 v3, s0, v10, v3
	s_delay_alu instid0(VALU_DEP_1)
	v_add_co_ci_u32_e64 v4, s0, v11, v4, s0
	v_cmp_eq_u32_e64 s0, v12, v0
	global_load_b64 v[13:14], v[3:4], off
	s_waitcnt vmcnt(0)
	v_dual_sub_f32 v13, v9, v13 :: v_dual_sub_f32 v14, v8, v14
	global_store_b64 v[3:4], v[13:14], off
	s_and_b32 exec_lo, exec_lo, s0
	s_cbranch_execz .LBB321_12
; %bb.11:
	v_mov_b32_e32 v1, 0
	global_store_b32 v[3:4], v1, off offset:4
.LBB321_12:
	s_or_b32 exec_lo, exec_lo, s1
	v_cmp_le_i32_e64 s0, v2, v12
	s_delay_alu instid0(VALU_DEP_1) | instskip(NEXT) | instid1(SALU_CYCLE_1)
	s_and_b32 s0, vcc_lo, s0
	s_and_saveexec_b32 s1, s0
	s_cbranch_execz .LBB321_15
; %bb.13:
	v_ashrrev_i32_e32 v3, 31, v2
	s_delay_alu instid0(VALU_DEP_1) | instskip(NEXT) | instid1(VALU_DEP_1)
	v_lshlrev_b64 v[1:2], 3, v[2:3]
	v_add_co_u32 v1, vcc_lo, v10, v1
	s_delay_alu instid0(VALU_DEP_2)
	v_add_co_ci_u32_e32 v2, vcc_lo, v11, v2, vcc_lo
	v_cmp_eq_u32_e32 vcc_lo, v5, v0
	global_load_b64 v[3:4], v[1:2], off
	s_waitcnt vmcnt(0)
	v_dual_sub_f32 v3, v7, v3 :: v_dual_sub_f32 v4, v6, v4
	global_store_b64 v[1:2], v[3:4], off
	s_and_b32 exec_lo, exec_lo, vcc_lo
	s_cbranch_execz .LBB321_15
; %bb.14:
	v_mov_b32_e32 v0, 0
	global_store_b32 v[1:2], v0, off offset:4
.LBB321_15:
	s_nop 0
	s_sendmsg sendmsg(MSG_DEALLOC_VGPRS)
	s_endpgm
	.section	.rodata,"a",@progbits
	.p2align	6, 0x0
	.amdhsa_kernel _ZL37rocblas_syrkx_herkx_restricted_kernelIi19rocblas_complex_numIfELi16ELi32ELi8ELi1ELin1ELb1ELc78ELc85EKS1_S1_EviT_PT9_S3_lS5_S3_lPT10_S3_li
		.amdhsa_group_segment_fixed_size 4096
		.amdhsa_private_segment_fixed_size 0
		.amdhsa_kernarg_size 84
		.amdhsa_user_sgpr_count 13
		.amdhsa_user_sgpr_dispatch_ptr 0
		.amdhsa_user_sgpr_queue_ptr 0
		.amdhsa_user_sgpr_kernarg_segment_ptr 1
		.amdhsa_user_sgpr_dispatch_id 0
		.amdhsa_user_sgpr_private_segment_size 0
		.amdhsa_wavefront_size32 1
		.amdhsa_uses_dynamic_stack 0
		.amdhsa_enable_private_segment 0
		.amdhsa_system_sgpr_workgroup_id_x 1
		.amdhsa_system_sgpr_workgroup_id_y 1
		.amdhsa_system_sgpr_workgroup_id_z 1
		.amdhsa_system_sgpr_workgroup_info 0
		.amdhsa_system_vgpr_workitem_id 1
		.amdhsa_next_free_vgpr 92
		.amdhsa_next_free_sgpr 23
		.amdhsa_reserve_vcc 1
		.amdhsa_float_round_mode_32 0
		.amdhsa_float_round_mode_16_64 0
		.amdhsa_float_denorm_mode_32 3
		.amdhsa_float_denorm_mode_16_64 3
		.amdhsa_dx10_clamp 1
		.amdhsa_ieee_mode 1
		.amdhsa_fp16_overflow 0
		.amdhsa_workgroup_processor_mode 1
		.amdhsa_memory_ordered 1
		.amdhsa_forward_progress 0
		.amdhsa_shared_vgpr_count 0
		.amdhsa_exception_fp_ieee_invalid_op 0
		.amdhsa_exception_fp_denorm_src 0
		.amdhsa_exception_fp_ieee_div_zero 0
		.amdhsa_exception_fp_ieee_overflow 0
		.amdhsa_exception_fp_ieee_underflow 0
		.amdhsa_exception_fp_ieee_inexact 0
		.amdhsa_exception_int_div_zero 0
	.end_amdhsa_kernel
	.section	.text._ZL37rocblas_syrkx_herkx_restricted_kernelIi19rocblas_complex_numIfELi16ELi32ELi8ELi1ELin1ELb1ELc78ELc85EKS1_S1_EviT_PT9_S3_lS5_S3_lPT10_S3_li,"axG",@progbits,_ZL37rocblas_syrkx_herkx_restricted_kernelIi19rocblas_complex_numIfELi16ELi32ELi8ELi1ELin1ELb1ELc78ELc85EKS1_S1_EviT_PT9_S3_lS5_S3_lPT10_S3_li,comdat
.Lfunc_end321:
	.size	_ZL37rocblas_syrkx_herkx_restricted_kernelIi19rocblas_complex_numIfELi16ELi32ELi8ELi1ELin1ELb1ELc78ELc85EKS1_S1_EviT_PT9_S3_lS5_S3_lPT10_S3_li, .Lfunc_end321-_ZL37rocblas_syrkx_herkx_restricted_kernelIi19rocblas_complex_numIfELi16ELi32ELi8ELi1ELin1ELb1ELc78ELc85EKS1_S1_EviT_PT9_S3_lS5_S3_lPT10_S3_li
                                        ; -- End function
	.section	.AMDGPU.csdata,"",@progbits
; Kernel info:
; codeLenInByte = 2268
; NumSgprs: 25
; NumVgprs: 92
; ScratchSize: 0
; MemoryBound: 0
; FloatMode: 240
; IeeeMode: 1
; LDSByteSize: 4096 bytes/workgroup (compile time only)
; SGPRBlocks: 3
; VGPRBlocks: 11
; NumSGPRsForWavesPerEU: 25
; NumVGPRsForWavesPerEU: 92
; Occupancy: 16
; WaveLimiterHint : 0
; COMPUTE_PGM_RSRC2:SCRATCH_EN: 0
; COMPUTE_PGM_RSRC2:USER_SGPR: 13
; COMPUTE_PGM_RSRC2:TRAP_HANDLER: 0
; COMPUTE_PGM_RSRC2:TGID_X_EN: 1
; COMPUTE_PGM_RSRC2:TGID_Y_EN: 1
; COMPUTE_PGM_RSRC2:TGID_Z_EN: 1
; COMPUTE_PGM_RSRC2:TIDIG_COMP_CNT: 1
	.section	.text._ZL37rocblas_syrkx_herkx_restricted_kernelIi19rocblas_complex_numIfELi16ELi32ELi8ELi1ELi0ELb1ELc84ELc76EKS1_S1_EviT_PT9_S3_lS5_S3_lPT10_S3_li,"axG",@progbits,_ZL37rocblas_syrkx_herkx_restricted_kernelIi19rocblas_complex_numIfELi16ELi32ELi8ELi1ELi0ELb1ELc84ELc76EKS1_S1_EviT_PT9_S3_lS5_S3_lPT10_S3_li,comdat
	.globl	_ZL37rocblas_syrkx_herkx_restricted_kernelIi19rocblas_complex_numIfELi16ELi32ELi8ELi1ELi0ELb1ELc84ELc76EKS1_S1_EviT_PT9_S3_lS5_S3_lPT10_S3_li ; -- Begin function _ZL37rocblas_syrkx_herkx_restricted_kernelIi19rocblas_complex_numIfELi16ELi32ELi8ELi1ELi0ELb1ELc84ELc76EKS1_S1_EviT_PT9_S3_lS5_S3_lPT10_S3_li
	.p2align	8
	.type	_ZL37rocblas_syrkx_herkx_restricted_kernelIi19rocblas_complex_numIfELi16ELi32ELi8ELi1ELi0ELb1ELc84ELc76EKS1_S1_EviT_PT9_S3_lS5_S3_lPT10_S3_li,@function
_ZL37rocblas_syrkx_herkx_restricted_kernelIi19rocblas_complex_numIfELi16ELi32ELi8ELi1ELi0ELb1ELc84ELc76EKS1_S1_EviT_PT9_S3_lS5_S3_lPT10_S3_li: ; @_ZL37rocblas_syrkx_herkx_restricted_kernelIi19rocblas_complex_numIfELi16ELi32ELi8ELi1ELi0ELb1ELc84ELc76EKS1_S1_EviT_PT9_S3_lS5_S3_lPT10_S3_li
; %bb.0:
	s_clause 0x1
	s_load_b64 s[2:3], s[0:1], 0x0
	s_load_b128 s[4:7], s[0:1], 0x30
	v_dual_mov_b32 v4, 0 :: v_dual_and_b32 v9, 0x3ff, v0
	v_bfe_u32 v10, v0, 10, 10
	v_dual_mov_b32 v16, 0 :: v_dual_mov_b32 v3, 0
	v_dual_mov_b32 v13, 0 :: v_dual_mov_b32 v2, 0
	;; [unrolled: 1-line block ×3, first 2 shown]
	v_mov_b32_e32 v1, 0
	s_lshl_b32 s12, s13, 5
	s_lshl_b32 s13, s14, 5
	s_mov_b32 s14, 0
	s_waitcnt lgkmcnt(0)
	s_cmp_lt_i32 s3, 1
	s_cbranch_scc1 .LBB322_3
; %bb.1:
	s_clause 0x3
	s_load_b32 s18, s[0:1], 0x10
	s_load_b128 s[8:11], s[0:1], 0x18
	s_load_b64 s[16:17], s[0:1], 0x8
	s_load_b32 s19, s[0:1], 0x28
	v_lshl_add_u32 v2, v10, 4, v9
	v_dual_mov_b32 v1, 0 :: v_dual_and_b32 v0, 7, v9
	v_lshlrev_b32_e32 v12, 3, v9
	s_mul_i32 s5, s5, s15
	s_delay_alu instid0(VALU_DEP_3)
	v_lshrrev_b32_e32 v4, 3, v2
	v_and_b32_e32 v5, 31, v2
	v_lshlrev_b32_e32 v3, 3, v0
	v_lshrrev_b32_e32 v2, 5, v2
	v_mov_b32_e32 v13, v1
	v_dual_mov_b32 v16, v1 :: v_dual_add_nc_u32 v11, s13, v4
	s_delay_alu instid0(VALU_DEP_4) | instskip(SKIP_3) | instid1(VALU_DEP_4)
	v_lshl_or_b32 v7, v4, 6, v3
	v_dual_mov_b32 v3, v1 :: v_dual_add_nc_u32 v8, s12, v5
	v_lshlrev_b32_e32 v6, 3, v5
	v_lshl_add_u32 v17, v10, 6, 0x800
	v_add_nc_u32_e32 v15, 0x800, v7
	s_waitcnt lgkmcnt(0)
	s_mul_i32 s9, s9, s15
	v_mad_i64_i32 v[4:5], null, s18, v8, v[2:3]
	v_lshl_or_b32 v14, v2, 8, v6
	s_mul_hi_u32 s18, s8, s15
	v_mad_i64_i32 v[2:3], null, s19, v11, v[0:1]
	s_mul_i32 s8, s8, s15
	s_add_i32 s9, s18, s9
	s_delay_alu instid0(VALU_DEP_3)
	v_lshlrev_b64 v[4:5], 3, v[4:5]
	s_lshl_b64 s[8:9], s[8:9], 3
	v_mov_b32_e32 v11, v1
	s_add_u32 s8, s16, s8
	s_mul_hi_u32 s16, s4, s15
	s_addc_u32 s9, s17, s9
	s_add_i32 s5, s16, s5
	s_mul_i32 s4, s4, s15
	v_lshlrev_b64 v[2:3], 3, v[2:3]
	s_lshl_b64 s[4:5], s[4:5], 3
	v_add_co_u32 v0, vcc_lo, s8, v4
	s_add_u32 s4, s10, s4
	v_add_co_ci_u32_e32 v4, vcc_lo, s9, v5, vcc_lo
	s_addc_u32 s5, s11, s5
	v_add_co_u32 v2, vcc_lo, s4, v2
	v_add_co_ci_u32_e32 v3, vcc_lo, s5, v3, vcc_lo
	v_add_co_u32 v5, vcc_lo, v0, 4
	v_add_co_ci_u32_e32 v6, vcc_lo, 0, v4, vcc_lo
	v_mov_b32_e32 v4, v1
	v_add_co_u32 v7, vcc_lo, v2, 4
	v_add_co_ci_u32_e32 v8, vcc_lo, 0, v3, vcc_lo
	v_mov_b32_e32 v0, v1
	v_mov_b32_e32 v2, v1
	;; [unrolled: 1-line block ×3, first 2 shown]
.LBB322_2:                              ; =>This Inner Loop Header: Depth=1
	global_load_b64 v[18:19], v[5:6], off offset:-4
	global_load_b64 v[20:21], v[7:8], off offset:-4
	v_add_co_u32 v5, vcc_lo, v5, 64
	v_add_co_ci_u32_e32 v6, vcc_lo, 0, v6, vcc_lo
	v_add_co_u32 v7, vcc_lo, v7, 64
	v_add_co_ci_u32_e32 v8, vcc_lo, 0, v8, vcc_lo
	s_add_i32 s14, s14, 8
	s_waitcnt vmcnt(1)
	ds_store_b64 v14, v[18:19]
	s_waitcnt vmcnt(0)
	ds_store_b64 v15, v[20:21]
	s_waitcnt lgkmcnt(0)
	s_barrier
	buffer_gl0_inv
	ds_load_2addr_b64 v[18:21], v12 offset1:16
	ds_load_b128 v[22:25], v17
	ds_load_b128 v[26:29], v17 offset:1024
	ds_load_2addr_b64 v[30:33], v12 offset0:32 offset1:48
	ds_load_b128 v[34:37], v17 offset:16
	ds_load_b128 v[38:41], v17 offset:32
	ds_load_b128 v[42:45], v17 offset:48
	ds_load_2addr_b64 v[46:49], v12 offset0:64 offset1:80
	ds_load_b128 v[50:53], v17 offset:1040
	ds_load_2addr_b64 v[54:57], v12 offset0:96 offset1:112
	ds_load_2addr_b64 v[58:61], v12 offset0:128 offset1:144
	;; [unrolled: 1-line block ×4, first 2 shown]
	ds_load_b128 v[70:73], v17 offset:1056
	ds_load_b128 v[74:77], v17 offset:1072
	s_cmp_ge_i32 s14, s3
	s_waitcnt lgkmcnt(13)
	v_dual_mul_f32 v78, v23, v19 :: v_dual_mul_f32 v81, v22, v21
	s_waitcnt lgkmcnt(11)
	v_dual_mul_f32 v83, v26, v19 :: v_dual_mul_f32 v86, v25, v33
	v_mul_f32_e32 v84, v26, v21
	v_dual_mul_f32 v79, v22, v19 :: v_dual_mul_f32 v80, v23, v21
	v_mul_f32_e32 v82, v27, v19
	v_mul_f32_e32 v19, v27, v21
	;; [unrolled: 1-line block ×3, first 2 shown]
	v_dual_mul_f32 v85, v24, v31 :: v_dual_fmac_f32 v84, v27, v20
	v_fmac_f32_e32 v83, v27, v18
	v_mul_f32_e32 v27, v24, v33
	v_fma_f32 v78, v22, v18, -v78
	v_fmac_f32_e32 v79, v23, v18
	v_fmac_f32_e32 v81, v23, v20
	v_fma_f32 v23, v26, v18, -v82
	v_mul_f32_e32 v18, v29, v31
	v_fma_f32 v26, v26, v20, -v19
	v_mul_f32_e32 v31, v28, v31
	v_mul_f32_e32 v19, v29, v33
	v_fmac_f32_e32 v85, v25, v30
	v_fmac_f32_e32 v27, v25, v32
	v_mul_f32_e32 v25, v28, v33
	v_fma_f32 v22, v22, v20, -v80
	v_fma_f32 v80, v24, v30, -v21
	;; [unrolled: 1-line block ×3, first 2 shown]
	s_waitcnt lgkmcnt(7)
	v_mul_f32_e32 v20, v35, v47
	v_mul_f32_e32 v33, v34, v47
	;; [unrolled: 1-line block ×3, first 2 shown]
	v_fma_f32 v82, v28, v30, -v18
	v_fmac_f32_e32 v31, v29, v30
	v_fma_f32 v28, v28, v32, -v19
	v_fmac_f32_e32 v25, v29, v32
	s_waitcnt lgkmcnt(6)
	v_dual_mul_f32 v29, v34, v49 :: v_dual_mul_f32 v18, v51, v47
	v_dual_mul_f32 v30, v50, v47 :: v_dual_mul_f32 v19, v51, v49
	s_waitcnt lgkmcnt(5)
	v_dual_mul_f32 v32, v50, v49 :: v_dual_mul_f32 v49, v36, v55
	v_fma_f32 v87, v34, v46, -v20
	v_fmac_f32_e32 v33, v35, v46
	v_fmac_f32_e32 v29, v35, v48
	v_fma_f32 v35, v50, v46, -v18
	v_fmac_f32_e32 v30, v51, v46
	v_fma_f32 v46, v50, v48, -v19
	v_fmac_f32_e32 v32, v51, v48
	v_mul_f32_e32 v18, v53, v55
	v_fma_f32 v34, v34, v48, -v21
	v_dual_mul_f32 v48, v36, v57 :: v_dual_mul_f32 v47, v37, v55
	v_mul_f32_e32 v86, v37, v57
	v_dual_mul_f32 v50, v52, v55 :: v_dual_mul_f32 v19, v53, v57
	v_fmac_f32_e32 v49, v37, v54
	s_delay_alu instid0(VALU_DEP_4)
	v_dual_fmac_f32 v48, v37, v56 :: v_dual_mul_f32 v37, v52, v57
	v_fma_f32 v47, v36, v54, -v47
	v_fma_f32 v36, v36, v56, -v86
	s_waitcnt lgkmcnt(4)
	v_mul_f32_e32 v20, v39, v59
	v_mul_f32_e32 v51, v38, v59
	;; [unrolled: 1-line block ×3, first 2 shown]
	v_fma_f32 v55, v52, v54, -v18
	v_fmac_f32_e32 v50, v53, v54
	v_fmac_f32_e32 v37, v53, v56
	s_waitcnt lgkmcnt(1)
	v_dual_mul_f32 v53, v38, v61 :: v_dual_mul_f32 v18, v71, v59
	v_fma_f32 v52, v52, v56, -v19
	v_dual_mul_f32 v54, v70, v59 :: v_dual_mul_f32 v19, v71, v61
	v_dual_mul_f32 v56, v70, v61 :: v_dual_mul_f32 v57, v41, v63
	v_mul_f32_e32 v59, v40, v63
	v_dual_mul_f32 v61, v41, v65 :: v_dual_add_f32 v4, v4, v78
	v_fma_f32 v86, v38, v58, -v20
	v_fmac_f32_e32 v51, v39, v58
	v_fma_f32 v38, v38, v60, -v21
	v_dual_fmac_f32 v53, v39, v60 :: v_dual_add_f32 v16, v16, v79
	v_fma_f32 v39, v70, v58, -v18
	v_fmac_f32_e32 v54, v71, v58
	v_fma_f32 v58, v70, v60, -v19
	v_fmac_f32_e32 v56, v71, v60
	v_mul_f32_e32 v60, v40, v65
	v_dual_mul_f32 v19, v73, v65 :: v_dual_add_f32 v2, v2, v23
	v_mul_f32_e32 v18, v73, v63
	v_mul_f32_e32 v63, v72, v63
	v_fma_f32 v57, v40, v62, -v57
	v_dual_fmac_f32 v59, v41, v62 :: v_dual_add_f32 v4, v4, v80
	v_fma_f32 v40, v40, v64, -v61
	v_dual_fmac_f32 v60, v41, v64 :: v_dual_mul_f32 v61, v42, v67
	v_add_f32_e32 v0, v0, v26
	v_dual_add_f32 v2, v2, v82 :: v_dual_mul_f32 v41, v72, v65
	v_mul_f32_e32 v20, v43, v67
	s_delay_alu instid0(VALU_DEP_3)
	v_dual_mul_f32 v21, v43, v69 :: v_dual_add_f32 v0, v0, v28
	v_fma_f32 v65, v72, v62, -v18
	v_dual_fmac_f32 v63, v73, v62 :: v_dual_add_f32 v16, v16, v85
	v_fma_f32 v62, v72, v64, -v19
	s_waitcnt lgkmcnt(0)
	v_mul_f32_e32 v18, v75, v67
	v_mul_f32_e32 v67, v74, v67
	v_dual_mul_f32 v19, v75, v69 :: v_dual_add_f32 v0, v0, v46
	v_dual_add_f32 v2, v2, v35 :: v_dual_fmac_f32 v41, v73, v64
	v_add_f32_e32 v4, v4, v87
	v_mul_f32_e32 v64, v42, v69
	v_fma_f32 v70, v42, v66, -v20
	v_fma_f32 v42, v42, v68, -v21
	v_dual_add_f32 v16, v16, v33 :: v_dual_fmac_f32 v61, v43, v66
	s_delay_alu instid0(VALU_DEP_4)
	v_fmac_f32_e32 v64, v43, v68
	v_fma_f32 v43, v74, v66, -v18
	v_dual_fmac_f32 v67, v75, v66 :: v_dual_add_f32 v2, v2, v55
	v_fma_f32 v66, v74, v68, -v19
	ds_load_2addr_b64 v[18:21], v12 offset0:224 offset1:240
	v_dual_mul_f32 v69, v74, v69 :: v_dual_add_f32 v4, v4, v47
	v_dual_add_f32 v3, v3, v22 :: v_dual_add_f32 v2, v2, v39
	s_delay_alu instid0(VALU_DEP_2) | instskip(NEXT) | instid1(VALU_DEP_3)
	v_dual_add_f32 v16, v16, v49 :: v_dual_fmac_f32 v69, v75, v68
	v_add_f32_e32 v4, v4, v86
	v_add_f32_e32 v0, v0, v52
	s_delay_alu instid0(VALU_DEP_4)
	v_add_f32_e32 v2, v2, v65
	s_waitcnt lgkmcnt(0)
	s_barrier
	v_add_f32_e32 v4, v4, v57
	v_add_f32_e32 v0, v0, v58
	v_dual_add_f32 v2, v2, v43 :: v_dual_add_f32 v13, v13, v81
	s_delay_alu instid0(VALU_DEP_3) | instskip(NEXT) | instid1(VALU_DEP_3)
	v_dual_add_f32 v11, v11, v83 :: v_dual_add_f32 v4, v4, v70
	v_dual_add_f32 v0, v0, v62 :: v_dual_add_f32 v3, v3, v24
	v_mul_f32_e32 v68, v45, v19
	v_dual_mul_f32 v72, v45, v21 :: v_dual_mul_f32 v71, v44, v19
	s_delay_alu instid0(VALU_DEP_3) | instskip(NEXT) | instid1(VALU_DEP_4)
	v_add_f32_e32 v0, v0, v66
	v_add_f32_e32 v3, v3, v34
	s_delay_alu instid0(VALU_DEP_4) | instskip(NEXT) | instid1(VALU_DEP_4)
	v_fma_f32 v68, v44, v18, -v68
	v_fma_f32 v72, v44, v20, -v72
	v_dual_mul_f32 v44, v44, v21 :: v_dual_fmac_f32 v71, v45, v18
	v_dual_mul_f32 v73, v77, v21 :: v_dual_add_f32 v16, v16, v51
	s_delay_alu instid0(VALU_DEP_2) | instskip(SKIP_2) | instid1(VALU_DEP_3)
	v_dual_mul_f32 v21, v76, v21 :: v_dual_fmac_f32 v44, v45, v20
	v_mul_f32_e32 v45, v77, v19
	v_dual_add_f32 v13, v13, v27 :: v_dual_add_f32 v4, v4, v68
	v_dual_fmac_f32 v21, v77, v20 :: v_dual_add_f32 v16, v16, v59
	s_delay_alu instid0(VALU_DEP_3) | instskip(SKIP_4) | instid1(VALU_DEP_4)
	v_fma_f32 v45, v76, v18, -v45
	v_mul_f32_e32 v19, v76, v19
	v_add_f32_e32 v1, v1, v84
	v_add_f32_e32 v13, v13, v29
	;; [unrolled: 1-line block ×3, first 2 shown]
	v_dual_add_f32 v2, v2, v45 :: v_dual_fmac_f32 v19, v77, v18
	v_fma_f32 v18, v76, v20, -v73
	v_add_f32_e32 v11, v11, v31
	s_delay_alu instid0(VALU_DEP_4) | instskip(NEXT) | instid1(VALU_DEP_3)
	v_dual_add_f32 v1, v1, v25 :: v_dual_add_f32 v16, v16, v71
	v_dual_add_f32 v3, v3, v36 :: v_dual_add_f32 v0, v0, v18
	s_delay_alu instid0(VALU_DEP_3) | instskip(NEXT) | instid1(VALU_DEP_3)
	v_add_f32_e32 v11, v11, v30
	v_add_f32_e32 v1, v1, v32
	v_add_f32_e32 v13, v13, v48
	s_delay_alu instid0(VALU_DEP_4)
	v_add_f32_e32 v3, v3, v38
	buffer_gl0_inv
	v_add_f32_e32 v11, v11, v50
	v_add_f32_e32 v1, v1, v37
	;; [unrolled: 1-line block ×4, first 2 shown]
	s_delay_alu instid0(VALU_DEP_4) | instskip(NEXT) | instid1(VALU_DEP_4)
	v_add_f32_e32 v11, v11, v54
	v_add_f32_e32 v1, v1, v56
	s_delay_alu instid0(VALU_DEP_4) | instskip(NEXT) | instid1(VALU_DEP_4)
	v_add_f32_e32 v13, v13, v60
	v_add_f32_e32 v3, v3, v42
	;; [unrolled: 3-line block ×5, first 2 shown]
	s_delay_alu instid0(VALU_DEP_4) | instskip(NEXT) | instid1(VALU_DEP_3)
	v_add_f32_e32 v13, v13, v44
	v_add_f32_e32 v11, v11, v19
	s_delay_alu instid0(VALU_DEP_3)
	v_add_f32_e32 v1, v1, v21
	s_cbranch_scc0 .LBB322_2
.LBB322_3:
	s_clause 0x1
	s_load_b32 s3, s[0:1], 0x40
	s_load_b64 s[4:5], s[0:1], 0x48
	v_add_nc_u32_e32 v10, s13, v10
	v_add_nc_u32_e32 v6, s12, v9
	s_delay_alu instid0(VALU_DEP_1)
	v_cmp_le_i32_e64 s0, v10, v6
	v_cmp_gt_i32_e32 vcc_lo, s2, v6
	s_waitcnt lgkmcnt(0)
	v_mad_i64_i32 v[7:8], null, v10, s3, 0
	s_mul_i32 s1, s15, s5
	s_mul_hi_u32 s5, s15, s4
	s_mul_i32 s4, s15, s4
	s_add_i32 s5, s5, s1
	s_delay_alu instid0(SALU_CYCLE_1) | instskip(NEXT) | instid1(VALU_DEP_1)
	s_lshl_b64 s[4:5], s[4:5], 3
	v_lshlrev_b64 v[7:8], 3, v[7:8]
	s_add_u32 s4, s6, s4
	s_addc_u32 s5, s7, s5
	s_and_b32 s0, s0, vcc_lo
	s_delay_alu instid0(VALU_DEP_1) | instskip(NEXT) | instid1(VALU_DEP_1)
	v_add_co_u32 v12, s1, s4, v7
	v_add_co_ci_u32_e64 v14, s1, s5, v8, s1
	s_and_saveexec_b32 s1, s0
	s_cbranch_execz .LBB322_5
; %bb.4:
	v_ashrrev_i32_e32 v7, 31, v6
	s_delay_alu instid0(VALU_DEP_1) | instskip(NEXT) | instid1(VALU_DEP_1)
	v_lshlrev_b64 v[7:8], 3, v[6:7]
	v_add_co_u32 v7, s0, v12, v7
	s_delay_alu instid0(VALU_DEP_1) | instskip(SKIP_1) | instid1(VALU_DEP_1)
	v_add_co_ci_u32_e64 v8, s0, v14, v8, s0
	v_cmp_ne_u32_e64 s0, v10, v6
	v_cndmask_b32_e64 v5, 0, v16, s0
	global_store_b64 v[7:8], v[4:5], off
.LBB322_5:
	s_or_b32 exec_lo, exec_lo, s1
	v_add_nc_u32_e32 v8, 16, v6
	s_delay_alu instid0(VALU_DEP_1) | instskip(SKIP_1) | instid1(VALU_DEP_1)
	v_cmp_le_i32_e64 s1, v10, v8
	v_cmp_gt_i32_e64 s0, s2, v8
	s_and_b32 s1, s1, s0
	s_delay_alu instid0(SALU_CYCLE_1)
	s_and_saveexec_b32 s2, s1
	s_cbranch_execz .LBB322_7
; %bb.6:
	v_ashrrev_i32_e32 v9, 31, v8
	s_delay_alu instid0(VALU_DEP_1) | instskip(NEXT) | instid1(VALU_DEP_1)
	v_lshlrev_b64 v[4:5], 3, v[8:9]
	v_add_co_u32 v15, s1, v12, v4
	s_delay_alu instid0(VALU_DEP_1) | instskip(SKIP_1) | instid1(VALU_DEP_1)
	v_add_co_ci_u32_e64 v16, s1, v14, v5, s1
	v_cmp_ne_u32_e64 s1, v10, v8
	v_cndmask_b32_e64 v4, 0, v13, s1
	global_store_b64 v[15:16], v[3:4], off
.LBB322_7:
	s_or_b32 exec_lo, exec_lo, s2
	v_add_nc_u32_e32 v9, 16, v10
	s_delay_alu instid0(VALU_DEP_1) | instskip(SKIP_1) | instid1(VALU_DEP_2)
	v_mad_i64_i32 v[3:4], null, v9, s3, 0
	v_cmp_le_i32_e64 s1, v9, v6
	v_lshlrev_b64 v[4:5], 3, v[3:4]
	s_delay_alu instid0(VALU_DEP_1) | instskip(NEXT) | instid1(VALU_DEP_1)
	v_add_co_u32 v4, s2, s4, v4
	v_add_co_ci_u32_e64 v5, s2, s5, v5, s2
	s_delay_alu instid0(VALU_DEP_4) | instskip(NEXT) | instid1(SALU_CYCLE_1)
	s_and_b32 s2, s1, vcc_lo
	s_and_saveexec_b32 s1, s2
	s_cbranch_execz .LBB322_9
; %bb.8:
	v_ashrrev_i32_e32 v7, 31, v6
	s_delay_alu instid0(VALU_DEP_1) | instskip(NEXT) | instid1(VALU_DEP_1)
	v_lshlrev_b64 v[12:13], 3, v[6:7]
	v_add_co_u32 v12, vcc_lo, v4, v12
	s_delay_alu instid0(VALU_DEP_2)
	v_add_co_ci_u32_e32 v13, vcc_lo, v5, v13, vcc_lo
	v_cmp_ne_u32_e32 vcc_lo, v9, v6
	v_cndmask_b32_e32 v3, 0, v11, vcc_lo
	global_store_b64 v[12:13], v[2:3], off
.LBB322_9:
	s_or_b32 exec_lo, exec_lo, s1
	v_cmp_le_i32_e32 vcc_lo, v9, v8
	s_and_b32 s0, vcc_lo, s0
	s_delay_alu instid0(SALU_CYCLE_1)
	s_and_saveexec_b32 s1, s0
	s_cbranch_execz .LBB322_11
; %bb.10:
	v_ashrrev_i32_e32 v9, 31, v8
	s_delay_alu instid0(VALU_DEP_1) | instskip(NEXT) | instid1(VALU_DEP_1)
	v_lshlrev_b64 v[2:3], 3, v[8:9]
	v_add_co_u32 v2, vcc_lo, v4, v2
	s_delay_alu instid0(VALU_DEP_2)
	v_add_co_ci_u32_e32 v3, vcc_lo, v5, v3, vcc_lo
	v_cmp_ne_u32_e32 vcc_lo, v10, v6
	v_cndmask_b32_e32 v1, 0, v1, vcc_lo
	global_store_b64 v[2:3], v[0:1], off
.LBB322_11:
	s_nop 0
	s_sendmsg sendmsg(MSG_DEALLOC_VGPRS)
	s_endpgm
	.section	.rodata,"a",@progbits
	.p2align	6, 0x0
	.amdhsa_kernel _ZL37rocblas_syrkx_herkx_restricted_kernelIi19rocblas_complex_numIfELi16ELi32ELi8ELi1ELi0ELb1ELc84ELc76EKS1_S1_EviT_PT9_S3_lS5_S3_lPT10_S3_li
		.amdhsa_group_segment_fixed_size 4096
		.amdhsa_private_segment_fixed_size 0
		.amdhsa_kernarg_size 84
		.amdhsa_user_sgpr_count 13
		.amdhsa_user_sgpr_dispatch_ptr 0
		.amdhsa_user_sgpr_queue_ptr 0
		.amdhsa_user_sgpr_kernarg_segment_ptr 1
		.amdhsa_user_sgpr_dispatch_id 0
		.amdhsa_user_sgpr_private_segment_size 0
		.amdhsa_wavefront_size32 1
		.amdhsa_uses_dynamic_stack 0
		.amdhsa_enable_private_segment 0
		.amdhsa_system_sgpr_workgroup_id_x 1
		.amdhsa_system_sgpr_workgroup_id_y 1
		.amdhsa_system_sgpr_workgroup_id_z 1
		.amdhsa_system_sgpr_workgroup_info 0
		.amdhsa_system_vgpr_workitem_id 1
		.amdhsa_next_free_vgpr 88
		.amdhsa_next_free_sgpr 20
		.amdhsa_reserve_vcc 1
		.amdhsa_float_round_mode_32 0
		.amdhsa_float_round_mode_16_64 0
		.amdhsa_float_denorm_mode_32 3
		.amdhsa_float_denorm_mode_16_64 3
		.amdhsa_dx10_clamp 1
		.amdhsa_ieee_mode 1
		.amdhsa_fp16_overflow 0
		.amdhsa_workgroup_processor_mode 1
		.amdhsa_memory_ordered 1
		.amdhsa_forward_progress 0
		.amdhsa_shared_vgpr_count 0
		.amdhsa_exception_fp_ieee_invalid_op 0
		.amdhsa_exception_fp_denorm_src 0
		.amdhsa_exception_fp_ieee_div_zero 0
		.amdhsa_exception_fp_ieee_overflow 0
		.amdhsa_exception_fp_ieee_underflow 0
		.amdhsa_exception_fp_ieee_inexact 0
		.amdhsa_exception_int_div_zero 0
	.end_amdhsa_kernel
	.section	.text._ZL37rocblas_syrkx_herkx_restricted_kernelIi19rocblas_complex_numIfELi16ELi32ELi8ELi1ELi0ELb1ELc84ELc76EKS1_S1_EviT_PT9_S3_lS5_S3_lPT10_S3_li,"axG",@progbits,_ZL37rocblas_syrkx_herkx_restricted_kernelIi19rocblas_complex_numIfELi16ELi32ELi8ELi1ELi0ELb1ELc84ELc76EKS1_S1_EviT_PT9_S3_lS5_S3_lPT10_S3_li,comdat
.Lfunc_end322:
	.size	_ZL37rocblas_syrkx_herkx_restricted_kernelIi19rocblas_complex_numIfELi16ELi32ELi8ELi1ELi0ELb1ELc84ELc76EKS1_S1_EviT_PT9_S3_lS5_S3_lPT10_S3_li, .Lfunc_end322-_ZL37rocblas_syrkx_herkx_restricted_kernelIi19rocblas_complex_numIfELi16ELi32ELi8ELi1ELi0ELb1ELc84ELc76EKS1_S1_EviT_PT9_S3_lS5_S3_lPT10_S3_li
                                        ; -- End function
	.section	.AMDGPU.csdata,"",@progbits
; Kernel info:
; codeLenInByte = 2136
; NumSgprs: 22
; NumVgprs: 88
; ScratchSize: 0
; MemoryBound: 0
; FloatMode: 240
; IeeeMode: 1
; LDSByteSize: 4096 bytes/workgroup (compile time only)
; SGPRBlocks: 2
; VGPRBlocks: 10
; NumSGPRsForWavesPerEU: 22
; NumVGPRsForWavesPerEU: 88
; Occupancy: 16
; WaveLimiterHint : 0
; COMPUTE_PGM_RSRC2:SCRATCH_EN: 0
; COMPUTE_PGM_RSRC2:USER_SGPR: 13
; COMPUTE_PGM_RSRC2:TRAP_HANDLER: 0
; COMPUTE_PGM_RSRC2:TGID_X_EN: 1
; COMPUTE_PGM_RSRC2:TGID_Y_EN: 1
; COMPUTE_PGM_RSRC2:TGID_Z_EN: 1
; COMPUTE_PGM_RSRC2:TIDIG_COMP_CNT: 1
	.section	.text._ZL37rocblas_syrkx_herkx_restricted_kernelIi19rocblas_complex_numIfELi16ELi32ELi8ELi1ELi0ELb1ELc67ELc76EKS1_S1_EviT_PT9_S3_lS5_S3_lPT10_S3_li,"axG",@progbits,_ZL37rocblas_syrkx_herkx_restricted_kernelIi19rocblas_complex_numIfELi16ELi32ELi8ELi1ELi0ELb1ELc67ELc76EKS1_S1_EviT_PT9_S3_lS5_S3_lPT10_S3_li,comdat
	.globl	_ZL37rocblas_syrkx_herkx_restricted_kernelIi19rocblas_complex_numIfELi16ELi32ELi8ELi1ELi0ELb1ELc67ELc76EKS1_S1_EviT_PT9_S3_lS5_S3_lPT10_S3_li ; -- Begin function _ZL37rocblas_syrkx_herkx_restricted_kernelIi19rocblas_complex_numIfELi16ELi32ELi8ELi1ELi0ELb1ELc67ELc76EKS1_S1_EviT_PT9_S3_lS5_S3_lPT10_S3_li
	.p2align	8
	.type	_ZL37rocblas_syrkx_herkx_restricted_kernelIi19rocblas_complex_numIfELi16ELi32ELi8ELi1ELi0ELb1ELc67ELc76EKS1_S1_EviT_PT9_S3_lS5_S3_lPT10_S3_li,@function
_ZL37rocblas_syrkx_herkx_restricted_kernelIi19rocblas_complex_numIfELi16ELi32ELi8ELi1ELi0ELb1ELc67ELc76EKS1_S1_EviT_PT9_S3_lS5_S3_lPT10_S3_li: ; @_ZL37rocblas_syrkx_herkx_restricted_kernelIi19rocblas_complex_numIfELi16ELi32ELi8ELi1ELi0ELb1ELc67ELc76EKS1_S1_EviT_PT9_S3_lS5_S3_lPT10_S3_li
; %bb.0:
	s_clause 0x1
	s_load_b64 s[2:3], s[0:1], 0x0
	s_load_b128 s[4:7], s[0:1], 0x30
	v_dual_mov_b32 v4, 0 :: v_dual_and_b32 v9, 0x3ff, v0
	v_bfe_u32 v10, v0, 10, 10
	v_dual_mov_b32 v16, 0 :: v_dual_mov_b32 v3, 0
	v_dual_mov_b32 v13, 0 :: v_dual_mov_b32 v2, 0
	;; [unrolled: 1-line block ×3, first 2 shown]
	v_mov_b32_e32 v1, 0
	s_lshl_b32 s12, s13, 5
	s_lshl_b32 s13, s14, 5
	s_mov_b32 s14, 0
	s_waitcnt lgkmcnt(0)
	s_cmp_lt_i32 s3, 1
	s_cbranch_scc1 .LBB323_3
; %bb.1:
	s_clause 0x3
	s_load_b32 s18, s[0:1], 0x10
	s_load_b128 s[8:11], s[0:1], 0x18
	s_load_b64 s[16:17], s[0:1], 0x8
	s_load_b32 s19, s[0:1], 0x28
	v_lshl_add_u32 v2, v10, 4, v9
	v_dual_mov_b32 v1, 0 :: v_dual_and_b32 v0, 7, v9
	v_lshlrev_b32_e32 v12, 3, v9
	s_mul_i32 s5, s5, s15
	s_delay_alu instid0(VALU_DEP_3)
	v_lshrrev_b32_e32 v4, 3, v2
	v_and_b32_e32 v5, 31, v2
	v_lshlrev_b32_e32 v3, 3, v0
	v_lshrrev_b32_e32 v2, 5, v2
	v_mov_b32_e32 v13, v1
	v_dual_mov_b32 v16, v1 :: v_dual_add_nc_u32 v11, s13, v4
	s_delay_alu instid0(VALU_DEP_4) | instskip(SKIP_3) | instid1(VALU_DEP_4)
	v_lshl_or_b32 v7, v4, 6, v3
	v_dual_mov_b32 v3, v1 :: v_dual_add_nc_u32 v8, s12, v5
	v_lshlrev_b32_e32 v6, 3, v5
	v_lshl_add_u32 v17, v10, 6, 0x800
	v_add_nc_u32_e32 v15, 0x800, v7
	s_waitcnt lgkmcnt(0)
	s_mul_i32 s9, s9, s15
	v_mad_i64_i32 v[4:5], null, s18, v8, v[2:3]
	v_lshl_or_b32 v14, v2, 8, v6
	s_mul_hi_u32 s18, s8, s15
	v_mad_i64_i32 v[2:3], null, s19, v11, v[0:1]
	s_mul_i32 s8, s8, s15
	s_add_i32 s9, s18, s9
	s_delay_alu instid0(VALU_DEP_3)
	v_lshlrev_b64 v[4:5], 3, v[4:5]
	s_lshl_b64 s[8:9], s[8:9], 3
	v_mov_b32_e32 v11, v1
	s_add_u32 s8, s16, s8
	s_mul_hi_u32 s16, s4, s15
	s_addc_u32 s9, s17, s9
	s_add_i32 s5, s16, s5
	s_mul_i32 s4, s4, s15
	v_lshlrev_b64 v[2:3], 3, v[2:3]
	s_lshl_b64 s[4:5], s[4:5], 3
	v_add_co_u32 v0, vcc_lo, s8, v4
	s_add_u32 s4, s10, s4
	v_add_co_ci_u32_e32 v4, vcc_lo, s9, v5, vcc_lo
	s_addc_u32 s5, s11, s5
	v_add_co_u32 v2, vcc_lo, s4, v2
	v_add_co_ci_u32_e32 v3, vcc_lo, s5, v3, vcc_lo
	v_add_co_u32 v5, vcc_lo, v0, 4
	v_add_co_ci_u32_e32 v6, vcc_lo, 0, v4, vcc_lo
	v_mov_b32_e32 v4, v1
	v_add_co_u32 v7, vcc_lo, v2, 4
	v_add_co_ci_u32_e32 v8, vcc_lo, 0, v3, vcc_lo
	v_mov_b32_e32 v0, v1
	v_mov_b32_e32 v2, v1
	;; [unrolled: 1-line block ×3, first 2 shown]
.LBB323_2:                              ; =>This Inner Loop Header: Depth=1
	global_load_b64 v[18:19], v[5:6], off offset:-4
	global_load_b64 v[20:21], v[7:8], off offset:-4
	v_add_co_u32 v5, vcc_lo, v5, 64
	v_add_co_ci_u32_e32 v6, vcc_lo, 0, v6, vcc_lo
	v_add_co_u32 v7, vcc_lo, v7, 64
	v_add_co_ci_u32_e32 v8, vcc_lo, 0, v8, vcc_lo
	s_add_i32 s14, s14, 8
	s_delay_alu instid0(SALU_CYCLE_1)
	s_cmp_ge_i32 s14, s3
	s_waitcnt vmcnt(1)
	v_xor_b32_e32 v19, 0x80000000, v19
	ds_store_b64 v14, v[18:19]
	s_waitcnt vmcnt(0)
	ds_store_b64 v15, v[20:21]
	s_waitcnt lgkmcnt(0)
	s_barrier
	buffer_gl0_inv
	ds_load_2addr_b64 v[18:21], v12 offset1:16
	ds_load_b128 v[22:25], v17
	ds_load_b128 v[26:29], v17 offset:1024
	ds_load_2addr_b64 v[30:33], v12 offset0:32 offset1:48
	ds_load_b128 v[34:37], v17 offset:16
	ds_load_b128 v[38:41], v17 offset:32
	;; [unrolled: 1-line block ×3, first 2 shown]
	ds_load_2addr_b64 v[46:49], v12 offset0:64 offset1:80
	ds_load_b128 v[50:53], v17 offset:1040
	ds_load_2addr_b64 v[54:57], v12 offset0:96 offset1:112
	ds_load_2addr_b64 v[58:61], v12 offset0:128 offset1:144
	;; [unrolled: 1-line block ×4, first 2 shown]
	ds_load_b128 v[70:73], v17 offset:1056
	ds_load_b128 v[74:77], v17 offset:1072
	s_waitcnt lgkmcnt(13)
	v_dual_mul_f32 v78, v23, v19 :: v_dual_mul_f32 v81, v22, v21
	s_waitcnt lgkmcnt(11)
	v_dual_mul_f32 v83, v26, v19 :: v_dual_mul_f32 v86, v25, v33
	v_mul_f32_e32 v84, v26, v21
	v_dual_mul_f32 v79, v22, v19 :: v_dual_mul_f32 v80, v23, v21
	v_mul_f32_e32 v82, v27, v19
	v_mul_f32_e32 v19, v27, v21
	;; [unrolled: 1-line block ×3, first 2 shown]
	v_dual_mul_f32 v85, v24, v31 :: v_dual_fmac_f32 v84, v27, v20
	v_fmac_f32_e32 v83, v27, v18
	v_mul_f32_e32 v27, v24, v33
	v_fma_f32 v78, v22, v18, -v78
	v_fmac_f32_e32 v79, v23, v18
	v_fmac_f32_e32 v81, v23, v20
	v_fma_f32 v23, v26, v18, -v82
	v_mul_f32_e32 v18, v29, v31
	v_fma_f32 v26, v26, v20, -v19
	v_mul_f32_e32 v31, v28, v31
	v_mul_f32_e32 v19, v29, v33
	v_fmac_f32_e32 v85, v25, v30
	v_fmac_f32_e32 v27, v25, v32
	v_mul_f32_e32 v25, v28, v33
	v_fma_f32 v22, v22, v20, -v80
	v_fma_f32 v80, v24, v30, -v21
	;; [unrolled: 1-line block ×3, first 2 shown]
	s_waitcnt lgkmcnt(7)
	v_mul_f32_e32 v20, v35, v47
	v_mul_f32_e32 v33, v34, v47
	;; [unrolled: 1-line block ×3, first 2 shown]
	v_fma_f32 v82, v28, v30, -v18
	v_fmac_f32_e32 v31, v29, v30
	v_fma_f32 v28, v28, v32, -v19
	v_fmac_f32_e32 v25, v29, v32
	s_waitcnt lgkmcnt(6)
	v_dual_mul_f32 v29, v34, v49 :: v_dual_mul_f32 v18, v51, v47
	v_dual_mul_f32 v30, v50, v47 :: v_dual_mul_f32 v19, v51, v49
	s_waitcnt lgkmcnt(5)
	v_dual_mul_f32 v32, v50, v49 :: v_dual_mul_f32 v49, v36, v55
	v_fma_f32 v87, v34, v46, -v20
	v_fmac_f32_e32 v33, v35, v46
	v_fmac_f32_e32 v29, v35, v48
	v_fma_f32 v35, v50, v46, -v18
	v_fmac_f32_e32 v30, v51, v46
	v_fma_f32 v46, v50, v48, -v19
	v_fmac_f32_e32 v32, v51, v48
	v_mul_f32_e32 v18, v53, v55
	v_fma_f32 v34, v34, v48, -v21
	v_dual_mul_f32 v48, v36, v57 :: v_dual_mul_f32 v47, v37, v55
	v_mul_f32_e32 v86, v37, v57
	v_dual_mul_f32 v50, v52, v55 :: v_dual_mul_f32 v19, v53, v57
	v_fmac_f32_e32 v49, v37, v54
	s_delay_alu instid0(VALU_DEP_4)
	v_dual_fmac_f32 v48, v37, v56 :: v_dual_mul_f32 v37, v52, v57
	v_fma_f32 v47, v36, v54, -v47
	v_fma_f32 v36, v36, v56, -v86
	s_waitcnt lgkmcnt(4)
	v_mul_f32_e32 v20, v39, v59
	v_mul_f32_e32 v51, v38, v59
	;; [unrolled: 1-line block ×3, first 2 shown]
	v_fma_f32 v55, v52, v54, -v18
	v_fmac_f32_e32 v50, v53, v54
	v_fmac_f32_e32 v37, v53, v56
	s_waitcnt lgkmcnt(1)
	v_dual_mul_f32 v53, v38, v61 :: v_dual_mul_f32 v18, v71, v59
	v_fma_f32 v52, v52, v56, -v19
	v_dual_mul_f32 v54, v70, v59 :: v_dual_mul_f32 v19, v71, v61
	v_dual_mul_f32 v56, v70, v61 :: v_dual_mul_f32 v57, v41, v63
	v_mul_f32_e32 v59, v40, v63
	v_dual_mul_f32 v61, v41, v65 :: v_dual_add_f32 v4, v4, v78
	v_fma_f32 v86, v38, v58, -v20
	v_fmac_f32_e32 v51, v39, v58
	v_fma_f32 v38, v38, v60, -v21
	v_dual_fmac_f32 v53, v39, v60 :: v_dual_add_f32 v16, v16, v79
	v_fma_f32 v39, v70, v58, -v18
	v_fmac_f32_e32 v54, v71, v58
	v_fma_f32 v58, v70, v60, -v19
	v_fmac_f32_e32 v56, v71, v60
	v_mul_f32_e32 v60, v40, v65
	v_dual_mul_f32 v19, v73, v65 :: v_dual_add_f32 v2, v2, v23
	v_mul_f32_e32 v18, v73, v63
	v_mul_f32_e32 v63, v72, v63
	v_fma_f32 v57, v40, v62, -v57
	v_dual_fmac_f32 v59, v41, v62 :: v_dual_add_f32 v4, v4, v80
	v_fma_f32 v40, v40, v64, -v61
	v_dual_fmac_f32 v60, v41, v64 :: v_dual_mul_f32 v61, v42, v67
	v_add_f32_e32 v0, v0, v26
	v_dual_add_f32 v2, v2, v82 :: v_dual_mul_f32 v41, v72, v65
	v_mul_f32_e32 v20, v43, v67
	s_delay_alu instid0(VALU_DEP_3)
	v_dual_mul_f32 v21, v43, v69 :: v_dual_add_f32 v0, v0, v28
	v_fma_f32 v65, v72, v62, -v18
	v_dual_fmac_f32 v63, v73, v62 :: v_dual_add_f32 v16, v16, v85
	v_fma_f32 v62, v72, v64, -v19
	s_waitcnt lgkmcnt(0)
	v_mul_f32_e32 v18, v75, v67
	v_mul_f32_e32 v67, v74, v67
	v_dual_mul_f32 v19, v75, v69 :: v_dual_add_f32 v0, v0, v46
	v_dual_add_f32 v2, v2, v35 :: v_dual_fmac_f32 v41, v73, v64
	v_add_f32_e32 v4, v4, v87
	v_mul_f32_e32 v64, v42, v69
	v_fma_f32 v70, v42, v66, -v20
	v_fma_f32 v42, v42, v68, -v21
	v_dual_add_f32 v16, v16, v33 :: v_dual_fmac_f32 v61, v43, v66
	s_delay_alu instid0(VALU_DEP_4)
	v_fmac_f32_e32 v64, v43, v68
	v_fma_f32 v43, v74, v66, -v18
	v_dual_fmac_f32 v67, v75, v66 :: v_dual_add_f32 v2, v2, v55
	v_fma_f32 v66, v74, v68, -v19
	ds_load_2addr_b64 v[18:21], v12 offset0:224 offset1:240
	v_dual_mul_f32 v69, v74, v69 :: v_dual_add_f32 v4, v4, v47
	v_dual_add_f32 v3, v3, v22 :: v_dual_add_f32 v2, v2, v39
	s_delay_alu instid0(VALU_DEP_2) | instskip(NEXT) | instid1(VALU_DEP_3)
	v_dual_add_f32 v16, v16, v49 :: v_dual_fmac_f32 v69, v75, v68
	v_add_f32_e32 v4, v4, v86
	v_add_f32_e32 v0, v0, v52
	s_delay_alu instid0(VALU_DEP_4)
	v_add_f32_e32 v2, v2, v65
	s_waitcnt lgkmcnt(0)
	s_barrier
	v_add_f32_e32 v4, v4, v57
	v_add_f32_e32 v0, v0, v58
	v_dual_add_f32 v2, v2, v43 :: v_dual_add_f32 v13, v13, v81
	s_delay_alu instid0(VALU_DEP_3) | instskip(NEXT) | instid1(VALU_DEP_3)
	v_dual_add_f32 v11, v11, v83 :: v_dual_add_f32 v4, v4, v70
	v_dual_add_f32 v0, v0, v62 :: v_dual_add_f32 v3, v3, v24
	v_mul_f32_e32 v68, v45, v19
	v_dual_mul_f32 v72, v45, v21 :: v_dual_mul_f32 v71, v44, v19
	s_delay_alu instid0(VALU_DEP_3) | instskip(NEXT) | instid1(VALU_DEP_4)
	v_add_f32_e32 v0, v0, v66
	v_add_f32_e32 v3, v3, v34
	s_delay_alu instid0(VALU_DEP_4) | instskip(NEXT) | instid1(VALU_DEP_4)
	v_fma_f32 v68, v44, v18, -v68
	v_fma_f32 v72, v44, v20, -v72
	v_dual_mul_f32 v44, v44, v21 :: v_dual_fmac_f32 v71, v45, v18
	v_dual_mul_f32 v73, v77, v21 :: v_dual_add_f32 v16, v16, v51
	s_delay_alu instid0(VALU_DEP_2) | instskip(SKIP_2) | instid1(VALU_DEP_3)
	v_dual_mul_f32 v21, v76, v21 :: v_dual_fmac_f32 v44, v45, v20
	v_mul_f32_e32 v45, v77, v19
	v_dual_add_f32 v13, v13, v27 :: v_dual_add_f32 v4, v4, v68
	v_dual_fmac_f32 v21, v77, v20 :: v_dual_add_f32 v16, v16, v59
	s_delay_alu instid0(VALU_DEP_3) | instskip(SKIP_4) | instid1(VALU_DEP_4)
	v_fma_f32 v45, v76, v18, -v45
	v_mul_f32_e32 v19, v76, v19
	v_add_f32_e32 v1, v1, v84
	v_add_f32_e32 v13, v13, v29
	;; [unrolled: 1-line block ×3, first 2 shown]
	v_dual_add_f32 v2, v2, v45 :: v_dual_fmac_f32 v19, v77, v18
	v_fma_f32 v18, v76, v20, -v73
	v_add_f32_e32 v11, v11, v31
	s_delay_alu instid0(VALU_DEP_4) | instskip(NEXT) | instid1(VALU_DEP_3)
	v_dual_add_f32 v1, v1, v25 :: v_dual_add_f32 v16, v16, v71
	v_dual_add_f32 v3, v3, v36 :: v_dual_add_f32 v0, v0, v18
	s_delay_alu instid0(VALU_DEP_3) | instskip(NEXT) | instid1(VALU_DEP_3)
	v_add_f32_e32 v11, v11, v30
	v_add_f32_e32 v1, v1, v32
	;; [unrolled: 1-line block ×3, first 2 shown]
	s_delay_alu instid0(VALU_DEP_4)
	v_add_f32_e32 v3, v3, v38
	buffer_gl0_inv
	v_add_f32_e32 v11, v11, v50
	v_add_f32_e32 v1, v1, v37
	;; [unrolled: 1-line block ×4, first 2 shown]
	s_delay_alu instid0(VALU_DEP_4) | instskip(NEXT) | instid1(VALU_DEP_4)
	v_add_f32_e32 v11, v11, v54
	v_add_f32_e32 v1, v1, v56
	s_delay_alu instid0(VALU_DEP_4) | instskip(NEXT) | instid1(VALU_DEP_4)
	v_add_f32_e32 v13, v13, v60
	v_add_f32_e32 v3, v3, v42
	;; [unrolled: 3-line block ×5, first 2 shown]
	s_delay_alu instid0(VALU_DEP_4) | instskip(NEXT) | instid1(VALU_DEP_3)
	v_add_f32_e32 v13, v13, v44
	v_add_f32_e32 v11, v11, v19
	s_delay_alu instid0(VALU_DEP_3)
	v_add_f32_e32 v1, v1, v21
	s_cbranch_scc0 .LBB323_2
.LBB323_3:
	s_clause 0x1
	s_load_b32 s3, s[0:1], 0x40
	s_load_b64 s[4:5], s[0:1], 0x48
	v_add_nc_u32_e32 v10, s13, v10
	v_add_nc_u32_e32 v6, s12, v9
	s_delay_alu instid0(VALU_DEP_1)
	v_cmp_le_i32_e64 s0, v10, v6
	v_cmp_gt_i32_e32 vcc_lo, s2, v6
	s_waitcnt lgkmcnt(0)
	v_mad_i64_i32 v[7:8], null, v10, s3, 0
	s_mul_i32 s1, s15, s5
	s_mul_hi_u32 s5, s15, s4
	s_mul_i32 s4, s15, s4
	s_add_i32 s5, s5, s1
	s_delay_alu instid0(SALU_CYCLE_1) | instskip(NEXT) | instid1(VALU_DEP_1)
	s_lshl_b64 s[4:5], s[4:5], 3
	v_lshlrev_b64 v[7:8], 3, v[7:8]
	s_add_u32 s4, s6, s4
	s_addc_u32 s5, s7, s5
	s_and_b32 s0, s0, vcc_lo
	s_delay_alu instid0(VALU_DEP_1) | instskip(NEXT) | instid1(VALU_DEP_1)
	v_add_co_u32 v12, s1, s4, v7
	v_add_co_ci_u32_e64 v14, s1, s5, v8, s1
	s_and_saveexec_b32 s1, s0
	s_cbranch_execz .LBB323_5
; %bb.4:
	v_ashrrev_i32_e32 v7, 31, v6
	s_delay_alu instid0(VALU_DEP_1) | instskip(NEXT) | instid1(VALU_DEP_1)
	v_lshlrev_b64 v[7:8], 3, v[6:7]
	v_add_co_u32 v7, s0, v12, v7
	s_delay_alu instid0(VALU_DEP_1) | instskip(SKIP_1) | instid1(VALU_DEP_1)
	v_add_co_ci_u32_e64 v8, s0, v14, v8, s0
	v_cmp_ne_u32_e64 s0, v10, v6
	v_cndmask_b32_e64 v5, 0, v16, s0
	global_store_b64 v[7:8], v[4:5], off
.LBB323_5:
	s_or_b32 exec_lo, exec_lo, s1
	v_add_nc_u32_e32 v8, 16, v6
	s_delay_alu instid0(VALU_DEP_1) | instskip(SKIP_1) | instid1(VALU_DEP_1)
	v_cmp_le_i32_e64 s1, v10, v8
	v_cmp_gt_i32_e64 s0, s2, v8
	s_and_b32 s1, s1, s0
	s_delay_alu instid0(SALU_CYCLE_1)
	s_and_saveexec_b32 s2, s1
	s_cbranch_execz .LBB323_7
; %bb.6:
	v_ashrrev_i32_e32 v9, 31, v8
	s_delay_alu instid0(VALU_DEP_1) | instskip(NEXT) | instid1(VALU_DEP_1)
	v_lshlrev_b64 v[4:5], 3, v[8:9]
	v_add_co_u32 v15, s1, v12, v4
	s_delay_alu instid0(VALU_DEP_1) | instskip(SKIP_1) | instid1(VALU_DEP_1)
	v_add_co_ci_u32_e64 v16, s1, v14, v5, s1
	v_cmp_ne_u32_e64 s1, v10, v8
	v_cndmask_b32_e64 v4, 0, v13, s1
	global_store_b64 v[15:16], v[3:4], off
.LBB323_7:
	s_or_b32 exec_lo, exec_lo, s2
	v_add_nc_u32_e32 v9, 16, v10
	s_delay_alu instid0(VALU_DEP_1) | instskip(SKIP_1) | instid1(VALU_DEP_2)
	v_mad_i64_i32 v[3:4], null, v9, s3, 0
	v_cmp_le_i32_e64 s1, v9, v6
	v_lshlrev_b64 v[4:5], 3, v[3:4]
	s_delay_alu instid0(VALU_DEP_1) | instskip(NEXT) | instid1(VALU_DEP_1)
	v_add_co_u32 v4, s2, s4, v4
	v_add_co_ci_u32_e64 v5, s2, s5, v5, s2
	s_delay_alu instid0(VALU_DEP_4) | instskip(NEXT) | instid1(SALU_CYCLE_1)
	s_and_b32 s2, s1, vcc_lo
	s_and_saveexec_b32 s1, s2
	s_cbranch_execz .LBB323_9
; %bb.8:
	v_ashrrev_i32_e32 v7, 31, v6
	s_delay_alu instid0(VALU_DEP_1) | instskip(NEXT) | instid1(VALU_DEP_1)
	v_lshlrev_b64 v[12:13], 3, v[6:7]
	v_add_co_u32 v12, vcc_lo, v4, v12
	s_delay_alu instid0(VALU_DEP_2)
	v_add_co_ci_u32_e32 v13, vcc_lo, v5, v13, vcc_lo
	v_cmp_ne_u32_e32 vcc_lo, v9, v6
	v_cndmask_b32_e32 v3, 0, v11, vcc_lo
	global_store_b64 v[12:13], v[2:3], off
.LBB323_9:
	s_or_b32 exec_lo, exec_lo, s1
	v_cmp_le_i32_e32 vcc_lo, v9, v8
	s_and_b32 s0, vcc_lo, s0
	s_delay_alu instid0(SALU_CYCLE_1)
	s_and_saveexec_b32 s1, s0
	s_cbranch_execz .LBB323_11
; %bb.10:
	v_ashrrev_i32_e32 v9, 31, v8
	s_delay_alu instid0(VALU_DEP_1) | instskip(NEXT) | instid1(VALU_DEP_1)
	v_lshlrev_b64 v[2:3], 3, v[8:9]
	v_add_co_u32 v2, vcc_lo, v4, v2
	s_delay_alu instid0(VALU_DEP_2)
	v_add_co_ci_u32_e32 v3, vcc_lo, v5, v3, vcc_lo
	v_cmp_ne_u32_e32 vcc_lo, v10, v6
	v_cndmask_b32_e32 v1, 0, v1, vcc_lo
	global_store_b64 v[2:3], v[0:1], off
.LBB323_11:
	s_nop 0
	s_sendmsg sendmsg(MSG_DEALLOC_VGPRS)
	s_endpgm
	.section	.rodata,"a",@progbits
	.p2align	6, 0x0
	.amdhsa_kernel _ZL37rocblas_syrkx_herkx_restricted_kernelIi19rocblas_complex_numIfELi16ELi32ELi8ELi1ELi0ELb1ELc67ELc76EKS1_S1_EviT_PT9_S3_lS5_S3_lPT10_S3_li
		.amdhsa_group_segment_fixed_size 4096
		.amdhsa_private_segment_fixed_size 0
		.amdhsa_kernarg_size 84
		.amdhsa_user_sgpr_count 13
		.amdhsa_user_sgpr_dispatch_ptr 0
		.amdhsa_user_sgpr_queue_ptr 0
		.amdhsa_user_sgpr_kernarg_segment_ptr 1
		.amdhsa_user_sgpr_dispatch_id 0
		.amdhsa_user_sgpr_private_segment_size 0
		.amdhsa_wavefront_size32 1
		.amdhsa_uses_dynamic_stack 0
		.amdhsa_enable_private_segment 0
		.amdhsa_system_sgpr_workgroup_id_x 1
		.amdhsa_system_sgpr_workgroup_id_y 1
		.amdhsa_system_sgpr_workgroup_id_z 1
		.amdhsa_system_sgpr_workgroup_info 0
		.amdhsa_system_vgpr_workitem_id 1
		.amdhsa_next_free_vgpr 88
		.amdhsa_next_free_sgpr 20
		.amdhsa_reserve_vcc 1
		.amdhsa_float_round_mode_32 0
		.amdhsa_float_round_mode_16_64 0
		.amdhsa_float_denorm_mode_32 3
		.amdhsa_float_denorm_mode_16_64 3
		.amdhsa_dx10_clamp 1
		.amdhsa_ieee_mode 1
		.amdhsa_fp16_overflow 0
		.amdhsa_workgroup_processor_mode 1
		.amdhsa_memory_ordered 1
		.amdhsa_forward_progress 0
		.amdhsa_shared_vgpr_count 0
		.amdhsa_exception_fp_ieee_invalid_op 0
		.amdhsa_exception_fp_denorm_src 0
		.amdhsa_exception_fp_ieee_div_zero 0
		.amdhsa_exception_fp_ieee_overflow 0
		.amdhsa_exception_fp_ieee_underflow 0
		.amdhsa_exception_fp_ieee_inexact 0
		.amdhsa_exception_int_div_zero 0
	.end_amdhsa_kernel
	.section	.text._ZL37rocblas_syrkx_herkx_restricted_kernelIi19rocblas_complex_numIfELi16ELi32ELi8ELi1ELi0ELb1ELc67ELc76EKS1_S1_EviT_PT9_S3_lS5_S3_lPT10_S3_li,"axG",@progbits,_ZL37rocblas_syrkx_herkx_restricted_kernelIi19rocblas_complex_numIfELi16ELi32ELi8ELi1ELi0ELb1ELc67ELc76EKS1_S1_EviT_PT9_S3_lS5_S3_lPT10_S3_li,comdat
.Lfunc_end323:
	.size	_ZL37rocblas_syrkx_herkx_restricted_kernelIi19rocblas_complex_numIfELi16ELi32ELi8ELi1ELi0ELb1ELc67ELc76EKS1_S1_EviT_PT9_S3_lS5_S3_lPT10_S3_li, .Lfunc_end323-_ZL37rocblas_syrkx_herkx_restricted_kernelIi19rocblas_complex_numIfELi16ELi32ELi8ELi1ELi0ELb1ELc67ELc76EKS1_S1_EviT_PT9_S3_lS5_S3_lPT10_S3_li
                                        ; -- End function
	.section	.AMDGPU.csdata,"",@progbits
; Kernel info:
; codeLenInByte = 2148
; NumSgprs: 22
; NumVgprs: 88
; ScratchSize: 0
; MemoryBound: 0
; FloatMode: 240
; IeeeMode: 1
; LDSByteSize: 4096 bytes/workgroup (compile time only)
; SGPRBlocks: 2
; VGPRBlocks: 10
; NumSGPRsForWavesPerEU: 22
; NumVGPRsForWavesPerEU: 88
; Occupancy: 16
; WaveLimiterHint : 0
; COMPUTE_PGM_RSRC2:SCRATCH_EN: 0
; COMPUTE_PGM_RSRC2:USER_SGPR: 13
; COMPUTE_PGM_RSRC2:TRAP_HANDLER: 0
; COMPUTE_PGM_RSRC2:TGID_X_EN: 1
; COMPUTE_PGM_RSRC2:TGID_Y_EN: 1
; COMPUTE_PGM_RSRC2:TGID_Z_EN: 1
; COMPUTE_PGM_RSRC2:TIDIG_COMP_CNT: 1
	.section	.text._ZL37rocblas_syrkx_herkx_restricted_kernelIi19rocblas_complex_numIfELi16ELi32ELi8ELi1ELi0ELb1ELc78ELc76EKS1_S1_EviT_PT9_S3_lS5_S3_lPT10_S3_li,"axG",@progbits,_ZL37rocblas_syrkx_herkx_restricted_kernelIi19rocblas_complex_numIfELi16ELi32ELi8ELi1ELi0ELb1ELc78ELc76EKS1_S1_EviT_PT9_S3_lS5_S3_lPT10_S3_li,comdat
	.globl	_ZL37rocblas_syrkx_herkx_restricted_kernelIi19rocblas_complex_numIfELi16ELi32ELi8ELi1ELi0ELb1ELc78ELc76EKS1_S1_EviT_PT9_S3_lS5_S3_lPT10_S3_li ; -- Begin function _ZL37rocblas_syrkx_herkx_restricted_kernelIi19rocblas_complex_numIfELi16ELi32ELi8ELi1ELi0ELb1ELc78ELc76EKS1_S1_EviT_PT9_S3_lS5_S3_lPT10_S3_li
	.p2align	8
	.type	_ZL37rocblas_syrkx_herkx_restricted_kernelIi19rocblas_complex_numIfELi16ELi32ELi8ELi1ELi0ELb1ELc78ELc76EKS1_S1_EviT_PT9_S3_lS5_S3_lPT10_S3_li,@function
_ZL37rocblas_syrkx_herkx_restricted_kernelIi19rocblas_complex_numIfELi16ELi32ELi8ELi1ELi0ELb1ELc78ELc76EKS1_S1_EviT_PT9_S3_lS5_S3_lPT10_S3_li: ; @_ZL37rocblas_syrkx_herkx_restricted_kernelIi19rocblas_complex_numIfELi16ELi32ELi8ELi1ELi0ELb1ELc78ELc76EKS1_S1_EviT_PT9_S3_lS5_S3_lPT10_S3_li
; %bb.0:
	s_clause 0x1
	s_load_b64 s[2:3], s[0:1], 0x0
	s_load_b128 s[4:7], s[0:1], 0x30
	v_dual_mov_b32 v3, 0 :: v_dual_and_b32 v8, 0x3ff, v0
	v_bfe_u32 v9, v0, 10, 10
	v_dual_mov_b32 v17, 0 :: v_dual_mov_b32 v2, 0
	v_dual_mov_b32 v13, 0 :: v_dual_mov_b32 v0, 0
	;; [unrolled: 1-line block ×3, first 2 shown]
	v_mov_b32_e32 v11, 0
	s_lshl_b32 s12, s13, 5
	s_lshl_b32 s13, s14, 5
	s_mov_b32 s14, 0
	s_waitcnt lgkmcnt(0)
	s_cmp_lt_i32 s3, 1
	s_cbranch_scc1 .LBB324_3
; %bb.1:
	s_clause 0x1
	s_load_b32 s16, s[0:1], 0x10
	s_load_b32 s18, s[0:1], 0x28
	v_lshl_add_u32 v0, v9, 4, v8
	v_dual_mov_b32 v11, 0 :: v_dual_and_b32 v6, 7, v8
	s_clause 0x1
	s_load_b128 s[8:11], s[0:1], 0x18
	s_load_b64 s[20:21], s[0:1], 0x8
	v_lshrrev_b32_e32 v1, 3, v0
	v_and_b32_e32 v2, 31, v0
	v_lshrrev_b32_e32 v7, 5, v0
	v_lshlrev_b32_e32 v3, 3, v6
	s_delay_alu instid0(VALU_DEP_4) | instskip(NEXT) | instid1(VALU_DEP_4)
	v_dual_mov_b32 v13, 0 :: v_dual_add_nc_u32 v0, s13, v1
	v_dual_mov_b32 v17, 0 :: v_dual_lshlrev_b32 v4, 3, v2
	v_add_nc_u32_e32 v2, s12, v2
	s_delay_alu instid0(VALU_DEP_4) | instskip(NEXT) | instid1(VALU_DEP_4)
	v_lshl_or_b32 v10, v1, 6, v3
	v_ashrrev_i32_e32 v1, 31, v0
	s_delay_alu instid0(VALU_DEP_4)
	v_lshl_or_b32 v12, v7, 8, v4
	s_mul_i32 s5, s5, s15
	v_ashrrev_i32_e32 v3, 31, v2
	s_waitcnt lgkmcnt(0)
	s_ashr_i32 s17, s16, 31
	v_mad_i64_i32 v[4:5], null, s18, v6, v[0:1]
	s_ashr_i32 s19, s18, 31
	v_mad_i64_i32 v[0:1], null, s16, v7, v[2:3]
	s_mul_i32 s9, s9, s15
	s_mul_hi_u32 s22, s8, s15
	s_mul_i32 s8, s8, s15
	s_add_i32 s9, s22, s9
	v_add_nc_u32_e32 v14, 0x800, v10
	s_lshl_b64 s[8:9], s[8:9], 3
	s_delay_alu instid0(VALU_DEP_2)
	v_lshlrev_b64 v[0:1], 3, v[0:1]
	s_add_u32 s8, s20, s8
	s_addc_u32 s9, s21, s9
	s_mul_hi_u32 s20, s4, s15
	s_mul_i32 s4, s4, s15
	s_add_i32 s5, s20, s5
	v_add_co_u32 v2, vcc_lo, s8, v0
	v_add_co_ci_u32_e32 v3, vcc_lo, s9, v1, vcc_lo
	v_lshlrev_b64 v[0:1], 3, v[4:5]
	s_lshl_b64 s[8:9], s[4:5], 3
	s_lshl_b64 s[4:5], s[16:17], 6
	s_add_u32 s8, s10, s8
	s_addc_u32 s9, s11, s9
	v_lshlrev_b32_e32 v15, 3, v8
	v_add_co_u32 v0, vcc_lo, s8, v0
	v_add_co_ci_u32_e32 v1, vcc_lo, s9, v1, vcc_lo
	v_add_co_u32 v4, vcc_lo, v2, 4
	v_add_co_ci_u32_e32 v5, vcc_lo, 0, v3, vcc_lo
	s_delay_alu instid0(VALU_DEP_4)
	v_add_co_u32 v6, vcc_lo, v0, 4
	v_mov_b32_e32 v0, 0
	v_lshl_add_u32 v16, v9, 6, 0x800
	v_add_co_ci_u32_e32 v7, vcc_lo, 0, v1, vcc_lo
	v_dual_mov_b32 v10, 0 :: v_dual_mov_b32 v1, 0
	v_dual_mov_b32 v2, 0 :: v_dual_mov_b32 v3, 0
	s_lshl_b64 s[8:9], s[18:19], 6
.LBB324_2:                              ; =>This Inner Loop Header: Depth=1
	global_load_b64 v[18:19], v[6:7], off offset:-4
	global_load_b64 v[20:21], v[4:5], off offset:-4
	v_add_co_u32 v4, vcc_lo, v4, s4
	v_add_co_ci_u32_e32 v5, vcc_lo, s5, v5, vcc_lo
	v_add_co_u32 v6, vcc_lo, v6, s8
	v_add_co_ci_u32_e32 v7, vcc_lo, s9, v7, vcc_lo
	s_add_i32 s14, s14, 8
	s_delay_alu instid0(SALU_CYCLE_1)
	s_cmp_ge_i32 s14, s3
	s_waitcnt vmcnt(1)
	v_xor_b32_e32 v19, 0x80000000, v19
	s_waitcnt vmcnt(0)
	ds_store_b64 v12, v[20:21]
	ds_store_b64 v14, v[18:19]
	s_waitcnt lgkmcnt(0)
	s_barrier
	buffer_gl0_inv
	ds_load_2addr_b64 v[18:21], v15 offset1:16
	ds_load_b128 v[22:25], v16
	ds_load_b128 v[26:29], v16 offset:1024
	ds_load_b128 v[30:33], v16 offset:16
	ds_load_b128 v[34:37], v16 offset:32
	ds_load_b128 v[38:41], v16 offset:48
	ds_load_2addr_b64 v[42:45], v15 offset0:32 offset1:48
	ds_load_2addr_b64 v[46:49], v15 offset0:64 offset1:80
	ds_load_b128 v[50:53], v16 offset:1040
	ds_load_2addr_b64 v[54:57], v15 offset0:96 offset1:112
	ds_load_2addr_b64 v[58:61], v15 offset0:128 offset1:144
	;; [unrolled: 1-line block ×4, first 2 shown]
	ds_load_b128 v[70:73], v16 offset:1056
	ds_load_b128 v[74:77], v16 offset:1072
	ds_load_2addr_b64 v[78:81], v15 offset0:224 offset1:240
	s_waitcnt lgkmcnt(0)
	s_barrier
	buffer_gl0_inv
	v_dual_mul_f32 v82, v23, v19 :: v_dual_mul_f32 v85, v22, v21
	v_dual_mul_f32 v83, v22, v19 :: v_dual_mul_f32 v84, v23, v21
	v_mul_f32_e32 v86, v27, v19
	v_mul_f32_e32 v19, v26, v19
	;; [unrolled: 1-line block ×4, first 2 shown]
	v_fma_f32 v82, v22, v18, -v82
	v_fmac_f32_e32 v83, v23, v18
	v_fma_f32 v22, v22, v20, -v84
	v_fmac_f32_e32 v85, v23, v20
	v_fma_f32 v23, v26, v18, -v86
	v_dual_fmac_f32 v21, v27, v20 :: v_dual_mul_f32 v84, v24, v45
	v_fmac_f32_e32 v19, v27, v18
	v_fma_f32 v18, v26, v20, -v87
	v_mul_f32_e32 v20, v25, v43
	v_mul_f32_e32 v26, v24, v43
	v_fmac_f32_e32 v84, v25, v44
	v_dual_mul_f32 v27, v25, v45 :: v_dual_mul_f32 v86, v51, v47
	s_delay_alu instid0(VALU_DEP_4) | instskip(NEXT) | instid1(VALU_DEP_4)
	v_fma_f32 v20, v24, v42, -v20
	v_fmac_f32_e32 v26, v25, v42
	v_mul_f32_e32 v25, v29, v43
	s_delay_alu instid0(VALU_DEP_4)
	v_fma_f32 v24, v24, v44, -v27
	v_mul_f32_e32 v27, v28, v43
	v_mul_f32_e32 v43, v29, v45
	;; [unrolled: 1-line block ×3, first 2 shown]
	v_fma_f32 v25, v28, v42, -v25
	v_mul_f32_e32 v87, v51, v49
	v_fmac_f32_e32 v27, v29, v42
	v_fma_f32 v28, v28, v44, -v43
	v_fmac_f32_e32 v45, v29, v44
	v_mul_f32_e32 v29, v31, v47
	v_dual_mul_f32 v42, v30, v47 :: v_dual_mul_f32 v43, v31, v49
	v_mul_f32_e32 v44, v30, v49
	v_mul_f32_e32 v47, v50, v47
	;; [unrolled: 1-line block ×3, first 2 shown]
	v_fma_f32 v29, v30, v46, -v29
	v_fmac_f32_e32 v42, v31, v46
	v_fma_f32 v30, v30, v48, -v43
	v_fmac_f32_e32 v44, v31, v48
	v_fma_f32 v31, v50, v46, -v86
	v_mul_f32_e32 v86, v71, v59
	v_fmac_f32_e32 v47, v51, v46
	v_fma_f32 v43, v50, v48, -v87
	v_dual_fmac_f32 v49, v51, v48 :: v_dual_mul_f32 v46, v33, v55
	v_mul_f32_e32 v48, v32, v55
	v_mul_f32_e32 v50, v33, v57
	;; [unrolled: 1-line block ×4, first 2 shown]
	v_fma_f32 v46, v32, v54, -v46
	v_fmac_f32_e32 v48, v33, v54
	v_fma_f32 v32, v32, v56, -v50
	v_fmac_f32_e32 v51, v33, v56
	v_mul_f32_e32 v33, v53, v55
	v_dual_mul_f32 v50, v52, v55 :: v_dual_mul_f32 v55, v53, v57
	v_dual_mul_f32 v57, v52, v57 :: v_dual_add_f32 v2, v2, v22
	s_delay_alu instid0(VALU_DEP_3) | instskip(NEXT) | instid1(VALU_DEP_3)
	v_fma_f32 v33, v52, v54, -v33
	v_fmac_f32_e32 v50, v53, v54
	s_delay_alu instid0(VALU_DEP_4) | instskip(NEXT) | instid1(VALU_DEP_4)
	v_fma_f32 v52, v52, v56, -v55
	v_fmac_f32_e32 v57, v53, v56
	v_mul_f32_e32 v53, v35, v59
	v_dual_mul_f32 v54, v34, v59 :: v_dual_mul_f32 v55, v35, v61
	v_mul_f32_e32 v56, v34, v61
	v_mul_f32_e32 v59, v70, v59
	;; [unrolled: 1-line block ×3, first 2 shown]
	v_fma_f32 v53, v34, v58, -v53
	v_fmac_f32_e32 v54, v35, v58
	v_fma_f32 v34, v34, v60, -v55
	v_fmac_f32_e32 v56, v35, v60
	v_fma_f32 v35, v70, v58, -v86
	v_mul_f32_e32 v86, v75, v67
	v_fmac_f32_e32 v59, v71, v58
	v_fma_f32 v55, v70, v60, -v87
	v_dual_fmac_f32 v61, v71, v60 :: v_dual_mul_f32 v58, v37, v63
	v_mul_f32_e32 v60, v36, v63
	v_mul_f32_e32 v70, v37, v65
	;; [unrolled: 1-line block ×3, first 2 shown]
	v_add_f32_e32 v0, v0, v18
	v_fma_f32 v58, v36, v62, -v58
	v_fmac_f32_e32 v60, v37, v62
	v_fma_f32 v36, v36, v64, -v70
	v_fmac_f32_e32 v71, v37, v64
	v_mul_f32_e32 v37, v73, v63
	v_mul_f32_e32 v70, v73, v65
	v_dual_mul_f32 v65, v72, v65 :: v_dual_add_f32 v2, v2, v24
	v_mul_f32_e32 v63, v72, v63
	v_add_f32_e32 v0, v0, v28
	v_fma_f32 v37, v72, v62, -v37
	s_delay_alu instid0(VALU_DEP_4)
	v_fmac_f32_e32 v65, v73, v64
	v_dual_mul_f32 v87, v75, v69 :: v_dual_add_f32 v2, v2, v30
	v_fmac_f32_e32 v63, v73, v62
	v_mul_f32_e32 v73, v38, v69
	v_fma_f32 v62, v72, v64, -v70
	v_mul_f32_e32 v64, v39, v67
	v_mul_f32_e32 v70, v38, v67
	;; [unrolled: 1-line block ×3, first 2 shown]
	v_dual_mul_f32 v69, v74, v69 :: v_dual_add_f32 v0, v0, v43
	v_mul_f32_e32 v67, v74, v67
	v_dual_fmac_f32 v73, v39, v68 :: v_dual_add_f32 v10, v10, v21
	v_fma_f32 v64, v38, v66, -v64
	s_delay_alu instid0(VALU_DEP_3) | instskip(SKIP_1) | instid1(VALU_DEP_4)
	v_dual_add_f32 v0, v0, v52 :: v_dual_fmac_f32 v67, v75, v66
	v_fmac_f32_e32 v70, v39, v66
	v_add_f32_e32 v10, v10, v45
	v_fma_f32 v38, v38, v68, -v72
	v_fma_f32 v39, v74, v66, -v86
	;; [unrolled: 1-line block ×3, first 2 shown]
	s_delay_alu instid0(VALU_DEP_4) | instskip(SKIP_4) | instid1(VALU_DEP_4)
	v_dual_fmac_f32 v69, v75, v68 :: v_dual_add_f32 v10, v10, v49
	v_mul_f32_e32 v68, v41, v79
	v_mul_f32_e32 v72, v40, v79
	;; [unrolled: 1-line block ×3, first 2 shown]
	v_dual_mul_f32 v75, v40, v81 :: v_dual_add_f32 v2, v2, v32
	v_fma_f32 v68, v40, v78, -v68
	s_delay_alu instid0(VALU_DEP_4) | instskip(NEXT) | instid1(VALU_DEP_4)
	v_fmac_f32_e32 v72, v41, v78
	v_fma_f32 v40, v40, v80, -v74
	s_delay_alu instid0(VALU_DEP_4) | instskip(SKIP_3) | instid1(VALU_DEP_3)
	v_dual_fmac_f32 v75, v41, v80 :: v_dual_add_f32 v10, v10, v57
	v_dual_mul_f32 v41, v77, v79 :: v_dual_add_f32 v2, v2, v34
	v_dual_mul_f32 v74, v76, v79 :: v_dual_mul_f32 v79, v77, v81
	v_add_f32_e32 v0, v0, v55
	v_dual_mul_f32 v81, v76, v81 :: v_dual_add_f32 v2, v2, v36
	v_dual_add_f32 v10, v10, v61 :: v_dual_add_f32 v3, v3, v82
	s_delay_alu instid0(VALU_DEP_3) | instskip(NEXT) | instid1(VALU_DEP_3)
	v_dual_add_f32 v17, v17, v83 :: v_dual_add_f32 v0, v0, v62
	v_fmac_f32_e32 v81, v77, v80
	s_delay_alu instid0(VALU_DEP_4) | instskip(NEXT) | instid1(VALU_DEP_3)
	v_dual_add_f32 v13, v13, v85 :: v_dual_add_f32 v2, v2, v38
	v_dual_add_f32 v1, v1, v23 :: v_dual_add_f32 v0, v0, v66
	;; [unrolled: 1-line block ×3, first 2 shown]
	v_fma_f32 v41, v76, v78, -v41
	v_fma_f32 v76, v76, v80, -v79
	v_dual_add_f32 v17, v17, v26 :: v_dual_add_f32 v2, v2, v40
	v_add_f32_e32 v13, v13, v84
	s_delay_alu instid0(VALU_DEP_3) | instskip(SKIP_3) | instid1(VALU_DEP_3)
	v_dual_add_f32 v1, v1, v25 :: v_dual_add_f32 v0, v0, v76
	v_dual_add_f32 v10, v10, v69 :: v_dual_add_f32 v3, v3, v20
	v_add_f32_e32 v11, v11, v27
	v_add_f32_e32 v17, v17, v42
	v_dual_add_f32 v13, v13, v44 :: v_dual_add_f32 v10, v10, v81
	s_delay_alu instid0(VALU_DEP_4)
	v_add_f32_e32 v3, v3, v29
	v_add_f32_e32 v1, v1, v31
	v_add_f32_e32 v11, v11, v47
	v_add_f32_e32 v17, v17, v48
	v_add_f32_e32 v13, v13, v51
	v_add_f32_e32 v3, v3, v46
	v_add_f32_e32 v1, v1, v33
	v_add_f32_e32 v11, v11, v50
	v_add_f32_e32 v17, v17, v54
	v_add_f32_e32 v13, v13, v56
	v_add_f32_e32 v3, v3, v53
	v_add_f32_e32 v1, v1, v35
	v_add_f32_e32 v11, v11, v59
	v_add_f32_e32 v17, v17, v60
	v_add_f32_e32 v13, v13, v71
	v_add_f32_e32 v3, v3, v58
	v_add_f32_e32 v1, v1, v37
	v_dual_add_f32 v11, v11, v63 :: v_dual_fmac_f32 v74, v77, v78
	v_add_f32_e32 v17, v17, v70
	s_delay_alu instid0(VALU_DEP_4)
	v_add_f32_e32 v3, v3, v64
	v_add_f32_e32 v13, v13, v73
	;; [unrolled: 1-line block ×9, first 2 shown]
	s_cbranch_scc0 .LBB324_2
.LBB324_3:
	s_clause 0x1
	s_load_b32 s3, s[0:1], 0x40
	s_load_b64 s[4:5], s[0:1], 0x48
	v_add_nc_u32_e32 v9, s13, v9
	v_add_nc_u32_e32 v5, s12, v8
	s_delay_alu instid0(VALU_DEP_1)
	v_cmp_le_i32_e64 s0, v9, v5
	v_cmp_gt_i32_e32 vcc_lo, s2, v5
	s_waitcnt lgkmcnt(0)
	v_mad_i64_i32 v[6:7], null, v9, s3, 0
	s_mul_i32 s1, s15, s5
	s_mul_hi_u32 s5, s15, s4
	s_mul_i32 s4, s15, s4
	s_add_i32 s5, s5, s1
	s_delay_alu instid0(SALU_CYCLE_1) | instskip(NEXT) | instid1(VALU_DEP_1)
	s_lshl_b64 s[4:5], s[4:5], 3
	v_lshlrev_b64 v[6:7], 3, v[6:7]
	s_add_u32 s4, s6, s4
	s_addc_u32 s5, s7, s5
	s_and_b32 s0, s0, vcc_lo
	s_delay_alu instid0(VALU_DEP_1) | instskip(NEXT) | instid1(VALU_DEP_1)
	v_add_co_u32 v12, s1, s4, v6
	v_add_co_ci_u32_e64 v14, s1, s5, v7, s1
	s_and_saveexec_b32 s1, s0
	s_cbranch_execz .LBB324_5
; %bb.4:
	v_ashrrev_i32_e32 v6, 31, v5
	s_delay_alu instid0(VALU_DEP_1) | instskip(NEXT) | instid1(VALU_DEP_1)
	v_lshlrev_b64 v[6:7], 3, v[5:6]
	v_add_co_u32 v6, s0, v12, v6
	s_delay_alu instid0(VALU_DEP_1) | instskip(SKIP_1) | instid1(VALU_DEP_1)
	v_add_co_ci_u32_e64 v7, s0, v14, v7, s0
	v_cmp_ne_u32_e64 s0, v9, v5
	v_cndmask_b32_e64 v4, 0, v17, s0
	global_store_b64 v[6:7], v[3:4], off
.LBB324_5:
	s_or_b32 exec_lo, exec_lo, s1
	v_add_nc_u32_e32 v7, 16, v5
	s_delay_alu instid0(VALU_DEP_1) | instskip(SKIP_1) | instid1(VALU_DEP_1)
	v_cmp_le_i32_e64 s1, v9, v7
	v_cmp_gt_i32_e64 s0, s2, v7
	s_and_b32 s1, s1, s0
	s_delay_alu instid0(SALU_CYCLE_1)
	s_and_saveexec_b32 s2, s1
	s_cbranch_execz .LBB324_7
; %bb.6:
	v_ashrrev_i32_e32 v8, 31, v7
	s_delay_alu instid0(VALU_DEP_1) | instskip(NEXT) | instid1(VALU_DEP_1)
	v_lshlrev_b64 v[3:4], 3, v[7:8]
	v_add_co_u32 v15, s1, v12, v3
	s_delay_alu instid0(VALU_DEP_1) | instskip(SKIP_1) | instid1(VALU_DEP_1)
	v_add_co_ci_u32_e64 v16, s1, v14, v4, s1
	v_cmp_ne_u32_e64 s1, v9, v7
	v_cndmask_b32_e64 v3, 0, v13, s1
	global_store_b64 v[15:16], v[2:3], off
.LBB324_7:
	s_or_b32 exec_lo, exec_lo, s2
	v_add_nc_u32_e32 v8, 16, v9
	s_delay_alu instid0(VALU_DEP_1) | instskip(SKIP_1) | instid1(VALU_DEP_2)
	v_mad_i64_i32 v[2:3], null, v8, s3, 0
	v_cmp_le_i32_e64 s1, v8, v5
	v_lshlrev_b64 v[3:4], 3, v[2:3]
	s_delay_alu instid0(VALU_DEP_1) | instskip(NEXT) | instid1(VALU_DEP_1)
	v_add_co_u32 v3, s2, s4, v3
	v_add_co_ci_u32_e64 v4, s2, s5, v4, s2
	s_delay_alu instid0(VALU_DEP_4) | instskip(NEXT) | instid1(SALU_CYCLE_1)
	s_and_b32 s2, s1, vcc_lo
	s_and_saveexec_b32 s1, s2
	s_cbranch_execz .LBB324_9
; %bb.8:
	v_ashrrev_i32_e32 v6, 31, v5
	s_delay_alu instid0(VALU_DEP_1) | instskip(NEXT) | instid1(VALU_DEP_1)
	v_lshlrev_b64 v[12:13], 3, v[5:6]
	v_add_co_u32 v12, vcc_lo, v3, v12
	s_delay_alu instid0(VALU_DEP_2)
	v_add_co_ci_u32_e32 v13, vcc_lo, v4, v13, vcc_lo
	v_cmp_ne_u32_e32 vcc_lo, v8, v5
	v_cndmask_b32_e32 v2, 0, v11, vcc_lo
	global_store_b64 v[12:13], v[1:2], off
.LBB324_9:
	s_or_b32 exec_lo, exec_lo, s1
	v_cmp_le_i32_e32 vcc_lo, v8, v7
	s_and_b32 s0, vcc_lo, s0
	s_delay_alu instid0(SALU_CYCLE_1)
	s_and_saveexec_b32 s1, s0
	s_cbranch_execz .LBB324_11
; %bb.10:
	v_ashrrev_i32_e32 v8, 31, v7
	s_delay_alu instid0(VALU_DEP_1) | instskip(NEXT) | instid1(VALU_DEP_1)
	v_lshlrev_b64 v[1:2], 3, v[7:8]
	v_add_co_u32 v3, vcc_lo, v3, v1
	s_delay_alu instid0(VALU_DEP_2)
	v_add_co_ci_u32_e32 v4, vcc_lo, v4, v2, vcc_lo
	v_cmp_ne_u32_e32 vcc_lo, v9, v5
	v_cndmask_b32_e32 v1, 0, v10, vcc_lo
	global_store_b64 v[3:4], v[0:1], off
.LBB324_11:
	s_nop 0
	s_sendmsg sendmsg(MSG_DEALLOC_VGPRS)
	s_endpgm
	.section	.rodata,"a",@progbits
	.p2align	6, 0x0
	.amdhsa_kernel _ZL37rocblas_syrkx_herkx_restricted_kernelIi19rocblas_complex_numIfELi16ELi32ELi8ELi1ELi0ELb1ELc78ELc76EKS1_S1_EviT_PT9_S3_lS5_S3_lPT10_S3_li
		.amdhsa_group_segment_fixed_size 4096
		.amdhsa_private_segment_fixed_size 0
		.amdhsa_kernarg_size 84
		.amdhsa_user_sgpr_count 13
		.amdhsa_user_sgpr_dispatch_ptr 0
		.amdhsa_user_sgpr_queue_ptr 0
		.amdhsa_user_sgpr_kernarg_segment_ptr 1
		.amdhsa_user_sgpr_dispatch_id 0
		.amdhsa_user_sgpr_private_segment_size 0
		.amdhsa_wavefront_size32 1
		.amdhsa_uses_dynamic_stack 0
		.amdhsa_enable_private_segment 0
		.amdhsa_system_sgpr_workgroup_id_x 1
		.amdhsa_system_sgpr_workgroup_id_y 1
		.amdhsa_system_sgpr_workgroup_id_z 1
		.amdhsa_system_sgpr_workgroup_info 0
		.amdhsa_system_vgpr_workitem_id 1
		.amdhsa_next_free_vgpr 88
		.amdhsa_next_free_sgpr 23
		.amdhsa_reserve_vcc 1
		.amdhsa_float_round_mode_32 0
		.amdhsa_float_round_mode_16_64 0
		.amdhsa_float_denorm_mode_32 3
		.amdhsa_float_denorm_mode_16_64 3
		.amdhsa_dx10_clamp 1
		.amdhsa_ieee_mode 1
		.amdhsa_fp16_overflow 0
		.amdhsa_workgroup_processor_mode 1
		.amdhsa_memory_ordered 1
		.amdhsa_forward_progress 0
		.amdhsa_shared_vgpr_count 0
		.amdhsa_exception_fp_ieee_invalid_op 0
		.amdhsa_exception_fp_denorm_src 0
		.amdhsa_exception_fp_ieee_div_zero 0
		.amdhsa_exception_fp_ieee_overflow 0
		.amdhsa_exception_fp_ieee_underflow 0
		.amdhsa_exception_fp_ieee_inexact 0
		.amdhsa_exception_int_div_zero 0
	.end_amdhsa_kernel
	.section	.text._ZL37rocblas_syrkx_herkx_restricted_kernelIi19rocblas_complex_numIfELi16ELi32ELi8ELi1ELi0ELb1ELc78ELc76EKS1_S1_EviT_PT9_S3_lS5_S3_lPT10_S3_li,"axG",@progbits,_ZL37rocblas_syrkx_herkx_restricted_kernelIi19rocblas_complex_numIfELi16ELi32ELi8ELi1ELi0ELb1ELc78ELc76EKS1_S1_EviT_PT9_S3_lS5_S3_lPT10_S3_li,comdat
.Lfunc_end324:
	.size	_ZL37rocblas_syrkx_herkx_restricted_kernelIi19rocblas_complex_numIfELi16ELi32ELi8ELi1ELi0ELb1ELc78ELc76EKS1_S1_EviT_PT9_S3_lS5_S3_lPT10_S3_li, .Lfunc_end324-_ZL37rocblas_syrkx_herkx_restricted_kernelIi19rocblas_complex_numIfELi16ELi32ELi8ELi1ELi0ELb1ELc78ELc76EKS1_S1_EviT_PT9_S3_lS5_S3_lPT10_S3_li
                                        ; -- End function
	.section	.AMDGPU.csdata,"",@progbits
; Kernel info:
; codeLenInByte = 2124
; NumSgprs: 25
; NumVgprs: 88
; ScratchSize: 0
; MemoryBound: 0
; FloatMode: 240
; IeeeMode: 1
; LDSByteSize: 4096 bytes/workgroup (compile time only)
; SGPRBlocks: 3
; VGPRBlocks: 10
; NumSGPRsForWavesPerEU: 25
; NumVGPRsForWavesPerEU: 88
; Occupancy: 16
; WaveLimiterHint : 0
; COMPUTE_PGM_RSRC2:SCRATCH_EN: 0
; COMPUTE_PGM_RSRC2:USER_SGPR: 13
; COMPUTE_PGM_RSRC2:TRAP_HANDLER: 0
; COMPUTE_PGM_RSRC2:TGID_X_EN: 1
; COMPUTE_PGM_RSRC2:TGID_Y_EN: 1
; COMPUTE_PGM_RSRC2:TGID_Z_EN: 1
; COMPUTE_PGM_RSRC2:TIDIG_COMP_CNT: 1
	.section	.text._ZL37rocblas_syrkx_herkx_restricted_kernelIi19rocblas_complex_numIfELi16ELi32ELi8ELi1ELi0ELb1ELc84ELc85EKS1_S1_EviT_PT9_S3_lS5_S3_lPT10_S3_li,"axG",@progbits,_ZL37rocblas_syrkx_herkx_restricted_kernelIi19rocblas_complex_numIfELi16ELi32ELi8ELi1ELi0ELb1ELc84ELc85EKS1_S1_EviT_PT9_S3_lS5_S3_lPT10_S3_li,comdat
	.globl	_ZL37rocblas_syrkx_herkx_restricted_kernelIi19rocblas_complex_numIfELi16ELi32ELi8ELi1ELi0ELb1ELc84ELc85EKS1_S1_EviT_PT9_S3_lS5_S3_lPT10_S3_li ; -- Begin function _ZL37rocblas_syrkx_herkx_restricted_kernelIi19rocblas_complex_numIfELi16ELi32ELi8ELi1ELi0ELb1ELc84ELc85EKS1_S1_EviT_PT9_S3_lS5_S3_lPT10_S3_li
	.p2align	8
	.type	_ZL37rocblas_syrkx_herkx_restricted_kernelIi19rocblas_complex_numIfELi16ELi32ELi8ELi1ELi0ELb1ELc84ELc85EKS1_S1_EviT_PT9_S3_lS5_S3_lPT10_S3_li,@function
_ZL37rocblas_syrkx_herkx_restricted_kernelIi19rocblas_complex_numIfELi16ELi32ELi8ELi1ELi0ELb1ELc84ELc85EKS1_S1_EviT_PT9_S3_lS5_S3_lPT10_S3_li: ; @_ZL37rocblas_syrkx_herkx_restricted_kernelIi19rocblas_complex_numIfELi16ELi32ELi8ELi1ELi0ELb1ELc84ELc85EKS1_S1_EviT_PT9_S3_lS5_S3_lPT10_S3_li
; %bb.0:
	s_clause 0x1
	s_load_b64 s[2:3], s[0:1], 0x0
	s_load_b128 s[4:7], s[0:1], 0x30
	v_dual_mov_b32 v4, 0 :: v_dual_and_b32 v9, 0x3ff, v0
	v_bfe_u32 v10, v0, 10, 10
	v_dual_mov_b32 v16, 0 :: v_dual_mov_b32 v3, 0
	v_dual_mov_b32 v13, 0 :: v_dual_mov_b32 v2, 0
	;; [unrolled: 1-line block ×3, first 2 shown]
	v_mov_b32_e32 v1, 0
	s_lshl_b32 s12, s13, 5
	s_lshl_b32 s13, s14, 5
	s_mov_b32 s14, 0
	s_waitcnt lgkmcnt(0)
	s_cmp_lt_i32 s3, 1
	s_cbranch_scc1 .LBB325_3
; %bb.1:
	s_clause 0x3
	s_load_b32 s18, s[0:1], 0x10
	s_load_b128 s[8:11], s[0:1], 0x18
	s_load_b64 s[16:17], s[0:1], 0x8
	s_load_b32 s19, s[0:1], 0x28
	v_lshl_add_u32 v2, v10, 4, v9
	v_dual_mov_b32 v1, 0 :: v_dual_and_b32 v0, 7, v9
	v_lshlrev_b32_e32 v12, 3, v9
	s_mul_i32 s5, s5, s15
	s_delay_alu instid0(VALU_DEP_3)
	v_lshrrev_b32_e32 v4, 3, v2
	v_and_b32_e32 v5, 31, v2
	v_lshlrev_b32_e32 v3, 3, v0
	v_lshrrev_b32_e32 v2, 5, v2
	v_mov_b32_e32 v13, v1
	v_dual_mov_b32 v16, v1 :: v_dual_add_nc_u32 v11, s13, v4
	s_delay_alu instid0(VALU_DEP_4) | instskip(SKIP_3) | instid1(VALU_DEP_4)
	v_lshl_or_b32 v7, v4, 6, v3
	v_dual_mov_b32 v3, v1 :: v_dual_add_nc_u32 v8, s12, v5
	v_lshlrev_b32_e32 v6, 3, v5
	v_lshl_add_u32 v17, v10, 6, 0x800
	v_add_nc_u32_e32 v15, 0x800, v7
	s_waitcnt lgkmcnt(0)
	s_mul_i32 s9, s9, s15
	v_mad_i64_i32 v[4:5], null, s18, v8, v[2:3]
	v_lshl_or_b32 v14, v2, 8, v6
	s_mul_hi_u32 s18, s8, s15
	v_mad_i64_i32 v[2:3], null, s19, v11, v[0:1]
	s_mul_i32 s8, s8, s15
	s_add_i32 s9, s18, s9
	s_delay_alu instid0(VALU_DEP_3)
	v_lshlrev_b64 v[4:5], 3, v[4:5]
	s_lshl_b64 s[8:9], s[8:9], 3
	v_mov_b32_e32 v11, v1
	s_add_u32 s8, s16, s8
	s_mul_hi_u32 s16, s4, s15
	s_addc_u32 s9, s17, s9
	s_add_i32 s5, s16, s5
	s_mul_i32 s4, s4, s15
	v_lshlrev_b64 v[2:3], 3, v[2:3]
	s_lshl_b64 s[4:5], s[4:5], 3
	v_add_co_u32 v0, vcc_lo, s8, v4
	s_add_u32 s4, s10, s4
	v_add_co_ci_u32_e32 v4, vcc_lo, s9, v5, vcc_lo
	s_addc_u32 s5, s11, s5
	v_add_co_u32 v2, vcc_lo, s4, v2
	v_add_co_ci_u32_e32 v3, vcc_lo, s5, v3, vcc_lo
	v_add_co_u32 v5, vcc_lo, v0, 4
	v_add_co_ci_u32_e32 v6, vcc_lo, 0, v4, vcc_lo
	v_mov_b32_e32 v4, v1
	v_add_co_u32 v7, vcc_lo, v2, 4
	v_add_co_ci_u32_e32 v8, vcc_lo, 0, v3, vcc_lo
	v_mov_b32_e32 v0, v1
	v_mov_b32_e32 v2, v1
	;; [unrolled: 1-line block ×3, first 2 shown]
.LBB325_2:                              ; =>This Inner Loop Header: Depth=1
	global_load_b64 v[18:19], v[5:6], off offset:-4
	global_load_b64 v[20:21], v[7:8], off offset:-4
	v_add_co_u32 v5, vcc_lo, v5, 64
	v_add_co_ci_u32_e32 v6, vcc_lo, 0, v6, vcc_lo
	v_add_co_u32 v7, vcc_lo, v7, 64
	v_add_co_ci_u32_e32 v8, vcc_lo, 0, v8, vcc_lo
	s_add_i32 s14, s14, 8
	s_waitcnt vmcnt(1)
	ds_store_b64 v14, v[18:19]
	s_waitcnt vmcnt(0)
	ds_store_b64 v15, v[20:21]
	s_waitcnt lgkmcnt(0)
	s_barrier
	buffer_gl0_inv
	ds_load_2addr_b64 v[18:21], v12 offset1:16
	ds_load_b128 v[22:25], v17
	ds_load_b128 v[26:29], v17 offset:1024
	ds_load_2addr_b64 v[30:33], v12 offset0:32 offset1:48
	ds_load_b128 v[34:37], v17 offset:16
	ds_load_b128 v[38:41], v17 offset:32
	;; [unrolled: 1-line block ×3, first 2 shown]
	ds_load_2addr_b64 v[46:49], v12 offset0:64 offset1:80
	ds_load_b128 v[50:53], v17 offset:1040
	ds_load_2addr_b64 v[54:57], v12 offset0:96 offset1:112
	ds_load_2addr_b64 v[58:61], v12 offset0:128 offset1:144
	;; [unrolled: 1-line block ×4, first 2 shown]
	ds_load_b128 v[70:73], v17 offset:1056
	ds_load_b128 v[74:77], v17 offset:1072
	s_cmp_ge_i32 s14, s3
	s_waitcnt lgkmcnt(13)
	v_dual_mul_f32 v78, v23, v19 :: v_dual_mul_f32 v81, v22, v21
	s_waitcnt lgkmcnt(11)
	v_dual_mul_f32 v83, v26, v19 :: v_dual_mul_f32 v86, v25, v33
	v_mul_f32_e32 v84, v26, v21
	v_dual_mul_f32 v79, v22, v19 :: v_dual_mul_f32 v80, v23, v21
	v_mul_f32_e32 v82, v27, v19
	v_mul_f32_e32 v19, v27, v21
	;; [unrolled: 1-line block ×3, first 2 shown]
	v_dual_mul_f32 v85, v24, v31 :: v_dual_fmac_f32 v84, v27, v20
	v_fmac_f32_e32 v83, v27, v18
	v_mul_f32_e32 v27, v24, v33
	v_fma_f32 v78, v22, v18, -v78
	v_fmac_f32_e32 v79, v23, v18
	v_fmac_f32_e32 v81, v23, v20
	v_fma_f32 v23, v26, v18, -v82
	v_mul_f32_e32 v18, v29, v31
	v_fma_f32 v26, v26, v20, -v19
	v_mul_f32_e32 v31, v28, v31
	v_mul_f32_e32 v19, v29, v33
	v_fmac_f32_e32 v85, v25, v30
	v_fmac_f32_e32 v27, v25, v32
	v_mul_f32_e32 v25, v28, v33
	v_fma_f32 v22, v22, v20, -v80
	v_fma_f32 v80, v24, v30, -v21
	;; [unrolled: 1-line block ×3, first 2 shown]
	s_waitcnt lgkmcnt(7)
	v_mul_f32_e32 v20, v35, v47
	v_mul_f32_e32 v33, v34, v47
	;; [unrolled: 1-line block ×3, first 2 shown]
	v_fma_f32 v82, v28, v30, -v18
	v_fmac_f32_e32 v31, v29, v30
	v_fma_f32 v28, v28, v32, -v19
	v_fmac_f32_e32 v25, v29, v32
	s_waitcnt lgkmcnt(6)
	v_dual_mul_f32 v29, v34, v49 :: v_dual_mul_f32 v18, v51, v47
	v_dual_mul_f32 v30, v50, v47 :: v_dual_mul_f32 v19, v51, v49
	s_waitcnt lgkmcnt(5)
	v_dual_mul_f32 v32, v50, v49 :: v_dual_mul_f32 v49, v36, v55
	v_fma_f32 v87, v34, v46, -v20
	v_fmac_f32_e32 v33, v35, v46
	v_fmac_f32_e32 v29, v35, v48
	v_fma_f32 v35, v50, v46, -v18
	v_fmac_f32_e32 v30, v51, v46
	v_fma_f32 v46, v50, v48, -v19
	v_fmac_f32_e32 v32, v51, v48
	v_mul_f32_e32 v18, v53, v55
	v_fma_f32 v34, v34, v48, -v21
	v_dual_mul_f32 v48, v36, v57 :: v_dual_mul_f32 v47, v37, v55
	v_mul_f32_e32 v86, v37, v57
	v_dual_mul_f32 v50, v52, v55 :: v_dual_mul_f32 v19, v53, v57
	v_fmac_f32_e32 v49, v37, v54
	s_delay_alu instid0(VALU_DEP_4)
	v_dual_fmac_f32 v48, v37, v56 :: v_dual_mul_f32 v37, v52, v57
	v_fma_f32 v47, v36, v54, -v47
	v_fma_f32 v36, v36, v56, -v86
	s_waitcnt lgkmcnt(4)
	v_mul_f32_e32 v20, v39, v59
	v_mul_f32_e32 v51, v38, v59
	;; [unrolled: 1-line block ×3, first 2 shown]
	v_fma_f32 v55, v52, v54, -v18
	v_fmac_f32_e32 v50, v53, v54
	v_fmac_f32_e32 v37, v53, v56
	s_waitcnt lgkmcnt(1)
	v_dual_mul_f32 v53, v38, v61 :: v_dual_mul_f32 v18, v71, v59
	v_fma_f32 v52, v52, v56, -v19
	v_dual_mul_f32 v54, v70, v59 :: v_dual_mul_f32 v19, v71, v61
	v_dual_mul_f32 v56, v70, v61 :: v_dual_mul_f32 v57, v41, v63
	v_mul_f32_e32 v59, v40, v63
	v_dual_mul_f32 v61, v41, v65 :: v_dual_add_f32 v4, v4, v78
	v_fma_f32 v86, v38, v58, -v20
	v_fmac_f32_e32 v51, v39, v58
	v_fma_f32 v38, v38, v60, -v21
	v_dual_fmac_f32 v53, v39, v60 :: v_dual_add_f32 v16, v16, v79
	v_fma_f32 v39, v70, v58, -v18
	v_fmac_f32_e32 v54, v71, v58
	v_fma_f32 v58, v70, v60, -v19
	v_fmac_f32_e32 v56, v71, v60
	v_mul_f32_e32 v60, v40, v65
	v_dual_mul_f32 v19, v73, v65 :: v_dual_add_f32 v2, v2, v23
	v_mul_f32_e32 v18, v73, v63
	v_mul_f32_e32 v63, v72, v63
	v_fma_f32 v57, v40, v62, -v57
	v_dual_fmac_f32 v59, v41, v62 :: v_dual_add_f32 v4, v4, v80
	v_fma_f32 v40, v40, v64, -v61
	v_dual_fmac_f32 v60, v41, v64 :: v_dual_mul_f32 v61, v42, v67
	v_add_f32_e32 v0, v0, v26
	v_dual_add_f32 v2, v2, v82 :: v_dual_mul_f32 v41, v72, v65
	v_mul_f32_e32 v20, v43, v67
	s_delay_alu instid0(VALU_DEP_3)
	v_dual_mul_f32 v21, v43, v69 :: v_dual_add_f32 v0, v0, v28
	v_fma_f32 v65, v72, v62, -v18
	v_dual_fmac_f32 v63, v73, v62 :: v_dual_add_f32 v16, v16, v85
	v_fma_f32 v62, v72, v64, -v19
	s_waitcnt lgkmcnt(0)
	v_mul_f32_e32 v18, v75, v67
	v_mul_f32_e32 v67, v74, v67
	v_dual_mul_f32 v19, v75, v69 :: v_dual_add_f32 v0, v0, v46
	v_dual_add_f32 v2, v2, v35 :: v_dual_fmac_f32 v41, v73, v64
	v_add_f32_e32 v4, v4, v87
	v_mul_f32_e32 v64, v42, v69
	v_fma_f32 v70, v42, v66, -v20
	v_fma_f32 v42, v42, v68, -v21
	v_dual_add_f32 v16, v16, v33 :: v_dual_fmac_f32 v61, v43, v66
	s_delay_alu instid0(VALU_DEP_4)
	v_fmac_f32_e32 v64, v43, v68
	v_fma_f32 v43, v74, v66, -v18
	v_dual_fmac_f32 v67, v75, v66 :: v_dual_add_f32 v2, v2, v55
	v_fma_f32 v66, v74, v68, -v19
	ds_load_2addr_b64 v[18:21], v12 offset0:224 offset1:240
	v_dual_mul_f32 v69, v74, v69 :: v_dual_add_f32 v4, v4, v47
	v_dual_add_f32 v3, v3, v22 :: v_dual_add_f32 v2, v2, v39
	s_delay_alu instid0(VALU_DEP_2) | instskip(NEXT) | instid1(VALU_DEP_3)
	v_dual_add_f32 v16, v16, v49 :: v_dual_fmac_f32 v69, v75, v68
	v_add_f32_e32 v4, v4, v86
	v_add_f32_e32 v0, v0, v52
	s_delay_alu instid0(VALU_DEP_4)
	v_add_f32_e32 v2, v2, v65
	s_waitcnt lgkmcnt(0)
	s_barrier
	v_add_f32_e32 v4, v4, v57
	v_add_f32_e32 v0, v0, v58
	v_dual_add_f32 v2, v2, v43 :: v_dual_add_f32 v13, v13, v81
	s_delay_alu instid0(VALU_DEP_3) | instskip(NEXT) | instid1(VALU_DEP_3)
	v_dual_add_f32 v11, v11, v83 :: v_dual_add_f32 v4, v4, v70
	v_dual_add_f32 v0, v0, v62 :: v_dual_add_f32 v3, v3, v24
	v_mul_f32_e32 v68, v45, v19
	v_dual_mul_f32 v72, v45, v21 :: v_dual_mul_f32 v71, v44, v19
	s_delay_alu instid0(VALU_DEP_3) | instskip(NEXT) | instid1(VALU_DEP_4)
	v_add_f32_e32 v0, v0, v66
	v_add_f32_e32 v3, v3, v34
	s_delay_alu instid0(VALU_DEP_4) | instskip(NEXT) | instid1(VALU_DEP_4)
	v_fma_f32 v68, v44, v18, -v68
	v_fma_f32 v72, v44, v20, -v72
	v_dual_mul_f32 v44, v44, v21 :: v_dual_fmac_f32 v71, v45, v18
	v_dual_mul_f32 v73, v77, v21 :: v_dual_add_f32 v16, v16, v51
	s_delay_alu instid0(VALU_DEP_2) | instskip(SKIP_2) | instid1(VALU_DEP_3)
	v_dual_mul_f32 v21, v76, v21 :: v_dual_fmac_f32 v44, v45, v20
	v_mul_f32_e32 v45, v77, v19
	v_dual_add_f32 v13, v13, v27 :: v_dual_add_f32 v4, v4, v68
	v_dual_fmac_f32 v21, v77, v20 :: v_dual_add_f32 v16, v16, v59
	s_delay_alu instid0(VALU_DEP_3) | instskip(SKIP_4) | instid1(VALU_DEP_4)
	v_fma_f32 v45, v76, v18, -v45
	v_mul_f32_e32 v19, v76, v19
	v_add_f32_e32 v1, v1, v84
	v_add_f32_e32 v13, v13, v29
	;; [unrolled: 1-line block ×3, first 2 shown]
	v_dual_add_f32 v2, v2, v45 :: v_dual_fmac_f32 v19, v77, v18
	v_fma_f32 v18, v76, v20, -v73
	v_add_f32_e32 v11, v11, v31
	s_delay_alu instid0(VALU_DEP_4) | instskip(NEXT) | instid1(VALU_DEP_3)
	v_dual_add_f32 v1, v1, v25 :: v_dual_add_f32 v16, v16, v71
	v_dual_add_f32 v3, v3, v36 :: v_dual_add_f32 v0, v0, v18
	s_delay_alu instid0(VALU_DEP_3) | instskip(NEXT) | instid1(VALU_DEP_3)
	v_add_f32_e32 v11, v11, v30
	v_add_f32_e32 v1, v1, v32
	;; [unrolled: 1-line block ×3, first 2 shown]
	s_delay_alu instid0(VALU_DEP_4)
	v_add_f32_e32 v3, v3, v38
	buffer_gl0_inv
	v_add_f32_e32 v11, v11, v50
	v_add_f32_e32 v1, v1, v37
	;; [unrolled: 1-line block ×4, first 2 shown]
	s_delay_alu instid0(VALU_DEP_4) | instskip(NEXT) | instid1(VALU_DEP_4)
	v_add_f32_e32 v11, v11, v54
	v_add_f32_e32 v1, v1, v56
	s_delay_alu instid0(VALU_DEP_4) | instskip(NEXT) | instid1(VALU_DEP_4)
	v_add_f32_e32 v13, v13, v60
	v_add_f32_e32 v3, v3, v42
	;; [unrolled: 3-line block ×5, first 2 shown]
	s_delay_alu instid0(VALU_DEP_4) | instskip(NEXT) | instid1(VALU_DEP_3)
	v_add_f32_e32 v13, v13, v44
	v_add_f32_e32 v11, v11, v19
	s_delay_alu instid0(VALU_DEP_3)
	v_add_f32_e32 v1, v1, v21
	s_cbranch_scc0 .LBB325_2
.LBB325_3:
	s_clause 0x1
	s_load_b32 s3, s[0:1], 0x40
	s_load_b64 s[0:1], s[0:1], 0x48
	v_add_nc_u32_e32 v10, s13, v10
	v_add_nc_u32_e32 v6, s12, v9
	s_delay_alu instid0(VALU_DEP_2)
	v_cmp_gt_i32_e32 vcc_lo, s2, v10
	s_waitcnt lgkmcnt(0)
	v_mad_i64_i32 v[7:8], null, v10, s3, 0
	s_mul_i32 s1, s15, s1
	s_mul_hi_u32 s4, s15, s0
	s_mul_i32 s0, s15, s0
	s_add_i32 s1, s4, s1
	s_delay_alu instid0(SALU_CYCLE_1) | instskip(NEXT) | instid1(VALU_DEP_1)
	s_lshl_b64 s[4:5], s[0:1], 3
	v_lshlrev_b64 v[7:8], 3, v[7:8]
	s_add_u32 s4, s6, s4
	v_cmp_le_i32_e64 s0, v6, v10
	s_addc_u32 s5, s7, s5
	s_delay_alu instid0(VALU_DEP_2) | instskip(NEXT) | instid1(VALU_DEP_1)
	v_add_co_u32 v12, s1, s4, v7
	v_add_co_ci_u32_e64 v14, s1, s5, v8, s1
	s_delay_alu instid0(VALU_DEP_3) | instskip(NEXT) | instid1(SALU_CYCLE_1)
	s_and_b32 s0, vcc_lo, s0
	s_and_saveexec_b32 s1, s0
	s_cbranch_execz .LBB325_5
; %bb.4:
	v_ashrrev_i32_e32 v7, 31, v6
	s_delay_alu instid0(VALU_DEP_1) | instskip(NEXT) | instid1(VALU_DEP_1)
	v_lshlrev_b64 v[7:8], 3, v[6:7]
	v_add_co_u32 v7, s0, v12, v7
	s_delay_alu instid0(VALU_DEP_1) | instskip(SKIP_1) | instid1(VALU_DEP_1)
	v_add_co_ci_u32_e64 v8, s0, v14, v8, s0
	v_cmp_ne_u32_e64 s0, v10, v6
	v_cndmask_b32_e64 v5, 0, v16, s0
	global_store_b64 v[7:8], v[4:5], off
.LBB325_5:
	s_or_b32 exec_lo, exec_lo, s1
	v_add_nc_u32_e32 v8, 16, v6
	s_delay_alu instid0(VALU_DEP_1) | instskip(NEXT) | instid1(VALU_DEP_1)
	v_cmp_le_i32_e64 s0, v8, v10
	s_and_b32 s1, vcc_lo, s0
	s_delay_alu instid0(SALU_CYCLE_1)
	s_and_saveexec_b32 s0, s1
	s_cbranch_execz .LBB325_7
; %bb.6:
	v_ashrrev_i32_e32 v9, 31, v8
	s_delay_alu instid0(VALU_DEP_1) | instskip(NEXT) | instid1(VALU_DEP_1)
	v_lshlrev_b64 v[4:5], 3, v[8:9]
	v_add_co_u32 v15, vcc_lo, v12, v4
	s_delay_alu instid0(VALU_DEP_2)
	v_add_co_ci_u32_e32 v16, vcc_lo, v14, v5, vcc_lo
	v_cmp_ne_u32_e32 vcc_lo, v10, v8
	v_cndmask_b32_e32 v4, 0, v13, vcc_lo
	global_store_b64 v[15:16], v[3:4], off
.LBB325_7:
	s_or_b32 exec_lo, exec_lo, s0
	v_add_nc_u32_e32 v9, 16, v10
	s_delay_alu instid0(VALU_DEP_1) | instskip(SKIP_2) | instid1(VALU_DEP_1)
	v_mad_i64_i32 v[3:4], null, v9, s3, 0
	v_cmp_gt_i32_e32 vcc_lo, s2, v9
	v_cmp_le_i32_e64 s0, v6, v9
	s_and_b32 s0, vcc_lo, s0
	s_delay_alu instid0(VALU_DEP_3) | instskip(NEXT) | instid1(VALU_DEP_1)
	v_lshlrev_b64 v[4:5], 3, v[3:4]
	v_add_co_u32 v4, s1, s4, v4
	s_delay_alu instid0(VALU_DEP_1)
	v_add_co_ci_u32_e64 v5, s1, s5, v5, s1
	s_and_saveexec_b32 s1, s0
	s_cbranch_execz .LBB325_9
; %bb.8:
	v_ashrrev_i32_e32 v7, 31, v6
	s_delay_alu instid0(VALU_DEP_1) | instskip(NEXT) | instid1(VALU_DEP_1)
	v_lshlrev_b64 v[12:13], 3, v[6:7]
	v_add_co_u32 v12, s0, v4, v12
	s_delay_alu instid0(VALU_DEP_1) | instskip(SKIP_1) | instid1(VALU_DEP_1)
	v_add_co_ci_u32_e64 v13, s0, v5, v13, s0
	v_cmp_ne_u32_e64 s0, v9, v6
	v_cndmask_b32_e64 v3, 0, v11, s0
	global_store_b64 v[12:13], v[2:3], off
.LBB325_9:
	s_or_b32 exec_lo, exec_lo, s1
	v_cmp_le_i32_e64 s0, v8, v9
	s_delay_alu instid0(VALU_DEP_1) | instskip(NEXT) | instid1(SALU_CYCLE_1)
	s_and_b32 s0, vcc_lo, s0
	s_and_saveexec_b32 s1, s0
	s_cbranch_execz .LBB325_11
; %bb.10:
	v_ashrrev_i32_e32 v9, 31, v8
	s_delay_alu instid0(VALU_DEP_1) | instskip(NEXT) | instid1(VALU_DEP_1)
	v_lshlrev_b64 v[2:3], 3, v[8:9]
	v_add_co_u32 v2, vcc_lo, v4, v2
	s_delay_alu instid0(VALU_DEP_2)
	v_add_co_ci_u32_e32 v3, vcc_lo, v5, v3, vcc_lo
	v_cmp_ne_u32_e32 vcc_lo, v10, v6
	v_cndmask_b32_e32 v1, 0, v1, vcc_lo
	global_store_b64 v[2:3], v[0:1], off
.LBB325_11:
	s_nop 0
	s_sendmsg sendmsg(MSG_DEALLOC_VGPRS)
	s_endpgm
	.section	.rodata,"a",@progbits
	.p2align	6, 0x0
	.amdhsa_kernel _ZL37rocblas_syrkx_herkx_restricted_kernelIi19rocblas_complex_numIfELi16ELi32ELi8ELi1ELi0ELb1ELc84ELc85EKS1_S1_EviT_PT9_S3_lS5_S3_lPT10_S3_li
		.amdhsa_group_segment_fixed_size 4096
		.amdhsa_private_segment_fixed_size 0
		.amdhsa_kernarg_size 84
		.amdhsa_user_sgpr_count 13
		.amdhsa_user_sgpr_dispatch_ptr 0
		.amdhsa_user_sgpr_queue_ptr 0
		.amdhsa_user_sgpr_kernarg_segment_ptr 1
		.amdhsa_user_sgpr_dispatch_id 0
		.amdhsa_user_sgpr_private_segment_size 0
		.amdhsa_wavefront_size32 1
		.amdhsa_uses_dynamic_stack 0
		.amdhsa_enable_private_segment 0
		.amdhsa_system_sgpr_workgroup_id_x 1
		.amdhsa_system_sgpr_workgroup_id_y 1
		.amdhsa_system_sgpr_workgroup_id_z 1
		.amdhsa_system_sgpr_workgroup_info 0
		.amdhsa_system_vgpr_workitem_id 1
		.amdhsa_next_free_vgpr 88
		.amdhsa_next_free_sgpr 20
		.amdhsa_reserve_vcc 1
		.amdhsa_float_round_mode_32 0
		.amdhsa_float_round_mode_16_64 0
		.amdhsa_float_denorm_mode_32 3
		.amdhsa_float_denorm_mode_16_64 3
		.amdhsa_dx10_clamp 1
		.amdhsa_ieee_mode 1
		.amdhsa_fp16_overflow 0
		.amdhsa_workgroup_processor_mode 1
		.amdhsa_memory_ordered 1
		.amdhsa_forward_progress 0
		.amdhsa_shared_vgpr_count 0
		.amdhsa_exception_fp_ieee_invalid_op 0
		.amdhsa_exception_fp_denorm_src 0
		.amdhsa_exception_fp_ieee_div_zero 0
		.amdhsa_exception_fp_ieee_overflow 0
		.amdhsa_exception_fp_ieee_underflow 0
		.amdhsa_exception_fp_ieee_inexact 0
		.amdhsa_exception_int_div_zero 0
	.end_amdhsa_kernel
	.section	.text._ZL37rocblas_syrkx_herkx_restricted_kernelIi19rocblas_complex_numIfELi16ELi32ELi8ELi1ELi0ELb1ELc84ELc85EKS1_S1_EviT_PT9_S3_lS5_S3_lPT10_S3_li,"axG",@progbits,_ZL37rocblas_syrkx_herkx_restricted_kernelIi19rocblas_complex_numIfELi16ELi32ELi8ELi1ELi0ELb1ELc84ELc85EKS1_S1_EviT_PT9_S3_lS5_S3_lPT10_S3_li,comdat
.Lfunc_end325:
	.size	_ZL37rocblas_syrkx_herkx_restricted_kernelIi19rocblas_complex_numIfELi16ELi32ELi8ELi1ELi0ELb1ELc84ELc85EKS1_S1_EviT_PT9_S3_lS5_S3_lPT10_S3_li, .Lfunc_end325-_ZL37rocblas_syrkx_herkx_restricted_kernelIi19rocblas_complex_numIfELi16ELi32ELi8ELi1ELi0ELb1ELc84ELc85EKS1_S1_EviT_PT9_S3_lS5_S3_lPT10_S3_li
                                        ; -- End function
	.section	.AMDGPU.csdata,"",@progbits
; Kernel info:
; codeLenInByte = 2140
; NumSgprs: 22
; NumVgprs: 88
; ScratchSize: 0
; MemoryBound: 0
; FloatMode: 240
; IeeeMode: 1
; LDSByteSize: 4096 bytes/workgroup (compile time only)
; SGPRBlocks: 2
; VGPRBlocks: 10
; NumSGPRsForWavesPerEU: 22
; NumVGPRsForWavesPerEU: 88
; Occupancy: 16
; WaveLimiterHint : 0
; COMPUTE_PGM_RSRC2:SCRATCH_EN: 0
; COMPUTE_PGM_RSRC2:USER_SGPR: 13
; COMPUTE_PGM_RSRC2:TRAP_HANDLER: 0
; COMPUTE_PGM_RSRC2:TGID_X_EN: 1
; COMPUTE_PGM_RSRC2:TGID_Y_EN: 1
; COMPUTE_PGM_RSRC2:TGID_Z_EN: 1
; COMPUTE_PGM_RSRC2:TIDIG_COMP_CNT: 1
	.section	.text._ZL37rocblas_syrkx_herkx_restricted_kernelIi19rocblas_complex_numIfELi16ELi32ELi8ELi1ELi0ELb1ELc67ELc85EKS1_S1_EviT_PT9_S3_lS5_S3_lPT10_S3_li,"axG",@progbits,_ZL37rocblas_syrkx_herkx_restricted_kernelIi19rocblas_complex_numIfELi16ELi32ELi8ELi1ELi0ELb1ELc67ELc85EKS1_S1_EviT_PT9_S3_lS5_S3_lPT10_S3_li,comdat
	.globl	_ZL37rocblas_syrkx_herkx_restricted_kernelIi19rocblas_complex_numIfELi16ELi32ELi8ELi1ELi0ELb1ELc67ELc85EKS1_S1_EviT_PT9_S3_lS5_S3_lPT10_S3_li ; -- Begin function _ZL37rocblas_syrkx_herkx_restricted_kernelIi19rocblas_complex_numIfELi16ELi32ELi8ELi1ELi0ELb1ELc67ELc85EKS1_S1_EviT_PT9_S3_lS5_S3_lPT10_S3_li
	.p2align	8
	.type	_ZL37rocblas_syrkx_herkx_restricted_kernelIi19rocblas_complex_numIfELi16ELi32ELi8ELi1ELi0ELb1ELc67ELc85EKS1_S1_EviT_PT9_S3_lS5_S3_lPT10_S3_li,@function
_ZL37rocblas_syrkx_herkx_restricted_kernelIi19rocblas_complex_numIfELi16ELi32ELi8ELi1ELi0ELb1ELc67ELc85EKS1_S1_EviT_PT9_S3_lS5_S3_lPT10_S3_li: ; @_ZL37rocblas_syrkx_herkx_restricted_kernelIi19rocblas_complex_numIfELi16ELi32ELi8ELi1ELi0ELb1ELc67ELc85EKS1_S1_EviT_PT9_S3_lS5_S3_lPT10_S3_li
; %bb.0:
	s_clause 0x1
	s_load_b64 s[2:3], s[0:1], 0x0
	s_load_b128 s[4:7], s[0:1], 0x30
	v_dual_mov_b32 v4, 0 :: v_dual_and_b32 v9, 0x3ff, v0
	v_bfe_u32 v10, v0, 10, 10
	v_dual_mov_b32 v16, 0 :: v_dual_mov_b32 v3, 0
	v_dual_mov_b32 v13, 0 :: v_dual_mov_b32 v2, 0
	v_dual_mov_b32 v11, 0 :: v_dual_mov_b32 v0, 0
	v_mov_b32_e32 v1, 0
	s_lshl_b32 s12, s13, 5
	s_lshl_b32 s13, s14, 5
	s_mov_b32 s14, 0
	s_waitcnt lgkmcnt(0)
	s_cmp_lt_i32 s3, 1
	s_cbranch_scc1 .LBB326_3
; %bb.1:
	s_clause 0x3
	s_load_b32 s18, s[0:1], 0x10
	s_load_b128 s[8:11], s[0:1], 0x18
	s_load_b64 s[16:17], s[0:1], 0x8
	s_load_b32 s19, s[0:1], 0x28
	v_lshl_add_u32 v2, v10, 4, v9
	v_dual_mov_b32 v1, 0 :: v_dual_and_b32 v0, 7, v9
	v_lshlrev_b32_e32 v12, 3, v9
	s_mul_i32 s5, s5, s15
	s_delay_alu instid0(VALU_DEP_3)
	v_lshrrev_b32_e32 v4, 3, v2
	v_and_b32_e32 v5, 31, v2
	v_lshlrev_b32_e32 v3, 3, v0
	v_lshrrev_b32_e32 v2, 5, v2
	v_mov_b32_e32 v13, v1
	v_dual_mov_b32 v16, v1 :: v_dual_add_nc_u32 v11, s13, v4
	s_delay_alu instid0(VALU_DEP_4) | instskip(SKIP_3) | instid1(VALU_DEP_4)
	v_lshl_or_b32 v7, v4, 6, v3
	v_dual_mov_b32 v3, v1 :: v_dual_add_nc_u32 v8, s12, v5
	v_lshlrev_b32_e32 v6, 3, v5
	v_lshl_add_u32 v17, v10, 6, 0x800
	v_add_nc_u32_e32 v15, 0x800, v7
	s_waitcnt lgkmcnt(0)
	s_mul_i32 s9, s9, s15
	v_mad_i64_i32 v[4:5], null, s18, v8, v[2:3]
	v_lshl_or_b32 v14, v2, 8, v6
	s_mul_hi_u32 s18, s8, s15
	v_mad_i64_i32 v[2:3], null, s19, v11, v[0:1]
	s_mul_i32 s8, s8, s15
	s_add_i32 s9, s18, s9
	s_delay_alu instid0(VALU_DEP_3)
	v_lshlrev_b64 v[4:5], 3, v[4:5]
	s_lshl_b64 s[8:9], s[8:9], 3
	v_mov_b32_e32 v11, v1
	s_add_u32 s8, s16, s8
	s_mul_hi_u32 s16, s4, s15
	s_addc_u32 s9, s17, s9
	s_add_i32 s5, s16, s5
	s_mul_i32 s4, s4, s15
	v_lshlrev_b64 v[2:3], 3, v[2:3]
	s_lshl_b64 s[4:5], s[4:5], 3
	v_add_co_u32 v0, vcc_lo, s8, v4
	s_add_u32 s4, s10, s4
	v_add_co_ci_u32_e32 v4, vcc_lo, s9, v5, vcc_lo
	s_addc_u32 s5, s11, s5
	v_add_co_u32 v2, vcc_lo, s4, v2
	v_add_co_ci_u32_e32 v3, vcc_lo, s5, v3, vcc_lo
	v_add_co_u32 v5, vcc_lo, v0, 4
	v_add_co_ci_u32_e32 v6, vcc_lo, 0, v4, vcc_lo
	v_mov_b32_e32 v4, v1
	v_add_co_u32 v7, vcc_lo, v2, 4
	v_add_co_ci_u32_e32 v8, vcc_lo, 0, v3, vcc_lo
	v_mov_b32_e32 v0, v1
	v_mov_b32_e32 v2, v1
	;; [unrolled: 1-line block ×3, first 2 shown]
.LBB326_2:                              ; =>This Inner Loop Header: Depth=1
	global_load_b64 v[18:19], v[5:6], off offset:-4
	global_load_b64 v[20:21], v[7:8], off offset:-4
	v_add_co_u32 v5, vcc_lo, v5, 64
	v_add_co_ci_u32_e32 v6, vcc_lo, 0, v6, vcc_lo
	v_add_co_u32 v7, vcc_lo, v7, 64
	v_add_co_ci_u32_e32 v8, vcc_lo, 0, v8, vcc_lo
	s_add_i32 s14, s14, 8
	s_delay_alu instid0(SALU_CYCLE_1)
	s_cmp_ge_i32 s14, s3
	s_waitcnt vmcnt(1)
	v_xor_b32_e32 v19, 0x80000000, v19
	ds_store_b64 v14, v[18:19]
	s_waitcnt vmcnt(0)
	ds_store_b64 v15, v[20:21]
	s_waitcnt lgkmcnt(0)
	s_barrier
	buffer_gl0_inv
	ds_load_2addr_b64 v[18:21], v12 offset1:16
	ds_load_b128 v[22:25], v17
	ds_load_b128 v[26:29], v17 offset:1024
	ds_load_2addr_b64 v[30:33], v12 offset0:32 offset1:48
	ds_load_b128 v[34:37], v17 offset:16
	ds_load_b128 v[38:41], v17 offset:32
	;; [unrolled: 1-line block ×3, first 2 shown]
	ds_load_2addr_b64 v[46:49], v12 offset0:64 offset1:80
	ds_load_b128 v[50:53], v17 offset:1040
	ds_load_2addr_b64 v[54:57], v12 offset0:96 offset1:112
	ds_load_2addr_b64 v[58:61], v12 offset0:128 offset1:144
	;; [unrolled: 1-line block ×4, first 2 shown]
	ds_load_b128 v[70:73], v17 offset:1056
	ds_load_b128 v[74:77], v17 offset:1072
	s_waitcnt lgkmcnt(13)
	v_dual_mul_f32 v78, v23, v19 :: v_dual_mul_f32 v81, v22, v21
	s_waitcnt lgkmcnt(11)
	v_dual_mul_f32 v83, v26, v19 :: v_dual_mul_f32 v86, v25, v33
	v_mul_f32_e32 v84, v26, v21
	v_dual_mul_f32 v79, v22, v19 :: v_dual_mul_f32 v80, v23, v21
	v_mul_f32_e32 v82, v27, v19
	v_mul_f32_e32 v19, v27, v21
	;; [unrolled: 1-line block ×3, first 2 shown]
	v_dual_mul_f32 v85, v24, v31 :: v_dual_fmac_f32 v84, v27, v20
	v_fmac_f32_e32 v83, v27, v18
	v_mul_f32_e32 v27, v24, v33
	v_fma_f32 v78, v22, v18, -v78
	v_fmac_f32_e32 v79, v23, v18
	v_fmac_f32_e32 v81, v23, v20
	v_fma_f32 v23, v26, v18, -v82
	v_mul_f32_e32 v18, v29, v31
	v_fma_f32 v26, v26, v20, -v19
	v_mul_f32_e32 v31, v28, v31
	v_mul_f32_e32 v19, v29, v33
	v_fmac_f32_e32 v85, v25, v30
	v_fmac_f32_e32 v27, v25, v32
	v_mul_f32_e32 v25, v28, v33
	v_fma_f32 v22, v22, v20, -v80
	v_fma_f32 v80, v24, v30, -v21
	;; [unrolled: 1-line block ×3, first 2 shown]
	s_waitcnt lgkmcnt(7)
	v_mul_f32_e32 v20, v35, v47
	v_mul_f32_e32 v33, v34, v47
	;; [unrolled: 1-line block ×3, first 2 shown]
	v_fma_f32 v82, v28, v30, -v18
	v_fmac_f32_e32 v31, v29, v30
	v_fma_f32 v28, v28, v32, -v19
	v_fmac_f32_e32 v25, v29, v32
	s_waitcnt lgkmcnt(6)
	v_dual_mul_f32 v29, v34, v49 :: v_dual_mul_f32 v18, v51, v47
	v_dual_mul_f32 v30, v50, v47 :: v_dual_mul_f32 v19, v51, v49
	s_waitcnt lgkmcnt(5)
	v_dual_mul_f32 v32, v50, v49 :: v_dual_mul_f32 v49, v36, v55
	v_fma_f32 v87, v34, v46, -v20
	v_fmac_f32_e32 v33, v35, v46
	v_fmac_f32_e32 v29, v35, v48
	v_fma_f32 v35, v50, v46, -v18
	v_fmac_f32_e32 v30, v51, v46
	v_fma_f32 v46, v50, v48, -v19
	v_fmac_f32_e32 v32, v51, v48
	v_mul_f32_e32 v18, v53, v55
	v_fma_f32 v34, v34, v48, -v21
	v_dual_mul_f32 v48, v36, v57 :: v_dual_mul_f32 v47, v37, v55
	v_mul_f32_e32 v86, v37, v57
	v_dual_mul_f32 v50, v52, v55 :: v_dual_mul_f32 v19, v53, v57
	v_fmac_f32_e32 v49, v37, v54
	s_delay_alu instid0(VALU_DEP_4)
	v_dual_fmac_f32 v48, v37, v56 :: v_dual_mul_f32 v37, v52, v57
	v_fma_f32 v47, v36, v54, -v47
	v_fma_f32 v36, v36, v56, -v86
	s_waitcnt lgkmcnt(4)
	v_mul_f32_e32 v20, v39, v59
	v_mul_f32_e32 v51, v38, v59
	;; [unrolled: 1-line block ×3, first 2 shown]
	v_fma_f32 v55, v52, v54, -v18
	v_fmac_f32_e32 v50, v53, v54
	v_fmac_f32_e32 v37, v53, v56
	s_waitcnt lgkmcnt(1)
	v_dual_mul_f32 v53, v38, v61 :: v_dual_mul_f32 v18, v71, v59
	v_fma_f32 v52, v52, v56, -v19
	v_dual_mul_f32 v54, v70, v59 :: v_dual_mul_f32 v19, v71, v61
	v_dual_mul_f32 v56, v70, v61 :: v_dual_mul_f32 v57, v41, v63
	v_mul_f32_e32 v59, v40, v63
	v_dual_mul_f32 v61, v41, v65 :: v_dual_add_f32 v4, v4, v78
	v_fma_f32 v86, v38, v58, -v20
	v_fmac_f32_e32 v51, v39, v58
	v_fma_f32 v38, v38, v60, -v21
	v_dual_fmac_f32 v53, v39, v60 :: v_dual_add_f32 v16, v16, v79
	v_fma_f32 v39, v70, v58, -v18
	v_fmac_f32_e32 v54, v71, v58
	v_fma_f32 v58, v70, v60, -v19
	v_fmac_f32_e32 v56, v71, v60
	v_mul_f32_e32 v60, v40, v65
	v_dual_mul_f32 v19, v73, v65 :: v_dual_add_f32 v2, v2, v23
	v_mul_f32_e32 v18, v73, v63
	v_mul_f32_e32 v63, v72, v63
	v_fma_f32 v57, v40, v62, -v57
	v_dual_fmac_f32 v59, v41, v62 :: v_dual_add_f32 v4, v4, v80
	v_fma_f32 v40, v40, v64, -v61
	v_dual_fmac_f32 v60, v41, v64 :: v_dual_mul_f32 v61, v42, v67
	v_add_f32_e32 v0, v0, v26
	v_dual_add_f32 v2, v2, v82 :: v_dual_mul_f32 v41, v72, v65
	v_mul_f32_e32 v20, v43, v67
	s_delay_alu instid0(VALU_DEP_3)
	v_dual_mul_f32 v21, v43, v69 :: v_dual_add_f32 v0, v0, v28
	v_fma_f32 v65, v72, v62, -v18
	v_dual_fmac_f32 v63, v73, v62 :: v_dual_add_f32 v16, v16, v85
	v_fma_f32 v62, v72, v64, -v19
	s_waitcnt lgkmcnt(0)
	v_mul_f32_e32 v18, v75, v67
	v_mul_f32_e32 v67, v74, v67
	v_dual_mul_f32 v19, v75, v69 :: v_dual_add_f32 v0, v0, v46
	v_dual_add_f32 v2, v2, v35 :: v_dual_fmac_f32 v41, v73, v64
	v_add_f32_e32 v4, v4, v87
	v_mul_f32_e32 v64, v42, v69
	v_fma_f32 v70, v42, v66, -v20
	v_fma_f32 v42, v42, v68, -v21
	v_dual_add_f32 v16, v16, v33 :: v_dual_fmac_f32 v61, v43, v66
	s_delay_alu instid0(VALU_DEP_4)
	v_fmac_f32_e32 v64, v43, v68
	v_fma_f32 v43, v74, v66, -v18
	v_dual_fmac_f32 v67, v75, v66 :: v_dual_add_f32 v2, v2, v55
	v_fma_f32 v66, v74, v68, -v19
	ds_load_2addr_b64 v[18:21], v12 offset0:224 offset1:240
	v_dual_mul_f32 v69, v74, v69 :: v_dual_add_f32 v4, v4, v47
	v_dual_add_f32 v3, v3, v22 :: v_dual_add_f32 v2, v2, v39
	s_delay_alu instid0(VALU_DEP_2) | instskip(NEXT) | instid1(VALU_DEP_3)
	v_dual_add_f32 v16, v16, v49 :: v_dual_fmac_f32 v69, v75, v68
	v_add_f32_e32 v4, v4, v86
	v_add_f32_e32 v0, v0, v52
	s_delay_alu instid0(VALU_DEP_4)
	v_add_f32_e32 v2, v2, v65
	s_waitcnt lgkmcnt(0)
	s_barrier
	v_add_f32_e32 v4, v4, v57
	v_add_f32_e32 v0, v0, v58
	v_dual_add_f32 v2, v2, v43 :: v_dual_add_f32 v13, v13, v81
	s_delay_alu instid0(VALU_DEP_3) | instskip(NEXT) | instid1(VALU_DEP_3)
	v_dual_add_f32 v11, v11, v83 :: v_dual_add_f32 v4, v4, v70
	v_dual_add_f32 v0, v0, v62 :: v_dual_add_f32 v3, v3, v24
	v_mul_f32_e32 v68, v45, v19
	v_dual_mul_f32 v72, v45, v21 :: v_dual_mul_f32 v71, v44, v19
	s_delay_alu instid0(VALU_DEP_3) | instskip(NEXT) | instid1(VALU_DEP_4)
	v_add_f32_e32 v0, v0, v66
	v_add_f32_e32 v3, v3, v34
	s_delay_alu instid0(VALU_DEP_4) | instskip(NEXT) | instid1(VALU_DEP_4)
	v_fma_f32 v68, v44, v18, -v68
	v_fma_f32 v72, v44, v20, -v72
	v_dual_mul_f32 v44, v44, v21 :: v_dual_fmac_f32 v71, v45, v18
	v_dual_mul_f32 v73, v77, v21 :: v_dual_add_f32 v16, v16, v51
	s_delay_alu instid0(VALU_DEP_2) | instskip(SKIP_2) | instid1(VALU_DEP_3)
	v_dual_mul_f32 v21, v76, v21 :: v_dual_fmac_f32 v44, v45, v20
	v_mul_f32_e32 v45, v77, v19
	v_dual_add_f32 v13, v13, v27 :: v_dual_add_f32 v4, v4, v68
	v_dual_fmac_f32 v21, v77, v20 :: v_dual_add_f32 v16, v16, v59
	s_delay_alu instid0(VALU_DEP_3) | instskip(SKIP_4) | instid1(VALU_DEP_4)
	v_fma_f32 v45, v76, v18, -v45
	v_mul_f32_e32 v19, v76, v19
	v_add_f32_e32 v1, v1, v84
	v_add_f32_e32 v13, v13, v29
	;; [unrolled: 1-line block ×3, first 2 shown]
	v_dual_add_f32 v2, v2, v45 :: v_dual_fmac_f32 v19, v77, v18
	v_fma_f32 v18, v76, v20, -v73
	v_add_f32_e32 v11, v11, v31
	s_delay_alu instid0(VALU_DEP_4) | instskip(NEXT) | instid1(VALU_DEP_3)
	v_dual_add_f32 v1, v1, v25 :: v_dual_add_f32 v16, v16, v71
	v_dual_add_f32 v3, v3, v36 :: v_dual_add_f32 v0, v0, v18
	s_delay_alu instid0(VALU_DEP_3) | instskip(NEXT) | instid1(VALU_DEP_3)
	v_add_f32_e32 v11, v11, v30
	v_add_f32_e32 v1, v1, v32
	;; [unrolled: 1-line block ×3, first 2 shown]
	s_delay_alu instid0(VALU_DEP_4)
	v_add_f32_e32 v3, v3, v38
	buffer_gl0_inv
	v_add_f32_e32 v11, v11, v50
	v_add_f32_e32 v1, v1, v37
	;; [unrolled: 1-line block ×4, first 2 shown]
	s_delay_alu instid0(VALU_DEP_4) | instskip(NEXT) | instid1(VALU_DEP_4)
	v_add_f32_e32 v11, v11, v54
	v_add_f32_e32 v1, v1, v56
	s_delay_alu instid0(VALU_DEP_4) | instskip(NEXT) | instid1(VALU_DEP_4)
	v_add_f32_e32 v13, v13, v60
	v_add_f32_e32 v3, v3, v42
	;; [unrolled: 3-line block ×5, first 2 shown]
	s_delay_alu instid0(VALU_DEP_4) | instskip(NEXT) | instid1(VALU_DEP_3)
	v_add_f32_e32 v13, v13, v44
	v_add_f32_e32 v11, v11, v19
	s_delay_alu instid0(VALU_DEP_3)
	v_add_f32_e32 v1, v1, v21
	s_cbranch_scc0 .LBB326_2
.LBB326_3:
	s_clause 0x1
	s_load_b32 s3, s[0:1], 0x40
	s_load_b64 s[0:1], s[0:1], 0x48
	v_add_nc_u32_e32 v10, s13, v10
	v_add_nc_u32_e32 v6, s12, v9
	s_delay_alu instid0(VALU_DEP_2)
	v_cmp_gt_i32_e32 vcc_lo, s2, v10
	s_waitcnt lgkmcnt(0)
	v_mad_i64_i32 v[7:8], null, v10, s3, 0
	s_mul_i32 s1, s15, s1
	s_mul_hi_u32 s4, s15, s0
	s_mul_i32 s0, s15, s0
	s_add_i32 s1, s4, s1
	s_delay_alu instid0(SALU_CYCLE_1) | instskip(NEXT) | instid1(VALU_DEP_1)
	s_lshl_b64 s[4:5], s[0:1], 3
	v_lshlrev_b64 v[7:8], 3, v[7:8]
	s_add_u32 s4, s6, s4
	v_cmp_le_i32_e64 s0, v6, v10
	s_addc_u32 s5, s7, s5
	s_delay_alu instid0(VALU_DEP_2) | instskip(NEXT) | instid1(VALU_DEP_1)
	v_add_co_u32 v12, s1, s4, v7
	v_add_co_ci_u32_e64 v14, s1, s5, v8, s1
	s_delay_alu instid0(VALU_DEP_3) | instskip(NEXT) | instid1(SALU_CYCLE_1)
	s_and_b32 s0, vcc_lo, s0
	s_and_saveexec_b32 s1, s0
	s_cbranch_execz .LBB326_5
; %bb.4:
	v_ashrrev_i32_e32 v7, 31, v6
	s_delay_alu instid0(VALU_DEP_1) | instskip(NEXT) | instid1(VALU_DEP_1)
	v_lshlrev_b64 v[7:8], 3, v[6:7]
	v_add_co_u32 v7, s0, v12, v7
	s_delay_alu instid0(VALU_DEP_1) | instskip(SKIP_1) | instid1(VALU_DEP_1)
	v_add_co_ci_u32_e64 v8, s0, v14, v8, s0
	v_cmp_ne_u32_e64 s0, v10, v6
	v_cndmask_b32_e64 v5, 0, v16, s0
	global_store_b64 v[7:8], v[4:5], off
.LBB326_5:
	s_or_b32 exec_lo, exec_lo, s1
	v_add_nc_u32_e32 v8, 16, v6
	s_delay_alu instid0(VALU_DEP_1) | instskip(NEXT) | instid1(VALU_DEP_1)
	v_cmp_le_i32_e64 s0, v8, v10
	s_and_b32 s1, vcc_lo, s0
	s_delay_alu instid0(SALU_CYCLE_1)
	s_and_saveexec_b32 s0, s1
	s_cbranch_execz .LBB326_7
; %bb.6:
	v_ashrrev_i32_e32 v9, 31, v8
	s_delay_alu instid0(VALU_DEP_1) | instskip(NEXT) | instid1(VALU_DEP_1)
	v_lshlrev_b64 v[4:5], 3, v[8:9]
	v_add_co_u32 v15, vcc_lo, v12, v4
	s_delay_alu instid0(VALU_DEP_2)
	v_add_co_ci_u32_e32 v16, vcc_lo, v14, v5, vcc_lo
	v_cmp_ne_u32_e32 vcc_lo, v10, v8
	v_cndmask_b32_e32 v4, 0, v13, vcc_lo
	global_store_b64 v[15:16], v[3:4], off
.LBB326_7:
	s_or_b32 exec_lo, exec_lo, s0
	v_add_nc_u32_e32 v9, 16, v10
	s_delay_alu instid0(VALU_DEP_1) | instskip(SKIP_2) | instid1(VALU_DEP_1)
	v_mad_i64_i32 v[3:4], null, v9, s3, 0
	v_cmp_gt_i32_e32 vcc_lo, s2, v9
	v_cmp_le_i32_e64 s0, v6, v9
	s_and_b32 s0, vcc_lo, s0
	s_delay_alu instid0(VALU_DEP_3) | instskip(NEXT) | instid1(VALU_DEP_1)
	v_lshlrev_b64 v[4:5], 3, v[3:4]
	v_add_co_u32 v4, s1, s4, v4
	s_delay_alu instid0(VALU_DEP_1)
	v_add_co_ci_u32_e64 v5, s1, s5, v5, s1
	s_and_saveexec_b32 s1, s0
	s_cbranch_execz .LBB326_9
; %bb.8:
	v_ashrrev_i32_e32 v7, 31, v6
	s_delay_alu instid0(VALU_DEP_1) | instskip(NEXT) | instid1(VALU_DEP_1)
	v_lshlrev_b64 v[12:13], 3, v[6:7]
	v_add_co_u32 v12, s0, v4, v12
	s_delay_alu instid0(VALU_DEP_1) | instskip(SKIP_1) | instid1(VALU_DEP_1)
	v_add_co_ci_u32_e64 v13, s0, v5, v13, s0
	v_cmp_ne_u32_e64 s0, v9, v6
	v_cndmask_b32_e64 v3, 0, v11, s0
	global_store_b64 v[12:13], v[2:3], off
.LBB326_9:
	s_or_b32 exec_lo, exec_lo, s1
	v_cmp_le_i32_e64 s0, v8, v9
	s_delay_alu instid0(VALU_DEP_1) | instskip(NEXT) | instid1(SALU_CYCLE_1)
	s_and_b32 s0, vcc_lo, s0
	s_and_saveexec_b32 s1, s0
	s_cbranch_execz .LBB326_11
; %bb.10:
	v_ashrrev_i32_e32 v9, 31, v8
	s_delay_alu instid0(VALU_DEP_1) | instskip(NEXT) | instid1(VALU_DEP_1)
	v_lshlrev_b64 v[2:3], 3, v[8:9]
	v_add_co_u32 v2, vcc_lo, v4, v2
	s_delay_alu instid0(VALU_DEP_2)
	v_add_co_ci_u32_e32 v3, vcc_lo, v5, v3, vcc_lo
	v_cmp_ne_u32_e32 vcc_lo, v10, v6
	v_cndmask_b32_e32 v1, 0, v1, vcc_lo
	global_store_b64 v[2:3], v[0:1], off
.LBB326_11:
	s_nop 0
	s_sendmsg sendmsg(MSG_DEALLOC_VGPRS)
	s_endpgm
	.section	.rodata,"a",@progbits
	.p2align	6, 0x0
	.amdhsa_kernel _ZL37rocblas_syrkx_herkx_restricted_kernelIi19rocblas_complex_numIfELi16ELi32ELi8ELi1ELi0ELb1ELc67ELc85EKS1_S1_EviT_PT9_S3_lS5_S3_lPT10_S3_li
		.amdhsa_group_segment_fixed_size 4096
		.amdhsa_private_segment_fixed_size 0
		.amdhsa_kernarg_size 84
		.amdhsa_user_sgpr_count 13
		.amdhsa_user_sgpr_dispatch_ptr 0
		.amdhsa_user_sgpr_queue_ptr 0
		.amdhsa_user_sgpr_kernarg_segment_ptr 1
		.amdhsa_user_sgpr_dispatch_id 0
		.amdhsa_user_sgpr_private_segment_size 0
		.amdhsa_wavefront_size32 1
		.amdhsa_uses_dynamic_stack 0
		.amdhsa_enable_private_segment 0
		.amdhsa_system_sgpr_workgroup_id_x 1
		.amdhsa_system_sgpr_workgroup_id_y 1
		.amdhsa_system_sgpr_workgroup_id_z 1
		.amdhsa_system_sgpr_workgroup_info 0
		.amdhsa_system_vgpr_workitem_id 1
		.amdhsa_next_free_vgpr 88
		.amdhsa_next_free_sgpr 20
		.amdhsa_reserve_vcc 1
		.amdhsa_float_round_mode_32 0
		.amdhsa_float_round_mode_16_64 0
		.amdhsa_float_denorm_mode_32 3
		.amdhsa_float_denorm_mode_16_64 3
		.amdhsa_dx10_clamp 1
		.amdhsa_ieee_mode 1
		.amdhsa_fp16_overflow 0
		.amdhsa_workgroup_processor_mode 1
		.amdhsa_memory_ordered 1
		.amdhsa_forward_progress 0
		.amdhsa_shared_vgpr_count 0
		.amdhsa_exception_fp_ieee_invalid_op 0
		.amdhsa_exception_fp_denorm_src 0
		.amdhsa_exception_fp_ieee_div_zero 0
		.amdhsa_exception_fp_ieee_overflow 0
		.amdhsa_exception_fp_ieee_underflow 0
		.amdhsa_exception_fp_ieee_inexact 0
		.amdhsa_exception_int_div_zero 0
	.end_amdhsa_kernel
	.section	.text._ZL37rocblas_syrkx_herkx_restricted_kernelIi19rocblas_complex_numIfELi16ELi32ELi8ELi1ELi0ELb1ELc67ELc85EKS1_S1_EviT_PT9_S3_lS5_S3_lPT10_S3_li,"axG",@progbits,_ZL37rocblas_syrkx_herkx_restricted_kernelIi19rocblas_complex_numIfELi16ELi32ELi8ELi1ELi0ELb1ELc67ELc85EKS1_S1_EviT_PT9_S3_lS5_S3_lPT10_S3_li,comdat
.Lfunc_end326:
	.size	_ZL37rocblas_syrkx_herkx_restricted_kernelIi19rocblas_complex_numIfELi16ELi32ELi8ELi1ELi0ELb1ELc67ELc85EKS1_S1_EviT_PT9_S3_lS5_S3_lPT10_S3_li, .Lfunc_end326-_ZL37rocblas_syrkx_herkx_restricted_kernelIi19rocblas_complex_numIfELi16ELi32ELi8ELi1ELi0ELb1ELc67ELc85EKS1_S1_EviT_PT9_S3_lS5_S3_lPT10_S3_li
                                        ; -- End function
	.section	.AMDGPU.csdata,"",@progbits
; Kernel info:
; codeLenInByte = 2152
; NumSgprs: 22
; NumVgprs: 88
; ScratchSize: 0
; MemoryBound: 0
; FloatMode: 240
; IeeeMode: 1
; LDSByteSize: 4096 bytes/workgroup (compile time only)
; SGPRBlocks: 2
; VGPRBlocks: 10
; NumSGPRsForWavesPerEU: 22
; NumVGPRsForWavesPerEU: 88
; Occupancy: 16
; WaveLimiterHint : 0
; COMPUTE_PGM_RSRC2:SCRATCH_EN: 0
; COMPUTE_PGM_RSRC2:USER_SGPR: 13
; COMPUTE_PGM_RSRC2:TRAP_HANDLER: 0
; COMPUTE_PGM_RSRC2:TGID_X_EN: 1
; COMPUTE_PGM_RSRC2:TGID_Y_EN: 1
; COMPUTE_PGM_RSRC2:TGID_Z_EN: 1
; COMPUTE_PGM_RSRC2:TIDIG_COMP_CNT: 1
	.section	.text._ZL37rocblas_syrkx_herkx_restricted_kernelIi19rocblas_complex_numIfELi16ELi32ELi8ELi1ELi0ELb1ELc78ELc85EKS1_S1_EviT_PT9_S3_lS5_S3_lPT10_S3_li,"axG",@progbits,_ZL37rocblas_syrkx_herkx_restricted_kernelIi19rocblas_complex_numIfELi16ELi32ELi8ELi1ELi0ELb1ELc78ELc85EKS1_S1_EviT_PT9_S3_lS5_S3_lPT10_S3_li,comdat
	.globl	_ZL37rocblas_syrkx_herkx_restricted_kernelIi19rocblas_complex_numIfELi16ELi32ELi8ELi1ELi0ELb1ELc78ELc85EKS1_S1_EviT_PT9_S3_lS5_S3_lPT10_S3_li ; -- Begin function _ZL37rocblas_syrkx_herkx_restricted_kernelIi19rocblas_complex_numIfELi16ELi32ELi8ELi1ELi0ELb1ELc78ELc85EKS1_S1_EviT_PT9_S3_lS5_S3_lPT10_S3_li
	.p2align	8
	.type	_ZL37rocblas_syrkx_herkx_restricted_kernelIi19rocblas_complex_numIfELi16ELi32ELi8ELi1ELi0ELb1ELc78ELc85EKS1_S1_EviT_PT9_S3_lS5_S3_lPT10_S3_li,@function
_ZL37rocblas_syrkx_herkx_restricted_kernelIi19rocblas_complex_numIfELi16ELi32ELi8ELi1ELi0ELb1ELc78ELc85EKS1_S1_EviT_PT9_S3_lS5_S3_lPT10_S3_li: ; @_ZL37rocblas_syrkx_herkx_restricted_kernelIi19rocblas_complex_numIfELi16ELi32ELi8ELi1ELi0ELb1ELc78ELc85EKS1_S1_EviT_PT9_S3_lS5_S3_lPT10_S3_li
; %bb.0:
	s_clause 0x1
	s_load_b64 s[2:3], s[0:1], 0x0
	s_load_b128 s[4:7], s[0:1], 0x30
	v_dual_mov_b32 v3, 0 :: v_dual_and_b32 v8, 0x3ff, v0
	v_bfe_u32 v9, v0, 10, 10
	v_dual_mov_b32 v17, 0 :: v_dual_mov_b32 v2, 0
	v_dual_mov_b32 v13, 0 :: v_dual_mov_b32 v0, 0
	;; [unrolled: 1-line block ×3, first 2 shown]
	v_mov_b32_e32 v11, 0
	s_lshl_b32 s12, s13, 5
	s_lshl_b32 s13, s14, 5
	s_mov_b32 s14, 0
	s_waitcnt lgkmcnt(0)
	s_cmp_lt_i32 s3, 1
	s_cbranch_scc1 .LBB327_3
; %bb.1:
	s_clause 0x1
	s_load_b32 s16, s[0:1], 0x10
	s_load_b32 s18, s[0:1], 0x28
	v_lshl_add_u32 v0, v9, 4, v8
	v_dual_mov_b32 v11, 0 :: v_dual_and_b32 v6, 7, v8
	s_clause 0x1
	s_load_b128 s[8:11], s[0:1], 0x18
	s_load_b64 s[20:21], s[0:1], 0x8
	v_lshrrev_b32_e32 v1, 3, v0
	v_and_b32_e32 v2, 31, v0
	v_lshrrev_b32_e32 v7, 5, v0
	v_lshlrev_b32_e32 v3, 3, v6
	s_delay_alu instid0(VALU_DEP_4) | instskip(NEXT) | instid1(VALU_DEP_4)
	v_dual_mov_b32 v13, 0 :: v_dual_add_nc_u32 v0, s13, v1
	v_dual_mov_b32 v17, 0 :: v_dual_lshlrev_b32 v4, 3, v2
	v_add_nc_u32_e32 v2, s12, v2
	s_delay_alu instid0(VALU_DEP_4) | instskip(NEXT) | instid1(VALU_DEP_4)
	v_lshl_or_b32 v10, v1, 6, v3
	v_ashrrev_i32_e32 v1, 31, v0
	s_delay_alu instid0(VALU_DEP_4)
	v_lshl_or_b32 v12, v7, 8, v4
	s_mul_i32 s5, s5, s15
	v_ashrrev_i32_e32 v3, 31, v2
	s_waitcnt lgkmcnt(0)
	s_ashr_i32 s17, s16, 31
	v_mad_i64_i32 v[4:5], null, s18, v6, v[0:1]
	s_ashr_i32 s19, s18, 31
	v_mad_i64_i32 v[0:1], null, s16, v7, v[2:3]
	s_mul_i32 s9, s9, s15
	s_mul_hi_u32 s22, s8, s15
	s_mul_i32 s8, s8, s15
	s_add_i32 s9, s22, s9
	v_add_nc_u32_e32 v14, 0x800, v10
	s_lshl_b64 s[8:9], s[8:9], 3
	s_delay_alu instid0(VALU_DEP_2)
	v_lshlrev_b64 v[0:1], 3, v[0:1]
	s_add_u32 s8, s20, s8
	s_addc_u32 s9, s21, s9
	s_mul_hi_u32 s20, s4, s15
	s_mul_i32 s4, s4, s15
	s_add_i32 s5, s20, s5
	v_add_co_u32 v2, vcc_lo, s8, v0
	v_add_co_ci_u32_e32 v3, vcc_lo, s9, v1, vcc_lo
	v_lshlrev_b64 v[0:1], 3, v[4:5]
	s_lshl_b64 s[8:9], s[4:5], 3
	s_lshl_b64 s[4:5], s[16:17], 6
	s_add_u32 s8, s10, s8
	s_addc_u32 s9, s11, s9
	v_lshlrev_b32_e32 v15, 3, v8
	v_add_co_u32 v0, vcc_lo, s8, v0
	v_add_co_ci_u32_e32 v1, vcc_lo, s9, v1, vcc_lo
	v_add_co_u32 v4, vcc_lo, v2, 4
	v_add_co_ci_u32_e32 v5, vcc_lo, 0, v3, vcc_lo
	s_delay_alu instid0(VALU_DEP_4)
	v_add_co_u32 v6, vcc_lo, v0, 4
	v_mov_b32_e32 v0, 0
	v_lshl_add_u32 v16, v9, 6, 0x800
	v_add_co_ci_u32_e32 v7, vcc_lo, 0, v1, vcc_lo
	v_dual_mov_b32 v10, 0 :: v_dual_mov_b32 v1, 0
	v_dual_mov_b32 v2, 0 :: v_dual_mov_b32 v3, 0
	s_lshl_b64 s[8:9], s[18:19], 6
.LBB327_2:                              ; =>This Inner Loop Header: Depth=1
	global_load_b64 v[18:19], v[6:7], off offset:-4
	global_load_b64 v[20:21], v[4:5], off offset:-4
	v_add_co_u32 v4, vcc_lo, v4, s4
	v_add_co_ci_u32_e32 v5, vcc_lo, s5, v5, vcc_lo
	v_add_co_u32 v6, vcc_lo, v6, s8
	v_add_co_ci_u32_e32 v7, vcc_lo, s9, v7, vcc_lo
	s_add_i32 s14, s14, 8
	s_delay_alu instid0(SALU_CYCLE_1)
	s_cmp_ge_i32 s14, s3
	s_waitcnt vmcnt(1)
	v_xor_b32_e32 v19, 0x80000000, v19
	s_waitcnt vmcnt(0)
	ds_store_b64 v12, v[20:21]
	ds_store_b64 v14, v[18:19]
	s_waitcnt lgkmcnt(0)
	s_barrier
	buffer_gl0_inv
	ds_load_2addr_b64 v[18:21], v15 offset1:16
	ds_load_b128 v[22:25], v16
	ds_load_b128 v[26:29], v16 offset:1024
	ds_load_b128 v[30:33], v16 offset:16
	;; [unrolled: 1-line block ×4, first 2 shown]
	ds_load_2addr_b64 v[42:45], v15 offset0:32 offset1:48
	ds_load_2addr_b64 v[46:49], v15 offset0:64 offset1:80
	ds_load_b128 v[50:53], v16 offset:1040
	ds_load_2addr_b64 v[54:57], v15 offset0:96 offset1:112
	ds_load_2addr_b64 v[58:61], v15 offset0:128 offset1:144
	;; [unrolled: 1-line block ×4, first 2 shown]
	ds_load_b128 v[70:73], v16 offset:1056
	ds_load_b128 v[74:77], v16 offset:1072
	ds_load_2addr_b64 v[78:81], v15 offset0:224 offset1:240
	s_waitcnt lgkmcnt(0)
	s_barrier
	buffer_gl0_inv
	v_dual_mul_f32 v82, v23, v19 :: v_dual_mul_f32 v85, v22, v21
	v_dual_mul_f32 v83, v22, v19 :: v_dual_mul_f32 v84, v23, v21
	v_mul_f32_e32 v86, v27, v19
	v_mul_f32_e32 v19, v26, v19
	;; [unrolled: 1-line block ×4, first 2 shown]
	v_fma_f32 v82, v22, v18, -v82
	v_fmac_f32_e32 v83, v23, v18
	v_fma_f32 v22, v22, v20, -v84
	v_fmac_f32_e32 v85, v23, v20
	v_fma_f32 v23, v26, v18, -v86
	v_dual_fmac_f32 v21, v27, v20 :: v_dual_mul_f32 v84, v24, v45
	v_fmac_f32_e32 v19, v27, v18
	v_fma_f32 v18, v26, v20, -v87
	v_mul_f32_e32 v20, v25, v43
	v_mul_f32_e32 v26, v24, v43
	v_fmac_f32_e32 v84, v25, v44
	v_dual_mul_f32 v27, v25, v45 :: v_dual_mul_f32 v86, v51, v47
	s_delay_alu instid0(VALU_DEP_4) | instskip(NEXT) | instid1(VALU_DEP_4)
	v_fma_f32 v20, v24, v42, -v20
	v_fmac_f32_e32 v26, v25, v42
	v_mul_f32_e32 v25, v29, v43
	s_delay_alu instid0(VALU_DEP_4)
	v_fma_f32 v24, v24, v44, -v27
	v_mul_f32_e32 v27, v28, v43
	v_mul_f32_e32 v43, v29, v45
	;; [unrolled: 1-line block ×3, first 2 shown]
	v_fma_f32 v25, v28, v42, -v25
	v_mul_f32_e32 v87, v51, v49
	v_fmac_f32_e32 v27, v29, v42
	v_fma_f32 v28, v28, v44, -v43
	v_fmac_f32_e32 v45, v29, v44
	v_mul_f32_e32 v29, v31, v47
	v_dual_mul_f32 v42, v30, v47 :: v_dual_mul_f32 v43, v31, v49
	v_mul_f32_e32 v44, v30, v49
	v_mul_f32_e32 v47, v50, v47
	;; [unrolled: 1-line block ×3, first 2 shown]
	v_fma_f32 v29, v30, v46, -v29
	v_fmac_f32_e32 v42, v31, v46
	v_fma_f32 v30, v30, v48, -v43
	v_fmac_f32_e32 v44, v31, v48
	v_fma_f32 v31, v50, v46, -v86
	v_mul_f32_e32 v86, v71, v59
	v_fmac_f32_e32 v47, v51, v46
	v_fma_f32 v43, v50, v48, -v87
	v_dual_fmac_f32 v49, v51, v48 :: v_dual_mul_f32 v46, v33, v55
	v_mul_f32_e32 v48, v32, v55
	v_mul_f32_e32 v50, v33, v57
	;; [unrolled: 1-line block ×4, first 2 shown]
	v_fma_f32 v46, v32, v54, -v46
	v_fmac_f32_e32 v48, v33, v54
	v_fma_f32 v32, v32, v56, -v50
	v_fmac_f32_e32 v51, v33, v56
	v_mul_f32_e32 v33, v53, v55
	v_dual_mul_f32 v50, v52, v55 :: v_dual_mul_f32 v55, v53, v57
	v_dual_mul_f32 v57, v52, v57 :: v_dual_add_f32 v2, v2, v22
	s_delay_alu instid0(VALU_DEP_3) | instskip(NEXT) | instid1(VALU_DEP_3)
	v_fma_f32 v33, v52, v54, -v33
	v_fmac_f32_e32 v50, v53, v54
	s_delay_alu instid0(VALU_DEP_4) | instskip(NEXT) | instid1(VALU_DEP_4)
	v_fma_f32 v52, v52, v56, -v55
	v_fmac_f32_e32 v57, v53, v56
	v_mul_f32_e32 v53, v35, v59
	v_dual_mul_f32 v54, v34, v59 :: v_dual_mul_f32 v55, v35, v61
	v_mul_f32_e32 v56, v34, v61
	v_mul_f32_e32 v59, v70, v59
	;; [unrolled: 1-line block ×3, first 2 shown]
	v_fma_f32 v53, v34, v58, -v53
	v_fmac_f32_e32 v54, v35, v58
	v_fma_f32 v34, v34, v60, -v55
	v_fmac_f32_e32 v56, v35, v60
	v_fma_f32 v35, v70, v58, -v86
	v_mul_f32_e32 v86, v75, v67
	v_fmac_f32_e32 v59, v71, v58
	v_fma_f32 v55, v70, v60, -v87
	v_dual_fmac_f32 v61, v71, v60 :: v_dual_mul_f32 v58, v37, v63
	v_mul_f32_e32 v60, v36, v63
	v_mul_f32_e32 v70, v37, v65
	;; [unrolled: 1-line block ×3, first 2 shown]
	v_add_f32_e32 v0, v0, v18
	v_fma_f32 v58, v36, v62, -v58
	v_fmac_f32_e32 v60, v37, v62
	v_fma_f32 v36, v36, v64, -v70
	v_fmac_f32_e32 v71, v37, v64
	v_mul_f32_e32 v37, v73, v63
	v_mul_f32_e32 v70, v73, v65
	v_dual_mul_f32 v65, v72, v65 :: v_dual_add_f32 v2, v2, v24
	v_mul_f32_e32 v63, v72, v63
	v_add_f32_e32 v0, v0, v28
	v_fma_f32 v37, v72, v62, -v37
	s_delay_alu instid0(VALU_DEP_4)
	v_fmac_f32_e32 v65, v73, v64
	v_dual_mul_f32 v87, v75, v69 :: v_dual_add_f32 v2, v2, v30
	v_fmac_f32_e32 v63, v73, v62
	v_mul_f32_e32 v73, v38, v69
	v_fma_f32 v62, v72, v64, -v70
	v_mul_f32_e32 v64, v39, v67
	v_mul_f32_e32 v70, v38, v67
	;; [unrolled: 1-line block ×3, first 2 shown]
	v_dual_mul_f32 v69, v74, v69 :: v_dual_add_f32 v0, v0, v43
	v_mul_f32_e32 v67, v74, v67
	v_dual_fmac_f32 v73, v39, v68 :: v_dual_add_f32 v10, v10, v21
	v_fma_f32 v64, v38, v66, -v64
	s_delay_alu instid0(VALU_DEP_3) | instskip(SKIP_1) | instid1(VALU_DEP_4)
	v_dual_add_f32 v0, v0, v52 :: v_dual_fmac_f32 v67, v75, v66
	v_fmac_f32_e32 v70, v39, v66
	v_add_f32_e32 v10, v10, v45
	v_fma_f32 v38, v38, v68, -v72
	v_fma_f32 v39, v74, v66, -v86
	;; [unrolled: 1-line block ×3, first 2 shown]
	s_delay_alu instid0(VALU_DEP_4) | instskip(SKIP_4) | instid1(VALU_DEP_4)
	v_dual_fmac_f32 v69, v75, v68 :: v_dual_add_f32 v10, v10, v49
	v_mul_f32_e32 v68, v41, v79
	v_mul_f32_e32 v72, v40, v79
	;; [unrolled: 1-line block ×3, first 2 shown]
	v_dual_mul_f32 v75, v40, v81 :: v_dual_add_f32 v2, v2, v32
	v_fma_f32 v68, v40, v78, -v68
	s_delay_alu instid0(VALU_DEP_4) | instskip(NEXT) | instid1(VALU_DEP_4)
	v_fmac_f32_e32 v72, v41, v78
	v_fma_f32 v40, v40, v80, -v74
	s_delay_alu instid0(VALU_DEP_4) | instskip(SKIP_3) | instid1(VALU_DEP_3)
	v_dual_fmac_f32 v75, v41, v80 :: v_dual_add_f32 v10, v10, v57
	v_dual_mul_f32 v41, v77, v79 :: v_dual_add_f32 v2, v2, v34
	v_dual_mul_f32 v74, v76, v79 :: v_dual_mul_f32 v79, v77, v81
	v_add_f32_e32 v0, v0, v55
	v_dual_mul_f32 v81, v76, v81 :: v_dual_add_f32 v2, v2, v36
	v_dual_add_f32 v10, v10, v61 :: v_dual_add_f32 v3, v3, v82
	s_delay_alu instid0(VALU_DEP_3) | instskip(NEXT) | instid1(VALU_DEP_3)
	v_dual_add_f32 v17, v17, v83 :: v_dual_add_f32 v0, v0, v62
	v_fmac_f32_e32 v81, v77, v80
	s_delay_alu instid0(VALU_DEP_4) | instskip(NEXT) | instid1(VALU_DEP_3)
	v_dual_add_f32 v13, v13, v85 :: v_dual_add_f32 v2, v2, v38
	v_dual_add_f32 v1, v1, v23 :: v_dual_add_f32 v0, v0, v66
	;; [unrolled: 1-line block ×3, first 2 shown]
	v_fma_f32 v41, v76, v78, -v41
	v_fma_f32 v76, v76, v80, -v79
	v_dual_add_f32 v17, v17, v26 :: v_dual_add_f32 v2, v2, v40
	v_add_f32_e32 v13, v13, v84
	s_delay_alu instid0(VALU_DEP_3) | instskip(SKIP_3) | instid1(VALU_DEP_3)
	v_dual_add_f32 v1, v1, v25 :: v_dual_add_f32 v0, v0, v76
	v_dual_add_f32 v10, v10, v69 :: v_dual_add_f32 v3, v3, v20
	v_add_f32_e32 v11, v11, v27
	v_add_f32_e32 v17, v17, v42
	v_dual_add_f32 v13, v13, v44 :: v_dual_add_f32 v10, v10, v81
	s_delay_alu instid0(VALU_DEP_4)
	v_add_f32_e32 v3, v3, v29
	v_add_f32_e32 v1, v1, v31
	;; [unrolled: 1-line block ×17, first 2 shown]
	v_dual_add_f32 v11, v11, v63 :: v_dual_fmac_f32 v74, v77, v78
	v_add_f32_e32 v17, v17, v70
	s_delay_alu instid0(VALU_DEP_4)
	v_add_f32_e32 v3, v3, v64
	v_add_f32_e32 v13, v13, v73
	;; [unrolled: 1-line block ×9, first 2 shown]
	s_cbranch_scc0 .LBB327_2
.LBB327_3:
	s_clause 0x1
	s_load_b32 s3, s[0:1], 0x40
	s_load_b64 s[0:1], s[0:1], 0x48
	v_add_nc_u32_e32 v9, s13, v9
	v_add_nc_u32_e32 v5, s12, v8
	s_delay_alu instid0(VALU_DEP_2)
	v_cmp_gt_i32_e32 vcc_lo, s2, v9
	s_waitcnt lgkmcnt(0)
	v_mad_i64_i32 v[6:7], null, v9, s3, 0
	s_mul_i32 s1, s15, s1
	s_mul_hi_u32 s4, s15, s0
	s_mul_i32 s0, s15, s0
	s_add_i32 s1, s4, s1
	s_delay_alu instid0(SALU_CYCLE_1) | instskip(NEXT) | instid1(VALU_DEP_1)
	s_lshl_b64 s[4:5], s[0:1], 3
	v_lshlrev_b64 v[6:7], 3, v[6:7]
	s_add_u32 s4, s6, s4
	v_cmp_le_i32_e64 s0, v5, v9
	s_addc_u32 s5, s7, s5
	s_delay_alu instid0(VALU_DEP_2) | instskip(NEXT) | instid1(VALU_DEP_1)
	v_add_co_u32 v12, s1, s4, v6
	v_add_co_ci_u32_e64 v14, s1, s5, v7, s1
	s_delay_alu instid0(VALU_DEP_3) | instskip(NEXT) | instid1(SALU_CYCLE_1)
	s_and_b32 s0, vcc_lo, s0
	s_and_saveexec_b32 s1, s0
	s_cbranch_execz .LBB327_5
; %bb.4:
	v_ashrrev_i32_e32 v6, 31, v5
	s_delay_alu instid0(VALU_DEP_1) | instskip(NEXT) | instid1(VALU_DEP_1)
	v_lshlrev_b64 v[6:7], 3, v[5:6]
	v_add_co_u32 v6, s0, v12, v6
	s_delay_alu instid0(VALU_DEP_1) | instskip(SKIP_1) | instid1(VALU_DEP_1)
	v_add_co_ci_u32_e64 v7, s0, v14, v7, s0
	v_cmp_ne_u32_e64 s0, v9, v5
	v_cndmask_b32_e64 v4, 0, v17, s0
	global_store_b64 v[6:7], v[3:4], off
.LBB327_5:
	s_or_b32 exec_lo, exec_lo, s1
	v_add_nc_u32_e32 v7, 16, v5
	s_delay_alu instid0(VALU_DEP_1) | instskip(NEXT) | instid1(VALU_DEP_1)
	v_cmp_le_i32_e64 s0, v7, v9
	s_and_b32 s1, vcc_lo, s0
	s_delay_alu instid0(SALU_CYCLE_1)
	s_and_saveexec_b32 s0, s1
	s_cbranch_execz .LBB327_7
; %bb.6:
	v_ashrrev_i32_e32 v8, 31, v7
	s_delay_alu instid0(VALU_DEP_1) | instskip(NEXT) | instid1(VALU_DEP_1)
	v_lshlrev_b64 v[3:4], 3, v[7:8]
	v_add_co_u32 v15, vcc_lo, v12, v3
	s_delay_alu instid0(VALU_DEP_2)
	v_add_co_ci_u32_e32 v16, vcc_lo, v14, v4, vcc_lo
	v_cmp_ne_u32_e32 vcc_lo, v9, v7
	v_cndmask_b32_e32 v3, 0, v13, vcc_lo
	global_store_b64 v[15:16], v[2:3], off
.LBB327_7:
	s_or_b32 exec_lo, exec_lo, s0
	v_add_nc_u32_e32 v8, 16, v9
	s_delay_alu instid0(VALU_DEP_1) | instskip(SKIP_2) | instid1(VALU_DEP_1)
	v_mad_i64_i32 v[2:3], null, v8, s3, 0
	v_cmp_gt_i32_e32 vcc_lo, s2, v8
	v_cmp_le_i32_e64 s0, v5, v8
	s_and_b32 s0, vcc_lo, s0
	s_delay_alu instid0(VALU_DEP_3) | instskip(NEXT) | instid1(VALU_DEP_1)
	v_lshlrev_b64 v[3:4], 3, v[2:3]
	v_add_co_u32 v3, s1, s4, v3
	s_delay_alu instid0(VALU_DEP_1)
	v_add_co_ci_u32_e64 v4, s1, s5, v4, s1
	s_and_saveexec_b32 s1, s0
	s_cbranch_execz .LBB327_9
; %bb.8:
	v_ashrrev_i32_e32 v6, 31, v5
	s_delay_alu instid0(VALU_DEP_1) | instskip(NEXT) | instid1(VALU_DEP_1)
	v_lshlrev_b64 v[12:13], 3, v[5:6]
	v_add_co_u32 v12, s0, v3, v12
	s_delay_alu instid0(VALU_DEP_1) | instskip(SKIP_1) | instid1(VALU_DEP_1)
	v_add_co_ci_u32_e64 v13, s0, v4, v13, s0
	v_cmp_ne_u32_e64 s0, v8, v5
	v_cndmask_b32_e64 v2, 0, v11, s0
	global_store_b64 v[12:13], v[1:2], off
.LBB327_9:
	s_or_b32 exec_lo, exec_lo, s1
	v_cmp_le_i32_e64 s0, v7, v8
	s_delay_alu instid0(VALU_DEP_1) | instskip(NEXT) | instid1(SALU_CYCLE_1)
	s_and_b32 s0, vcc_lo, s0
	s_and_saveexec_b32 s1, s0
	s_cbranch_execz .LBB327_11
; %bb.10:
	v_ashrrev_i32_e32 v8, 31, v7
	s_delay_alu instid0(VALU_DEP_1) | instskip(NEXT) | instid1(VALU_DEP_1)
	v_lshlrev_b64 v[1:2], 3, v[7:8]
	v_add_co_u32 v3, vcc_lo, v3, v1
	s_delay_alu instid0(VALU_DEP_2)
	v_add_co_ci_u32_e32 v4, vcc_lo, v4, v2, vcc_lo
	v_cmp_ne_u32_e32 vcc_lo, v9, v5
	v_cndmask_b32_e32 v1, 0, v10, vcc_lo
	global_store_b64 v[3:4], v[0:1], off
.LBB327_11:
	s_nop 0
	s_sendmsg sendmsg(MSG_DEALLOC_VGPRS)
	s_endpgm
	.section	.rodata,"a",@progbits
	.p2align	6, 0x0
	.amdhsa_kernel _ZL37rocblas_syrkx_herkx_restricted_kernelIi19rocblas_complex_numIfELi16ELi32ELi8ELi1ELi0ELb1ELc78ELc85EKS1_S1_EviT_PT9_S3_lS5_S3_lPT10_S3_li
		.amdhsa_group_segment_fixed_size 4096
		.amdhsa_private_segment_fixed_size 0
		.amdhsa_kernarg_size 84
		.amdhsa_user_sgpr_count 13
		.amdhsa_user_sgpr_dispatch_ptr 0
		.amdhsa_user_sgpr_queue_ptr 0
		.amdhsa_user_sgpr_kernarg_segment_ptr 1
		.amdhsa_user_sgpr_dispatch_id 0
		.amdhsa_user_sgpr_private_segment_size 0
		.amdhsa_wavefront_size32 1
		.amdhsa_uses_dynamic_stack 0
		.amdhsa_enable_private_segment 0
		.amdhsa_system_sgpr_workgroup_id_x 1
		.amdhsa_system_sgpr_workgroup_id_y 1
		.amdhsa_system_sgpr_workgroup_id_z 1
		.amdhsa_system_sgpr_workgroup_info 0
		.amdhsa_system_vgpr_workitem_id 1
		.amdhsa_next_free_vgpr 88
		.amdhsa_next_free_sgpr 23
		.amdhsa_reserve_vcc 1
		.amdhsa_float_round_mode_32 0
		.amdhsa_float_round_mode_16_64 0
		.amdhsa_float_denorm_mode_32 3
		.amdhsa_float_denorm_mode_16_64 3
		.amdhsa_dx10_clamp 1
		.amdhsa_ieee_mode 1
		.amdhsa_fp16_overflow 0
		.amdhsa_workgroup_processor_mode 1
		.amdhsa_memory_ordered 1
		.amdhsa_forward_progress 0
		.amdhsa_shared_vgpr_count 0
		.amdhsa_exception_fp_ieee_invalid_op 0
		.amdhsa_exception_fp_denorm_src 0
		.amdhsa_exception_fp_ieee_div_zero 0
		.amdhsa_exception_fp_ieee_overflow 0
		.amdhsa_exception_fp_ieee_underflow 0
		.amdhsa_exception_fp_ieee_inexact 0
		.amdhsa_exception_int_div_zero 0
	.end_amdhsa_kernel
	.section	.text._ZL37rocblas_syrkx_herkx_restricted_kernelIi19rocblas_complex_numIfELi16ELi32ELi8ELi1ELi0ELb1ELc78ELc85EKS1_S1_EviT_PT9_S3_lS5_S3_lPT10_S3_li,"axG",@progbits,_ZL37rocblas_syrkx_herkx_restricted_kernelIi19rocblas_complex_numIfELi16ELi32ELi8ELi1ELi0ELb1ELc78ELc85EKS1_S1_EviT_PT9_S3_lS5_S3_lPT10_S3_li,comdat
.Lfunc_end327:
	.size	_ZL37rocblas_syrkx_herkx_restricted_kernelIi19rocblas_complex_numIfELi16ELi32ELi8ELi1ELi0ELb1ELc78ELc85EKS1_S1_EviT_PT9_S3_lS5_S3_lPT10_S3_li, .Lfunc_end327-_ZL37rocblas_syrkx_herkx_restricted_kernelIi19rocblas_complex_numIfELi16ELi32ELi8ELi1ELi0ELb1ELc78ELc85EKS1_S1_EviT_PT9_S3_lS5_S3_lPT10_S3_li
                                        ; -- End function
	.section	.AMDGPU.csdata,"",@progbits
; Kernel info:
; codeLenInByte = 2128
; NumSgprs: 25
; NumVgprs: 88
; ScratchSize: 0
; MemoryBound: 0
; FloatMode: 240
; IeeeMode: 1
; LDSByteSize: 4096 bytes/workgroup (compile time only)
; SGPRBlocks: 3
; VGPRBlocks: 10
; NumSGPRsForWavesPerEU: 25
; NumVGPRsForWavesPerEU: 88
; Occupancy: 16
; WaveLimiterHint : 0
; COMPUTE_PGM_RSRC2:SCRATCH_EN: 0
; COMPUTE_PGM_RSRC2:USER_SGPR: 13
; COMPUTE_PGM_RSRC2:TRAP_HANDLER: 0
; COMPUTE_PGM_RSRC2:TGID_X_EN: 1
; COMPUTE_PGM_RSRC2:TGID_Y_EN: 1
; COMPUTE_PGM_RSRC2:TGID_Z_EN: 1
; COMPUTE_PGM_RSRC2:TIDIG_COMP_CNT: 1
	.section	.text._ZL37rocblas_syrkx_herkx_restricted_kernelIi19rocblas_complex_numIfELi16ELi32ELi8ELin1ELi0ELb1ELc84ELc76EKS1_S1_EviT_PT9_S3_lS5_S3_lPT10_S3_li,"axG",@progbits,_ZL37rocblas_syrkx_herkx_restricted_kernelIi19rocblas_complex_numIfELi16ELi32ELi8ELin1ELi0ELb1ELc84ELc76EKS1_S1_EviT_PT9_S3_lS5_S3_lPT10_S3_li,comdat
	.globl	_ZL37rocblas_syrkx_herkx_restricted_kernelIi19rocblas_complex_numIfELi16ELi32ELi8ELin1ELi0ELb1ELc84ELc76EKS1_S1_EviT_PT9_S3_lS5_S3_lPT10_S3_li ; -- Begin function _ZL37rocblas_syrkx_herkx_restricted_kernelIi19rocblas_complex_numIfELi16ELi32ELi8ELin1ELi0ELb1ELc84ELc76EKS1_S1_EviT_PT9_S3_lS5_S3_lPT10_S3_li
	.p2align	8
	.type	_ZL37rocblas_syrkx_herkx_restricted_kernelIi19rocblas_complex_numIfELi16ELi32ELi8ELin1ELi0ELb1ELc84ELc76EKS1_S1_EviT_PT9_S3_lS5_S3_lPT10_S3_li,@function
_ZL37rocblas_syrkx_herkx_restricted_kernelIi19rocblas_complex_numIfELi16ELi32ELi8ELin1ELi0ELb1ELc84ELc76EKS1_S1_EviT_PT9_S3_lS5_S3_lPT10_S3_li: ; @_ZL37rocblas_syrkx_herkx_restricted_kernelIi19rocblas_complex_numIfELi16ELi32ELi8ELin1ELi0ELb1ELc84ELc76EKS1_S1_EviT_PT9_S3_lS5_S3_lPT10_S3_li
; %bb.0:
	s_clause 0x1
	s_load_b64 s[2:3], s[0:1], 0x0
	s_load_b128 s[4:7], s[0:1], 0x30
	v_dual_mov_b32 v17, 0 :: v_dual_and_b32 v6, 0x3ff, v0
	v_bfe_u32 v7, v0, 10, 10
	v_dual_mov_b32 v16, 0 :: v_dual_mov_b32 v11, 0
	v_dual_mov_b32 v12, 0 :: v_dual_mov_b32 v9, 0
	;; [unrolled: 1-line block ×3, first 2 shown]
	v_mov_b32_e32 v0, 0
	s_lshl_b32 s12, s13, 5
	s_lshl_b32 s13, s14, 5
	s_mov_b32 s14, 0
	s_waitcnt lgkmcnt(0)
	s_cmp_lt_i32 s3, 1
	s_cbranch_scc1 .LBB328_3
; %bb.1:
	s_clause 0x3
	s_load_b32 s18, s[0:1], 0x10
	s_load_b128 s[8:11], s[0:1], 0x18
	s_load_b64 s[16:17], s[0:1], 0x8
	s_load_b32 s19, s[0:1], 0x28
	v_lshl_add_u32 v2, v7, 4, v6
	v_dual_mov_b32 v1, 0 :: v_dual_and_b32 v0, 7, v6
	v_lshlrev_b32_e32 v10, 3, v6
	s_mul_i32 s5, s5, s15
	s_delay_alu instid0(VALU_DEP_3)
	v_lshrrev_b32_e32 v4, 3, v2
	v_and_b32_e32 v5, 31, v2
	v_lshlrev_b32_e32 v3, 3, v0
	v_lshrrev_b32_e32 v2, 5, v2
	v_lshl_add_u32 v15, v7, 6, 0x800
	v_add_nc_u32_e32 v12, s13, v4
	v_add_nc_u32_e32 v11, s12, v5
	v_lshl_or_b32 v9, v4, 6, v3
	v_dual_mov_b32 v3, v1 :: v_dual_lshlrev_b32 v8, 3, v5
	v_mov_b32_e32 v17, v1
	v_mov_b32_e32 v16, v1
	s_delay_alu instid0(VALU_DEP_4)
	v_add_nc_u32_e32 v14, 0x800, v9
	s_waitcnt lgkmcnt(0)
	v_mad_i64_i32 v[4:5], null, s18, v11, v[2:3]
	s_mul_i32 s9, s9, s15
	s_mul_hi_u32 s18, s8, s15
	v_mov_b32_e32 v9, v1
	v_lshl_or_b32 v13, v2, 8, v8
	v_mov_b32_e32 v11, v1
	v_mad_i64_i32 v[2:3], null, s19, v12, v[0:1]
	s_mul_i32 s8, s8, s15
	s_add_i32 s9, s18, s9
	v_lshlrev_b64 v[4:5], 3, v[4:5]
	s_lshl_b64 s[8:9], s[8:9], 3
	v_mov_b32_e32 v12, v1
	s_add_u32 s8, s16, s8
	s_mul_hi_u32 s16, s4, s15
	s_addc_u32 s9, s17, s9
	s_add_i32 s5, s16, s5
	s_mul_i32 s4, s4, s15
	v_lshlrev_b64 v[2:3], 3, v[2:3]
	s_lshl_b64 s[4:5], s[4:5], 3
	v_add_co_u32 v0, vcc_lo, s8, v4
	s_add_u32 s4, s10, s4
	v_add_co_ci_u32_e32 v4, vcc_lo, s9, v5, vcc_lo
	s_addc_u32 s5, s11, s5
	v_add_co_u32 v5, vcc_lo, s4, v2
	v_add_co_ci_u32_e32 v8, vcc_lo, s5, v3, vcc_lo
	v_add_co_u32 v2, vcc_lo, v0, 4
	v_add_co_ci_u32_e32 v3, vcc_lo, 0, v4, vcc_lo
	s_delay_alu instid0(VALU_DEP_4) | instskip(NEXT) | instid1(VALU_DEP_4)
	v_add_co_u32 v4, vcc_lo, v5, 4
	v_add_co_ci_u32_e32 v5, vcc_lo, 0, v8, vcc_lo
	v_mov_b32_e32 v0, v1
	v_mov_b32_e32 v8, v1
.LBB328_2:                              ; =>This Inner Loop Header: Depth=1
	global_load_b64 v[18:19], v[2:3], off offset:-4
	global_load_b64 v[20:21], v[4:5], off offset:-4
	v_add_co_u32 v2, vcc_lo, v2, 64
	v_add_co_ci_u32_e32 v3, vcc_lo, 0, v3, vcc_lo
	v_add_co_u32 v4, vcc_lo, v4, 64
	v_add_co_ci_u32_e32 v5, vcc_lo, 0, v5, vcc_lo
	s_add_i32 s14, s14, 8
	s_waitcnt vmcnt(1)
	ds_store_b64 v13, v[18:19]
	s_waitcnt vmcnt(0)
	ds_store_b64 v14, v[20:21]
	s_waitcnt lgkmcnt(0)
	s_barrier
	buffer_gl0_inv
	ds_load_2addr_b64 v[18:21], v10 offset1:16
	ds_load_b128 v[22:25], v15
	ds_load_b128 v[26:29], v15 offset:1024
	ds_load_b128 v[30:33], v15 offset:16
	ds_load_2addr_b64 v[34:37], v10 offset0:32 offset1:48
	ds_load_b128 v[38:41], v15 offset:32
	ds_load_b128 v[42:45], v15 offset:48
	ds_load_2addr_b64 v[46:49], v10 offset0:64 offset1:80
	ds_load_b128 v[50:53], v15 offset:1040
	ds_load_2addr_b64 v[54:57], v10 offset0:96 offset1:112
	ds_load_2addr_b64 v[58:61], v10 offset0:128 offset1:144
	;; [unrolled: 1-line block ×4, first 2 shown]
	ds_load_b128 v[70:73], v15 offset:1056
	ds_load_b128 v[74:77], v15 offset:1072
	ds_load_2addr_b64 v[78:81], v10 offset0:224 offset1:240
	s_cmp_ge_i32 s14, s3
	s_waitcnt lgkmcnt(0)
	s_barrier
	buffer_gl0_inv
	v_dual_mul_f32 v82, v23, v19 :: v_dual_mul_f32 v85, v22, v21
	v_dual_mul_f32 v83, v22, v19 :: v_dual_mul_f32 v84, v23, v21
	v_mul_f32_e32 v86, v27, v19
	v_dual_mul_f32 v19, v26, v19 :: v_dual_mul_f32 v90, v25, v37
	v_dual_mul_f32 v87, v27, v21 :: v_dual_mul_f32 v88, v25, v35
	v_mul_f32_e32 v21, v26, v21
	v_fma_f32 v82, v22, v18, -v82
	v_fmac_f32_e32 v83, v23, v18
	v_fma_f32 v22, v22, v20, -v84
	v_fmac_f32_e32 v85, v23, v20
	v_fma_f32 v23, v26, v18, -v86
	v_dual_fmac_f32 v19, v27, v18 :: v_dual_mul_f32 v86, v30, v47
	v_fma_f32 v18, v26, v20, -v87
	v_dual_fmac_f32 v21, v27, v20 :: v_dual_mul_f32 v20, v24, v37
	v_mul_f32_e32 v89, v24, v35
	v_mul_f32_e32 v26, v29, v35
	;; [unrolled: 1-line block ×4, first 2 shown]
	v_fmac_f32_e32 v20, v25, v36
	v_fmac_f32_e32 v89, v25, v34
	v_dual_mul_f32 v25, v28, v37 :: v_dual_fmac_f32 v86, v31, v46
	v_fma_f32 v84, v24, v34, -v88
	v_fma_f32 v24, v24, v36, -v90
	v_dual_mul_f32 v37, v31, v47 :: v_dual_mul_f32 v90, v33, v57
	v_fma_f32 v26, v28, v34, -v26
	v_fma_f32 v28, v28, v36, -v35
	v_fmac_f32_e32 v25, v29, v36
	v_dual_mul_f32 v35, v50, v47 :: v_dual_mul_f32 v36, v51, v49
	v_dual_fmac_f32 v27, v29, v34 :: v_dual_mul_f32 v34, v51, v47
	v_dual_mul_f32 v88, v32, v55 :: v_dual_mul_f32 v29, v30, v49
	v_mul_f32_e32 v87, v31, v49
	v_fma_f32 v37, v30, v46, -v37
	v_add_f32_e32 v16, v16, v82
	s_delay_alu instid0(VALU_DEP_4)
	v_dual_fmac_f32 v88, v33, v54 :: v_dual_fmac_f32 v29, v31, v48
	v_fma_f32 v31, v50, v46, -v34
	v_fma_f32 v34, v50, v48, -v36
	v_mul_f32_e32 v36, v32, v57
	v_mul_f32_e32 v47, v50, v49
	v_dual_mul_f32 v50, v53, v57 :: v_dual_fmac_f32 v35, v51, v46
	v_mul_f32_e32 v46, v53, v55
	v_mul_f32_e32 v49, v33, v55
	v_fma_f32 v30, v30, v48, -v87
	v_fmac_f32_e32 v36, v33, v56
	v_dual_fmac_f32 v47, v51, v48 :: v_dual_mul_f32 v48, v52, v55
	v_mul_f32_e32 v33, v52, v57
	v_fma_f32 v46, v52, v54, -v46
	v_fma_f32 v50, v52, v56, -v50
	v_mul_f32_e32 v52, v38, v61
	v_fma_f32 v49, v32, v54, -v49
	v_fma_f32 v32, v32, v56, -v90
	v_dual_mul_f32 v51, v39, v59 :: v_dual_fmac_f32 v48, v53, v54
	v_mul_f32_e32 v54, v70, v59
	v_dual_mul_f32 v55, v38, v59 :: v_dual_fmac_f32 v52, v39, v60
	v_fmac_f32_e32 v33, v53, v56
	v_mul_f32_e32 v53, v71, v59
	v_mul_f32_e32 v56, v71, v61
	;; [unrolled: 1-line block ×3, first 2 shown]
	v_fmac_f32_e32 v54, v71, v58
	v_fmac_f32_e32 v55, v39, v58
	v_fma_f32 v39, v70, v58, -v53
	v_fma_f32 v53, v70, v60, -v56
	v_mul_f32_e32 v56, v40, v65
	v_mul_f32_e32 v59, v70, v61
	v_fma_f32 v51, v38, v58, -v51
	v_mul_f32_e32 v58, v72, v63
	v_mul_f32_e32 v87, v40, v63
	;; [unrolled: 1-line block ×4, first 2 shown]
	v_fma_f32 v38, v38, v60, -v57
	v_mul_f32_e32 v57, v73, v63
	v_fmac_f32_e32 v56, v41, v64
	v_dual_fmac_f32 v59, v71, v60 :: v_dual_mul_f32 v60, v73, v65
	v_mul_f32_e32 v63, v43, v67
	v_mul_f32_e32 v70, v43, v69
	v_fmac_f32_e32 v58, v73, v62
	v_fmac_f32_e32 v87, v41, v62
	v_mul_f32_e32 v41, v72, v65
	v_fma_f32 v61, v40, v62, -v61
	v_fma_f32 v40, v40, v64, -v90
	v_mul_f32_e32 v65, v42, v67
	v_fma_f32 v57, v72, v62, -v57
	v_fma_f32 v60, v72, v64, -v60
	v_dual_fmac_f32 v41, v73, v64 :: v_dual_mul_f32 v62, v42, v69
	v_mul_f32_e32 v64, v75, v67
	v_fma_f32 v63, v42, v66, -v63
	v_fma_f32 v42, v42, v68, -v70
	v_mul_f32_e32 v70, v76, v79
	v_mul_f32_e32 v67, v74, v67
	;; [unrolled: 1-line block ×3, first 2 shown]
	v_dual_mul_f32 v69, v74, v69 :: v_dual_add_f32 v12, v12, v22
	v_mul_f32_e32 v73, v44, v79
	v_dual_fmac_f32 v65, v43, v66 :: v_dual_add_f32 v8, v8, v19
	v_fmac_f32_e32 v62, v43, v68
	v_fma_f32 v43, v74, v66, -v64
	v_fmac_f32_e32 v70, v77, v78
	v_dual_fmac_f32 v67, v75, v66 :: v_dual_add_f32 v16, v16, v84
	v_mul_f32_e32 v66, v44, v81
	v_mul_f32_e32 v72, v45, v79
	v_dual_mul_f32 v90, v45, v81 :: v_dual_fmac_f32 v69, v75, v68
	v_add_f32_e32 v0, v0, v18
	v_dual_fmac_f32 v73, v45, v78 :: v_dual_add_f32 v8, v8, v27
	v_dual_fmac_f32 v66, v45, v80 :: v_dual_mul_f32 v45, v76, v81
	v_fma_f32 v64, v74, v68, -v71
	v_dual_mul_f32 v71, v77, v81 :: v_dual_add_f32 v12, v12, v24
	v_dual_add_f32 v17, v17, v83 :: v_dual_add_f32 v0, v0, v28
	s_delay_alu instid0(VALU_DEP_4) | instskip(NEXT) | instid1(VALU_DEP_3)
	v_dual_fmac_f32 v45, v77, v80 :: v_dual_add_f32 v16, v16, v37
	v_dual_add_f32 v11, v11, v85 :: v_dual_add_f32 v12, v12, v30
	s_delay_alu instid0(VALU_DEP_3) | instskip(SKIP_1) | instid1(VALU_DEP_3)
	v_dual_add_f32 v9, v9, v23 :: v_dual_add_f32 v0, v0, v34
	v_dual_add_f32 v1, v1, v21 :: v_dual_add_f32 v8, v8, v35
	;; [unrolled: 1-line block ×3, first 2 shown]
	s_delay_alu instid0(VALU_DEP_4) | instskip(NEXT) | instid1(VALU_DEP_3)
	v_dual_add_f32 v11, v11, v20 :: v_dual_add_f32 v16, v16, v49
	v_dual_add_f32 v9, v9, v26 :: v_dual_add_f32 v8, v8, v48
	s_delay_alu instid0(VALU_DEP_4) | instskip(NEXT) | instid1(VALU_DEP_3)
	v_dual_add_f32 v1, v1, v25 :: v_dual_add_f32 v0, v0, v50
	v_dual_add_f32 v17, v17, v86 :: v_dual_add_f32 v16, v16, v51
	s_delay_alu instid0(VALU_DEP_4) | instskip(NEXT) | instid1(VALU_DEP_4)
	v_dual_add_f32 v11, v11, v29 :: v_dual_add_f32 v12, v12, v38
	v_dual_add_f32 v9, v9, v31 :: v_dual_add_f32 v8, v8, v54
	s_delay_alu instid0(VALU_DEP_4) | instskip(NEXT) | instid1(VALU_DEP_4)
	v_dual_add_f32 v1, v1, v47 :: v_dual_add_f32 v0, v0, v53
	v_dual_add_f32 v17, v17, v88 :: v_dual_add_f32 v16, v16, v61
	s_delay_alu instid0(VALU_DEP_3) | instskip(NEXT) | instid1(VALU_DEP_4)
	v_dual_add_f32 v11, v11, v36 :: v_dual_add_f32 v8, v8, v58
	v_dual_add_f32 v9, v9, v46 :: v_dual_add_f32 v12, v12, v40
	s_delay_alu instid0(VALU_DEP_4) | instskip(SKIP_1) | instid1(VALU_DEP_3)
	v_dual_add_f32 v1, v1, v33 :: v_dual_add_f32 v0, v0, v60
	v_fma_f32 v72, v44, v78, -v72
	v_dual_add_f32 v17, v17, v55 :: v_dual_add_f32 v12, v12, v42
	v_dual_add_f32 v11, v11, v52 :: v_dual_add_f32 v16, v16, v63
	s_delay_alu instid0(VALU_DEP_4) | instskip(SKIP_2) | instid1(VALU_DEP_4)
	v_dual_add_f32 v9, v9, v39 :: v_dual_add_f32 v0, v0, v64
	v_add_f32_e32 v1, v1, v59
	v_mul_f32_e32 v68, v77, v79
	v_add_f32_e32 v16, v16, v72
	v_fma_f32 v44, v44, v80, -v90
	v_fma_f32 v71, v76, v80, -v71
	v_add_f32_e32 v17, v17, v87
	v_dual_add_f32 v11, v11, v56 :: v_dual_add_f32 v8, v8, v67
	v_add_f32_e32 v9, v9, v57
	s_delay_alu instid0(VALU_DEP_4) | instskip(SKIP_1) | instid1(VALU_DEP_4)
	v_dual_add_f32 v1, v1, v41 :: v_dual_add_f32 v0, v0, v71
	v_fma_f32 v68, v76, v78, -v68
	v_dual_add_f32 v11, v11, v62 :: v_dual_add_f32 v12, v12, v44
	v_add_f32_e32 v17, v17, v65
	s_delay_alu instid0(VALU_DEP_4) | instskip(SKIP_1) | instid1(VALU_DEP_4)
	v_dual_add_f32 v1, v1, v69 :: v_dual_add_f32 v8, v8, v70
	v_add_f32_e32 v9, v9, v43
	v_add_f32_e32 v11, v11, v66
	s_delay_alu instid0(VALU_DEP_4) | instskip(NEXT) | instid1(VALU_DEP_4)
	v_add_f32_e32 v17, v17, v73
	v_add_f32_e32 v1, v1, v45
	s_delay_alu instid0(VALU_DEP_4)
	v_add_f32_e32 v9, v9, v68
	s_cbranch_scc0 .LBB328_2
.LBB328_3:
	s_clause 0x1
	s_load_b32 s3, s[0:1], 0x40
	s_load_b64 s[4:5], s[0:1], 0x48
	v_add_nc_u32_e32 v7, s13, v7
	v_add_nc_u32_e32 v2, s12, v6
	s_delay_alu instid0(VALU_DEP_1)
	v_cmp_le_i32_e64 s0, v7, v2
	v_cmp_gt_i32_e32 vcc_lo, s2, v2
	s_waitcnt lgkmcnt(0)
	v_mad_i64_i32 v[3:4], null, v7, s3, 0
	s_mul_i32 s1, s15, s5
	s_mul_hi_u32 s5, s15, s4
	s_mul_i32 s4, s15, s4
	s_add_i32 s5, s5, s1
	s_delay_alu instid0(SALU_CYCLE_1) | instskip(NEXT) | instid1(VALU_DEP_1)
	s_lshl_b64 s[4:5], s[4:5], 3
	v_lshlrev_b64 v[3:4], 3, v[3:4]
	s_add_u32 s4, s6, s4
	s_addc_u32 s5, s7, s5
	s_and_b32 s0, s0, vcc_lo
	s_delay_alu instid0(VALU_DEP_1) | instskip(NEXT) | instid1(VALU_DEP_1)
	v_add_co_u32 v6, s1, s4, v3
	v_add_co_ci_u32_e64 v10, s1, s5, v4, s1
	s_and_saveexec_b32 s1, s0
	s_cbranch_execz .LBB328_6
; %bb.4:
	v_ashrrev_i32_e32 v3, 31, v2
	v_xor_b32_e32 v13, 0x80000000, v16
	v_xor_b32_e32 v14, 0x80000000, v17
	s_delay_alu instid0(VALU_DEP_3) | instskip(NEXT) | instid1(VALU_DEP_1)
	v_lshlrev_b64 v[3:4], 3, v[2:3]
	v_add_co_u32 v3, s0, v6, v3
	s_delay_alu instid0(VALU_DEP_1)
	v_add_co_ci_u32_e64 v4, s0, v10, v4, s0
	v_cmp_eq_u32_e64 s0, v7, v2
	global_store_b64 v[3:4], v[13:14], off
	s_and_b32 exec_lo, exec_lo, s0
	s_cbranch_execz .LBB328_6
; %bb.5:
	v_mov_b32_e32 v5, 0
	global_store_b32 v[3:4], v5, off offset:4
.LBB328_6:
	s_or_b32 exec_lo, exec_lo, s1
	v_add_nc_u32_e32 v4, 16, v2
	s_delay_alu instid0(VALU_DEP_1) | instskip(SKIP_1) | instid1(VALU_DEP_1)
	v_cmp_le_i32_e64 s1, v7, v4
	v_cmp_gt_i32_e64 s0, s2, v4
	s_and_b32 s1, s1, s0
	s_delay_alu instid0(SALU_CYCLE_1)
	s_and_saveexec_b32 s2, s1
	s_cbranch_execz .LBB328_9
; %bb.7:
	v_ashrrev_i32_e32 v5, 31, v4
	v_xor_b32_e32 v15, 0x80000000, v12
	v_xor_b32_e32 v16, 0x80000000, v11
	s_delay_alu instid0(VALU_DEP_3) | instskip(NEXT) | instid1(VALU_DEP_1)
	v_lshlrev_b64 v[13:14], 3, v[4:5]
	v_add_co_u32 v5, s1, v6, v13
	s_delay_alu instid0(VALU_DEP_1)
	v_add_co_ci_u32_e64 v6, s1, v10, v14, s1
	v_cmp_eq_u32_e64 s1, v7, v4
	global_store_b64 v[5:6], v[15:16], off
	s_and_b32 exec_lo, exec_lo, s1
	s_cbranch_execz .LBB328_9
; %bb.8:
	v_mov_b32_e32 v3, 0
	global_store_b32 v[5:6], v3, off offset:4
.LBB328_9:
	s_or_b32 exec_lo, exec_lo, s2
	v_add_nc_u32_e32 v12, 16, v7
	s_delay_alu instid0(VALU_DEP_1) | instskip(SKIP_1) | instid1(VALU_DEP_2)
	v_mad_i64_i32 v[5:6], null, v12, s3, 0
	v_cmp_le_i32_e64 s1, v12, v2
	v_lshlrev_b64 v[5:6], 3, v[5:6]
	s_delay_alu instid0(VALU_DEP_1) | instskip(NEXT) | instid1(VALU_DEP_1)
	v_add_co_u32 v10, s2, s4, v5
	v_add_co_ci_u32_e64 v11, s2, s5, v6, s2
	s_delay_alu instid0(VALU_DEP_4) | instskip(NEXT) | instid1(SALU_CYCLE_1)
	s_and_b32 s2, s1, vcc_lo
	s_and_saveexec_b32 s1, s2
	s_cbranch_execz .LBB328_12
; %bb.10:
	v_ashrrev_i32_e32 v3, 31, v2
	v_xor_b32_e32 v13, 0x80000000, v9
	v_xor_b32_e32 v14, 0x80000000, v8
	s_delay_alu instid0(VALU_DEP_3) | instskip(NEXT) | instid1(VALU_DEP_1)
	v_lshlrev_b64 v[5:6], 3, v[2:3]
	v_add_co_u32 v5, vcc_lo, v10, v5
	s_delay_alu instid0(VALU_DEP_2)
	v_add_co_ci_u32_e32 v6, vcc_lo, v11, v6, vcc_lo
	v_cmp_eq_u32_e32 vcc_lo, v12, v2
	global_store_b64 v[5:6], v[13:14], off
	s_and_b32 exec_lo, exec_lo, vcc_lo
	s_cbranch_execz .LBB328_12
; %bb.11:
	v_mov_b32_e32 v3, 0
	global_store_b32 v[5:6], v3, off offset:4
.LBB328_12:
	s_or_b32 exec_lo, exec_lo, s1
	v_cmp_le_i32_e32 vcc_lo, v12, v4
	s_and_b32 s0, vcc_lo, s0
	s_delay_alu instid0(SALU_CYCLE_1)
	s_and_saveexec_b32 s1, s0
	s_cbranch_execz .LBB328_15
; %bb.13:
	v_ashrrev_i32_e32 v5, 31, v4
	v_xor_b32_e32 v6, 0x80000000, v1
	s_delay_alu instid0(VALU_DEP_2) | instskip(SKIP_1) | instid1(VALU_DEP_2)
	v_lshlrev_b64 v[3:4], 3, v[4:5]
	v_xor_b32_e32 v5, 0x80000000, v0
	v_add_co_u32 v0, vcc_lo, v10, v3
	s_delay_alu instid0(VALU_DEP_3)
	v_add_co_ci_u32_e32 v1, vcc_lo, v11, v4, vcc_lo
	v_cmp_eq_u32_e32 vcc_lo, v7, v2
	global_store_b64 v[0:1], v[5:6], off
	s_and_b32 exec_lo, exec_lo, vcc_lo
	s_cbranch_execz .LBB328_15
; %bb.14:
	v_mov_b32_e32 v2, 0
	global_store_b32 v[0:1], v2, off offset:4
.LBB328_15:
	s_nop 0
	s_sendmsg sendmsg(MSG_DEALLOC_VGPRS)
	s_endpgm
	.section	.rodata,"a",@progbits
	.p2align	6, 0x0
	.amdhsa_kernel _ZL37rocblas_syrkx_herkx_restricted_kernelIi19rocblas_complex_numIfELi16ELi32ELi8ELin1ELi0ELb1ELc84ELc76EKS1_S1_EviT_PT9_S3_lS5_S3_lPT10_S3_li
		.amdhsa_group_segment_fixed_size 4096
		.amdhsa_private_segment_fixed_size 0
		.amdhsa_kernarg_size 84
		.amdhsa_user_sgpr_count 13
		.amdhsa_user_sgpr_dispatch_ptr 0
		.amdhsa_user_sgpr_queue_ptr 0
		.amdhsa_user_sgpr_kernarg_segment_ptr 1
		.amdhsa_user_sgpr_dispatch_id 0
		.amdhsa_user_sgpr_private_segment_size 0
		.amdhsa_wavefront_size32 1
		.amdhsa_uses_dynamic_stack 0
		.amdhsa_enable_private_segment 0
		.amdhsa_system_sgpr_workgroup_id_x 1
		.amdhsa_system_sgpr_workgroup_id_y 1
		.amdhsa_system_sgpr_workgroup_id_z 1
		.amdhsa_system_sgpr_workgroup_info 0
		.amdhsa_system_vgpr_workitem_id 1
		.amdhsa_next_free_vgpr 91
		.amdhsa_next_free_sgpr 20
		.amdhsa_reserve_vcc 1
		.amdhsa_float_round_mode_32 0
		.amdhsa_float_round_mode_16_64 0
		.amdhsa_float_denorm_mode_32 3
		.amdhsa_float_denorm_mode_16_64 3
		.amdhsa_dx10_clamp 1
		.amdhsa_ieee_mode 1
		.amdhsa_fp16_overflow 0
		.amdhsa_workgroup_processor_mode 1
		.amdhsa_memory_ordered 1
		.amdhsa_forward_progress 0
		.amdhsa_shared_vgpr_count 0
		.amdhsa_exception_fp_ieee_invalid_op 0
		.amdhsa_exception_fp_denorm_src 0
		.amdhsa_exception_fp_ieee_div_zero 0
		.amdhsa_exception_fp_ieee_overflow 0
		.amdhsa_exception_fp_ieee_underflow 0
		.amdhsa_exception_fp_ieee_inexact 0
		.amdhsa_exception_int_div_zero 0
	.end_amdhsa_kernel
	.section	.text._ZL37rocblas_syrkx_herkx_restricted_kernelIi19rocblas_complex_numIfELi16ELi32ELi8ELin1ELi0ELb1ELc84ELc76EKS1_S1_EviT_PT9_S3_lS5_S3_lPT10_S3_li,"axG",@progbits,_ZL37rocblas_syrkx_herkx_restricted_kernelIi19rocblas_complex_numIfELi16ELi32ELi8ELin1ELi0ELb1ELc84ELc76EKS1_S1_EviT_PT9_S3_lS5_S3_lPT10_S3_li,comdat
.Lfunc_end328:
	.size	_ZL37rocblas_syrkx_herkx_restricted_kernelIi19rocblas_complex_numIfELi16ELi32ELi8ELin1ELi0ELb1ELc84ELc76EKS1_S1_EviT_PT9_S3_lS5_S3_lPT10_S3_li, .Lfunc_end328-_ZL37rocblas_syrkx_herkx_restricted_kernelIi19rocblas_complex_numIfELi16ELi32ELi8ELin1ELi0ELb1ELc84ELc76EKS1_S1_EviT_PT9_S3_lS5_S3_lPT10_S3_li
                                        ; -- End function
	.section	.AMDGPU.csdata,"",@progbits
; Kernel info:
; codeLenInByte = 2200
; NumSgprs: 22
; NumVgprs: 91
; ScratchSize: 0
; MemoryBound: 0
; FloatMode: 240
; IeeeMode: 1
; LDSByteSize: 4096 bytes/workgroup (compile time only)
; SGPRBlocks: 2
; VGPRBlocks: 11
; NumSGPRsForWavesPerEU: 22
; NumVGPRsForWavesPerEU: 91
; Occupancy: 16
; WaveLimiterHint : 0
; COMPUTE_PGM_RSRC2:SCRATCH_EN: 0
; COMPUTE_PGM_RSRC2:USER_SGPR: 13
; COMPUTE_PGM_RSRC2:TRAP_HANDLER: 0
; COMPUTE_PGM_RSRC2:TGID_X_EN: 1
; COMPUTE_PGM_RSRC2:TGID_Y_EN: 1
; COMPUTE_PGM_RSRC2:TGID_Z_EN: 1
; COMPUTE_PGM_RSRC2:TIDIG_COMP_CNT: 1
	.section	.text._ZL37rocblas_syrkx_herkx_restricted_kernelIi19rocblas_complex_numIfELi16ELi32ELi8ELin1ELi0ELb1ELc67ELc76EKS1_S1_EviT_PT9_S3_lS5_S3_lPT10_S3_li,"axG",@progbits,_ZL37rocblas_syrkx_herkx_restricted_kernelIi19rocblas_complex_numIfELi16ELi32ELi8ELin1ELi0ELb1ELc67ELc76EKS1_S1_EviT_PT9_S3_lS5_S3_lPT10_S3_li,comdat
	.globl	_ZL37rocblas_syrkx_herkx_restricted_kernelIi19rocblas_complex_numIfELi16ELi32ELi8ELin1ELi0ELb1ELc67ELc76EKS1_S1_EviT_PT9_S3_lS5_S3_lPT10_S3_li ; -- Begin function _ZL37rocblas_syrkx_herkx_restricted_kernelIi19rocblas_complex_numIfELi16ELi32ELi8ELin1ELi0ELb1ELc67ELc76EKS1_S1_EviT_PT9_S3_lS5_S3_lPT10_S3_li
	.p2align	8
	.type	_ZL37rocblas_syrkx_herkx_restricted_kernelIi19rocblas_complex_numIfELi16ELi32ELi8ELin1ELi0ELb1ELc67ELc76EKS1_S1_EviT_PT9_S3_lS5_S3_lPT10_S3_li,@function
_ZL37rocblas_syrkx_herkx_restricted_kernelIi19rocblas_complex_numIfELi16ELi32ELi8ELin1ELi0ELb1ELc67ELc76EKS1_S1_EviT_PT9_S3_lS5_S3_lPT10_S3_li: ; @_ZL37rocblas_syrkx_herkx_restricted_kernelIi19rocblas_complex_numIfELi16ELi32ELi8ELin1ELi0ELb1ELc67ELc76EKS1_S1_EviT_PT9_S3_lS5_S3_lPT10_S3_li
; %bb.0:
	s_clause 0x1
	s_load_b64 s[2:3], s[0:1], 0x0
	s_load_b128 s[4:7], s[0:1], 0x30
	v_dual_mov_b32 v17, 0 :: v_dual_and_b32 v6, 0x3ff, v0
	v_bfe_u32 v7, v0, 10, 10
	v_dual_mov_b32 v16, 0 :: v_dual_mov_b32 v11, 0
	v_dual_mov_b32 v12, 0 :: v_dual_mov_b32 v9, 0
	;; [unrolled: 1-line block ×3, first 2 shown]
	v_mov_b32_e32 v0, 0
	s_lshl_b32 s12, s13, 5
	s_lshl_b32 s13, s14, 5
	s_mov_b32 s14, 0
	s_waitcnt lgkmcnt(0)
	s_cmp_lt_i32 s3, 1
	s_cbranch_scc1 .LBB329_3
; %bb.1:
	s_clause 0x3
	s_load_b32 s18, s[0:1], 0x10
	s_load_b128 s[8:11], s[0:1], 0x18
	s_load_b64 s[16:17], s[0:1], 0x8
	s_load_b32 s19, s[0:1], 0x28
	v_lshl_add_u32 v2, v7, 4, v6
	v_dual_mov_b32 v1, 0 :: v_dual_and_b32 v0, 7, v6
	v_lshlrev_b32_e32 v10, 3, v6
	s_mul_i32 s5, s5, s15
	s_delay_alu instid0(VALU_DEP_3)
	v_lshrrev_b32_e32 v4, 3, v2
	v_and_b32_e32 v5, 31, v2
	v_lshlrev_b32_e32 v3, 3, v0
	v_lshrrev_b32_e32 v2, 5, v2
	v_lshl_add_u32 v15, v7, 6, 0x800
	v_add_nc_u32_e32 v12, s13, v4
	v_add_nc_u32_e32 v11, s12, v5
	v_lshl_or_b32 v9, v4, 6, v3
	v_dual_mov_b32 v3, v1 :: v_dual_lshlrev_b32 v8, 3, v5
	v_mov_b32_e32 v17, v1
	v_mov_b32_e32 v16, v1
	s_delay_alu instid0(VALU_DEP_4)
	v_add_nc_u32_e32 v14, 0x800, v9
	s_waitcnt lgkmcnt(0)
	v_mad_i64_i32 v[4:5], null, s18, v11, v[2:3]
	s_mul_i32 s9, s9, s15
	s_mul_hi_u32 s18, s8, s15
	v_mov_b32_e32 v9, v1
	v_lshl_or_b32 v13, v2, 8, v8
	v_mov_b32_e32 v11, v1
	v_mad_i64_i32 v[2:3], null, s19, v12, v[0:1]
	s_mul_i32 s8, s8, s15
	s_add_i32 s9, s18, s9
	v_lshlrev_b64 v[4:5], 3, v[4:5]
	s_lshl_b64 s[8:9], s[8:9], 3
	v_mov_b32_e32 v12, v1
	s_add_u32 s8, s16, s8
	s_mul_hi_u32 s16, s4, s15
	s_addc_u32 s9, s17, s9
	s_add_i32 s5, s16, s5
	s_mul_i32 s4, s4, s15
	v_lshlrev_b64 v[2:3], 3, v[2:3]
	s_lshl_b64 s[4:5], s[4:5], 3
	v_add_co_u32 v0, vcc_lo, s8, v4
	s_add_u32 s4, s10, s4
	v_add_co_ci_u32_e32 v4, vcc_lo, s9, v5, vcc_lo
	s_addc_u32 s5, s11, s5
	v_add_co_u32 v5, vcc_lo, s4, v2
	v_add_co_ci_u32_e32 v8, vcc_lo, s5, v3, vcc_lo
	v_add_co_u32 v2, vcc_lo, v0, 4
	v_add_co_ci_u32_e32 v3, vcc_lo, 0, v4, vcc_lo
	s_delay_alu instid0(VALU_DEP_4) | instskip(NEXT) | instid1(VALU_DEP_4)
	v_add_co_u32 v4, vcc_lo, v5, 4
	v_add_co_ci_u32_e32 v5, vcc_lo, 0, v8, vcc_lo
	v_mov_b32_e32 v0, v1
	v_mov_b32_e32 v8, v1
.LBB329_2:                              ; =>This Inner Loop Header: Depth=1
	global_load_b64 v[18:19], v[2:3], off offset:-4
	global_load_b64 v[20:21], v[4:5], off offset:-4
	v_add_co_u32 v2, vcc_lo, v2, 64
	v_add_co_ci_u32_e32 v3, vcc_lo, 0, v3, vcc_lo
	v_add_co_u32 v4, vcc_lo, v4, 64
	v_add_co_ci_u32_e32 v5, vcc_lo, 0, v5, vcc_lo
	s_add_i32 s14, s14, 8
	s_delay_alu instid0(SALU_CYCLE_1)
	s_cmp_ge_i32 s14, s3
	s_waitcnt vmcnt(1)
	v_xor_b32_e32 v19, 0x80000000, v19
	ds_store_b64 v13, v[18:19]
	s_waitcnt vmcnt(0)
	ds_store_b64 v14, v[20:21]
	s_waitcnt lgkmcnt(0)
	s_barrier
	buffer_gl0_inv
	ds_load_2addr_b64 v[18:21], v10 offset1:16
	ds_load_b128 v[22:25], v15
	ds_load_b128 v[26:29], v15 offset:1024
	ds_load_b128 v[30:33], v15 offset:16
	ds_load_2addr_b64 v[34:37], v10 offset0:32 offset1:48
	ds_load_b128 v[38:41], v15 offset:32
	ds_load_b128 v[42:45], v15 offset:48
	ds_load_2addr_b64 v[46:49], v10 offset0:64 offset1:80
	ds_load_b128 v[50:53], v15 offset:1040
	ds_load_2addr_b64 v[54:57], v10 offset0:96 offset1:112
	ds_load_2addr_b64 v[58:61], v10 offset0:128 offset1:144
	;; [unrolled: 1-line block ×4, first 2 shown]
	ds_load_b128 v[70:73], v15 offset:1056
	ds_load_b128 v[74:77], v15 offset:1072
	ds_load_2addr_b64 v[78:81], v10 offset0:224 offset1:240
	s_waitcnt lgkmcnt(0)
	s_barrier
	buffer_gl0_inv
	v_dual_mul_f32 v82, v23, v19 :: v_dual_mul_f32 v85, v22, v21
	v_dual_mul_f32 v83, v22, v19 :: v_dual_mul_f32 v84, v23, v21
	v_mul_f32_e32 v86, v27, v19
	v_dual_mul_f32 v19, v26, v19 :: v_dual_mul_f32 v90, v25, v37
	v_dual_mul_f32 v87, v27, v21 :: v_dual_mul_f32 v88, v25, v35
	v_mul_f32_e32 v21, v26, v21
	v_fma_f32 v82, v22, v18, -v82
	v_fmac_f32_e32 v83, v23, v18
	v_fma_f32 v22, v22, v20, -v84
	v_fmac_f32_e32 v85, v23, v20
	v_fma_f32 v23, v26, v18, -v86
	v_dual_fmac_f32 v19, v27, v18 :: v_dual_mul_f32 v86, v30, v47
	v_fma_f32 v18, v26, v20, -v87
	v_dual_fmac_f32 v21, v27, v20 :: v_dual_mul_f32 v20, v24, v37
	v_mul_f32_e32 v89, v24, v35
	v_mul_f32_e32 v26, v29, v35
	;; [unrolled: 1-line block ×4, first 2 shown]
	v_fmac_f32_e32 v20, v25, v36
	v_fmac_f32_e32 v89, v25, v34
	v_dual_mul_f32 v25, v28, v37 :: v_dual_fmac_f32 v86, v31, v46
	v_fma_f32 v84, v24, v34, -v88
	v_fma_f32 v24, v24, v36, -v90
	v_dual_mul_f32 v37, v31, v47 :: v_dual_mul_f32 v90, v33, v57
	v_fma_f32 v26, v28, v34, -v26
	v_fma_f32 v28, v28, v36, -v35
	v_fmac_f32_e32 v25, v29, v36
	v_dual_mul_f32 v35, v50, v47 :: v_dual_mul_f32 v36, v51, v49
	v_dual_fmac_f32 v27, v29, v34 :: v_dual_mul_f32 v34, v51, v47
	v_dual_mul_f32 v88, v32, v55 :: v_dual_mul_f32 v29, v30, v49
	v_mul_f32_e32 v87, v31, v49
	v_fma_f32 v37, v30, v46, -v37
	v_add_f32_e32 v16, v16, v82
	s_delay_alu instid0(VALU_DEP_4)
	v_dual_fmac_f32 v88, v33, v54 :: v_dual_fmac_f32 v29, v31, v48
	v_fma_f32 v31, v50, v46, -v34
	v_fma_f32 v34, v50, v48, -v36
	v_mul_f32_e32 v36, v32, v57
	v_mul_f32_e32 v47, v50, v49
	v_dual_mul_f32 v50, v53, v57 :: v_dual_fmac_f32 v35, v51, v46
	v_mul_f32_e32 v46, v53, v55
	v_mul_f32_e32 v49, v33, v55
	v_fma_f32 v30, v30, v48, -v87
	v_fmac_f32_e32 v36, v33, v56
	v_dual_fmac_f32 v47, v51, v48 :: v_dual_mul_f32 v48, v52, v55
	v_mul_f32_e32 v33, v52, v57
	v_fma_f32 v46, v52, v54, -v46
	v_fma_f32 v50, v52, v56, -v50
	v_mul_f32_e32 v52, v38, v61
	v_fma_f32 v49, v32, v54, -v49
	v_fma_f32 v32, v32, v56, -v90
	v_dual_mul_f32 v51, v39, v59 :: v_dual_fmac_f32 v48, v53, v54
	v_mul_f32_e32 v54, v70, v59
	v_dual_mul_f32 v55, v38, v59 :: v_dual_fmac_f32 v52, v39, v60
	v_fmac_f32_e32 v33, v53, v56
	v_mul_f32_e32 v53, v71, v59
	v_mul_f32_e32 v56, v71, v61
	;; [unrolled: 1-line block ×3, first 2 shown]
	v_fmac_f32_e32 v54, v71, v58
	v_fmac_f32_e32 v55, v39, v58
	v_fma_f32 v39, v70, v58, -v53
	v_fma_f32 v53, v70, v60, -v56
	v_mul_f32_e32 v56, v40, v65
	v_mul_f32_e32 v59, v70, v61
	v_fma_f32 v51, v38, v58, -v51
	v_mul_f32_e32 v58, v72, v63
	v_mul_f32_e32 v87, v40, v63
	;; [unrolled: 1-line block ×4, first 2 shown]
	v_fma_f32 v38, v38, v60, -v57
	v_mul_f32_e32 v57, v73, v63
	v_fmac_f32_e32 v56, v41, v64
	v_dual_fmac_f32 v59, v71, v60 :: v_dual_mul_f32 v60, v73, v65
	v_mul_f32_e32 v63, v43, v67
	v_mul_f32_e32 v70, v43, v69
	v_fmac_f32_e32 v58, v73, v62
	v_fmac_f32_e32 v87, v41, v62
	v_mul_f32_e32 v41, v72, v65
	v_fma_f32 v61, v40, v62, -v61
	v_fma_f32 v40, v40, v64, -v90
	v_mul_f32_e32 v65, v42, v67
	v_fma_f32 v57, v72, v62, -v57
	v_fma_f32 v60, v72, v64, -v60
	v_dual_fmac_f32 v41, v73, v64 :: v_dual_mul_f32 v62, v42, v69
	v_mul_f32_e32 v64, v75, v67
	v_fma_f32 v63, v42, v66, -v63
	v_fma_f32 v42, v42, v68, -v70
	v_mul_f32_e32 v70, v76, v79
	v_mul_f32_e32 v67, v74, v67
	;; [unrolled: 1-line block ×3, first 2 shown]
	v_dual_mul_f32 v69, v74, v69 :: v_dual_add_f32 v12, v12, v22
	v_mul_f32_e32 v73, v44, v79
	v_dual_fmac_f32 v65, v43, v66 :: v_dual_add_f32 v8, v8, v19
	v_fmac_f32_e32 v62, v43, v68
	v_fma_f32 v43, v74, v66, -v64
	v_fmac_f32_e32 v70, v77, v78
	v_dual_fmac_f32 v67, v75, v66 :: v_dual_add_f32 v16, v16, v84
	v_mul_f32_e32 v66, v44, v81
	v_mul_f32_e32 v72, v45, v79
	v_dual_mul_f32 v90, v45, v81 :: v_dual_fmac_f32 v69, v75, v68
	v_add_f32_e32 v0, v0, v18
	v_dual_fmac_f32 v73, v45, v78 :: v_dual_add_f32 v8, v8, v27
	v_dual_fmac_f32 v66, v45, v80 :: v_dual_mul_f32 v45, v76, v81
	v_fma_f32 v64, v74, v68, -v71
	v_dual_mul_f32 v71, v77, v81 :: v_dual_add_f32 v12, v12, v24
	v_dual_add_f32 v17, v17, v83 :: v_dual_add_f32 v0, v0, v28
	s_delay_alu instid0(VALU_DEP_4) | instskip(NEXT) | instid1(VALU_DEP_3)
	v_dual_fmac_f32 v45, v77, v80 :: v_dual_add_f32 v16, v16, v37
	v_dual_add_f32 v11, v11, v85 :: v_dual_add_f32 v12, v12, v30
	s_delay_alu instid0(VALU_DEP_3) | instskip(SKIP_1) | instid1(VALU_DEP_3)
	v_dual_add_f32 v9, v9, v23 :: v_dual_add_f32 v0, v0, v34
	v_dual_add_f32 v1, v1, v21 :: v_dual_add_f32 v8, v8, v35
	;; [unrolled: 1-line block ×3, first 2 shown]
	s_delay_alu instid0(VALU_DEP_4) | instskip(NEXT) | instid1(VALU_DEP_3)
	v_dual_add_f32 v11, v11, v20 :: v_dual_add_f32 v16, v16, v49
	v_dual_add_f32 v9, v9, v26 :: v_dual_add_f32 v8, v8, v48
	s_delay_alu instid0(VALU_DEP_4) | instskip(NEXT) | instid1(VALU_DEP_3)
	v_dual_add_f32 v1, v1, v25 :: v_dual_add_f32 v0, v0, v50
	v_dual_add_f32 v17, v17, v86 :: v_dual_add_f32 v16, v16, v51
	s_delay_alu instid0(VALU_DEP_4) | instskip(NEXT) | instid1(VALU_DEP_4)
	v_dual_add_f32 v11, v11, v29 :: v_dual_add_f32 v12, v12, v38
	v_dual_add_f32 v9, v9, v31 :: v_dual_add_f32 v8, v8, v54
	s_delay_alu instid0(VALU_DEP_4) | instskip(NEXT) | instid1(VALU_DEP_4)
	v_dual_add_f32 v1, v1, v47 :: v_dual_add_f32 v0, v0, v53
	v_dual_add_f32 v17, v17, v88 :: v_dual_add_f32 v16, v16, v61
	s_delay_alu instid0(VALU_DEP_3) | instskip(NEXT) | instid1(VALU_DEP_4)
	v_dual_add_f32 v11, v11, v36 :: v_dual_add_f32 v8, v8, v58
	v_dual_add_f32 v9, v9, v46 :: v_dual_add_f32 v12, v12, v40
	s_delay_alu instid0(VALU_DEP_4) | instskip(SKIP_1) | instid1(VALU_DEP_3)
	v_dual_add_f32 v1, v1, v33 :: v_dual_add_f32 v0, v0, v60
	v_fma_f32 v72, v44, v78, -v72
	v_dual_add_f32 v17, v17, v55 :: v_dual_add_f32 v12, v12, v42
	v_dual_add_f32 v11, v11, v52 :: v_dual_add_f32 v16, v16, v63
	s_delay_alu instid0(VALU_DEP_4) | instskip(SKIP_2) | instid1(VALU_DEP_4)
	v_dual_add_f32 v9, v9, v39 :: v_dual_add_f32 v0, v0, v64
	v_add_f32_e32 v1, v1, v59
	v_mul_f32_e32 v68, v77, v79
	v_add_f32_e32 v16, v16, v72
	v_fma_f32 v44, v44, v80, -v90
	v_fma_f32 v71, v76, v80, -v71
	v_add_f32_e32 v17, v17, v87
	v_dual_add_f32 v11, v11, v56 :: v_dual_add_f32 v8, v8, v67
	v_add_f32_e32 v9, v9, v57
	s_delay_alu instid0(VALU_DEP_4) | instskip(SKIP_1) | instid1(VALU_DEP_4)
	v_dual_add_f32 v1, v1, v41 :: v_dual_add_f32 v0, v0, v71
	v_fma_f32 v68, v76, v78, -v68
	v_dual_add_f32 v11, v11, v62 :: v_dual_add_f32 v12, v12, v44
	v_add_f32_e32 v17, v17, v65
	s_delay_alu instid0(VALU_DEP_4) | instskip(SKIP_1) | instid1(VALU_DEP_4)
	v_dual_add_f32 v1, v1, v69 :: v_dual_add_f32 v8, v8, v70
	v_add_f32_e32 v9, v9, v43
	v_add_f32_e32 v11, v11, v66
	s_delay_alu instid0(VALU_DEP_4) | instskip(NEXT) | instid1(VALU_DEP_4)
	v_add_f32_e32 v17, v17, v73
	v_add_f32_e32 v1, v1, v45
	s_delay_alu instid0(VALU_DEP_4)
	v_add_f32_e32 v9, v9, v68
	s_cbranch_scc0 .LBB329_2
.LBB329_3:
	s_clause 0x1
	s_load_b32 s3, s[0:1], 0x40
	s_load_b64 s[4:5], s[0:1], 0x48
	v_add_nc_u32_e32 v7, s13, v7
	v_add_nc_u32_e32 v2, s12, v6
	s_delay_alu instid0(VALU_DEP_1)
	v_cmp_le_i32_e64 s0, v7, v2
	v_cmp_gt_i32_e32 vcc_lo, s2, v2
	s_waitcnt lgkmcnt(0)
	v_mad_i64_i32 v[3:4], null, v7, s3, 0
	s_mul_i32 s1, s15, s5
	s_mul_hi_u32 s5, s15, s4
	s_mul_i32 s4, s15, s4
	s_add_i32 s5, s5, s1
	s_delay_alu instid0(SALU_CYCLE_1) | instskip(NEXT) | instid1(VALU_DEP_1)
	s_lshl_b64 s[4:5], s[4:5], 3
	v_lshlrev_b64 v[3:4], 3, v[3:4]
	s_add_u32 s4, s6, s4
	s_addc_u32 s5, s7, s5
	s_and_b32 s0, s0, vcc_lo
	s_delay_alu instid0(VALU_DEP_1) | instskip(NEXT) | instid1(VALU_DEP_1)
	v_add_co_u32 v6, s1, s4, v3
	v_add_co_ci_u32_e64 v10, s1, s5, v4, s1
	s_and_saveexec_b32 s1, s0
	s_cbranch_execz .LBB329_6
; %bb.4:
	v_ashrrev_i32_e32 v3, 31, v2
	v_xor_b32_e32 v13, 0x80000000, v16
	v_xor_b32_e32 v14, 0x80000000, v17
	s_delay_alu instid0(VALU_DEP_3) | instskip(NEXT) | instid1(VALU_DEP_1)
	v_lshlrev_b64 v[3:4], 3, v[2:3]
	v_add_co_u32 v3, s0, v6, v3
	s_delay_alu instid0(VALU_DEP_1)
	v_add_co_ci_u32_e64 v4, s0, v10, v4, s0
	v_cmp_eq_u32_e64 s0, v7, v2
	global_store_b64 v[3:4], v[13:14], off
	s_and_b32 exec_lo, exec_lo, s0
	s_cbranch_execz .LBB329_6
; %bb.5:
	v_mov_b32_e32 v5, 0
	global_store_b32 v[3:4], v5, off offset:4
.LBB329_6:
	s_or_b32 exec_lo, exec_lo, s1
	v_add_nc_u32_e32 v4, 16, v2
	s_delay_alu instid0(VALU_DEP_1) | instskip(SKIP_1) | instid1(VALU_DEP_1)
	v_cmp_le_i32_e64 s1, v7, v4
	v_cmp_gt_i32_e64 s0, s2, v4
	s_and_b32 s1, s1, s0
	s_delay_alu instid0(SALU_CYCLE_1)
	s_and_saveexec_b32 s2, s1
	s_cbranch_execz .LBB329_9
; %bb.7:
	v_ashrrev_i32_e32 v5, 31, v4
	v_xor_b32_e32 v15, 0x80000000, v12
	v_xor_b32_e32 v16, 0x80000000, v11
	s_delay_alu instid0(VALU_DEP_3) | instskip(NEXT) | instid1(VALU_DEP_1)
	v_lshlrev_b64 v[13:14], 3, v[4:5]
	v_add_co_u32 v5, s1, v6, v13
	s_delay_alu instid0(VALU_DEP_1)
	v_add_co_ci_u32_e64 v6, s1, v10, v14, s1
	v_cmp_eq_u32_e64 s1, v7, v4
	global_store_b64 v[5:6], v[15:16], off
	s_and_b32 exec_lo, exec_lo, s1
	s_cbranch_execz .LBB329_9
; %bb.8:
	v_mov_b32_e32 v3, 0
	global_store_b32 v[5:6], v3, off offset:4
.LBB329_9:
	s_or_b32 exec_lo, exec_lo, s2
	v_add_nc_u32_e32 v12, 16, v7
	s_delay_alu instid0(VALU_DEP_1) | instskip(SKIP_1) | instid1(VALU_DEP_2)
	v_mad_i64_i32 v[5:6], null, v12, s3, 0
	v_cmp_le_i32_e64 s1, v12, v2
	v_lshlrev_b64 v[5:6], 3, v[5:6]
	s_delay_alu instid0(VALU_DEP_1) | instskip(NEXT) | instid1(VALU_DEP_1)
	v_add_co_u32 v10, s2, s4, v5
	v_add_co_ci_u32_e64 v11, s2, s5, v6, s2
	s_delay_alu instid0(VALU_DEP_4) | instskip(NEXT) | instid1(SALU_CYCLE_1)
	s_and_b32 s2, s1, vcc_lo
	s_and_saveexec_b32 s1, s2
	s_cbranch_execz .LBB329_12
; %bb.10:
	v_ashrrev_i32_e32 v3, 31, v2
	v_xor_b32_e32 v13, 0x80000000, v9
	v_xor_b32_e32 v14, 0x80000000, v8
	s_delay_alu instid0(VALU_DEP_3) | instskip(NEXT) | instid1(VALU_DEP_1)
	v_lshlrev_b64 v[5:6], 3, v[2:3]
	v_add_co_u32 v5, vcc_lo, v10, v5
	s_delay_alu instid0(VALU_DEP_2)
	v_add_co_ci_u32_e32 v6, vcc_lo, v11, v6, vcc_lo
	v_cmp_eq_u32_e32 vcc_lo, v12, v2
	global_store_b64 v[5:6], v[13:14], off
	s_and_b32 exec_lo, exec_lo, vcc_lo
	s_cbranch_execz .LBB329_12
; %bb.11:
	v_mov_b32_e32 v3, 0
	global_store_b32 v[5:6], v3, off offset:4
.LBB329_12:
	s_or_b32 exec_lo, exec_lo, s1
	v_cmp_le_i32_e32 vcc_lo, v12, v4
	s_and_b32 s0, vcc_lo, s0
	s_delay_alu instid0(SALU_CYCLE_1)
	s_and_saveexec_b32 s1, s0
	s_cbranch_execz .LBB329_15
; %bb.13:
	v_ashrrev_i32_e32 v5, 31, v4
	v_xor_b32_e32 v6, 0x80000000, v1
	s_delay_alu instid0(VALU_DEP_2) | instskip(SKIP_1) | instid1(VALU_DEP_2)
	v_lshlrev_b64 v[3:4], 3, v[4:5]
	v_xor_b32_e32 v5, 0x80000000, v0
	v_add_co_u32 v0, vcc_lo, v10, v3
	s_delay_alu instid0(VALU_DEP_3)
	v_add_co_ci_u32_e32 v1, vcc_lo, v11, v4, vcc_lo
	v_cmp_eq_u32_e32 vcc_lo, v7, v2
	global_store_b64 v[0:1], v[5:6], off
	s_and_b32 exec_lo, exec_lo, vcc_lo
	s_cbranch_execz .LBB329_15
; %bb.14:
	v_mov_b32_e32 v2, 0
	global_store_b32 v[0:1], v2, off offset:4
.LBB329_15:
	s_nop 0
	s_sendmsg sendmsg(MSG_DEALLOC_VGPRS)
	s_endpgm
	.section	.rodata,"a",@progbits
	.p2align	6, 0x0
	.amdhsa_kernel _ZL37rocblas_syrkx_herkx_restricted_kernelIi19rocblas_complex_numIfELi16ELi32ELi8ELin1ELi0ELb1ELc67ELc76EKS1_S1_EviT_PT9_S3_lS5_S3_lPT10_S3_li
		.amdhsa_group_segment_fixed_size 4096
		.amdhsa_private_segment_fixed_size 0
		.amdhsa_kernarg_size 84
		.amdhsa_user_sgpr_count 13
		.amdhsa_user_sgpr_dispatch_ptr 0
		.amdhsa_user_sgpr_queue_ptr 0
		.amdhsa_user_sgpr_kernarg_segment_ptr 1
		.amdhsa_user_sgpr_dispatch_id 0
		.amdhsa_user_sgpr_private_segment_size 0
		.amdhsa_wavefront_size32 1
		.amdhsa_uses_dynamic_stack 0
		.amdhsa_enable_private_segment 0
		.amdhsa_system_sgpr_workgroup_id_x 1
		.amdhsa_system_sgpr_workgroup_id_y 1
		.amdhsa_system_sgpr_workgroup_id_z 1
		.amdhsa_system_sgpr_workgroup_info 0
		.amdhsa_system_vgpr_workitem_id 1
		.amdhsa_next_free_vgpr 91
		.amdhsa_next_free_sgpr 20
		.amdhsa_reserve_vcc 1
		.amdhsa_float_round_mode_32 0
		.amdhsa_float_round_mode_16_64 0
		.amdhsa_float_denorm_mode_32 3
		.amdhsa_float_denorm_mode_16_64 3
		.amdhsa_dx10_clamp 1
		.amdhsa_ieee_mode 1
		.amdhsa_fp16_overflow 0
		.amdhsa_workgroup_processor_mode 1
		.amdhsa_memory_ordered 1
		.amdhsa_forward_progress 0
		.amdhsa_shared_vgpr_count 0
		.amdhsa_exception_fp_ieee_invalid_op 0
		.amdhsa_exception_fp_denorm_src 0
		.amdhsa_exception_fp_ieee_div_zero 0
		.amdhsa_exception_fp_ieee_overflow 0
		.amdhsa_exception_fp_ieee_underflow 0
		.amdhsa_exception_fp_ieee_inexact 0
		.amdhsa_exception_int_div_zero 0
	.end_amdhsa_kernel
	.section	.text._ZL37rocblas_syrkx_herkx_restricted_kernelIi19rocblas_complex_numIfELi16ELi32ELi8ELin1ELi0ELb1ELc67ELc76EKS1_S1_EviT_PT9_S3_lS5_S3_lPT10_S3_li,"axG",@progbits,_ZL37rocblas_syrkx_herkx_restricted_kernelIi19rocblas_complex_numIfELi16ELi32ELi8ELin1ELi0ELb1ELc67ELc76EKS1_S1_EviT_PT9_S3_lS5_S3_lPT10_S3_li,comdat
.Lfunc_end329:
	.size	_ZL37rocblas_syrkx_herkx_restricted_kernelIi19rocblas_complex_numIfELi16ELi32ELi8ELin1ELi0ELb1ELc67ELc76EKS1_S1_EviT_PT9_S3_lS5_S3_lPT10_S3_li, .Lfunc_end329-_ZL37rocblas_syrkx_herkx_restricted_kernelIi19rocblas_complex_numIfELi16ELi32ELi8ELin1ELi0ELb1ELc67ELc76EKS1_S1_EviT_PT9_S3_lS5_S3_lPT10_S3_li
                                        ; -- End function
	.section	.AMDGPU.csdata,"",@progbits
; Kernel info:
; codeLenInByte = 2212
; NumSgprs: 22
; NumVgprs: 91
; ScratchSize: 0
; MemoryBound: 0
; FloatMode: 240
; IeeeMode: 1
; LDSByteSize: 4096 bytes/workgroup (compile time only)
; SGPRBlocks: 2
; VGPRBlocks: 11
; NumSGPRsForWavesPerEU: 22
; NumVGPRsForWavesPerEU: 91
; Occupancy: 16
; WaveLimiterHint : 0
; COMPUTE_PGM_RSRC2:SCRATCH_EN: 0
; COMPUTE_PGM_RSRC2:USER_SGPR: 13
; COMPUTE_PGM_RSRC2:TRAP_HANDLER: 0
; COMPUTE_PGM_RSRC2:TGID_X_EN: 1
; COMPUTE_PGM_RSRC2:TGID_Y_EN: 1
; COMPUTE_PGM_RSRC2:TGID_Z_EN: 1
; COMPUTE_PGM_RSRC2:TIDIG_COMP_CNT: 1
	.section	.text._ZL37rocblas_syrkx_herkx_restricted_kernelIi19rocblas_complex_numIfELi16ELi32ELi8ELin1ELi0ELb1ELc78ELc76EKS1_S1_EviT_PT9_S3_lS5_S3_lPT10_S3_li,"axG",@progbits,_ZL37rocblas_syrkx_herkx_restricted_kernelIi19rocblas_complex_numIfELi16ELi32ELi8ELin1ELi0ELb1ELc78ELc76EKS1_S1_EviT_PT9_S3_lS5_S3_lPT10_S3_li,comdat
	.globl	_ZL37rocblas_syrkx_herkx_restricted_kernelIi19rocblas_complex_numIfELi16ELi32ELi8ELin1ELi0ELb1ELc78ELc76EKS1_S1_EviT_PT9_S3_lS5_S3_lPT10_S3_li ; -- Begin function _ZL37rocblas_syrkx_herkx_restricted_kernelIi19rocblas_complex_numIfELi16ELi32ELi8ELin1ELi0ELb1ELc78ELc76EKS1_S1_EviT_PT9_S3_lS5_S3_lPT10_S3_li
	.p2align	8
	.type	_ZL37rocblas_syrkx_herkx_restricted_kernelIi19rocblas_complex_numIfELi16ELi32ELi8ELin1ELi0ELb1ELc78ELc76EKS1_S1_EviT_PT9_S3_lS5_S3_lPT10_S3_li,@function
_ZL37rocblas_syrkx_herkx_restricted_kernelIi19rocblas_complex_numIfELi16ELi32ELi8ELin1ELi0ELb1ELc78ELc76EKS1_S1_EviT_PT9_S3_lS5_S3_lPT10_S3_li: ; @_ZL37rocblas_syrkx_herkx_restricted_kernelIi19rocblas_complex_numIfELi16ELi32ELi8ELin1ELi0ELb1ELc78ELc76EKS1_S1_EviT_PT9_S3_lS5_S3_lPT10_S3_li
; %bb.0:
	s_clause 0x1
	s_load_b64 s[2:3], s[0:1], 0x0
	s_load_b128 s[4:7], s[0:1], 0x30
	v_dual_mov_b32 v17, 0 :: v_dual_and_b32 v4, 0x3ff, v0
	v_bfe_u32 v5, v0, 10, 10
	v_dual_mov_b32 v16, 0 :: v_dual_mov_b32 v11, 0
	v_dual_mov_b32 v10, 0 :: v_dual_mov_b32 v9, 0
	v_dual_mov_b32 v8, 0 :: v_dual_mov_b32 v7, 0
	v_mov_b32_e32 v6, 0
	s_lshl_b32 s12, s13, 5
	s_lshl_b32 s13, s14, 5
	s_mov_b32 s14, 0
	s_waitcnt lgkmcnt(0)
	s_cmp_lt_i32 s3, 1
	s_cbranch_scc1 .LBB330_3
; %bb.1:
	s_clause 0x1
	s_load_b32 s16, s[0:1], 0x10
	s_load_b32 s18, s[0:1], 0x28
	v_lshl_add_u32 v0, v5, 4, v4
	v_and_b32_e32 v8, 7, v4
	s_clause 0x1
	s_load_b128 s[8:11], s[0:1], 0x18
	s_load_b64 s[20:21], s[0:1], 0x8
	s_mul_i32 s5, s5, s15
	v_lshrrev_b32_e32 v1, 3, v0
	v_and_b32_e32 v2, 31, v0
	v_lshrrev_b32_e32 v9, 5, v0
	v_lshlrev_b32_e32 v3, 3, v8
	s_delay_alu instid0(VALU_DEP_4) | instskip(NEXT) | instid1(VALU_DEP_4)
	v_dual_mov_b32 v11, 0 :: v_dual_add_nc_u32 v0, s13, v1
	v_dual_mov_b32 v17, 0 :: v_dual_lshlrev_b32 v6, 3, v2
	v_add_nc_u32_e32 v2, s12, v2
	s_delay_alu instid0(VALU_DEP_4) | instskip(NEXT) | instid1(VALU_DEP_4)
	v_lshl_or_b32 v10, v1, 6, v3
	v_ashrrev_i32_e32 v1, 31, v0
	s_delay_alu instid0(VALU_DEP_4)
	v_lshl_or_b32 v12, v9, 8, v6
	v_lshlrev_b32_e32 v14, 3, v4
	v_ashrrev_i32_e32 v3, 31, v2
	s_waitcnt lgkmcnt(0)
	s_ashr_i32 s17, s16, 31
	v_mad_i64_i32 v[6:7], null, s18, v8, v[0:1]
	s_mul_i32 s9, s9, s15
	v_mad_i64_i32 v[0:1], null, s16, v9, v[2:3]
	s_mul_hi_u32 s22, s8, s15
	s_mul_i32 s8, s8, s15
	s_add_i32 s9, s22, s9
	s_ashr_i32 s19, s18, 31
	s_lshl_b64 s[8:9], s[8:9], 3
	v_dual_mov_b32 v8, 0 :: v_dual_add_nc_u32 v13, 0x800, v10
	s_delay_alu instid0(VALU_DEP_2)
	v_lshlrev_b64 v[0:1], 3, v[0:1]
	s_add_u32 s8, s20, s8
	s_addc_u32 s9, s21, s9
	s_mul_hi_u32 s20, s4, s15
	s_mul_i32 s4, s4, s15
	s_add_i32 s5, s20, s5
	v_add_co_u32 v2, vcc_lo, s8, v0
	v_add_co_ci_u32_e32 v3, vcc_lo, s9, v1, vcc_lo
	v_lshlrev_b64 v[0:1], 3, v[6:7]
	s_lshl_b64 s[8:9], s[4:5], 3
	s_lshl_b64 s[4:5], s[16:17], 6
	s_add_u32 s8, s10, s8
	s_addc_u32 s9, s11, s9
	v_lshl_add_u32 v15, v5, 6, 0x800
	v_add_co_u32 v6, vcc_lo, s8, v0
	v_add_co_ci_u32_e32 v7, vcc_lo, s9, v1, vcc_lo
	v_add_co_u32 v0, vcc_lo, v2, 4
	v_add_co_ci_u32_e32 v1, vcc_lo, 0, v3, vcc_lo
	s_delay_alu instid0(VALU_DEP_4) | instskip(NEXT) | instid1(VALU_DEP_4)
	v_add_co_u32 v2, vcc_lo, v6, 4
	v_add_co_ci_u32_e32 v3, vcc_lo, 0, v7, vcc_lo
	v_dual_mov_b32 v6, 0 :: v_dual_mov_b32 v7, 0
	v_dual_mov_b32 v9, 0 :: v_dual_mov_b32 v10, 0
	v_mov_b32_e32 v16, 0
	s_lshl_b64 s[8:9], s[18:19], 6
.LBB330_2:                              ; =>This Inner Loop Header: Depth=1
	global_load_b64 v[18:19], v[2:3], off offset:-4
	global_load_b64 v[20:21], v[0:1], off offset:-4
	v_add_co_u32 v0, vcc_lo, v0, s4
	v_add_co_ci_u32_e32 v1, vcc_lo, s5, v1, vcc_lo
	v_add_co_u32 v2, vcc_lo, v2, s8
	v_add_co_ci_u32_e32 v3, vcc_lo, s9, v3, vcc_lo
	s_add_i32 s14, s14, 8
	s_delay_alu instid0(SALU_CYCLE_1)
	s_cmp_ge_i32 s14, s3
	s_waitcnt vmcnt(1)
	v_xor_b32_e32 v19, 0x80000000, v19
	s_waitcnt vmcnt(0)
	ds_store_b64 v12, v[20:21]
	ds_store_b64 v13, v[18:19]
	s_waitcnt lgkmcnt(0)
	s_barrier
	buffer_gl0_inv
	ds_load_2addr_b64 v[18:21], v14 offset1:16
	ds_load_b128 v[22:25], v15
	ds_load_b128 v[26:29], v15 offset:1024
	ds_load_b128 v[30:33], v15 offset:16
	ds_load_2addr_b64 v[34:37], v14 offset0:32 offset1:48
	ds_load_b128 v[38:41], v15 offset:32
	ds_load_b128 v[42:45], v15 offset:48
	ds_load_2addr_b64 v[46:49], v14 offset0:64 offset1:80
	ds_load_b128 v[50:53], v15 offset:1040
	ds_load_2addr_b64 v[54:57], v14 offset0:96 offset1:112
	ds_load_2addr_b64 v[58:61], v14 offset0:128 offset1:144
	;; [unrolled: 1-line block ×4, first 2 shown]
	ds_load_b128 v[70:73], v15 offset:1056
	ds_load_b128 v[74:77], v15 offset:1072
	ds_load_2addr_b64 v[78:81], v14 offset0:224 offset1:240
	s_waitcnt lgkmcnt(0)
	s_barrier
	buffer_gl0_inv
	v_dual_mul_f32 v82, v23, v19 :: v_dual_mul_f32 v85, v22, v21
	v_dual_mul_f32 v83, v22, v19 :: v_dual_mul_f32 v84, v23, v21
	v_mul_f32_e32 v86, v27, v19
	v_dual_mul_f32 v19, v26, v19 :: v_dual_mul_f32 v90, v25, v37
	v_dual_mul_f32 v87, v27, v21 :: v_dual_mul_f32 v88, v25, v35
	v_mul_f32_e32 v21, v26, v21
	v_mul_f32_e32 v89, v24, v35
	;; [unrolled: 1-line block ×3, first 2 shown]
	v_fma_f32 v82, v22, v18, -v82
	v_fmac_f32_e32 v83, v23, v18
	v_fma_f32 v22, v22, v20, -v84
	v_dual_fmac_f32 v85, v23, v20 :: v_dual_mul_f32 v84, v30, v47
	v_fma_f32 v23, v26, v18, -v86
	v_fmac_f32_e32 v19, v27, v18
	v_fma_f32 v18, v26, v20, -v87
	v_dual_mul_f32 v26, v28, v35 :: v_dual_fmac_f32 v21, v27, v20
	v_mul_f32_e32 v20, v29, v35
	v_mul_f32_e32 v27, v29, v37
	v_dual_mul_f32 v35, v28, v37 :: v_dual_fmac_f32 v84, v31, v46
	v_fma_f32 v37, v24, v34, -v88
	v_fma_f32 v24, v24, v36, -v90
	v_dual_fmac_f32 v91, v25, v36 :: v_dual_mul_f32 v90, v32, v57
	v_dual_mul_f32 v86, v31, v49 :: v_dual_fmac_f32 v89, v25, v34
	v_dual_mul_f32 v25, v31, v47 :: v_dual_mul_f32 v88, v33, v57
	v_fma_f32 v20, v28, v34, -v20
	v_fmac_f32_e32 v26, v29, v34
	v_fma_f32 v27, v28, v36, -v27
	v_dual_fmac_f32 v35, v29, v36 :: v_dual_mul_f32 v28, v51, v47
	v_dual_mul_f32 v29, v50, v47 :: v_dual_mul_f32 v34, v51, v49
	v_mul_f32_e32 v36, v50, v49
	v_mul_f32_e32 v87, v30, v49
	;; [unrolled: 1-line block ×3, first 2 shown]
	v_dual_mul_f32 v49, v32, v55 :: v_dual_fmac_f32 v90, v33, v56
	v_fma_f32 v25, v30, v46, -v25
	v_fma_f32 v30, v30, v48, -v86
	;; [unrolled: 1-line block ×3, first 2 shown]
	v_fmac_f32_e32 v36, v51, v48
	v_fmac_f32_e32 v87, v31, v48
	v_fma_f32 v31, v50, v48, -v34
	v_mul_f32_e32 v34, v53, v55
	v_mul_f32_e32 v48, v53, v57
	v_dual_mul_f32 v50, v52, v57 :: v_dual_fmac_f32 v29, v51, v46
	v_mul_f32_e32 v46, v52, v55
	v_fma_f32 v47, v32, v54, -v47
	v_fmac_f32_e32 v49, v33, v54
	v_fma_f32 v32, v32, v56, -v88
	s_delay_alu instid0(VALU_DEP_4)
	v_dual_mul_f32 v33, v39, v59 :: v_dual_fmac_f32 v46, v53, v54
	v_mul_f32_e32 v51, v38, v59
	v_mul_f32_e32 v55, v39, v61
	v_fma_f32 v34, v52, v54, -v34
	v_fma_f32 v48, v52, v56, -v48
	v_fmac_f32_e32 v50, v53, v56
	v_mul_f32_e32 v52, v71, v59
	v_dual_mul_f32 v53, v70, v59 :: v_dual_mul_f32 v86, v41, v65
	v_mul_f32_e32 v54, v71, v61
	v_dual_mul_f32 v56, v70, v61 :: v_dual_mul_f32 v59, v41, v63
	v_mul_f32_e32 v57, v38, v61
	v_mul_f32_e32 v61, v40, v63
	v_dual_mul_f32 v88, v40, v65 :: v_dual_fmac_f32 v51, v39, v58
	v_fma_f32 v33, v38, v58, -v33
	v_fmac_f32_e32 v53, v71, v58
	v_fmac_f32_e32 v56, v71, v60
	s_delay_alu instid0(VALU_DEP_4)
	v_fmac_f32_e32 v88, v41, v64
	v_fmac_f32_e32 v57, v39, v60
	v_fma_f32 v39, v70, v58, -v52
	v_fma_f32 v52, v70, v60, -v54
	v_mul_f32_e32 v54, v73, v63
	v_fma_f32 v38, v38, v60, -v55
	v_mul_f32_e32 v60, v72, v65
	v_dual_mul_f32 v55, v72, v63 :: v_dual_mul_f32 v70, v42, v69
	v_mul_f32_e32 v58, v73, v65
	v_fma_f32 v59, v40, v62, -v59
	v_fmac_f32_e32 v61, v41, v62
	v_fma_f32 v40, v40, v64, -v86
	v_dual_mul_f32 v41, v43, v67 :: v_dual_fmac_f32 v60, v73, v64
	v_dual_mul_f32 v63, v42, v67 :: v_dual_mul_f32 v86, v44, v81
	v_mul_f32_e32 v65, v43, v69
	v_fma_f32 v54, v72, v62, -v54
	v_fmac_f32_e32 v55, v73, v62
	v_fma_f32 v58, v72, v64, -v58
	v_mul_f32_e32 v72, v44, v79
	v_mul_f32_e32 v62, v75, v67
	v_dual_mul_f32 v64, v74, v67 :: v_dual_mul_f32 v67, v75, v69
	v_dual_mul_f32 v69, v74, v69 :: v_dual_fmac_f32 v70, v43, v68
	s_delay_alu instid0(VALU_DEP_2)
	v_dual_mul_f32 v71, v45, v79 :: v_dual_fmac_f32 v64, v75, v66
	v_fma_f32 v41, v42, v66, -v41
	v_fmac_f32_e32 v63, v43, v66
	v_fma_f32 v42, v42, v68, -v65
	v_fma_f32 v43, v74, v66, -v62
	v_dual_fmac_f32 v69, v75, v68 :: v_dual_fmac_f32 v72, v45, v78
	v_mul_f32_e32 v66, v76, v79
	v_fma_f32 v62, v74, v68, -v67
	v_mul_f32_e32 v68, v76, v81
	v_dual_mul_f32 v73, v45, v81 :: v_dual_add_f32 v16, v16, v82
	v_dual_mul_f32 v65, v77, v79 :: v_dual_add_f32 v10, v10, v85
	v_dual_mul_f32 v67, v77, v81 :: v_dual_add_f32 v8, v8, v19
	v_dual_fmac_f32 v86, v45, v80 :: v_dual_add_f32 v11, v11, v22
	v_dual_fmac_f32 v68, v77, v80 :: v_dual_add_f32 v7, v7, v18
	v_dual_add_f32 v17, v17, v83 :: v_dual_add_f32 v6, v6, v21
	v_dual_add_f32 v9, v9, v23 :: v_dual_add_f32 v16, v16, v37
	s_delay_alu instid0(VALU_DEP_4) | instskip(NEXT) | instid1(VALU_DEP_3)
	v_dual_fmac_f32 v66, v77, v78 :: v_dual_add_f32 v11, v11, v24
	v_dual_add_f32 v17, v17, v89 :: v_dual_add_f32 v10, v10, v91
	s_delay_alu instid0(VALU_DEP_3) | instskip(NEXT) | instid1(VALU_DEP_4)
	v_dual_add_f32 v9, v9, v20 :: v_dual_add_f32 v8, v8, v26
	v_dual_add_f32 v7, v7, v27 :: v_dual_add_f32 v16, v16, v25
	s_delay_alu instid0(VALU_DEP_3) | instskip(NEXT) | instid1(VALU_DEP_4)
	v_dual_add_f32 v6, v6, v35 :: v_dual_add_f32 v17, v17, v84
	v_dual_add_f32 v11, v11, v30 :: v_dual_add_f32 v10, v10, v87
	s_delay_alu instid0(VALU_DEP_4) | instskip(NEXT) | instid1(VALU_DEP_3)
	v_dual_add_f32 v9, v9, v28 :: v_dual_add_f32 v8, v8, v29
	v_dual_add_f32 v7, v7, v31 :: v_dual_add_f32 v6, v6, v36
	s_delay_alu instid0(VALU_DEP_4) | instskip(NEXT) | instid1(VALU_DEP_4)
	v_dual_add_f32 v16, v16, v47 :: v_dual_add_f32 v17, v17, v49
	v_dual_add_f32 v11, v11, v32 :: v_dual_add_f32 v10, v10, v90
	s_delay_alu instid0(VALU_DEP_2) | instskip(NEXT) | instid1(VALU_DEP_4)
	v_dual_add_f32 v9, v9, v34 :: v_dual_add_f32 v16, v16, v33
	v_dual_add_f32 v8, v8, v46 :: v_dual_add_f32 v7, v7, v48
	s_delay_alu instid0(VALU_DEP_4) | instskip(NEXT) | instid1(VALU_DEP_4)
	v_dual_add_f32 v6, v6, v50 :: v_dual_add_f32 v17, v17, v51
	v_dual_add_f32 v11, v11, v38 :: v_dual_add_f32 v10, v10, v57
	s_delay_alu instid0(VALU_DEP_3) | instskip(NEXT) | instid1(VALU_DEP_4)
	v_dual_add_f32 v9, v9, v39 :: v_dual_add_f32 v8, v8, v53
	v_dual_add_f32 v7, v7, v52 :: v_dual_add_f32 v16, v16, v59
	s_delay_alu instid0(VALU_DEP_4) | instskip(NEXT) | instid1(VALU_DEP_3)
	v_dual_add_f32 v6, v6, v56 :: v_dual_add_f32 v17, v17, v61
	v_dual_add_f32 v11, v11, v40 :: v_dual_add_f32 v8, v8, v55
	s_delay_alu instid0(VALU_DEP_4) | instskip(NEXT) | instid1(VALU_DEP_3)
	v_dual_add_f32 v10, v10, v88 :: v_dual_add_f32 v9, v9, v54
	v_dual_add_f32 v7, v7, v58 :: v_dual_add_f32 v6, v6, v60
	v_fma_f32 v71, v44, v78, -v71
	v_fma_f32 v44, v44, v80, -v73
	;; [unrolled: 1-line block ×4, first 2 shown]
	v_dual_add_f32 v16, v16, v41 :: v_dual_add_f32 v17, v17, v63
	v_dual_add_f32 v11, v11, v42 :: v_dual_add_f32 v8, v8, v64
	;; [unrolled: 1-line block ×4, first 2 shown]
	s_delay_alu instid0(VALU_DEP_4) | instskip(NEXT) | instid1(VALU_DEP_3)
	v_dual_add_f32 v16, v16, v71 :: v_dual_add_f32 v17, v17, v72
	v_dual_add_f32 v11, v11, v44 :: v_dual_add_f32 v10, v10, v86
	s_delay_alu instid0(VALU_DEP_4) | instskip(NEXT) | instid1(VALU_DEP_4)
	v_dual_add_f32 v9, v9, v45 :: v_dual_add_f32 v8, v8, v66
	v_dual_add_f32 v7, v7, v65 :: v_dual_add_f32 v6, v6, v68
	s_cbranch_scc0 .LBB330_2
.LBB330_3:
	s_clause 0x1
	s_load_b32 s3, s[0:1], 0x40
	s_load_b64 s[4:5], s[0:1], 0x48
	v_add_nc_u32_e32 v5, s13, v5
	v_add_nc_u32_e32 v0, s12, v4
	s_delay_alu instid0(VALU_DEP_1)
	v_cmp_le_i32_e64 s0, v5, v0
	v_cmp_gt_i32_e32 vcc_lo, s2, v0
	s_waitcnt lgkmcnt(0)
	v_mad_i64_i32 v[1:2], null, v5, s3, 0
	s_mul_i32 s1, s15, s5
	s_mul_hi_u32 s5, s15, s4
	s_mul_i32 s4, s15, s4
	s_add_i32 s5, s5, s1
	s_delay_alu instid0(SALU_CYCLE_1) | instskip(NEXT) | instid1(VALU_DEP_1)
	s_lshl_b64 s[4:5], s[4:5], 3
	v_lshlrev_b64 v[1:2], 3, v[1:2]
	s_add_u32 s4, s6, s4
	s_addc_u32 s5, s7, s5
	s_and_b32 s0, s0, vcc_lo
	s_delay_alu instid0(VALU_DEP_1) | instskip(NEXT) | instid1(VALU_DEP_1)
	v_add_co_u32 v4, s1, s4, v1
	v_add_co_ci_u32_e64 v12, s1, s5, v2, s1
	s_and_saveexec_b32 s1, s0
	s_cbranch_execz .LBB330_6
; %bb.4:
	v_ashrrev_i32_e32 v1, 31, v0
	v_xor_b32_e32 v13, 0x80000000, v16
	v_xor_b32_e32 v14, 0x80000000, v17
	s_delay_alu instid0(VALU_DEP_3) | instskip(NEXT) | instid1(VALU_DEP_1)
	v_lshlrev_b64 v[1:2], 3, v[0:1]
	v_add_co_u32 v1, s0, v4, v1
	s_delay_alu instid0(VALU_DEP_1)
	v_add_co_ci_u32_e64 v2, s0, v12, v2, s0
	v_cmp_eq_u32_e64 s0, v5, v0
	global_store_b64 v[1:2], v[13:14], off
	s_and_b32 exec_lo, exec_lo, s0
	s_cbranch_execz .LBB330_6
; %bb.5:
	v_mov_b32_e32 v3, 0
	global_store_b32 v[1:2], v3, off offset:4
.LBB330_6:
	s_or_b32 exec_lo, exec_lo, s1
	v_add_nc_u32_e32 v2, 16, v0
	s_delay_alu instid0(VALU_DEP_1) | instskip(SKIP_1) | instid1(VALU_DEP_1)
	v_cmp_le_i32_e64 s1, v5, v2
	v_cmp_gt_i32_e64 s0, s2, v2
	s_and_b32 s1, s1, s0
	s_delay_alu instid0(SALU_CYCLE_1)
	s_and_saveexec_b32 s2, s1
	s_cbranch_execz .LBB330_9
; %bb.7:
	v_ashrrev_i32_e32 v3, 31, v2
	v_xor_b32_e32 v15, 0x80000000, v11
	v_xor_b32_e32 v16, 0x80000000, v10
	s_delay_alu instid0(VALU_DEP_3) | instskip(NEXT) | instid1(VALU_DEP_1)
	v_lshlrev_b64 v[13:14], 3, v[2:3]
	v_add_co_u32 v3, s1, v4, v13
	s_delay_alu instid0(VALU_DEP_1)
	v_add_co_ci_u32_e64 v4, s1, v12, v14, s1
	v_cmp_eq_u32_e64 s1, v5, v2
	global_store_b64 v[3:4], v[15:16], off
	s_and_b32 exec_lo, exec_lo, s1
	s_cbranch_execz .LBB330_9
; %bb.8:
	v_mov_b32_e32 v1, 0
	global_store_b32 v[3:4], v1, off offset:4
.LBB330_9:
	s_or_b32 exec_lo, exec_lo, s2
	v_add_nc_u32_e32 v12, 16, v5
	s_delay_alu instid0(VALU_DEP_1) | instskip(SKIP_1) | instid1(VALU_DEP_2)
	v_mad_i64_i32 v[3:4], null, v12, s3, 0
	v_cmp_le_i32_e64 s1, v12, v0
	v_lshlrev_b64 v[3:4], 3, v[3:4]
	s_delay_alu instid0(VALU_DEP_1) | instskip(NEXT) | instid1(VALU_DEP_1)
	v_add_co_u32 v10, s2, s4, v3
	v_add_co_ci_u32_e64 v11, s2, s5, v4, s2
	s_delay_alu instid0(VALU_DEP_4) | instskip(NEXT) | instid1(SALU_CYCLE_1)
	s_and_b32 s2, s1, vcc_lo
	s_and_saveexec_b32 s1, s2
	s_cbranch_execz .LBB330_12
; %bb.10:
	v_ashrrev_i32_e32 v1, 31, v0
	v_xor_b32_e32 v13, 0x80000000, v9
	v_xor_b32_e32 v14, 0x80000000, v8
	s_delay_alu instid0(VALU_DEP_3) | instskip(NEXT) | instid1(VALU_DEP_1)
	v_lshlrev_b64 v[3:4], 3, v[0:1]
	v_add_co_u32 v3, vcc_lo, v10, v3
	s_delay_alu instid0(VALU_DEP_2)
	v_add_co_ci_u32_e32 v4, vcc_lo, v11, v4, vcc_lo
	v_cmp_eq_u32_e32 vcc_lo, v12, v0
	global_store_b64 v[3:4], v[13:14], off
	s_and_b32 exec_lo, exec_lo, vcc_lo
	s_cbranch_execz .LBB330_12
; %bb.11:
	v_mov_b32_e32 v1, 0
	global_store_b32 v[3:4], v1, off offset:4
.LBB330_12:
	s_or_b32 exec_lo, exec_lo, s1
	v_cmp_le_i32_e32 vcc_lo, v12, v2
	s_and_b32 s0, vcc_lo, s0
	s_delay_alu instid0(SALU_CYCLE_1)
	s_and_saveexec_b32 s1, s0
	s_cbranch_execz .LBB330_15
; %bb.13:
	v_ashrrev_i32_e32 v3, 31, v2
	v_xor_b32_e32 v4, 0x80000000, v6
	s_delay_alu instid0(VALU_DEP_2) | instskip(SKIP_1) | instid1(VALU_DEP_2)
	v_lshlrev_b64 v[1:2], 3, v[2:3]
	v_xor_b32_e32 v3, 0x80000000, v7
	v_add_co_u32 v1, vcc_lo, v10, v1
	s_delay_alu instid0(VALU_DEP_3)
	v_add_co_ci_u32_e32 v2, vcc_lo, v11, v2, vcc_lo
	v_cmp_eq_u32_e32 vcc_lo, v5, v0
	global_store_b64 v[1:2], v[3:4], off
	s_and_b32 exec_lo, exec_lo, vcc_lo
	s_cbranch_execz .LBB330_15
; %bb.14:
	v_mov_b32_e32 v0, 0
	global_store_b32 v[1:2], v0, off offset:4
.LBB330_15:
	s_nop 0
	s_sendmsg sendmsg(MSG_DEALLOC_VGPRS)
	s_endpgm
	.section	.rodata,"a",@progbits
	.p2align	6, 0x0
	.amdhsa_kernel _ZL37rocblas_syrkx_herkx_restricted_kernelIi19rocblas_complex_numIfELi16ELi32ELi8ELin1ELi0ELb1ELc78ELc76EKS1_S1_EviT_PT9_S3_lS5_S3_lPT10_S3_li
		.amdhsa_group_segment_fixed_size 4096
		.amdhsa_private_segment_fixed_size 0
		.amdhsa_kernarg_size 84
		.amdhsa_user_sgpr_count 13
		.amdhsa_user_sgpr_dispatch_ptr 0
		.amdhsa_user_sgpr_queue_ptr 0
		.amdhsa_user_sgpr_kernarg_segment_ptr 1
		.amdhsa_user_sgpr_dispatch_id 0
		.amdhsa_user_sgpr_private_segment_size 0
		.amdhsa_wavefront_size32 1
		.amdhsa_uses_dynamic_stack 0
		.amdhsa_enable_private_segment 0
		.amdhsa_system_sgpr_workgroup_id_x 1
		.amdhsa_system_sgpr_workgroup_id_y 1
		.amdhsa_system_sgpr_workgroup_id_z 1
		.amdhsa_system_sgpr_workgroup_info 0
		.amdhsa_system_vgpr_workitem_id 1
		.amdhsa_next_free_vgpr 92
		.amdhsa_next_free_sgpr 23
		.amdhsa_reserve_vcc 1
		.amdhsa_float_round_mode_32 0
		.amdhsa_float_round_mode_16_64 0
		.amdhsa_float_denorm_mode_32 3
		.amdhsa_float_denorm_mode_16_64 3
		.amdhsa_dx10_clamp 1
		.amdhsa_ieee_mode 1
		.amdhsa_fp16_overflow 0
		.amdhsa_workgroup_processor_mode 1
		.amdhsa_memory_ordered 1
		.amdhsa_forward_progress 0
		.amdhsa_shared_vgpr_count 0
		.amdhsa_exception_fp_ieee_invalid_op 0
		.amdhsa_exception_fp_denorm_src 0
		.amdhsa_exception_fp_ieee_div_zero 0
		.amdhsa_exception_fp_ieee_overflow 0
		.amdhsa_exception_fp_ieee_underflow 0
		.amdhsa_exception_fp_ieee_inexact 0
		.amdhsa_exception_int_div_zero 0
	.end_amdhsa_kernel
	.section	.text._ZL37rocblas_syrkx_herkx_restricted_kernelIi19rocblas_complex_numIfELi16ELi32ELi8ELin1ELi0ELb1ELc78ELc76EKS1_S1_EviT_PT9_S3_lS5_S3_lPT10_S3_li,"axG",@progbits,_ZL37rocblas_syrkx_herkx_restricted_kernelIi19rocblas_complex_numIfELi16ELi32ELi8ELin1ELi0ELb1ELc78ELc76EKS1_S1_EviT_PT9_S3_lS5_S3_lPT10_S3_li,comdat
.Lfunc_end330:
	.size	_ZL37rocblas_syrkx_herkx_restricted_kernelIi19rocblas_complex_numIfELi16ELi32ELi8ELin1ELi0ELb1ELc78ELc76EKS1_S1_EviT_PT9_S3_lS5_S3_lPT10_S3_li, .Lfunc_end330-_ZL37rocblas_syrkx_herkx_restricted_kernelIi19rocblas_complex_numIfELi16ELi32ELi8ELin1ELi0ELb1ELc78ELc76EKS1_S1_EviT_PT9_S3_lS5_S3_lPT10_S3_li
                                        ; -- End function
	.section	.AMDGPU.csdata,"",@progbits
; Kernel info:
; codeLenInByte = 2248
; NumSgprs: 25
; NumVgprs: 92
; ScratchSize: 0
; MemoryBound: 0
; FloatMode: 240
; IeeeMode: 1
; LDSByteSize: 4096 bytes/workgroup (compile time only)
; SGPRBlocks: 3
; VGPRBlocks: 11
; NumSGPRsForWavesPerEU: 25
; NumVGPRsForWavesPerEU: 92
; Occupancy: 16
; WaveLimiterHint : 0
; COMPUTE_PGM_RSRC2:SCRATCH_EN: 0
; COMPUTE_PGM_RSRC2:USER_SGPR: 13
; COMPUTE_PGM_RSRC2:TRAP_HANDLER: 0
; COMPUTE_PGM_RSRC2:TGID_X_EN: 1
; COMPUTE_PGM_RSRC2:TGID_Y_EN: 1
; COMPUTE_PGM_RSRC2:TGID_Z_EN: 1
; COMPUTE_PGM_RSRC2:TIDIG_COMP_CNT: 1
	.section	.text._ZL37rocblas_syrkx_herkx_restricted_kernelIi19rocblas_complex_numIfELi16ELi32ELi8ELin1ELi0ELb1ELc84ELc85EKS1_S1_EviT_PT9_S3_lS5_S3_lPT10_S3_li,"axG",@progbits,_ZL37rocblas_syrkx_herkx_restricted_kernelIi19rocblas_complex_numIfELi16ELi32ELi8ELin1ELi0ELb1ELc84ELc85EKS1_S1_EviT_PT9_S3_lS5_S3_lPT10_S3_li,comdat
	.globl	_ZL37rocblas_syrkx_herkx_restricted_kernelIi19rocblas_complex_numIfELi16ELi32ELi8ELin1ELi0ELb1ELc84ELc85EKS1_S1_EviT_PT9_S3_lS5_S3_lPT10_S3_li ; -- Begin function _ZL37rocblas_syrkx_herkx_restricted_kernelIi19rocblas_complex_numIfELi16ELi32ELi8ELin1ELi0ELb1ELc84ELc85EKS1_S1_EviT_PT9_S3_lS5_S3_lPT10_S3_li
	.p2align	8
	.type	_ZL37rocblas_syrkx_herkx_restricted_kernelIi19rocblas_complex_numIfELi16ELi32ELi8ELin1ELi0ELb1ELc84ELc85EKS1_S1_EviT_PT9_S3_lS5_S3_lPT10_S3_li,@function
_ZL37rocblas_syrkx_herkx_restricted_kernelIi19rocblas_complex_numIfELi16ELi32ELi8ELin1ELi0ELb1ELc84ELc85EKS1_S1_EviT_PT9_S3_lS5_S3_lPT10_S3_li: ; @_ZL37rocblas_syrkx_herkx_restricted_kernelIi19rocblas_complex_numIfELi16ELi32ELi8ELin1ELi0ELb1ELc84ELc85EKS1_S1_EviT_PT9_S3_lS5_S3_lPT10_S3_li
; %bb.0:
	s_clause 0x1
	s_load_b64 s[2:3], s[0:1], 0x0
	s_load_b128 s[4:7], s[0:1], 0x30
	v_dual_mov_b32 v17, 0 :: v_dual_and_b32 v6, 0x3ff, v0
	v_bfe_u32 v7, v0, 10, 10
	v_dual_mov_b32 v16, 0 :: v_dual_mov_b32 v11, 0
	v_dual_mov_b32 v12, 0 :: v_dual_mov_b32 v9, 0
	;; [unrolled: 1-line block ×3, first 2 shown]
	v_mov_b32_e32 v0, 0
	s_lshl_b32 s12, s13, 5
	s_lshl_b32 s13, s14, 5
	s_mov_b32 s14, 0
	s_waitcnt lgkmcnt(0)
	s_cmp_lt_i32 s3, 1
	s_cbranch_scc1 .LBB331_3
; %bb.1:
	s_clause 0x3
	s_load_b32 s18, s[0:1], 0x10
	s_load_b128 s[8:11], s[0:1], 0x18
	s_load_b64 s[16:17], s[0:1], 0x8
	s_load_b32 s19, s[0:1], 0x28
	v_lshl_add_u32 v2, v7, 4, v6
	v_dual_mov_b32 v1, 0 :: v_dual_and_b32 v0, 7, v6
	v_lshlrev_b32_e32 v10, 3, v6
	s_mul_i32 s5, s5, s15
	s_delay_alu instid0(VALU_DEP_3)
	v_lshrrev_b32_e32 v4, 3, v2
	v_and_b32_e32 v5, 31, v2
	v_lshlrev_b32_e32 v3, 3, v0
	v_lshrrev_b32_e32 v2, 5, v2
	v_lshl_add_u32 v15, v7, 6, 0x800
	v_add_nc_u32_e32 v12, s13, v4
	v_add_nc_u32_e32 v11, s12, v5
	v_lshl_or_b32 v9, v4, 6, v3
	v_dual_mov_b32 v3, v1 :: v_dual_lshlrev_b32 v8, 3, v5
	v_mov_b32_e32 v17, v1
	v_mov_b32_e32 v16, v1
	s_delay_alu instid0(VALU_DEP_4)
	v_add_nc_u32_e32 v14, 0x800, v9
	s_waitcnt lgkmcnt(0)
	v_mad_i64_i32 v[4:5], null, s18, v11, v[2:3]
	s_mul_i32 s9, s9, s15
	s_mul_hi_u32 s18, s8, s15
	v_mov_b32_e32 v9, v1
	v_lshl_or_b32 v13, v2, 8, v8
	v_mov_b32_e32 v11, v1
	v_mad_i64_i32 v[2:3], null, s19, v12, v[0:1]
	s_mul_i32 s8, s8, s15
	s_add_i32 s9, s18, s9
	v_lshlrev_b64 v[4:5], 3, v[4:5]
	s_lshl_b64 s[8:9], s[8:9], 3
	v_mov_b32_e32 v12, v1
	s_add_u32 s8, s16, s8
	s_mul_hi_u32 s16, s4, s15
	s_addc_u32 s9, s17, s9
	s_add_i32 s5, s16, s5
	s_mul_i32 s4, s4, s15
	v_lshlrev_b64 v[2:3], 3, v[2:3]
	s_lshl_b64 s[4:5], s[4:5], 3
	v_add_co_u32 v0, vcc_lo, s8, v4
	s_add_u32 s4, s10, s4
	v_add_co_ci_u32_e32 v4, vcc_lo, s9, v5, vcc_lo
	s_addc_u32 s5, s11, s5
	v_add_co_u32 v5, vcc_lo, s4, v2
	v_add_co_ci_u32_e32 v8, vcc_lo, s5, v3, vcc_lo
	v_add_co_u32 v2, vcc_lo, v0, 4
	v_add_co_ci_u32_e32 v3, vcc_lo, 0, v4, vcc_lo
	s_delay_alu instid0(VALU_DEP_4) | instskip(NEXT) | instid1(VALU_DEP_4)
	v_add_co_u32 v4, vcc_lo, v5, 4
	v_add_co_ci_u32_e32 v5, vcc_lo, 0, v8, vcc_lo
	v_mov_b32_e32 v0, v1
	v_mov_b32_e32 v8, v1
.LBB331_2:                              ; =>This Inner Loop Header: Depth=1
	global_load_b64 v[18:19], v[2:3], off offset:-4
	global_load_b64 v[20:21], v[4:5], off offset:-4
	v_add_co_u32 v2, vcc_lo, v2, 64
	v_add_co_ci_u32_e32 v3, vcc_lo, 0, v3, vcc_lo
	v_add_co_u32 v4, vcc_lo, v4, 64
	v_add_co_ci_u32_e32 v5, vcc_lo, 0, v5, vcc_lo
	s_add_i32 s14, s14, 8
	s_waitcnt vmcnt(1)
	ds_store_b64 v13, v[18:19]
	s_waitcnt vmcnt(0)
	ds_store_b64 v14, v[20:21]
	s_waitcnt lgkmcnt(0)
	s_barrier
	buffer_gl0_inv
	ds_load_2addr_b64 v[18:21], v10 offset1:16
	ds_load_b128 v[22:25], v15
	ds_load_b128 v[26:29], v15 offset:1024
	ds_load_b128 v[30:33], v15 offset:16
	ds_load_2addr_b64 v[34:37], v10 offset0:32 offset1:48
	ds_load_b128 v[38:41], v15 offset:32
	ds_load_b128 v[42:45], v15 offset:48
	ds_load_2addr_b64 v[46:49], v10 offset0:64 offset1:80
	ds_load_b128 v[50:53], v15 offset:1040
	ds_load_2addr_b64 v[54:57], v10 offset0:96 offset1:112
	ds_load_2addr_b64 v[58:61], v10 offset0:128 offset1:144
	ds_load_2addr_b64 v[62:65], v10 offset0:160 offset1:176
	ds_load_2addr_b64 v[66:69], v10 offset0:192 offset1:208
	ds_load_b128 v[70:73], v15 offset:1056
	ds_load_b128 v[74:77], v15 offset:1072
	ds_load_2addr_b64 v[78:81], v10 offset0:224 offset1:240
	s_cmp_ge_i32 s14, s3
	s_waitcnt lgkmcnt(0)
	s_barrier
	buffer_gl0_inv
	v_dual_mul_f32 v82, v23, v19 :: v_dual_mul_f32 v85, v22, v21
	v_dual_mul_f32 v83, v22, v19 :: v_dual_mul_f32 v84, v23, v21
	v_mul_f32_e32 v86, v27, v19
	v_dual_mul_f32 v19, v26, v19 :: v_dual_mul_f32 v90, v25, v37
	v_dual_mul_f32 v87, v27, v21 :: v_dual_mul_f32 v88, v25, v35
	v_mul_f32_e32 v21, v26, v21
	v_fma_f32 v82, v22, v18, -v82
	v_fmac_f32_e32 v83, v23, v18
	v_fma_f32 v22, v22, v20, -v84
	v_fmac_f32_e32 v85, v23, v20
	v_fma_f32 v23, v26, v18, -v86
	v_dual_fmac_f32 v19, v27, v18 :: v_dual_mul_f32 v86, v30, v47
	v_fma_f32 v18, v26, v20, -v87
	v_dual_fmac_f32 v21, v27, v20 :: v_dual_mul_f32 v20, v24, v37
	v_mul_f32_e32 v89, v24, v35
	v_mul_f32_e32 v26, v29, v35
	;; [unrolled: 1-line block ×4, first 2 shown]
	v_fmac_f32_e32 v20, v25, v36
	v_fmac_f32_e32 v89, v25, v34
	v_dual_mul_f32 v25, v28, v37 :: v_dual_fmac_f32 v86, v31, v46
	v_fma_f32 v84, v24, v34, -v88
	v_fma_f32 v24, v24, v36, -v90
	v_dual_mul_f32 v37, v31, v47 :: v_dual_mul_f32 v90, v33, v57
	v_fma_f32 v26, v28, v34, -v26
	v_fma_f32 v28, v28, v36, -v35
	v_fmac_f32_e32 v25, v29, v36
	v_dual_mul_f32 v35, v50, v47 :: v_dual_mul_f32 v36, v51, v49
	v_dual_fmac_f32 v27, v29, v34 :: v_dual_mul_f32 v34, v51, v47
	v_dual_mul_f32 v88, v32, v55 :: v_dual_mul_f32 v29, v30, v49
	v_mul_f32_e32 v87, v31, v49
	v_fma_f32 v37, v30, v46, -v37
	v_add_f32_e32 v16, v16, v82
	s_delay_alu instid0(VALU_DEP_4)
	v_dual_fmac_f32 v88, v33, v54 :: v_dual_fmac_f32 v29, v31, v48
	v_fma_f32 v31, v50, v46, -v34
	v_fma_f32 v34, v50, v48, -v36
	v_mul_f32_e32 v36, v32, v57
	v_mul_f32_e32 v47, v50, v49
	v_dual_mul_f32 v50, v53, v57 :: v_dual_fmac_f32 v35, v51, v46
	v_mul_f32_e32 v46, v53, v55
	v_mul_f32_e32 v49, v33, v55
	v_fma_f32 v30, v30, v48, -v87
	v_fmac_f32_e32 v36, v33, v56
	v_dual_fmac_f32 v47, v51, v48 :: v_dual_mul_f32 v48, v52, v55
	v_mul_f32_e32 v33, v52, v57
	v_fma_f32 v46, v52, v54, -v46
	v_fma_f32 v50, v52, v56, -v50
	v_mul_f32_e32 v52, v38, v61
	v_fma_f32 v49, v32, v54, -v49
	v_fma_f32 v32, v32, v56, -v90
	v_dual_mul_f32 v51, v39, v59 :: v_dual_fmac_f32 v48, v53, v54
	v_mul_f32_e32 v54, v70, v59
	v_dual_mul_f32 v55, v38, v59 :: v_dual_fmac_f32 v52, v39, v60
	v_fmac_f32_e32 v33, v53, v56
	v_mul_f32_e32 v53, v71, v59
	v_mul_f32_e32 v56, v71, v61
	;; [unrolled: 1-line block ×3, first 2 shown]
	v_fmac_f32_e32 v54, v71, v58
	v_fmac_f32_e32 v55, v39, v58
	v_fma_f32 v39, v70, v58, -v53
	v_fma_f32 v53, v70, v60, -v56
	v_mul_f32_e32 v56, v40, v65
	v_mul_f32_e32 v59, v70, v61
	v_fma_f32 v51, v38, v58, -v51
	v_mul_f32_e32 v58, v72, v63
	v_mul_f32_e32 v87, v40, v63
	v_mul_f32_e32 v61, v41, v63
	v_mul_f32_e32 v90, v41, v65
	v_fma_f32 v38, v38, v60, -v57
	v_mul_f32_e32 v57, v73, v63
	v_fmac_f32_e32 v56, v41, v64
	v_dual_fmac_f32 v59, v71, v60 :: v_dual_mul_f32 v60, v73, v65
	v_mul_f32_e32 v63, v43, v67
	v_mul_f32_e32 v70, v43, v69
	v_fmac_f32_e32 v58, v73, v62
	v_fmac_f32_e32 v87, v41, v62
	v_mul_f32_e32 v41, v72, v65
	v_fma_f32 v61, v40, v62, -v61
	v_fma_f32 v40, v40, v64, -v90
	v_mul_f32_e32 v65, v42, v67
	v_fma_f32 v57, v72, v62, -v57
	v_fma_f32 v60, v72, v64, -v60
	v_dual_fmac_f32 v41, v73, v64 :: v_dual_mul_f32 v62, v42, v69
	v_mul_f32_e32 v64, v75, v67
	v_fma_f32 v63, v42, v66, -v63
	v_fma_f32 v42, v42, v68, -v70
	v_mul_f32_e32 v70, v76, v79
	v_mul_f32_e32 v67, v74, v67
	;; [unrolled: 1-line block ×3, first 2 shown]
	v_dual_mul_f32 v69, v74, v69 :: v_dual_add_f32 v12, v12, v22
	v_mul_f32_e32 v73, v44, v79
	v_dual_fmac_f32 v65, v43, v66 :: v_dual_add_f32 v8, v8, v19
	v_fmac_f32_e32 v62, v43, v68
	v_fma_f32 v43, v74, v66, -v64
	v_fmac_f32_e32 v70, v77, v78
	v_dual_fmac_f32 v67, v75, v66 :: v_dual_add_f32 v16, v16, v84
	v_mul_f32_e32 v66, v44, v81
	v_mul_f32_e32 v72, v45, v79
	v_dual_mul_f32 v90, v45, v81 :: v_dual_fmac_f32 v69, v75, v68
	v_add_f32_e32 v0, v0, v18
	v_dual_fmac_f32 v73, v45, v78 :: v_dual_add_f32 v8, v8, v27
	v_dual_fmac_f32 v66, v45, v80 :: v_dual_mul_f32 v45, v76, v81
	v_fma_f32 v64, v74, v68, -v71
	v_dual_mul_f32 v71, v77, v81 :: v_dual_add_f32 v12, v12, v24
	v_dual_add_f32 v17, v17, v83 :: v_dual_add_f32 v0, v0, v28
	s_delay_alu instid0(VALU_DEP_4) | instskip(NEXT) | instid1(VALU_DEP_3)
	v_dual_fmac_f32 v45, v77, v80 :: v_dual_add_f32 v16, v16, v37
	v_dual_add_f32 v11, v11, v85 :: v_dual_add_f32 v12, v12, v30
	s_delay_alu instid0(VALU_DEP_3) | instskip(SKIP_1) | instid1(VALU_DEP_3)
	v_dual_add_f32 v9, v9, v23 :: v_dual_add_f32 v0, v0, v34
	v_dual_add_f32 v1, v1, v21 :: v_dual_add_f32 v8, v8, v35
	;; [unrolled: 1-line block ×3, first 2 shown]
	s_delay_alu instid0(VALU_DEP_4) | instskip(NEXT) | instid1(VALU_DEP_3)
	v_dual_add_f32 v11, v11, v20 :: v_dual_add_f32 v16, v16, v49
	v_dual_add_f32 v9, v9, v26 :: v_dual_add_f32 v8, v8, v48
	s_delay_alu instid0(VALU_DEP_4) | instskip(NEXT) | instid1(VALU_DEP_3)
	v_dual_add_f32 v1, v1, v25 :: v_dual_add_f32 v0, v0, v50
	v_dual_add_f32 v17, v17, v86 :: v_dual_add_f32 v16, v16, v51
	s_delay_alu instid0(VALU_DEP_4) | instskip(NEXT) | instid1(VALU_DEP_4)
	v_dual_add_f32 v11, v11, v29 :: v_dual_add_f32 v12, v12, v38
	v_dual_add_f32 v9, v9, v31 :: v_dual_add_f32 v8, v8, v54
	s_delay_alu instid0(VALU_DEP_4) | instskip(NEXT) | instid1(VALU_DEP_4)
	v_dual_add_f32 v1, v1, v47 :: v_dual_add_f32 v0, v0, v53
	v_dual_add_f32 v17, v17, v88 :: v_dual_add_f32 v16, v16, v61
	s_delay_alu instid0(VALU_DEP_3) | instskip(NEXT) | instid1(VALU_DEP_4)
	v_dual_add_f32 v11, v11, v36 :: v_dual_add_f32 v8, v8, v58
	v_dual_add_f32 v9, v9, v46 :: v_dual_add_f32 v12, v12, v40
	s_delay_alu instid0(VALU_DEP_4) | instskip(SKIP_1) | instid1(VALU_DEP_3)
	v_dual_add_f32 v1, v1, v33 :: v_dual_add_f32 v0, v0, v60
	v_fma_f32 v72, v44, v78, -v72
	v_dual_add_f32 v17, v17, v55 :: v_dual_add_f32 v12, v12, v42
	v_dual_add_f32 v11, v11, v52 :: v_dual_add_f32 v16, v16, v63
	s_delay_alu instid0(VALU_DEP_4) | instskip(SKIP_2) | instid1(VALU_DEP_4)
	v_dual_add_f32 v9, v9, v39 :: v_dual_add_f32 v0, v0, v64
	v_add_f32_e32 v1, v1, v59
	v_mul_f32_e32 v68, v77, v79
	v_add_f32_e32 v16, v16, v72
	v_fma_f32 v44, v44, v80, -v90
	v_fma_f32 v71, v76, v80, -v71
	v_add_f32_e32 v17, v17, v87
	v_dual_add_f32 v11, v11, v56 :: v_dual_add_f32 v8, v8, v67
	v_add_f32_e32 v9, v9, v57
	s_delay_alu instid0(VALU_DEP_4) | instskip(SKIP_1) | instid1(VALU_DEP_4)
	v_dual_add_f32 v1, v1, v41 :: v_dual_add_f32 v0, v0, v71
	v_fma_f32 v68, v76, v78, -v68
	v_dual_add_f32 v11, v11, v62 :: v_dual_add_f32 v12, v12, v44
	v_add_f32_e32 v17, v17, v65
	s_delay_alu instid0(VALU_DEP_4) | instskip(SKIP_1) | instid1(VALU_DEP_4)
	v_dual_add_f32 v1, v1, v69 :: v_dual_add_f32 v8, v8, v70
	v_add_f32_e32 v9, v9, v43
	v_add_f32_e32 v11, v11, v66
	s_delay_alu instid0(VALU_DEP_4) | instskip(NEXT) | instid1(VALU_DEP_4)
	v_add_f32_e32 v17, v17, v73
	v_add_f32_e32 v1, v1, v45
	s_delay_alu instid0(VALU_DEP_4)
	v_add_f32_e32 v9, v9, v68
	s_cbranch_scc0 .LBB331_2
.LBB331_3:
	s_clause 0x1
	s_load_b32 s3, s[0:1], 0x40
	s_load_b64 s[0:1], s[0:1], 0x48
	v_add_nc_u32_e32 v7, s13, v7
	v_add_nc_u32_e32 v2, s12, v6
	s_delay_alu instid0(VALU_DEP_2)
	v_cmp_gt_i32_e32 vcc_lo, s2, v7
	s_waitcnt lgkmcnt(0)
	v_mad_i64_i32 v[3:4], null, v7, s3, 0
	s_mul_i32 s1, s15, s1
	s_mul_hi_u32 s4, s15, s0
	s_mul_i32 s0, s15, s0
	s_add_i32 s1, s4, s1
	s_delay_alu instid0(SALU_CYCLE_1) | instskip(NEXT) | instid1(VALU_DEP_1)
	s_lshl_b64 s[4:5], s[0:1], 3
	v_lshlrev_b64 v[3:4], 3, v[3:4]
	s_add_u32 s4, s6, s4
	v_cmp_le_i32_e64 s0, v2, v7
	s_addc_u32 s5, s7, s5
	s_delay_alu instid0(VALU_DEP_2) | instskip(NEXT) | instid1(VALU_DEP_1)
	v_add_co_u32 v6, s1, s4, v3
	v_add_co_ci_u32_e64 v10, s1, s5, v4, s1
	s_delay_alu instid0(VALU_DEP_3) | instskip(NEXT) | instid1(SALU_CYCLE_1)
	s_and_b32 s0, vcc_lo, s0
	s_and_saveexec_b32 s1, s0
	s_cbranch_execz .LBB331_6
; %bb.4:
	v_ashrrev_i32_e32 v3, 31, v2
	v_xor_b32_e32 v13, 0x80000000, v16
	v_xor_b32_e32 v14, 0x80000000, v17
	s_delay_alu instid0(VALU_DEP_3) | instskip(NEXT) | instid1(VALU_DEP_1)
	v_lshlrev_b64 v[3:4], 3, v[2:3]
	v_add_co_u32 v3, s0, v6, v3
	s_delay_alu instid0(VALU_DEP_1)
	v_add_co_ci_u32_e64 v4, s0, v10, v4, s0
	v_cmp_eq_u32_e64 s0, v7, v2
	global_store_b64 v[3:4], v[13:14], off
	s_and_b32 exec_lo, exec_lo, s0
	s_cbranch_execz .LBB331_6
; %bb.5:
	v_mov_b32_e32 v5, 0
	global_store_b32 v[3:4], v5, off offset:4
.LBB331_6:
	s_or_b32 exec_lo, exec_lo, s1
	v_add_nc_u32_e32 v4, 16, v2
	s_delay_alu instid0(VALU_DEP_1) | instskip(NEXT) | instid1(VALU_DEP_1)
	v_cmp_le_i32_e64 s0, v4, v7
	s_and_b32 s1, vcc_lo, s0
	s_delay_alu instid0(SALU_CYCLE_1)
	s_and_saveexec_b32 s0, s1
	s_cbranch_execz .LBB331_9
; %bb.7:
	v_ashrrev_i32_e32 v5, 31, v4
	v_xor_b32_e32 v15, 0x80000000, v12
	v_xor_b32_e32 v16, 0x80000000, v11
	s_delay_alu instid0(VALU_DEP_3) | instskip(NEXT) | instid1(VALU_DEP_1)
	v_lshlrev_b64 v[13:14], 3, v[4:5]
	v_add_co_u32 v5, vcc_lo, v6, v13
	s_delay_alu instid0(VALU_DEP_2)
	v_add_co_ci_u32_e32 v6, vcc_lo, v10, v14, vcc_lo
	v_cmp_eq_u32_e32 vcc_lo, v7, v4
	global_store_b64 v[5:6], v[15:16], off
	s_and_b32 exec_lo, exec_lo, vcc_lo
	s_cbranch_execz .LBB331_9
; %bb.8:
	v_mov_b32_e32 v3, 0
	global_store_b32 v[5:6], v3, off offset:4
.LBB331_9:
	s_or_b32 exec_lo, exec_lo, s0
	v_add_nc_u32_e32 v12, 16, v7
	s_delay_alu instid0(VALU_DEP_1) | instskip(SKIP_2) | instid1(VALU_DEP_1)
	v_mad_i64_i32 v[5:6], null, v12, s3, 0
	v_cmp_gt_i32_e32 vcc_lo, s2, v12
	v_cmp_le_i32_e64 s0, v2, v12
	s_and_b32 s0, vcc_lo, s0
	s_delay_alu instid0(VALU_DEP_3) | instskip(NEXT) | instid1(VALU_DEP_1)
	v_lshlrev_b64 v[5:6], 3, v[5:6]
	v_add_co_u32 v10, s1, s4, v5
	s_delay_alu instid0(VALU_DEP_1)
	v_add_co_ci_u32_e64 v11, s1, s5, v6, s1
	s_and_saveexec_b32 s1, s0
	s_cbranch_execz .LBB331_12
; %bb.10:
	v_ashrrev_i32_e32 v3, 31, v2
	v_xor_b32_e32 v13, 0x80000000, v9
	v_xor_b32_e32 v14, 0x80000000, v8
	s_delay_alu instid0(VALU_DEP_3) | instskip(NEXT) | instid1(VALU_DEP_1)
	v_lshlrev_b64 v[5:6], 3, v[2:3]
	v_add_co_u32 v5, s0, v10, v5
	s_delay_alu instid0(VALU_DEP_1)
	v_add_co_ci_u32_e64 v6, s0, v11, v6, s0
	v_cmp_eq_u32_e64 s0, v12, v2
	global_store_b64 v[5:6], v[13:14], off
	s_and_b32 exec_lo, exec_lo, s0
	s_cbranch_execz .LBB331_12
; %bb.11:
	v_mov_b32_e32 v3, 0
	global_store_b32 v[5:6], v3, off offset:4
.LBB331_12:
	s_or_b32 exec_lo, exec_lo, s1
	v_cmp_le_i32_e64 s0, v4, v12
	s_delay_alu instid0(VALU_DEP_1) | instskip(NEXT) | instid1(SALU_CYCLE_1)
	s_and_b32 s0, vcc_lo, s0
	s_and_saveexec_b32 s1, s0
	s_cbranch_execz .LBB331_15
; %bb.13:
	v_ashrrev_i32_e32 v5, 31, v4
	v_xor_b32_e32 v6, 0x80000000, v1
	s_delay_alu instid0(VALU_DEP_2) | instskip(SKIP_1) | instid1(VALU_DEP_2)
	v_lshlrev_b64 v[3:4], 3, v[4:5]
	v_xor_b32_e32 v5, 0x80000000, v0
	v_add_co_u32 v0, vcc_lo, v10, v3
	s_delay_alu instid0(VALU_DEP_3)
	v_add_co_ci_u32_e32 v1, vcc_lo, v11, v4, vcc_lo
	v_cmp_eq_u32_e32 vcc_lo, v7, v2
	global_store_b64 v[0:1], v[5:6], off
	s_and_b32 exec_lo, exec_lo, vcc_lo
	s_cbranch_execz .LBB331_15
; %bb.14:
	v_mov_b32_e32 v2, 0
	global_store_b32 v[0:1], v2, off offset:4
.LBB331_15:
	s_nop 0
	s_sendmsg sendmsg(MSG_DEALLOC_VGPRS)
	s_endpgm
	.section	.rodata,"a",@progbits
	.p2align	6, 0x0
	.amdhsa_kernel _ZL37rocblas_syrkx_herkx_restricted_kernelIi19rocblas_complex_numIfELi16ELi32ELi8ELin1ELi0ELb1ELc84ELc85EKS1_S1_EviT_PT9_S3_lS5_S3_lPT10_S3_li
		.amdhsa_group_segment_fixed_size 4096
		.amdhsa_private_segment_fixed_size 0
		.amdhsa_kernarg_size 84
		.amdhsa_user_sgpr_count 13
		.amdhsa_user_sgpr_dispatch_ptr 0
		.amdhsa_user_sgpr_queue_ptr 0
		.amdhsa_user_sgpr_kernarg_segment_ptr 1
		.amdhsa_user_sgpr_dispatch_id 0
		.amdhsa_user_sgpr_private_segment_size 0
		.amdhsa_wavefront_size32 1
		.amdhsa_uses_dynamic_stack 0
		.amdhsa_enable_private_segment 0
		.amdhsa_system_sgpr_workgroup_id_x 1
		.amdhsa_system_sgpr_workgroup_id_y 1
		.amdhsa_system_sgpr_workgroup_id_z 1
		.amdhsa_system_sgpr_workgroup_info 0
		.amdhsa_system_vgpr_workitem_id 1
		.amdhsa_next_free_vgpr 91
		.amdhsa_next_free_sgpr 20
		.amdhsa_reserve_vcc 1
		.amdhsa_float_round_mode_32 0
		.amdhsa_float_round_mode_16_64 0
		.amdhsa_float_denorm_mode_32 3
		.amdhsa_float_denorm_mode_16_64 3
		.amdhsa_dx10_clamp 1
		.amdhsa_ieee_mode 1
		.amdhsa_fp16_overflow 0
		.amdhsa_workgroup_processor_mode 1
		.amdhsa_memory_ordered 1
		.amdhsa_forward_progress 0
		.amdhsa_shared_vgpr_count 0
		.amdhsa_exception_fp_ieee_invalid_op 0
		.amdhsa_exception_fp_denorm_src 0
		.amdhsa_exception_fp_ieee_div_zero 0
		.amdhsa_exception_fp_ieee_overflow 0
		.amdhsa_exception_fp_ieee_underflow 0
		.amdhsa_exception_fp_ieee_inexact 0
		.amdhsa_exception_int_div_zero 0
	.end_amdhsa_kernel
	.section	.text._ZL37rocblas_syrkx_herkx_restricted_kernelIi19rocblas_complex_numIfELi16ELi32ELi8ELin1ELi0ELb1ELc84ELc85EKS1_S1_EviT_PT9_S3_lS5_S3_lPT10_S3_li,"axG",@progbits,_ZL37rocblas_syrkx_herkx_restricted_kernelIi19rocblas_complex_numIfELi16ELi32ELi8ELin1ELi0ELb1ELc84ELc85EKS1_S1_EviT_PT9_S3_lS5_S3_lPT10_S3_li,comdat
.Lfunc_end331:
	.size	_ZL37rocblas_syrkx_herkx_restricted_kernelIi19rocblas_complex_numIfELi16ELi32ELi8ELin1ELi0ELb1ELc84ELc85EKS1_S1_EviT_PT9_S3_lS5_S3_lPT10_S3_li, .Lfunc_end331-_ZL37rocblas_syrkx_herkx_restricted_kernelIi19rocblas_complex_numIfELi16ELi32ELi8ELin1ELi0ELb1ELc84ELc85EKS1_S1_EviT_PT9_S3_lS5_S3_lPT10_S3_li
                                        ; -- End function
	.section	.AMDGPU.csdata,"",@progbits
; Kernel info:
; codeLenInByte = 2204
; NumSgprs: 22
; NumVgprs: 91
; ScratchSize: 0
; MemoryBound: 0
; FloatMode: 240
; IeeeMode: 1
; LDSByteSize: 4096 bytes/workgroup (compile time only)
; SGPRBlocks: 2
; VGPRBlocks: 11
; NumSGPRsForWavesPerEU: 22
; NumVGPRsForWavesPerEU: 91
; Occupancy: 16
; WaveLimiterHint : 0
; COMPUTE_PGM_RSRC2:SCRATCH_EN: 0
; COMPUTE_PGM_RSRC2:USER_SGPR: 13
; COMPUTE_PGM_RSRC2:TRAP_HANDLER: 0
; COMPUTE_PGM_RSRC2:TGID_X_EN: 1
; COMPUTE_PGM_RSRC2:TGID_Y_EN: 1
; COMPUTE_PGM_RSRC2:TGID_Z_EN: 1
; COMPUTE_PGM_RSRC2:TIDIG_COMP_CNT: 1
	.section	.text._ZL37rocblas_syrkx_herkx_restricted_kernelIi19rocblas_complex_numIfELi16ELi32ELi8ELin1ELi0ELb1ELc67ELc85EKS1_S1_EviT_PT9_S3_lS5_S3_lPT10_S3_li,"axG",@progbits,_ZL37rocblas_syrkx_herkx_restricted_kernelIi19rocblas_complex_numIfELi16ELi32ELi8ELin1ELi0ELb1ELc67ELc85EKS1_S1_EviT_PT9_S3_lS5_S3_lPT10_S3_li,comdat
	.globl	_ZL37rocblas_syrkx_herkx_restricted_kernelIi19rocblas_complex_numIfELi16ELi32ELi8ELin1ELi0ELb1ELc67ELc85EKS1_S1_EviT_PT9_S3_lS5_S3_lPT10_S3_li ; -- Begin function _ZL37rocblas_syrkx_herkx_restricted_kernelIi19rocblas_complex_numIfELi16ELi32ELi8ELin1ELi0ELb1ELc67ELc85EKS1_S1_EviT_PT9_S3_lS5_S3_lPT10_S3_li
	.p2align	8
	.type	_ZL37rocblas_syrkx_herkx_restricted_kernelIi19rocblas_complex_numIfELi16ELi32ELi8ELin1ELi0ELb1ELc67ELc85EKS1_S1_EviT_PT9_S3_lS5_S3_lPT10_S3_li,@function
_ZL37rocblas_syrkx_herkx_restricted_kernelIi19rocblas_complex_numIfELi16ELi32ELi8ELin1ELi0ELb1ELc67ELc85EKS1_S1_EviT_PT9_S3_lS5_S3_lPT10_S3_li: ; @_ZL37rocblas_syrkx_herkx_restricted_kernelIi19rocblas_complex_numIfELi16ELi32ELi8ELin1ELi0ELb1ELc67ELc85EKS1_S1_EviT_PT9_S3_lS5_S3_lPT10_S3_li
; %bb.0:
	s_clause 0x1
	s_load_b64 s[2:3], s[0:1], 0x0
	s_load_b128 s[4:7], s[0:1], 0x30
	v_dual_mov_b32 v17, 0 :: v_dual_and_b32 v6, 0x3ff, v0
	v_bfe_u32 v7, v0, 10, 10
	v_dual_mov_b32 v16, 0 :: v_dual_mov_b32 v11, 0
	v_dual_mov_b32 v12, 0 :: v_dual_mov_b32 v9, 0
	;; [unrolled: 1-line block ×3, first 2 shown]
	v_mov_b32_e32 v0, 0
	s_lshl_b32 s12, s13, 5
	s_lshl_b32 s13, s14, 5
	s_mov_b32 s14, 0
	s_waitcnt lgkmcnt(0)
	s_cmp_lt_i32 s3, 1
	s_cbranch_scc1 .LBB332_3
; %bb.1:
	s_clause 0x3
	s_load_b32 s18, s[0:1], 0x10
	s_load_b128 s[8:11], s[0:1], 0x18
	s_load_b64 s[16:17], s[0:1], 0x8
	s_load_b32 s19, s[0:1], 0x28
	v_lshl_add_u32 v2, v7, 4, v6
	v_dual_mov_b32 v1, 0 :: v_dual_and_b32 v0, 7, v6
	v_lshlrev_b32_e32 v10, 3, v6
	s_mul_i32 s5, s5, s15
	s_delay_alu instid0(VALU_DEP_3)
	v_lshrrev_b32_e32 v4, 3, v2
	v_and_b32_e32 v5, 31, v2
	v_lshlrev_b32_e32 v3, 3, v0
	v_lshrrev_b32_e32 v2, 5, v2
	v_lshl_add_u32 v15, v7, 6, 0x800
	v_add_nc_u32_e32 v12, s13, v4
	v_add_nc_u32_e32 v11, s12, v5
	v_lshl_or_b32 v9, v4, 6, v3
	v_dual_mov_b32 v3, v1 :: v_dual_lshlrev_b32 v8, 3, v5
	v_mov_b32_e32 v17, v1
	v_mov_b32_e32 v16, v1
	s_delay_alu instid0(VALU_DEP_4)
	v_add_nc_u32_e32 v14, 0x800, v9
	s_waitcnt lgkmcnt(0)
	v_mad_i64_i32 v[4:5], null, s18, v11, v[2:3]
	s_mul_i32 s9, s9, s15
	s_mul_hi_u32 s18, s8, s15
	v_mov_b32_e32 v9, v1
	v_lshl_or_b32 v13, v2, 8, v8
	v_mov_b32_e32 v11, v1
	v_mad_i64_i32 v[2:3], null, s19, v12, v[0:1]
	s_mul_i32 s8, s8, s15
	s_add_i32 s9, s18, s9
	v_lshlrev_b64 v[4:5], 3, v[4:5]
	s_lshl_b64 s[8:9], s[8:9], 3
	v_mov_b32_e32 v12, v1
	s_add_u32 s8, s16, s8
	s_mul_hi_u32 s16, s4, s15
	s_addc_u32 s9, s17, s9
	s_add_i32 s5, s16, s5
	s_mul_i32 s4, s4, s15
	v_lshlrev_b64 v[2:3], 3, v[2:3]
	s_lshl_b64 s[4:5], s[4:5], 3
	v_add_co_u32 v0, vcc_lo, s8, v4
	s_add_u32 s4, s10, s4
	v_add_co_ci_u32_e32 v4, vcc_lo, s9, v5, vcc_lo
	s_addc_u32 s5, s11, s5
	v_add_co_u32 v5, vcc_lo, s4, v2
	v_add_co_ci_u32_e32 v8, vcc_lo, s5, v3, vcc_lo
	v_add_co_u32 v2, vcc_lo, v0, 4
	v_add_co_ci_u32_e32 v3, vcc_lo, 0, v4, vcc_lo
	s_delay_alu instid0(VALU_DEP_4) | instskip(NEXT) | instid1(VALU_DEP_4)
	v_add_co_u32 v4, vcc_lo, v5, 4
	v_add_co_ci_u32_e32 v5, vcc_lo, 0, v8, vcc_lo
	v_mov_b32_e32 v0, v1
	v_mov_b32_e32 v8, v1
.LBB332_2:                              ; =>This Inner Loop Header: Depth=1
	global_load_b64 v[18:19], v[2:3], off offset:-4
	global_load_b64 v[20:21], v[4:5], off offset:-4
	v_add_co_u32 v2, vcc_lo, v2, 64
	v_add_co_ci_u32_e32 v3, vcc_lo, 0, v3, vcc_lo
	v_add_co_u32 v4, vcc_lo, v4, 64
	v_add_co_ci_u32_e32 v5, vcc_lo, 0, v5, vcc_lo
	s_add_i32 s14, s14, 8
	s_delay_alu instid0(SALU_CYCLE_1)
	s_cmp_ge_i32 s14, s3
	s_waitcnt vmcnt(1)
	v_xor_b32_e32 v19, 0x80000000, v19
	ds_store_b64 v13, v[18:19]
	s_waitcnt vmcnt(0)
	ds_store_b64 v14, v[20:21]
	s_waitcnt lgkmcnt(0)
	s_barrier
	buffer_gl0_inv
	ds_load_2addr_b64 v[18:21], v10 offset1:16
	ds_load_b128 v[22:25], v15
	ds_load_b128 v[26:29], v15 offset:1024
	ds_load_b128 v[30:33], v15 offset:16
	ds_load_2addr_b64 v[34:37], v10 offset0:32 offset1:48
	ds_load_b128 v[38:41], v15 offset:32
	ds_load_b128 v[42:45], v15 offset:48
	ds_load_2addr_b64 v[46:49], v10 offset0:64 offset1:80
	ds_load_b128 v[50:53], v15 offset:1040
	ds_load_2addr_b64 v[54:57], v10 offset0:96 offset1:112
	ds_load_2addr_b64 v[58:61], v10 offset0:128 offset1:144
	;; [unrolled: 1-line block ×4, first 2 shown]
	ds_load_b128 v[70:73], v15 offset:1056
	ds_load_b128 v[74:77], v15 offset:1072
	ds_load_2addr_b64 v[78:81], v10 offset0:224 offset1:240
	s_waitcnt lgkmcnt(0)
	s_barrier
	buffer_gl0_inv
	v_dual_mul_f32 v82, v23, v19 :: v_dual_mul_f32 v85, v22, v21
	v_dual_mul_f32 v83, v22, v19 :: v_dual_mul_f32 v84, v23, v21
	v_mul_f32_e32 v86, v27, v19
	v_dual_mul_f32 v19, v26, v19 :: v_dual_mul_f32 v90, v25, v37
	v_dual_mul_f32 v87, v27, v21 :: v_dual_mul_f32 v88, v25, v35
	v_mul_f32_e32 v21, v26, v21
	v_fma_f32 v82, v22, v18, -v82
	v_fmac_f32_e32 v83, v23, v18
	v_fma_f32 v22, v22, v20, -v84
	v_fmac_f32_e32 v85, v23, v20
	v_fma_f32 v23, v26, v18, -v86
	v_dual_fmac_f32 v19, v27, v18 :: v_dual_mul_f32 v86, v30, v47
	v_fma_f32 v18, v26, v20, -v87
	v_dual_fmac_f32 v21, v27, v20 :: v_dual_mul_f32 v20, v24, v37
	v_mul_f32_e32 v89, v24, v35
	v_mul_f32_e32 v26, v29, v35
	;; [unrolled: 1-line block ×4, first 2 shown]
	v_fmac_f32_e32 v20, v25, v36
	v_fmac_f32_e32 v89, v25, v34
	v_dual_mul_f32 v25, v28, v37 :: v_dual_fmac_f32 v86, v31, v46
	v_fma_f32 v84, v24, v34, -v88
	v_fma_f32 v24, v24, v36, -v90
	v_dual_mul_f32 v37, v31, v47 :: v_dual_mul_f32 v90, v33, v57
	v_fma_f32 v26, v28, v34, -v26
	v_fma_f32 v28, v28, v36, -v35
	v_fmac_f32_e32 v25, v29, v36
	v_dual_mul_f32 v35, v50, v47 :: v_dual_mul_f32 v36, v51, v49
	v_dual_fmac_f32 v27, v29, v34 :: v_dual_mul_f32 v34, v51, v47
	v_dual_mul_f32 v88, v32, v55 :: v_dual_mul_f32 v29, v30, v49
	v_mul_f32_e32 v87, v31, v49
	v_fma_f32 v37, v30, v46, -v37
	v_add_f32_e32 v16, v16, v82
	s_delay_alu instid0(VALU_DEP_4)
	v_dual_fmac_f32 v88, v33, v54 :: v_dual_fmac_f32 v29, v31, v48
	v_fma_f32 v31, v50, v46, -v34
	v_fma_f32 v34, v50, v48, -v36
	v_mul_f32_e32 v36, v32, v57
	v_mul_f32_e32 v47, v50, v49
	v_dual_mul_f32 v50, v53, v57 :: v_dual_fmac_f32 v35, v51, v46
	v_mul_f32_e32 v46, v53, v55
	v_mul_f32_e32 v49, v33, v55
	v_fma_f32 v30, v30, v48, -v87
	v_fmac_f32_e32 v36, v33, v56
	v_dual_fmac_f32 v47, v51, v48 :: v_dual_mul_f32 v48, v52, v55
	v_mul_f32_e32 v33, v52, v57
	v_fma_f32 v46, v52, v54, -v46
	v_fma_f32 v50, v52, v56, -v50
	v_mul_f32_e32 v52, v38, v61
	v_fma_f32 v49, v32, v54, -v49
	v_fma_f32 v32, v32, v56, -v90
	v_dual_mul_f32 v51, v39, v59 :: v_dual_fmac_f32 v48, v53, v54
	v_mul_f32_e32 v54, v70, v59
	v_dual_mul_f32 v55, v38, v59 :: v_dual_fmac_f32 v52, v39, v60
	v_fmac_f32_e32 v33, v53, v56
	v_mul_f32_e32 v53, v71, v59
	v_mul_f32_e32 v56, v71, v61
	;; [unrolled: 1-line block ×3, first 2 shown]
	v_fmac_f32_e32 v54, v71, v58
	v_fmac_f32_e32 v55, v39, v58
	v_fma_f32 v39, v70, v58, -v53
	v_fma_f32 v53, v70, v60, -v56
	v_mul_f32_e32 v56, v40, v65
	v_mul_f32_e32 v59, v70, v61
	v_fma_f32 v51, v38, v58, -v51
	v_mul_f32_e32 v58, v72, v63
	v_mul_f32_e32 v87, v40, v63
	;; [unrolled: 1-line block ×4, first 2 shown]
	v_fma_f32 v38, v38, v60, -v57
	v_mul_f32_e32 v57, v73, v63
	v_fmac_f32_e32 v56, v41, v64
	v_dual_fmac_f32 v59, v71, v60 :: v_dual_mul_f32 v60, v73, v65
	v_mul_f32_e32 v63, v43, v67
	v_mul_f32_e32 v70, v43, v69
	v_fmac_f32_e32 v58, v73, v62
	v_fmac_f32_e32 v87, v41, v62
	v_mul_f32_e32 v41, v72, v65
	v_fma_f32 v61, v40, v62, -v61
	v_fma_f32 v40, v40, v64, -v90
	v_mul_f32_e32 v65, v42, v67
	v_fma_f32 v57, v72, v62, -v57
	v_fma_f32 v60, v72, v64, -v60
	v_dual_fmac_f32 v41, v73, v64 :: v_dual_mul_f32 v62, v42, v69
	v_mul_f32_e32 v64, v75, v67
	v_fma_f32 v63, v42, v66, -v63
	v_fma_f32 v42, v42, v68, -v70
	v_mul_f32_e32 v70, v76, v79
	v_mul_f32_e32 v67, v74, v67
	;; [unrolled: 1-line block ×3, first 2 shown]
	v_dual_mul_f32 v69, v74, v69 :: v_dual_add_f32 v12, v12, v22
	v_mul_f32_e32 v73, v44, v79
	v_dual_fmac_f32 v65, v43, v66 :: v_dual_add_f32 v8, v8, v19
	v_fmac_f32_e32 v62, v43, v68
	v_fma_f32 v43, v74, v66, -v64
	v_fmac_f32_e32 v70, v77, v78
	v_dual_fmac_f32 v67, v75, v66 :: v_dual_add_f32 v16, v16, v84
	v_mul_f32_e32 v66, v44, v81
	v_mul_f32_e32 v72, v45, v79
	v_dual_mul_f32 v90, v45, v81 :: v_dual_fmac_f32 v69, v75, v68
	v_add_f32_e32 v0, v0, v18
	v_dual_fmac_f32 v73, v45, v78 :: v_dual_add_f32 v8, v8, v27
	v_dual_fmac_f32 v66, v45, v80 :: v_dual_mul_f32 v45, v76, v81
	v_fma_f32 v64, v74, v68, -v71
	v_dual_mul_f32 v71, v77, v81 :: v_dual_add_f32 v12, v12, v24
	v_dual_add_f32 v17, v17, v83 :: v_dual_add_f32 v0, v0, v28
	s_delay_alu instid0(VALU_DEP_4) | instskip(NEXT) | instid1(VALU_DEP_3)
	v_dual_fmac_f32 v45, v77, v80 :: v_dual_add_f32 v16, v16, v37
	v_dual_add_f32 v11, v11, v85 :: v_dual_add_f32 v12, v12, v30
	s_delay_alu instid0(VALU_DEP_3) | instskip(SKIP_1) | instid1(VALU_DEP_3)
	v_dual_add_f32 v9, v9, v23 :: v_dual_add_f32 v0, v0, v34
	v_dual_add_f32 v1, v1, v21 :: v_dual_add_f32 v8, v8, v35
	;; [unrolled: 1-line block ×3, first 2 shown]
	s_delay_alu instid0(VALU_DEP_4) | instskip(NEXT) | instid1(VALU_DEP_3)
	v_dual_add_f32 v11, v11, v20 :: v_dual_add_f32 v16, v16, v49
	v_dual_add_f32 v9, v9, v26 :: v_dual_add_f32 v8, v8, v48
	s_delay_alu instid0(VALU_DEP_4) | instskip(NEXT) | instid1(VALU_DEP_3)
	v_dual_add_f32 v1, v1, v25 :: v_dual_add_f32 v0, v0, v50
	v_dual_add_f32 v17, v17, v86 :: v_dual_add_f32 v16, v16, v51
	s_delay_alu instid0(VALU_DEP_4) | instskip(NEXT) | instid1(VALU_DEP_4)
	v_dual_add_f32 v11, v11, v29 :: v_dual_add_f32 v12, v12, v38
	v_dual_add_f32 v9, v9, v31 :: v_dual_add_f32 v8, v8, v54
	s_delay_alu instid0(VALU_DEP_4) | instskip(NEXT) | instid1(VALU_DEP_4)
	v_dual_add_f32 v1, v1, v47 :: v_dual_add_f32 v0, v0, v53
	v_dual_add_f32 v17, v17, v88 :: v_dual_add_f32 v16, v16, v61
	s_delay_alu instid0(VALU_DEP_3) | instskip(NEXT) | instid1(VALU_DEP_4)
	v_dual_add_f32 v11, v11, v36 :: v_dual_add_f32 v8, v8, v58
	v_dual_add_f32 v9, v9, v46 :: v_dual_add_f32 v12, v12, v40
	s_delay_alu instid0(VALU_DEP_4) | instskip(SKIP_1) | instid1(VALU_DEP_3)
	v_dual_add_f32 v1, v1, v33 :: v_dual_add_f32 v0, v0, v60
	v_fma_f32 v72, v44, v78, -v72
	v_dual_add_f32 v17, v17, v55 :: v_dual_add_f32 v12, v12, v42
	v_dual_add_f32 v11, v11, v52 :: v_dual_add_f32 v16, v16, v63
	s_delay_alu instid0(VALU_DEP_4) | instskip(SKIP_2) | instid1(VALU_DEP_4)
	v_dual_add_f32 v9, v9, v39 :: v_dual_add_f32 v0, v0, v64
	v_add_f32_e32 v1, v1, v59
	v_mul_f32_e32 v68, v77, v79
	v_add_f32_e32 v16, v16, v72
	v_fma_f32 v44, v44, v80, -v90
	v_fma_f32 v71, v76, v80, -v71
	v_add_f32_e32 v17, v17, v87
	v_dual_add_f32 v11, v11, v56 :: v_dual_add_f32 v8, v8, v67
	v_add_f32_e32 v9, v9, v57
	s_delay_alu instid0(VALU_DEP_4) | instskip(SKIP_1) | instid1(VALU_DEP_4)
	v_dual_add_f32 v1, v1, v41 :: v_dual_add_f32 v0, v0, v71
	v_fma_f32 v68, v76, v78, -v68
	v_dual_add_f32 v11, v11, v62 :: v_dual_add_f32 v12, v12, v44
	v_add_f32_e32 v17, v17, v65
	s_delay_alu instid0(VALU_DEP_4) | instskip(SKIP_1) | instid1(VALU_DEP_4)
	v_dual_add_f32 v1, v1, v69 :: v_dual_add_f32 v8, v8, v70
	v_add_f32_e32 v9, v9, v43
	v_add_f32_e32 v11, v11, v66
	s_delay_alu instid0(VALU_DEP_4) | instskip(NEXT) | instid1(VALU_DEP_4)
	v_add_f32_e32 v17, v17, v73
	v_add_f32_e32 v1, v1, v45
	s_delay_alu instid0(VALU_DEP_4)
	v_add_f32_e32 v9, v9, v68
	s_cbranch_scc0 .LBB332_2
.LBB332_3:
	s_clause 0x1
	s_load_b32 s3, s[0:1], 0x40
	s_load_b64 s[0:1], s[0:1], 0x48
	v_add_nc_u32_e32 v7, s13, v7
	v_add_nc_u32_e32 v2, s12, v6
	s_delay_alu instid0(VALU_DEP_2)
	v_cmp_gt_i32_e32 vcc_lo, s2, v7
	s_waitcnt lgkmcnt(0)
	v_mad_i64_i32 v[3:4], null, v7, s3, 0
	s_mul_i32 s1, s15, s1
	s_mul_hi_u32 s4, s15, s0
	s_mul_i32 s0, s15, s0
	s_add_i32 s1, s4, s1
	s_delay_alu instid0(SALU_CYCLE_1) | instskip(NEXT) | instid1(VALU_DEP_1)
	s_lshl_b64 s[4:5], s[0:1], 3
	v_lshlrev_b64 v[3:4], 3, v[3:4]
	s_add_u32 s4, s6, s4
	v_cmp_le_i32_e64 s0, v2, v7
	s_addc_u32 s5, s7, s5
	s_delay_alu instid0(VALU_DEP_2) | instskip(NEXT) | instid1(VALU_DEP_1)
	v_add_co_u32 v6, s1, s4, v3
	v_add_co_ci_u32_e64 v10, s1, s5, v4, s1
	s_delay_alu instid0(VALU_DEP_3) | instskip(NEXT) | instid1(SALU_CYCLE_1)
	s_and_b32 s0, vcc_lo, s0
	s_and_saveexec_b32 s1, s0
	s_cbranch_execz .LBB332_6
; %bb.4:
	v_ashrrev_i32_e32 v3, 31, v2
	v_xor_b32_e32 v13, 0x80000000, v16
	v_xor_b32_e32 v14, 0x80000000, v17
	s_delay_alu instid0(VALU_DEP_3) | instskip(NEXT) | instid1(VALU_DEP_1)
	v_lshlrev_b64 v[3:4], 3, v[2:3]
	v_add_co_u32 v3, s0, v6, v3
	s_delay_alu instid0(VALU_DEP_1)
	v_add_co_ci_u32_e64 v4, s0, v10, v4, s0
	v_cmp_eq_u32_e64 s0, v7, v2
	global_store_b64 v[3:4], v[13:14], off
	s_and_b32 exec_lo, exec_lo, s0
	s_cbranch_execz .LBB332_6
; %bb.5:
	v_mov_b32_e32 v5, 0
	global_store_b32 v[3:4], v5, off offset:4
.LBB332_6:
	s_or_b32 exec_lo, exec_lo, s1
	v_add_nc_u32_e32 v4, 16, v2
	s_delay_alu instid0(VALU_DEP_1) | instskip(NEXT) | instid1(VALU_DEP_1)
	v_cmp_le_i32_e64 s0, v4, v7
	s_and_b32 s1, vcc_lo, s0
	s_delay_alu instid0(SALU_CYCLE_1)
	s_and_saveexec_b32 s0, s1
	s_cbranch_execz .LBB332_9
; %bb.7:
	v_ashrrev_i32_e32 v5, 31, v4
	v_xor_b32_e32 v15, 0x80000000, v12
	v_xor_b32_e32 v16, 0x80000000, v11
	s_delay_alu instid0(VALU_DEP_3) | instskip(NEXT) | instid1(VALU_DEP_1)
	v_lshlrev_b64 v[13:14], 3, v[4:5]
	v_add_co_u32 v5, vcc_lo, v6, v13
	s_delay_alu instid0(VALU_DEP_2)
	v_add_co_ci_u32_e32 v6, vcc_lo, v10, v14, vcc_lo
	v_cmp_eq_u32_e32 vcc_lo, v7, v4
	global_store_b64 v[5:6], v[15:16], off
	s_and_b32 exec_lo, exec_lo, vcc_lo
	s_cbranch_execz .LBB332_9
; %bb.8:
	v_mov_b32_e32 v3, 0
	global_store_b32 v[5:6], v3, off offset:4
.LBB332_9:
	s_or_b32 exec_lo, exec_lo, s0
	v_add_nc_u32_e32 v12, 16, v7
	s_delay_alu instid0(VALU_DEP_1) | instskip(SKIP_2) | instid1(VALU_DEP_1)
	v_mad_i64_i32 v[5:6], null, v12, s3, 0
	v_cmp_gt_i32_e32 vcc_lo, s2, v12
	v_cmp_le_i32_e64 s0, v2, v12
	s_and_b32 s0, vcc_lo, s0
	s_delay_alu instid0(VALU_DEP_3) | instskip(NEXT) | instid1(VALU_DEP_1)
	v_lshlrev_b64 v[5:6], 3, v[5:6]
	v_add_co_u32 v10, s1, s4, v5
	s_delay_alu instid0(VALU_DEP_1)
	v_add_co_ci_u32_e64 v11, s1, s5, v6, s1
	s_and_saveexec_b32 s1, s0
	s_cbranch_execz .LBB332_12
; %bb.10:
	v_ashrrev_i32_e32 v3, 31, v2
	v_xor_b32_e32 v13, 0x80000000, v9
	v_xor_b32_e32 v14, 0x80000000, v8
	s_delay_alu instid0(VALU_DEP_3) | instskip(NEXT) | instid1(VALU_DEP_1)
	v_lshlrev_b64 v[5:6], 3, v[2:3]
	v_add_co_u32 v5, s0, v10, v5
	s_delay_alu instid0(VALU_DEP_1)
	v_add_co_ci_u32_e64 v6, s0, v11, v6, s0
	v_cmp_eq_u32_e64 s0, v12, v2
	global_store_b64 v[5:6], v[13:14], off
	s_and_b32 exec_lo, exec_lo, s0
	s_cbranch_execz .LBB332_12
; %bb.11:
	v_mov_b32_e32 v3, 0
	global_store_b32 v[5:6], v3, off offset:4
.LBB332_12:
	s_or_b32 exec_lo, exec_lo, s1
	v_cmp_le_i32_e64 s0, v4, v12
	s_delay_alu instid0(VALU_DEP_1) | instskip(NEXT) | instid1(SALU_CYCLE_1)
	s_and_b32 s0, vcc_lo, s0
	s_and_saveexec_b32 s1, s0
	s_cbranch_execz .LBB332_15
; %bb.13:
	v_ashrrev_i32_e32 v5, 31, v4
	v_xor_b32_e32 v6, 0x80000000, v1
	s_delay_alu instid0(VALU_DEP_2) | instskip(SKIP_1) | instid1(VALU_DEP_2)
	v_lshlrev_b64 v[3:4], 3, v[4:5]
	v_xor_b32_e32 v5, 0x80000000, v0
	v_add_co_u32 v0, vcc_lo, v10, v3
	s_delay_alu instid0(VALU_DEP_3)
	v_add_co_ci_u32_e32 v1, vcc_lo, v11, v4, vcc_lo
	v_cmp_eq_u32_e32 vcc_lo, v7, v2
	global_store_b64 v[0:1], v[5:6], off
	s_and_b32 exec_lo, exec_lo, vcc_lo
	s_cbranch_execz .LBB332_15
; %bb.14:
	v_mov_b32_e32 v2, 0
	global_store_b32 v[0:1], v2, off offset:4
.LBB332_15:
	s_nop 0
	s_sendmsg sendmsg(MSG_DEALLOC_VGPRS)
	s_endpgm
	.section	.rodata,"a",@progbits
	.p2align	6, 0x0
	.amdhsa_kernel _ZL37rocblas_syrkx_herkx_restricted_kernelIi19rocblas_complex_numIfELi16ELi32ELi8ELin1ELi0ELb1ELc67ELc85EKS1_S1_EviT_PT9_S3_lS5_S3_lPT10_S3_li
		.amdhsa_group_segment_fixed_size 4096
		.amdhsa_private_segment_fixed_size 0
		.amdhsa_kernarg_size 84
		.amdhsa_user_sgpr_count 13
		.amdhsa_user_sgpr_dispatch_ptr 0
		.amdhsa_user_sgpr_queue_ptr 0
		.amdhsa_user_sgpr_kernarg_segment_ptr 1
		.amdhsa_user_sgpr_dispatch_id 0
		.amdhsa_user_sgpr_private_segment_size 0
		.amdhsa_wavefront_size32 1
		.amdhsa_uses_dynamic_stack 0
		.amdhsa_enable_private_segment 0
		.amdhsa_system_sgpr_workgroup_id_x 1
		.amdhsa_system_sgpr_workgroup_id_y 1
		.amdhsa_system_sgpr_workgroup_id_z 1
		.amdhsa_system_sgpr_workgroup_info 0
		.amdhsa_system_vgpr_workitem_id 1
		.amdhsa_next_free_vgpr 91
		.amdhsa_next_free_sgpr 20
		.amdhsa_reserve_vcc 1
		.amdhsa_float_round_mode_32 0
		.amdhsa_float_round_mode_16_64 0
		.amdhsa_float_denorm_mode_32 3
		.amdhsa_float_denorm_mode_16_64 3
		.amdhsa_dx10_clamp 1
		.amdhsa_ieee_mode 1
		.amdhsa_fp16_overflow 0
		.amdhsa_workgroup_processor_mode 1
		.amdhsa_memory_ordered 1
		.amdhsa_forward_progress 0
		.amdhsa_shared_vgpr_count 0
		.amdhsa_exception_fp_ieee_invalid_op 0
		.amdhsa_exception_fp_denorm_src 0
		.amdhsa_exception_fp_ieee_div_zero 0
		.amdhsa_exception_fp_ieee_overflow 0
		.amdhsa_exception_fp_ieee_underflow 0
		.amdhsa_exception_fp_ieee_inexact 0
		.amdhsa_exception_int_div_zero 0
	.end_amdhsa_kernel
	.section	.text._ZL37rocblas_syrkx_herkx_restricted_kernelIi19rocblas_complex_numIfELi16ELi32ELi8ELin1ELi0ELb1ELc67ELc85EKS1_S1_EviT_PT9_S3_lS5_S3_lPT10_S3_li,"axG",@progbits,_ZL37rocblas_syrkx_herkx_restricted_kernelIi19rocblas_complex_numIfELi16ELi32ELi8ELin1ELi0ELb1ELc67ELc85EKS1_S1_EviT_PT9_S3_lS5_S3_lPT10_S3_li,comdat
.Lfunc_end332:
	.size	_ZL37rocblas_syrkx_herkx_restricted_kernelIi19rocblas_complex_numIfELi16ELi32ELi8ELin1ELi0ELb1ELc67ELc85EKS1_S1_EviT_PT9_S3_lS5_S3_lPT10_S3_li, .Lfunc_end332-_ZL37rocblas_syrkx_herkx_restricted_kernelIi19rocblas_complex_numIfELi16ELi32ELi8ELin1ELi0ELb1ELc67ELc85EKS1_S1_EviT_PT9_S3_lS5_S3_lPT10_S3_li
                                        ; -- End function
	.section	.AMDGPU.csdata,"",@progbits
; Kernel info:
; codeLenInByte = 2216
; NumSgprs: 22
; NumVgprs: 91
; ScratchSize: 0
; MemoryBound: 0
; FloatMode: 240
; IeeeMode: 1
; LDSByteSize: 4096 bytes/workgroup (compile time only)
; SGPRBlocks: 2
; VGPRBlocks: 11
; NumSGPRsForWavesPerEU: 22
; NumVGPRsForWavesPerEU: 91
; Occupancy: 16
; WaveLimiterHint : 0
; COMPUTE_PGM_RSRC2:SCRATCH_EN: 0
; COMPUTE_PGM_RSRC2:USER_SGPR: 13
; COMPUTE_PGM_RSRC2:TRAP_HANDLER: 0
; COMPUTE_PGM_RSRC2:TGID_X_EN: 1
; COMPUTE_PGM_RSRC2:TGID_Y_EN: 1
; COMPUTE_PGM_RSRC2:TGID_Z_EN: 1
; COMPUTE_PGM_RSRC2:TIDIG_COMP_CNT: 1
	.section	.text._ZL37rocblas_syrkx_herkx_restricted_kernelIi19rocblas_complex_numIfELi16ELi32ELi8ELin1ELi0ELb1ELc78ELc85EKS1_S1_EviT_PT9_S3_lS5_S3_lPT10_S3_li,"axG",@progbits,_ZL37rocblas_syrkx_herkx_restricted_kernelIi19rocblas_complex_numIfELi16ELi32ELi8ELin1ELi0ELb1ELc78ELc85EKS1_S1_EviT_PT9_S3_lS5_S3_lPT10_S3_li,comdat
	.globl	_ZL37rocblas_syrkx_herkx_restricted_kernelIi19rocblas_complex_numIfELi16ELi32ELi8ELin1ELi0ELb1ELc78ELc85EKS1_S1_EviT_PT9_S3_lS5_S3_lPT10_S3_li ; -- Begin function _ZL37rocblas_syrkx_herkx_restricted_kernelIi19rocblas_complex_numIfELi16ELi32ELi8ELin1ELi0ELb1ELc78ELc85EKS1_S1_EviT_PT9_S3_lS5_S3_lPT10_S3_li
	.p2align	8
	.type	_ZL37rocblas_syrkx_herkx_restricted_kernelIi19rocblas_complex_numIfELi16ELi32ELi8ELin1ELi0ELb1ELc78ELc85EKS1_S1_EviT_PT9_S3_lS5_S3_lPT10_S3_li,@function
_ZL37rocblas_syrkx_herkx_restricted_kernelIi19rocblas_complex_numIfELi16ELi32ELi8ELin1ELi0ELb1ELc78ELc85EKS1_S1_EviT_PT9_S3_lS5_S3_lPT10_S3_li: ; @_ZL37rocblas_syrkx_herkx_restricted_kernelIi19rocblas_complex_numIfELi16ELi32ELi8ELin1ELi0ELb1ELc78ELc85EKS1_S1_EviT_PT9_S3_lS5_S3_lPT10_S3_li
; %bb.0:
	s_clause 0x1
	s_load_b64 s[2:3], s[0:1], 0x0
	s_load_b128 s[4:7], s[0:1], 0x30
	v_dual_mov_b32 v17, 0 :: v_dual_and_b32 v4, 0x3ff, v0
	v_bfe_u32 v5, v0, 10, 10
	v_dual_mov_b32 v16, 0 :: v_dual_mov_b32 v11, 0
	v_dual_mov_b32 v10, 0 :: v_dual_mov_b32 v9, 0
	;; [unrolled: 1-line block ×3, first 2 shown]
	v_mov_b32_e32 v6, 0
	s_lshl_b32 s12, s13, 5
	s_lshl_b32 s13, s14, 5
	s_mov_b32 s14, 0
	s_waitcnt lgkmcnt(0)
	s_cmp_lt_i32 s3, 1
	s_cbranch_scc1 .LBB333_3
; %bb.1:
	s_clause 0x1
	s_load_b32 s16, s[0:1], 0x10
	s_load_b32 s18, s[0:1], 0x28
	v_lshl_add_u32 v0, v5, 4, v4
	v_and_b32_e32 v8, 7, v4
	s_clause 0x1
	s_load_b128 s[8:11], s[0:1], 0x18
	s_load_b64 s[20:21], s[0:1], 0x8
	s_mul_i32 s5, s5, s15
	v_lshrrev_b32_e32 v1, 3, v0
	v_and_b32_e32 v2, 31, v0
	v_lshrrev_b32_e32 v9, 5, v0
	v_lshlrev_b32_e32 v3, 3, v8
	s_delay_alu instid0(VALU_DEP_4) | instskip(NEXT) | instid1(VALU_DEP_4)
	v_dual_mov_b32 v11, 0 :: v_dual_add_nc_u32 v0, s13, v1
	v_dual_mov_b32 v17, 0 :: v_dual_lshlrev_b32 v6, 3, v2
	v_add_nc_u32_e32 v2, s12, v2
	s_delay_alu instid0(VALU_DEP_4) | instskip(NEXT) | instid1(VALU_DEP_4)
	v_lshl_or_b32 v10, v1, 6, v3
	v_ashrrev_i32_e32 v1, 31, v0
	s_delay_alu instid0(VALU_DEP_4)
	v_lshl_or_b32 v12, v9, 8, v6
	v_lshlrev_b32_e32 v14, 3, v4
	v_ashrrev_i32_e32 v3, 31, v2
	s_waitcnt lgkmcnt(0)
	s_ashr_i32 s17, s16, 31
	v_mad_i64_i32 v[6:7], null, s18, v8, v[0:1]
	s_mul_i32 s9, s9, s15
	v_mad_i64_i32 v[0:1], null, s16, v9, v[2:3]
	s_mul_hi_u32 s22, s8, s15
	s_mul_i32 s8, s8, s15
	s_add_i32 s9, s22, s9
	s_ashr_i32 s19, s18, 31
	s_lshl_b64 s[8:9], s[8:9], 3
	v_dual_mov_b32 v8, 0 :: v_dual_add_nc_u32 v13, 0x800, v10
	s_delay_alu instid0(VALU_DEP_2)
	v_lshlrev_b64 v[0:1], 3, v[0:1]
	s_add_u32 s8, s20, s8
	s_addc_u32 s9, s21, s9
	s_mul_hi_u32 s20, s4, s15
	s_mul_i32 s4, s4, s15
	s_add_i32 s5, s20, s5
	v_add_co_u32 v2, vcc_lo, s8, v0
	v_add_co_ci_u32_e32 v3, vcc_lo, s9, v1, vcc_lo
	v_lshlrev_b64 v[0:1], 3, v[6:7]
	s_lshl_b64 s[8:9], s[4:5], 3
	s_lshl_b64 s[4:5], s[16:17], 6
	s_add_u32 s8, s10, s8
	s_addc_u32 s9, s11, s9
	v_lshl_add_u32 v15, v5, 6, 0x800
	v_add_co_u32 v6, vcc_lo, s8, v0
	v_add_co_ci_u32_e32 v7, vcc_lo, s9, v1, vcc_lo
	v_add_co_u32 v0, vcc_lo, v2, 4
	v_add_co_ci_u32_e32 v1, vcc_lo, 0, v3, vcc_lo
	s_delay_alu instid0(VALU_DEP_4) | instskip(NEXT) | instid1(VALU_DEP_4)
	v_add_co_u32 v2, vcc_lo, v6, 4
	v_add_co_ci_u32_e32 v3, vcc_lo, 0, v7, vcc_lo
	v_dual_mov_b32 v6, 0 :: v_dual_mov_b32 v7, 0
	v_dual_mov_b32 v9, 0 :: v_dual_mov_b32 v10, 0
	v_mov_b32_e32 v16, 0
	s_lshl_b64 s[8:9], s[18:19], 6
.LBB333_2:                              ; =>This Inner Loop Header: Depth=1
	global_load_b64 v[18:19], v[2:3], off offset:-4
	global_load_b64 v[20:21], v[0:1], off offset:-4
	v_add_co_u32 v0, vcc_lo, v0, s4
	v_add_co_ci_u32_e32 v1, vcc_lo, s5, v1, vcc_lo
	v_add_co_u32 v2, vcc_lo, v2, s8
	v_add_co_ci_u32_e32 v3, vcc_lo, s9, v3, vcc_lo
	s_add_i32 s14, s14, 8
	s_delay_alu instid0(SALU_CYCLE_1)
	s_cmp_ge_i32 s14, s3
	s_waitcnt vmcnt(1)
	v_xor_b32_e32 v19, 0x80000000, v19
	s_waitcnt vmcnt(0)
	ds_store_b64 v12, v[20:21]
	ds_store_b64 v13, v[18:19]
	s_waitcnt lgkmcnt(0)
	s_barrier
	buffer_gl0_inv
	ds_load_2addr_b64 v[18:21], v14 offset1:16
	ds_load_b128 v[22:25], v15
	ds_load_b128 v[26:29], v15 offset:1024
	ds_load_b128 v[30:33], v15 offset:16
	ds_load_2addr_b64 v[34:37], v14 offset0:32 offset1:48
	ds_load_b128 v[38:41], v15 offset:32
	ds_load_b128 v[42:45], v15 offset:48
	ds_load_2addr_b64 v[46:49], v14 offset0:64 offset1:80
	ds_load_b128 v[50:53], v15 offset:1040
	ds_load_2addr_b64 v[54:57], v14 offset0:96 offset1:112
	ds_load_2addr_b64 v[58:61], v14 offset0:128 offset1:144
	;; [unrolled: 1-line block ×4, first 2 shown]
	ds_load_b128 v[70:73], v15 offset:1056
	ds_load_b128 v[74:77], v15 offset:1072
	ds_load_2addr_b64 v[78:81], v14 offset0:224 offset1:240
	s_waitcnt lgkmcnt(0)
	s_barrier
	buffer_gl0_inv
	v_dual_mul_f32 v82, v23, v19 :: v_dual_mul_f32 v85, v22, v21
	v_dual_mul_f32 v83, v22, v19 :: v_dual_mul_f32 v84, v23, v21
	v_mul_f32_e32 v86, v27, v19
	v_dual_mul_f32 v19, v26, v19 :: v_dual_mul_f32 v90, v25, v37
	v_dual_mul_f32 v87, v27, v21 :: v_dual_mul_f32 v88, v25, v35
	v_mul_f32_e32 v21, v26, v21
	v_mul_f32_e32 v89, v24, v35
	;; [unrolled: 1-line block ×3, first 2 shown]
	v_fma_f32 v82, v22, v18, -v82
	v_fmac_f32_e32 v83, v23, v18
	v_fma_f32 v22, v22, v20, -v84
	v_dual_fmac_f32 v85, v23, v20 :: v_dual_mul_f32 v84, v30, v47
	v_fma_f32 v23, v26, v18, -v86
	v_fmac_f32_e32 v19, v27, v18
	v_fma_f32 v18, v26, v20, -v87
	v_dual_mul_f32 v26, v28, v35 :: v_dual_fmac_f32 v21, v27, v20
	v_mul_f32_e32 v20, v29, v35
	v_mul_f32_e32 v27, v29, v37
	v_dual_mul_f32 v35, v28, v37 :: v_dual_fmac_f32 v84, v31, v46
	v_fma_f32 v37, v24, v34, -v88
	v_fma_f32 v24, v24, v36, -v90
	v_dual_fmac_f32 v91, v25, v36 :: v_dual_mul_f32 v90, v32, v57
	v_dual_mul_f32 v86, v31, v49 :: v_dual_fmac_f32 v89, v25, v34
	v_dual_mul_f32 v25, v31, v47 :: v_dual_mul_f32 v88, v33, v57
	v_fma_f32 v20, v28, v34, -v20
	v_fmac_f32_e32 v26, v29, v34
	v_fma_f32 v27, v28, v36, -v27
	v_dual_fmac_f32 v35, v29, v36 :: v_dual_mul_f32 v28, v51, v47
	v_dual_mul_f32 v29, v50, v47 :: v_dual_mul_f32 v34, v51, v49
	v_mul_f32_e32 v36, v50, v49
	v_mul_f32_e32 v87, v30, v49
	v_mul_f32_e32 v47, v33, v55
	v_dual_mul_f32 v49, v32, v55 :: v_dual_fmac_f32 v90, v33, v56
	v_fma_f32 v25, v30, v46, -v25
	v_fma_f32 v30, v30, v48, -v86
	;; [unrolled: 1-line block ×3, first 2 shown]
	v_fmac_f32_e32 v36, v51, v48
	v_fmac_f32_e32 v87, v31, v48
	v_fma_f32 v31, v50, v48, -v34
	v_mul_f32_e32 v34, v53, v55
	v_mul_f32_e32 v48, v53, v57
	v_dual_mul_f32 v50, v52, v57 :: v_dual_fmac_f32 v29, v51, v46
	v_mul_f32_e32 v46, v52, v55
	v_fma_f32 v47, v32, v54, -v47
	v_fmac_f32_e32 v49, v33, v54
	v_fma_f32 v32, v32, v56, -v88
	s_delay_alu instid0(VALU_DEP_4)
	v_dual_mul_f32 v33, v39, v59 :: v_dual_fmac_f32 v46, v53, v54
	v_mul_f32_e32 v51, v38, v59
	v_mul_f32_e32 v55, v39, v61
	v_fma_f32 v34, v52, v54, -v34
	v_fma_f32 v48, v52, v56, -v48
	v_fmac_f32_e32 v50, v53, v56
	v_mul_f32_e32 v52, v71, v59
	v_dual_mul_f32 v53, v70, v59 :: v_dual_mul_f32 v86, v41, v65
	v_mul_f32_e32 v54, v71, v61
	v_dual_mul_f32 v56, v70, v61 :: v_dual_mul_f32 v59, v41, v63
	v_mul_f32_e32 v57, v38, v61
	v_mul_f32_e32 v61, v40, v63
	v_dual_mul_f32 v88, v40, v65 :: v_dual_fmac_f32 v51, v39, v58
	v_fma_f32 v33, v38, v58, -v33
	v_fmac_f32_e32 v53, v71, v58
	v_fmac_f32_e32 v56, v71, v60
	s_delay_alu instid0(VALU_DEP_4)
	v_fmac_f32_e32 v88, v41, v64
	v_fmac_f32_e32 v57, v39, v60
	v_fma_f32 v39, v70, v58, -v52
	v_fma_f32 v52, v70, v60, -v54
	v_mul_f32_e32 v54, v73, v63
	v_fma_f32 v38, v38, v60, -v55
	v_mul_f32_e32 v60, v72, v65
	v_dual_mul_f32 v55, v72, v63 :: v_dual_mul_f32 v70, v42, v69
	v_mul_f32_e32 v58, v73, v65
	v_fma_f32 v59, v40, v62, -v59
	v_fmac_f32_e32 v61, v41, v62
	v_fma_f32 v40, v40, v64, -v86
	v_dual_mul_f32 v41, v43, v67 :: v_dual_fmac_f32 v60, v73, v64
	v_dual_mul_f32 v63, v42, v67 :: v_dual_mul_f32 v86, v44, v81
	v_mul_f32_e32 v65, v43, v69
	v_fma_f32 v54, v72, v62, -v54
	v_fmac_f32_e32 v55, v73, v62
	v_fma_f32 v58, v72, v64, -v58
	v_mul_f32_e32 v72, v44, v79
	v_mul_f32_e32 v62, v75, v67
	v_dual_mul_f32 v64, v74, v67 :: v_dual_mul_f32 v67, v75, v69
	v_dual_mul_f32 v69, v74, v69 :: v_dual_fmac_f32 v70, v43, v68
	s_delay_alu instid0(VALU_DEP_2)
	v_dual_mul_f32 v71, v45, v79 :: v_dual_fmac_f32 v64, v75, v66
	v_fma_f32 v41, v42, v66, -v41
	v_fmac_f32_e32 v63, v43, v66
	v_fma_f32 v42, v42, v68, -v65
	v_fma_f32 v43, v74, v66, -v62
	v_dual_fmac_f32 v69, v75, v68 :: v_dual_fmac_f32 v72, v45, v78
	v_mul_f32_e32 v66, v76, v79
	v_fma_f32 v62, v74, v68, -v67
	v_mul_f32_e32 v68, v76, v81
	v_dual_mul_f32 v73, v45, v81 :: v_dual_add_f32 v16, v16, v82
	v_dual_mul_f32 v65, v77, v79 :: v_dual_add_f32 v10, v10, v85
	;; [unrolled: 1-line block ×3, first 2 shown]
	v_dual_fmac_f32 v86, v45, v80 :: v_dual_add_f32 v11, v11, v22
	v_dual_fmac_f32 v68, v77, v80 :: v_dual_add_f32 v7, v7, v18
	v_dual_add_f32 v17, v17, v83 :: v_dual_add_f32 v6, v6, v21
	v_dual_add_f32 v9, v9, v23 :: v_dual_add_f32 v16, v16, v37
	s_delay_alu instid0(VALU_DEP_4) | instskip(NEXT) | instid1(VALU_DEP_3)
	v_dual_fmac_f32 v66, v77, v78 :: v_dual_add_f32 v11, v11, v24
	v_dual_add_f32 v17, v17, v89 :: v_dual_add_f32 v10, v10, v91
	s_delay_alu instid0(VALU_DEP_3) | instskip(NEXT) | instid1(VALU_DEP_4)
	v_dual_add_f32 v9, v9, v20 :: v_dual_add_f32 v8, v8, v26
	v_dual_add_f32 v7, v7, v27 :: v_dual_add_f32 v16, v16, v25
	s_delay_alu instid0(VALU_DEP_3) | instskip(NEXT) | instid1(VALU_DEP_4)
	v_dual_add_f32 v6, v6, v35 :: v_dual_add_f32 v17, v17, v84
	v_dual_add_f32 v11, v11, v30 :: v_dual_add_f32 v10, v10, v87
	s_delay_alu instid0(VALU_DEP_4) | instskip(NEXT) | instid1(VALU_DEP_3)
	v_dual_add_f32 v9, v9, v28 :: v_dual_add_f32 v8, v8, v29
	v_dual_add_f32 v7, v7, v31 :: v_dual_add_f32 v6, v6, v36
	s_delay_alu instid0(VALU_DEP_4) | instskip(NEXT) | instid1(VALU_DEP_4)
	v_dual_add_f32 v16, v16, v47 :: v_dual_add_f32 v17, v17, v49
	v_dual_add_f32 v11, v11, v32 :: v_dual_add_f32 v10, v10, v90
	s_delay_alu instid0(VALU_DEP_2) | instskip(NEXT) | instid1(VALU_DEP_4)
	v_dual_add_f32 v9, v9, v34 :: v_dual_add_f32 v16, v16, v33
	v_dual_add_f32 v8, v8, v46 :: v_dual_add_f32 v7, v7, v48
	s_delay_alu instid0(VALU_DEP_4) | instskip(NEXT) | instid1(VALU_DEP_4)
	v_dual_add_f32 v6, v6, v50 :: v_dual_add_f32 v17, v17, v51
	v_dual_add_f32 v11, v11, v38 :: v_dual_add_f32 v10, v10, v57
	s_delay_alu instid0(VALU_DEP_3) | instskip(NEXT) | instid1(VALU_DEP_4)
	v_dual_add_f32 v9, v9, v39 :: v_dual_add_f32 v8, v8, v53
	v_dual_add_f32 v7, v7, v52 :: v_dual_add_f32 v16, v16, v59
	s_delay_alu instid0(VALU_DEP_4) | instskip(NEXT) | instid1(VALU_DEP_3)
	v_dual_add_f32 v6, v6, v56 :: v_dual_add_f32 v17, v17, v61
	v_dual_add_f32 v11, v11, v40 :: v_dual_add_f32 v8, v8, v55
	s_delay_alu instid0(VALU_DEP_4) | instskip(NEXT) | instid1(VALU_DEP_3)
	v_dual_add_f32 v10, v10, v88 :: v_dual_add_f32 v9, v9, v54
	v_dual_add_f32 v7, v7, v58 :: v_dual_add_f32 v6, v6, v60
	v_fma_f32 v71, v44, v78, -v71
	v_fma_f32 v44, v44, v80, -v73
	;; [unrolled: 1-line block ×4, first 2 shown]
	v_dual_add_f32 v16, v16, v41 :: v_dual_add_f32 v17, v17, v63
	v_dual_add_f32 v11, v11, v42 :: v_dual_add_f32 v8, v8, v64
	;; [unrolled: 1-line block ×4, first 2 shown]
	s_delay_alu instid0(VALU_DEP_4) | instskip(NEXT) | instid1(VALU_DEP_3)
	v_dual_add_f32 v16, v16, v71 :: v_dual_add_f32 v17, v17, v72
	v_dual_add_f32 v11, v11, v44 :: v_dual_add_f32 v10, v10, v86
	s_delay_alu instid0(VALU_DEP_4) | instskip(NEXT) | instid1(VALU_DEP_4)
	v_dual_add_f32 v9, v9, v45 :: v_dual_add_f32 v8, v8, v66
	v_dual_add_f32 v7, v7, v65 :: v_dual_add_f32 v6, v6, v68
	s_cbranch_scc0 .LBB333_2
.LBB333_3:
	s_clause 0x1
	s_load_b32 s3, s[0:1], 0x40
	s_load_b64 s[0:1], s[0:1], 0x48
	v_add_nc_u32_e32 v5, s13, v5
	v_add_nc_u32_e32 v0, s12, v4
	s_delay_alu instid0(VALU_DEP_2)
	v_cmp_gt_i32_e32 vcc_lo, s2, v5
	s_waitcnt lgkmcnt(0)
	v_mad_i64_i32 v[1:2], null, v5, s3, 0
	s_mul_i32 s1, s15, s1
	s_mul_hi_u32 s4, s15, s0
	s_mul_i32 s0, s15, s0
	s_add_i32 s1, s4, s1
	s_delay_alu instid0(SALU_CYCLE_1) | instskip(NEXT) | instid1(VALU_DEP_1)
	s_lshl_b64 s[4:5], s[0:1], 3
	v_lshlrev_b64 v[1:2], 3, v[1:2]
	s_add_u32 s4, s6, s4
	v_cmp_le_i32_e64 s0, v0, v5
	s_addc_u32 s5, s7, s5
	s_delay_alu instid0(VALU_DEP_2) | instskip(NEXT) | instid1(VALU_DEP_1)
	v_add_co_u32 v4, s1, s4, v1
	v_add_co_ci_u32_e64 v12, s1, s5, v2, s1
	s_delay_alu instid0(VALU_DEP_3) | instskip(NEXT) | instid1(SALU_CYCLE_1)
	s_and_b32 s0, vcc_lo, s0
	s_and_saveexec_b32 s1, s0
	s_cbranch_execz .LBB333_6
; %bb.4:
	v_ashrrev_i32_e32 v1, 31, v0
	v_xor_b32_e32 v13, 0x80000000, v16
	v_xor_b32_e32 v14, 0x80000000, v17
	s_delay_alu instid0(VALU_DEP_3) | instskip(NEXT) | instid1(VALU_DEP_1)
	v_lshlrev_b64 v[1:2], 3, v[0:1]
	v_add_co_u32 v1, s0, v4, v1
	s_delay_alu instid0(VALU_DEP_1)
	v_add_co_ci_u32_e64 v2, s0, v12, v2, s0
	v_cmp_eq_u32_e64 s0, v5, v0
	global_store_b64 v[1:2], v[13:14], off
	s_and_b32 exec_lo, exec_lo, s0
	s_cbranch_execz .LBB333_6
; %bb.5:
	v_mov_b32_e32 v3, 0
	global_store_b32 v[1:2], v3, off offset:4
.LBB333_6:
	s_or_b32 exec_lo, exec_lo, s1
	v_add_nc_u32_e32 v2, 16, v0
	s_delay_alu instid0(VALU_DEP_1) | instskip(NEXT) | instid1(VALU_DEP_1)
	v_cmp_le_i32_e64 s0, v2, v5
	s_and_b32 s1, vcc_lo, s0
	s_delay_alu instid0(SALU_CYCLE_1)
	s_and_saveexec_b32 s0, s1
	s_cbranch_execz .LBB333_9
; %bb.7:
	v_ashrrev_i32_e32 v3, 31, v2
	v_xor_b32_e32 v15, 0x80000000, v11
	v_xor_b32_e32 v16, 0x80000000, v10
	s_delay_alu instid0(VALU_DEP_3) | instskip(NEXT) | instid1(VALU_DEP_1)
	v_lshlrev_b64 v[13:14], 3, v[2:3]
	v_add_co_u32 v3, vcc_lo, v4, v13
	s_delay_alu instid0(VALU_DEP_2)
	v_add_co_ci_u32_e32 v4, vcc_lo, v12, v14, vcc_lo
	v_cmp_eq_u32_e32 vcc_lo, v5, v2
	global_store_b64 v[3:4], v[15:16], off
	s_and_b32 exec_lo, exec_lo, vcc_lo
	s_cbranch_execz .LBB333_9
; %bb.8:
	v_mov_b32_e32 v1, 0
	global_store_b32 v[3:4], v1, off offset:4
.LBB333_9:
	s_or_b32 exec_lo, exec_lo, s0
	v_add_nc_u32_e32 v12, 16, v5
	s_delay_alu instid0(VALU_DEP_1) | instskip(SKIP_2) | instid1(VALU_DEP_1)
	v_mad_i64_i32 v[3:4], null, v12, s3, 0
	v_cmp_gt_i32_e32 vcc_lo, s2, v12
	v_cmp_le_i32_e64 s0, v0, v12
	s_and_b32 s0, vcc_lo, s0
	s_delay_alu instid0(VALU_DEP_3) | instskip(NEXT) | instid1(VALU_DEP_1)
	v_lshlrev_b64 v[3:4], 3, v[3:4]
	v_add_co_u32 v10, s1, s4, v3
	s_delay_alu instid0(VALU_DEP_1)
	v_add_co_ci_u32_e64 v11, s1, s5, v4, s1
	s_and_saveexec_b32 s1, s0
	s_cbranch_execz .LBB333_12
; %bb.10:
	v_ashrrev_i32_e32 v1, 31, v0
	v_xor_b32_e32 v13, 0x80000000, v9
	v_xor_b32_e32 v14, 0x80000000, v8
	s_delay_alu instid0(VALU_DEP_3) | instskip(NEXT) | instid1(VALU_DEP_1)
	v_lshlrev_b64 v[3:4], 3, v[0:1]
	v_add_co_u32 v3, s0, v10, v3
	s_delay_alu instid0(VALU_DEP_1)
	v_add_co_ci_u32_e64 v4, s0, v11, v4, s0
	v_cmp_eq_u32_e64 s0, v12, v0
	global_store_b64 v[3:4], v[13:14], off
	s_and_b32 exec_lo, exec_lo, s0
	s_cbranch_execz .LBB333_12
; %bb.11:
	v_mov_b32_e32 v1, 0
	global_store_b32 v[3:4], v1, off offset:4
.LBB333_12:
	s_or_b32 exec_lo, exec_lo, s1
	v_cmp_le_i32_e64 s0, v2, v12
	s_delay_alu instid0(VALU_DEP_1) | instskip(NEXT) | instid1(SALU_CYCLE_1)
	s_and_b32 s0, vcc_lo, s0
	s_and_saveexec_b32 s1, s0
	s_cbranch_execz .LBB333_15
; %bb.13:
	v_ashrrev_i32_e32 v3, 31, v2
	v_xor_b32_e32 v4, 0x80000000, v6
	s_delay_alu instid0(VALU_DEP_2) | instskip(SKIP_1) | instid1(VALU_DEP_2)
	v_lshlrev_b64 v[1:2], 3, v[2:3]
	v_xor_b32_e32 v3, 0x80000000, v7
	v_add_co_u32 v1, vcc_lo, v10, v1
	s_delay_alu instid0(VALU_DEP_3)
	v_add_co_ci_u32_e32 v2, vcc_lo, v11, v2, vcc_lo
	v_cmp_eq_u32_e32 vcc_lo, v5, v0
	global_store_b64 v[1:2], v[3:4], off
	s_and_b32 exec_lo, exec_lo, vcc_lo
	s_cbranch_execz .LBB333_15
; %bb.14:
	v_mov_b32_e32 v0, 0
	global_store_b32 v[1:2], v0, off offset:4
.LBB333_15:
	s_nop 0
	s_sendmsg sendmsg(MSG_DEALLOC_VGPRS)
	s_endpgm
	.section	.rodata,"a",@progbits
	.p2align	6, 0x0
	.amdhsa_kernel _ZL37rocblas_syrkx_herkx_restricted_kernelIi19rocblas_complex_numIfELi16ELi32ELi8ELin1ELi0ELb1ELc78ELc85EKS1_S1_EviT_PT9_S3_lS5_S3_lPT10_S3_li
		.amdhsa_group_segment_fixed_size 4096
		.amdhsa_private_segment_fixed_size 0
		.amdhsa_kernarg_size 84
		.amdhsa_user_sgpr_count 13
		.amdhsa_user_sgpr_dispatch_ptr 0
		.amdhsa_user_sgpr_queue_ptr 0
		.amdhsa_user_sgpr_kernarg_segment_ptr 1
		.amdhsa_user_sgpr_dispatch_id 0
		.amdhsa_user_sgpr_private_segment_size 0
		.amdhsa_wavefront_size32 1
		.amdhsa_uses_dynamic_stack 0
		.amdhsa_enable_private_segment 0
		.amdhsa_system_sgpr_workgroup_id_x 1
		.amdhsa_system_sgpr_workgroup_id_y 1
		.amdhsa_system_sgpr_workgroup_id_z 1
		.amdhsa_system_sgpr_workgroup_info 0
		.amdhsa_system_vgpr_workitem_id 1
		.amdhsa_next_free_vgpr 92
		.amdhsa_next_free_sgpr 23
		.amdhsa_reserve_vcc 1
		.amdhsa_float_round_mode_32 0
		.amdhsa_float_round_mode_16_64 0
		.amdhsa_float_denorm_mode_32 3
		.amdhsa_float_denorm_mode_16_64 3
		.amdhsa_dx10_clamp 1
		.amdhsa_ieee_mode 1
		.amdhsa_fp16_overflow 0
		.amdhsa_workgroup_processor_mode 1
		.amdhsa_memory_ordered 1
		.amdhsa_forward_progress 0
		.amdhsa_shared_vgpr_count 0
		.amdhsa_exception_fp_ieee_invalid_op 0
		.amdhsa_exception_fp_denorm_src 0
		.amdhsa_exception_fp_ieee_div_zero 0
		.amdhsa_exception_fp_ieee_overflow 0
		.amdhsa_exception_fp_ieee_underflow 0
		.amdhsa_exception_fp_ieee_inexact 0
		.amdhsa_exception_int_div_zero 0
	.end_amdhsa_kernel
	.section	.text._ZL37rocblas_syrkx_herkx_restricted_kernelIi19rocblas_complex_numIfELi16ELi32ELi8ELin1ELi0ELb1ELc78ELc85EKS1_S1_EviT_PT9_S3_lS5_S3_lPT10_S3_li,"axG",@progbits,_ZL37rocblas_syrkx_herkx_restricted_kernelIi19rocblas_complex_numIfELi16ELi32ELi8ELin1ELi0ELb1ELc78ELc85EKS1_S1_EviT_PT9_S3_lS5_S3_lPT10_S3_li,comdat
.Lfunc_end333:
	.size	_ZL37rocblas_syrkx_herkx_restricted_kernelIi19rocblas_complex_numIfELi16ELi32ELi8ELin1ELi0ELb1ELc78ELc85EKS1_S1_EviT_PT9_S3_lS5_S3_lPT10_S3_li, .Lfunc_end333-_ZL37rocblas_syrkx_herkx_restricted_kernelIi19rocblas_complex_numIfELi16ELi32ELi8ELin1ELi0ELb1ELc78ELc85EKS1_S1_EviT_PT9_S3_lS5_S3_lPT10_S3_li
                                        ; -- End function
	.section	.AMDGPU.csdata,"",@progbits
; Kernel info:
; codeLenInByte = 2252
; NumSgprs: 25
; NumVgprs: 92
; ScratchSize: 0
; MemoryBound: 0
; FloatMode: 240
; IeeeMode: 1
; LDSByteSize: 4096 bytes/workgroup (compile time only)
; SGPRBlocks: 3
; VGPRBlocks: 11
; NumSGPRsForWavesPerEU: 25
; NumVGPRsForWavesPerEU: 92
; Occupancy: 16
; WaveLimiterHint : 0
; COMPUTE_PGM_RSRC2:SCRATCH_EN: 0
; COMPUTE_PGM_RSRC2:USER_SGPR: 13
; COMPUTE_PGM_RSRC2:TRAP_HANDLER: 0
; COMPUTE_PGM_RSRC2:TGID_X_EN: 1
; COMPUTE_PGM_RSRC2:TGID_Y_EN: 1
; COMPUTE_PGM_RSRC2:TGID_Z_EN: 1
; COMPUTE_PGM_RSRC2:TIDIG_COMP_CNT: 1
	.section	.text._ZL37rocblas_syrkx_herkx_restricted_kernelIi19rocblas_complex_numIfELi16ELi32ELi8ELb1ELb1ELc84ELc76EKS1_S1_EviT_T0_PT8_S3_lS6_S3_lS4_PT9_S3_li,"axG",@progbits,_ZL37rocblas_syrkx_herkx_restricted_kernelIi19rocblas_complex_numIfELi16ELi32ELi8ELb1ELb1ELc84ELc76EKS1_S1_EviT_T0_PT8_S3_lS6_S3_lS4_PT9_S3_li,comdat
	.globl	_ZL37rocblas_syrkx_herkx_restricted_kernelIi19rocblas_complex_numIfELi16ELi32ELi8ELb1ELb1ELc84ELc76EKS1_S1_EviT_T0_PT8_S3_lS6_S3_lS4_PT9_S3_li ; -- Begin function _ZL37rocblas_syrkx_herkx_restricted_kernelIi19rocblas_complex_numIfELi16ELi32ELi8ELb1ELb1ELc84ELc76EKS1_S1_EviT_T0_PT8_S3_lS6_S3_lS4_PT9_S3_li
	.p2align	8
	.type	_ZL37rocblas_syrkx_herkx_restricted_kernelIi19rocblas_complex_numIfELi16ELi32ELi8ELb1ELb1ELc84ELc76EKS1_S1_EviT_T0_PT8_S3_lS6_S3_lS4_PT9_S3_li,@function
_ZL37rocblas_syrkx_herkx_restricted_kernelIi19rocblas_complex_numIfELi16ELi32ELi8ELb1ELb1ELc84ELc76EKS1_S1_EviT_T0_PT8_S3_lS6_S3_lS4_PT9_S3_li: ; @_ZL37rocblas_syrkx_herkx_restricted_kernelIi19rocblas_complex_numIfELi16ELi32ELi8ELb1ELb1ELc84ELc76EKS1_S1_EviT_T0_PT8_S3_lS6_S3_lS4_PT9_S3_li
; %bb.0:
	s_clause 0x1
	s_load_b64 s[2:3], s[0:1], 0x0
	s_load_b128 s[4:7], s[0:1], 0x8
	v_dual_mov_b32 v15, 0 :: v_dual_and_b32 v6, 0x3ff, v0
	v_bfe_u32 v7, v0, 10, 10
	v_dual_mov_b32 v16, 0 :: v_dual_mov_b32 v11, 0
	v_dual_mov_b32 v10, 0 :: v_dual_mov_b32 v9, 0
	;; [unrolled: 1-line block ×3, first 2 shown]
	v_mov_b32_e32 v0, 0
	s_lshl_b32 s12, s13, 5
	s_lshl_b32 s13, s14, 5
	s_mov_b32 s14, 0
	s_waitcnt lgkmcnt(0)
	s_cmp_lt_i32 s3, 1
	s_cbranch_scc1 .LBB334_3
; %bb.1:
	s_clause 0x3
	s_load_b32 s18, s[0:1], 0x18
	s_load_b128 s[8:11], s[0:1], 0x20
	s_load_b32 s19, s[0:1], 0x30
	s_load_b64 s[16:17], s[0:1], 0x38
	v_lshl_add_u32 v2, v7, 4, v6
	v_dual_mov_b32 v1, 0 :: v_dual_and_b32 v0, 7, v6
	v_lshlrev_b32_e32 v12, 3, v6
	v_lshl_add_u32 v17, v7, 6, 0x800
	s_delay_alu instid0(VALU_DEP_4) | instskip(SKIP_3) | instid1(VALU_DEP_4)
	v_lshrrev_b32_e32 v4, 3, v2
	v_and_b32_e32 v5, 31, v2
	v_lshlrev_b32_e32 v3, 3, v0
	v_lshrrev_b32_e32 v2, 5, v2
	v_dual_mov_b32 v16, v1 :: v_dual_add_nc_u32 v11, s13, v4
	s_delay_alu instid0(VALU_DEP_4) | instskip(NEXT) | instid1(VALU_DEP_4)
	v_add_nc_u32_e32 v10, s12, v5
	v_lshl_or_b32 v9, v4, 6, v3
	v_dual_mov_b32 v3, v1 :: v_dual_lshlrev_b32 v8, 3, v5
	s_delay_alu instid0(VALU_DEP_2) | instskip(SKIP_1) | instid1(VALU_DEP_2)
	v_dual_mov_b32 v15, v1 :: v_dual_add_nc_u32 v14, 0x800, v9
	s_waitcnt lgkmcnt(0)
	v_mad_i64_i32 v[4:5], null, s18, v10, v[2:3]
	s_mul_i32 s9, s9, s15
	s_mul_hi_u32 s18, s8, s15
	v_mov_b32_e32 v9, v1
	v_lshl_or_b32 v13, v2, 8, v8
	v_mov_b32_e32 v10, v1
	v_mad_i64_i32 v[2:3], null, s19, v11, v[0:1]
	s_mul_i32 s8, s8, s15
	s_add_i32 s9, s18, s9
	v_lshlrev_b64 v[4:5], 3, v[4:5]
	s_lshl_b64 s[8:9], s[8:9], 3
	v_mov_b32_e32 v11, v1
	s_add_u32 s8, s6, s8
	s_mul_i32 s6, s17, s15
	s_mul_hi_u32 s17, s16, s15
	s_addc_u32 s9, s7, s9
	s_add_i32 s7, s17, s6
	s_mul_i32 s6, s16, s15
	v_lshlrev_b64 v[2:3], 3, v[2:3]
	s_lshl_b64 s[6:7], s[6:7], 3
	v_add_co_u32 v0, vcc_lo, s8, v4
	s_add_u32 s6, s10, s6
	v_add_co_ci_u32_e32 v4, vcc_lo, s9, v5, vcc_lo
	s_addc_u32 s7, s11, s7
	v_add_co_u32 v5, vcc_lo, s6, v2
	v_add_co_ci_u32_e32 v8, vcc_lo, s7, v3, vcc_lo
	v_add_co_u32 v2, vcc_lo, v0, 4
	v_add_co_ci_u32_e32 v3, vcc_lo, 0, v4, vcc_lo
	s_delay_alu instid0(VALU_DEP_4) | instskip(NEXT) | instid1(VALU_DEP_4)
	v_add_co_u32 v4, vcc_lo, v5, 4
	v_add_co_ci_u32_e32 v5, vcc_lo, 0, v8, vcc_lo
	v_mov_b32_e32 v0, v1
	v_mov_b32_e32 v8, v1
.LBB334_2:                              ; =>This Inner Loop Header: Depth=1
	global_load_b64 v[18:19], v[2:3], off offset:-4
	global_load_b64 v[20:21], v[4:5], off offset:-4
	v_add_co_u32 v2, vcc_lo, v2, 64
	v_add_co_ci_u32_e32 v3, vcc_lo, 0, v3, vcc_lo
	v_add_co_u32 v4, vcc_lo, v4, 64
	v_add_co_ci_u32_e32 v5, vcc_lo, 0, v5, vcc_lo
	s_add_i32 s14, s14, 8
	s_waitcnt vmcnt(1)
	ds_store_b64 v13, v[18:19]
	s_waitcnt vmcnt(0)
	ds_store_b64 v14, v[20:21]
	s_waitcnt lgkmcnt(0)
	s_barrier
	buffer_gl0_inv
	ds_load_2addr_b64 v[18:21], v12 offset1:16
	ds_load_b128 v[22:25], v17
	ds_load_b128 v[26:29], v17 offset:1024
	ds_load_b128 v[30:33], v17 offset:16
	ds_load_2addr_b64 v[34:37], v12 offset0:32 offset1:48
	ds_load_b128 v[38:41], v17 offset:32
	ds_load_b128 v[42:45], v17 offset:48
	ds_load_2addr_b64 v[46:49], v12 offset0:64 offset1:80
	ds_load_b128 v[50:53], v17 offset:1040
	ds_load_2addr_b64 v[54:57], v12 offset0:96 offset1:112
	ds_load_2addr_b64 v[58:61], v12 offset0:128 offset1:144
	;; [unrolled: 1-line block ×4, first 2 shown]
	ds_load_b128 v[70:73], v17 offset:1056
	ds_load_b128 v[74:77], v17 offset:1072
	ds_load_2addr_b64 v[78:81], v12 offset0:224 offset1:240
	s_cmp_ge_i32 s14, s3
	s_waitcnt lgkmcnt(0)
	s_barrier
	buffer_gl0_inv
	v_dual_mul_f32 v82, v23, v19 :: v_dual_mul_f32 v85, v22, v21
	v_dual_mul_f32 v83, v22, v19 :: v_dual_mul_f32 v84, v23, v21
	v_mul_f32_e32 v86, v27, v19
	v_dual_mul_f32 v19, v26, v19 :: v_dual_mul_f32 v90, v25, v37
	v_dual_mul_f32 v87, v27, v21 :: v_dual_mul_f32 v88, v25, v35
	v_mul_f32_e32 v21, v26, v21
	v_fma_f32 v82, v22, v18, -v82
	v_fmac_f32_e32 v83, v23, v18
	v_fma_f32 v22, v22, v20, -v84
	v_fmac_f32_e32 v85, v23, v20
	v_fma_f32 v23, v26, v18, -v86
	v_dual_fmac_f32 v19, v27, v18 :: v_dual_mul_f32 v86, v30, v47
	v_fma_f32 v18, v26, v20, -v87
	v_dual_fmac_f32 v21, v27, v20 :: v_dual_mul_f32 v20, v24, v37
	v_mul_f32_e32 v89, v24, v35
	v_mul_f32_e32 v26, v29, v35
	;; [unrolled: 1-line block ×4, first 2 shown]
	v_fmac_f32_e32 v20, v25, v36
	v_fmac_f32_e32 v89, v25, v34
	v_dual_mul_f32 v25, v28, v37 :: v_dual_fmac_f32 v86, v31, v46
	v_fma_f32 v84, v24, v34, -v88
	v_fma_f32 v24, v24, v36, -v90
	v_dual_mul_f32 v37, v31, v47 :: v_dual_mul_f32 v90, v33, v57
	v_fma_f32 v26, v28, v34, -v26
	v_fma_f32 v28, v28, v36, -v35
	v_fmac_f32_e32 v25, v29, v36
	v_dual_mul_f32 v35, v50, v47 :: v_dual_mul_f32 v36, v51, v49
	v_dual_fmac_f32 v27, v29, v34 :: v_dual_mul_f32 v34, v51, v47
	v_dual_mul_f32 v88, v32, v55 :: v_dual_mul_f32 v29, v30, v49
	v_mul_f32_e32 v87, v31, v49
	v_fma_f32 v37, v30, v46, -v37
	v_add_f32_e32 v16, v16, v83
	s_delay_alu instid0(VALU_DEP_4)
	v_dual_fmac_f32 v88, v33, v54 :: v_dual_fmac_f32 v29, v31, v48
	v_fma_f32 v31, v50, v46, -v34
	v_fma_f32 v34, v50, v48, -v36
	v_mul_f32_e32 v36, v32, v57
	v_mul_f32_e32 v47, v50, v49
	v_dual_mul_f32 v50, v53, v57 :: v_dual_fmac_f32 v35, v51, v46
	v_mul_f32_e32 v46, v53, v55
	v_mul_f32_e32 v49, v33, v55
	v_fma_f32 v30, v30, v48, -v87
	v_fmac_f32_e32 v36, v33, v56
	v_dual_fmac_f32 v47, v51, v48 :: v_dual_mul_f32 v48, v52, v55
	v_mul_f32_e32 v33, v52, v57
	v_fma_f32 v46, v52, v54, -v46
	v_fma_f32 v50, v52, v56, -v50
	v_mul_f32_e32 v52, v38, v61
	v_fma_f32 v49, v32, v54, -v49
	v_fma_f32 v32, v32, v56, -v90
	v_dual_mul_f32 v51, v39, v59 :: v_dual_fmac_f32 v48, v53, v54
	v_mul_f32_e32 v54, v70, v59
	v_dual_mul_f32 v55, v38, v59 :: v_dual_fmac_f32 v52, v39, v60
	v_fmac_f32_e32 v33, v53, v56
	v_mul_f32_e32 v53, v71, v59
	v_mul_f32_e32 v56, v71, v61
	;; [unrolled: 1-line block ×3, first 2 shown]
	v_fmac_f32_e32 v54, v71, v58
	v_fmac_f32_e32 v55, v39, v58
	v_fma_f32 v39, v70, v58, -v53
	v_fma_f32 v53, v70, v60, -v56
	v_mul_f32_e32 v56, v40, v65
	v_mul_f32_e32 v59, v70, v61
	v_fma_f32 v51, v38, v58, -v51
	v_mul_f32_e32 v58, v72, v63
	v_mul_f32_e32 v87, v40, v63
	;; [unrolled: 1-line block ×4, first 2 shown]
	v_fma_f32 v38, v38, v60, -v57
	v_mul_f32_e32 v57, v73, v63
	v_fmac_f32_e32 v56, v41, v64
	v_dual_fmac_f32 v59, v71, v60 :: v_dual_mul_f32 v60, v73, v65
	v_mul_f32_e32 v63, v43, v67
	v_mul_f32_e32 v70, v43, v69
	v_fmac_f32_e32 v58, v73, v62
	v_fmac_f32_e32 v87, v41, v62
	v_mul_f32_e32 v41, v72, v65
	v_fma_f32 v61, v40, v62, -v61
	v_fma_f32 v40, v40, v64, -v90
	v_mul_f32_e32 v65, v42, v67
	v_fma_f32 v57, v72, v62, -v57
	v_fma_f32 v60, v72, v64, -v60
	v_dual_fmac_f32 v41, v73, v64 :: v_dual_mul_f32 v62, v42, v69
	v_mul_f32_e32 v64, v75, v67
	v_fma_f32 v63, v42, v66, -v63
	v_fma_f32 v42, v42, v68, -v70
	v_mul_f32_e32 v70, v76, v79
	v_mul_f32_e32 v67, v74, v67
	;; [unrolled: 1-line block ×3, first 2 shown]
	v_dual_mul_f32 v69, v74, v69 :: v_dual_add_f32 v8, v8, v23
	v_dual_mul_f32 v73, v44, v79 :: v_dual_add_f32 v10, v10, v22
	v_dual_fmac_f32 v65, v43, v66 :: v_dual_add_f32 v16, v16, v89
	v_fmac_f32_e32 v62, v43, v68
	v_fma_f32 v43, v74, v66, -v64
	v_fmac_f32_e32 v70, v77, v78
	v_dual_fmac_f32 v67, v75, v66 :: v_dual_add_f32 v10, v10, v24
	v_mul_f32_e32 v66, v44, v81
	v_mul_f32_e32 v72, v45, v79
	v_dual_mul_f32 v90, v45, v81 :: v_dual_fmac_f32 v69, v75, v68
	v_add_f32_e32 v0, v0, v18
	v_fmac_f32_e32 v73, v45, v78
	v_dual_fmac_f32 v66, v45, v80 :: v_dual_mul_f32 v45, v76, v81
	v_add_f32_e32 v10, v10, v30
	v_fma_f32 v64, v74, v68, -v71
	v_dual_mul_f32 v71, v77, v81 :: v_dual_add_f32 v8, v8, v26
	s_delay_alu instid0(VALU_DEP_4) | instskip(SKIP_4) | instid1(VALU_DEP_4)
	v_dual_fmac_f32 v45, v77, v80 :: v_dual_add_f32 v16, v16, v86
	v_add_f32_e32 v15, v15, v82
	v_add_f32_e32 v9, v9, v19
	v_dual_add_f32 v1, v1, v21 :: v_dual_add_f32 v10, v10, v32
	v_dual_add_f32 v0, v0, v28 :: v_dual_add_f32 v11, v11, v85
	;; [unrolled: 1-line block ×3, first 2 shown]
	s_delay_alu instid0(VALU_DEP_4) | instskip(NEXT) | instid1(VALU_DEP_4)
	v_dual_add_f32 v16, v16, v88 :: v_dual_add_f32 v9, v9, v27
	v_dual_add_f32 v10, v10, v38 :: v_dual_add_f32 v1, v1, v25
	s_delay_alu instid0(VALU_DEP_4) | instskip(NEXT) | instid1(VALU_DEP_3)
	v_add_f32_e32 v0, v0, v34
	v_dual_add_f32 v16, v16, v55 :: v_dual_add_f32 v11, v11, v20
	v_dual_add_f32 v8, v8, v46 :: v_dual_add_f32 v15, v15, v37
	s_delay_alu instid0(VALU_DEP_4) | instskip(NEXT) | instid1(VALU_DEP_3)
	v_dual_add_f32 v1, v1, v47 :: v_dual_add_f32 v10, v10, v40
	v_dual_add_f32 v0, v0, v50 :: v_dual_add_f32 v11, v11, v29
	s_delay_alu instid0(VALU_DEP_4) | instskip(SKIP_1) | instid1(VALU_DEP_4)
	v_add_f32_e32 v16, v16, v87
	v_add_f32_e32 v9, v9, v35
	v_dual_add_f32 v1, v1, v33 :: v_dual_add_f32 v10, v10, v42
	s_delay_alu instid0(VALU_DEP_4)
	v_dual_add_f32 v8, v8, v39 :: v_dual_add_f32 v11, v11, v36
	v_add_f32_e32 v0, v0, v53
	v_add_f32_e32 v15, v15, v49
	v_dual_add_f32 v9, v9, v48 :: v_dual_add_f32 v16, v16, v65
	v_mul_f32_e32 v68, v77, v79
	v_fma_f32 v72, v44, v78, -v72
	v_fma_f32 v44, v44, v80, -v90
	s_delay_alu instid0(VALU_DEP_4) | instskip(SKIP_1) | instid1(VALU_DEP_3)
	v_dual_add_f32 v9, v9, v54 :: v_dual_add_f32 v16, v16, v73
	v_dual_add_f32 v1, v1, v59 :: v_dual_add_f32 v8, v8, v57
	v_add_f32_e32 v10, v10, v44
	v_add_f32_e32 v11, v11, v52
	v_dual_add_f32 v0, v0, v60 :: v_dual_add_f32 v15, v15, v51
	v_fma_f32 v68, v76, v78, -v68
	v_fma_f32 v71, v76, v80, -v71
	s_delay_alu instid0(VALU_DEP_3) | instskip(SKIP_2) | instid1(VALU_DEP_3)
	v_dual_add_f32 v9, v9, v58 :: v_dual_add_f32 v0, v0, v64
	v_dual_add_f32 v1, v1, v41 :: v_dual_add_f32 v8, v8, v43
	v_add_f32_e32 v15, v15, v61
	v_dual_add_f32 v11, v11, v56 :: v_dual_add_f32 v0, v0, v71
	s_delay_alu instid0(VALU_DEP_4) | instskip(NEXT) | instid1(VALU_DEP_4)
	v_add_f32_e32 v9, v9, v67
	v_dual_add_f32 v1, v1, v69 :: v_dual_add_f32 v8, v8, v68
	s_delay_alu instid0(VALU_DEP_4) | instskip(NEXT) | instid1(VALU_DEP_4)
	v_add_f32_e32 v15, v15, v63
	v_add_f32_e32 v11, v11, v62
	s_delay_alu instid0(VALU_DEP_4) | instskip(NEXT) | instid1(VALU_DEP_4)
	v_add_f32_e32 v9, v9, v70
	v_add_f32_e32 v1, v1, v45
	s_delay_alu instid0(VALU_DEP_4) | instskip(NEXT) | instid1(VALU_DEP_4)
	v_add_f32_e32 v15, v15, v72
	v_add_f32_e32 v11, v11, v66
	s_cbranch_scc0 .LBB334_2
.LBB334_3:
	s_clause 0x2
	s_load_b32 s3, s[0:1], 0x50
	s_load_b64 s[6:7], s[0:1], 0x58
	s_load_b64 s[8:9], s[0:1], 0x48
	v_add_nc_u32_e32 v7, s13, v7
	v_add_nc_u32_e32 v2, s12, v6
	s_delay_alu instid0(VALU_DEP_1)
	v_cmp_le_i32_e64 s0, v7, v2
	v_cmp_gt_i32_e32 vcc_lo, s2, v2
	s_waitcnt lgkmcnt(0)
	v_mad_i64_i32 v[3:4], null, v7, s3, 0
	s_mul_i32 s1, s15, s7
	s_mul_hi_u32 s7, s15, s6
	s_mul_i32 s6, s15, s6
	s_add_i32 s7, s7, s1
	s_delay_alu instid0(SALU_CYCLE_1) | instskip(NEXT) | instid1(VALU_DEP_1)
	s_lshl_b64 s[6:7], s[6:7], 3
	v_lshlrev_b64 v[3:4], 3, v[3:4]
	s_add_u32 s6, s8, s6
	s_addc_u32 s7, s9, s7
	s_and_b32 s0, s0, vcc_lo
	s_delay_alu instid0(VALU_DEP_1) | instskip(NEXT) | instid1(VALU_DEP_1)
	v_add_co_u32 v6, s1, s6, v3
	v_add_co_ci_u32_e64 v12, s1, s7, v4, s1
	s_and_saveexec_b32 s1, s0
	s_cbranch_execz .LBB334_6
; %bb.4:
	v_ashrrev_i32_e32 v3, 31, v2
	v_mul_f32_e32 v14, s4, v16
	v_mul_f32_e32 v5, s5, v16
	s_delay_alu instid0(VALU_DEP_3) | instskip(NEXT) | instid1(VALU_DEP_3)
	v_lshlrev_b64 v[3:4], 3, v[2:3]
	v_fmac_f32_e32 v14, s5, v15
	s_delay_alu instid0(VALU_DEP_3) | instskip(NEXT) | instid1(VALU_DEP_3)
	v_fma_f32 v13, v15, s4, -v5
	v_add_co_u32 v3, s0, v6, v3
	s_delay_alu instid0(VALU_DEP_1)
	v_add_co_ci_u32_e64 v4, s0, v12, v4, s0
	v_cmp_eq_u32_e64 s0, v7, v2
	global_store_b64 v[3:4], v[13:14], off
	s_and_b32 exec_lo, exec_lo, s0
	s_cbranch_execz .LBB334_6
; %bb.5:
	v_mov_b32_e32 v5, 0
	global_store_b32 v[3:4], v5, off offset:4
.LBB334_6:
	s_or_b32 exec_lo, exec_lo, s1
	v_add_nc_u32_e32 v4, 16, v2
	s_delay_alu instid0(VALU_DEP_1) | instskip(SKIP_1) | instid1(VALU_DEP_1)
	v_cmp_le_i32_e64 s1, v7, v4
	v_cmp_gt_i32_e64 s0, s2, v4
	s_and_b32 s1, s1, s0
	s_delay_alu instid0(SALU_CYCLE_1)
	s_and_saveexec_b32 s2, s1
	s_cbranch_execz .LBB334_9
; %bb.7:
	v_ashrrev_i32_e32 v5, 31, v4
	v_mul_f32_e32 v14, s4, v11
	v_mul_f32_e32 v3, s5, v11
	s_delay_alu instid0(VALU_DEP_3) | instskip(NEXT) | instid1(VALU_DEP_3)
	v_lshlrev_b64 v[15:16], 3, v[4:5]
	v_fmac_f32_e32 v14, s5, v10
	s_delay_alu instid0(VALU_DEP_3) | instskip(NEXT) | instid1(VALU_DEP_3)
	v_fma_f32 v13, v10, s4, -v3
	v_add_co_u32 v5, s1, v6, v15
	s_delay_alu instid0(VALU_DEP_1)
	v_add_co_ci_u32_e64 v6, s1, v12, v16, s1
	v_cmp_eq_u32_e64 s1, v7, v4
	global_store_b64 v[5:6], v[13:14], off
	s_and_b32 exec_lo, exec_lo, s1
	s_cbranch_execz .LBB334_9
; %bb.8:
	v_mov_b32_e32 v3, 0
	global_store_b32 v[5:6], v3, off offset:4
.LBB334_9:
	s_or_b32 exec_lo, exec_lo, s2
	v_add_nc_u32_e32 v12, 16, v7
	s_delay_alu instid0(VALU_DEP_1) | instskip(SKIP_1) | instid1(VALU_DEP_2)
	v_mad_i64_i32 v[5:6], null, v12, s3, 0
	v_cmp_le_i32_e64 s1, v12, v2
	v_lshlrev_b64 v[5:6], 3, v[5:6]
	s_delay_alu instid0(VALU_DEP_1) | instskip(NEXT) | instid1(VALU_DEP_1)
	v_add_co_u32 v10, s2, s6, v5
	v_add_co_ci_u32_e64 v11, s2, s7, v6, s2
	s_delay_alu instid0(VALU_DEP_4) | instskip(NEXT) | instid1(SALU_CYCLE_1)
	s_and_b32 s2, s1, vcc_lo
	s_and_saveexec_b32 s1, s2
	s_cbranch_execz .LBB334_12
; %bb.10:
	v_ashrrev_i32_e32 v3, 31, v2
	v_mul_f32_e32 v14, s4, v9
	v_mul_f32_e32 v13, s5, v9
	s_delay_alu instid0(VALU_DEP_3) | instskip(NEXT) | instid1(VALU_DEP_3)
	v_lshlrev_b64 v[5:6], 3, v[2:3]
	v_fmac_f32_e32 v14, s5, v8
	s_delay_alu instid0(VALU_DEP_3) | instskip(NEXT) | instid1(VALU_DEP_3)
	v_fma_f32 v13, v8, s4, -v13
	v_add_co_u32 v5, vcc_lo, v10, v5
	s_delay_alu instid0(VALU_DEP_4)
	v_add_co_ci_u32_e32 v6, vcc_lo, v11, v6, vcc_lo
	v_cmp_eq_u32_e32 vcc_lo, v12, v2
	global_store_b64 v[5:6], v[13:14], off
	s_and_b32 exec_lo, exec_lo, vcc_lo
	s_cbranch_execz .LBB334_12
; %bb.11:
	v_mov_b32_e32 v3, 0
	global_store_b32 v[5:6], v3, off offset:4
.LBB334_12:
	s_or_b32 exec_lo, exec_lo, s1
	v_cmp_le_i32_e32 vcc_lo, v12, v4
	s_and_b32 s0, vcc_lo, s0
	s_delay_alu instid0(SALU_CYCLE_1)
	s_and_saveexec_b32 s1, s0
	s_cbranch_execz .LBB334_15
; %bb.13:
	v_ashrrev_i32_e32 v5, 31, v4
	v_mul_f32_e32 v8, s5, v1
	v_mul_f32_e32 v6, s4, v1
	s_delay_alu instid0(VALU_DEP_3) | instskip(NEXT) | instid1(VALU_DEP_3)
	v_lshlrev_b64 v[3:4], 3, v[4:5]
	v_fma_f32 v5, v0, s4, -v8
	s_delay_alu instid0(VALU_DEP_3) | instskip(NEXT) | instid1(VALU_DEP_3)
	v_fmac_f32_e32 v6, s5, v0
	v_add_co_u32 v0, vcc_lo, v10, v3
	s_delay_alu instid0(VALU_DEP_4)
	v_add_co_ci_u32_e32 v1, vcc_lo, v11, v4, vcc_lo
	v_cmp_eq_u32_e32 vcc_lo, v7, v2
	global_store_b64 v[0:1], v[5:6], off
	s_and_b32 exec_lo, exec_lo, vcc_lo
	s_cbranch_execz .LBB334_15
; %bb.14:
	v_mov_b32_e32 v2, 0
	global_store_b32 v[0:1], v2, off offset:4
.LBB334_15:
	s_nop 0
	s_sendmsg sendmsg(MSG_DEALLOC_VGPRS)
	s_endpgm
	.section	.rodata,"a",@progbits
	.p2align	6, 0x0
	.amdhsa_kernel _ZL37rocblas_syrkx_herkx_restricted_kernelIi19rocblas_complex_numIfELi16ELi32ELi8ELb1ELb1ELc84ELc76EKS1_S1_EviT_T0_PT8_S3_lS6_S3_lS4_PT9_S3_li
		.amdhsa_group_segment_fixed_size 4096
		.amdhsa_private_segment_fixed_size 0
		.amdhsa_kernarg_size 100
		.amdhsa_user_sgpr_count 13
		.amdhsa_user_sgpr_dispatch_ptr 0
		.amdhsa_user_sgpr_queue_ptr 0
		.amdhsa_user_sgpr_kernarg_segment_ptr 1
		.amdhsa_user_sgpr_dispatch_id 0
		.amdhsa_user_sgpr_private_segment_size 0
		.amdhsa_wavefront_size32 1
		.amdhsa_uses_dynamic_stack 0
		.amdhsa_enable_private_segment 0
		.amdhsa_system_sgpr_workgroup_id_x 1
		.amdhsa_system_sgpr_workgroup_id_y 1
		.amdhsa_system_sgpr_workgroup_id_z 1
		.amdhsa_system_sgpr_workgroup_info 0
		.amdhsa_system_vgpr_workitem_id 1
		.amdhsa_next_free_vgpr 91
		.amdhsa_next_free_sgpr 20
		.amdhsa_reserve_vcc 1
		.amdhsa_float_round_mode_32 0
		.amdhsa_float_round_mode_16_64 0
		.amdhsa_float_denorm_mode_32 3
		.amdhsa_float_denorm_mode_16_64 3
		.amdhsa_dx10_clamp 1
		.amdhsa_ieee_mode 1
		.amdhsa_fp16_overflow 0
		.amdhsa_workgroup_processor_mode 1
		.amdhsa_memory_ordered 1
		.amdhsa_forward_progress 0
		.amdhsa_shared_vgpr_count 0
		.amdhsa_exception_fp_ieee_invalid_op 0
		.amdhsa_exception_fp_denorm_src 0
		.amdhsa_exception_fp_ieee_div_zero 0
		.amdhsa_exception_fp_ieee_overflow 0
		.amdhsa_exception_fp_ieee_underflow 0
		.amdhsa_exception_fp_ieee_inexact 0
		.amdhsa_exception_int_div_zero 0
	.end_amdhsa_kernel
	.section	.text._ZL37rocblas_syrkx_herkx_restricted_kernelIi19rocblas_complex_numIfELi16ELi32ELi8ELb1ELb1ELc84ELc76EKS1_S1_EviT_T0_PT8_S3_lS6_S3_lS4_PT9_S3_li,"axG",@progbits,_ZL37rocblas_syrkx_herkx_restricted_kernelIi19rocblas_complex_numIfELi16ELi32ELi8ELb1ELb1ELc84ELc76EKS1_S1_EviT_T0_PT8_S3_lS6_S3_lS4_PT9_S3_li,comdat
.Lfunc_end334:
	.size	_ZL37rocblas_syrkx_herkx_restricted_kernelIi19rocblas_complex_numIfELi16ELi32ELi8ELb1ELb1ELc84ELc76EKS1_S1_EviT_T0_PT8_S3_lS6_S3_lS4_PT9_S3_li, .Lfunc_end334-_ZL37rocblas_syrkx_herkx_restricted_kernelIi19rocblas_complex_numIfELi16ELi32ELi8ELb1ELb1ELc84ELc76EKS1_S1_EviT_T0_PT8_S3_lS6_S3_lS4_PT9_S3_li
                                        ; -- End function
	.section	.AMDGPU.csdata,"",@progbits
; Kernel info:
; codeLenInByte = 2240
; NumSgprs: 22
; NumVgprs: 91
; ScratchSize: 0
; MemoryBound: 0
; FloatMode: 240
; IeeeMode: 1
; LDSByteSize: 4096 bytes/workgroup (compile time only)
; SGPRBlocks: 2
; VGPRBlocks: 11
; NumSGPRsForWavesPerEU: 22
; NumVGPRsForWavesPerEU: 91
; Occupancy: 16
; WaveLimiterHint : 0
; COMPUTE_PGM_RSRC2:SCRATCH_EN: 0
; COMPUTE_PGM_RSRC2:USER_SGPR: 13
; COMPUTE_PGM_RSRC2:TRAP_HANDLER: 0
; COMPUTE_PGM_RSRC2:TGID_X_EN: 1
; COMPUTE_PGM_RSRC2:TGID_Y_EN: 1
; COMPUTE_PGM_RSRC2:TGID_Z_EN: 1
; COMPUTE_PGM_RSRC2:TIDIG_COMP_CNT: 1
	.section	.text._ZL37rocblas_syrkx_herkx_restricted_kernelIi19rocblas_complex_numIfELi16ELi32ELi8ELb1ELb1ELc67ELc76EKS1_S1_EviT_T0_PT8_S3_lS6_S3_lS4_PT9_S3_li,"axG",@progbits,_ZL37rocblas_syrkx_herkx_restricted_kernelIi19rocblas_complex_numIfELi16ELi32ELi8ELb1ELb1ELc67ELc76EKS1_S1_EviT_T0_PT8_S3_lS6_S3_lS4_PT9_S3_li,comdat
	.globl	_ZL37rocblas_syrkx_herkx_restricted_kernelIi19rocblas_complex_numIfELi16ELi32ELi8ELb1ELb1ELc67ELc76EKS1_S1_EviT_T0_PT8_S3_lS6_S3_lS4_PT9_S3_li ; -- Begin function _ZL37rocblas_syrkx_herkx_restricted_kernelIi19rocblas_complex_numIfELi16ELi32ELi8ELb1ELb1ELc67ELc76EKS1_S1_EviT_T0_PT8_S3_lS6_S3_lS4_PT9_S3_li
	.p2align	8
	.type	_ZL37rocblas_syrkx_herkx_restricted_kernelIi19rocblas_complex_numIfELi16ELi32ELi8ELb1ELb1ELc67ELc76EKS1_S1_EviT_T0_PT8_S3_lS6_S3_lS4_PT9_S3_li,@function
_ZL37rocblas_syrkx_herkx_restricted_kernelIi19rocblas_complex_numIfELi16ELi32ELi8ELb1ELb1ELc67ELc76EKS1_S1_EviT_T0_PT8_S3_lS6_S3_lS4_PT9_S3_li: ; @_ZL37rocblas_syrkx_herkx_restricted_kernelIi19rocblas_complex_numIfELi16ELi32ELi8ELb1ELb1ELc67ELc76EKS1_S1_EviT_T0_PT8_S3_lS6_S3_lS4_PT9_S3_li
; %bb.0:
	s_clause 0x1
	s_load_b64 s[2:3], s[0:1], 0x0
	s_load_b128 s[4:7], s[0:1], 0x8
	v_dual_mov_b32 v15, 0 :: v_dual_and_b32 v6, 0x3ff, v0
	v_bfe_u32 v7, v0, 10, 10
	v_dual_mov_b32 v16, 0 :: v_dual_mov_b32 v11, 0
	v_dual_mov_b32 v10, 0 :: v_dual_mov_b32 v9, 0
	;; [unrolled: 1-line block ×3, first 2 shown]
	v_mov_b32_e32 v0, 0
	s_lshl_b32 s12, s13, 5
	s_lshl_b32 s13, s14, 5
	s_mov_b32 s14, 0
	s_waitcnt lgkmcnt(0)
	s_cmp_lt_i32 s3, 1
	s_cbranch_scc1 .LBB335_3
; %bb.1:
	s_clause 0x3
	s_load_b32 s18, s[0:1], 0x18
	s_load_b128 s[8:11], s[0:1], 0x20
	s_load_b32 s19, s[0:1], 0x30
	s_load_b64 s[16:17], s[0:1], 0x38
	v_lshl_add_u32 v2, v7, 4, v6
	v_dual_mov_b32 v1, 0 :: v_dual_and_b32 v0, 7, v6
	v_lshlrev_b32_e32 v12, 3, v6
	v_lshl_add_u32 v17, v7, 6, 0x800
	s_delay_alu instid0(VALU_DEP_4) | instskip(SKIP_3) | instid1(VALU_DEP_4)
	v_lshrrev_b32_e32 v4, 3, v2
	v_and_b32_e32 v5, 31, v2
	v_lshlrev_b32_e32 v3, 3, v0
	v_lshrrev_b32_e32 v2, 5, v2
	v_dual_mov_b32 v16, v1 :: v_dual_add_nc_u32 v11, s13, v4
	s_delay_alu instid0(VALU_DEP_4) | instskip(NEXT) | instid1(VALU_DEP_4)
	v_add_nc_u32_e32 v10, s12, v5
	v_lshl_or_b32 v9, v4, 6, v3
	v_dual_mov_b32 v3, v1 :: v_dual_lshlrev_b32 v8, 3, v5
	s_delay_alu instid0(VALU_DEP_2) | instskip(SKIP_1) | instid1(VALU_DEP_2)
	v_dual_mov_b32 v15, v1 :: v_dual_add_nc_u32 v14, 0x800, v9
	s_waitcnt lgkmcnt(0)
	v_mad_i64_i32 v[4:5], null, s18, v10, v[2:3]
	s_mul_i32 s9, s9, s15
	s_mul_hi_u32 s18, s8, s15
	v_mov_b32_e32 v9, v1
	v_lshl_or_b32 v13, v2, 8, v8
	v_mov_b32_e32 v10, v1
	v_mad_i64_i32 v[2:3], null, s19, v11, v[0:1]
	s_mul_i32 s8, s8, s15
	s_add_i32 s9, s18, s9
	v_lshlrev_b64 v[4:5], 3, v[4:5]
	s_lshl_b64 s[8:9], s[8:9], 3
	v_mov_b32_e32 v11, v1
	s_add_u32 s8, s6, s8
	s_mul_i32 s6, s17, s15
	s_mul_hi_u32 s17, s16, s15
	s_addc_u32 s9, s7, s9
	s_add_i32 s7, s17, s6
	s_mul_i32 s6, s16, s15
	v_lshlrev_b64 v[2:3], 3, v[2:3]
	s_lshl_b64 s[6:7], s[6:7], 3
	v_add_co_u32 v0, vcc_lo, s8, v4
	s_add_u32 s6, s10, s6
	v_add_co_ci_u32_e32 v4, vcc_lo, s9, v5, vcc_lo
	s_addc_u32 s7, s11, s7
	v_add_co_u32 v5, vcc_lo, s6, v2
	v_add_co_ci_u32_e32 v8, vcc_lo, s7, v3, vcc_lo
	v_add_co_u32 v2, vcc_lo, v0, 4
	v_add_co_ci_u32_e32 v3, vcc_lo, 0, v4, vcc_lo
	s_delay_alu instid0(VALU_DEP_4) | instskip(NEXT) | instid1(VALU_DEP_4)
	v_add_co_u32 v4, vcc_lo, v5, 4
	v_add_co_ci_u32_e32 v5, vcc_lo, 0, v8, vcc_lo
	v_mov_b32_e32 v0, v1
	v_mov_b32_e32 v8, v1
.LBB335_2:                              ; =>This Inner Loop Header: Depth=1
	global_load_b64 v[18:19], v[2:3], off offset:-4
	global_load_b64 v[20:21], v[4:5], off offset:-4
	v_add_co_u32 v2, vcc_lo, v2, 64
	v_add_co_ci_u32_e32 v3, vcc_lo, 0, v3, vcc_lo
	v_add_co_u32 v4, vcc_lo, v4, 64
	v_add_co_ci_u32_e32 v5, vcc_lo, 0, v5, vcc_lo
	s_add_i32 s14, s14, 8
	s_delay_alu instid0(SALU_CYCLE_1)
	s_cmp_ge_i32 s14, s3
	s_waitcnt vmcnt(1)
	v_xor_b32_e32 v19, 0x80000000, v19
	ds_store_b64 v13, v[18:19]
	s_waitcnt vmcnt(0)
	ds_store_b64 v14, v[20:21]
	s_waitcnt lgkmcnt(0)
	s_barrier
	buffer_gl0_inv
	ds_load_2addr_b64 v[18:21], v12 offset1:16
	ds_load_b128 v[22:25], v17
	ds_load_b128 v[26:29], v17 offset:1024
	ds_load_b128 v[30:33], v17 offset:16
	ds_load_2addr_b64 v[34:37], v12 offset0:32 offset1:48
	ds_load_b128 v[38:41], v17 offset:32
	ds_load_b128 v[42:45], v17 offset:48
	ds_load_2addr_b64 v[46:49], v12 offset0:64 offset1:80
	ds_load_b128 v[50:53], v17 offset:1040
	ds_load_2addr_b64 v[54:57], v12 offset0:96 offset1:112
	ds_load_2addr_b64 v[58:61], v12 offset0:128 offset1:144
	;; [unrolled: 1-line block ×4, first 2 shown]
	ds_load_b128 v[70:73], v17 offset:1056
	ds_load_b128 v[74:77], v17 offset:1072
	ds_load_2addr_b64 v[78:81], v12 offset0:224 offset1:240
	s_waitcnt lgkmcnt(0)
	s_barrier
	buffer_gl0_inv
	v_dual_mul_f32 v82, v23, v19 :: v_dual_mul_f32 v85, v22, v21
	v_dual_mul_f32 v83, v22, v19 :: v_dual_mul_f32 v84, v23, v21
	v_mul_f32_e32 v86, v27, v19
	v_dual_mul_f32 v19, v26, v19 :: v_dual_mul_f32 v90, v25, v37
	v_dual_mul_f32 v87, v27, v21 :: v_dual_mul_f32 v88, v25, v35
	v_mul_f32_e32 v21, v26, v21
	v_fma_f32 v82, v22, v18, -v82
	v_fmac_f32_e32 v83, v23, v18
	v_fma_f32 v22, v22, v20, -v84
	v_fmac_f32_e32 v85, v23, v20
	v_fma_f32 v23, v26, v18, -v86
	v_dual_fmac_f32 v19, v27, v18 :: v_dual_mul_f32 v86, v30, v47
	v_fma_f32 v18, v26, v20, -v87
	v_dual_fmac_f32 v21, v27, v20 :: v_dual_mul_f32 v20, v24, v37
	v_mul_f32_e32 v89, v24, v35
	v_mul_f32_e32 v26, v29, v35
	;; [unrolled: 1-line block ×4, first 2 shown]
	v_fmac_f32_e32 v20, v25, v36
	v_fmac_f32_e32 v89, v25, v34
	v_dual_mul_f32 v25, v28, v37 :: v_dual_fmac_f32 v86, v31, v46
	v_fma_f32 v84, v24, v34, -v88
	v_fma_f32 v24, v24, v36, -v90
	v_dual_mul_f32 v37, v31, v47 :: v_dual_mul_f32 v90, v33, v57
	v_fma_f32 v26, v28, v34, -v26
	v_fma_f32 v28, v28, v36, -v35
	v_fmac_f32_e32 v25, v29, v36
	v_dual_mul_f32 v35, v50, v47 :: v_dual_mul_f32 v36, v51, v49
	v_dual_fmac_f32 v27, v29, v34 :: v_dual_mul_f32 v34, v51, v47
	v_dual_mul_f32 v88, v32, v55 :: v_dual_mul_f32 v29, v30, v49
	v_mul_f32_e32 v87, v31, v49
	v_fma_f32 v37, v30, v46, -v37
	v_add_f32_e32 v16, v16, v83
	s_delay_alu instid0(VALU_DEP_4)
	v_dual_fmac_f32 v88, v33, v54 :: v_dual_fmac_f32 v29, v31, v48
	v_fma_f32 v31, v50, v46, -v34
	v_fma_f32 v34, v50, v48, -v36
	v_mul_f32_e32 v36, v32, v57
	v_mul_f32_e32 v47, v50, v49
	v_dual_mul_f32 v50, v53, v57 :: v_dual_fmac_f32 v35, v51, v46
	v_mul_f32_e32 v46, v53, v55
	v_mul_f32_e32 v49, v33, v55
	v_fma_f32 v30, v30, v48, -v87
	v_fmac_f32_e32 v36, v33, v56
	v_dual_fmac_f32 v47, v51, v48 :: v_dual_mul_f32 v48, v52, v55
	v_mul_f32_e32 v33, v52, v57
	v_fma_f32 v46, v52, v54, -v46
	v_fma_f32 v50, v52, v56, -v50
	v_mul_f32_e32 v52, v38, v61
	v_fma_f32 v49, v32, v54, -v49
	v_fma_f32 v32, v32, v56, -v90
	v_dual_mul_f32 v51, v39, v59 :: v_dual_fmac_f32 v48, v53, v54
	v_mul_f32_e32 v54, v70, v59
	v_dual_mul_f32 v55, v38, v59 :: v_dual_fmac_f32 v52, v39, v60
	v_fmac_f32_e32 v33, v53, v56
	v_mul_f32_e32 v53, v71, v59
	v_mul_f32_e32 v56, v71, v61
	;; [unrolled: 1-line block ×3, first 2 shown]
	v_fmac_f32_e32 v54, v71, v58
	v_fmac_f32_e32 v55, v39, v58
	v_fma_f32 v39, v70, v58, -v53
	v_fma_f32 v53, v70, v60, -v56
	v_mul_f32_e32 v56, v40, v65
	v_mul_f32_e32 v59, v70, v61
	v_fma_f32 v51, v38, v58, -v51
	v_mul_f32_e32 v58, v72, v63
	v_mul_f32_e32 v87, v40, v63
	;; [unrolled: 1-line block ×4, first 2 shown]
	v_fma_f32 v38, v38, v60, -v57
	v_mul_f32_e32 v57, v73, v63
	v_fmac_f32_e32 v56, v41, v64
	v_dual_fmac_f32 v59, v71, v60 :: v_dual_mul_f32 v60, v73, v65
	v_mul_f32_e32 v63, v43, v67
	v_mul_f32_e32 v70, v43, v69
	v_fmac_f32_e32 v58, v73, v62
	v_fmac_f32_e32 v87, v41, v62
	v_mul_f32_e32 v41, v72, v65
	v_fma_f32 v61, v40, v62, -v61
	v_fma_f32 v40, v40, v64, -v90
	v_mul_f32_e32 v65, v42, v67
	v_fma_f32 v57, v72, v62, -v57
	v_fma_f32 v60, v72, v64, -v60
	v_dual_fmac_f32 v41, v73, v64 :: v_dual_mul_f32 v62, v42, v69
	v_mul_f32_e32 v64, v75, v67
	v_fma_f32 v63, v42, v66, -v63
	v_fma_f32 v42, v42, v68, -v70
	v_mul_f32_e32 v70, v76, v79
	v_mul_f32_e32 v67, v74, v67
	;; [unrolled: 1-line block ×3, first 2 shown]
	v_dual_mul_f32 v69, v74, v69 :: v_dual_add_f32 v8, v8, v23
	v_dual_mul_f32 v73, v44, v79 :: v_dual_add_f32 v10, v10, v22
	v_dual_fmac_f32 v65, v43, v66 :: v_dual_add_f32 v16, v16, v89
	v_fmac_f32_e32 v62, v43, v68
	v_fma_f32 v43, v74, v66, -v64
	v_fmac_f32_e32 v70, v77, v78
	v_dual_fmac_f32 v67, v75, v66 :: v_dual_add_f32 v10, v10, v24
	v_mul_f32_e32 v66, v44, v81
	v_mul_f32_e32 v72, v45, v79
	v_dual_mul_f32 v90, v45, v81 :: v_dual_fmac_f32 v69, v75, v68
	v_add_f32_e32 v0, v0, v18
	v_fmac_f32_e32 v73, v45, v78
	v_dual_fmac_f32 v66, v45, v80 :: v_dual_mul_f32 v45, v76, v81
	v_add_f32_e32 v10, v10, v30
	v_fma_f32 v64, v74, v68, -v71
	v_dual_mul_f32 v71, v77, v81 :: v_dual_add_f32 v8, v8, v26
	s_delay_alu instid0(VALU_DEP_4) | instskip(SKIP_4) | instid1(VALU_DEP_4)
	v_dual_fmac_f32 v45, v77, v80 :: v_dual_add_f32 v16, v16, v86
	v_add_f32_e32 v15, v15, v82
	v_add_f32_e32 v9, v9, v19
	v_dual_add_f32 v1, v1, v21 :: v_dual_add_f32 v10, v10, v32
	v_dual_add_f32 v0, v0, v28 :: v_dual_add_f32 v11, v11, v85
	v_dual_add_f32 v8, v8, v31 :: v_dual_add_f32 v15, v15, v84
	s_delay_alu instid0(VALU_DEP_4) | instskip(NEXT) | instid1(VALU_DEP_4)
	v_dual_add_f32 v16, v16, v88 :: v_dual_add_f32 v9, v9, v27
	v_dual_add_f32 v10, v10, v38 :: v_dual_add_f32 v1, v1, v25
	s_delay_alu instid0(VALU_DEP_4) | instskip(NEXT) | instid1(VALU_DEP_3)
	v_add_f32_e32 v0, v0, v34
	v_dual_add_f32 v16, v16, v55 :: v_dual_add_f32 v11, v11, v20
	v_dual_add_f32 v8, v8, v46 :: v_dual_add_f32 v15, v15, v37
	s_delay_alu instid0(VALU_DEP_4) | instskip(NEXT) | instid1(VALU_DEP_3)
	v_dual_add_f32 v1, v1, v47 :: v_dual_add_f32 v10, v10, v40
	v_dual_add_f32 v0, v0, v50 :: v_dual_add_f32 v11, v11, v29
	s_delay_alu instid0(VALU_DEP_4) | instskip(SKIP_1) | instid1(VALU_DEP_4)
	v_add_f32_e32 v16, v16, v87
	v_add_f32_e32 v9, v9, v35
	v_dual_add_f32 v1, v1, v33 :: v_dual_add_f32 v10, v10, v42
	s_delay_alu instid0(VALU_DEP_4)
	v_dual_add_f32 v8, v8, v39 :: v_dual_add_f32 v11, v11, v36
	v_add_f32_e32 v0, v0, v53
	v_add_f32_e32 v15, v15, v49
	v_dual_add_f32 v9, v9, v48 :: v_dual_add_f32 v16, v16, v65
	v_mul_f32_e32 v68, v77, v79
	v_fma_f32 v72, v44, v78, -v72
	v_fma_f32 v44, v44, v80, -v90
	s_delay_alu instid0(VALU_DEP_4) | instskip(SKIP_1) | instid1(VALU_DEP_3)
	v_dual_add_f32 v9, v9, v54 :: v_dual_add_f32 v16, v16, v73
	v_dual_add_f32 v1, v1, v59 :: v_dual_add_f32 v8, v8, v57
	v_add_f32_e32 v10, v10, v44
	v_add_f32_e32 v11, v11, v52
	v_dual_add_f32 v0, v0, v60 :: v_dual_add_f32 v15, v15, v51
	v_fma_f32 v68, v76, v78, -v68
	v_fma_f32 v71, v76, v80, -v71
	s_delay_alu instid0(VALU_DEP_3) | instskip(SKIP_2) | instid1(VALU_DEP_3)
	v_dual_add_f32 v9, v9, v58 :: v_dual_add_f32 v0, v0, v64
	v_dual_add_f32 v1, v1, v41 :: v_dual_add_f32 v8, v8, v43
	v_add_f32_e32 v15, v15, v61
	v_dual_add_f32 v11, v11, v56 :: v_dual_add_f32 v0, v0, v71
	s_delay_alu instid0(VALU_DEP_4) | instskip(NEXT) | instid1(VALU_DEP_4)
	v_add_f32_e32 v9, v9, v67
	v_dual_add_f32 v1, v1, v69 :: v_dual_add_f32 v8, v8, v68
	s_delay_alu instid0(VALU_DEP_4) | instskip(NEXT) | instid1(VALU_DEP_4)
	v_add_f32_e32 v15, v15, v63
	v_add_f32_e32 v11, v11, v62
	s_delay_alu instid0(VALU_DEP_4) | instskip(NEXT) | instid1(VALU_DEP_4)
	v_add_f32_e32 v9, v9, v70
	v_add_f32_e32 v1, v1, v45
	;; [unrolled: 3-line block ×3, first 2 shown]
	s_cbranch_scc0 .LBB335_2
.LBB335_3:
	s_clause 0x2
	s_load_b32 s3, s[0:1], 0x50
	s_load_b64 s[6:7], s[0:1], 0x58
	s_load_b64 s[8:9], s[0:1], 0x48
	v_add_nc_u32_e32 v7, s13, v7
	v_add_nc_u32_e32 v2, s12, v6
	s_delay_alu instid0(VALU_DEP_1)
	v_cmp_le_i32_e64 s0, v7, v2
	v_cmp_gt_i32_e32 vcc_lo, s2, v2
	s_waitcnt lgkmcnt(0)
	v_mad_i64_i32 v[3:4], null, v7, s3, 0
	s_mul_i32 s1, s15, s7
	s_mul_hi_u32 s7, s15, s6
	s_mul_i32 s6, s15, s6
	s_add_i32 s7, s7, s1
	s_delay_alu instid0(SALU_CYCLE_1) | instskip(NEXT) | instid1(VALU_DEP_1)
	s_lshl_b64 s[6:7], s[6:7], 3
	v_lshlrev_b64 v[3:4], 3, v[3:4]
	s_add_u32 s6, s8, s6
	s_addc_u32 s7, s9, s7
	s_and_b32 s0, s0, vcc_lo
	s_delay_alu instid0(VALU_DEP_1) | instskip(NEXT) | instid1(VALU_DEP_1)
	v_add_co_u32 v6, s1, s6, v3
	v_add_co_ci_u32_e64 v12, s1, s7, v4, s1
	s_and_saveexec_b32 s1, s0
	s_cbranch_execz .LBB335_6
; %bb.4:
	v_ashrrev_i32_e32 v3, 31, v2
	v_mul_f32_e32 v14, s4, v16
	v_mul_f32_e32 v5, s5, v16
	s_delay_alu instid0(VALU_DEP_3) | instskip(NEXT) | instid1(VALU_DEP_3)
	v_lshlrev_b64 v[3:4], 3, v[2:3]
	v_fmac_f32_e32 v14, s5, v15
	s_delay_alu instid0(VALU_DEP_3) | instskip(NEXT) | instid1(VALU_DEP_3)
	v_fma_f32 v13, v15, s4, -v5
	v_add_co_u32 v3, s0, v6, v3
	s_delay_alu instid0(VALU_DEP_1)
	v_add_co_ci_u32_e64 v4, s0, v12, v4, s0
	v_cmp_eq_u32_e64 s0, v7, v2
	global_store_b64 v[3:4], v[13:14], off
	s_and_b32 exec_lo, exec_lo, s0
	s_cbranch_execz .LBB335_6
; %bb.5:
	v_mov_b32_e32 v5, 0
	global_store_b32 v[3:4], v5, off offset:4
.LBB335_6:
	s_or_b32 exec_lo, exec_lo, s1
	v_add_nc_u32_e32 v4, 16, v2
	s_delay_alu instid0(VALU_DEP_1) | instskip(SKIP_1) | instid1(VALU_DEP_1)
	v_cmp_le_i32_e64 s1, v7, v4
	v_cmp_gt_i32_e64 s0, s2, v4
	s_and_b32 s1, s1, s0
	s_delay_alu instid0(SALU_CYCLE_1)
	s_and_saveexec_b32 s2, s1
	s_cbranch_execz .LBB335_9
; %bb.7:
	v_ashrrev_i32_e32 v5, 31, v4
	v_mul_f32_e32 v14, s4, v11
	v_mul_f32_e32 v3, s5, v11
	s_delay_alu instid0(VALU_DEP_3) | instskip(NEXT) | instid1(VALU_DEP_3)
	v_lshlrev_b64 v[15:16], 3, v[4:5]
	v_fmac_f32_e32 v14, s5, v10
	s_delay_alu instid0(VALU_DEP_3) | instskip(NEXT) | instid1(VALU_DEP_3)
	v_fma_f32 v13, v10, s4, -v3
	v_add_co_u32 v5, s1, v6, v15
	s_delay_alu instid0(VALU_DEP_1)
	v_add_co_ci_u32_e64 v6, s1, v12, v16, s1
	v_cmp_eq_u32_e64 s1, v7, v4
	global_store_b64 v[5:6], v[13:14], off
	s_and_b32 exec_lo, exec_lo, s1
	s_cbranch_execz .LBB335_9
; %bb.8:
	v_mov_b32_e32 v3, 0
	global_store_b32 v[5:6], v3, off offset:4
.LBB335_9:
	s_or_b32 exec_lo, exec_lo, s2
	v_add_nc_u32_e32 v12, 16, v7
	s_delay_alu instid0(VALU_DEP_1) | instskip(SKIP_1) | instid1(VALU_DEP_2)
	v_mad_i64_i32 v[5:6], null, v12, s3, 0
	v_cmp_le_i32_e64 s1, v12, v2
	v_lshlrev_b64 v[5:6], 3, v[5:6]
	s_delay_alu instid0(VALU_DEP_1) | instskip(NEXT) | instid1(VALU_DEP_1)
	v_add_co_u32 v10, s2, s6, v5
	v_add_co_ci_u32_e64 v11, s2, s7, v6, s2
	s_delay_alu instid0(VALU_DEP_4) | instskip(NEXT) | instid1(SALU_CYCLE_1)
	s_and_b32 s2, s1, vcc_lo
	s_and_saveexec_b32 s1, s2
	s_cbranch_execz .LBB335_12
; %bb.10:
	v_ashrrev_i32_e32 v3, 31, v2
	v_mul_f32_e32 v14, s4, v9
	v_mul_f32_e32 v13, s5, v9
	s_delay_alu instid0(VALU_DEP_3) | instskip(NEXT) | instid1(VALU_DEP_3)
	v_lshlrev_b64 v[5:6], 3, v[2:3]
	v_fmac_f32_e32 v14, s5, v8
	s_delay_alu instid0(VALU_DEP_3) | instskip(NEXT) | instid1(VALU_DEP_3)
	v_fma_f32 v13, v8, s4, -v13
	v_add_co_u32 v5, vcc_lo, v10, v5
	s_delay_alu instid0(VALU_DEP_4)
	v_add_co_ci_u32_e32 v6, vcc_lo, v11, v6, vcc_lo
	v_cmp_eq_u32_e32 vcc_lo, v12, v2
	global_store_b64 v[5:6], v[13:14], off
	s_and_b32 exec_lo, exec_lo, vcc_lo
	s_cbranch_execz .LBB335_12
; %bb.11:
	v_mov_b32_e32 v3, 0
	global_store_b32 v[5:6], v3, off offset:4
.LBB335_12:
	s_or_b32 exec_lo, exec_lo, s1
	v_cmp_le_i32_e32 vcc_lo, v12, v4
	s_and_b32 s0, vcc_lo, s0
	s_delay_alu instid0(SALU_CYCLE_1)
	s_and_saveexec_b32 s1, s0
	s_cbranch_execz .LBB335_15
; %bb.13:
	v_ashrrev_i32_e32 v5, 31, v4
	v_mul_f32_e32 v8, s5, v1
	v_mul_f32_e32 v6, s4, v1
	s_delay_alu instid0(VALU_DEP_3) | instskip(NEXT) | instid1(VALU_DEP_3)
	v_lshlrev_b64 v[3:4], 3, v[4:5]
	v_fma_f32 v5, v0, s4, -v8
	s_delay_alu instid0(VALU_DEP_3) | instskip(NEXT) | instid1(VALU_DEP_3)
	v_fmac_f32_e32 v6, s5, v0
	v_add_co_u32 v0, vcc_lo, v10, v3
	s_delay_alu instid0(VALU_DEP_4)
	v_add_co_ci_u32_e32 v1, vcc_lo, v11, v4, vcc_lo
	v_cmp_eq_u32_e32 vcc_lo, v7, v2
	global_store_b64 v[0:1], v[5:6], off
	s_and_b32 exec_lo, exec_lo, vcc_lo
	s_cbranch_execz .LBB335_15
; %bb.14:
	v_mov_b32_e32 v2, 0
	global_store_b32 v[0:1], v2, off offset:4
.LBB335_15:
	s_nop 0
	s_sendmsg sendmsg(MSG_DEALLOC_VGPRS)
	s_endpgm
	.section	.rodata,"a",@progbits
	.p2align	6, 0x0
	.amdhsa_kernel _ZL37rocblas_syrkx_herkx_restricted_kernelIi19rocblas_complex_numIfELi16ELi32ELi8ELb1ELb1ELc67ELc76EKS1_S1_EviT_T0_PT8_S3_lS6_S3_lS4_PT9_S3_li
		.amdhsa_group_segment_fixed_size 4096
		.amdhsa_private_segment_fixed_size 0
		.amdhsa_kernarg_size 100
		.amdhsa_user_sgpr_count 13
		.amdhsa_user_sgpr_dispatch_ptr 0
		.amdhsa_user_sgpr_queue_ptr 0
		.amdhsa_user_sgpr_kernarg_segment_ptr 1
		.amdhsa_user_sgpr_dispatch_id 0
		.amdhsa_user_sgpr_private_segment_size 0
		.amdhsa_wavefront_size32 1
		.amdhsa_uses_dynamic_stack 0
		.amdhsa_enable_private_segment 0
		.amdhsa_system_sgpr_workgroup_id_x 1
		.amdhsa_system_sgpr_workgroup_id_y 1
		.amdhsa_system_sgpr_workgroup_id_z 1
		.amdhsa_system_sgpr_workgroup_info 0
		.amdhsa_system_vgpr_workitem_id 1
		.amdhsa_next_free_vgpr 91
		.amdhsa_next_free_sgpr 20
		.amdhsa_reserve_vcc 1
		.amdhsa_float_round_mode_32 0
		.amdhsa_float_round_mode_16_64 0
		.amdhsa_float_denorm_mode_32 3
		.amdhsa_float_denorm_mode_16_64 3
		.amdhsa_dx10_clamp 1
		.amdhsa_ieee_mode 1
		.amdhsa_fp16_overflow 0
		.amdhsa_workgroup_processor_mode 1
		.amdhsa_memory_ordered 1
		.amdhsa_forward_progress 0
		.amdhsa_shared_vgpr_count 0
		.amdhsa_exception_fp_ieee_invalid_op 0
		.amdhsa_exception_fp_denorm_src 0
		.amdhsa_exception_fp_ieee_div_zero 0
		.amdhsa_exception_fp_ieee_overflow 0
		.amdhsa_exception_fp_ieee_underflow 0
		.amdhsa_exception_fp_ieee_inexact 0
		.amdhsa_exception_int_div_zero 0
	.end_amdhsa_kernel
	.section	.text._ZL37rocblas_syrkx_herkx_restricted_kernelIi19rocblas_complex_numIfELi16ELi32ELi8ELb1ELb1ELc67ELc76EKS1_S1_EviT_T0_PT8_S3_lS6_S3_lS4_PT9_S3_li,"axG",@progbits,_ZL37rocblas_syrkx_herkx_restricted_kernelIi19rocblas_complex_numIfELi16ELi32ELi8ELb1ELb1ELc67ELc76EKS1_S1_EviT_T0_PT8_S3_lS6_S3_lS4_PT9_S3_li,comdat
.Lfunc_end335:
	.size	_ZL37rocblas_syrkx_herkx_restricted_kernelIi19rocblas_complex_numIfELi16ELi32ELi8ELb1ELb1ELc67ELc76EKS1_S1_EviT_T0_PT8_S3_lS6_S3_lS4_PT9_S3_li, .Lfunc_end335-_ZL37rocblas_syrkx_herkx_restricted_kernelIi19rocblas_complex_numIfELi16ELi32ELi8ELb1ELb1ELc67ELc76EKS1_S1_EviT_T0_PT8_S3_lS6_S3_lS4_PT9_S3_li
                                        ; -- End function
	.section	.AMDGPU.csdata,"",@progbits
; Kernel info:
; codeLenInByte = 2252
; NumSgprs: 22
; NumVgprs: 91
; ScratchSize: 0
; MemoryBound: 0
; FloatMode: 240
; IeeeMode: 1
; LDSByteSize: 4096 bytes/workgroup (compile time only)
; SGPRBlocks: 2
; VGPRBlocks: 11
; NumSGPRsForWavesPerEU: 22
; NumVGPRsForWavesPerEU: 91
; Occupancy: 16
; WaveLimiterHint : 0
; COMPUTE_PGM_RSRC2:SCRATCH_EN: 0
; COMPUTE_PGM_RSRC2:USER_SGPR: 13
; COMPUTE_PGM_RSRC2:TRAP_HANDLER: 0
; COMPUTE_PGM_RSRC2:TGID_X_EN: 1
; COMPUTE_PGM_RSRC2:TGID_Y_EN: 1
; COMPUTE_PGM_RSRC2:TGID_Z_EN: 1
; COMPUTE_PGM_RSRC2:TIDIG_COMP_CNT: 1
	.section	.text._ZL37rocblas_syrkx_herkx_restricted_kernelIi19rocblas_complex_numIfELi16ELi32ELi8ELb1ELb1ELc78ELc76EKS1_S1_EviT_T0_PT8_S3_lS6_S3_lS4_PT9_S3_li,"axG",@progbits,_ZL37rocblas_syrkx_herkx_restricted_kernelIi19rocblas_complex_numIfELi16ELi32ELi8ELb1ELb1ELc78ELc76EKS1_S1_EviT_T0_PT8_S3_lS6_S3_lS4_PT9_S3_li,comdat
	.globl	_ZL37rocblas_syrkx_herkx_restricted_kernelIi19rocblas_complex_numIfELi16ELi32ELi8ELb1ELb1ELc78ELc76EKS1_S1_EviT_T0_PT8_S3_lS6_S3_lS4_PT9_S3_li ; -- Begin function _ZL37rocblas_syrkx_herkx_restricted_kernelIi19rocblas_complex_numIfELi16ELi32ELi8ELb1ELb1ELc78ELc76EKS1_S1_EviT_T0_PT8_S3_lS6_S3_lS4_PT9_S3_li
	.p2align	8
	.type	_ZL37rocblas_syrkx_herkx_restricted_kernelIi19rocblas_complex_numIfELi16ELi32ELi8ELb1ELb1ELc78ELc76EKS1_S1_EviT_T0_PT8_S3_lS6_S3_lS4_PT9_S3_li,@function
_ZL37rocblas_syrkx_herkx_restricted_kernelIi19rocblas_complex_numIfELi16ELi32ELi8ELb1ELb1ELc78ELc76EKS1_S1_EviT_T0_PT8_S3_lS6_S3_lS4_PT9_S3_li: ; @_ZL37rocblas_syrkx_herkx_restricted_kernelIi19rocblas_complex_numIfELi16ELi32ELi8ELb1ELb1ELc78ELc76EKS1_S1_EviT_T0_PT8_S3_lS6_S3_lS4_PT9_S3_li
; %bb.0:
	s_clause 0x1
	s_load_b64 s[2:3], s[0:1], 0x0
	s_load_b128 s[4:7], s[0:1], 0x8
	v_dual_mov_b32 v17, 0 :: v_dual_and_b32 v4, 0x3ff, v0
	v_bfe_u32 v7, v0, 10, 10
	v_dual_mov_b32 v16, 0 :: v_dual_mov_b32 v11, 0
	v_dual_mov_b32 v10, 0 :: v_dual_mov_b32 v9, 0
	;; [unrolled: 1-line block ×3, first 2 shown]
	v_mov_b32_e32 v6, 0
	s_lshl_b32 s12, s13, 5
	s_lshl_b32 s13, s14, 5
	s_mov_b32 s14, 0
	s_waitcnt lgkmcnt(0)
	s_cmp_lt_i32 s3, 1
	s_cbranch_scc1 .LBB336_3
; %bb.1:
	s_clause 0x1
	s_load_b32 s16, s[0:1], 0x18
	s_load_b32 s18, s[0:1], 0x30
	v_lshl_add_u32 v0, v7, 4, v4
	v_and_b32_e32 v8, 7, v4
	s_clause 0x1
	s_load_b128 s[8:11], s[0:1], 0x20
	s_load_b64 s[20:21], s[0:1], 0x38
	v_lshlrev_b32_e32 v14, 3, v4
	v_lshrrev_b32_e32 v1, 3, v0
	v_and_b32_e32 v2, 31, v0
	v_lshrrev_b32_e32 v9, 5, v0
	v_lshlrev_b32_e32 v3, 3, v8
	s_delay_alu instid0(VALU_DEP_4) | instskip(NEXT) | instid1(VALU_DEP_4)
	v_dual_mov_b32 v11, 0 :: v_dual_add_nc_u32 v0, s13, v1
	v_lshlrev_b32_e32 v5, 3, v2
	v_dual_mov_b32 v17, 0 :: v_dual_add_nc_u32 v2, s12, v2
	s_delay_alu instid0(VALU_DEP_4) | instskip(NEXT) | instid1(VALU_DEP_4)
	v_lshl_or_b32 v10, v1, 6, v3
	v_ashrrev_i32_e32 v1, 31, v0
	s_delay_alu instid0(VALU_DEP_4) | instskip(NEXT) | instid1(VALU_DEP_4)
	v_lshl_or_b32 v12, v9, 8, v5
	v_ashrrev_i32_e32 v3, 31, v2
	s_waitcnt lgkmcnt(0)
	s_ashr_i32 s17, s16, 31
	s_ashr_i32 s19, s18, 31
	v_mad_i64_i32 v[5:6], null, s18, v8, v[0:1]
	v_mad_i64_i32 v[0:1], null, s16, v9, v[2:3]
	s_mul_i32 s9, s9, s15
	s_mul_hi_u32 s22, s8, s15
	s_mul_i32 s8, s8, s15
	s_add_i32 s9, s22, s9
	v_dual_mov_b32 v10, 0 :: v_dual_add_nc_u32 v13, 0x800, v10
	s_delay_alu instid0(VALU_DEP_2)
	v_lshlrev_b64 v[0:1], 3, v[0:1]
	s_lshl_b64 s[8:9], s[8:9], 3
	v_lshl_add_u32 v15, v7, 6, 0x800
	s_add_u32 s6, s6, s8
	s_addc_u32 s7, s7, s9
	s_mul_i32 s8, s21, s15
	s_mul_hi_u32 s9, s20, s15
	v_add_co_u32 v2, vcc_lo, s6, v0
	v_add_co_ci_u32_e32 v3, vcc_lo, s7, v1, vcc_lo
	s_add_i32 s7, s9, s8
	s_mul_i32 s6, s20, s15
	v_lshlrev_b64 v[0:1], 3, v[5:6]
	s_lshl_b64 s[8:9], s[6:7], 3
	s_lshl_b64 s[6:7], s[16:17], 6
	s_add_u32 s8, s10, s8
	s_addc_u32 s9, s11, s9
	v_mov_b32_e32 v9, 0
	v_add_co_u32 v5, vcc_lo, s8, v0
	v_add_co_ci_u32_e32 v6, vcc_lo, s9, v1, vcc_lo
	v_add_co_u32 v0, vcc_lo, v2, 4
	v_add_co_ci_u32_e32 v1, vcc_lo, 0, v3, vcc_lo
	s_delay_alu instid0(VALU_DEP_4) | instskip(NEXT) | instid1(VALU_DEP_4)
	v_add_co_u32 v2, vcc_lo, v5, 4
	v_add_co_ci_u32_e32 v3, vcc_lo, 0, v6, vcc_lo
	v_dual_mov_b32 v6, 0 :: v_dual_mov_b32 v5, 0
	v_mov_b32_e32 v8, 0
	v_mov_b32_e32 v16, 0
	s_lshl_b64 s[8:9], s[18:19], 6
.LBB336_2:                              ; =>This Inner Loop Header: Depth=1
	global_load_b64 v[18:19], v[2:3], off offset:-4
	global_load_b64 v[20:21], v[0:1], off offset:-4
	v_add_co_u32 v0, vcc_lo, v0, s6
	v_add_co_ci_u32_e32 v1, vcc_lo, s7, v1, vcc_lo
	v_add_co_u32 v2, vcc_lo, v2, s8
	v_add_co_ci_u32_e32 v3, vcc_lo, s9, v3, vcc_lo
	s_add_i32 s14, s14, 8
	s_delay_alu instid0(SALU_CYCLE_1)
	s_cmp_ge_i32 s14, s3
	s_waitcnt vmcnt(1)
	v_xor_b32_e32 v19, 0x80000000, v19
	s_waitcnt vmcnt(0)
	ds_store_b64 v12, v[20:21]
	ds_store_b64 v13, v[18:19]
	s_waitcnt lgkmcnt(0)
	s_barrier
	buffer_gl0_inv
	ds_load_2addr_b64 v[18:21], v14 offset1:16
	ds_load_b128 v[22:25], v15
	ds_load_b128 v[26:29], v15 offset:1024
	ds_load_b128 v[30:33], v15 offset:16
	ds_load_2addr_b64 v[34:37], v14 offset0:32 offset1:48
	ds_load_b128 v[38:41], v15 offset:32
	ds_load_b128 v[42:45], v15 offset:48
	ds_load_2addr_b64 v[46:49], v14 offset0:64 offset1:80
	ds_load_b128 v[50:53], v15 offset:1040
	ds_load_2addr_b64 v[54:57], v14 offset0:96 offset1:112
	ds_load_2addr_b64 v[58:61], v14 offset0:128 offset1:144
	;; [unrolled: 1-line block ×4, first 2 shown]
	ds_load_b128 v[70:73], v15 offset:1056
	ds_load_b128 v[74:77], v15 offset:1072
	ds_load_2addr_b64 v[78:81], v14 offset0:224 offset1:240
	s_waitcnt lgkmcnt(0)
	s_barrier
	buffer_gl0_inv
	v_dual_mul_f32 v82, v23, v19 :: v_dual_mul_f32 v85, v22, v21
	v_dual_mul_f32 v83, v22, v19 :: v_dual_mul_f32 v84, v23, v21
	v_mul_f32_e32 v86, v27, v19
	v_dual_mul_f32 v19, v26, v19 :: v_dual_mul_f32 v90, v25, v37
	v_dual_mul_f32 v87, v27, v21 :: v_dual_mul_f32 v88, v25, v35
	v_mul_f32_e32 v21, v26, v21
	v_mul_f32_e32 v89, v24, v35
	;; [unrolled: 1-line block ×3, first 2 shown]
	v_fma_f32 v82, v22, v18, -v82
	v_fmac_f32_e32 v83, v23, v18
	v_fma_f32 v22, v22, v20, -v84
	v_dual_fmac_f32 v85, v23, v20 :: v_dual_mul_f32 v84, v30, v47
	v_fma_f32 v23, v26, v18, -v86
	v_fmac_f32_e32 v19, v27, v18
	v_fma_f32 v18, v26, v20, -v87
	v_dual_mul_f32 v26, v28, v35 :: v_dual_fmac_f32 v21, v27, v20
	v_mul_f32_e32 v20, v29, v35
	v_mul_f32_e32 v27, v29, v37
	v_dual_mul_f32 v35, v28, v37 :: v_dual_fmac_f32 v84, v31, v46
	v_fma_f32 v37, v24, v34, -v88
	v_fma_f32 v24, v24, v36, -v90
	v_dual_fmac_f32 v91, v25, v36 :: v_dual_mul_f32 v90, v32, v57
	v_dual_mul_f32 v86, v31, v49 :: v_dual_fmac_f32 v89, v25, v34
	v_dual_mul_f32 v25, v31, v47 :: v_dual_mul_f32 v88, v33, v57
	v_fma_f32 v20, v28, v34, -v20
	v_fmac_f32_e32 v26, v29, v34
	v_fma_f32 v27, v28, v36, -v27
	v_dual_fmac_f32 v35, v29, v36 :: v_dual_mul_f32 v28, v51, v47
	v_dual_mul_f32 v29, v50, v47 :: v_dual_mul_f32 v34, v51, v49
	v_mul_f32_e32 v36, v50, v49
	v_mul_f32_e32 v87, v30, v49
	;; [unrolled: 1-line block ×3, first 2 shown]
	v_dual_mul_f32 v49, v32, v55 :: v_dual_fmac_f32 v90, v33, v56
	v_fma_f32 v25, v30, v46, -v25
	v_fma_f32 v30, v30, v48, -v86
	;; [unrolled: 1-line block ×3, first 2 shown]
	v_fmac_f32_e32 v36, v51, v48
	v_fmac_f32_e32 v87, v31, v48
	v_fma_f32 v31, v50, v48, -v34
	v_mul_f32_e32 v34, v53, v55
	v_mul_f32_e32 v48, v53, v57
	v_dual_mul_f32 v50, v52, v57 :: v_dual_fmac_f32 v29, v51, v46
	v_mul_f32_e32 v46, v52, v55
	v_fma_f32 v47, v32, v54, -v47
	v_fmac_f32_e32 v49, v33, v54
	v_fma_f32 v32, v32, v56, -v88
	s_delay_alu instid0(VALU_DEP_4)
	v_dual_mul_f32 v33, v39, v59 :: v_dual_fmac_f32 v46, v53, v54
	v_mul_f32_e32 v51, v38, v59
	v_mul_f32_e32 v55, v39, v61
	v_fma_f32 v34, v52, v54, -v34
	v_fma_f32 v48, v52, v56, -v48
	v_fmac_f32_e32 v50, v53, v56
	v_mul_f32_e32 v52, v71, v59
	v_dual_mul_f32 v53, v70, v59 :: v_dual_mul_f32 v86, v41, v65
	v_mul_f32_e32 v54, v71, v61
	v_dual_mul_f32 v56, v70, v61 :: v_dual_mul_f32 v59, v41, v63
	v_mul_f32_e32 v57, v38, v61
	v_mul_f32_e32 v61, v40, v63
	v_dual_mul_f32 v88, v40, v65 :: v_dual_fmac_f32 v51, v39, v58
	v_fma_f32 v33, v38, v58, -v33
	v_fmac_f32_e32 v53, v71, v58
	v_fmac_f32_e32 v56, v71, v60
	s_delay_alu instid0(VALU_DEP_4)
	v_fmac_f32_e32 v88, v41, v64
	v_fmac_f32_e32 v57, v39, v60
	v_fma_f32 v39, v70, v58, -v52
	v_fma_f32 v52, v70, v60, -v54
	v_mul_f32_e32 v54, v73, v63
	v_fma_f32 v38, v38, v60, -v55
	v_mul_f32_e32 v60, v72, v65
	v_dual_mul_f32 v55, v72, v63 :: v_dual_mul_f32 v70, v42, v69
	v_mul_f32_e32 v58, v73, v65
	v_fma_f32 v59, v40, v62, -v59
	v_fmac_f32_e32 v61, v41, v62
	v_fma_f32 v40, v40, v64, -v86
	v_dual_mul_f32 v41, v43, v67 :: v_dual_fmac_f32 v60, v73, v64
	v_dual_mul_f32 v63, v42, v67 :: v_dual_mul_f32 v86, v44, v81
	v_mul_f32_e32 v65, v43, v69
	v_fma_f32 v54, v72, v62, -v54
	v_fmac_f32_e32 v55, v73, v62
	v_fma_f32 v58, v72, v64, -v58
	v_mul_f32_e32 v72, v44, v79
	v_mul_f32_e32 v62, v75, v67
	v_dual_mul_f32 v64, v74, v67 :: v_dual_mul_f32 v67, v75, v69
	v_dual_mul_f32 v69, v74, v69 :: v_dual_fmac_f32 v70, v43, v68
	s_delay_alu instid0(VALU_DEP_2)
	v_dual_mul_f32 v71, v45, v79 :: v_dual_fmac_f32 v64, v75, v66
	v_dual_mul_f32 v73, v45, v81 :: v_dual_add_f32 v16, v16, v82
	v_fma_f32 v41, v42, v66, -v41
	v_fmac_f32_e32 v63, v43, v66
	v_fma_f32 v42, v42, v68, -v65
	v_fma_f32 v43, v74, v66, -v62
	v_dual_mul_f32 v65, v77, v79 :: v_dual_add_f32 v10, v10, v22
	v_mul_f32_e32 v66, v76, v79
	v_fma_f32 v62, v74, v68, -v67
	v_dual_mul_f32 v67, v77, v81 :: v_dual_add_f32 v8, v8, v23
	v_dual_fmac_f32 v86, v45, v80 :: v_dual_add_f32 v11, v11, v85
	v_dual_add_f32 v17, v17, v83 :: v_dual_add_f32 v6, v6, v21
	v_dual_add_f32 v9, v9, v19 :: v_dual_add_f32 v16, v16, v37
	;; [unrolled: 1-line block ×3, first 2 shown]
	v_dual_fmac_f32 v69, v75, v68 :: v_dual_fmac_f32 v72, v45, v78
	v_mul_f32_e32 v68, v76, v81
	v_dual_fmac_f32 v66, v77, v78 :: v_dual_add_f32 v11, v11, v91
	v_dual_add_f32 v17, v17, v89 :: v_dual_add_f32 v8, v8, v20
	v_dual_add_f32 v9, v9, v26 :: v_dual_add_f32 v6, v6, v35
	;; [unrolled: 1-line block ×3, first 2 shown]
	s_delay_alu instid0(VALU_DEP_4) | instskip(NEXT) | instid1(VALU_DEP_4)
	v_dual_fmac_f32 v68, v77, v80 :: v_dual_add_f32 v11, v11, v87
	v_dual_add_f32 v17, v17, v84 :: v_dual_add_f32 v10, v10, v30
	s_delay_alu instid0(VALU_DEP_4) | instskip(NEXT) | instid1(VALU_DEP_4)
	v_dual_add_f32 v8, v8, v28 :: v_dual_add_f32 v9, v9, v29
	v_dual_add_f32 v5, v5, v31 :: v_dual_add_f32 v6, v6, v36
	s_delay_alu instid0(VALU_DEP_3) | instskip(NEXT) | instid1(VALU_DEP_4)
	v_dual_add_f32 v16, v16, v47 :: v_dual_add_f32 v17, v17, v49
	v_dual_add_f32 v10, v10, v32 :: v_dual_add_f32 v11, v11, v90
	s_delay_alu instid0(VALU_DEP_3) | instskip(NEXT) | instid1(VALU_DEP_3)
	v_dual_add_f32 v8, v8, v34 :: v_dual_add_f32 v5, v5, v48
	v_dual_add_f32 v9, v9, v46 :: v_dual_add_f32 v16, v16, v33
	s_delay_alu instid0(VALU_DEP_4) | instskip(NEXT) | instid1(VALU_DEP_4)
	v_dual_add_f32 v6, v6, v50 :: v_dual_add_f32 v17, v17, v51
	v_dual_add_f32 v10, v10, v38 :: v_dual_add_f32 v11, v11, v57
	s_delay_alu instid0(VALU_DEP_3) | instskip(NEXT) | instid1(VALU_DEP_4)
	v_dual_add_f32 v8, v8, v39 :: v_dual_add_f32 v9, v9, v53
	v_dual_add_f32 v5, v5, v52 :: v_dual_add_f32 v16, v16, v59
	s_delay_alu instid0(VALU_DEP_4) | instskip(NEXT) | instid1(VALU_DEP_3)
	v_dual_add_f32 v6, v6, v56 :: v_dual_add_f32 v17, v17, v61
	v_dual_add_f32 v10, v10, v40 :: v_dual_add_f32 v9, v9, v55
	s_delay_alu instid0(VALU_DEP_4) | instskip(NEXT) | instid1(VALU_DEP_3)
	v_dual_add_f32 v11, v11, v88 :: v_dual_add_f32 v8, v8, v54
	v_dual_add_f32 v5, v5, v58 :: v_dual_add_f32 v6, v6, v60
	v_fma_f32 v71, v44, v78, -v71
	v_fma_f32 v44, v44, v80, -v73
	;; [unrolled: 1-line block ×4, first 2 shown]
	v_dual_add_f32 v16, v16, v41 :: v_dual_add_f32 v17, v17, v63
	v_dual_add_f32 v10, v10, v42 :: v_dual_add_f32 v9, v9, v64
	v_dual_add_f32 v11, v11, v70 :: v_dual_add_f32 v8, v8, v43
	v_dual_add_f32 v5, v5, v62 :: v_dual_add_f32 v6, v6, v69
	s_delay_alu instid0(VALU_DEP_4) | instskip(NEXT) | instid1(VALU_DEP_3)
	v_dual_add_f32 v16, v16, v71 :: v_dual_add_f32 v17, v17, v72
	v_dual_add_f32 v10, v10, v44 :: v_dual_add_f32 v11, v11, v86
	s_delay_alu instid0(VALU_DEP_4) | instskip(NEXT) | instid1(VALU_DEP_4)
	v_dual_add_f32 v8, v8, v45 :: v_dual_add_f32 v9, v9, v66
	v_dual_add_f32 v5, v5, v65 :: v_dual_add_f32 v6, v6, v68
	s_cbranch_scc0 .LBB336_2
.LBB336_3:
	s_clause 0x2
	s_load_b32 s3, s[0:1], 0x50
	s_load_b64 s[6:7], s[0:1], 0x58
	s_load_b64 s[8:9], s[0:1], 0x48
	v_add_nc_u32_e32 v7, s13, v7
	v_add_nc_u32_e32 v0, s12, v4
	s_delay_alu instid0(VALU_DEP_1)
	v_cmp_le_i32_e64 s0, v7, v0
	v_cmp_gt_i32_e32 vcc_lo, s2, v0
	s_waitcnt lgkmcnt(0)
	v_mad_i64_i32 v[1:2], null, v7, s3, 0
	s_mul_i32 s1, s15, s7
	s_mul_hi_u32 s7, s15, s6
	s_mul_i32 s6, s15, s6
	s_add_i32 s7, s7, s1
	s_delay_alu instid0(SALU_CYCLE_1) | instskip(NEXT) | instid1(VALU_DEP_1)
	s_lshl_b64 s[6:7], s[6:7], 3
	v_lshlrev_b64 v[1:2], 3, v[1:2]
	s_add_u32 s6, s8, s6
	s_addc_u32 s7, s9, s7
	s_and_b32 s0, s0, vcc_lo
	s_delay_alu instid0(VALU_DEP_1) | instskip(NEXT) | instid1(VALU_DEP_1)
	v_add_co_u32 v4, s1, s6, v1
	v_add_co_ci_u32_e64 v12, s1, s7, v2, s1
	s_and_saveexec_b32 s1, s0
	s_cbranch_execz .LBB336_6
; %bb.4:
	v_ashrrev_i32_e32 v1, 31, v0
	v_mul_f32_e32 v14, s4, v17
	v_mul_f32_e32 v3, s5, v17
	s_delay_alu instid0(VALU_DEP_3) | instskip(NEXT) | instid1(VALU_DEP_3)
	v_lshlrev_b64 v[1:2], 3, v[0:1]
	v_fmac_f32_e32 v14, s5, v16
	s_delay_alu instid0(VALU_DEP_3) | instskip(NEXT) | instid1(VALU_DEP_3)
	v_fma_f32 v13, v16, s4, -v3
	v_add_co_u32 v1, s0, v4, v1
	s_delay_alu instid0(VALU_DEP_1)
	v_add_co_ci_u32_e64 v2, s0, v12, v2, s0
	v_cmp_eq_u32_e64 s0, v7, v0
	global_store_b64 v[1:2], v[13:14], off
	s_and_b32 exec_lo, exec_lo, s0
	s_cbranch_execz .LBB336_6
; %bb.5:
	v_mov_b32_e32 v3, 0
	global_store_b32 v[1:2], v3, off offset:4
.LBB336_6:
	s_or_b32 exec_lo, exec_lo, s1
	v_add_nc_u32_e32 v2, 16, v0
	s_delay_alu instid0(VALU_DEP_1) | instskip(SKIP_1) | instid1(VALU_DEP_1)
	v_cmp_le_i32_e64 s1, v7, v2
	v_cmp_gt_i32_e64 s0, s2, v2
	s_and_b32 s1, s1, s0
	s_delay_alu instid0(SALU_CYCLE_1)
	s_and_saveexec_b32 s2, s1
	s_cbranch_execz .LBB336_9
; %bb.7:
	v_ashrrev_i32_e32 v3, 31, v2
	v_mul_f32_e32 v14, s4, v11
	v_mul_f32_e32 v1, s5, v11
	s_delay_alu instid0(VALU_DEP_3) | instskip(NEXT) | instid1(VALU_DEP_3)
	v_lshlrev_b64 v[15:16], 3, v[2:3]
	v_fmac_f32_e32 v14, s5, v10
	s_delay_alu instid0(VALU_DEP_3) | instskip(NEXT) | instid1(VALU_DEP_3)
	v_fma_f32 v13, v10, s4, -v1
	v_add_co_u32 v3, s1, v4, v15
	s_delay_alu instid0(VALU_DEP_1)
	v_add_co_ci_u32_e64 v4, s1, v12, v16, s1
	v_cmp_eq_u32_e64 s1, v7, v2
	global_store_b64 v[3:4], v[13:14], off
	s_and_b32 exec_lo, exec_lo, s1
	s_cbranch_execz .LBB336_9
; %bb.8:
	v_mov_b32_e32 v1, 0
	global_store_b32 v[3:4], v1, off offset:4
.LBB336_9:
	s_or_b32 exec_lo, exec_lo, s2
	v_add_nc_u32_e32 v12, 16, v7
	s_delay_alu instid0(VALU_DEP_1) | instskip(SKIP_1) | instid1(VALU_DEP_2)
	v_mad_i64_i32 v[3:4], null, v12, s3, 0
	v_cmp_le_i32_e64 s1, v12, v0
	v_lshlrev_b64 v[3:4], 3, v[3:4]
	s_delay_alu instid0(VALU_DEP_1) | instskip(NEXT) | instid1(VALU_DEP_1)
	v_add_co_u32 v10, s2, s6, v3
	v_add_co_ci_u32_e64 v11, s2, s7, v4, s2
	s_delay_alu instid0(VALU_DEP_4) | instskip(NEXT) | instid1(SALU_CYCLE_1)
	s_and_b32 s2, s1, vcc_lo
	s_and_saveexec_b32 s1, s2
	s_cbranch_execz .LBB336_12
; %bb.10:
	v_ashrrev_i32_e32 v1, 31, v0
	v_mul_f32_e32 v14, s4, v9
	v_mul_f32_e32 v13, s5, v9
	s_delay_alu instid0(VALU_DEP_3) | instskip(NEXT) | instid1(VALU_DEP_3)
	v_lshlrev_b64 v[3:4], 3, v[0:1]
	v_fmac_f32_e32 v14, s5, v8
	s_delay_alu instid0(VALU_DEP_3) | instskip(NEXT) | instid1(VALU_DEP_3)
	v_fma_f32 v13, v8, s4, -v13
	v_add_co_u32 v3, vcc_lo, v10, v3
	s_delay_alu instid0(VALU_DEP_4)
	v_add_co_ci_u32_e32 v4, vcc_lo, v11, v4, vcc_lo
	v_cmp_eq_u32_e32 vcc_lo, v12, v0
	global_store_b64 v[3:4], v[13:14], off
	s_and_b32 exec_lo, exec_lo, vcc_lo
	s_cbranch_execz .LBB336_12
; %bb.11:
	v_mov_b32_e32 v1, 0
	global_store_b32 v[3:4], v1, off offset:4
.LBB336_12:
	s_or_b32 exec_lo, exec_lo, s1
	v_cmp_le_i32_e32 vcc_lo, v12, v2
	s_and_b32 s0, vcc_lo, s0
	s_delay_alu instid0(SALU_CYCLE_1)
	s_and_saveexec_b32 s1, s0
	s_cbranch_execz .LBB336_15
; %bb.13:
	v_ashrrev_i32_e32 v3, 31, v2
	v_mul_f32_e32 v8, s5, v6
	v_mul_f32_e32 v4, s4, v6
	s_delay_alu instid0(VALU_DEP_3) | instskip(NEXT) | instid1(VALU_DEP_3)
	v_lshlrev_b64 v[1:2], 3, v[2:3]
	v_fma_f32 v3, v5, s4, -v8
	s_delay_alu instid0(VALU_DEP_3) | instskip(NEXT) | instid1(VALU_DEP_3)
	v_fmac_f32_e32 v4, s5, v5
	v_add_co_u32 v1, vcc_lo, v10, v1
	s_delay_alu instid0(VALU_DEP_4)
	v_add_co_ci_u32_e32 v2, vcc_lo, v11, v2, vcc_lo
	v_cmp_eq_u32_e32 vcc_lo, v7, v0
	global_store_b64 v[1:2], v[3:4], off
	s_and_b32 exec_lo, exec_lo, vcc_lo
	s_cbranch_execz .LBB336_15
; %bb.14:
	v_mov_b32_e32 v0, 0
	global_store_b32 v[1:2], v0, off offset:4
.LBB336_15:
	s_nop 0
	s_sendmsg sendmsg(MSG_DEALLOC_VGPRS)
	s_endpgm
	.section	.rodata,"a",@progbits
	.p2align	6, 0x0
	.amdhsa_kernel _ZL37rocblas_syrkx_herkx_restricted_kernelIi19rocblas_complex_numIfELi16ELi32ELi8ELb1ELb1ELc78ELc76EKS1_S1_EviT_T0_PT8_S3_lS6_S3_lS4_PT9_S3_li
		.amdhsa_group_segment_fixed_size 4096
		.amdhsa_private_segment_fixed_size 0
		.amdhsa_kernarg_size 100
		.amdhsa_user_sgpr_count 13
		.amdhsa_user_sgpr_dispatch_ptr 0
		.amdhsa_user_sgpr_queue_ptr 0
		.amdhsa_user_sgpr_kernarg_segment_ptr 1
		.amdhsa_user_sgpr_dispatch_id 0
		.amdhsa_user_sgpr_private_segment_size 0
		.amdhsa_wavefront_size32 1
		.amdhsa_uses_dynamic_stack 0
		.amdhsa_enable_private_segment 0
		.amdhsa_system_sgpr_workgroup_id_x 1
		.amdhsa_system_sgpr_workgroup_id_y 1
		.amdhsa_system_sgpr_workgroup_id_z 1
		.amdhsa_system_sgpr_workgroup_info 0
		.amdhsa_system_vgpr_workitem_id 1
		.amdhsa_next_free_vgpr 92
		.amdhsa_next_free_sgpr 23
		.amdhsa_reserve_vcc 1
		.amdhsa_float_round_mode_32 0
		.amdhsa_float_round_mode_16_64 0
		.amdhsa_float_denorm_mode_32 3
		.amdhsa_float_denorm_mode_16_64 3
		.amdhsa_dx10_clamp 1
		.amdhsa_ieee_mode 1
		.amdhsa_fp16_overflow 0
		.amdhsa_workgroup_processor_mode 1
		.amdhsa_memory_ordered 1
		.amdhsa_forward_progress 0
		.amdhsa_shared_vgpr_count 0
		.amdhsa_exception_fp_ieee_invalid_op 0
		.amdhsa_exception_fp_denorm_src 0
		.amdhsa_exception_fp_ieee_div_zero 0
		.amdhsa_exception_fp_ieee_overflow 0
		.amdhsa_exception_fp_ieee_underflow 0
		.amdhsa_exception_fp_ieee_inexact 0
		.amdhsa_exception_int_div_zero 0
	.end_amdhsa_kernel
	.section	.text._ZL37rocblas_syrkx_herkx_restricted_kernelIi19rocblas_complex_numIfELi16ELi32ELi8ELb1ELb1ELc78ELc76EKS1_S1_EviT_T0_PT8_S3_lS6_S3_lS4_PT9_S3_li,"axG",@progbits,_ZL37rocblas_syrkx_herkx_restricted_kernelIi19rocblas_complex_numIfELi16ELi32ELi8ELb1ELb1ELc78ELc76EKS1_S1_EviT_T0_PT8_S3_lS6_S3_lS4_PT9_S3_li,comdat
.Lfunc_end336:
	.size	_ZL37rocblas_syrkx_herkx_restricted_kernelIi19rocblas_complex_numIfELi16ELi32ELi8ELb1ELb1ELc78ELc76EKS1_S1_EviT_T0_PT8_S3_lS6_S3_lS4_PT9_S3_li, .Lfunc_end336-_ZL37rocblas_syrkx_herkx_restricted_kernelIi19rocblas_complex_numIfELi16ELi32ELi8ELb1ELb1ELc78ELc76EKS1_S1_EviT_T0_PT8_S3_lS6_S3_lS4_PT9_S3_li
                                        ; -- End function
	.section	.AMDGPU.csdata,"",@progbits
; Kernel info:
; codeLenInByte = 2280
; NumSgprs: 25
; NumVgprs: 92
; ScratchSize: 0
; MemoryBound: 0
; FloatMode: 240
; IeeeMode: 1
; LDSByteSize: 4096 bytes/workgroup (compile time only)
; SGPRBlocks: 3
; VGPRBlocks: 11
; NumSGPRsForWavesPerEU: 25
; NumVGPRsForWavesPerEU: 92
; Occupancy: 16
; WaveLimiterHint : 0
; COMPUTE_PGM_RSRC2:SCRATCH_EN: 0
; COMPUTE_PGM_RSRC2:USER_SGPR: 13
; COMPUTE_PGM_RSRC2:TRAP_HANDLER: 0
; COMPUTE_PGM_RSRC2:TGID_X_EN: 1
; COMPUTE_PGM_RSRC2:TGID_Y_EN: 1
; COMPUTE_PGM_RSRC2:TGID_Z_EN: 1
; COMPUTE_PGM_RSRC2:TIDIG_COMP_CNT: 1
	.section	.text._ZL37rocblas_syrkx_herkx_restricted_kernelIi19rocblas_complex_numIfELi16ELi32ELi8ELb1ELb1ELc84ELc85EKS1_S1_EviT_T0_PT8_S3_lS6_S3_lS4_PT9_S3_li,"axG",@progbits,_ZL37rocblas_syrkx_herkx_restricted_kernelIi19rocblas_complex_numIfELi16ELi32ELi8ELb1ELb1ELc84ELc85EKS1_S1_EviT_T0_PT8_S3_lS6_S3_lS4_PT9_S3_li,comdat
	.globl	_ZL37rocblas_syrkx_herkx_restricted_kernelIi19rocblas_complex_numIfELi16ELi32ELi8ELb1ELb1ELc84ELc85EKS1_S1_EviT_T0_PT8_S3_lS6_S3_lS4_PT9_S3_li ; -- Begin function _ZL37rocblas_syrkx_herkx_restricted_kernelIi19rocblas_complex_numIfELi16ELi32ELi8ELb1ELb1ELc84ELc85EKS1_S1_EviT_T0_PT8_S3_lS6_S3_lS4_PT9_S3_li
	.p2align	8
	.type	_ZL37rocblas_syrkx_herkx_restricted_kernelIi19rocblas_complex_numIfELi16ELi32ELi8ELb1ELb1ELc84ELc85EKS1_S1_EviT_T0_PT8_S3_lS6_S3_lS4_PT9_S3_li,@function
_ZL37rocblas_syrkx_herkx_restricted_kernelIi19rocblas_complex_numIfELi16ELi32ELi8ELb1ELb1ELc84ELc85EKS1_S1_EviT_T0_PT8_S3_lS6_S3_lS4_PT9_S3_li: ; @_ZL37rocblas_syrkx_herkx_restricted_kernelIi19rocblas_complex_numIfELi16ELi32ELi8ELb1ELb1ELc84ELc85EKS1_S1_EviT_T0_PT8_S3_lS6_S3_lS4_PT9_S3_li
; %bb.0:
	s_clause 0x1
	s_load_b64 s[2:3], s[0:1], 0x0
	s_load_b128 s[4:7], s[0:1], 0x8
	v_dual_mov_b32 v15, 0 :: v_dual_and_b32 v6, 0x3ff, v0
	v_bfe_u32 v7, v0, 10, 10
	v_dual_mov_b32 v16, 0 :: v_dual_mov_b32 v11, 0
	v_dual_mov_b32 v10, 0 :: v_dual_mov_b32 v9, 0
	;; [unrolled: 1-line block ×3, first 2 shown]
	v_mov_b32_e32 v0, 0
	s_lshl_b32 s12, s13, 5
	s_lshl_b32 s13, s14, 5
	s_mov_b32 s14, 0
	s_waitcnt lgkmcnt(0)
	s_cmp_lt_i32 s3, 1
	s_cbranch_scc1 .LBB337_3
; %bb.1:
	s_clause 0x3
	s_load_b32 s18, s[0:1], 0x18
	s_load_b128 s[8:11], s[0:1], 0x20
	s_load_b32 s19, s[0:1], 0x30
	s_load_b64 s[16:17], s[0:1], 0x38
	v_lshl_add_u32 v2, v7, 4, v6
	v_dual_mov_b32 v1, 0 :: v_dual_and_b32 v0, 7, v6
	v_lshlrev_b32_e32 v12, 3, v6
	v_lshl_add_u32 v17, v7, 6, 0x800
	s_delay_alu instid0(VALU_DEP_4) | instskip(SKIP_3) | instid1(VALU_DEP_4)
	v_lshrrev_b32_e32 v4, 3, v2
	v_and_b32_e32 v5, 31, v2
	v_lshlrev_b32_e32 v3, 3, v0
	v_lshrrev_b32_e32 v2, 5, v2
	v_dual_mov_b32 v16, v1 :: v_dual_add_nc_u32 v11, s13, v4
	s_delay_alu instid0(VALU_DEP_4) | instskip(NEXT) | instid1(VALU_DEP_4)
	v_add_nc_u32_e32 v10, s12, v5
	v_lshl_or_b32 v9, v4, 6, v3
	v_dual_mov_b32 v3, v1 :: v_dual_lshlrev_b32 v8, 3, v5
	s_delay_alu instid0(VALU_DEP_2) | instskip(SKIP_1) | instid1(VALU_DEP_2)
	v_dual_mov_b32 v15, v1 :: v_dual_add_nc_u32 v14, 0x800, v9
	s_waitcnt lgkmcnt(0)
	v_mad_i64_i32 v[4:5], null, s18, v10, v[2:3]
	s_mul_i32 s9, s9, s15
	s_mul_hi_u32 s18, s8, s15
	v_mov_b32_e32 v9, v1
	v_lshl_or_b32 v13, v2, 8, v8
	v_mov_b32_e32 v10, v1
	v_mad_i64_i32 v[2:3], null, s19, v11, v[0:1]
	s_mul_i32 s8, s8, s15
	s_add_i32 s9, s18, s9
	v_lshlrev_b64 v[4:5], 3, v[4:5]
	s_lshl_b64 s[8:9], s[8:9], 3
	v_mov_b32_e32 v11, v1
	s_add_u32 s8, s6, s8
	s_mul_i32 s6, s17, s15
	s_mul_hi_u32 s17, s16, s15
	s_addc_u32 s9, s7, s9
	s_add_i32 s7, s17, s6
	s_mul_i32 s6, s16, s15
	v_lshlrev_b64 v[2:3], 3, v[2:3]
	s_lshl_b64 s[6:7], s[6:7], 3
	v_add_co_u32 v0, vcc_lo, s8, v4
	s_add_u32 s6, s10, s6
	v_add_co_ci_u32_e32 v4, vcc_lo, s9, v5, vcc_lo
	s_addc_u32 s7, s11, s7
	v_add_co_u32 v5, vcc_lo, s6, v2
	v_add_co_ci_u32_e32 v8, vcc_lo, s7, v3, vcc_lo
	v_add_co_u32 v2, vcc_lo, v0, 4
	v_add_co_ci_u32_e32 v3, vcc_lo, 0, v4, vcc_lo
	s_delay_alu instid0(VALU_DEP_4) | instskip(NEXT) | instid1(VALU_DEP_4)
	v_add_co_u32 v4, vcc_lo, v5, 4
	v_add_co_ci_u32_e32 v5, vcc_lo, 0, v8, vcc_lo
	v_mov_b32_e32 v0, v1
	v_mov_b32_e32 v8, v1
.LBB337_2:                              ; =>This Inner Loop Header: Depth=1
	global_load_b64 v[18:19], v[2:3], off offset:-4
	global_load_b64 v[20:21], v[4:5], off offset:-4
	v_add_co_u32 v2, vcc_lo, v2, 64
	v_add_co_ci_u32_e32 v3, vcc_lo, 0, v3, vcc_lo
	v_add_co_u32 v4, vcc_lo, v4, 64
	v_add_co_ci_u32_e32 v5, vcc_lo, 0, v5, vcc_lo
	s_add_i32 s14, s14, 8
	s_waitcnt vmcnt(1)
	ds_store_b64 v13, v[18:19]
	s_waitcnt vmcnt(0)
	ds_store_b64 v14, v[20:21]
	s_waitcnt lgkmcnt(0)
	s_barrier
	buffer_gl0_inv
	ds_load_2addr_b64 v[18:21], v12 offset1:16
	ds_load_b128 v[22:25], v17
	ds_load_b128 v[26:29], v17 offset:1024
	ds_load_b128 v[30:33], v17 offset:16
	ds_load_2addr_b64 v[34:37], v12 offset0:32 offset1:48
	ds_load_b128 v[38:41], v17 offset:32
	ds_load_b128 v[42:45], v17 offset:48
	ds_load_2addr_b64 v[46:49], v12 offset0:64 offset1:80
	ds_load_b128 v[50:53], v17 offset:1040
	ds_load_2addr_b64 v[54:57], v12 offset0:96 offset1:112
	ds_load_2addr_b64 v[58:61], v12 offset0:128 offset1:144
	;; [unrolled: 1-line block ×4, first 2 shown]
	ds_load_b128 v[70:73], v17 offset:1056
	ds_load_b128 v[74:77], v17 offset:1072
	ds_load_2addr_b64 v[78:81], v12 offset0:224 offset1:240
	s_cmp_ge_i32 s14, s3
	s_waitcnt lgkmcnt(0)
	s_barrier
	buffer_gl0_inv
	v_dual_mul_f32 v82, v23, v19 :: v_dual_mul_f32 v85, v22, v21
	v_dual_mul_f32 v83, v22, v19 :: v_dual_mul_f32 v84, v23, v21
	v_mul_f32_e32 v86, v27, v19
	v_dual_mul_f32 v19, v26, v19 :: v_dual_mul_f32 v90, v25, v37
	v_dual_mul_f32 v87, v27, v21 :: v_dual_mul_f32 v88, v25, v35
	v_mul_f32_e32 v21, v26, v21
	v_fma_f32 v82, v22, v18, -v82
	v_fmac_f32_e32 v83, v23, v18
	v_fma_f32 v22, v22, v20, -v84
	v_fmac_f32_e32 v85, v23, v20
	v_fma_f32 v23, v26, v18, -v86
	v_dual_fmac_f32 v19, v27, v18 :: v_dual_mul_f32 v86, v30, v47
	v_fma_f32 v18, v26, v20, -v87
	v_dual_fmac_f32 v21, v27, v20 :: v_dual_mul_f32 v20, v24, v37
	v_mul_f32_e32 v89, v24, v35
	v_mul_f32_e32 v26, v29, v35
	v_mul_f32_e32 v27, v28, v35
	v_mul_f32_e32 v35, v29, v37
	v_fmac_f32_e32 v20, v25, v36
	v_fmac_f32_e32 v89, v25, v34
	v_dual_mul_f32 v25, v28, v37 :: v_dual_fmac_f32 v86, v31, v46
	v_fma_f32 v84, v24, v34, -v88
	v_fma_f32 v24, v24, v36, -v90
	v_dual_mul_f32 v37, v31, v47 :: v_dual_mul_f32 v90, v33, v57
	v_fma_f32 v26, v28, v34, -v26
	v_fma_f32 v28, v28, v36, -v35
	v_fmac_f32_e32 v25, v29, v36
	v_dual_mul_f32 v35, v50, v47 :: v_dual_mul_f32 v36, v51, v49
	v_dual_fmac_f32 v27, v29, v34 :: v_dual_mul_f32 v34, v51, v47
	v_dual_mul_f32 v88, v32, v55 :: v_dual_mul_f32 v29, v30, v49
	v_mul_f32_e32 v87, v31, v49
	v_fma_f32 v37, v30, v46, -v37
	v_add_f32_e32 v16, v16, v83
	s_delay_alu instid0(VALU_DEP_4)
	v_dual_fmac_f32 v88, v33, v54 :: v_dual_fmac_f32 v29, v31, v48
	v_fma_f32 v31, v50, v46, -v34
	v_fma_f32 v34, v50, v48, -v36
	v_mul_f32_e32 v36, v32, v57
	v_mul_f32_e32 v47, v50, v49
	v_dual_mul_f32 v50, v53, v57 :: v_dual_fmac_f32 v35, v51, v46
	v_mul_f32_e32 v46, v53, v55
	v_mul_f32_e32 v49, v33, v55
	v_fma_f32 v30, v30, v48, -v87
	v_fmac_f32_e32 v36, v33, v56
	v_dual_fmac_f32 v47, v51, v48 :: v_dual_mul_f32 v48, v52, v55
	v_mul_f32_e32 v33, v52, v57
	v_fma_f32 v46, v52, v54, -v46
	v_fma_f32 v50, v52, v56, -v50
	v_mul_f32_e32 v52, v38, v61
	v_fma_f32 v49, v32, v54, -v49
	v_fma_f32 v32, v32, v56, -v90
	v_dual_mul_f32 v51, v39, v59 :: v_dual_fmac_f32 v48, v53, v54
	v_mul_f32_e32 v54, v70, v59
	v_dual_mul_f32 v55, v38, v59 :: v_dual_fmac_f32 v52, v39, v60
	v_fmac_f32_e32 v33, v53, v56
	v_mul_f32_e32 v53, v71, v59
	v_mul_f32_e32 v56, v71, v61
	;; [unrolled: 1-line block ×3, first 2 shown]
	v_fmac_f32_e32 v54, v71, v58
	v_fmac_f32_e32 v55, v39, v58
	v_fma_f32 v39, v70, v58, -v53
	v_fma_f32 v53, v70, v60, -v56
	v_mul_f32_e32 v56, v40, v65
	v_mul_f32_e32 v59, v70, v61
	v_fma_f32 v51, v38, v58, -v51
	v_mul_f32_e32 v58, v72, v63
	v_mul_f32_e32 v87, v40, v63
	;; [unrolled: 1-line block ×4, first 2 shown]
	v_fma_f32 v38, v38, v60, -v57
	v_mul_f32_e32 v57, v73, v63
	v_fmac_f32_e32 v56, v41, v64
	v_dual_fmac_f32 v59, v71, v60 :: v_dual_mul_f32 v60, v73, v65
	v_mul_f32_e32 v63, v43, v67
	v_mul_f32_e32 v70, v43, v69
	v_fmac_f32_e32 v58, v73, v62
	v_fmac_f32_e32 v87, v41, v62
	v_mul_f32_e32 v41, v72, v65
	v_fma_f32 v61, v40, v62, -v61
	v_fma_f32 v40, v40, v64, -v90
	v_mul_f32_e32 v65, v42, v67
	v_fma_f32 v57, v72, v62, -v57
	v_fma_f32 v60, v72, v64, -v60
	v_dual_fmac_f32 v41, v73, v64 :: v_dual_mul_f32 v62, v42, v69
	v_mul_f32_e32 v64, v75, v67
	v_fma_f32 v63, v42, v66, -v63
	v_fma_f32 v42, v42, v68, -v70
	v_mul_f32_e32 v70, v76, v79
	v_mul_f32_e32 v67, v74, v67
	;; [unrolled: 1-line block ×3, first 2 shown]
	v_dual_mul_f32 v69, v74, v69 :: v_dual_add_f32 v8, v8, v23
	v_dual_mul_f32 v73, v44, v79 :: v_dual_add_f32 v10, v10, v22
	v_dual_fmac_f32 v65, v43, v66 :: v_dual_add_f32 v16, v16, v89
	v_fmac_f32_e32 v62, v43, v68
	v_fma_f32 v43, v74, v66, -v64
	v_fmac_f32_e32 v70, v77, v78
	v_dual_fmac_f32 v67, v75, v66 :: v_dual_add_f32 v10, v10, v24
	v_mul_f32_e32 v66, v44, v81
	v_mul_f32_e32 v72, v45, v79
	v_dual_mul_f32 v90, v45, v81 :: v_dual_fmac_f32 v69, v75, v68
	v_add_f32_e32 v0, v0, v18
	v_fmac_f32_e32 v73, v45, v78
	v_dual_fmac_f32 v66, v45, v80 :: v_dual_mul_f32 v45, v76, v81
	v_add_f32_e32 v10, v10, v30
	v_fma_f32 v64, v74, v68, -v71
	v_dual_mul_f32 v71, v77, v81 :: v_dual_add_f32 v8, v8, v26
	s_delay_alu instid0(VALU_DEP_4) | instskip(SKIP_4) | instid1(VALU_DEP_4)
	v_dual_fmac_f32 v45, v77, v80 :: v_dual_add_f32 v16, v16, v86
	v_add_f32_e32 v15, v15, v82
	v_add_f32_e32 v9, v9, v19
	v_dual_add_f32 v1, v1, v21 :: v_dual_add_f32 v10, v10, v32
	v_dual_add_f32 v0, v0, v28 :: v_dual_add_f32 v11, v11, v85
	;; [unrolled: 1-line block ×3, first 2 shown]
	s_delay_alu instid0(VALU_DEP_4) | instskip(NEXT) | instid1(VALU_DEP_4)
	v_dual_add_f32 v16, v16, v88 :: v_dual_add_f32 v9, v9, v27
	v_dual_add_f32 v10, v10, v38 :: v_dual_add_f32 v1, v1, v25
	s_delay_alu instid0(VALU_DEP_4) | instskip(NEXT) | instid1(VALU_DEP_3)
	v_add_f32_e32 v0, v0, v34
	v_dual_add_f32 v16, v16, v55 :: v_dual_add_f32 v11, v11, v20
	v_dual_add_f32 v8, v8, v46 :: v_dual_add_f32 v15, v15, v37
	s_delay_alu instid0(VALU_DEP_4) | instskip(NEXT) | instid1(VALU_DEP_3)
	v_dual_add_f32 v1, v1, v47 :: v_dual_add_f32 v10, v10, v40
	v_dual_add_f32 v0, v0, v50 :: v_dual_add_f32 v11, v11, v29
	s_delay_alu instid0(VALU_DEP_4) | instskip(SKIP_1) | instid1(VALU_DEP_4)
	v_add_f32_e32 v16, v16, v87
	v_add_f32_e32 v9, v9, v35
	v_dual_add_f32 v1, v1, v33 :: v_dual_add_f32 v10, v10, v42
	s_delay_alu instid0(VALU_DEP_4)
	v_dual_add_f32 v8, v8, v39 :: v_dual_add_f32 v11, v11, v36
	v_add_f32_e32 v0, v0, v53
	v_add_f32_e32 v15, v15, v49
	v_dual_add_f32 v9, v9, v48 :: v_dual_add_f32 v16, v16, v65
	v_mul_f32_e32 v68, v77, v79
	v_fma_f32 v72, v44, v78, -v72
	v_fma_f32 v44, v44, v80, -v90
	s_delay_alu instid0(VALU_DEP_4) | instskip(SKIP_1) | instid1(VALU_DEP_3)
	v_dual_add_f32 v9, v9, v54 :: v_dual_add_f32 v16, v16, v73
	v_dual_add_f32 v1, v1, v59 :: v_dual_add_f32 v8, v8, v57
	v_add_f32_e32 v10, v10, v44
	v_add_f32_e32 v11, v11, v52
	v_dual_add_f32 v0, v0, v60 :: v_dual_add_f32 v15, v15, v51
	v_fma_f32 v68, v76, v78, -v68
	v_fma_f32 v71, v76, v80, -v71
	s_delay_alu instid0(VALU_DEP_3) | instskip(SKIP_2) | instid1(VALU_DEP_3)
	v_dual_add_f32 v9, v9, v58 :: v_dual_add_f32 v0, v0, v64
	v_dual_add_f32 v1, v1, v41 :: v_dual_add_f32 v8, v8, v43
	v_add_f32_e32 v15, v15, v61
	v_dual_add_f32 v11, v11, v56 :: v_dual_add_f32 v0, v0, v71
	s_delay_alu instid0(VALU_DEP_4) | instskip(NEXT) | instid1(VALU_DEP_4)
	v_add_f32_e32 v9, v9, v67
	v_dual_add_f32 v1, v1, v69 :: v_dual_add_f32 v8, v8, v68
	s_delay_alu instid0(VALU_DEP_4) | instskip(NEXT) | instid1(VALU_DEP_4)
	v_add_f32_e32 v15, v15, v63
	v_add_f32_e32 v11, v11, v62
	s_delay_alu instid0(VALU_DEP_4) | instskip(NEXT) | instid1(VALU_DEP_4)
	v_add_f32_e32 v9, v9, v70
	v_add_f32_e32 v1, v1, v45
	;; [unrolled: 3-line block ×3, first 2 shown]
	s_cbranch_scc0 .LBB337_2
.LBB337_3:
	s_clause 0x2
	s_load_b32 s3, s[0:1], 0x50
	s_load_b64 s[6:7], s[0:1], 0x58
	s_load_b64 s[8:9], s[0:1], 0x48
	v_add_nc_u32_e32 v7, s13, v7
	v_add_nc_u32_e32 v2, s12, v6
	s_delay_alu instid0(VALU_DEP_2)
	v_cmp_gt_i32_e32 vcc_lo, s2, v7
	s_waitcnt lgkmcnt(0)
	v_mad_i64_i32 v[3:4], null, v7, s3, 0
	s_mul_i32 s1, s15, s7
	s_mul_hi_u32 s7, s15, s6
	s_mul_i32 s0, s15, s6
	s_add_i32 s1, s7, s1
	s_delay_alu instid0(SALU_CYCLE_1) | instskip(NEXT) | instid1(VALU_DEP_1)
	s_lshl_b64 s[6:7], s[0:1], 3
	v_lshlrev_b64 v[3:4], 3, v[3:4]
	s_add_u32 s6, s8, s6
	v_cmp_le_i32_e64 s0, v2, v7
	s_addc_u32 s7, s9, s7
	s_delay_alu instid0(VALU_DEP_2) | instskip(NEXT) | instid1(VALU_DEP_1)
	v_add_co_u32 v6, s1, s6, v3
	v_add_co_ci_u32_e64 v12, s1, s7, v4, s1
	s_delay_alu instid0(VALU_DEP_3) | instskip(NEXT) | instid1(SALU_CYCLE_1)
	s_and_b32 s0, vcc_lo, s0
	s_and_saveexec_b32 s1, s0
	s_cbranch_execz .LBB337_6
; %bb.4:
	v_ashrrev_i32_e32 v3, 31, v2
	v_mul_f32_e32 v14, s4, v16
	v_mul_f32_e32 v5, s5, v16
	s_delay_alu instid0(VALU_DEP_3) | instskip(NEXT) | instid1(VALU_DEP_3)
	v_lshlrev_b64 v[3:4], 3, v[2:3]
	v_fmac_f32_e32 v14, s5, v15
	s_delay_alu instid0(VALU_DEP_3) | instskip(NEXT) | instid1(VALU_DEP_3)
	v_fma_f32 v13, v15, s4, -v5
	v_add_co_u32 v3, s0, v6, v3
	s_delay_alu instid0(VALU_DEP_1)
	v_add_co_ci_u32_e64 v4, s0, v12, v4, s0
	v_cmp_eq_u32_e64 s0, v7, v2
	global_store_b64 v[3:4], v[13:14], off
	s_and_b32 exec_lo, exec_lo, s0
	s_cbranch_execz .LBB337_6
; %bb.5:
	v_mov_b32_e32 v5, 0
	global_store_b32 v[3:4], v5, off offset:4
.LBB337_6:
	s_or_b32 exec_lo, exec_lo, s1
	v_add_nc_u32_e32 v4, 16, v2
	s_delay_alu instid0(VALU_DEP_1) | instskip(NEXT) | instid1(VALU_DEP_1)
	v_cmp_le_i32_e64 s0, v4, v7
	s_and_b32 s1, vcc_lo, s0
	s_delay_alu instid0(SALU_CYCLE_1)
	s_and_saveexec_b32 s0, s1
	s_cbranch_execz .LBB337_9
; %bb.7:
	v_ashrrev_i32_e32 v5, 31, v4
	v_mul_f32_e32 v14, s4, v11
	v_mul_f32_e32 v3, s5, v11
	s_delay_alu instid0(VALU_DEP_3) | instskip(NEXT) | instid1(VALU_DEP_3)
	v_lshlrev_b64 v[15:16], 3, v[4:5]
	v_fmac_f32_e32 v14, s5, v10
	s_delay_alu instid0(VALU_DEP_3) | instskip(NEXT) | instid1(VALU_DEP_3)
	v_fma_f32 v13, v10, s4, -v3
	v_add_co_u32 v5, vcc_lo, v6, v15
	s_delay_alu instid0(VALU_DEP_4)
	v_add_co_ci_u32_e32 v6, vcc_lo, v12, v16, vcc_lo
	v_cmp_eq_u32_e32 vcc_lo, v7, v4
	global_store_b64 v[5:6], v[13:14], off
	s_and_b32 exec_lo, exec_lo, vcc_lo
	s_cbranch_execz .LBB337_9
; %bb.8:
	v_mov_b32_e32 v3, 0
	global_store_b32 v[5:6], v3, off offset:4
.LBB337_9:
	s_or_b32 exec_lo, exec_lo, s0
	v_add_nc_u32_e32 v12, 16, v7
	s_delay_alu instid0(VALU_DEP_1) | instskip(SKIP_2) | instid1(VALU_DEP_1)
	v_mad_i64_i32 v[5:6], null, v12, s3, 0
	v_cmp_gt_i32_e32 vcc_lo, s2, v12
	v_cmp_le_i32_e64 s0, v2, v12
	s_and_b32 s0, vcc_lo, s0
	s_delay_alu instid0(VALU_DEP_3) | instskip(NEXT) | instid1(VALU_DEP_1)
	v_lshlrev_b64 v[5:6], 3, v[5:6]
	v_add_co_u32 v10, s1, s6, v5
	s_delay_alu instid0(VALU_DEP_1)
	v_add_co_ci_u32_e64 v11, s1, s7, v6, s1
	s_and_saveexec_b32 s1, s0
	s_cbranch_execz .LBB337_12
; %bb.10:
	v_ashrrev_i32_e32 v3, 31, v2
	v_mul_f32_e32 v14, s4, v9
	v_mul_f32_e32 v13, s5, v9
	s_delay_alu instid0(VALU_DEP_3) | instskip(NEXT) | instid1(VALU_DEP_3)
	v_lshlrev_b64 v[5:6], 3, v[2:3]
	v_fmac_f32_e32 v14, s5, v8
	s_delay_alu instid0(VALU_DEP_3) | instskip(NEXT) | instid1(VALU_DEP_3)
	v_fma_f32 v13, v8, s4, -v13
	v_add_co_u32 v5, s0, v10, v5
	s_delay_alu instid0(VALU_DEP_1)
	v_add_co_ci_u32_e64 v6, s0, v11, v6, s0
	v_cmp_eq_u32_e64 s0, v12, v2
	global_store_b64 v[5:6], v[13:14], off
	s_and_b32 exec_lo, exec_lo, s0
	s_cbranch_execz .LBB337_12
; %bb.11:
	v_mov_b32_e32 v3, 0
	global_store_b32 v[5:6], v3, off offset:4
.LBB337_12:
	s_or_b32 exec_lo, exec_lo, s1
	v_cmp_le_i32_e64 s0, v4, v12
	s_delay_alu instid0(VALU_DEP_1) | instskip(NEXT) | instid1(SALU_CYCLE_1)
	s_and_b32 s0, vcc_lo, s0
	s_and_saveexec_b32 s1, s0
	s_cbranch_execz .LBB337_15
; %bb.13:
	v_ashrrev_i32_e32 v5, 31, v4
	v_mul_f32_e32 v8, s5, v1
	v_mul_f32_e32 v6, s4, v1
	s_delay_alu instid0(VALU_DEP_3) | instskip(NEXT) | instid1(VALU_DEP_3)
	v_lshlrev_b64 v[3:4], 3, v[4:5]
	v_fma_f32 v5, v0, s4, -v8
	s_delay_alu instid0(VALU_DEP_3) | instskip(NEXT) | instid1(VALU_DEP_3)
	v_fmac_f32_e32 v6, s5, v0
	v_add_co_u32 v0, vcc_lo, v10, v3
	s_delay_alu instid0(VALU_DEP_4)
	v_add_co_ci_u32_e32 v1, vcc_lo, v11, v4, vcc_lo
	v_cmp_eq_u32_e32 vcc_lo, v7, v2
	global_store_b64 v[0:1], v[5:6], off
	s_and_b32 exec_lo, exec_lo, vcc_lo
	s_cbranch_execz .LBB337_15
; %bb.14:
	v_mov_b32_e32 v2, 0
	global_store_b32 v[0:1], v2, off offset:4
.LBB337_15:
	s_nop 0
	s_sendmsg sendmsg(MSG_DEALLOC_VGPRS)
	s_endpgm
	.section	.rodata,"a",@progbits
	.p2align	6, 0x0
	.amdhsa_kernel _ZL37rocblas_syrkx_herkx_restricted_kernelIi19rocblas_complex_numIfELi16ELi32ELi8ELb1ELb1ELc84ELc85EKS1_S1_EviT_T0_PT8_S3_lS6_S3_lS4_PT9_S3_li
		.amdhsa_group_segment_fixed_size 4096
		.amdhsa_private_segment_fixed_size 0
		.amdhsa_kernarg_size 100
		.amdhsa_user_sgpr_count 13
		.amdhsa_user_sgpr_dispatch_ptr 0
		.amdhsa_user_sgpr_queue_ptr 0
		.amdhsa_user_sgpr_kernarg_segment_ptr 1
		.amdhsa_user_sgpr_dispatch_id 0
		.amdhsa_user_sgpr_private_segment_size 0
		.amdhsa_wavefront_size32 1
		.amdhsa_uses_dynamic_stack 0
		.amdhsa_enable_private_segment 0
		.amdhsa_system_sgpr_workgroup_id_x 1
		.amdhsa_system_sgpr_workgroup_id_y 1
		.amdhsa_system_sgpr_workgroup_id_z 1
		.amdhsa_system_sgpr_workgroup_info 0
		.amdhsa_system_vgpr_workitem_id 1
		.amdhsa_next_free_vgpr 91
		.amdhsa_next_free_sgpr 20
		.amdhsa_reserve_vcc 1
		.amdhsa_float_round_mode_32 0
		.amdhsa_float_round_mode_16_64 0
		.amdhsa_float_denorm_mode_32 3
		.amdhsa_float_denorm_mode_16_64 3
		.amdhsa_dx10_clamp 1
		.amdhsa_ieee_mode 1
		.amdhsa_fp16_overflow 0
		.amdhsa_workgroup_processor_mode 1
		.amdhsa_memory_ordered 1
		.amdhsa_forward_progress 0
		.amdhsa_shared_vgpr_count 0
		.amdhsa_exception_fp_ieee_invalid_op 0
		.amdhsa_exception_fp_denorm_src 0
		.amdhsa_exception_fp_ieee_div_zero 0
		.amdhsa_exception_fp_ieee_overflow 0
		.amdhsa_exception_fp_ieee_underflow 0
		.amdhsa_exception_fp_ieee_inexact 0
		.amdhsa_exception_int_div_zero 0
	.end_amdhsa_kernel
	.section	.text._ZL37rocblas_syrkx_herkx_restricted_kernelIi19rocblas_complex_numIfELi16ELi32ELi8ELb1ELb1ELc84ELc85EKS1_S1_EviT_T0_PT8_S3_lS6_S3_lS4_PT9_S3_li,"axG",@progbits,_ZL37rocblas_syrkx_herkx_restricted_kernelIi19rocblas_complex_numIfELi16ELi32ELi8ELb1ELb1ELc84ELc85EKS1_S1_EviT_T0_PT8_S3_lS6_S3_lS4_PT9_S3_li,comdat
.Lfunc_end337:
	.size	_ZL37rocblas_syrkx_herkx_restricted_kernelIi19rocblas_complex_numIfELi16ELi32ELi8ELb1ELb1ELc84ELc85EKS1_S1_EviT_T0_PT8_S3_lS6_S3_lS4_PT9_S3_li, .Lfunc_end337-_ZL37rocblas_syrkx_herkx_restricted_kernelIi19rocblas_complex_numIfELi16ELi32ELi8ELb1ELb1ELc84ELc85EKS1_S1_EviT_T0_PT8_S3_lS6_S3_lS4_PT9_S3_li
                                        ; -- End function
	.section	.AMDGPU.csdata,"",@progbits
; Kernel info:
; codeLenInByte = 2244
; NumSgprs: 22
; NumVgprs: 91
; ScratchSize: 0
; MemoryBound: 0
; FloatMode: 240
; IeeeMode: 1
; LDSByteSize: 4096 bytes/workgroup (compile time only)
; SGPRBlocks: 2
; VGPRBlocks: 11
; NumSGPRsForWavesPerEU: 22
; NumVGPRsForWavesPerEU: 91
; Occupancy: 16
; WaveLimiterHint : 0
; COMPUTE_PGM_RSRC2:SCRATCH_EN: 0
; COMPUTE_PGM_RSRC2:USER_SGPR: 13
; COMPUTE_PGM_RSRC2:TRAP_HANDLER: 0
; COMPUTE_PGM_RSRC2:TGID_X_EN: 1
; COMPUTE_PGM_RSRC2:TGID_Y_EN: 1
; COMPUTE_PGM_RSRC2:TGID_Z_EN: 1
; COMPUTE_PGM_RSRC2:TIDIG_COMP_CNT: 1
	.section	.text._ZL37rocblas_syrkx_herkx_restricted_kernelIi19rocblas_complex_numIfELi16ELi32ELi8ELb1ELb1ELc67ELc85EKS1_S1_EviT_T0_PT8_S3_lS6_S3_lS4_PT9_S3_li,"axG",@progbits,_ZL37rocblas_syrkx_herkx_restricted_kernelIi19rocblas_complex_numIfELi16ELi32ELi8ELb1ELb1ELc67ELc85EKS1_S1_EviT_T0_PT8_S3_lS6_S3_lS4_PT9_S3_li,comdat
	.globl	_ZL37rocblas_syrkx_herkx_restricted_kernelIi19rocblas_complex_numIfELi16ELi32ELi8ELb1ELb1ELc67ELc85EKS1_S1_EviT_T0_PT8_S3_lS6_S3_lS4_PT9_S3_li ; -- Begin function _ZL37rocblas_syrkx_herkx_restricted_kernelIi19rocblas_complex_numIfELi16ELi32ELi8ELb1ELb1ELc67ELc85EKS1_S1_EviT_T0_PT8_S3_lS6_S3_lS4_PT9_S3_li
	.p2align	8
	.type	_ZL37rocblas_syrkx_herkx_restricted_kernelIi19rocblas_complex_numIfELi16ELi32ELi8ELb1ELb1ELc67ELc85EKS1_S1_EviT_T0_PT8_S3_lS6_S3_lS4_PT9_S3_li,@function
_ZL37rocblas_syrkx_herkx_restricted_kernelIi19rocblas_complex_numIfELi16ELi32ELi8ELb1ELb1ELc67ELc85EKS1_S1_EviT_T0_PT8_S3_lS6_S3_lS4_PT9_S3_li: ; @_ZL37rocblas_syrkx_herkx_restricted_kernelIi19rocblas_complex_numIfELi16ELi32ELi8ELb1ELb1ELc67ELc85EKS1_S1_EviT_T0_PT8_S3_lS6_S3_lS4_PT9_S3_li
; %bb.0:
	s_clause 0x1
	s_load_b64 s[2:3], s[0:1], 0x0
	s_load_b128 s[4:7], s[0:1], 0x8
	v_dual_mov_b32 v15, 0 :: v_dual_and_b32 v6, 0x3ff, v0
	v_bfe_u32 v7, v0, 10, 10
	v_dual_mov_b32 v16, 0 :: v_dual_mov_b32 v11, 0
	v_dual_mov_b32 v10, 0 :: v_dual_mov_b32 v9, 0
	;; [unrolled: 1-line block ×3, first 2 shown]
	v_mov_b32_e32 v0, 0
	s_lshl_b32 s12, s13, 5
	s_lshl_b32 s13, s14, 5
	s_mov_b32 s14, 0
	s_waitcnt lgkmcnt(0)
	s_cmp_lt_i32 s3, 1
	s_cbranch_scc1 .LBB338_3
; %bb.1:
	s_clause 0x3
	s_load_b32 s18, s[0:1], 0x18
	s_load_b128 s[8:11], s[0:1], 0x20
	s_load_b32 s19, s[0:1], 0x30
	s_load_b64 s[16:17], s[0:1], 0x38
	v_lshl_add_u32 v2, v7, 4, v6
	v_dual_mov_b32 v1, 0 :: v_dual_and_b32 v0, 7, v6
	v_lshlrev_b32_e32 v12, 3, v6
	v_lshl_add_u32 v17, v7, 6, 0x800
	s_delay_alu instid0(VALU_DEP_4) | instskip(SKIP_3) | instid1(VALU_DEP_4)
	v_lshrrev_b32_e32 v4, 3, v2
	v_and_b32_e32 v5, 31, v2
	v_lshlrev_b32_e32 v3, 3, v0
	v_lshrrev_b32_e32 v2, 5, v2
	v_dual_mov_b32 v16, v1 :: v_dual_add_nc_u32 v11, s13, v4
	s_delay_alu instid0(VALU_DEP_4) | instskip(NEXT) | instid1(VALU_DEP_4)
	v_add_nc_u32_e32 v10, s12, v5
	v_lshl_or_b32 v9, v4, 6, v3
	v_dual_mov_b32 v3, v1 :: v_dual_lshlrev_b32 v8, 3, v5
	s_delay_alu instid0(VALU_DEP_2) | instskip(SKIP_1) | instid1(VALU_DEP_2)
	v_dual_mov_b32 v15, v1 :: v_dual_add_nc_u32 v14, 0x800, v9
	s_waitcnt lgkmcnt(0)
	v_mad_i64_i32 v[4:5], null, s18, v10, v[2:3]
	s_mul_i32 s9, s9, s15
	s_mul_hi_u32 s18, s8, s15
	v_mov_b32_e32 v9, v1
	v_lshl_or_b32 v13, v2, 8, v8
	v_mov_b32_e32 v10, v1
	v_mad_i64_i32 v[2:3], null, s19, v11, v[0:1]
	s_mul_i32 s8, s8, s15
	s_add_i32 s9, s18, s9
	v_lshlrev_b64 v[4:5], 3, v[4:5]
	s_lshl_b64 s[8:9], s[8:9], 3
	v_mov_b32_e32 v11, v1
	s_add_u32 s8, s6, s8
	s_mul_i32 s6, s17, s15
	s_mul_hi_u32 s17, s16, s15
	s_addc_u32 s9, s7, s9
	s_add_i32 s7, s17, s6
	s_mul_i32 s6, s16, s15
	v_lshlrev_b64 v[2:3], 3, v[2:3]
	s_lshl_b64 s[6:7], s[6:7], 3
	v_add_co_u32 v0, vcc_lo, s8, v4
	s_add_u32 s6, s10, s6
	v_add_co_ci_u32_e32 v4, vcc_lo, s9, v5, vcc_lo
	s_addc_u32 s7, s11, s7
	v_add_co_u32 v5, vcc_lo, s6, v2
	v_add_co_ci_u32_e32 v8, vcc_lo, s7, v3, vcc_lo
	v_add_co_u32 v2, vcc_lo, v0, 4
	v_add_co_ci_u32_e32 v3, vcc_lo, 0, v4, vcc_lo
	s_delay_alu instid0(VALU_DEP_4) | instskip(NEXT) | instid1(VALU_DEP_4)
	v_add_co_u32 v4, vcc_lo, v5, 4
	v_add_co_ci_u32_e32 v5, vcc_lo, 0, v8, vcc_lo
	v_mov_b32_e32 v0, v1
	v_mov_b32_e32 v8, v1
.LBB338_2:                              ; =>This Inner Loop Header: Depth=1
	global_load_b64 v[18:19], v[2:3], off offset:-4
	global_load_b64 v[20:21], v[4:5], off offset:-4
	v_add_co_u32 v2, vcc_lo, v2, 64
	v_add_co_ci_u32_e32 v3, vcc_lo, 0, v3, vcc_lo
	v_add_co_u32 v4, vcc_lo, v4, 64
	v_add_co_ci_u32_e32 v5, vcc_lo, 0, v5, vcc_lo
	s_add_i32 s14, s14, 8
	s_delay_alu instid0(SALU_CYCLE_1)
	s_cmp_ge_i32 s14, s3
	s_waitcnt vmcnt(1)
	v_xor_b32_e32 v19, 0x80000000, v19
	ds_store_b64 v13, v[18:19]
	s_waitcnt vmcnt(0)
	ds_store_b64 v14, v[20:21]
	s_waitcnt lgkmcnt(0)
	s_barrier
	buffer_gl0_inv
	ds_load_2addr_b64 v[18:21], v12 offset1:16
	ds_load_b128 v[22:25], v17
	ds_load_b128 v[26:29], v17 offset:1024
	ds_load_b128 v[30:33], v17 offset:16
	ds_load_2addr_b64 v[34:37], v12 offset0:32 offset1:48
	ds_load_b128 v[38:41], v17 offset:32
	ds_load_b128 v[42:45], v17 offset:48
	ds_load_2addr_b64 v[46:49], v12 offset0:64 offset1:80
	ds_load_b128 v[50:53], v17 offset:1040
	ds_load_2addr_b64 v[54:57], v12 offset0:96 offset1:112
	ds_load_2addr_b64 v[58:61], v12 offset0:128 offset1:144
	;; [unrolled: 1-line block ×4, first 2 shown]
	ds_load_b128 v[70:73], v17 offset:1056
	ds_load_b128 v[74:77], v17 offset:1072
	ds_load_2addr_b64 v[78:81], v12 offset0:224 offset1:240
	s_waitcnt lgkmcnt(0)
	s_barrier
	buffer_gl0_inv
	v_dual_mul_f32 v82, v23, v19 :: v_dual_mul_f32 v85, v22, v21
	v_dual_mul_f32 v83, v22, v19 :: v_dual_mul_f32 v84, v23, v21
	v_mul_f32_e32 v86, v27, v19
	v_dual_mul_f32 v19, v26, v19 :: v_dual_mul_f32 v90, v25, v37
	v_dual_mul_f32 v87, v27, v21 :: v_dual_mul_f32 v88, v25, v35
	v_mul_f32_e32 v21, v26, v21
	v_fma_f32 v82, v22, v18, -v82
	v_fmac_f32_e32 v83, v23, v18
	v_fma_f32 v22, v22, v20, -v84
	v_fmac_f32_e32 v85, v23, v20
	v_fma_f32 v23, v26, v18, -v86
	v_dual_fmac_f32 v19, v27, v18 :: v_dual_mul_f32 v86, v30, v47
	v_fma_f32 v18, v26, v20, -v87
	v_dual_fmac_f32 v21, v27, v20 :: v_dual_mul_f32 v20, v24, v37
	v_mul_f32_e32 v89, v24, v35
	v_mul_f32_e32 v26, v29, v35
	;; [unrolled: 1-line block ×4, first 2 shown]
	v_fmac_f32_e32 v20, v25, v36
	v_fmac_f32_e32 v89, v25, v34
	v_dual_mul_f32 v25, v28, v37 :: v_dual_fmac_f32 v86, v31, v46
	v_fma_f32 v84, v24, v34, -v88
	v_fma_f32 v24, v24, v36, -v90
	v_dual_mul_f32 v37, v31, v47 :: v_dual_mul_f32 v90, v33, v57
	v_fma_f32 v26, v28, v34, -v26
	v_fma_f32 v28, v28, v36, -v35
	v_fmac_f32_e32 v25, v29, v36
	v_dual_mul_f32 v35, v50, v47 :: v_dual_mul_f32 v36, v51, v49
	v_dual_fmac_f32 v27, v29, v34 :: v_dual_mul_f32 v34, v51, v47
	v_dual_mul_f32 v88, v32, v55 :: v_dual_mul_f32 v29, v30, v49
	v_mul_f32_e32 v87, v31, v49
	v_fma_f32 v37, v30, v46, -v37
	v_add_f32_e32 v16, v16, v83
	s_delay_alu instid0(VALU_DEP_4)
	v_dual_fmac_f32 v88, v33, v54 :: v_dual_fmac_f32 v29, v31, v48
	v_fma_f32 v31, v50, v46, -v34
	v_fma_f32 v34, v50, v48, -v36
	v_mul_f32_e32 v36, v32, v57
	v_mul_f32_e32 v47, v50, v49
	v_dual_mul_f32 v50, v53, v57 :: v_dual_fmac_f32 v35, v51, v46
	v_mul_f32_e32 v46, v53, v55
	v_mul_f32_e32 v49, v33, v55
	v_fma_f32 v30, v30, v48, -v87
	v_fmac_f32_e32 v36, v33, v56
	v_dual_fmac_f32 v47, v51, v48 :: v_dual_mul_f32 v48, v52, v55
	v_mul_f32_e32 v33, v52, v57
	v_fma_f32 v46, v52, v54, -v46
	v_fma_f32 v50, v52, v56, -v50
	v_mul_f32_e32 v52, v38, v61
	v_fma_f32 v49, v32, v54, -v49
	v_fma_f32 v32, v32, v56, -v90
	v_dual_mul_f32 v51, v39, v59 :: v_dual_fmac_f32 v48, v53, v54
	v_mul_f32_e32 v54, v70, v59
	v_dual_mul_f32 v55, v38, v59 :: v_dual_fmac_f32 v52, v39, v60
	v_fmac_f32_e32 v33, v53, v56
	v_mul_f32_e32 v53, v71, v59
	v_mul_f32_e32 v56, v71, v61
	;; [unrolled: 1-line block ×3, first 2 shown]
	v_fmac_f32_e32 v54, v71, v58
	v_fmac_f32_e32 v55, v39, v58
	v_fma_f32 v39, v70, v58, -v53
	v_fma_f32 v53, v70, v60, -v56
	v_mul_f32_e32 v56, v40, v65
	v_mul_f32_e32 v59, v70, v61
	v_fma_f32 v51, v38, v58, -v51
	v_mul_f32_e32 v58, v72, v63
	v_mul_f32_e32 v87, v40, v63
	;; [unrolled: 1-line block ×4, first 2 shown]
	v_fma_f32 v38, v38, v60, -v57
	v_mul_f32_e32 v57, v73, v63
	v_fmac_f32_e32 v56, v41, v64
	v_dual_fmac_f32 v59, v71, v60 :: v_dual_mul_f32 v60, v73, v65
	v_mul_f32_e32 v63, v43, v67
	v_mul_f32_e32 v70, v43, v69
	v_fmac_f32_e32 v58, v73, v62
	v_fmac_f32_e32 v87, v41, v62
	v_mul_f32_e32 v41, v72, v65
	v_fma_f32 v61, v40, v62, -v61
	v_fma_f32 v40, v40, v64, -v90
	v_mul_f32_e32 v65, v42, v67
	v_fma_f32 v57, v72, v62, -v57
	v_fma_f32 v60, v72, v64, -v60
	v_dual_fmac_f32 v41, v73, v64 :: v_dual_mul_f32 v62, v42, v69
	v_mul_f32_e32 v64, v75, v67
	v_fma_f32 v63, v42, v66, -v63
	v_fma_f32 v42, v42, v68, -v70
	v_mul_f32_e32 v70, v76, v79
	v_mul_f32_e32 v67, v74, v67
	;; [unrolled: 1-line block ×3, first 2 shown]
	v_dual_mul_f32 v69, v74, v69 :: v_dual_add_f32 v8, v8, v23
	v_dual_mul_f32 v73, v44, v79 :: v_dual_add_f32 v10, v10, v22
	v_dual_fmac_f32 v65, v43, v66 :: v_dual_add_f32 v16, v16, v89
	v_fmac_f32_e32 v62, v43, v68
	v_fma_f32 v43, v74, v66, -v64
	v_fmac_f32_e32 v70, v77, v78
	v_dual_fmac_f32 v67, v75, v66 :: v_dual_add_f32 v10, v10, v24
	v_mul_f32_e32 v66, v44, v81
	v_mul_f32_e32 v72, v45, v79
	v_dual_mul_f32 v90, v45, v81 :: v_dual_fmac_f32 v69, v75, v68
	v_add_f32_e32 v0, v0, v18
	v_fmac_f32_e32 v73, v45, v78
	v_dual_fmac_f32 v66, v45, v80 :: v_dual_mul_f32 v45, v76, v81
	v_add_f32_e32 v10, v10, v30
	v_fma_f32 v64, v74, v68, -v71
	v_dual_mul_f32 v71, v77, v81 :: v_dual_add_f32 v8, v8, v26
	s_delay_alu instid0(VALU_DEP_4) | instskip(SKIP_4) | instid1(VALU_DEP_4)
	v_dual_fmac_f32 v45, v77, v80 :: v_dual_add_f32 v16, v16, v86
	v_add_f32_e32 v15, v15, v82
	v_add_f32_e32 v9, v9, v19
	v_dual_add_f32 v1, v1, v21 :: v_dual_add_f32 v10, v10, v32
	v_dual_add_f32 v0, v0, v28 :: v_dual_add_f32 v11, v11, v85
	v_dual_add_f32 v8, v8, v31 :: v_dual_add_f32 v15, v15, v84
	s_delay_alu instid0(VALU_DEP_4) | instskip(NEXT) | instid1(VALU_DEP_4)
	v_dual_add_f32 v16, v16, v88 :: v_dual_add_f32 v9, v9, v27
	v_dual_add_f32 v10, v10, v38 :: v_dual_add_f32 v1, v1, v25
	s_delay_alu instid0(VALU_DEP_4) | instskip(NEXT) | instid1(VALU_DEP_3)
	v_add_f32_e32 v0, v0, v34
	v_dual_add_f32 v16, v16, v55 :: v_dual_add_f32 v11, v11, v20
	v_dual_add_f32 v8, v8, v46 :: v_dual_add_f32 v15, v15, v37
	s_delay_alu instid0(VALU_DEP_4) | instskip(NEXT) | instid1(VALU_DEP_3)
	v_dual_add_f32 v1, v1, v47 :: v_dual_add_f32 v10, v10, v40
	v_dual_add_f32 v0, v0, v50 :: v_dual_add_f32 v11, v11, v29
	s_delay_alu instid0(VALU_DEP_4) | instskip(SKIP_1) | instid1(VALU_DEP_4)
	v_add_f32_e32 v16, v16, v87
	v_add_f32_e32 v9, v9, v35
	v_dual_add_f32 v1, v1, v33 :: v_dual_add_f32 v10, v10, v42
	s_delay_alu instid0(VALU_DEP_4)
	v_dual_add_f32 v8, v8, v39 :: v_dual_add_f32 v11, v11, v36
	v_add_f32_e32 v0, v0, v53
	v_add_f32_e32 v15, v15, v49
	v_dual_add_f32 v9, v9, v48 :: v_dual_add_f32 v16, v16, v65
	v_mul_f32_e32 v68, v77, v79
	v_fma_f32 v72, v44, v78, -v72
	v_fma_f32 v44, v44, v80, -v90
	s_delay_alu instid0(VALU_DEP_4) | instskip(SKIP_1) | instid1(VALU_DEP_3)
	v_dual_add_f32 v9, v9, v54 :: v_dual_add_f32 v16, v16, v73
	v_dual_add_f32 v1, v1, v59 :: v_dual_add_f32 v8, v8, v57
	v_add_f32_e32 v10, v10, v44
	v_add_f32_e32 v11, v11, v52
	v_dual_add_f32 v0, v0, v60 :: v_dual_add_f32 v15, v15, v51
	v_fma_f32 v68, v76, v78, -v68
	v_fma_f32 v71, v76, v80, -v71
	s_delay_alu instid0(VALU_DEP_3) | instskip(SKIP_2) | instid1(VALU_DEP_3)
	v_dual_add_f32 v9, v9, v58 :: v_dual_add_f32 v0, v0, v64
	v_dual_add_f32 v1, v1, v41 :: v_dual_add_f32 v8, v8, v43
	v_add_f32_e32 v15, v15, v61
	v_dual_add_f32 v11, v11, v56 :: v_dual_add_f32 v0, v0, v71
	s_delay_alu instid0(VALU_DEP_4) | instskip(NEXT) | instid1(VALU_DEP_4)
	v_add_f32_e32 v9, v9, v67
	v_dual_add_f32 v1, v1, v69 :: v_dual_add_f32 v8, v8, v68
	s_delay_alu instid0(VALU_DEP_4) | instskip(NEXT) | instid1(VALU_DEP_4)
	v_add_f32_e32 v15, v15, v63
	v_add_f32_e32 v11, v11, v62
	s_delay_alu instid0(VALU_DEP_4) | instskip(NEXT) | instid1(VALU_DEP_4)
	v_add_f32_e32 v9, v9, v70
	v_add_f32_e32 v1, v1, v45
	;; [unrolled: 3-line block ×3, first 2 shown]
	s_cbranch_scc0 .LBB338_2
.LBB338_3:
	s_clause 0x2
	s_load_b32 s3, s[0:1], 0x50
	s_load_b64 s[6:7], s[0:1], 0x58
	s_load_b64 s[8:9], s[0:1], 0x48
	v_add_nc_u32_e32 v7, s13, v7
	v_add_nc_u32_e32 v2, s12, v6
	s_delay_alu instid0(VALU_DEP_2)
	v_cmp_gt_i32_e32 vcc_lo, s2, v7
	s_waitcnt lgkmcnt(0)
	v_mad_i64_i32 v[3:4], null, v7, s3, 0
	s_mul_i32 s1, s15, s7
	s_mul_hi_u32 s7, s15, s6
	s_mul_i32 s0, s15, s6
	s_add_i32 s1, s7, s1
	s_delay_alu instid0(SALU_CYCLE_1) | instskip(NEXT) | instid1(VALU_DEP_1)
	s_lshl_b64 s[6:7], s[0:1], 3
	v_lshlrev_b64 v[3:4], 3, v[3:4]
	s_add_u32 s6, s8, s6
	v_cmp_le_i32_e64 s0, v2, v7
	s_addc_u32 s7, s9, s7
	s_delay_alu instid0(VALU_DEP_2) | instskip(NEXT) | instid1(VALU_DEP_1)
	v_add_co_u32 v6, s1, s6, v3
	v_add_co_ci_u32_e64 v12, s1, s7, v4, s1
	s_delay_alu instid0(VALU_DEP_3) | instskip(NEXT) | instid1(SALU_CYCLE_1)
	s_and_b32 s0, vcc_lo, s0
	s_and_saveexec_b32 s1, s0
	s_cbranch_execz .LBB338_6
; %bb.4:
	v_ashrrev_i32_e32 v3, 31, v2
	v_mul_f32_e32 v14, s4, v16
	v_mul_f32_e32 v5, s5, v16
	s_delay_alu instid0(VALU_DEP_3) | instskip(NEXT) | instid1(VALU_DEP_3)
	v_lshlrev_b64 v[3:4], 3, v[2:3]
	v_fmac_f32_e32 v14, s5, v15
	s_delay_alu instid0(VALU_DEP_3) | instskip(NEXT) | instid1(VALU_DEP_3)
	v_fma_f32 v13, v15, s4, -v5
	v_add_co_u32 v3, s0, v6, v3
	s_delay_alu instid0(VALU_DEP_1)
	v_add_co_ci_u32_e64 v4, s0, v12, v4, s0
	v_cmp_eq_u32_e64 s0, v7, v2
	global_store_b64 v[3:4], v[13:14], off
	s_and_b32 exec_lo, exec_lo, s0
	s_cbranch_execz .LBB338_6
; %bb.5:
	v_mov_b32_e32 v5, 0
	global_store_b32 v[3:4], v5, off offset:4
.LBB338_6:
	s_or_b32 exec_lo, exec_lo, s1
	v_add_nc_u32_e32 v4, 16, v2
	s_delay_alu instid0(VALU_DEP_1) | instskip(NEXT) | instid1(VALU_DEP_1)
	v_cmp_le_i32_e64 s0, v4, v7
	s_and_b32 s1, vcc_lo, s0
	s_delay_alu instid0(SALU_CYCLE_1)
	s_and_saveexec_b32 s0, s1
	s_cbranch_execz .LBB338_9
; %bb.7:
	v_ashrrev_i32_e32 v5, 31, v4
	v_mul_f32_e32 v14, s4, v11
	v_mul_f32_e32 v3, s5, v11
	s_delay_alu instid0(VALU_DEP_3) | instskip(NEXT) | instid1(VALU_DEP_3)
	v_lshlrev_b64 v[15:16], 3, v[4:5]
	v_fmac_f32_e32 v14, s5, v10
	s_delay_alu instid0(VALU_DEP_3) | instskip(NEXT) | instid1(VALU_DEP_3)
	v_fma_f32 v13, v10, s4, -v3
	v_add_co_u32 v5, vcc_lo, v6, v15
	s_delay_alu instid0(VALU_DEP_4)
	v_add_co_ci_u32_e32 v6, vcc_lo, v12, v16, vcc_lo
	v_cmp_eq_u32_e32 vcc_lo, v7, v4
	global_store_b64 v[5:6], v[13:14], off
	s_and_b32 exec_lo, exec_lo, vcc_lo
	s_cbranch_execz .LBB338_9
; %bb.8:
	v_mov_b32_e32 v3, 0
	global_store_b32 v[5:6], v3, off offset:4
.LBB338_9:
	s_or_b32 exec_lo, exec_lo, s0
	v_add_nc_u32_e32 v12, 16, v7
	s_delay_alu instid0(VALU_DEP_1) | instskip(SKIP_2) | instid1(VALU_DEP_1)
	v_mad_i64_i32 v[5:6], null, v12, s3, 0
	v_cmp_gt_i32_e32 vcc_lo, s2, v12
	v_cmp_le_i32_e64 s0, v2, v12
	s_and_b32 s0, vcc_lo, s0
	s_delay_alu instid0(VALU_DEP_3) | instskip(NEXT) | instid1(VALU_DEP_1)
	v_lshlrev_b64 v[5:6], 3, v[5:6]
	v_add_co_u32 v10, s1, s6, v5
	s_delay_alu instid0(VALU_DEP_1)
	v_add_co_ci_u32_e64 v11, s1, s7, v6, s1
	s_and_saveexec_b32 s1, s0
	s_cbranch_execz .LBB338_12
; %bb.10:
	v_ashrrev_i32_e32 v3, 31, v2
	v_mul_f32_e32 v14, s4, v9
	v_mul_f32_e32 v13, s5, v9
	s_delay_alu instid0(VALU_DEP_3) | instskip(NEXT) | instid1(VALU_DEP_3)
	v_lshlrev_b64 v[5:6], 3, v[2:3]
	v_fmac_f32_e32 v14, s5, v8
	s_delay_alu instid0(VALU_DEP_3) | instskip(NEXT) | instid1(VALU_DEP_3)
	v_fma_f32 v13, v8, s4, -v13
	v_add_co_u32 v5, s0, v10, v5
	s_delay_alu instid0(VALU_DEP_1)
	v_add_co_ci_u32_e64 v6, s0, v11, v6, s0
	v_cmp_eq_u32_e64 s0, v12, v2
	global_store_b64 v[5:6], v[13:14], off
	s_and_b32 exec_lo, exec_lo, s0
	s_cbranch_execz .LBB338_12
; %bb.11:
	v_mov_b32_e32 v3, 0
	global_store_b32 v[5:6], v3, off offset:4
.LBB338_12:
	s_or_b32 exec_lo, exec_lo, s1
	v_cmp_le_i32_e64 s0, v4, v12
	s_delay_alu instid0(VALU_DEP_1) | instskip(NEXT) | instid1(SALU_CYCLE_1)
	s_and_b32 s0, vcc_lo, s0
	s_and_saveexec_b32 s1, s0
	s_cbranch_execz .LBB338_15
; %bb.13:
	v_ashrrev_i32_e32 v5, 31, v4
	v_mul_f32_e32 v8, s5, v1
	v_mul_f32_e32 v6, s4, v1
	s_delay_alu instid0(VALU_DEP_3) | instskip(NEXT) | instid1(VALU_DEP_3)
	v_lshlrev_b64 v[3:4], 3, v[4:5]
	v_fma_f32 v5, v0, s4, -v8
	s_delay_alu instid0(VALU_DEP_3) | instskip(NEXT) | instid1(VALU_DEP_3)
	v_fmac_f32_e32 v6, s5, v0
	v_add_co_u32 v0, vcc_lo, v10, v3
	s_delay_alu instid0(VALU_DEP_4)
	v_add_co_ci_u32_e32 v1, vcc_lo, v11, v4, vcc_lo
	v_cmp_eq_u32_e32 vcc_lo, v7, v2
	global_store_b64 v[0:1], v[5:6], off
	s_and_b32 exec_lo, exec_lo, vcc_lo
	s_cbranch_execz .LBB338_15
; %bb.14:
	v_mov_b32_e32 v2, 0
	global_store_b32 v[0:1], v2, off offset:4
.LBB338_15:
	s_nop 0
	s_sendmsg sendmsg(MSG_DEALLOC_VGPRS)
	s_endpgm
	.section	.rodata,"a",@progbits
	.p2align	6, 0x0
	.amdhsa_kernel _ZL37rocblas_syrkx_herkx_restricted_kernelIi19rocblas_complex_numIfELi16ELi32ELi8ELb1ELb1ELc67ELc85EKS1_S1_EviT_T0_PT8_S3_lS6_S3_lS4_PT9_S3_li
		.amdhsa_group_segment_fixed_size 4096
		.amdhsa_private_segment_fixed_size 0
		.amdhsa_kernarg_size 100
		.amdhsa_user_sgpr_count 13
		.amdhsa_user_sgpr_dispatch_ptr 0
		.amdhsa_user_sgpr_queue_ptr 0
		.amdhsa_user_sgpr_kernarg_segment_ptr 1
		.amdhsa_user_sgpr_dispatch_id 0
		.amdhsa_user_sgpr_private_segment_size 0
		.amdhsa_wavefront_size32 1
		.amdhsa_uses_dynamic_stack 0
		.amdhsa_enable_private_segment 0
		.amdhsa_system_sgpr_workgroup_id_x 1
		.amdhsa_system_sgpr_workgroup_id_y 1
		.amdhsa_system_sgpr_workgroup_id_z 1
		.amdhsa_system_sgpr_workgroup_info 0
		.amdhsa_system_vgpr_workitem_id 1
		.amdhsa_next_free_vgpr 91
		.amdhsa_next_free_sgpr 20
		.amdhsa_reserve_vcc 1
		.amdhsa_float_round_mode_32 0
		.amdhsa_float_round_mode_16_64 0
		.amdhsa_float_denorm_mode_32 3
		.amdhsa_float_denorm_mode_16_64 3
		.amdhsa_dx10_clamp 1
		.amdhsa_ieee_mode 1
		.amdhsa_fp16_overflow 0
		.amdhsa_workgroup_processor_mode 1
		.amdhsa_memory_ordered 1
		.amdhsa_forward_progress 0
		.amdhsa_shared_vgpr_count 0
		.amdhsa_exception_fp_ieee_invalid_op 0
		.amdhsa_exception_fp_denorm_src 0
		.amdhsa_exception_fp_ieee_div_zero 0
		.amdhsa_exception_fp_ieee_overflow 0
		.amdhsa_exception_fp_ieee_underflow 0
		.amdhsa_exception_fp_ieee_inexact 0
		.amdhsa_exception_int_div_zero 0
	.end_amdhsa_kernel
	.section	.text._ZL37rocblas_syrkx_herkx_restricted_kernelIi19rocblas_complex_numIfELi16ELi32ELi8ELb1ELb1ELc67ELc85EKS1_S1_EviT_T0_PT8_S3_lS6_S3_lS4_PT9_S3_li,"axG",@progbits,_ZL37rocblas_syrkx_herkx_restricted_kernelIi19rocblas_complex_numIfELi16ELi32ELi8ELb1ELb1ELc67ELc85EKS1_S1_EviT_T0_PT8_S3_lS6_S3_lS4_PT9_S3_li,comdat
.Lfunc_end338:
	.size	_ZL37rocblas_syrkx_herkx_restricted_kernelIi19rocblas_complex_numIfELi16ELi32ELi8ELb1ELb1ELc67ELc85EKS1_S1_EviT_T0_PT8_S3_lS6_S3_lS4_PT9_S3_li, .Lfunc_end338-_ZL37rocblas_syrkx_herkx_restricted_kernelIi19rocblas_complex_numIfELi16ELi32ELi8ELb1ELb1ELc67ELc85EKS1_S1_EviT_T0_PT8_S3_lS6_S3_lS4_PT9_S3_li
                                        ; -- End function
	.section	.AMDGPU.csdata,"",@progbits
; Kernel info:
; codeLenInByte = 2256
; NumSgprs: 22
; NumVgprs: 91
; ScratchSize: 0
; MemoryBound: 0
; FloatMode: 240
; IeeeMode: 1
; LDSByteSize: 4096 bytes/workgroup (compile time only)
; SGPRBlocks: 2
; VGPRBlocks: 11
; NumSGPRsForWavesPerEU: 22
; NumVGPRsForWavesPerEU: 91
; Occupancy: 16
; WaveLimiterHint : 0
; COMPUTE_PGM_RSRC2:SCRATCH_EN: 0
; COMPUTE_PGM_RSRC2:USER_SGPR: 13
; COMPUTE_PGM_RSRC2:TRAP_HANDLER: 0
; COMPUTE_PGM_RSRC2:TGID_X_EN: 1
; COMPUTE_PGM_RSRC2:TGID_Y_EN: 1
; COMPUTE_PGM_RSRC2:TGID_Z_EN: 1
; COMPUTE_PGM_RSRC2:TIDIG_COMP_CNT: 1
	.section	.text._ZL37rocblas_syrkx_herkx_restricted_kernelIi19rocblas_complex_numIfELi16ELi32ELi8ELb1ELb1ELc78ELc85EKS1_S1_EviT_T0_PT8_S3_lS6_S3_lS4_PT9_S3_li,"axG",@progbits,_ZL37rocblas_syrkx_herkx_restricted_kernelIi19rocblas_complex_numIfELi16ELi32ELi8ELb1ELb1ELc78ELc85EKS1_S1_EviT_T0_PT8_S3_lS6_S3_lS4_PT9_S3_li,comdat
	.globl	_ZL37rocblas_syrkx_herkx_restricted_kernelIi19rocblas_complex_numIfELi16ELi32ELi8ELb1ELb1ELc78ELc85EKS1_S1_EviT_T0_PT8_S3_lS6_S3_lS4_PT9_S3_li ; -- Begin function _ZL37rocblas_syrkx_herkx_restricted_kernelIi19rocblas_complex_numIfELi16ELi32ELi8ELb1ELb1ELc78ELc85EKS1_S1_EviT_T0_PT8_S3_lS6_S3_lS4_PT9_S3_li
	.p2align	8
	.type	_ZL37rocblas_syrkx_herkx_restricted_kernelIi19rocblas_complex_numIfELi16ELi32ELi8ELb1ELb1ELc78ELc85EKS1_S1_EviT_T0_PT8_S3_lS6_S3_lS4_PT9_S3_li,@function
_ZL37rocblas_syrkx_herkx_restricted_kernelIi19rocblas_complex_numIfELi16ELi32ELi8ELb1ELb1ELc78ELc85EKS1_S1_EviT_T0_PT8_S3_lS6_S3_lS4_PT9_S3_li: ; @_ZL37rocblas_syrkx_herkx_restricted_kernelIi19rocblas_complex_numIfELi16ELi32ELi8ELb1ELb1ELc78ELc85EKS1_S1_EviT_T0_PT8_S3_lS6_S3_lS4_PT9_S3_li
; %bb.0:
	s_clause 0x1
	s_load_b64 s[2:3], s[0:1], 0x0
	s_load_b128 s[4:7], s[0:1], 0x8
	v_dual_mov_b32 v17, 0 :: v_dual_and_b32 v4, 0x3ff, v0
	v_bfe_u32 v7, v0, 10, 10
	v_dual_mov_b32 v16, 0 :: v_dual_mov_b32 v11, 0
	v_dual_mov_b32 v10, 0 :: v_dual_mov_b32 v9, 0
	;; [unrolled: 1-line block ×3, first 2 shown]
	v_mov_b32_e32 v6, 0
	s_lshl_b32 s12, s13, 5
	s_lshl_b32 s13, s14, 5
	s_mov_b32 s14, 0
	s_waitcnt lgkmcnt(0)
	s_cmp_lt_i32 s3, 1
	s_cbranch_scc1 .LBB339_3
; %bb.1:
	s_clause 0x1
	s_load_b32 s16, s[0:1], 0x18
	s_load_b32 s18, s[0:1], 0x30
	v_lshl_add_u32 v0, v7, 4, v4
	v_and_b32_e32 v8, 7, v4
	s_clause 0x1
	s_load_b128 s[8:11], s[0:1], 0x20
	s_load_b64 s[20:21], s[0:1], 0x38
	v_lshlrev_b32_e32 v14, 3, v4
	v_lshrrev_b32_e32 v1, 3, v0
	v_and_b32_e32 v2, 31, v0
	v_lshrrev_b32_e32 v9, 5, v0
	v_lshlrev_b32_e32 v3, 3, v8
	s_delay_alu instid0(VALU_DEP_4) | instskip(NEXT) | instid1(VALU_DEP_4)
	v_dual_mov_b32 v11, 0 :: v_dual_add_nc_u32 v0, s13, v1
	v_lshlrev_b32_e32 v5, 3, v2
	v_dual_mov_b32 v17, 0 :: v_dual_add_nc_u32 v2, s12, v2
	s_delay_alu instid0(VALU_DEP_4) | instskip(NEXT) | instid1(VALU_DEP_4)
	v_lshl_or_b32 v10, v1, 6, v3
	v_ashrrev_i32_e32 v1, 31, v0
	s_delay_alu instid0(VALU_DEP_4) | instskip(NEXT) | instid1(VALU_DEP_4)
	v_lshl_or_b32 v12, v9, 8, v5
	v_ashrrev_i32_e32 v3, 31, v2
	s_waitcnt lgkmcnt(0)
	s_ashr_i32 s17, s16, 31
	s_ashr_i32 s19, s18, 31
	v_mad_i64_i32 v[5:6], null, s18, v8, v[0:1]
	v_mad_i64_i32 v[0:1], null, s16, v9, v[2:3]
	s_mul_i32 s9, s9, s15
	s_mul_hi_u32 s22, s8, s15
	s_mul_i32 s8, s8, s15
	s_add_i32 s9, s22, s9
	v_dual_mov_b32 v10, 0 :: v_dual_add_nc_u32 v13, 0x800, v10
	s_delay_alu instid0(VALU_DEP_2)
	v_lshlrev_b64 v[0:1], 3, v[0:1]
	s_lshl_b64 s[8:9], s[8:9], 3
	v_lshl_add_u32 v15, v7, 6, 0x800
	s_add_u32 s6, s6, s8
	s_addc_u32 s7, s7, s9
	s_mul_i32 s8, s21, s15
	s_mul_hi_u32 s9, s20, s15
	v_add_co_u32 v2, vcc_lo, s6, v0
	v_add_co_ci_u32_e32 v3, vcc_lo, s7, v1, vcc_lo
	s_add_i32 s7, s9, s8
	s_mul_i32 s6, s20, s15
	v_lshlrev_b64 v[0:1], 3, v[5:6]
	s_lshl_b64 s[8:9], s[6:7], 3
	s_lshl_b64 s[6:7], s[16:17], 6
	s_add_u32 s8, s10, s8
	s_addc_u32 s9, s11, s9
	v_mov_b32_e32 v9, 0
	v_add_co_u32 v5, vcc_lo, s8, v0
	v_add_co_ci_u32_e32 v6, vcc_lo, s9, v1, vcc_lo
	v_add_co_u32 v0, vcc_lo, v2, 4
	v_add_co_ci_u32_e32 v1, vcc_lo, 0, v3, vcc_lo
	s_delay_alu instid0(VALU_DEP_4) | instskip(NEXT) | instid1(VALU_DEP_4)
	v_add_co_u32 v2, vcc_lo, v5, 4
	v_add_co_ci_u32_e32 v3, vcc_lo, 0, v6, vcc_lo
	v_dual_mov_b32 v6, 0 :: v_dual_mov_b32 v5, 0
	v_mov_b32_e32 v8, 0
	v_mov_b32_e32 v16, 0
	s_lshl_b64 s[8:9], s[18:19], 6
.LBB339_2:                              ; =>This Inner Loop Header: Depth=1
	global_load_b64 v[18:19], v[2:3], off offset:-4
	global_load_b64 v[20:21], v[0:1], off offset:-4
	v_add_co_u32 v0, vcc_lo, v0, s6
	v_add_co_ci_u32_e32 v1, vcc_lo, s7, v1, vcc_lo
	v_add_co_u32 v2, vcc_lo, v2, s8
	v_add_co_ci_u32_e32 v3, vcc_lo, s9, v3, vcc_lo
	s_add_i32 s14, s14, 8
	s_delay_alu instid0(SALU_CYCLE_1)
	s_cmp_ge_i32 s14, s3
	s_waitcnt vmcnt(1)
	v_xor_b32_e32 v19, 0x80000000, v19
	s_waitcnt vmcnt(0)
	ds_store_b64 v12, v[20:21]
	ds_store_b64 v13, v[18:19]
	s_waitcnt lgkmcnt(0)
	s_barrier
	buffer_gl0_inv
	ds_load_2addr_b64 v[18:21], v14 offset1:16
	ds_load_b128 v[22:25], v15
	ds_load_b128 v[26:29], v15 offset:1024
	ds_load_b128 v[30:33], v15 offset:16
	ds_load_2addr_b64 v[34:37], v14 offset0:32 offset1:48
	ds_load_b128 v[38:41], v15 offset:32
	ds_load_b128 v[42:45], v15 offset:48
	ds_load_2addr_b64 v[46:49], v14 offset0:64 offset1:80
	ds_load_b128 v[50:53], v15 offset:1040
	ds_load_2addr_b64 v[54:57], v14 offset0:96 offset1:112
	ds_load_2addr_b64 v[58:61], v14 offset0:128 offset1:144
	;; [unrolled: 1-line block ×4, first 2 shown]
	ds_load_b128 v[70:73], v15 offset:1056
	ds_load_b128 v[74:77], v15 offset:1072
	ds_load_2addr_b64 v[78:81], v14 offset0:224 offset1:240
	s_waitcnt lgkmcnt(0)
	s_barrier
	buffer_gl0_inv
	v_dual_mul_f32 v82, v23, v19 :: v_dual_mul_f32 v85, v22, v21
	v_dual_mul_f32 v83, v22, v19 :: v_dual_mul_f32 v84, v23, v21
	v_mul_f32_e32 v86, v27, v19
	v_dual_mul_f32 v19, v26, v19 :: v_dual_mul_f32 v90, v25, v37
	v_dual_mul_f32 v87, v27, v21 :: v_dual_mul_f32 v88, v25, v35
	v_mul_f32_e32 v21, v26, v21
	v_mul_f32_e32 v89, v24, v35
	;; [unrolled: 1-line block ×3, first 2 shown]
	v_fma_f32 v82, v22, v18, -v82
	v_fmac_f32_e32 v83, v23, v18
	v_fma_f32 v22, v22, v20, -v84
	v_dual_fmac_f32 v85, v23, v20 :: v_dual_mul_f32 v84, v30, v47
	v_fma_f32 v23, v26, v18, -v86
	v_fmac_f32_e32 v19, v27, v18
	v_fma_f32 v18, v26, v20, -v87
	v_dual_mul_f32 v26, v28, v35 :: v_dual_fmac_f32 v21, v27, v20
	v_mul_f32_e32 v20, v29, v35
	v_mul_f32_e32 v27, v29, v37
	v_dual_mul_f32 v35, v28, v37 :: v_dual_fmac_f32 v84, v31, v46
	v_fma_f32 v37, v24, v34, -v88
	v_fma_f32 v24, v24, v36, -v90
	v_dual_fmac_f32 v91, v25, v36 :: v_dual_mul_f32 v90, v32, v57
	v_dual_mul_f32 v86, v31, v49 :: v_dual_fmac_f32 v89, v25, v34
	v_dual_mul_f32 v25, v31, v47 :: v_dual_mul_f32 v88, v33, v57
	v_fma_f32 v20, v28, v34, -v20
	v_fmac_f32_e32 v26, v29, v34
	v_fma_f32 v27, v28, v36, -v27
	v_dual_fmac_f32 v35, v29, v36 :: v_dual_mul_f32 v28, v51, v47
	v_dual_mul_f32 v29, v50, v47 :: v_dual_mul_f32 v34, v51, v49
	v_mul_f32_e32 v36, v50, v49
	v_mul_f32_e32 v87, v30, v49
	;; [unrolled: 1-line block ×3, first 2 shown]
	v_dual_mul_f32 v49, v32, v55 :: v_dual_fmac_f32 v90, v33, v56
	v_fma_f32 v25, v30, v46, -v25
	v_fma_f32 v30, v30, v48, -v86
	;; [unrolled: 1-line block ×3, first 2 shown]
	v_fmac_f32_e32 v36, v51, v48
	v_fmac_f32_e32 v87, v31, v48
	v_fma_f32 v31, v50, v48, -v34
	v_mul_f32_e32 v34, v53, v55
	v_mul_f32_e32 v48, v53, v57
	v_dual_mul_f32 v50, v52, v57 :: v_dual_fmac_f32 v29, v51, v46
	v_mul_f32_e32 v46, v52, v55
	v_fma_f32 v47, v32, v54, -v47
	v_fmac_f32_e32 v49, v33, v54
	v_fma_f32 v32, v32, v56, -v88
	s_delay_alu instid0(VALU_DEP_4)
	v_dual_mul_f32 v33, v39, v59 :: v_dual_fmac_f32 v46, v53, v54
	v_mul_f32_e32 v51, v38, v59
	v_mul_f32_e32 v55, v39, v61
	v_fma_f32 v34, v52, v54, -v34
	v_fma_f32 v48, v52, v56, -v48
	v_fmac_f32_e32 v50, v53, v56
	v_mul_f32_e32 v52, v71, v59
	v_dual_mul_f32 v53, v70, v59 :: v_dual_mul_f32 v86, v41, v65
	v_mul_f32_e32 v54, v71, v61
	v_dual_mul_f32 v56, v70, v61 :: v_dual_mul_f32 v59, v41, v63
	v_mul_f32_e32 v57, v38, v61
	v_mul_f32_e32 v61, v40, v63
	v_dual_mul_f32 v88, v40, v65 :: v_dual_fmac_f32 v51, v39, v58
	v_fma_f32 v33, v38, v58, -v33
	v_fmac_f32_e32 v53, v71, v58
	v_fmac_f32_e32 v56, v71, v60
	s_delay_alu instid0(VALU_DEP_4)
	v_fmac_f32_e32 v88, v41, v64
	v_fmac_f32_e32 v57, v39, v60
	v_fma_f32 v39, v70, v58, -v52
	v_fma_f32 v52, v70, v60, -v54
	v_mul_f32_e32 v54, v73, v63
	v_fma_f32 v38, v38, v60, -v55
	v_mul_f32_e32 v60, v72, v65
	v_dual_mul_f32 v55, v72, v63 :: v_dual_mul_f32 v70, v42, v69
	v_mul_f32_e32 v58, v73, v65
	v_fma_f32 v59, v40, v62, -v59
	v_fmac_f32_e32 v61, v41, v62
	v_fma_f32 v40, v40, v64, -v86
	v_dual_mul_f32 v41, v43, v67 :: v_dual_fmac_f32 v60, v73, v64
	v_dual_mul_f32 v63, v42, v67 :: v_dual_mul_f32 v86, v44, v81
	v_mul_f32_e32 v65, v43, v69
	v_fma_f32 v54, v72, v62, -v54
	v_fmac_f32_e32 v55, v73, v62
	v_fma_f32 v58, v72, v64, -v58
	v_mul_f32_e32 v72, v44, v79
	v_mul_f32_e32 v62, v75, v67
	v_dual_mul_f32 v64, v74, v67 :: v_dual_mul_f32 v67, v75, v69
	v_dual_mul_f32 v69, v74, v69 :: v_dual_fmac_f32 v70, v43, v68
	s_delay_alu instid0(VALU_DEP_2)
	v_dual_mul_f32 v71, v45, v79 :: v_dual_fmac_f32 v64, v75, v66
	v_dual_mul_f32 v73, v45, v81 :: v_dual_add_f32 v16, v16, v82
	v_fma_f32 v41, v42, v66, -v41
	v_fmac_f32_e32 v63, v43, v66
	v_fma_f32 v42, v42, v68, -v65
	v_fma_f32 v43, v74, v66, -v62
	v_dual_mul_f32 v65, v77, v79 :: v_dual_add_f32 v10, v10, v22
	v_mul_f32_e32 v66, v76, v79
	v_fma_f32 v62, v74, v68, -v67
	v_dual_mul_f32 v67, v77, v81 :: v_dual_add_f32 v8, v8, v23
	v_dual_fmac_f32 v86, v45, v80 :: v_dual_add_f32 v11, v11, v85
	v_dual_add_f32 v17, v17, v83 :: v_dual_add_f32 v6, v6, v21
	v_dual_add_f32 v9, v9, v19 :: v_dual_add_f32 v16, v16, v37
	;; [unrolled: 1-line block ×3, first 2 shown]
	v_dual_fmac_f32 v69, v75, v68 :: v_dual_fmac_f32 v72, v45, v78
	v_mul_f32_e32 v68, v76, v81
	v_dual_fmac_f32 v66, v77, v78 :: v_dual_add_f32 v11, v11, v91
	v_dual_add_f32 v17, v17, v89 :: v_dual_add_f32 v8, v8, v20
	v_dual_add_f32 v9, v9, v26 :: v_dual_add_f32 v6, v6, v35
	v_dual_add_f32 v5, v5, v27 :: v_dual_add_f32 v16, v16, v25
	s_delay_alu instid0(VALU_DEP_4) | instskip(NEXT) | instid1(VALU_DEP_4)
	v_dual_fmac_f32 v68, v77, v80 :: v_dual_add_f32 v11, v11, v87
	v_dual_add_f32 v17, v17, v84 :: v_dual_add_f32 v10, v10, v30
	s_delay_alu instid0(VALU_DEP_4) | instskip(NEXT) | instid1(VALU_DEP_4)
	v_dual_add_f32 v8, v8, v28 :: v_dual_add_f32 v9, v9, v29
	v_dual_add_f32 v5, v5, v31 :: v_dual_add_f32 v6, v6, v36
	s_delay_alu instid0(VALU_DEP_3) | instskip(NEXT) | instid1(VALU_DEP_4)
	v_dual_add_f32 v16, v16, v47 :: v_dual_add_f32 v17, v17, v49
	v_dual_add_f32 v10, v10, v32 :: v_dual_add_f32 v11, v11, v90
	s_delay_alu instid0(VALU_DEP_3) | instskip(NEXT) | instid1(VALU_DEP_3)
	v_dual_add_f32 v8, v8, v34 :: v_dual_add_f32 v5, v5, v48
	v_dual_add_f32 v9, v9, v46 :: v_dual_add_f32 v16, v16, v33
	s_delay_alu instid0(VALU_DEP_4) | instskip(NEXT) | instid1(VALU_DEP_4)
	v_dual_add_f32 v6, v6, v50 :: v_dual_add_f32 v17, v17, v51
	v_dual_add_f32 v10, v10, v38 :: v_dual_add_f32 v11, v11, v57
	s_delay_alu instid0(VALU_DEP_3) | instskip(NEXT) | instid1(VALU_DEP_4)
	v_dual_add_f32 v8, v8, v39 :: v_dual_add_f32 v9, v9, v53
	v_dual_add_f32 v5, v5, v52 :: v_dual_add_f32 v16, v16, v59
	s_delay_alu instid0(VALU_DEP_4) | instskip(NEXT) | instid1(VALU_DEP_3)
	v_dual_add_f32 v6, v6, v56 :: v_dual_add_f32 v17, v17, v61
	v_dual_add_f32 v10, v10, v40 :: v_dual_add_f32 v9, v9, v55
	s_delay_alu instid0(VALU_DEP_4) | instskip(NEXT) | instid1(VALU_DEP_3)
	v_dual_add_f32 v11, v11, v88 :: v_dual_add_f32 v8, v8, v54
	v_dual_add_f32 v5, v5, v58 :: v_dual_add_f32 v6, v6, v60
	v_fma_f32 v71, v44, v78, -v71
	v_fma_f32 v44, v44, v80, -v73
	;; [unrolled: 1-line block ×4, first 2 shown]
	v_dual_add_f32 v16, v16, v41 :: v_dual_add_f32 v17, v17, v63
	v_dual_add_f32 v10, v10, v42 :: v_dual_add_f32 v9, v9, v64
	;; [unrolled: 1-line block ×4, first 2 shown]
	s_delay_alu instid0(VALU_DEP_4) | instskip(NEXT) | instid1(VALU_DEP_3)
	v_dual_add_f32 v16, v16, v71 :: v_dual_add_f32 v17, v17, v72
	v_dual_add_f32 v10, v10, v44 :: v_dual_add_f32 v11, v11, v86
	s_delay_alu instid0(VALU_DEP_4) | instskip(NEXT) | instid1(VALU_DEP_4)
	v_dual_add_f32 v8, v8, v45 :: v_dual_add_f32 v9, v9, v66
	v_dual_add_f32 v5, v5, v65 :: v_dual_add_f32 v6, v6, v68
	s_cbranch_scc0 .LBB339_2
.LBB339_3:
	s_clause 0x2
	s_load_b32 s3, s[0:1], 0x50
	s_load_b64 s[6:7], s[0:1], 0x58
	s_load_b64 s[8:9], s[0:1], 0x48
	v_add_nc_u32_e32 v7, s13, v7
	v_add_nc_u32_e32 v0, s12, v4
	s_delay_alu instid0(VALU_DEP_2)
	v_cmp_gt_i32_e32 vcc_lo, s2, v7
	s_waitcnt lgkmcnt(0)
	v_mad_i64_i32 v[1:2], null, v7, s3, 0
	s_mul_i32 s1, s15, s7
	s_mul_hi_u32 s7, s15, s6
	s_mul_i32 s0, s15, s6
	s_add_i32 s1, s7, s1
	s_delay_alu instid0(SALU_CYCLE_1) | instskip(NEXT) | instid1(VALU_DEP_1)
	s_lshl_b64 s[6:7], s[0:1], 3
	v_lshlrev_b64 v[1:2], 3, v[1:2]
	s_add_u32 s6, s8, s6
	v_cmp_le_i32_e64 s0, v0, v7
	s_addc_u32 s7, s9, s7
	s_delay_alu instid0(VALU_DEP_2) | instskip(NEXT) | instid1(VALU_DEP_1)
	v_add_co_u32 v4, s1, s6, v1
	v_add_co_ci_u32_e64 v12, s1, s7, v2, s1
	s_delay_alu instid0(VALU_DEP_3) | instskip(NEXT) | instid1(SALU_CYCLE_1)
	s_and_b32 s0, vcc_lo, s0
	s_and_saveexec_b32 s1, s0
	s_cbranch_execz .LBB339_6
; %bb.4:
	v_ashrrev_i32_e32 v1, 31, v0
	v_mul_f32_e32 v14, s4, v17
	v_mul_f32_e32 v3, s5, v17
	s_delay_alu instid0(VALU_DEP_3) | instskip(NEXT) | instid1(VALU_DEP_3)
	v_lshlrev_b64 v[1:2], 3, v[0:1]
	v_fmac_f32_e32 v14, s5, v16
	s_delay_alu instid0(VALU_DEP_3) | instskip(NEXT) | instid1(VALU_DEP_3)
	v_fma_f32 v13, v16, s4, -v3
	v_add_co_u32 v1, s0, v4, v1
	s_delay_alu instid0(VALU_DEP_1)
	v_add_co_ci_u32_e64 v2, s0, v12, v2, s0
	v_cmp_eq_u32_e64 s0, v7, v0
	global_store_b64 v[1:2], v[13:14], off
	s_and_b32 exec_lo, exec_lo, s0
	s_cbranch_execz .LBB339_6
; %bb.5:
	v_mov_b32_e32 v3, 0
	global_store_b32 v[1:2], v3, off offset:4
.LBB339_6:
	s_or_b32 exec_lo, exec_lo, s1
	v_add_nc_u32_e32 v2, 16, v0
	s_delay_alu instid0(VALU_DEP_1) | instskip(NEXT) | instid1(VALU_DEP_1)
	v_cmp_le_i32_e64 s0, v2, v7
	s_and_b32 s1, vcc_lo, s0
	s_delay_alu instid0(SALU_CYCLE_1)
	s_and_saveexec_b32 s0, s1
	s_cbranch_execz .LBB339_9
; %bb.7:
	v_ashrrev_i32_e32 v3, 31, v2
	v_mul_f32_e32 v14, s4, v11
	v_mul_f32_e32 v1, s5, v11
	s_delay_alu instid0(VALU_DEP_3) | instskip(NEXT) | instid1(VALU_DEP_3)
	v_lshlrev_b64 v[15:16], 3, v[2:3]
	v_fmac_f32_e32 v14, s5, v10
	s_delay_alu instid0(VALU_DEP_3) | instskip(NEXT) | instid1(VALU_DEP_3)
	v_fma_f32 v13, v10, s4, -v1
	v_add_co_u32 v3, vcc_lo, v4, v15
	s_delay_alu instid0(VALU_DEP_4)
	v_add_co_ci_u32_e32 v4, vcc_lo, v12, v16, vcc_lo
	v_cmp_eq_u32_e32 vcc_lo, v7, v2
	global_store_b64 v[3:4], v[13:14], off
	s_and_b32 exec_lo, exec_lo, vcc_lo
	s_cbranch_execz .LBB339_9
; %bb.8:
	v_mov_b32_e32 v1, 0
	global_store_b32 v[3:4], v1, off offset:4
.LBB339_9:
	s_or_b32 exec_lo, exec_lo, s0
	v_add_nc_u32_e32 v12, 16, v7
	s_delay_alu instid0(VALU_DEP_1) | instskip(SKIP_2) | instid1(VALU_DEP_1)
	v_mad_i64_i32 v[3:4], null, v12, s3, 0
	v_cmp_gt_i32_e32 vcc_lo, s2, v12
	v_cmp_le_i32_e64 s0, v0, v12
	s_and_b32 s0, vcc_lo, s0
	s_delay_alu instid0(VALU_DEP_3) | instskip(NEXT) | instid1(VALU_DEP_1)
	v_lshlrev_b64 v[3:4], 3, v[3:4]
	v_add_co_u32 v10, s1, s6, v3
	s_delay_alu instid0(VALU_DEP_1)
	v_add_co_ci_u32_e64 v11, s1, s7, v4, s1
	s_and_saveexec_b32 s1, s0
	s_cbranch_execz .LBB339_12
; %bb.10:
	v_ashrrev_i32_e32 v1, 31, v0
	v_mul_f32_e32 v14, s4, v9
	v_mul_f32_e32 v13, s5, v9
	s_delay_alu instid0(VALU_DEP_3) | instskip(NEXT) | instid1(VALU_DEP_3)
	v_lshlrev_b64 v[3:4], 3, v[0:1]
	v_fmac_f32_e32 v14, s5, v8
	s_delay_alu instid0(VALU_DEP_3) | instskip(NEXT) | instid1(VALU_DEP_3)
	v_fma_f32 v13, v8, s4, -v13
	v_add_co_u32 v3, s0, v10, v3
	s_delay_alu instid0(VALU_DEP_1)
	v_add_co_ci_u32_e64 v4, s0, v11, v4, s0
	v_cmp_eq_u32_e64 s0, v12, v0
	global_store_b64 v[3:4], v[13:14], off
	s_and_b32 exec_lo, exec_lo, s0
	s_cbranch_execz .LBB339_12
; %bb.11:
	v_mov_b32_e32 v1, 0
	global_store_b32 v[3:4], v1, off offset:4
.LBB339_12:
	s_or_b32 exec_lo, exec_lo, s1
	v_cmp_le_i32_e64 s0, v2, v12
	s_delay_alu instid0(VALU_DEP_1) | instskip(NEXT) | instid1(SALU_CYCLE_1)
	s_and_b32 s0, vcc_lo, s0
	s_and_saveexec_b32 s1, s0
	s_cbranch_execz .LBB339_15
; %bb.13:
	v_ashrrev_i32_e32 v3, 31, v2
	v_mul_f32_e32 v8, s5, v6
	v_mul_f32_e32 v4, s4, v6
	s_delay_alu instid0(VALU_DEP_3) | instskip(NEXT) | instid1(VALU_DEP_3)
	v_lshlrev_b64 v[1:2], 3, v[2:3]
	v_fma_f32 v3, v5, s4, -v8
	s_delay_alu instid0(VALU_DEP_3) | instskip(NEXT) | instid1(VALU_DEP_3)
	v_fmac_f32_e32 v4, s5, v5
	v_add_co_u32 v1, vcc_lo, v10, v1
	s_delay_alu instid0(VALU_DEP_4)
	v_add_co_ci_u32_e32 v2, vcc_lo, v11, v2, vcc_lo
	v_cmp_eq_u32_e32 vcc_lo, v7, v0
	global_store_b64 v[1:2], v[3:4], off
	s_and_b32 exec_lo, exec_lo, vcc_lo
	s_cbranch_execz .LBB339_15
; %bb.14:
	v_mov_b32_e32 v0, 0
	global_store_b32 v[1:2], v0, off offset:4
.LBB339_15:
	s_nop 0
	s_sendmsg sendmsg(MSG_DEALLOC_VGPRS)
	s_endpgm
	.section	.rodata,"a",@progbits
	.p2align	6, 0x0
	.amdhsa_kernel _ZL37rocblas_syrkx_herkx_restricted_kernelIi19rocblas_complex_numIfELi16ELi32ELi8ELb1ELb1ELc78ELc85EKS1_S1_EviT_T0_PT8_S3_lS6_S3_lS4_PT9_S3_li
		.amdhsa_group_segment_fixed_size 4096
		.amdhsa_private_segment_fixed_size 0
		.amdhsa_kernarg_size 100
		.amdhsa_user_sgpr_count 13
		.amdhsa_user_sgpr_dispatch_ptr 0
		.amdhsa_user_sgpr_queue_ptr 0
		.amdhsa_user_sgpr_kernarg_segment_ptr 1
		.amdhsa_user_sgpr_dispatch_id 0
		.amdhsa_user_sgpr_private_segment_size 0
		.amdhsa_wavefront_size32 1
		.amdhsa_uses_dynamic_stack 0
		.amdhsa_enable_private_segment 0
		.amdhsa_system_sgpr_workgroup_id_x 1
		.amdhsa_system_sgpr_workgroup_id_y 1
		.amdhsa_system_sgpr_workgroup_id_z 1
		.amdhsa_system_sgpr_workgroup_info 0
		.amdhsa_system_vgpr_workitem_id 1
		.amdhsa_next_free_vgpr 92
		.amdhsa_next_free_sgpr 23
		.amdhsa_reserve_vcc 1
		.amdhsa_float_round_mode_32 0
		.amdhsa_float_round_mode_16_64 0
		.amdhsa_float_denorm_mode_32 3
		.amdhsa_float_denorm_mode_16_64 3
		.amdhsa_dx10_clamp 1
		.amdhsa_ieee_mode 1
		.amdhsa_fp16_overflow 0
		.amdhsa_workgroup_processor_mode 1
		.amdhsa_memory_ordered 1
		.amdhsa_forward_progress 0
		.amdhsa_shared_vgpr_count 0
		.amdhsa_exception_fp_ieee_invalid_op 0
		.amdhsa_exception_fp_denorm_src 0
		.amdhsa_exception_fp_ieee_div_zero 0
		.amdhsa_exception_fp_ieee_overflow 0
		.amdhsa_exception_fp_ieee_underflow 0
		.amdhsa_exception_fp_ieee_inexact 0
		.amdhsa_exception_int_div_zero 0
	.end_amdhsa_kernel
	.section	.text._ZL37rocblas_syrkx_herkx_restricted_kernelIi19rocblas_complex_numIfELi16ELi32ELi8ELb1ELb1ELc78ELc85EKS1_S1_EviT_T0_PT8_S3_lS6_S3_lS4_PT9_S3_li,"axG",@progbits,_ZL37rocblas_syrkx_herkx_restricted_kernelIi19rocblas_complex_numIfELi16ELi32ELi8ELb1ELb1ELc78ELc85EKS1_S1_EviT_T0_PT8_S3_lS6_S3_lS4_PT9_S3_li,comdat
.Lfunc_end339:
	.size	_ZL37rocblas_syrkx_herkx_restricted_kernelIi19rocblas_complex_numIfELi16ELi32ELi8ELb1ELb1ELc78ELc85EKS1_S1_EviT_T0_PT8_S3_lS6_S3_lS4_PT9_S3_li, .Lfunc_end339-_ZL37rocblas_syrkx_herkx_restricted_kernelIi19rocblas_complex_numIfELi16ELi32ELi8ELb1ELb1ELc78ELc85EKS1_S1_EviT_T0_PT8_S3_lS6_S3_lS4_PT9_S3_li
                                        ; -- End function
	.section	.AMDGPU.csdata,"",@progbits
; Kernel info:
; codeLenInByte = 2284
; NumSgprs: 25
; NumVgprs: 92
; ScratchSize: 0
; MemoryBound: 0
; FloatMode: 240
; IeeeMode: 1
; LDSByteSize: 4096 bytes/workgroup (compile time only)
; SGPRBlocks: 3
; VGPRBlocks: 11
; NumSGPRsForWavesPerEU: 25
; NumVGPRsForWavesPerEU: 92
; Occupancy: 16
; WaveLimiterHint : 0
; COMPUTE_PGM_RSRC2:SCRATCH_EN: 0
; COMPUTE_PGM_RSRC2:USER_SGPR: 13
; COMPUTE_PGM_RSRC2:TRAP_HANDLER: 0
; COMPUTE_PGM_RSRC2:TGID_X_EN: 1
; COMPUTE_PGM_RSRC2:TGID_Y_EN: 1
; COMPUTE_PGM_RSRC2:TGID_Z_EN: 1
; COMPUTE_PGM_RSRC2:TIDIG_COMP_CNT: 1
	.section	.text._ZL37rocblas_syrkx_herkx_restricted_kernelIi19rocblas_complex_numIfELi16ELi32ELi8ELb0ELb1ELc84ELc76EKS1_S1_EviT_T0_PT8_S3_lS6_S3_lS4_PT9_S3_li,"axG",@progbits,_ZL37rocblas_syrkx_herkx_restricted_kernelIi19rocblas_complex_numIfELi16ELi32ELi8ELb0ELb1ELc84ELc76EKS1_S1_EviT_T0_PT8_S3_lS6_S3_lS4_PT9_S3_li,comdat
	.globl	_ZL37rocblas_syrkx_herkx_restricted_kernelIi19rocblas_complex_numIfELi16ELi32ELi8ELb0ELb1ELc84ELc76EKS1_S1_EviT_T0_PT8_S3_lS6_S3_lS4_PT9_S3_li ; -- Begin function _ZL37rocblas_syrkx_herkx_restricted_kernelIi19rocblas_complex_numIfELi16ELi32ELi8ELb0ELb1ELc84ELc76EKS1_S1_EviT_T0_PT8_S3_lS6_S3_lS4_PT9_S3_li
	.p2align	8
	.type	_ZL37rocblas_syrkx_herkx_restricted_kernelIi19rocblas_complex_numIfELi16ELi32ELi8ELb0ELb1ELc84ELc76EKS1_S1_EviT_T0_PT8_S3_lS6_S3_lS4_PT9_S3_li,@function
_ZL37rocblas_syrkx_herkx_restricted_kernelIi19rocblas_complex_numIfELi16ELi32ELi8ELb0ELb1ELc84ELc76EKS1_S1_EviT_T0_PT8_S3_lS6_S3_lS4_PT9_S3_li: ; @_ZL37rocblas_syrkx_herkx_restricted_kernelIi19rocblas_complex_numIfELi16ELi32ELi8ELb0ELb1ELc84ELc76EKS1_S1_EviT_T0_PT8_S3_lS6_S3_lS4_PT9_S3_li
; %bb.0:
	s_clause 0x3
	s_load_b64 s[2:3], s[0:1], 0x0
	s_load_b128 s[8:11], s[0:1], 0x8
	s_load_b128 s[4:7], s[0:1], 0x38
	s_load_b64 s[20:21], s[0:1], 0x48
	v_dual_mov_b32 v15, 0 :: v_dual_and_b32 v6, 0x3ff, v0
	v_bfe_u32 v8, v0, 10, 10
	v_dual_mov_b32 v16, 0 :: v_dual_mov_b32 v11, 0
	v_dual_mov_b32 v10, 0 :: v_dual_mov_b32 v7, 0
	;; [unrolled: 1-line block ×3, first 2 shown]
	v_mov_b32_e32 v1, 0
	s_lshl_b32 s12, s13, 5
	s_lshl_b32 s13, s14, 5
	s_mov_b32 s14, 0
	s_waitcnt lgkmcnt(0)
	s_cmp_lt_i32 s3, 1
	s_cbranch_scc1 .LBB340_3
; %bb.1:
	s_clause 0x2
	s_load_b128 s[16:19], s[0:1], 0x20
	s_load_b32 s22, s[0:1], 0x18
	s_load_b32 s23, s[0:1], 0x30
	v_lshl_add_u32 v2, v8, 4, v6
	v_dual_mov_b32 v1, 0 :: v_dual_and_b32 v0, 7, v6
	s_mul_i32 s5, s5, s15
	v_lshlrev_b32_e32 v12, 3, v6
	s_delay_alu instid0(VALU_DEP_3)
	v_and_b32_e32 v4, 31, v2
	v_lshrrev_b32_e32 v5, 3, v2
	v_mov_b32_e32 v3, v1
	v_lshlrev_b32_e32 v7, 3, v0
	v_lshrrev_b32_e32 v2, 5, v2
	v_dual_mov_b32 v16, v1 :: v_dual_add_nc_u32 v11, s12, v4
	v_lshlrev_b32_e32 v9, 3, v4
	v_add_nc_u32_e32 v10, s13, v5
	v_lshl_or_b32 v7, v5, 6, v7
	v_lshl_add_u32 v17, v8, 6, 0x800
	v_mov_b32_e32 v15, v1
	v_lshl_or_b32 v13, v2, 8, v9
	s_waitcnt lgkmcnt(0)
	v_mad_i64_i32 v[4:5], null, s22, v11, v[2:3]
	s_mul_i32 s17, s17, s15
	s_mul_hi_u32 s24, s16, s15
	v_mad_i64_i32 v[2:3], null, s23, v10, v[0:1]
	s_mul_i32 s16, s16, s15
	s_add_i32 s17, s24, s17
	s_delay_alu instid0(VALU_DEP_2)
	v_lshlrev_b64 v[4:5], 3, v[4:5]
	s_lshl_b64 s[16:17], s[16:17], 3
	v_dual_mov_b32 v11, v1 :: v_dual_add_nc_u32 v14, 0x800, v7
	s_add_u32 s10, s10, s16
	s_mul_hi_u32 s16, s4, s15
	s_addc_u32 s11, s11, s17
	s_add_i32 s5, s16, s5
	s_mul_i32 s4, s4, s15
	v_lshlrev_b64 v[2:3], 3, v[2:3]
	s_lshl_b64 s[4:5], s[4:5], 3
	v_add_co_u32 v0, vcc_lo, s10, v4
	s_add_u32 s4, s18, s4
	v_add_co_ci_u32_e32 v4, vcc_lo, s11, v5, vcc_lo
	s_addc_u32 s5, s19, s5
	v_add_co_u32 v5, vcc_lo, s4, v2
	v_add_co_ci_u32_e32 v7, vcc_lo, s5, v3, vcc_lo
	v_add_co_u32 v2, vcc_lo, v0, 4
	v_add_co_ci_u32_e32 v3, vcc_lo, 0, v4, vcc_lo
	s_delay_alu instid0(VALU_DEP_4) | instskip(NEXT) | instid1(VALU_DEP_4)
	v_add_co_u32 v4, vcc_lo, v5, 4
	v_add_co_ci_u32_e32 v5, vcc_lo, 0, v7, vcc_lo
	v_mov_b32_e32 v0, v1
	v_mov_b32_e32 v9, v1
	;; [unrolled: 1-line block ×4, first 2 shown]
.LBB340_2:                              ; =>This Inner Loop Header: Depth=1
	global_load_b64 v[18:19], v[2:3], off offset:-4
	global_load_b64 v[20:21], v[4:5], off offset:-4
	v_add_co_u32 v2, vcc_lo, v2, 64
	v_add_co_ci_u32_e32 v3, vcc_lo, 0, v3, vcc_lo
	v_add_co_u32 v4, vcc_lo, v4, 64
	v_add_co_ci_u32_e32 v5, vcc_lo, 0, v5, vcc_lo
	s_add_i32 s14, s14, 8
	s_waitcnt vmcnt(1)
	ds_store_b64 v13, v[18:19]
	s_waitcnt vmcnt(0)
	ds_store_b64 v14, v[20:21]
	s_waitcnt lgkmcnt(0)
	s_barrier
	buffer_gl0_inv
	ds_load_2addr_b64 v[18:21], v12 offset1:16
	ds_load_b128 v[22:25], v17
	ds_load_b128 v[26:29], v17 offset:1024
	ds_load_b128 v[30:33], v17 offset:16
	ds_load_2addr_b64 v[34:37], v12 offset0:32 offset1:48
	ds_load_b128 v[38:41], v17 offset:32
	ds_load_b128 v[42:45], v17 offset:48
	ds_load_2addr_b64 v[46:49], v12 offset0:64 offset1:80
	ds_load_b128 v[50:53], v17 offset:1040
	ds_load_2addr_b64 v[54:57], v12 offset0:96 offset1:112
	ds_load_2addr_b64 v[58:61], v12 offset0:128 offset1:144
	;; [unrolled: 1-line block ×4, first 2 shown]
	ds_load_b128 v[70:73], v17 offset:1056
	ds_load_b128 v[74:77], v17 offset:1072
	ds_load_2addr_b64 v[78:81], v12 offset0:224 offset1:240
	s_cmp_ge_i32 s14, s3
	s_waitcnt lgkmcnt(0)
	s_barrier
	buffer_gl0_inv
	v_dual_mul_f32 v82, v23, v19 :: v_dual_mul_f32 v85, v22, v21
	v_dual_mul_f32 v83, v22, v19 :: v_dual_mul_f32 v84, v23, v21
	v_mul_f32_e32 v86, v27, v19
	v_dual_mul_f32 v19, v26, v19 :: v_dual_mul_f32 v90, v25, v37
	v_dual_mul_f32 v87, v27, v21 :: v_dual_mul_f32 v88, v25, v35
	v_mul_f32_e32 v21, v26, v21
	v_fma_f32 v82, v22, v18, -v82
	v_fmac_f32_e32 v83, v23, v18
	v_fma_f32 v22, v22, v20, -v84
	v_fmac_f32_e32 v85, v23, v20
	v_fma_f32 v23, v26, v18, -v86
	v_dual_fmac_f32 v19, v27, v18 :: v_dual_mul_f32 v86, v30, v47
	v_fma_f32 v18, v26, v20, -v87
	v_dual_fmac_f32 v21, v27, v20 :: v_dual_mul_f32 v20, v24, v37
	v_mul_f32_e32 v89, v24, v35
	v_mul_f32_e32 v26, v29, v35
	;; [unrolled: 1-line block ×4, first 2 shown]
	v_fmac_f32_e32 v20, v25, v36
	v_fmac_f32_e32 v89, v25, v34
	v_dual_mul_f32 v25, v28, v37 :: v_dual_fmac_f32 v86, v31, v46
	v_fma_f32 v84, v24, v34, -v88
	v_fma_f32 v24, v24, v36, -v90
	v_dual_mul_f32 v37, v31, v47 :: v_dual_mul_f32 v90, v33, v57
	v_fma_f32 v26, v28, v34, -v26
	v_fma_f32 v28, v28, v36, -v35
	v_fmac_f32_e32 v25, v29, v36
	v_dual_mul_f32 v35, v50, v47 :: v_dual_mul_f32 v36, v51, v49
	v_dual_fmac_f32 v27, v29, v34 :: v_dual_mul_f32 v34, v51, v47
	v_dual_mul_f32 v88, v32, v55 :: v_dual_mul_f32 v29, v30, v49
	v_mul_f32_e32 v87, v31, v49
	v_fma_f32 v37, v30, v46, -v37
	v_add_f32_e32 v16, v16, v83
	s_delay_alu instid0(VALU_DEP_4)
	v_dual_fmac_f32 v88, v33, v54 :: v_dual_fmac_f32 v29, v31, v48
	v_fma_f32 v31, v50, v46, -v34
	v_fma_f32 v34, v50, v48, -v36
	v_mul_f32_e32 v36, v32, v57
	v_mul_f32_e32 v47, v50, v49
	v_dual_mul_f32 v50, v53, v57 :: v_dual_fmac_f32 v35, v51, v46
	v_mul_f32_e32 v46, v53, v55
	v_mul_f32_e32 v49, v33, v55
	v_fma_f32 v30, v30, v48, -v87
	v_fmac_f32_e32 v36, v33, v56
	v_dual_fmac_f32 v47, v51, v48 :: v_dual_mul_f32 v48, v52, v55
	v_mul_f32_e32 v33, v52, v57
	v_fma_f32 v46, v52, v54, -v46
	v_fma_f32 v50, v52, v56, -v50
	v_mul_f32_e32 v52, v38, v61
	v_fma_f32 v49, v32, v54, -v49
	v_fma_f32 v32, v32, v56, -v90
	v_dual_mul_f32 v51, v39, v59 :: v_dual_fmac_f32 v48, v53, v54
	v_mul_f32_e32 v54, v70, v59
	v_dual_mul_f32 v55, v38, v59 :: v_dual_fmac_f32 v52, v39, v60
	v_fmac_f32_e32 v33, v53, v56
	v_mul_f32_e32 v53, v71, v59
	v_mul_f32_e32 v56, v71, v61
	;; [unrolled: 1-line block ×3, first 2 shown]
	v_fmac_f32_e32 v54, v71, v58
	v_fmac_f32_e32 v55, v39, v58
	v_fma_f32 v39, v70, v58, -v53
	v_fma_f32 v53, v70, v60, -v56
	v_mul_f32_e32 v56, v40, v65
	v_mul_f32_e32 v59, v70, v61
	v_fma_f32 v51, v38, v58, -v51
	v_mul_f32_e32 v58, v72, v63
	v_mul_f32_e32 v87, v40, v63
	;; [unrolled: 1-line block ×4, first 2 shown]
	v_fma_f32 v38, v38, v60, -v57
	v_mul_f32_e32 v57, v73, v63
	v_fmac_f32_e32 v56, v41, v64
	v_dual_fmac_f32 v59, v71, v60 :: v_dual_mul_f32 v60, v73, v65
	v_mul_f32_e32 v63, v43, v67
	v_mul_f32_e32 v70, v43, v69
	v_fmac_f32_e32 v58, v73, v62
	v_fmac_f32_e32 v87, v41, v62
	v_mul_f32_e32 v41, v72, v65
	v_fma_f32 v61, v40, v62, -v61
	v_fma_f32 v40, v40, v64, -v90
	v_mul_f32_e32 v65, v42, v67
	v_fma_f32 v57, v72, v62, -v57
	v_fma_f32 v60, v72, v64, -v60
	v_dual_fmac_f32 v41, v73, v64 :: v_dual_mul_f32 v62, v42, v69
	v_mul_f32_e32 v64, v75, v67
	v_mul_f32_e32 v71, v75, v69
	v_dual_mul_f32 v73, v44, v79 :: v_dual_add_f32 v10, v10, v22
	v_fma_f32 v63, v42, v66, -v63
	v_fma_f32 v42, v42, v68, -v70
	v_mul_f32_e32 v70, v76, v79
	v_mul_f32_e32 v67, v74, v67
	v_dual_mul_f32 v69, v74, v69 :: v_dual_add_f32 v0, v0, v18
	v_dual_fmac_f32 v65, v43, v66 :: v_dual_add_f32 v16, v16, v89
	v_fmac_f32_e32 v62, v43, v68
	v_fma_f32 v43, v74, v66, -v64
	v_fmac_f32_e32 v70, v77, v78
	v_dual_fmac_f32 v67, v75, v66 :: v_dual_add_f32 v10, v10, v24
	v_mul_f32_e32 v66, v44, v81
	v_mul_f32_e32 v72, v45, v79
	;; [unrolled: 1-line block ×3, first 2 shown]
	v_fma_f32 v64, v74, v68, -v71
	v_dual_fmac_f32 v69, v75, v68 :: v_dual_add_f32 v16, v16, v86
	v_dual_mul_f32 v71, v77, v81 :: v_dual_add_f32 v0, v0, v28
	v_fmac_f32_e32 v73, v45, v78
	v_fmac_f32_e32 v66, v45, v80
	s_delay_alu instid0(VALU_DEP_4) | instskip(SKIP_3) | instid1(VALU_DEP_3)
	v_add_f32_e32 v16, v16, v88
	v_dual_mul_f32 v45, v76, v81 :: v_dual_add_f32 v10, v10, v30
	v_add_f32_e32 v15, v15, v82
	v_dual_add_f32 v0, v0, v34 :: v_dual_add_f32 v11, v11, v85
	v_fmac_f32_e32 v45, v77, v80
	s_delay_alu instid0(VALU_DEP_4) | instskip(SKIP_1) | instid1(VALU_DEP_4)
	v_dual_add_f32 v10, v10, v32 :: v_dual_add_f32 v7, v7, v23
	v_dual_add_f32 v1, v1, v21 :: v_dual_add_f32 v16, v16, v55
	;; [unrolled: 1-line block ×3, first 2 shown]
	s_delay_alu instid0(VALU_DEP_3) | instskip(NEXT) | instid1(VALU_DEP_3)
	v_dual_add_f32 v10, v10, v38 :: v_dual_add_f32 v15, v15, v84
	v_dual_add_f32 v16, v16, v87 :: v_dual_add_f32 v11, v11, v20
	s_delay_alu instid0(VALU_DEP_2)
	v_dual_add_f32 v7, v7, v26 :: v_dual_add_f32 v10, v10, v40
	v_add_f32_e32 v1, v1, v25
	v_dual_add_f32 v0, v0, v53 :: v_dual_add_f32 v9, v9, v27
	v_fma_f32 v72, v44, v78, -v72
	v_fma_f32 v44, v44, v80, -v90
	v_add_f32_e32 v16, v16, v65
	s_delay_alu instid0(VALU_DEP_4) | instskip(SKIP_1) | instid1(VALU_DEP_3)
	v_dual_add_f32 v0, v0, v60 :: v_dual_add_f32 v15, v15, v37
	v_add_f32_e32 v7, v7, v31
	v_dual_add_f32 v9, v9, v35 :: v_dual_add_f32 v16, v16, v73
	v_dual_add_f32 v10, v10, v42 :: v_dual_add_f32 v11, v11, v29
	v_add_f32_e32 v1, v1, v47
	v_fma_f32 v71, v76, v80, -v71
	s_delay_alu instid0(VALU_DEP_3) | instskip(NEXT) | instid1(VALU_DEP_4)
	v_dual_add_f32 v7, v7, v46 :: v_dual_add_f32 v10, v10, v44
	v_add_f32_e32 v11, v11, v36
	v_add_f32_e32 v9, v9, v48
	v_dual_add_f32 v1, v1, v33 :: v_dual_add_f32 v0, v0, v64
	v_add_f32_e32 v15, v15, v49
	s_delay_alu instid0(VALU_DEP_4) | instskip(SKIP_1) | instid1(VALU_DEP_4)
	v_add_f32_e32 v11, v11, v52
	v_add_f32_e32 v7, v7, v39
	v_dual_add_f32 v9, v9, v54 :: v_dual_add_f32 v0, v0, v71
	s_delay_alu instid0(VALU_DEP_4) | instskip(SKIP_3) | instid1(VALU_DEP_4)
	v_add_f32_e32 v15, v15, v51
	v_add_f32_e32 v1, v1, v59
	v_dual_mul_f32 v68, v77, v79 :: v_dual_add_f32 v11, v11, v56
	v_add_f32_e32 v7, v7, v57
	v_add_f32_e32 v15, v15, v61
	;; [unrolled: 1-line block ×4, first 2 shown]
	v_fma_f32 v68, v76, v78, -v68
	v_add_f32_e32 v11, v11, v62
	v_add_f32_e32 v15, v15, v63
	;; [unrolled: 1-line block ×10, first 2 shown]
	s_cbranch_scc0 .LBB340_2
.LBB340_3:
	s_clause 0x1
	s_load_b32 s3, s[0:1], 0x50
	s_load_b64 s[4:5], s[0:1], 0x58
	v_add_nc_u32_e32 v8, s13, v8
	v_add_nc_u32_e32 v2, s12, v6
	s_delay_alu instid0(VALU_DEP_1)
	v_cmp_le_i32_e64 s0, v8, v2
	v_cmp_gt_i32_e32 vcc_lo, s2, v2
	s_waitcnt lgkmcnt(0)
	v_mad_i64_i32 v[3:4], null, v8, s3, 0
	s_mul_i32 s1, s15, s5
	s_mul_hi_u32 s5, s15, s4
	s_mul_i32 s4, s15, s4
	s_add_i32 s5, s5, s1
	s_delay_alu instid0(SALU_CYCLE_1) | instskip(NEXT) | instid1(VALU_DEP_1)
	s_lshl_b64 s[4:5], s[4:5], 3
	v_lshlrev_b64 v[3:4], 3, v[3:4]
	s_add_u32 s4, s20, s4
	s_addc_u32 s5, s21, s5
	s_and_b32 s0, s0, vcc_lo
	s_delay_alu instid0(VALU_DEP_1) | instskip(NEXT) | instid1(VALU_DEP_1)
	v_add_co_u32 v6, s1, s4, v3
	v_add_co_ci_u32_e64 v12, s1, s5, v4, s1
	s_and_saveexec_b32 s1, s0
	s_cbranch_execz .LBB340_6
; %bb.4:
	v_ashrrev_i32_e32 v3, 31, v2
	s_delay_alu instid0(VALU_DEP_1) | instskip(NEXT) | instid1(VALU_DEP_1)
	v_lshlrev_b64 v[3:4], 3, v[2:3]
	v_add_co_u32 v3, s0, v6, v3
	s_delay_alu instid0(VALU_DEP_1)
	v_add_co_ci_u32_e64 v4, s0, v12, v4, s0
	v_cmp_eq_u32_e64 s0, v8, v2
	global_load_b64 v[13:14], v[3:4], off
	v_mul_f32_e32 v5, s9, v16
	s_waitcnt vmcnt(0)
	v_dual_mul_f32 v16, s8, v16 :: v_dual_mul_f32 v17, s7, v14
	v_mul_f32_e32 v14, s6, v14
	s_delay_alu instid0(VALU_DEP_3) | instskip(NEXT) | instid1(VALU_DEP_3)
	v_fma_f32 v5, v15, s8, -v5
	v_fmac_f32_e32 v16, s9, v15
	s_delay_alu instid0(VALU_DEP_4) | instskip(NEXT) | instid1(VALU_DEP_1)
	v_fma_f32 v15, v13, s6, -v17
	v_dual_fmac_f32 v14, s7, v13 :: v_dual_add_f32 v13, v5, v15
	s_delay_alu instid0(VALU_DEP_1)
	v_add_f32_e32 v14, v16, v14
	global_store_b64 v[3:4], v[13:14], off
	s_and_b32 exec_lo, exec_lo, s0
	s_cbranch_execz .LBB340_6
; %bb.5:
	v_mov_b32_e32 v5, 0
	global_store_b32 v[3:4], v5, off offset:4
.LBB340_6:
	s_or_b32 exec_lo, exec_lo, s1
	v_add_nc_u32_e32 v4, 16, v2
	s_delay_alu instid0(VALU_DEP_1) | instskip(SKIP_1) | instid1(VALU_DEP_1)
	v_cmp_le_i32_e64 s1, v8, v4
	v_cmp_gt_i32_e64 s0, s2, v4
	s_and_b32 s1, s1, s0
	s_delay_alu instid0(SALU_CYCLE_1)
	s_and_saveexec_b32 s2, s1
	s_cbranch_execz .LBB340_9
; %bb.7:
	v_ashrrev_i32_e32 v5, 31, v4
	s_delay_alu instid0(VALU_DEP_1) | instskip(NEXT) | instid1(VALU_DEP_1)
	v_lshlrev_b64 v[13:14], 3, v[4:5]
	v_add_co_u32 v5, s1, v6, v13
	s_delay_alu instid0(VALU_DEP_1)
	v_add_co_ci_u32_e64 v6, s1, v12, v14, s1
	v_cmp_eq_u32_e64 s1, v8, v4
	global_load_b64 v[12:13], v[5:6], off
	s_waitcnt vmcnt(0)
	v_dual_mul_f32 v3, s9, v11 :: v_dual_mul_f32 v14, s7, v13
	v_mul_f32_e32 v13, s6, v13
	s_delay_alu instid0(VALU_DEP_2) | instskip(SKIP_1) | instid1(VALU_DEP_3)
	v_fma_f32 v3, v10, s8, -v3
	v_mul_f32_e32 v11, s8, v11
	v_fmac_f32_e32 v13, s7, v12
	s_delay_alu instid0(VALU_DEP_2) | instskip(SKIP_1) | instid1(VALU_DEP_2)
	v_fmac_f32_e32 v11, s9, v10
	v_fma_f32 v10, v12, s6, -v14
	v_add_f32_e32 v11, v11, v13
	s_delay_alu instid0(VALU_DEP_2)
	v_add_f32_e32 v10, v3, v10
	global_store_b64 v[5:6], v[10:11], off
	s_and_b32 exec_lo, exec_lo, s1
	s_cbranch_execz .LBB340_9
; %bb.8:
	v_mov_b32_e32 v3, 0
	global_store_b32 v[5:6], v3, off offset:4
.LBB340_9:
	s_or_b32 exec_lo, exec_lo, s2
	v_add_nc_u32_e32 v12, 16, v8
	s_delay_alu instid0(VALU_DEP_1) | instskip(SKIP_1) | instid1(VALU_DEP_2)
	v_mad_i64_i32 v[5:6], null, v12, s3, 0
	v_cmp_le_i32_e64 s1, v12, v2
	v_lshlrev_b64 v[5:6], 3, v[5:6]
	s_delay_alu instid0(VALU_DEP_1) | instskip(NEXT) | instid1(VALU_DEP_1)
	v_add_co_u32 v10, s2, s4, v5
	v_add_co_ci_u32_e64 v11, s2, s5, v6, s2
	s_delay_alu instid0(VALU_DEP_4) | instskip(NEXT) | instid1(SALU_CYCLE_1)
	s_and_b32 s2, s1, vcc_lo
	s_and_saveexec_b32 s1, s2
	s_cbranch_execz .LBB340_12
; %bb.10:
	v_ashrrev_i32_e32 v3, 31, v2
	s_delay_alu instid0(VALU_DEP_1) | instskip(NEXT) | instid1(VALU_DEP_1)
	v_lshlrev_b64 v[5:6], 3, v[2:3]
	v_add_co_u32 v5, vcc_lo, v10, v5
	s_delay_alu instid0(VALU_DEP_2) | instskip(SKIP_4) | instid1(VALU_DEP_1)
	v_add_co_ci_u32_e32 v6, vcc_lo, v11, v6, vcc_lo
	v_cmp_eq_u32_e32 vcc_lo, v12, v2
	global_load_b64 v[13:14], v[5:6], off
	v_mul_f32_e32 v3, s9, v9
	v_mul_f32_e32 v9, s8, v9
	v_fmac_f32_e32 v9, s9, v7
	s_waitcnt vmcnt(0)
	v_mul_f32_e32 v15, s7, v14
	v_mul_f32_e32 v14, s6, v14
	v_fma_f32 v3, v7, s8, -v3
	s_delay_alu instid0(VALU_DEP_2) | instskip(NEXT) | instid1(VALU_DEP_4)
	v_fmac_f32_e32 v14, s7, v13
	v_fma_f32 v7, v13, s6, -v15
	s_delay_alu instid0(VALU_DEP_1)
	v_dual_add_f32 v14, v9, v14 :: v_dual_add_f32 v13, v3, v7
	global_store_b64 v[5:6], v[13:14], off
	s_and_b32 exec_lo, exec_lo, vcc_lo
	s_cbranch_execz .LBB340_12
; %bb.11:
	v_mov_b32_e32 v3, 0
	global_store_b32 v[5:6], v3, off offset:4
.LBB340_12:
	s_or_b32 exec_lo, exec_lo, s1
	v_cmp_le_i32_e32 vcc_lo, v12, v4
	s_and_b32 s0, vcc_lo, s0
	s_delay_alu instid0(SALU_CYCLE_1)
	s_and_saveexec_b32 s1, s0
	s_cbranch_execz .LBB340_15
; %bb.13:
	v_ashrrev_i32_e32 v5, 31, v4
	s_delay_alu instid0(VALU_DEP_1) | instskip(NEXT) | instid1(VALU_DEP_1)
	v_lshlrev_b64 v[3:4], 3, v[4:5]
	v_add_co_u32 v3, vcc_lo, v10, v3
	s_delay_alu instid0(VALU_DEP_2)
	v_add_co_ci_u32_e32 v4, vcc_lo, v11, v4, vcc_lo
	v_cmp_eq_u32_e32 vcc_lo, v8, v2
	global_load_b64 v[5:6], v[3:4], off
	v_mul_f32_e32 v7, s9, v1
	s_waitcnt vmcnt(0)
	v_mul_f32_e32 v9, s7, v6
	v_mul_f32_e32 v6, s6, v6
	s_delay_alu instid0(VALU_DEP_3) | instskip(SKIP_1) | instid1(VALU_DEP_1)
	v_fma_f32 v7, v0, s8, -v7
	v_mul_f32_e32 v1, s8, v1
	v_dual_fmac_f32 v6, s7, v5 :: v_dual_fmac_f32 v1, s9, v0
	v_fma_f32 v0, v5, s6, -v9
	s_delay_alu instid0(VALU_DEP_1)
	v_dual_add_f32 v1, v1, v6 :: v_dual_add_f32 v0, v7, v0
	global_store_b64 v[3:4], v[0:1], off
	s_and_b32 exec_lo, exec_lo, vcc_lo
	s_cbranch_execz .LBB340_15
; %bb.14:
	v_mov_b32_e32 v0, 0
	global_store_b32 v[3:4], v0, off offset:4
.LBB340_15:
	s_nop 0
	s_sendmsg sendmsg(MSG_DEALLOC_VGPRS)
	s_endpgm
	.section	.rodata,"a",@progbits
	.p2align	6, 0x0
	.amdhsa_kernel _ZL37rocblas_syrkx_herkx_restricted_kernelIi19rocblas_complex_numIfELi16ELi32ELi8ELb0ELb1ELc84ELc76EKS1_S1_EviT_T0_PT8_S3_lS6_S3_lS4_PT9_S3_li
		.amdhsa_group_segment_fixed_size 4096
		.amdhsa_private_segment_fixed_size 0
		.amdhsa_kernarg_size 100
		.amdhsa_user_sgpr_count 13
		.amdhsa_user_sgpr_dispatch_ptr 0
		.amdhsa_user_sgpr_queue_ptr 0
		.amdhsa_user_sgpr_kernarg_segment_ptr 1
		.amdhsa_user_sgpr_dispatch_id 0
		.amdhsa_user_sgpr_private_segment_size 0
		.amdhsa_wavefront_size32 1
		.amdhsa_uses_dynamic_stack 0
		.amdhsa_enable_private_segment 0
		.amdhsa_system_sgpr_workgroup_id_x 1
		.amdhsa_system_sgpr_workgroup_id_y 1
		.amdhsa_system_sgpr_workgroup_id_z 1
		.amdhsa_system_sgpr_workgroup_info 0
		.amdhsa_system_vgpr_workitem_id 1
		.amdhsa_next_free_vgpr 91
		.amdhsa_next_free_sgpr 25
		.amdhsa_reserve_vcc 1
		.amdhsa_float_round_mode_32 0
		.amdhsa_float_round_mode_16_64 0
		.amdhsa_float_denorm_mode_32 3
		.amdhsa_float_denorm_mode_16_64 3
		.amdhsa_dx10_clamp 1
		.amdhsa_ieee_mode 1
		.amdhsa_fp16_overflow 0
		.amdhsa_workgroup_processor_mode 1
		.amdhsa_memory_ordered 1
		.amdhsa_forward_progress 0
		.amdhsa_shared_vgpr_count 0
		.amdhsa_exception_fp_ieee_invalid_op 0
		.amdhsa_exception_fp_denorm_src 0
		.amdhsa_exception_fp_ieee_div_zero 0
		.amdhsa_exception_fp_ieee_overflow 0
		.amdhsa_exception_fp_ieee_underflow 0
		.amdhsa_exception_fp_ieee_inexact 0
		.amdhsa_exception_int_div_zero 0
	.end_amdhsa_kernel
	.section	.text._ZL37rocblas_syrkx_herkx_restricted_kernelIi19rocblas_complex_numIfELi16ELi32ELi8ELb0ELb1ELc84ELc76EKS1_S1_EviT_T0_PT8_S3_lS6_S3_lS4_PT9_S3_li,"axG",@progbits,_ZL37rocblas_syrkx_herkx_restricted_kernelIi19rocblas_complex_numIfELi16ELi32ELi8ELb0ELb1ELc84ELc76EKS1_S1_EviT_T0_PT8_S3_lS6_S3_lS4_PT9_S3_li,comdat
.Lfunc_end340:
	.size	_ZL37rocblas_syrkx_herkx_restricted_kernelIi19rocblas_complex_numIfELi16ELi32ELi8ELb0ELb1ELc84ELc76EKS1_S1_EviT_T0_PT8_S3_lS6_S3_lS4_PT9_S3_li, .Lfunc_end340-_ZL37rocblas_syrkx_herkx_restricted_kernelIi19rocblas_complex_numIfELi16ELi32ELi8ELb0ELb1ELc84ELc76EKS1_S1_EviT_T0_PT8_S3_lS6_S3_lS4_PT9_S3_li
                                        ; -- End function
	.section	.AMDGPU.csdata,"",@progbits
; Kernel info:
; codeLenInByte = 2404
; NumSgprs: 27
; NumVgprs: 91
; ScratchSize: 0
; MemoryBound: 0
; FloatMode: 240
; IeeeMode: 1
; LDSByteSize: 4096 bytes/workgroup (compile time only)
; SGPRBlocks: 3
; VGPRBlocks: 11
; NumSGPRsForWavesPerEU: 27
; NumVGPRsForWavesPerEU: 91
; Occupancy: 16
; WaveLimiterHint : 0
; COMPUTE_PGM_RSRC2:SCRATCH_EN: 0
; COMPUTE_PGM_RSRC2:USER_SGPR: 13
; COMPUTE_PGM_RSRC2:TRAP_HANDLER: 0
; COMPUTE_PGM_RSRC2:TGID_X_EN: 1
; COMPUTE_PGM_RSRC2:TGID_Y_EN: 1
; COMPUTE_PGM_RSRC2:TGID_Z_EN: 1
; COMPUTE_PGM_RSRC2:TIDIG_COMP_CNT: 1
	.section	.text._ZL37rocblas_syrkx_herkx_restricted_kernelIi19rocblas_complex_numIfELi16ELi32ELi8ELb0ELb1ELc67ELc76EKS1_S1_EviT_T0_PT8_S3_lS6_S3_lS4_PT9_S3_li,"axG",@progbits,_ZL37rocblas_syrkx_herkx_restricted_kernelIi19rocblas_complex_numIfELi16ELi32ELi8ELb0ELb1ELc67ELc76EKS1_S1_EviT_T0_PT8_S3_lS6_S3_lS4_PT9_S3_li,comdat
	.globl	_ZL37rocblas_syrkx_herkx_restricted_kernelIi19rocblas_complex_numIfELi16ELi32ELi8ELb0ELb1ELc67ELc76EKS1_S1_EviT_T0_PT8_S3_lS6_S3_lS4_PT9_S3_li ; -- Begin function _ZL37rocblas_syrkx_herkx_restricted_kernelIi19rocblas_complex_numIfELi16ELi32ELi8ELb0ELb1ELc67ELc76EKS1_S1_EviT_T0_PT8_S3_lS6_S3_lS4_PT9_S3_li
	.p2align	8
	.type	_ZL37rocblas_syrkx_herkx_restricted_kernelIi19rocblas_complex_numIfELi16ELi32ELi8ELb0ELb1ELc67ELc76EKS1_S1_EviT_T0_PT8_S3_lS6_S3_lS4_PT9_S3_li,@function
_ZL37rocblas_syrkx_herkx_restricted_kernelIi19rocblas_complex_numIfELi16ELi32ELi8ELb0ELb1ELc67ELc76EKS1_S1_EviT_T0_PT8_S3_lS6_S3_lS4_PT9_S3_li: ; @_ZL37rocblas_syrkx_herkx_restricted_kernelIi19rocblas_complex_numIfELi16ELi32ELi8ELb0ELb1ELc67ELc76EKS1_S1_EviT_T0_PT8_S3_lS6_S3_lS4_PT9_S3_li
; %bb.0:
	s_clause 0x3
	s_load_b64 s[2:3], s[0:1], 0x0
	s_load_b128 s[8:11], s[0:1], 0x8
	s_load_b128 s[4:7], s[0:1], 0x38
	s_load_b64 s[20:21], s[0:1], 0x48
	v_dual_mov_b32 v15, 0 :: v_dual_and_b32 v6, 0x3ff, v0
	v_bfe_u32 v8, v0, 10, 10
	v_dual_mov_b32 v16, 0 :: v_dual_mov_b32 v11, 0
	v_dual_mov_b32 v10, 0 :: v_dual_mov_b32 v7, 0
	;; [unrolled: 1-line block ×3, first 2 shown]
	v_mov_b32_e32 v1, 0
	s_lshl_b32 s12, s13, 5
	s_lshl_b32 s13, s14, 5
	s_mov_b32 s14, 0
	s_waitcnt lgkmcnt(0)
	s_cmp_lt_i32 s3, 1
	s_cbranch_scc1 .LBB341_3
; %bb.1:
	s_clause 0x2
	s_load_b128 s[16:19], s[0:1], 0x20
	s_load_b32 s22, s[0:1], 0x18
	s_load_b32 s23, s[0:1], 0x30
	v_lshl_add_u32 v2, v8, 4, v6
	v_dual_mov_b32 v1, 0 :: v_dual_and_b32 v0, 7, v6
	s_mul_i32 s5, s5, s15
	v_lshlrev_b32_e32 v12, 3, v6
	s_delay_alu instid0(VALU_DEP_3)
	v_and_b32_e32 v4, 31, v2
	v_lshrrev_b32_e32 v5, 3, v2
	v_mov_b32_e32 v3, v1
	v_lshlrev_b32_e32 v7, 3, v0
	v_lshrrev_b32_e32 v2, 5, v2
	v_dual_mov_b32 v16, v1 :: v_dual_add_nc_u32 v11, s12, v4
	v_lshlrev_b32_e32 v9, 3, v4
	v_add_nc_u32_e32 v10, s13, v5
	v_lshl_or_b32 v7, v5, 6, v7
	v_lshl_add_u32 v17, v8, 6, 0x800
	v_mov_b32_e32 v15, v1
	v_lshl_or_b32 v13, v2, 8, v9
	s_waitcnt lgkmcnt(0)
	v_mad_i64_i32 v[4:5], null, s22, v11, v[2:3]
	s_mul_i32 s17, s17, s15
	s_mul_hi_u32 s24, s16, s15
	v_mad_i64_i32 v[2:3], null, s23, v10, v[0:1]
	s_mul_i32 s16, s16, s15
	s_add_i32 s17, s24, s17
	s_delay_alu instid0(VALU_DEP_2)
	v_lshlrev_b64 v[4:5], 3, v[4:5]
	s_lshl_b64 s[16:17], s[16:17], 3
	v_dual_mov_b32 v11, v1 :: v_dual_add_nc_u32 v14, 0x800, v7
	s_add_u32 s10, s10, s16
	s_mul_hi_u32 s16, s4, s15
	s_addc_u32 s11, s11, s17
	s_add_i32 s5, s16, s5
	s_mul_i32 s4, s4, s15
	v_lshlrev_b64 v[2:3], 3, v[2:3]
	s_lshl_b64 s[4:5], s[4:5], 3
	v_add_co_u32 v0, vcc_lo, s10, v4
	s_add_u32 s4, s18, s4
	v_add_co_ci_u32_e32 v4, vcc_lo, s11, v5, vcc_lo
	s_addc_u32 s5, s19, s5
	v_add_co_u32 v5, vcc_lo, s4, v2
	v_add_co_ci_u32_e32 v7, vcc_lo, s5, v3, vcc_lo
	v_add_co_u32 v2, vcc_lo, v0, 4
	v_add_co_ci_u32_e32 v3, vcc_lo, 0, v4, vcc_lo
	s_delay_alu instid0(VALU_DEP_4) | instskip(NEXT) | instid1(VALU_DEP_4)
	v_add_co_u32 v4, vcc_lo, v5, 4
	v_add_co_ci_u32_e32 v5, vcc_lo, 0, v7, vcc_lo
	v_mov_b32_e32 v0, v1
	v_mov_b32_e32 v9, v1
	;; [unrolled: 1-line block ×4, first 2 shown]
.LBB341_2:                              ; =>This Inner Loop Header: Depth=1
	global_load_b64 v[18:19], v[2:3], off offset:-4
	global_load_b64 v[20:21], v[4:5], off offset:-4
	v_add_co_u32 v2, vcc_lo, v2, 64
	v_add_co_ci_u32_e32 v3, vcc_lo, 0, v3, vcc_lo
	v_add_co_u32 v4, vcc_lo, v4, 64
	v_add_co_ci_u32_e32 v5, vcc_lo, 0, v5, vcc_lo
	s_add_i32 s14, s14, 8
	s_delay_alu instid0(SALU_CYCLE_1)
	s_cmp_ge_i32 s14, s3
	s_waitcnt vmcnt(1)
	v_xor_b32_e32 v19, 0x80000000, v19
	ds_store_b64 v13, v[18:19]
	s_waitcnt vmcnt(0)
	ds_store_b64 v14, v[20:21]
	s_waitcnt lgkmcnt(0)
	s_barrier
	buffer_gl0_inv
	ds_load_2addr_b64 v[18:21], v12 offset1:16
	ds_load_b128 v[22:25], v17
	ds_load_b128 v[26:29], v17 offset:1024
	ds_load_b128 v[30:33], v17 offset:16
	ds_load_2addr_b64 v[34:37], v12 offset0:32 offset1:48
	ds_load_b128 v[38:41], v17 offset:32
	ds_load_b128 v[42:45], v17 offset:48
	ds_load_2addr_b64 v[46:49], v12 offset0:64 offset1:80
	ds_load_b128 v[50:53], v17 offset:1040
	ds_load_2addr_b64 v[54:57], v12 offset0:96 offset1:112
	ds_load_2addr_b64 v[58:61], v12 offset0:128 offset1:144
	;; [unrolled: 1-line block ×4, first 2 shown]
	ds_load_b128 v[70:73], v17 offset:1056
	ds_load_b128 v[74:77], v17 offset:1072
	ds_load_2addr_b64 v[78:81], v12 offset0:224 offset1:240
	s_waitcnt lgkmcnt(0)
	s_barrier
	buffer_gl0_inv
	v_dual_mul_f32 v82, v23, v19 :: v_dual_mul_f32 v85, v22, v21
	v_dual_mul_f32 v83, v22, v19 :: v_dual_mul_f32 v84, v23, v21
	v_mul_f32_e32 v86, v27, v19
	v_dual_mul_f32 v19, v26, v19 :: v_dual_mul_f32 v90, v25, v37
	v_dual_mul_f32 v87, v27, v21 :: v_dual_mul_f32 v88, v25, v35
	v_mul_f32_e32 v21, v26, v21
	v_fma_f32 v82, v22, v18, -v82
	v_fmac_f32_e32 v83, v23, v18
	v_fma_f32 v22, v22, v20, -v84
	v_fmac_f32_e32 v85, v23, v20
	v_fma_f32 v23, v26, v18, -v86
	v_dual_fmac_f32 v19, v27, v18 :: v_dual_mul_f32 v86, v30, v47
	v_fma_f32 v18, v26, v20, -v87
	v_dual_fmac_f32 v21, v27, v20 :: v_dual_mul_f32 v20, v24, v37
	v_mul_f32_e32 v89, v24, v35
	v_mul_f32_e32 v26, v29, v35
	;; [unrolled: 1-line block ×4, first 2 shown]
	v_fmac_f32_e32 v20, v25, v36
	v_fmac_f32_e32 v89, v25, v34
	v_dual_mul_f32 v25, v28, v37 :: v_dual_fmac_f32 v86, v31, v46
	v_fma_f32 v84, v24, v34, -v88
	v_fma_f32 v24, v24, v36, -v90
	v_dual_mul_f32 v37, v31, v47 :: v_dual_mul_f32 v90, v33, v57
	v_fma_f32 v26, v28, v34, -v26
	v_fma_f32 v28, v28, v36, -v35
	v_fmac_f32_e32 v25, v29, v36
	v_dual_mul_f32 v35, v50, v47 :: v_dual_mul_f32 v36, v51, v49
	v_dual_fmac_f32 v27, v29, v34 :: v_dual_mul_f32 v34, v51, v47
	v_dual_mul_f32 v88, v32, v55 :: v_dual_mul_f32 v29, v30, v49
	v_mul_f32_e32 v87, v31, v49
	v_fma_f32 v37, v30, v46, -v37
	v_add_f32_e32 v16, v16, v83
	s_delay_alu instid0(VALU_DEP_4)
	v_dual_fmac_f32 v88, v33, v54 :: v_dual_fmac_f32 v29, v31, v48
	v_fma_f32 v31, v50, v46, -v34
	v_fma_f32 v34, v50, v48, -v36
	v_mul_f32_e32 v36, v32, v57
	v_mul_f32_e32 v47, v50, v49
	v_dual_mul_f32 v50, v53, v57 :: v_dual_fmac_f32 v35, v51, v46
	v_mul_f32_e32 v46, v53, v55
	v_mul_f32_e32 v49, v33, v55
	v_fma_f32 v30, v30, v48, -v87
	v_fmac_f32_e32 v36, v33, v56
	v_dual_fmac_f32 v47, v51, v48 :: v_dual_mul_f32 v48, v52, v55
	v_mul_f32_e32 v33, v52, v57
	v_fma_f32 v46, v52, v54, -v46
	v_fma_f32 v50, v52, v56, -v50
	v_mul_f32_e32 v52, v38, v61
	v_fma_f32 v49, v32, v54, -v49
	v_fma_f32 v32, v32, v56, -v90
	v_dual_mul_f32 v51, v39, v59 :: v_dual_fmac_f32 v48, v53, v54
	v_mul_f32_e32 v54, v70, v59
	v_dual_mul_f32 v55, v38, v59 :: v_dual_fmac_f32 v52, v39, v60
	v_fmac_f32_e32 v33, v53, v56
	v_mul_f32_e32 v53, v71, v59
	v_mul_f32_e32 v56, v71, v61
	;; [unrolled: 1-line block ×3, first 2 shown]
	v_fmac_f32_e32 v54, v71, v58
	v_fmac_f32_e32 v55, v39, v58
	v_fma_f32 v39, v70, v58, -v53
	v_fma_f32 v53, v70, v60, -v56
	v_mul_f32_e32 v56, v40, v65
	v_mul_f32_e32 v59, v70, v61
	v_fma_f32 v51, v38, v58, -v51
	v_mul_f32_e32 v58, v72, v63
	v_mul_f32_e32 v87, v40, v63
	;; [unrolled: 1-line block ×4, first 2 shown]
	v_fma_f32 v38, v38, v60, -v57
	v_mul_f32_e32 v57, v73, v63
	v_fmac_f32_e32 v56, v41, v64
	v_dual_fmac_f32 v59, v71, v60 :: v_dual_mul_f32 v60, v73, v65
	v_mul_f32_e32 v63, v43, v67
	v_mul_f32_e32 v70, v43, v69
	v_fmac_f32_e32 v58, v73, v62
	v_fmac_f32_e32 v87, v41, v62
	v_mul_f32_e32 v41, v72, v65
	v_fma_f32 v61, v40, v62, -v61
	v_fma_f32 v40, v40, v64, -v90
	v_mul_f32_e32 v65, v42, v67
	v_fma_f32 v57, v72, v62, -v57
	v_fma_f32 v60, v72, v64, -v60
	v_dual_fmac_f32 v41, v73, v64 :: v_dual_mul_f32 v62, v42, v69
	v_mul_f32_e32 v64, v75, v67
	v_mul_f32_e32 v71, v75, v69
	v_dual_mul_f32 v73, v44, v79 :: v_dual_add_f32 v10, v10, v22
	v_fma_f32 v63, v42, v66, -v63
	v_fma_f32 v42, v42, v68, -v70
	v_mul_f32_e32 v70, v76, v79
	v_mul_f32_e32 v67, v74, v67
	v_dual_mul_f32 v69, v74, v69 :: v_dual_add_f32 v0, v0, v18
	v_dual_fmac_f32 v65, v43, v66 :: v_dual_add_f32 v16, v16, v89
	v_fmac_f32_e32 v62, v43, v68
	v_fma_f32 v43, v74, v66, -v64
	v_fmac_f32_e32 v70, v77, v78
	v_dual_fmac_f32 v67, v75, v66 :: v_dual_add_f32 v10, v10, v24
	v_mul_f32_e32 v66, v44, v81
	v_mul_f32_e32 v72, v45, v79
	;; [unrolled: 1-line block ×3, first 2 shown]
	v_fma_f32 v64, v74, v68, -v71
	v_dual_fmac_f32 v69, v75, v68 :: v_dual_add_f32 v16, v16, v86
	v_dual_mul_f32 v71, v77, v81 :: v_dual_add_f32 v0, v0, v28
	v_fmac_f32_e32 v73, v45, v78
	v_fmac_f32_e32 v66, v45, v80
	s_delay_alu instid0(VALU_DEP_4) | instskip(SKIP_3) | instid1(VALU_DEP_3)
	v_add_f32_e32 v16, v16, v88
	v_dual_mul_f32 v45, v76, v81 :: v_dual_add_f32 v10, v10, v30
	v_add_f32_e32 v15, v15, v82
	v_dual_add_f32 v0, v0, v34 :: v_dual_add_f32 v11, v11, v85
	v_fmac_f32_e32 v45, v77, v80
	s_delay_alu instid0(VALU_DEP_4) | instskip(SKIP_1) | instid1(VALU_DEP_4)
	v_dual_add_f32 v10, v10, v32 :: v_dual_add_f32 v7, v7, v23
	v_dual_add_f32 v1, v1, v21 :: v_dual_add_f32 v16, v16, v55
	;; [unrolled: 1-line block ×3, first 2 shown]
	s_delay_alu instid0(VALU_DEP_3) | instskip(NEXT) | instid1(VALU_DEP_3)
	v_dual_add_f32 v10, v10, v38 :: v_dual_add_f32 v15, v15, v84
	v_dual_add_f32 v16, v16, v87 :: v_dual_add_f32 v11, v11, v20
	s_delay_alu instid0(VALU_DEP_2)
	v_dual_add_f32 v7, v7, v26 :: v_dual_add_f32 v10, v10, v40
	v_add_f32_e32 v1, v1, v25
	v_dual_add_f32 v0, v0, v53 :: v_dual_add_f32 v9, v9, v27
	v_fma_f32 v72, v44, v78, -v72
	v_fma_f32 v44, v44, v80, -v90
	v_add_f32_e32 v16, v16, v65
	s_delay_alu instid0(VALU_DEP_4) | instskip(SKIP_1) | instid1(VALU_DEP_3)
	v_dual_add_f32 v0, v0, v60 :: v_dual_add_f32 v15, v15, v37
	v_add_f32_e32 v7, v7, v31
	v_dual_add_f32 v9, v9, v35 :: v_dual_add_f32 v16, v16, v73
	v_dual_add_f32 v10, v10, v42 :: v_dual_add_f32 v11, v11, v29
	v_add_f32_e32 v1, v1, v47
	v_fma_f32 v71, v76, v80, -v71
	s_delay_alu instid0(VALU_DEP_3) | instskip(NEXT) | instid1(VALU_DEP_4)
	v_dual_add_f32 v7, v7, v46 :: v_dual_add_f32 v10, v10, v44
	v_add_f32_e32 v11, v11, v36
	v_add_f32_e32 v9, v9, v48
	v_dual_add_f32 v1, v1, v33 :: v_dual_add_f32 v0, v0, v64
	v_add_f32_e32 v15, v15, v49
	s_delay_alu instid0(VALU_DEP_4) | instskip(SKIP_1) | instid1(VALU_DEP_4)
	v_add_f32_e32 v11, v11, v52
	v_add_f32_e32 v7, v7, v39
	v_dual_add_f32 v9, v9, v54 :: v_dual_add_f32 v0, v0, v71
	s_delay_alu instid0(VALU_DEP_4) | instskip(SKIP_3) | instid1(VALU_DEP_4)
	v_add_f32_e32 v15, v15, v51
	v_add_f32_e32 v1, v1, v59
	v_dual_mul_f32 v68, v77, v79 :: v_dual_add_f32 v11, v11, v56
	v_add_f32_e32 v7, v7, v57
	v_add_f32_e32 v15, v15, v61
	;; [unrolled: 1-line block ×4, first 2 shown]
	v_fma_f32 v68, v76, v78, -v68
	v_add_f32_e32 v11, v11, v62
	v_add_f32_e32 v15, v15, v63
	;; [unrolled: 1-line block ×10, first 2 shown]
	s_cbranch_scc0 .LBB341_2
.LBB341_3:
	s_clause 0x1
	s_load_b32 s3, s[0:1], 0x50
	s_load_b64 s[4:5], s[0:1], 0x58
	v_add_nc_u32_e32 v8, s13, v8
	v_add_nc_u32_e32 v2, s12, v6
	s_delay_alu instid0(VALU_DEP_1)
	v_cmp_le_i32_e64 s0, v8, v2
	v_cmp_gt_i32_e32 vcc_lo, s2, v2
	s_waitcnt lgkmcnt(0)
	v_mad_i64_i32 v[3:4], null, v8, s3, 0
	s_mul_i32 s1, s15, s5
	s_mul_hi_u32 s5, s15, s4
	s_mul_i32 s4, s15, s4
	s_add_i32 s5, s5, s1
	s_delay_alu instid0(SALU_CYCLE_1) | instskip(NEXT) | instid1(VALU_DEP_1)
	s_lshl_b64 s[4:5], s[4:5], 3
	v_lshlrev_b64 v[3:4], 3, v[3:4]
	s_add_u32 s4, s20, s4
	s_addc_u32 s5, s21, s5
	s_and_b32 s0, s0, vcc_lo
	s_delay_alu instid0(VALU_DEP_1) | instskip(NEXT) | instid1(VALU_DEP_1)
	v_add_co_u32 v6, s1, s4, v3
	v_add_co_ci_u32_e64 v12, s1, s5, v4, s1
	s_and_saveexec_b32 s1, s0
	s_cbranch_execz .LBB341_6
; %bb.4:
	v_ashrrev_i32_e32 v3, 31, v2
	s_delay_alu instid0(VALU_DEP_1) | instskip(NEXT) | instid1(VALU_DEP_1)
	v_lshlrev_b64 v[3:4], 3, v[2:3]
	v_add_co_u32 v3, s0, v6, v3
	s_delay_alu instid0(VALU_DEP_1)
	v_add_co_ci_u32_e64 v4, s0, v12, v4, s0
	v_cmp_eq_u32_e64 s0, v8, v2
	global_load_b64 v[13:14], v[3:4], off
	v_mul_f32_e32 v5, s9, v16
	s_waitcnt vmcnt(0)
	v_dual_mul_f32 v16, s8, v16 :: v_dual_mul_f32 v17, s7, v14
	v_mul_f32_e32 v14, s6, v14
	s_delay_alu instid0(VALU_DEP_3) | instskip(NEXT) | instid1(VALU_DEP_3)
	v_fma_f32 v5, v15, s8, -v5
	v_fmac_f32_e32 v16, s9, v15
	s_delay_alu instid0(VALU_DEP_4) | instskip(NEXT) | instid1(VALU_DEP_1)
	v_fma_f32 v15, v13, s6, -v17
	v_dual_fmac_f32 v14, s7, v13 :: v_dual_add_f32 v13, v5, v15
	s_delay_alu instid0(VALU_DEP_1)
	v_add_f32_e32 v14, v16, v14
	global_store_b64 v[3:4], v[13:14], off
	s_and_b32 exec_lo, exec_lo, s0
	s_cbranch_execz .LBB341_6
; %bb.5:
	v_mov_b32_e32 v5, 0
	global_store_b32 v[3:4], v5, off offset:4
.LBB341_6:
	s_or_b32 exec_lo, exec_lo, s1
	v_add_nc_u32_e32 v4, 16, v2
	s_delay_alu instid0(VALU_DEP_1) | instskip(SKIP_1) | instid1(VALU_DEP_1)
	v_cmp_le_i32_e64 s1, v8, v4
	v_cmp_gt_i32_e64 s0, s2, v4
	s_and_b32 s1, s1, s0
	s_delay_alu instid0(SALU_CYCLE_1)
	s_and_saveexec_b32 s2, s1
	s_cbranch_execz .LBB341_9
; %bb.7:
	v_ashrrev_i32_e32 v5, 31, v4
	s_delay_alu instid0(VALU_DEP_1) | instskip(NEXT) | instid1(VALU_DEP_1)
	v_lshlrev_b64 v[13:14], 3, v[4:5]
	v_add_co_u32 v5, s1, v6, v13
	s_delay_alu instid0(VALU_DEP_1)
	v_add_co_ci_u32_e64 v6, s1, v12, v14, s1
	v_cmp_eq_u32_e64 s1, v8, v4
	global_load_b64 v[12:13], v[5:6], off
	s_waitcnt vmcnt(0)
	v_dual_mul_f32 v3, s9, v11 :: v_dual_mul_f32 v14, s7, v13
	v_mul_f32_e32 v13, s6, v13
	s_delay_alu instid0(VALU_DEP_2) | instskip(SKIP_1) | instid1(VALU_DEP_3)
	v_fma_f32 v3, v10, s8, -v3
	v_mul_f32_e32 v11, s8, v11
	v_fmac_f32_e32 v13, s7, v12
	s_delay_alu instid0(VALU_DEP_2) | instskip(SKIP_1) | instid1(VALU_DEP_2)
	v_fmac_f32_e32 v11, s9, v10
	v_fma_f32 v10, v12, s6, -v14
	v_add_f32_e32 v11, v11, v13
	s_delay_alu instid0(VALU_DEP_2)
	v_add_f32_e32 v10, v3, v10
	global_store_b64 v[5:6], v[10:11], off
	s_and_b32 exec_lo, exec_lo, s1
	s_cbranch_execz .LBB341_9
; %bb.8:
	v_mov_b32_e32 v3, 0
	global_store_b32 v[5:6], v3, off offset:4
.LBB341_9:
	s_or_b32 exec_lo, exec_lo, s2
	v_add_nc_u32_e32 v12, 16, v8
	s_delay_alu instid0(VALU_DEP_1) | instskip(SKIP_1) | instid1(VALU_DEP_2)
	v_mad_i64_i32 v[5:6], null, v12, s3, 0
	v_cmp_le_i32_e64 s1, v12, v2
	v_lshlrev_b64 v[5:6], 3, v[5:6]
	s_delay_alu instid0(VALU_DEP_1) | instskip(NEXT) | instid1(VALU_DEP_1)
	v_add_co_u32 v10, s2, s4, v5
	v_add_co_ci_u32_e64 v11, s2, s5, v6, s2
	s_delay_alu instid0(VALU_DEP_4) | instskip(NEXT) | instid1(SALU_CYCLE_1)
	s_and_b32 s2, s1, vcc_lo
	s_and_saveexec_b32 s1, s2
	s_cbranch_execz .LBB341_12
; %bb.10:
	v_ashrrev_i32_e32 v3, 31, v2
	s_delay_alu instid0(VALU_DEP_1) | instskip(NEXT) | instid1(VALU_DEP_1)
	v_lshlrev_b64 v[5:6], 3, v[2:3]
	v_add_co_u32 v5, vcc_lo, v10, v5
	s_delay_alu instid0(VALU_DEP_2) | instskip(SKIP_4) | instid1(VALU_DEP_1)
	v_add_co_ci_u32_e32 v6, vcc_lo, v11, v6, vcc_lo
	v_cmp_eq_u32_e32 vcc_lo, v12, v2
	global_load_b64 v[13:14], v[5:6], off
	v_mul_f32_e32 v3, s9, v9
	v_mul_f32_e32 v9, s8, v9
	v_fmac_f32_e32 v9, s9, v7
	s_waitcnt vmcnt(0)
	v_mul_f32_e32 v15, s7, v14
	v_mul_f32_e32 v14, s6, v14
	v_fma_f32 v3, v7, s8, -v3
	s_delay_alu instid0(VALU_DEP_2) | instskip(NEXT) | instid1(VALU_DEP_4)
	v_fmac_f32_e32 v14, s7, v13
	v_fma_f32 v7, v13, s6, -v15
	s_delay_alu instid0(VALU_DEP_1)
	v_dual_add_f32 v14, v9, v14 :: v_dual_add_f32 v13, v3, v7
	global_store_b64 v[5:6], v[13:14], off
	s_and_b32 exec_lo, exec_lo, vcc_lo
	s_cbranch_execz .LBB341_12
; %bb.11:
	v_mov_b32_e32 v3, 0
	global_store_b32 v[5:6], v3, off offset:4
.LBB341_12:
	s_or_b32 exec_lo, exec_lo, s1
	v_cmp_le_i32_e32 vcc_lo, v12, v4
	s_and_b32 s0, vcc_lo, s0
	s_delay_alu instid0(SALU_CYCLE_1)
	s_and_saveexec_b32 s1, s0
	s_cbranch_execz .LBB341_15
; %bb.13:
	v_ashrrev_i32_e32 v5, 31, v4
	s_delay_alu instid0(VALU_DEP_1) | instskip(NEXT) | instid1(VALU_DEP_1)
	v_lshlrev_b64 v[3:4], 3, v[4:5]
	v_add_co_u32 v3, vcc_lo, v10, v3
	s_delay_alu instid0(VALU_DEP_2)
	v_add_co_ci_u32_e32 v4, vcc_lo, v11, v4, vcc_lo
	v_cmp_eq_u32_e32 vcc_lo, v8, v2
	global_load_b64 v[5:6], v[3:4], off
	v_mul_f32_e32 v7, s9, v1
	s_waitcnt vmcnt(0)
	v_mul_f32_e32 v9, s7, v6
	v_mul_f32_e32 v6, s6, v6
	s_delay_alu instid0(VALU_DEP_3) | instskip(SKIP_1) | instid1(VALU_DEP_1)
	v_fma_f32 v7, v0, s8, -v7
	v_mul_f32_e32 v1, s8, v1
	v_dual_fmac_f32 v6, s7, v5 :: v_dual_fmac_f32 v1, s9, v0
	v_fma_f32 v0, v5, s6, -v9
	s_delay_alu instid0(VALU_DEP_1)
	v_dual_add_f32 v1, v1, v6 :: v_dual_add_f32 v0, v7, v0
	global_store_b64 v[3:4], v[0:1], off
	s_and_b32 exec_lo, exec_lo, vcc_lo
	s_cbranch_execz .LBB341_15
; %bb.14:
	v_mov_b32_e32 v0, 0
	global_store_b32 v[3:4], v0, off offset:4
.LBB341_15:
	s_nop 0
	s_sendmsg sendmsg(MSG_DEALLOC_VGPRS)
	s_endpgm
	.section	.rodata,"a",@progbits
	.p2align	6, 0x0
	.amdhsa_kernel _ZL37rocblas_syrkx_herkx_restricted_kernelIi19rocblas_complex_numIfELi16ELi32ELi8ELb0ELb1ELc67ELc76EKS1_S1_EviT_T0_PT8_S3_lS6_S3_lS4_PT9_S3_li
		.amdhsa_group_segment_fixed_size 4096
		.amdhsa_private_segment_fixed_size 0
		.amdhsa_kernarg_size 100
		.amdhsa_user_sgpr_count 13
		.amdhsa_user_sgpr_dispatch_ptr 0
		.amdhsa_user_sgpr_queue_ptr 0
		.amdhsa_user_sgpr_kernarg_segment_ptr 1
		.amdhsa_user_sgpr_dispatch_id 0
		.amdhsa_user_sgpr_private_segment_size 0
		.amdhsa_wavefront_size32 1
		.amdhsa_uses_dynamic_stack 0
		.amdhsa_enable_private_segment 0
		.amdhsa_system_sgpr_workgroup_id_x 1
		.amdhsa_system_sgpr_workgroup_id_y 1
		.amdhsa_system_sgpr_workgroup_id_z 1
		.amdhsa_system_sgpr_workgroup_info 0
		.amdhsa_system_vgpr_workitem_id 1
		.amdhsa_next_free_vgpr 91
		.amdhsa_next_free_sgpr 25
		.amdhsa_reserve_vcc 1
		.amdhsa_float_round_mode_32 0
		.amdhsa_float_round_mode_16_64 0
		.amdhsa_float_denorm_mode_32 3
		.amdhsa_float_denorm_mode_16_64 3
		.amdhsa_dx10_clamp 1
		.amdhsa_ieee_mode 1
		.amdhsa_fp16_overflow 0
		.amdhsa_workgroup_processor_mode 1
		.amdhsa_memory_ordered 1
		.amdhsa_forward_progress 0
		.amdhsa_shared_vgpr_count 0
		.amdhsa_exception_fp_ieee_invalid_op 0
		.amdhsa_exception_fp_denorm_src 0
		.amdhsa_exception_fp_ieee_div_zero 0
		.amdhsa_exception_fp_ieee_overflow 0
		.amdhsa_exception_fp_ieee_underflow 0
		.amdhsa_exception_fp_ieee_inexact 0
		.amdhsa_exception_int_div_zero 0
	.end_amdhsa_kernel
	.section	.text._ZL37rocblas_syrkx_herkx_restricted_kernelIi19rocblas_complex_numIfELi16ELi32ELi8ELb0ELb1ELc67ELc76EKS1_S1_EviT_T0_PT8_S3_lS6_S3_lS4_PT9_S3_li,"axG",@progbits,_ZL37rocblas_syrkx_herkx_restricted_kernelIi19rocblas_complex_numIfELi16ELi32ELi8ELb0ELb1ELc67ELc76EKS1_S1_EviT_T0_PT8_S3_lS6_S3_lS4_PT9_S3_li,comdat
.Lfunc_end341:
	.size	_ZL37rocblas_syrkx_herkx_restricted_kernelIi19rocblas_complex_numIfELi16ELi32ELi8ELb0ELb1ELc67ELc76EKS1_S1_EviT_T0_PT8_S3_lS6_S3_lS4_PT9_S3_li, .Lfunc_end341-_ZL37rocblas_syrkx_herkx_restricted_kernelIi19rocblas_complex_numIfELi16ELi32ELi8ELb0ELb1ELc67ELc76EKS1_S1_EviT_T0_PT8_S3_lS6_S3_lS4_PT9_S3_li
                                        ; -- End function
	.section	.AMDGPU.csdata,"",@progbits
; Kernel info:
; codeLenInByte = 2416
; NumSgprs: 27
; NumVgprs: 91
; ScratchSize: 0
; MemoryBound: 0
; FloatMode: 240
; IeeeMode: 1
; LDSByteSize: 4096 bytes/workgroup (compile time only)
; SGPRBlocks: 3
; VGPRBlocks: 11
; NumSGPRsForWavesPerEU: 27
; NumVGPRsForWavesPerEU: 91
; Occupancy: 16
; WaveLimiterHint : 0
; COMPUTE_PGM_RSRC2:SCRATCH_EN: 0
; COMPUTE_PGM_RSRC2:USER_SGPR: 13
; COMPUTE_PGM_RSRC2:TRAP_HANDLER: 0
; COMPUTE_PGM_RSRC2:TGID_X_EN: 1
; COMPUTE_PGM_RSRC2:TGID_Y_EN: 1
; COMPUTE_PGM_RSRC2:TGID_Z_EN: 1
; COMPUTE_PGM_RSRC2:TIDIG_COMP_CNT: 1
	.section	.text._ZL37rocblas_syrkx_herkx_restricted_kernelIi19rocblas_complex_numIfELi16ELi32ELi8ELb0ELb1ELc78ELc76EKS1_S1_EviT_T0_PT8_S3_lS6_S3_lS4_PT9_S3_li,"axG",@progbits,_ZL37rocblas_syrkx_herkx_restricted_kernelIi19rocblas_complex_numIfELi16ELi32ELi8ELb0ELb1ELc78ELc76EKS1_S1_EviT_T0_PT8_S3_lS6_S3_lS4_PT9_S3_li,comdat
	.globl	_ZL37rocblas_syrkx_herkx_restricted_kernelIi19rocblas_complex_numIfELi16ELi32ELi8ELb0ELb1ELc78ELc76EKS1_S1_EviT_T0_PT8_S3_lS6_S3_lS4_PT9_S3_li ; -- Begin function _ZL37rocblas_syrkx_herkx_restricted_kernelIi19rocblas_complex_numIfELi16ELi32ELi8ELb0ELb1ELc78ELc76EKS1_S1_EviT_T0_PT8_S3_lS6_S3_lS4_PT9_S3_li
	.p2align	8
	.type	_ZL37rocblas_syrkx_herkx_restricted_kernelIi19rocblas_complex_numIfELi16ELi32ELi8ELb0ELb1ELc78ELc76EKS1_S1_EviT_T0_PT8_S3_lS6_S3_lS4_PT9_S3_li,@function
_ZL37rocblas_syrkx_herkx_restricted_kernelIi19rocblas_complex_numIfELi16ELi32ELi8ELb0ELb1ELc78ELc76EKS1_S1_EviT_T0_PT8_S3_lS6_S3_lS4_PT9_S3_li: ; @_ZL37rocblas_syrkx_herkx_restricted_kernelIi19rocblas_complex_numIfELi16ELi32ELi8ELb0ELb1ELc78ELc76EKS1_S1_EviT_T0_PT8_S3_lS6_S3_lS4_PT9_S3_li
; %bb.0:
	s_clause 0x3
	s_load_b64 s[2:3], s[0:1], 0x0
	s_load_b128 s[8:11], s[0:1], 0x8
	s_load_b128 s[4:7], s[0:1], 0x38
	s_load_b64 s[20:21], s[0:1], 0x48
	v_dual_mov_b32 v17, 0 :: v_dual_and_b32 v4, 0x3ff, v0
	v_bfe_u32 v7, v0, 10, 10
	v_dual_mov_b32 v16, 0 :: v_dual_mov_b32 v11, 0
	v_dual_mov_b32 v10, 0 :: v_dual_mov_b32 v9, 0
	;; [unrolled: 1-line block ×3, first 2 shown]
	v_mov_b32_e32 v6, 0
	s_lshl_b32 s12, s13, 5
	s_lshl_b32 s13, s14, 5
	s_mov_b32 s14, 0
	s_waitcnt lgkmcnt(0)
	s_cmp_lt_i32 s3, 1
	s_cbranch_scc1 .LBB342_3
; %bb.1:
	s_clause 0x1
	s_load_b32 s22, s[0:1], 0x30
	s_load_b32 s24, s[0:1], 0x18
	v_lshl_add_u32 v0, v7, 4, v4
	v_and_b32_e32 v8, 7, v4
	s_load_b128 s[16:19], s[0:1], 0x20
	s_mul_i32 s5, s5, s15
	v_lshlrev_b32_e32 v14, 3, v4
	v_lshrrev_b32_e32 v1, 3, v0
	v_and_b32_e32 v2, 31, v0
	v_lshlrev_b32_e32 v3, 3, v8
	v_lshrrev_b32_e32 v9, 5, v0
	s_delay_alu instid0(VALU_DEP_4) | instskip(NEXT) | instid1(VALU_DEP_4)
	v_dual_mov_b32 v11, 0 :: v_dual_add_nc_u32 v0, s13, v1
	v_lshlrev_b32_e32 v5, 3, v2
	s_delay_alu instid0(VALU_DEP_4) | instskip(SKIP_1) | instid1(VALU_DEP_4)
	v_lshl_or_b32 v3, v1, 6, v3
	v_dual_mov_b32 v17, 0 :: v_dual_add_nc_u32 v2, s12, v2
	v_ashrrev_i32_e32 v1, 31, v0
	s_delay_alu instid0(VALU_DEP_4) | instskip(NEXT) | instid1(VALU_DEP_4)
	v_lshl_or_b32 v12, v9, 8, v5
	v_dual_mov_b32 v10, 0 :: v_dual_add_nc_u32 v13, 0x800, v3
	s_delay_alu instid0(VALU_DEP_4)
	v_ashrrev_i32_e32 v3, 31, v2
	s_waitcnt lgkmcnt(0)
	v_mad_i64_i32 v[5:6], null, s22, v8, v[0:1]
	s_mul_i32 s17, s17, s15
	s_mul_hi_u32 s26, s16, s15
	v_mad_i64_i32 v[0:1], null, s24, v9, v[2:3]
	s_add_i32 s17, s26, s17
	s_mul_i32 s16, s16, s15
	s_ashr_i32 s25, s24, 31
	s_lshl_b64 s[16:17], s[16:17], 3
	s_ashr_i32 s23, s22, 31
	s_add_u32 s10, s10, s16
	s_delay_alu instid0(VALU_DEP_1)
	v_lshlrev_b64 v[0:1], 3, v[0:1]
	s_addc_u32 s11, s11, s17
	s_mul_hi_u32 s16, s4, s15
	s_mul_i32 s4, s4, s15
	s_add_i32 s5, s16, s5
	v_lshl_add_u32 v15, v7, 6, 0x800
	v_add_co_u32 v2, vcc_lo, s10, v0
	v_add_co_ci_u32_e32 v3, vcc_lo, s11, v1, vcc_lo
	v_lshlrev_b64 v[0:1], 3, v[5:6]
	s_lshl_b64 s[10:11], s[4:5], 3
	s_lshl_b64 s[4:5], s[24:25], 6
	s_add_u32 s10, s18, s10
	s_addc_u32 s11, s19, s11
	v_mov_b32_e32 v9, 0
	v_add_co_u32 v5, vcc_lo, s10, v0
	v_add_co_ci_u32_e32 v6, vcc_lo, s11, v1, vcc_lo
	v_add_co_u32 v0, vcc_lo, v2, 4
	v_add_co_ci_u32_e32 v1, vcc_lo, 0, v3, vcc_lo
	s_delay_alu instid0(VALU_DEP_4) | instskip(NEXT) | instid1(VALU_DEP_4)
	v_add_co_u32 v2, vcc_lo, v5, 4
	v_add_co_ci_u32_e32 v3, vcc_lo, 0, v6, vcc_lo
	v_dual_mov_b32 v6, 0 :: v_dual_mov_b32 v5, 0
	v_mov_b32_e32 v8, 0
	v_mov_b32_e32 v16, 0
	s_lshl_b64 s[10:11], s[22:23], 6
.LBB342_2:                              ; =>This Inner Loop Header: Depth=1
	global_load_b64 v[18:19], v[2:3], off offset:-4
	global_load_b64 v[20:21], v[0:1], off offset:-4
	v_add_co_u32 v0, vcc_lo, v0, s4
	v_add_co_ci_u32_e32 v1, vcc_lo, s5, v1, vcc_lo
	v_add_co_u32 v2, vcc_lo, v2, s10
	v_add_co_ci_u32_e32 v3, vcc_lo, s11, v3, vcc_lo
	s_add_i32 s14, s14, 8
	s_delay_alu instid0(SALU_CYCLE_1)
	s_cmp_ge_i32 s14, s3
	s_waitcnt vmcnt(1)
	v_xor_b32_e32 v19, 0x80000000, v19
	s_waitcnt vmcnt(0)
	ds_store_b64 v12, v[20:21]
	ds_store_b64 v13, v[18:19]
	s_waitcnt lgkmcnt(0)
	s_barrier
	buffer_gl0_inv
	ds_load_2addr_b64 v[18:21], v14 offset1:16
	ds_load_b128 v[22:25], v15
	ds_load_b128 v[26:29], v15 offset:1024
	ds_load_b128 v[30:33], v15 offset:16
	ds_load_2addr_b64 v[34:37], v14 offset0:32 offset1:48
	ds_load_b128 v[38:41], v15 offset:32
	ds_load_b128 v[42:45], v15 offset:48
	ds_load_2addr_b64 v[46:49], v14 offset0:64 offset1:80
	ds_load_b128 v[50:53], v15 offset:1040
	ds_load_2addr_b64 v[54:57], v14 offset0:96 offset1:112
	ds_load_2addr_b64 v[58:61], v14 offset0:128 offset1:144
	;; [unrolled: 1-line block ×4, first 2 shown]
	ds_load_b128 v[70:73], v15 offset:1056
	ds_load_b128 v[74:77], v15 offset:1072
	ds_load_2addr_b64 v[78:81], v14 offset0:224 offset1:240
	s_waitcnt lgkmcnt(0)
	s_barrier
	buffer_gl0_inv
	v_dual_mul_f32 v82, v23, v19 :: v_dual_mul_f32 v85, v22, v21
	v_dual_mul_f32 v83, v22, v19 :: v_dual_mul_f32 v84, v23, v21
	v_mul_f32_e32 v86, v27, v19
	v_dual_mul_f32 v19, v26, v19 :: v_dual_mul_f32 v90, v25, v37
	v_dual_mul_f32 v87, v27, v21 :: v_dual_mul_f32 v88, v25, v35
	v_mul_f32_e32 v21, v26, v21
	v_mul_f32_e32 v89, v24, v35
	;; [unrolled: 1-line block ×3, first 2 shown]
	v_fma_f32 v82, v22, v18, -v82
	v_fmac_f32_e32 v83, v23, v18
	v_fma_f32 v22, v22, v20, -v84
	v_dual_fmac_f32 v85, v23, v20 :: v_dual_mul_f32 v84, v30, v47
	v_fma_f32 v23, v26, v18, -v86
	v_fmac_f32_e32 v19, v27, v18
	v_fma_f32 v18, v26, v20, -v87
	v_dual_mul_f32 v26, v28, v35 :: v_dual_fmac_f32 v21, v27, v20
	v_mul_f32_e32 v20, v29, v35
	v_mul_f32_e32 v27, v29, v37
	v_dual_mul_f32 v35, v28, v37 :: v_dual_fmac_f32 v84, v31, v46
	v_fma_f32 v37, v24, v34, -v88
	v_fma_f32 v24, v24, v36, -v90
	v_dual_fmac_f32 v91, v25, v36 :: v_dual_mul_f32 v90, v32, v57
	v_dual_mul_f32 v86, v31, v49 :: v_dual_fmac_f32 v89, v25, v34
	v_dual_mul_f32 v25, v31, v47 :: v_dual_mul_f32 v88, v33, v57
	v_fma_f32 v20, v28, v34, -v20
	v_fmac_f32_e32 v26, v29, v34
	v_fma_f32 v27, v28, v36, -v27
	v_dual_fmac_f32 v35, v29, v36 :: v_dual_mul_f32 v28, v51, v47
	v_dual_mul_f32 v29, v50, v47 :: v_dual_mul_f32 v34, v51, v49
	v_mul_f32_e32 v36, v50, v49
	v_mul_f32_e32 v87, v30, v49
	;; [unrolled: 1-line block ×3, first 2 shown]
	v_dual_mul_f32 v49, v32, v55 :: v_dual_fmac_f32 v90, v33, v56
	v_fma_f32 v25, v30, v46, -v25
	v_fma_f32 v30, v30, v48, -v86
	;; [unrolled: 1-line block ×3, first 2 shown]
	v_fmac_f32_e32 v36, v51, v48
	v_fmac_f32_e32 v87, v31, v48
	v_fma_f32 v31, v50, v48, -v34
	v_mul_f32_e32 v34, v53, v55
	v_mul_f32_e32 v48, v53, v57
	v_dual_mul_f32 v50, v52, v57 :: v_dual_fmac_f32 v29, v51, v46
	v_mul_f32_e32 v46, v52, v55
	v_fma_f32 v47, v32, v54, -v47
	v_fmac_f32_e32 v49, v33, v54
	v_fma_f32 v32, v32, v56, -v88
	s_delay_alu instid0(VALU_DEP_4)
	v_dual_mul_f32 v33, v39, v59 :: v_dual_fmac_f32 v46, v53, v54
	v_mul_f32_e32 v51, v38, v59
	v_mul_f32_e32 v55, v39, v61
	v_fma_f32 v34, v52, v54, -v34
	v_fma_f32 v48, v52, v56, -v48
	v_fmac_f32_e32 v50, v53, v56
	v_mul_f32_e32 v52, v71, v59
	v_dual_mul_f32 v53, v70, v59 :: v_dual_mul_f32 v86, v41, v65
	v_mul_f32_e32 v54, v71, v61
	v_dual_mul_f32 v56, v70, v61 :: v_dual_mul_f32 v59, v41, v63
	v_mul_f32_e32 v57, v38, v61
	v_mul_f32_e32 v61, v40, v63
	v_dual_mul_f32 v88, v40, v65 :: v_dual_fmac_f32 v51, v39, v58
	v_fma_f32 v33, v38, v58, -v33
	v_fmac_f32_e32 v53, v71, v58
	v_fmac_f32_e32 v56, v71, v60
	s_delay_alu instid0(VALU_DEP_4)
	v_fmac_f32_e32 v88, v41, v64
	v_fmac_f32_e32 v57, v39, v60
	v_fma_f32 v39, v70, v58, -v52
	v_fma_f32 v52, v70, v60, -v54
	v_mul_f32_e32 v54, v73, v63
	v_fma_f32 v38, v38, v60, -v55
	v_mul_f32_e32 v60, v72, v65
	v_dual_mul_f32 v55, v72, v63 :: v_dual_mul_f32 v70, v42, v69
	v_mul_f32_e32 v58, v73, v65
	v_fma_f32 v59, v40, v62, -v59
	v_fmac_f32_e32 v61, v41, v62
	v_fma_f32 v40, v40, v64, -v86
	v_dual_mul_f32 v41, v43, v67 :: v_dual_fmac_f32 v60, v73, v64
	v_dual_mul_f32 v63, v42, v67 :: v_dual_mul_f32 v86, v44, v81
	v_mul_f32_e32 v65, v43, v69
	v_fma_f32 v54, v72, v62, -v54
	v_fmac_f32_e32 v55, v73, v62
	v_fma_f32 v58, v72, v64, -v58
	v_mul_f32_e32 v72, v44, v79
	v_mul_f32_e32 v62, v75, v67
	v_dual_mul_f32 v64, v74, v67 :: v_dual_mul_f32 v67, v75, v69
	v_dual_mul_f32 v69, v74, v69 :: v_dual_fmac_f32 v70, v43, v68
	s_delay_alu instid0(VALU_DEP_2)
	v_dual_mul_f32 v71, v45, v79 :: v_dual_fmac_f32 v64, v75, v66
	v_dual_mul_f32 v73, v45, v81 :: v_dual_add_f32 v16, v16, v82
	v_fma_f32 v41, v42, v66, -v41
	v_fmac_f32_e32 v63, v43, v66
	v_fma_f32 v42, v42, v68, -v65
	v_fma_f32 v43, v74, v66, -v62
	v_dual_mul_f32 v65, v77, v79 :: v_dual_add_f32 v10, v10, v22
	v_mul_f32_e32 v66, v76, v79
	v_fma_f32 v62, v74, v68, -v67
	v_dual_mul_f32 v67, v77, v81 :: v_dual_add_f32 v8, v8, v23
	v_dual_fmac_f32 v86, v45, v80 :: v_dual_add_f32 v11, v11, v85
	v_dual_add_f32 v17, v17, v83 :: v_dual_add_f32 v6, v6, v21
	v_dual_add_f32 v9, v9, v19 :: v_dual_add_f32 v16, v16, v37
	;; [unrolled: 1-line block ×3, first 2 shown]
	v_dual_fmac_f32 v69, v75, v68 :: v_dual_fmac_f32 v72, v45, v78
	v_mul_f32_e32 v68, v76, v81
	v_dual_fmac_f32 v66, v77, v78 :: v_dual_add_f32 v11, v11, v91
	v_dual_add_f32 v17, v17, v89 :: v_dual_add_f32 v8, v8, v20
	v_dual_add_f32 v9, v9, v26 :: v_dual_add_f32 v6, v6, v35
	;; [unrolled: 1-line block ×3, first 2 shown]
	s_delay_alu instid0(VALU_DEP_4) | instskip(NEXT) | instid1(VALU_DEP_4)
	v_dual_fmac_f32 v68, v77, v80 :: v_dual_add_f32 v11, v11, v87
	v_dual_add_f32 v17, v17, v84 :: v_dual_add_f32 v10, v10, v30
	s_delay_alu instid0(VALU_DEP_4) | instskip(NEXT) | instid1(VALU_DEP_4)
	v_dual_add_f32 v8, v8, v28 :: v_dual_add_f32 v9, v9, v29
	v_dual_add_f32 v5, v5, v31 :: v_dual_add_f32 v6, v6, v36
	s_delay_alu instid0(VALU_DEP_3) | instskip(NEXT) | instid1(VALU_DEP_4)
	v_dual_add_f32 v16, v16, v47 :: v_dual_add_f32 v17, v17, v49
	v_dual_add_f32 v10, v10, v32 :: v_dual_add_f32 v11, v11, v90
	s_delay_alu instid0(VALU_DEP_3) | instskip(NEXT) | instid1(VALU_DEP_3)
	v_dual_add_f32 v8, v8, v34 :: v_dual_add_f32 v5, v5, v48
	v_dual_add_f32 v9, v9, v46 :: v_dual_add_f32 v16, v16, v33
	s_delay_alu instid0(VALU_DEP_4) | instskip(NEXT) | instid1(VALU_DEP_4)
	v_dual_add_f32 v6, v6, v50 :: v_dual_add_f32 v17, v17, v51
	v_dual_add_f32 v10, v10, v38 :: v_dual_add_f32 v11, v11, v57
	s_delay_alu instid0(VALU_DEP_3) | instskip(NEXT) | instid1(VALU_DEP_4)
	v_dual_add_f32 v8, v8, v39 :: v_dual_add_f32 v9, v9, v53
	v_dual_add_f32 v5, v5, v52 :: v_dual_add_f32 v16, v16, v59
	s_delay_alu instid0(VALU_DEP_4) | instskip(NEXT) | instid1(VALU_DEP_3)
	v_dual_add_f32 v6, v6, v56 :: v_dual_add_f32 v17, v17, v61
	v_dual_add_f32 v10, v10, v40 :: v_dual_add_f32 v9, v9, v55
	s_delay_alu instid0(VALU_DEP_4) | instskip(NEXT) | instid1(VALU_DEP_3)
	v_dual_add_f32 v11, v11, v88 :: v_dual_add_f32 v8, v8, v54
	v_dual_add_f32 v5, v5, v58 :: v_dual_add_f32 v6, v6, v60
	v_fma_f32 v71, v44, v78, -v71
	v_fma_f32 v44, v44, v80, -v73
	;; [unrolled: 1-line block ×4, first 2 shown]
	v_dual_add_f32 v16, v16, v41 :: v_dual_add_f32 v17, v17, v63
	v_dual_add_f32 v10, v10, v42 :: v_dual_add_f32 v9, v9, v64
	;; [unrolled: 1-line block ×4, first 2 shown]
	s_delay_alu instid0(VALU_DEP_4) | instskip(NEXT) | instid1(VALU_DEP_3)
	v_dual_add_f32 v16, v16, v71 :: v_dual_add_f32 v17, v17, v72
	v_dual_add_f32 v10, v10, v44 :: v_dual_add_f32 v11, v11, v86
	s_delay_alu instid0(VALU_DEP_4) | instskip(NEXT) | instid1(VALU_DEP_4)
	v_dual_add_f32 v8, v8, v45 :: v_dual_add_f32 v9, v9, v66
	v_dual_add_f32 v5, v5, v65 :: v_dual_add_f32 v6, v6, v68
	s_cbranch_scc0 .LBB342_2
.LBB342_3:
	s_clause 0x1
	s_load_b32 s3, s[0:1], 0x50
	s_load_b64 s[4:5], s[0:1], 0x58
	v_add_nc_u32_e32 v7, s13, v7
	v_add_nc_u32_e32 v0, s12, v4
	s_delay_alu instid0(VALU_DEP_1)
	v_cmp_le_i32_e64 s0, v7, v0
	v_cmp_gt_i32_e32 vcc_lo, s2, v0
	s_waitcnt lgkmcnt(0)
	v_mad_i64_i32 v[1:2], null, v7, s3, 0
	s_mul_i32 s1, s15, s5
	s_mul_hi_u32 s5, s15, s4
	s_mul_i32 s4, s15, s4
	s_add_i32 s5, s5, s1
	s_delay_alu instid0(SALU_CYCLE_1) | instskip(NEXT) | instid1(VALU_DEP_1)
	s_lshl_b64 s[4:5], s[4:5], 3
	v_lshlrev_b64 v[1:2], 3, v[1:2]
	s_add_u32 s4, s20, s4
	s_addc_u32 s5, s21, s5
	s_and_b32 s0, s0, vcc_lo
	s_delay_alu instid0(VALU_DEP_1) | instskip(NEXT) | instid1(VALU_DEP_1)
	v_add_co_u32 v4, s1, s4, v1
	v_add_co_ci_u32_e64 v12, s1, s5, v2, s1
	s_and_saveexec_b32 s1, s0
	s_cbranch_execz .LBB342_6
; %bb.4:
	v_ashrrev_i32_e32 v1, 31, v0
	v_mul_f32_e32 v15, s8, v17
	s_delay_alu instid0(VALU_DEP_2) | instskip(NEXT) | instid1(VALU_DEP_2)
	v_lshlrev_b64 v[1:2], 3, v[0:1]
	v_fmac_f32_e32 v15, s9, v16
	s_delay_alu instid0(VALU_DEP_2) | instskip(NEXT) | instid1(VALU_DEP_1)
	v_add_co_u32 v1, s0, v4, v1
	v_add_co_ci_u32_e64 v2, s0, v12, v2, s0
	v_cmp_eq_u32_e64 s0, v7, v0
	global_load_b64 v[13:14], v[1:2], off
	v_mul_f32_e32 v3, s9, v17
	s_waitcnt vmcnt(0)
	v_mul_f32_e32 v17, s7, v14
	v_mul_f32_e32 v14, s6, v14
	s_delay_alu instid0(VALU_DEP_3) | instskip(NEXT) | instid1(VALU_DEP_2)
	v_fma_f32 v3, v16, s8, -v3
	v_fmac_f32_e32 v14, s7, v13
	s_delay_alu instid0(VALU_DEP_4) | instskip(NEXT) | instid1(VALU_DEP_2)
	v_fma_f32 v16, v13, s6, -v17
	v_add_f32_e32 v14, v15, v14
	s_delay_alu instid0(VALU_DEP_2)
	v_add_f32_e32 v13, v3, v16
	global_store_b64 v[1:2], v[13:14], off
	s_and_b32 exec_lo, exec_lo, s0
	s_cbranch_execz .LBB342_6
; %bb.5:
	v_mov_b32_e32 v3, 0
	global_store_b32 v[1:2], v3, off offset:4
.LBB342_6:
	s_or_b32 exec_lo, exec_lo, s1
	v_add_nc_u32_e32 v2, 16, v0
	s_delay_alu instid0(VALU_DEP_1) | instskip(SKIP_1) | instid1(VALU_DEP_1)
	v_cmp_le_i32_e64 s1, v7, v2
	v_cmp_gt_i32_e64 s0, s2, v2
	s_and_b32 s1, s1, s0
	s_delay_alu instid0(SALU_CYCLE_1)
	s_and_saveexec_b32 s2, s1
	s_cbranch_execz .LBB342_9
; %bb.7:
	v_ashrrev_i32_e32 v3, 31, v2
	s_delay_alu instid0(VALU_DEP_1) | instskip(NEXT) | instid1(VALU_DEP_1)
	v_lshlrev_b64 v[13:14], 3, v[2:3]
	v_add_co_u32 v3, s1, v4, v13
	s_delay_alu instid0(VALU_DEP_1)
	v_add_co_ci_u32_e64 v4, s1, v12, v14, s1
	v_cmp_eq_u32_e64 s1, v7, v2
	global_load_b64 v[12:13], v[3:4], off
	s_waitcnt vmcnt(0)
	v_dual_mul_f32 v1, s9, v11 :: v_dual_mul_f32 v14, s7, v13
	v_mul_f32_e32 v13, s6, v13
	s_delay_alu instid0(VALU_DEP_2) | instskip(SKIP_1) | instid1(VALU_DEP_3)
	v_fma_f32 v1, v10, s8, -v1
	v_mul_f32_e32 v11, s8, v11
	v_fmac_f32_e32 v13, s7, v12
	s_delay_alu instid0(VALU_DEP_2) | instskip(SKIP_1) | instid1(VALU_DEP_1)
	v_fmac_f32_e32 v11, s9, v10
	v_fma_f32 v10, v12, s6, -v14
	v_dual_add_f32 v11, v11, v13 :: v_dual_add_f32 v10, v1, v10
	global_store_b64 v[3:4], v[10:11], off
	s_and_b32 exec_lo, exec_lo, s1
	s_cbranch_execz .LBB342_9
; %bb.8:
	v_mov_b32_e32 v1, 0
	global_store_b32 v[3:4], v1, off offset:4
.LBB342_9:
	s_or_b32 exec_lo, exec_lo, s2
	v_add_nc_u32_e32 v12, 16, v7
	s_delay_alu instid0(VALU_DEP_1) | instskip(SKIP_1) | instid1(VALU_DEP_2)
	v_mad_i64_i32 v[3:4], null, v12, s3, 0
	v_cmp_le_i32_e64 s1, v12, v0
	v_lshlrev_b64 v[3:4], 3, v[3:4]
	s_delay_alu instid0(VALU_DEP_1) | instskip(NEXT) | instid1(VALU_DEP_1)
	v_add_co_u32 v10, s2, s4, v3
	v_add_co_ci_u32_e64 v11, s2, s5, v4, s2
	s_delay_alu instid0(VALU_DEP_4) | instskip(NEXT) | instid1(SALU_CYCLE_1)
	s_and_b32 s2, s1, vcc_lo
	s_and_saveexec_b32 s1, s2
	s_cbranch_execz .LBB342_12
; %bb.10:
	v_ashrrev_i32_e32 v1, 31, v0
	s_delay_alu instid0(VALU_DEP_1) | instskip(NEXT) | instid1(VALU_DEP_1)
	v_lshlrev_b64 v[3:4], 3, v[0:1]
	v_add_co_u32 v3, vcc_lo, v10, v3
	s_delay_alu instid0(VALU_DEP_2)
	v_add_co_ci_u32_e32 v4, vcc_lo, v11, v4, vcc_lo
	v_cmp_eq_u32_e32 vcc_lo, v12, v0
	global_load_b64 v[13:14], v[3:4], off
	v_mul_f32_e32 v1, s9, v9
	s_waitcnt vmcnt(0)
	v_mul_f32_e32 v15, s7, v14
	v_mul_f32_e32 v14, s6, v14
	s_delay_alu instid0(VALU_DEP_3) | instskip(SKIP_1) | instid1(VALU_DEP_1)
	v_fma_f32 v1, v8, s8, -v1
	v_mul_f32_e32 v9, s8, v9
	v_dual_fmac_f32 v14, s7, v13 :: v_dual_fmac_f32 v9, s9, v8
	v_fma_f32 v8, v13, s6, -v15
	s_delay_alu instid0(VALU_DEP_2) | instskip(NEXT) | instid1(VALU_DEP_2)
	v_add_f32_e32 v9, v9, v14
	v_add_f32_e32 v8, v1, v8
	global_store_b64 v[3:4], v[8:9], off
	s_and_b32 exec_lo, exec_lo, vcc_lo
	s_cbranch_execz .LBB342_12
; %bb.11:
	v_mov_b32_e32 v1, 0
	global_store_b32 v[3:4], v1, off offset:4
.LBB342_12:
	s_or_b32 exec_lo, exec_lo, s1
	v_cmp_le_i32_e32 vcc_lo, v12, v2
	s_and_b32 s0, vcc_lo, s0
	s_delay_alu instid0(SALU_CYCLE_1)
	s_and_saveexec_b32 s1, s0
	s_cbranch_execz .LBB342_15
; %bb.13:
	v_ashrrev_i32_e32 v3, 31, v2
	s_delay_alu instid0(VALU_DEP_1) | instskip(NEXT) | instid1(VALU_DEP_1)
	v_lshlrev_b64 v[1:2], 3, v[2:3]
	v_add_co_u32 v1, vcc_lo, v10, v1
	s_delay_alu instid0(VALU_DEP_2)
	v_add_co_ci_u32_e32 v2, vcc_lo, v11, v2, vcc_lo
	v_cmp_eq_u32_e32 vcc_lo, v7, v0
	global_load_b64 v[3:4], v[1:2], off
	s_waitcnt vmcnt(0)
	v_dual_mul_f32 v8, s9, v6 :: v_dual_mul_f32 v9, s7, v4
	v_mul_f32_e32 v4, s6, v4
	s_delay_alu instid0(VALU_DEP_2) | instskip(SKIP_1) | instid1(VALU_DEP_3)
	v_fma_f32 v8, v5, s8, -v8
	v_mul_f32_e32 v6, s8, v6
	v_fmac_f32_e32 v4, s7, v3
	s_delay_alu instid0(VALU_DEP_2) | instskip(SKIP_1) | instid1(VALU_DEP_1)
	v_fmac_f32_e32 v6, s9, v5
	v_fma_f32 v5, v3, s6, -v9
	v_dual_add_f32 v4, v6, v4 :: v_dual_add_f32 v3, v8, v5
	global_store_b64 v[1:2], v[3:4], off
	s_and_b32 exec_lo, exec_lo, vcc_lo
	s_cbranch_execz .LBB342_15
; %bb.14:
	v_mov_b32_e32 v0, 0
	global_store_b32 v[1:2], v0, off offset:4
.LBB342_15:
	s_nop 0
	s_sendmsg sendmsg(MSG_DEALLOC_VGPRS)
	s_endpgm
	.section	.rodata,"a",@progbits
	.p2align	6, 0x0
	.amdhsa_kernel _ZL37rocblas_syrkx_herkx_restricted_kernelIi19rocblas_complex_numIfELi16ELi32ELi8ELb0ELb1ELc78ELc76EKS1_S1_EviT_T0_PT8_S3_lS6_S3_lS4_PT9_S3_li
		.amdhsa_group_segment_fixed_size 4096
		.amdhsa_private_segment_fixed_size 0
		.amdhsa_kernarg_size 100
		.amdhsa_user_sgpr_count 13
		.amdhsa_user_sgpr_dispatch_ptr 0
		.amdhsa_user_sgpr_queue_ptr 0
		.amdhsa_user_sgpr_kernarg_segment_ptr 1
		.amdhsa_user_sgpr_dispatch_id 0
		.amdhsa_user_sgpr_private_segment_size 0
		.amdhsa_wavefront_size32 1
		.amdhsa_uses_dynamic_stack 0
		.amdhsa_enable_private_segment 0
		.amdhsa_system_sgpr_workgroup_id_x 1
		.amdhsa_system_sgpr_workgroup_id_y 1
		.amdhsa_system_sgpr_workgroup_id_z 1
		.amdhsa_system_sgpr_workgroup_info 0
		.amdhsa_system_vgpr_workitem_id 1
		.amdhsa_next_free_vgpr 92
		.amdhsa_next_free_sgpr 27
		.amdhsa_reserve_vcc 1
		.amdhsa_float_round_mode_32 0
		.amdhsa_float_round_mode_16_64 0
		.amdhsa_float_denorm_mode_32 3
		.amdhsa_float_denorm_mode_16_64 3
		.amdhsa_dx10_clamp 1
		.amdhsa_ieee_mode 1
		.amdhsa_fp16_overflow 0
		.amdhsa_workgroup_processor_mode 1
		.amdhsa_memory_ordered 1
		.amdhsa_forward_progress 0
		.amdhsa_shared_vgpr_count 0
		.amdhsa_exception_fp_ieee_invalid_op 0
		.amdhsa_exception_fp_denorm_src 0
		.amdhsa_exception_fp_ieee_div_zero 0
		.amdhsa_exception_fp_ieee_overflow 0
		.amdhsa_exception_fp_ieee_underflow 0
		.amdhsa_exception_fp_ieee_inexact 0
		.amdhsa_exception_int_div_zero 0
	.end_amdhsa_kernel
	.section	.text._ZL37rocblas_syrkx_herkx_restricted_kernelIi19rocblas_complex_numIfELi16ELi32ELi8ELb0ELb1ELc78ELc76EKS1_S1_EviT_T0_PT8_S3_lS6_S3_lS4_PT9_S3_li,"axG",@progbits,_ZL37rocblas_syrkx_herkx_restricted_kernelIi19rocblas_complex_numIfELi16ELi32ELi8ELb0ELb1ELc78ELc76EKS1_S1_EviT_T0_PT8_S3_lS6_S3_lS4_PT9_S3_li,comdat
.Lfunc_end342:
	.size	_ZL37rocblas_syrkx_herkx_restricted_kernelIi19rocblas_complex_numIfELi16ELi32ELi8ELb0ELb1ELc78ELc76EKS1_S1_EviT_T0_PT8_S3_lS6_S3_lS4_PT9_S3_li, .Lfunc_end342-_ZL37rocblas_syrkx_herkx_restricted_kernelIi19rocblas_complex_numIfELi16ELi32ELi8ELb0ELb1ELc78ELc76EKS1_S1_EviT_T0_PT8_S3_lS6_S3_lS4_PT9_S3_li
                                        ; -- End function
	.section	.AMDGPU.csdata,"",@progbits
; Kernel info:
; codeLenInByte = 2460
; NumSgprs: 29
; NumVgprs: 92
; ScratchSize: 0
; MemoryBound: 0
; FloatMode: 240
; IeeeMode: 1
; LDSByteSize: 4096 bytes/workgroup (compile time only)
; SGPRBlocks: 3
; VGPRBlocks: 11
; NumSGPRsForWavesPerEU: 29
; NumVGPRsForWavesPerEU: 92
; Occupancy: 16
; WaveLimiterHint : 0
; COMPUTE_PGM_RSRC2:SCRATCH_EN: 0
; COMPUTE_PGM_RSRC2:USER_SGPR: 13
; COMPUTE_PGM_RSRC2:TRAP_HANDLER: 0
; COMPUTE_PGM_RSRC2:TGID_X_EN: 1
; COMPUTE_PGM_RSRC2:TGID_Y_EN: 1
; COMPUTE_PGM_RSRC2:TGID_Z_EN: 1
; COMPUTE_PGM_RSRC2:TIDIG_COMP_CNT: 1
	.section	.text._ZL37rocblas_syrkx_herkx_restricted_kernelIi19rocblas_complex_numIfELi16ELi32ELi8ELb0ELb1ELc84ELc85EKS1_S1_EviT_T0_PT8_S3_lS6_S3_lS4_PT9_S3_li,"axG",@progbits,_ZL37rocblas_syrkx_herkx_restricted_kernelIi19rocblas_complex_numIfELi16ELi32ELi8ELb0ELb1ELc84ELc85EKS1_S1_EviT_T0_PT8_S3_lS6_S3_lS4_PT9_S3_li,comdat
	.globl	_ZL37rocblas_syrkx_herkx_restricted_kernelIi19rocblas_complex_numIfELi16ELi32ELi8ELb0ELb1ELc84ELc85EKS1_S1_EviT_T0_PT8_S3_lS6_S3_lS4_PT9_S3_li ; -- Begin function _ZL37rocblas_syrkx_herkx_restricted_kernelIi19rocblas_complex_numIfELi16ELi32ELi8ELb0ELb1ELc84ELc85EKS1_S1_EviT_T0_PT8_S3_lS6_S3_lS4_PT9_S3_li
	.p2align	8
	.type	_ZL37rocblas_syrkx_herkx_restricted_kernelIi19rocblas_complex_numIfELi16ELi32ELi8ELb0ELb1ELc84ELc85EKS1_S1_EviT_T0_PT8_S3_lS6_S3_lS4_PT9_S3_li,@function
_ZL37rocblas_syrkx_herkx_restricted_kernelIi19rocblas_complex_numIfELi16ELi32ELi8ELb0ELb1ELc84ELc85EKS1_S1_EviT_T0_PT8_S3_lS6_S3_lS4_PT9_S3_li: ; @_ZL37rocblas_syrkx_herkx_restricted_kernelIi19rocblas_complex_numIfELi16ELi32ELi8ELb0ELb1ELc84ELc85EKS1_S1_EviT_T0_PT8_S3_lS6_S3_lS4_PT9_S3_li
; %bb.0:
	s_clause 0x3
	s_load_b64 s[2:3], s[0:1], 0x0
	s_load_b128 s[8:11], s[0:1], 0x8
	s_load_b128 s[4:7], s[0:1], 0x38
	s_load_b64 s[20:21], s[0:1], 0x48
	v_dual_mov_b32 v15, 0 :: v_dual_and_b32 v6, 0x3ff, v0
	v_bfe_u32 v8, v0, 10, 10
	v_dual_mov_b32 v16, 0 :: v_dual_mov_b32 v11, 0
	v_dual_mov_b32 v10, 0 :: v_dual_mov_b32 v7, 0
	;; [unrolled: 1-line block ×3, first 2 shown]
	v_mov_b32_e32 v1, 0
	s_lshl_b32 s12, s13, 5
	s_lshl_b32 s13, s14, 5
	s_mov_b32 s14, 0
	s_waitcnt lgkmcnt(0)
	s_cmp_lt_i32 s3, 1
	s_cbranch_scc1 .LBB343_3
; %bb.1:
	s_clause 0x2
	s_load_b128 s[16:19], s[0:1], 0x20
	s_load_b32 s22, s[0:1], 0x18
	s_load_b32 s23, s[0:1], 0x30
	v_lshl_add_u32 v2, v8, 4, v6
	v_dual_mov_b32 v1, 0 :: v_dual_and_b32 v0, 7, v6
	s_mul_i32 s5, s5, s15
	v_lshlrev_b32_e32 v12, 3, v6
	s_delay_alu instid0(VALU_DEP_3)
	v_and_b32_e32 v4, 31, v2
	v_lshrrev_b32_e32 v5, 3, v2
	v_mov_b32_e32 v3, v1
	v_lshlrev_b32_e32 v7, 3, v0
	v_lshrrev_b32_e32 v2, 5, v2
	v_dual_mov_b32 v16, v1 :: v_dual_add_nc_u32 v11, s12, v4
	v_lshlrev_b32_e32 v9, 3, v4
	v_add_nc_u32_e32 v10, s13, v5
	v_lshl_or_b32 v7, v5, 6, v7
	v_lshl_add_u32 v17, v8, 6, 0x800
	v_mov_b32_e32 v15, v1
	v_lshl_or_b32 v13, v2, 8, v9
	s_waitcnt lgkmcnt(0)
	v_mad_i64_i32 v[4:5], null, s22, v11, v[2:3]
	s_mul_i32 s17, s17, s15
	s_mul_hi_u32 s24, s16, s15
	v_mad_i64_i32 v[2:3], null, s23, v10, v[0:1]
	s_mul_i32 s16, s16, s15
	s_add_i32 s17, s24, s17
	s_delay_alu instid0(VALU_DEP_2)
	v_lshlrev_b64 v[4:5], 3, v[4:5]
	s_lshl_b64 s[16:17], s[16:17], 3
	v_dual_mov_b32 v11, v1 :: v_dual_add_nc_u32 v14, 0x800, v7
	s_add_u32 s10, s10, s16
	s_mul_hi_u32 s16, s4, s15
	s_addc_u32 s11, s11, s17
	s_add_i32 s5, s16, s5
	s_mul_i32 s4, s4, s15
	v_lshlrev_b64 v[2:3], 3, v[2:3]
	s_lshl_b64 s[4:5], s[4:5], 3
	v_add_co_u32 v0, vcc_lo, s10, v4
	s_add_u32 s4, s18, s4
	v_add_co_ci_u32_e32 v4, vcc_lo, s11, v5, vcc_lo
	s_addc_u32 s5, s19, s5
	v_add_co_u32 v5, vcc_lo, s4, v2
	v_add_co_ci_u32_e32 v7, vcc_lo, s5, v3, vcc_lo
	v_add_co_u32 v2, vcc_lo, v0, 4
	v_add_co_ci_u32_e32 v3, vcc_lo, 0, v4, vcc_lo
	s_delay_alu instid0(VALU_DEP_4) | instskip(NEXT) | instid1(VALU_DEP_4)
	v_add_co_u32 v4, vcc_lo, v5, 4
	v_add_co_ci_u32_e32 v5, vcc_lo, 0, v7, vcc_lo
	v_mov_b32_e32 v0, v1
	v_mov_b32_e32 v9, v1
	;; [unrolled: 1-line block ×4, first 2 shown]
.LBB343_2:                              ; =>This Inner Loop Header: Depth=1
	global_load_b64 v[18:19], v[2:3], off offset:-4
	global_load_b64 v[20:21], v[4:5], off offset:-4
	v_add_co_u32 v2, vcc_lo, v2, 64
	v_add_co_ci_u32_e32 v3, vcc_lo, 0, v3, vcc_lo
	v_add_co_u32 v4, vcc_lo, v4, 64
	v_add_co_ci_u32_e32 v5, vcc_lo, 0, v5, vcc_lo
	s_add_i32 s14, s14, 8
	s_waitcnt vmcnt(1)
	ds_store_b64 v13, v[18:19]
	s_waitcnt vmcnt(0)
	ds_store_b64 v14, v[20:21]
	s_waitcnt lgkmcnt(0)
	s_barrier
	buffer_gl0_inv
	ds_load_2addr_b64 v[18:21], v12 offset1:16
	ds_load_b128 v[22:25], v17
	ds_load_b128 v[26:29], v17 offset:1024
	ds_load_b128 v[30:33], v17 offset:16
	ds_load_2addr_b64 v[34:37], v12 offset0:32 offset1:48
	ds_load_b128 v[38:41], v17 offset:32
	ds_load_b128 v[42:45], v17 offset:48
	ds_load_2addr_b64 v[46:49], v12 offset0:64 offset1:80
	ds_load_b128 v[50:53], v17 offset:1040
	ds_load_2addr_b64 v[54:57], v12 offset0:96 offset1:112
	ds_load_2addr_b64 v[58:61], v12 offset0:128 offset1:144
	;; [unrolled: 1-line block ×4, first 2 shown]
	ds_load_b128 v[70:73], v17 offset:1056
	ds_load_b128 v[74:77], v17 offset:1072
	ds_load_2addr_b64 v[78:81], v12 offset0:224 offset1:240
	s_cmp_ge_i32 s14, s3
	s_waitcnt lgkmcnt(0)
	s_barrier
	buffer_gl0_inv
	v_dual_mul_f32 v82, v23, v19 :: v_dual_mul_f32 v85, v22, v21
	v_dual_mul_f32 v83, v22, v19 :: v_dual_mul_f32 v84, v23, v21
	v_mul_f32_e32 v86, v27, v19
	v_dual_mul_f32 v19, v26, v19 :: v_dual_mul_f32 v90, v25, v37
	v_dual_mul_f32 v87, v27, v21 :: v_dual_mul_f32 v88, v25, v35
	v_mul_f32_e32 v21, v26, v21
	v_fma_f32 v82, v22, v18, -v82
	v_fmac_f32_e32 v83, v23, v18
	v_fma_f32 v22, v22, v20, -v84
	v_fmac_f32_e32 v85, v23, v20
	v_fma_f32 v23, v26, v18, -v86
	v_dual_fmac_f32 v19, v27, v18 :: v_dual_mul_f32 v86, v30, v47
	v_fma_f32 v18, v26, v20, -v87
	v_dual_fmac_f32 v21, v27, v20 :: v_dual_mul_f32 v20, v24, v37
	v_mul_f32_e32 v89, v24, v35
	v_mul_f32_e32 v26, v29, v35
	;; [unrolled: 1-line block ×4, first 2 shown]
	v_fmac_f32_e32 v20, v25, v36
	v_fmac_f32_e32 v89, v25, v34
	v_dual_mul_f32 v25, v28, v37 :: v_dual_fmac_f32 v86, v31, v46
	v_fma_f32 v84, v24, v34, -v88
	v_fma_f32 v24, v24, v36, -v90
	v_dual_mul_f32 v37, v31, v47 :: v_dual_mul_f32 v90, v33, v57
	v_fma_f32 v26, v28, v34, -v26
	v_fma_f32 v28, v28, v36, -v35
	v_fmac_f32_e32 v25, v29, v36
	v_dual_mul_f32 v35, v50, v47 :: v_dual_mul_f32 v36, v51, v49
	v_dual_fmac_f32 v27, v29, v34 :: v_dual_mul_f32 v34, v51, v47
	v_dual_mul_f32 v88, v32, v55 :: v_dual_mul_f32 v29, v30, v49
	v_mul_f32_e32 v87, v31, v49
	v_fma_f32 v37, v30, v46, -v37
	v_add_f32_e32 v16, v16, v83
	s_delay_alu instid0(VALU_DEP_4)
	v_dual_fmac_f32 v88, v33, v54 :: v_dual_fmac_f32 v29, v31, v48
	v_fma_f32 v31, v50, v46, -v34
	v_fma_f32 v34, v50, v48, -v36
	v_mul_f32_e32 v36, v32, v57
	v_mul_f32_e32 v47, v50, v49
	v_dual_mul_f32 v50, v53, v57 :: v_dual_fmac_f32 v35, v51, v46
	v_mul_f32_e32 v46, v53, v55
	v_mul_f32_e32 v49, v33, v55
	v_fma_f32 v30, v30, v48, -v87
	v_fmac_f32_e32 v36, v33, v56
	v_dual_fmac_f32 v47, v51, v48 :: v_dual_mul_f32 v48, v52, v55
	v_mul_f32_e32 v33, v52, v57
	v_fma_f32 v46, v52, v54, -v46
	v_fma_f32 v50, v52, v56, -v50
	v_mul_f32_e32 v52, v38, v61
	v_fma_f32 v49, v32, v54, -v49
	v_fma_f32 v32, v32, v56, -v90
	v_dual_mul_f32 v51, v39, v59 :: v_dual_fmac_f32 v48, v53, v54
	v_mul_f32_e32 v54, v70, v59
	v_dual_mul_f32 v55, v38, v59 :: v_dual_fmac_f32 v52, v39, v60
	v_fmac_f32_e32 v33, v53, v56
	v_mul_f32_e32 v53, v71, v59
	v_mul_f32_e32 v56, v71, v61
	;; [unrolled: 1-line block ×3, first 2 shown]
	v_fmac_f32_e32 v54, v71, v58
	v_fmac_f32_e32 v55, v39, v58
	v_fma_f32 v39, v70, v58, -v53
	v_fma_f32 v53, v70, v60, -v56
	v_mul_f32_e32 v56, v40, v65
	v_mul_f32_e32 v59, v70, v61
	v_fma_f32 v51, v38, v58, -v51
	v_mul_f32_e32 v58, v72, v63
	v_mul_f32_e32 v87, v40, v63
	;; [unrolled: 1-line block ×4, first 2 shown]
	v_fma_f32 v38, v38, v60, -v57
	v_mul_f32_e32 v57, v73, v63
	v_fmac_f32_e32 v56, v41, v64
	v_dual_fmac_f32 v59, v71, v60 :: v_dual_mul_f32 v60, v73, v65
	v_mul_f32_e32 v63, v43, v67
	v_mul_f32_e32 v70, v43, v69
	v_fmac_f32_e32 v58, v73, v62
	v_fmac_f32_e32 v87, v41, v62
	v_mul_f32_e32 v41, v72, v65
	v_fma_f32 v61, v40, v62, -v61
	v_fma_f32 v40, v40, v64, -v90
	v_mul_f32_e32 v65, v42, v67
	v_fma_f32 v57, v72, v62, -v57
	v_fma_f32 v60, v72, v64, -v60
	v_dual_fmac_f32 v41, v73, v64 :: v_dual_mul_f32 v62, v42, v69
	v_mul_f32_e32 v64, v75, v67
	v_mul_f32_e32 v71, v75, v69
	v_dual_mul_f32 v73, v44, v79 :: v_dual_add_f32 v10, v10, v22
	v_fma_f32 v63, v42, v66, -v63
	v_fma_f32 v42, v42, v68, -v70
	v_mul_f32_e32 v70, v76, v79
	v_mul_f32_e32 v67, v74, v67
	v_dual_mul_f32 v69, v74, v69 :: v_dual_add_f32 v0, v0, v18
	v_dual_fmac_f32 v65, v43, v66 :: v_dual_add_f32 v16, v16, v89
	v_fmac_f32_e32 v62, v43, v68
	v_fma_f32 v43, v74, v66, -v64
	v_fmac_f32_e32 v70, v77, v78
	v_dual_fmac_f32 v67, v75, v66 :: v_dual_add_f32 v10, v10, v24
	v_mul_f32_e32 v66, v44, v81
	v_mul_f32_e32 v72, v45, v79
	;; [unrolled: 1-line block ×3, first 2 shown]
	v_fma_f32 v64, v74, v68, -v71
	v_dual_fmac_f32 v69, v75, v68 :: v_dual_add_f32 v16, v16, v86
	v_dual_mul_f32 v71, v77, v81 :: v_dual_add_f32 v0, v0, v28
	v_fmac_f32_e32 v73, v45, v78
	v_fmac_f32_e32 v66, v45, v80
	s_delay_alu instid0(VALU_DEP_4) | instskip(SKIP_3) | instid1(VALU_DEP_3)
	v_add_f32_e32 v16, v16, v88
	v_dual_mul_f32 v45, v76, v81 :: v_dual_add_f32 v10, v10, v30
	v_add_f32_e32 v15, v15, v82
	v_dual_add_f32 v0, v0, v34 :: v_dual_add_f32 v11, v11, v85
	v_fmac_f32_e32 v45, v77, v80
	s_delay_alu instid0(VALU_DEP_4) | instskip(SKIP_1) | instid1(VALU_DEP_4)
	v_dual_add_f32 v10, v10, v32 :: v_dual_add_f32 v7, v7, v23
	v_dual_add_f32 v1, v1, v21 :: v_dual_add_f32 v16, v16, v55
	;; [unrolled: 1-line block ×3, first 2 shown]
	s_delay_alu instid0(VALU_DEP_3) | instskip(NEXT) | instid1(VALU_DEP_3)
	v_dual_add_f32 v10, v10, v38 :: v_dual_add_f32 v15, v15, v84
	v_dual_add_f32 v16, v16, v87 :: v_dual_add_f32 v11, v11, v20
	s_delay_alu instid0(VALU_DEP_2)
	v_dual_add_f32 v7, v7, v26 :: v_dual_add_f32 v10, v10, v40
	v_add_f32_e32 v1, v1, v25
	v_dual_add_f32 v0, v0, v53 :: v_dual_add_f32 v9, v9, v27
	v_fma_f32 v72, v44, v78, -v72
	v_fma_f32 v44, v44, v80, -v90
	v_add_f32_e32 v16, v16, v65
	s_delay_alu instid0(VALU_DEP_4) | instskip(SKIP_1) | instid1(VALU_DEP_3)
	v_dual_add_f32 v0, v0, v60 :: v_dual_add_f32 v15, v15, v37
	v_add_f32_e32 v7, v7, v31
	v_dual_add_f32 v9, v9, v35 :: v_dual_add_f32 v16, v16, v73
	v_dual_add_f32 v10, v10, v42 :: v_dual_add_f32 v11, v11, v29
	v_add_f32_e32 v1, v1, v47
	v_fma_f32 v71, v76, v80, -v71
	s_delay_alu instid0(VALU_DEP_3) | instskip(NEXT) | instid1(VALU_DEP_4)
	v_dual_add_f32 v7, v7, v46 :: v_dual_add_f32 v10, v10, v44
	v_add_f32_e32 v11, v11, v36
	v_add_f32_e32 v9, v9, v48
	v_dual_add_f32 v1, v1, v33 :: v_dual_add_f32 v0, v0, v64
	v_add_f32_e32 v15, v15, v49
	s_delay_alu instid0(VALU_DEP_4) | instskip(SKIP_1) | instid1(VALU_DEP_4)
	v_add_f32_e32 v11, v11, v52
	v_add_f32_e32 v7, v7, v39
	v_dual_add_f32 v9, v9, v54 :: v_dual_add_f32 v0, v0, v71
	s_delay_alu instid0(VALU_DEP_4) | instskip(SKIP_3) | instid1(VALU_DEP_4)
	v_add_f32_e32 v15, v15, v51
	v_add_f32_e32 v1, v1, v59
	v_dual_mul_f32 v68, v77, v79 :: v_dual_add_f32 v11, v11, v56
	v_add_f32_e32 v7, v7, v57
	v_add_f32_e32 v15, v15, v61
	;; [unrolled: 1-line block ×4, first 2 shown]
	v_fma_f32 v68, v76, v78, -v68
	v_add_f32_e32 v11, v11, v62
	v_add_f32_e32 v15, v15, v63
	;; [unrolled: 1-line block ×10, first 2 shown]
	s_cbranch_scc0 .LBB343_2
.LBB343_3:
	s_clause 0x1
	s_load_b32 s3, s[0:1], 0x50
	s_load_b64 s[0:1], s[0:1], 0x58
	v_add_nc_u32_e32 v8, s13, v8
	v_add_nc_u32_e32 v2, s12, v6
	s_delay_alu instid0(VALU_DEP_2)
	v_cmp_gt_i32_e32 vcc_lo, s2, v8
	s_waitcnt lgkmcnt(0)
	v_mad_i64_i32 v[3:4], null, v8, s3, 0
	s_mul_i32 s1, s15, s1
	s_mul_hi_u32 s4, s15, s0
	s_mul_i32 s0, s15, s0
	s_add_i32 s1, s4, s1
	s_delay_alu instid0(SALU_CYCLE_1) | instskip(NEXT) | instid1(VALU_DEP_1)
	s_lshl_b64 s[4:5], s[0:1], 3
	v_lshlrev_b64 v[3:4], 3, v[3:4]
	s_add_u32 s4, s20, s4
	v_cmp_le_i32_e64 s0, v2, v8
	s_addc_u32 s5, s21, s5
	s_delay_alu instid0(VALU_DEP_2) | instskip(NEXT) | instid1(VALU_DEP_1)
	v_add_co_u32 v6, s1, s4, v3
	v_add_co_ci_u32_e64 v12, s1, s5, v4, s1
	s_delay_alu instid0(VALU_DEP_3) | instskip(NEXT) | instid1(SALU_CYCLE_1)
	s_and_b32 s0, vcc_lo, s0
	s_and_saveexec_b32 s1, s0
	s_cbranch_execz .LBB343_6
; %bb.4:
	v_ashrrev_i32_e32 v3, 31, v2
	s_delay_alu instid0(VALU_DEP_1) | instskip(NEXT) | instid1(VALU_DEP_1)
	v_lshlrev_b64 v[3:4], 3, v[2:3]
	v_add_co_u32 v3, s0, v6, v3
	s_delay_alu instid0(VALU_DEP_1)
	v_add_co_ci_u32_e64 v4, s0, v12, v4, s0
	v_cmp_eq_u32_e64 s0, v8, v2
	global_load_b64 v[13:14], v[3:4], off
	v_mul_f32_e32 v5, s9, v16
	s_waitcnt vmcnt(0)
	v_dual_mul_f32 v16, s8, v16 :: v_dual_mul_f32 v17, s7, v14
	v_mul_f32_e32 v14, s6, v14
	s_delay_alu instid0(VALU_DEP_3) | instskip(NEXT) | instid1(VALU_DEP_3)
	v_fma_f32 v5, v15, s8, -v5
	v_fmac_f32_e32 v16, s9, v15
	s_delay_alu instid0(VALU_DEP_4) | instskip(NEXT) | instid1(VALU_DEP_1)
	v_fma_f32 v15, v13, s6, -v17
	v_dual_fmac_f32 v14, s7, v13 :: v_dual_add_f32 v13, v5, v15
	s_delay_alu instid0(VALU_DEP_1)
	v_add_f32_e32 v14, v16, v14
	global_store_b64 v[3:4], v[13:14], off
	s_and_b32 exec_lo, exec_lo, s0
	s_cbranch_execz .LBB343_6
; %bb.5:
	v_mov_b32_e32 v5, 0
	global_store_b32 v[3:4], v5, off offset:4
.LBB343_6:
	s_or_b32 exec_lo, exec_lo, s1
	v_add_nc_u32_e32 v4, 16, v2
	s_delay_alu instid0(VALU_DEP_1) | instskip(NEXT) | instid1(VALU_DEP_1)
	v_cmp_le_i32_e64 s0, v4, v8
	s_and_b32 s1, vcc_lo, s0
	s_delay_alu instid0(SALU_CYCLE_1)
	s_and_saveexec_b32 s0, s1
	s_cbranch_execz .LBB343_9
; %bb.7:
	v_ashrrev_i32_e32 v5, 31, v4
	s_delay_alu instid0(VALU_DEP_1) | instskip(NEXT) | instid1(VALU_DEP_1)
	v_lshlrev_b64 v[13:14], 3, v[4:5]
	v_add_co_u32 v5, vcc_lo, v6, v13
	s_delay_alu instid0(VALU_DEP_2)
	v_add_co_ci_u32_e32 v6, vcc_lo, v12, v14, vcc_lo
	v_cmp_eq_u32_e32 vcc_lo, v8, v4
	global_load_b64 v[12:13], v[5:6], off
	s_waitcnt vmcnt(0)
	v_dual_mul_f32 v3, s9, v11 :: v_dual_mul_f32 v14, s7, v13
	v_mul_f32_e32 v13, s6, v13
	s_delay_alu instid0(VALU_DEP_2) | instskip(SKIP_1) | instid1(VALU_DEP_3)
	v_fma_f32 v3, v10, s8, -v3
	v_mul_f32_e32 v11, s8, v11
	v_fmac_f32_e32 v13, s7, v12
	s_delay_alu instid0(VALU_DEP_2) | instskip(SKIP_1) | instid1(VALU_DEP_2)
	v_fmac_f32_e32 v11, s9, v10
	v_fma_f32 v10, v12, s6, -v14
	v_add_f32_e32 v11, v11, v13
	s_delay_alu instid0(VALU_DEP_2)
	v_add_f32_e32 v10, v3, v10
	global_store_b64 v[5:6], v[10:11], off
	s_and_b32 exec_lo, exec_lo, vcc_lo
	s_cbranch_execz .LBB343_9
; %bb.8:
	v_mov_b32_e32 v3, 0
	global_store_b32 v[5:6], v3, off offset:4
.LBB343_9:
	s_or_b32 exec_lo, exec_lo, s0
	v_add_nc_u32_e32 v12, 16, v8
	s_delay_alu instid0(VALU_DEP_1) | instskip(SKIP_2) | instid1(VALU_DEP_1)
	v_mad_i64_i32 v[5:6], null, v12, s3, 0
	v_cmp_gt_i32_e32 vcc_lo, s2, v12
	v_cmp_le_i32_e64 s0, v2, v12
	s_and_b32 s0, vcc_lo, s0
	s_delay_alu instid0(VALU_DEP_3) | instskip(NEXT) | instid1(VALU_DEP_1)
	v_lshlrev_b64 v[5:6], 3, v[5:6]
	v_add_co_u32 v10, s1, s4, v5
	s_delay_alu instid0(VALU_DEP_1)
	v_add_co_ci_u32_e64 v11, s1, s5, v6, s1
	s_and_saveexec_b32 s1, s0
	s_cbranch_execz .LBB343_12
; %bb.10:
	v_ashrrev_i32_e32 v3, 31, v2
	s_delay_alu instid0(VALU_DEP_1) | instskip(NEXT) | instid1(VALU_DEP_1)
	v_lshlrev_b64 v[5:6], 3, v[2:3]
	v_add_co_u32 v5, s0, v10, v5
	s_delay_alu instid0(VALU_DEP_1) | instskip(SKIP_4) | instid1(VALU_DEP_1)
	v_add_co_ci_u32_e64 v6, s0, v11, v6, s0
	v_cmp_eq_u32_e64 s0, v12, v2
	global_load_b64 v[13:14], v[5:6], off
	v_mul_f32_e32 v3, s9, v9
	v_mul_f32_e32 v9, s8, v9
	v_fmac_f32_e32 v9, s9, v7
	s_waitcnt vmcnt(0)
	v_mul_f32_e32 v15, s7, v14
	v_mul_f32_e32 v14, s6, v14
	v_fma_f32 v3, v7, s8, -v3
	s_delay_alu instid0(VALU_DEP_2) | instskip(NEXT) | instid1(VALU_DEP_4)
	v_fmac_f32_e32 v14, s7, v13
	v_fma_f32 v7, v13, s6, -v15
	s_delay_alu instid0(VALU_DEP_1)
	v_dual_add_f32 v14, v9, v14 :: v_dual_add_f32 v13, v3, v7
	global_store_b64 v[5:6], v[13:14], off
	s_and_b32 exec_lo, exec_lo, s0
	s_cbranch_execz .LBB343_12
; %bb.11:
	v_mov_b32_e32 v3, 0
	global_store_b32 v[5:6], v3, off offset:4
.LBB343_12:
	s_or_b32 exec_lo, exec_lo, s1
	v_cmp_le_i32_e64 s0, v4, v12
	s_delay_alu instid0(VALU_DEP_1) | instskip(NEXT) | instid1(SALU_CYCLE_1)
	s_and_b32 s0, vcc_lo, s0
	s_and_saveexec_b32 s1, s0
	s_cbranch_execz .LBB343_15
; %bb.13:
	v_ashrrev_i32_e32 v5, 31, v4
	s_delay_alu instid0(VALU_DEP_1) | instskip(NEXT) | instid1(VALU_DEP_1)
	v_lshlrev_b64 v[3:4], 3, v[4:5]
	v_add_co_u32 v3, vcc_lo, v10, v3
	s_delay_alu instid0(VALU_DEP_2)
	v_add_co_ci_u32_e32 v4, vcc_lo, v11, v4, vcc_lo
	v_cmp_eq_u32_e32 vcc_lo, v8, v2
	global_load_b64 v[5:6], v[3:4], off
	v_mul_f32_e32 v7, s9, v1
	s_waitcnt vmcnt(0)
	v_mul_f32_e32 v9, s7, v6
	v_mul_f32_e32 v6, s6, v6
	s_delay_alu instid0(VALU_DEP_3) | instskip(SKIP_1) | instid1(VALU_DEP_1)
	v_fma_f32 v7, v0, s8, -v7
	v_mul_f32_e32 v1, s8, v1
	v_dual_fmac_f32 v6, s7, v5 :: v_dual_fmac_f32 v1, s9, v0
	v_fma_f32 v0, v5, s6, -v9
	s_delay_alu instid0(VALU_DEP_1)
	v_dual_add_f32 v1, v1, v6 :: v_dual_add_f32 v0, v7, v0
	global_store_b64 v[3:4], v[0:1], off
	s_and_b32 exec_lo, exec_lo, vcc_lo
	s_cbranch_execz .LBB343_15
; %bb.14:
	v_mov_b32_e32 v0, 0
	global_store_b32 v[3:4], v0, off offset:4
.LBB343_15:
	s_nop 0
	s_sendmsg sendmsg(MSG_DEALLOC_VGPRS)
	s_endpgm
	.section	.rodata,"a",@progbits
	.p2align	6, 0x0
	.amdhsa_kernel _ZL37rocblas_syrkx_herkx_restricted_kernelIi19rocblas_complex_numIfELi16ELi32ELi8ELb0ELb1ELc84ELc85EKS1_S1_EviT_T0_PT8_S3_lS6_S3_lS4_PT9_S3_li
		.amdhsa_group_segment_fixed_size 4096
		.amdhsa_private_segment_fixed_size 0
		.amdhsa_kernarg_size 100
		.amdhsa_user_sgpr_count 13
		.amdhsa_user_sgpr_dispatch_ptr 0
		.amdhsa_user_sgpr_queue_ptr 0
		.amdhsa_user_sgpr_kernarg_segment_ptr 1
		.amdhsa_user_sgpr_dispatch_id 0
		.amdhsa_user_sgpr_private_segment_size 0
		.amdhsa_wavefront_size32 1
		.amdhsa_uses_dynamic_stack 0
		.amdhsa_enable_private_segment 0
		.amdhsa_system_sgpr_workgroup_id_x 1
		.amdhsa_system_sgpr_workgroup_id_y 1
		.amdhsa_system_sgpr_workgroup_id_z 1
		.amdhsa_system_sgpr_workgroup_info 0
		.amdhsa_system_vgpr_workitem_id 1
		.amdhsa_next_free_vgpr 91
		.amdhsa_next_free_sgpr 25
		.amdhsa_reserve_vcc 1
		.amdhsa_float_round_mode_32 0
		.amdhsa_float_round_mode_16_64 0
		.amdhsa_float_denorm_mode_32 3
		.amdhsa_float_denorm_mode_16_64 3
		.amdhsa_dx10_clamp 1
		.amdhsa_ieee_mode 1
		.amdhsa_fp16_overflow 0
		.amdhsa_workgroup_processor_mode 1
		.amdhsa_memory_ordered 1
		.amdhsa_forward_progress 0
		.amdhsa_shared_vgpr_count 0
		.amdhsa_exception_fp_ieee_invalid_op 0
		.amdhsa_exception_fp_denorm_src 0
		.amdhsa_exception_fp_ieee_div_zero 0
		.amdhsa_exception_fp_ieee_overflow 0
		.amdhsa_exception_fp_ieee_underflow 0
		.amdhsa_exception_fp_ieee_inexact 0
		.amdhsa_exception_int_div_zero 0
	.end_amdhsa_kernel
	.section	.text._ZL37rocblas_syrkx_herkx_restricted_kernelIi19rocblas_complex_numIfELi16ELi32ELi8ELb0ELb1ELc84ELc85EKS1_S1_EviT_T0_PT8_S3_lS6_S3_lS4_PT9_S3_li,"axG",@progbits,_ZL37rocblas_syrkx_herkx_restricted_kernelIi19rocblas_complex_numIfELi16ELi32ELi8ELb0ELb1ELc84ELc85EKS1_S1_EviT_T0_PT8_S3_lS6_S3_lS4_PT9_S3_li,comdat
.Lfunc_end343:
	.size	_ZL37rocblas_syrkx_herkx_restricted_kernelIi19rocblas_complex_numIfELi16ELi32ELi8ELb0ELb1ELc84ELc85EKS1_S1_EviT_T0_PT8_S3_lS6_S3_lS4_PT9_S3_li, .Lfunc_end343-_ZL37rocblas_syrkx_herkx_restricted_kernelIi19rocblas_complex_numIfELi16ELi32ELi8ELb0ELb1ELc84ELc85EKS1_S1_EviT_T0_PT8_S3_lS6_S3_lS4_PT9_S3_li
                                        ; -- End function
	.section	.AMDGPU.csdata,"",@progbits
; Kernel info:
; codeLenInByte = 2408
; NumSgprs: 27
; NumVgprs: 91
; ScratchSize: 0
; MemoryBound: 0
; FloatMode: 240
; IeeeMode: 1
; LDSByteSize: 4096 bytes/workgroup (compile time only)
; SGPRBlocks: 3
; VGPRBlocks: 11
; NumSGPRsForWavesPerEU: 27
; NumVGPRsForWavesPerEU: 91
; Occupancy: 16
; WaveLimiterHint : 0
; COMPUTE_PGM_RSRC2:SCRATCH_EN: 0
; COMPUTE_PGM_RSRC2:USER_SGPR: 13
; COMPUTE_PGM_RSRC2:TRAP_HANDLER: 0
; COMPUTE_PGM_RSRC2:TGID_X_EN: 1
; COMPUTE_PGM_RSRC2:TGID_Y_EN: 1
; COMPUTE_PGM_RSRC2:TGID_Z_EN: 1
; COMPUTE_PGM_RSRC2:TIDIG_COMP_CNT: 1
	.section	.text._ZL37rocblas_syrkx_herkx_restricted_kernelIi19rocblas_complex_numIfELi16ELi32ELi8ELb0ELb1ELc67ELc85EKS1_S1_EviT_T0_PT8_S3_lS6_S3_lS4_PT9_S3_li,"axG",@progbits,_ZL37rocblas_syrkx_herkx_restricted_kernelIi19rocblas_complex_numIfELi16ELi32ELi8ELb0ELb1ELc67ELc85EKS1_S1_EviT_T0_PT8_S3_lS6_S3_lS4_PT9_S3_li,comdat
	.globl	_ZL37rocblas_syrkx_herkx_restricted_kernelIi19rocblas_complex_numIfELi16ELi32ELi8ELb0ELb1ELc67ELc85EKS1_S1_EviT_T0_PT8_S3_lS6_S3_lS4_PT9_S3_li ; -- Begin function _ZL37rocblas_syrkx_herkx_restricted_kernelIi19rocblas_complex_numIfELi16ELi32ELi8ELb0ELb1ELc67ELc85EKS1_S1_EviT_T0_PT8_S3_lS6_S3_lS4_PT9_S3_li
	.p2align	8
	.type	_ZL37rocblas_syrkx_herkx_restricted_kernelIi19rocblas_complex_numIfELi16ELi32ELi8ELb0ELb1ELc67ELc85EKS1_S1_EviT_T0_PT8_S3_lS6_S3_lS4_PT9_S3_li,@function
_ZL37rocblas_syrkx_herkx_restricted_kernelIi19rocblas_complex_numIfELi16ELi32ELi8ELb0ELb1ELc67ELc85EKS1_S1_EviT_T0_PT8_S3_lS6_S3_lS4_PT9_S3_li: ; @_ZL37rocblas_syrkx_herkx_restricted_kernelIi19rocblas_complex_numIfELi16ELi32ELi8ELb0ELb1ELc67ELc85EKS1_S1_EviT_T0_PT8_S3_lS6_S3_lS4_PT9_S3_li
; %bb.0:
	s_clause 0x3
	s_load_b64 s[2:3], s[0:1], 0x0
	s_load_b128 s[8:11], s[0:1], 0x8
	s_load_b128 s[4:7], s[0:1], 0x38
	s_load_b64 s[20:21], s[0:1], 0x48
	v_dual_mov_b32 v15, 0 :: v_dual_and_b32 v6, 0x3ff, v0
	v_bfe_u32 v8, v0, 10, 10
	v_dual_mov_b32 v16, 0 :: v_dual_mov_b32 v11, 0
	v_dual_mov_b32 v10, 0 :: v_dual_mov_b32 v7, 0
	;; [unrolled: 1-line block ×3, first 2 shown]
	v_mov_b32_e32 v1, 0
	s_lshl_b32 s12, s13, 5
	s_lshl_b32 s13, s14, 5
	s_mov_b32 s14, 0
	s_waitcnt lgkmcnt(0)
	s_cmp_lt_i32 s3, 1
	s_cbranch_scc1 .LBB344_3
; %bb.1:
	s_clause 0x2
	s_load_b128 s[16:19], s[0:1], 0x20
	s_load_b32 s22, s[0:1], 0x18
	s_load_b32 s23, s[0:1], 0x30
	v_lshl_add_u32 v2, v8, 4, v6
	v_dual_mov_b32 v1, 0 :: v_dual_and_b32 v0, 7, v6
	s_mul_i32 s5, s5, s15
	v_lshlrev_b32_e32 v12, 3, v6
	s_delay_alu instid0(VALU_DEP_3)
	v_and_b32_e32 v4, 31, v2
	v_lshrrev_b32_e32 v5, 3, v2
	v_mov_b32_e32 v3, v1
	v_lshlrev_b32_e32 v7, 3, v0
	v_lshrrev_b32_e32 v2, 5, v2
	v_dual_mov_b32 v16, v1 :: v_dual_add_nc_u32 v11, s12, v4
	v_lshlrev_b32_e32 v9, 3, v4
	v_add_nc_u32_e32 v10, s13, v5
	v_lshl_or_b32 v7, v5, 6, v7
	v_lshl_add_u32 v17, v8, 6, 0x800
	v_mov_b32_e32 v15, v1
	v_lshl_or_b32 v13, v2, 8, v9
	s_waitcnt lgkmcnt(0)
	v_mad_i64_i32 v[4:5], null, s22, v11, v[2:3]
	s_mul_i32 s17, s17, s15
	s_mul_hi_u32 s24, s16, s15
	v_mad_i64_i32 v[2:3], null, s23, v10, v[0:1]
	s_mul_i32 s16, s16, s15
	s_add_i32 s17, s24, s17
	s_delay_alu instid0(VALU_DEP_2)
	v_lshlrev_b64 v[4:5], 3, v[4:5]
	s_lshl_b64 s[16:17], s[16:17], 3
	v_dual_mov_b32 v11, v1 :: v_dual_add_nc_u32 v14, 0x800, v7
	s_add_u32 s10, s10, s16
	s_mul_hi_u32 s16, s4, s15
	s_addc_u32 s11, s11, s17
	s_add_i32 s5, s16, s5
	s_mul_i32 s4, s4, s15
	v_lshlrev_b64 v[2:3], 3, v[2:3]
	s_lshl_b64 s[4:5], s[4:5], 3
	v_add_co_u32 v0, vcc_lo, s10, v4
	s_add_u32 s4, s18, s4
	v_add_co_ci_u32_e32 v4, vcc_lo, s11, v5, vcc_lo
	s_addc_u32 s5, s19, s5
	v_add_co_u32 v5, vcc_lo, s4, v2
	v_add_co_ci_u32_e32 v7, vcc_lo, s5, v3, vcc_lo
	v_add_co_u32 v2, vcc_lo, v0, 4
	v_add_co_ci_u32_e32 v3, vcc_lo, 0, v4, vcc_lo
	s_delay_alu instid0(VALU_DEP_4) | instskip(NEXT) | instid1(VALU_DEP_4)
	v_add_co_u32 v4, vcc_lo, v5, 4
	v_add_co_ci_u32_e32 v5, vcc_lo, 0, v7, vcc_lo
	v_mov_b32_e32 v0, v1
	v_mov_b32_e32 v9, v1
	;; [unrolled: 1-line block ×4, first 2 shown]
.LBB344_2:                              ; =>This Inner Loop Header: Depth=1
	global_load_b64 v[18:19], v[2:3], off offset:-4
	global_load_b64 v[20:21], v[4:5], off offset:-4
	v_add_co_u32 v2, vcc_lo, v2, 64
	v_add_co_ci_u32_e32 v3, vcc_lo, 0, v3, vcc_lo
	v_add_co_u32 v4, vcc_lo, v4, 64
	v_add_co_ci_u32_e32 v5, vcc_lo, 0, v5, vcc_lo
	s_add_i32 s14, s14, 8
	s_delay_alu instid0(SALU_CYCLE_1)
	s_cmp_ge_i32 s14, s3
	s_waitcnt vmcnt(1)
	v_xor_b32_e32 v19, 0x80000000, v19
	ds_store_b64 v13, v[18:19]
	s_waitcnt vmcnt(0)
	ds_store_b64 v14, v[20:21]
	s_waitcnt lgkmcnt(0)
	s_barrier
	buffer_gl0_inv
	ds_load_2addr_b64 v[18:21], v12 offset1:16
	ds_load_b128 v[22:25], v17
	ds_load_b128 v[26:29], v17 offset:1024
	ds_load_b128 v[30:33], v17 offset:16
	ds_load_2addr_b64 v[34:37], v12 offset0:32 offset1:48
	ds_load_b128 v[38:41], v17 offset:32
	ds_load_b128 v[42:45], v17 offset:48
	ds_load_2addr_b64 v[46:49], v12 offset0:64 offset1:80
	ds_load_b128 v[50:53], v17 offset:1040
	ds_load_2addr_b64 v[54:57], v12 offset0:96 offset1:112
	ds_load_2addr_b64 v[58:61], v12 offset0:128 offset1:144
	;; [unrolled: 1-line block ×4, first 2 shown]
	ds_load_b128 v[70:73], v17 offset:1056
	ds_load_b128 v[74:77], v17 offset:1072
	ds_load_2addr_b64 v[78:81], v12 offset0:224 offset1:240
	s_waitcnt lgkmcnt(0)
	s_barrier
	buffer_gl0_inv
	v_dual_mul_f32 v82, v23, v19 :: v_dual_mul_f32 v85, v22, v21
	v_dual_mul_f32 v83, v22, v19 :: v_dual_mul_f32 v84, v23, v21
	v_mul_f32_e32 v86, v27, v19
	v_dual_mul_f32 v19, v26, v19 :: v_dual_mul_f32 v90, v25, v37
	v_dual_mul_f32 v87, v27, v21 :: v_dual_mul_f32 v88, v25, v35
	v_mul_f32_e32 v21, v26, v21
	v_fma_f32 v82, v22, v18, -v82
	v_fmac_f32_e32 v83, v23, v18
	v_fma_f32 v22, v22, v20, -v84
	v_fmac_f32_e32 v85, v23, v20
	v_fma_f32 v23, v26, v18, -v86
	v_dual_fmac_f32 v19, v27, v18 :: v_dual_mul_f32 v86, v30, v47
	v_fma_f32 v18, v26, v20, -v87
	v_dual_fmac_f32 v21, v27, v20 :: v_dual_mul_f32 v20, v24, v37
	v_mul_f32_e32 v89, v24, v35
	v_mul_f32_e32 v26, v29, v35
	;; [unrolled: 1-line block ×4, first 2 shown]
	v_fmac_f32_e32 v20, v25, v36
	v_fmac_f32_e32 v89, v25, v34
	v_dual_mul_f32 v25, v28, v37 :: v_dual_fmac_f32 v86, v31, v46
	v_fma_f32 v84, v24, v34, -v88
	v_fma_f32 v24, v24, v36, -v90
	v_dual_mul_f32 v37, v31, v47 :: v_dual_mul_f32 v90, v33, v57
	v_fma_f32 v26, v28, v34, -v26
	v_fma_f32 v28, v28, v36, -v35
	v_fmac_f32_e32 v25, v29, v36
	v_dual_mul_f32 v35, v50, v47 :: v_dual_mul_f32 v36, v51, v49
	v_dual_fmac_f32 v27, v29, v34 :: v_dual_mul_f32 v34, v51, v47
	v_dual_mul_f32 v88, v32, v55 :: v_dual_mul_f32 v29, v30, v49
	v_mul_f32_e32 v87, v31, v49
	v_fma_f32 v37, v30, v46, -v37
	v_add_f32_e32 v16, v16, v83
	s_delay_alu instid0(VALU_DEP_4)
	v_dual_fmac_f32 v88, v33, v54 :: v_dual_fmac_f32 v29, v31, v48
	v_fma_f32 v31, v50, v46, -v34
	v_fma_f32 v34, v50, v48, -v36
	v_mul_f32_e32 v36, v32, v57
	v_mul_f32_e32 v47, v50, v49
	v_dual_mul_f32 v50, v53, v57 :: v_dual_fmac_f32 v35, v51, v46
	v_mul_f32_e32 v46, v53, v55
	v_mul_f32_e32 v49, v33, v55
	v_fma_f32 v30, v30, v48, -v87
	v_fmac_f32_e32 v36, v33, v56
	v_dual_fmac_f32 v47, v51, v48 :: v_dual_mul_f32 v48, v52, v55
	v_mul_f32_e32 v33, v52, v57
	v_fma_f32 v46, v52, v54, -v46
	v_fma_f32 v50, v52, v56, -v50
	v_mul_f32_e32 v52, v38, v61
	v_fma_f32 v49, v32, v54, -v49
	v_fma_f32 v32, v32, v56, -v90
	v_dual_mul_f32 v51, v39, v59 :: v_dual_fmac_f32 v48, v53, v54
	v_mul_f32_e32 v54, v70, v59
	v_dual_mul_f32 v55, v38, v59 :: v_dual_fmac_f32 v52, v39, v60
	v_fmac_f32_e32 v33, v53, v56
	v_mul_f32_e32 v53, v71, v59
	v_mul_f32_e32 v56, v71, v61
	;; [unrolled: 1-line block ×3, first 2 shown]
	v_fmac_f32_e32 v54, v71, v58
	v_fmac_f32_e32 v55, v39, v58
	v_fma_f32 v39, v70, v58, -v53
	v_fma_f32 v53, v70, v60, -v56
	v_mul_f32_e32 v56, v40, v65
	v_mul_f32_e32 v59, v70, v61
	v_fma_f32 v51, v38, v58, -v51
	v_mul_f32_e32 v58, v72, v63
	v_mul_f32_e32 v87, v40, v63
	v_mul_f32_e32 v61, v41, v63
	v_mul_f32_e32 v90, v41, v65
	v_fma_f32 v38, v38, v60, -v57
	v_mul_f32_e32 v57, v73, v63
	v_fmac_f32_e32 v56, v41, v64
	v_dual_fmac_f32 v59, v71, v60 :: v_dual_mul_f32 v60, v73, v65
	v_mul_f32_e32 v63, v43, v67
	v_mul_f32_e32 v70, v43, v69
	v_fmac_f32_e32 v58, v73, v62
	v_fmac_f32_e32 v87, v41, v62
	v_mul_f32_e32 v41, v72, v65
	v_fma_f32 v61, v40, v62, -v61
	v_fma_f32 v40, v40, v64, -v90
	v_mul_f32_e32 v65, v42, v67
	v_fma_f32 v57, v72, v62, -v57
	v_fma_f32 v60, v72, v64, -v60
	v_dual_fmac_f32 v41, v73, v64 :: v_dual_mul_f32 v62, v42, v69
	v_mul_f32_e32 v64, v75, v67
	v_mul_f32_e32 v71, v75, v69
	v_dual_mul_f32 v73, v44, v79 :: v_dual_add_f32 v10, v10, v22
	v_fma_f32 v63, v42, v66, -v63
	v_fma_f32 v42, v42, v68, -v70
	v_mul_f32_e32 v70, v76, v79
	v_mul_f32_e32 v67, v74, v67
	v_dual_mul_f32 v69, v74, v69 :: v_dual_add_f32 v0, v0, v18
	v_dual_fmac_f32 v65, v43, v66 :: v_dual_add_f32 v16, v16, v89
	v_fmac_f32_e32 v62, v43, v68
	v_fma_f32 v43, v74, v66, -v64
	v_fmac_f32_e32 v70, v77, v78
	v_dual_fmac_f32 v67, v75, v66 :: v_dual_add_f32 v10, v10, v24
	v_mul_f32_e32 v66, v44, v81
	v_mul_f32_e32 v72, v45, v79
	;; [unrolled: 1-line block ×3, first 2 shown]
	v_fma_f32 v64, v74, v68, -v71
	v_dual_fmac_f32 v69, v75, v68 :: v_dual_add_f32 v16, v16, v86
	v_dual_mul_f32 v71, v77, v81 :: v_dual_add_f32 v0, v0, v28
	v_fmac_f32_e32 v73, v45, v78
	v_fmac_f32_e32 v66, v45, v80
	s_delay_alu instid0(VALU_DEP_4) | instskip(SKIP_3) | instid1(VALU_DEP_3)
	v_add_f32_e32 v16, v16, v88
	v_dual_mul_f32 v45, v76, v81 :: v_dual_add_f32 v10, v10, v30
	v_add_f32_e32 v15, v15, v82
	v_dual_add_f32 v0, v0, v34 :: v_dual_add_f32 v11, v11, v85
	v_fmac_f32_e32 v45, v77, v80
	s_delay_alu instid0(VALU_DEP_4) | instskip(SKIP_1) | instid1(VALU_DEP_4)
	v_dual_add_f32 v10, v10, v32 :: v_dual_add_f32 v7, v7, v23
	v_dual_add_f32 v1, v1, v21 :: v_dual_add_f32 v16, v16, v55
	;; [unrolled: 1-line block ×3, first 2 shown]
	s_delay_alu instid0(VALU_DEP_3) | instskip(NEXT) | instid1(VALU_DEP_3)
	v_dual_add_f32 v10, v10, v38 :: v_dual_add_f32 v15, v15, v84
	v_dual_add_f32 v16, v16, v87 :: v_dual_add_f32 v11, v11, v20
	s_delay_alu instid0(VALU_DEP_2)
	v_dual_add_f32 v7, v7, v26 :: v_dual_add_f32 v10, v10, v40
	v_add_f32_e32 v1, v1, v25
	v_dual_add_f32 v0, v0, v53 :: v_dual_add_f32 v9, v9, v27
	v_fma_f32 v72, v44, v78, -v72
	v_fma_f32 v44, v44, v80, -v90
	v_add_f32_e32 v16, v16, v65
	s_delay_alu instid0(VALU_DEP_4) | instskip(SKIP_1) | instid1(VALU_DEP_3)
	v_dual_add_f32 v0, v0, v60 :: v_dual_add_f32 v15, v15, v37
	v_add_f32_e32 v7, v7, v31
	v_dual_add_f32 v9, v9, v35 :: v_dual_add_f32 v16, v16, v73
	v_dual_add_f32 v10, v10, v42 :: v_dual_add_f32 v11, v11, v29
	v_add_f32_e32 v1, v1, v47
	v_fma_f32 v71, v76, v80, -v71
	s_delay_alu instid0(VALU_DEP_3) | instskip(NEXT) | instid1(VALU_DEP_4)
	v_dual_add_f32 v7, v7, v46 :: v_dual_add_f32 v10, v10, v44
	v_add_f32_e32 v11, v11, v36
	v_add_f32_e32 v9, v9, v48
	v_dual_add_f32 v1, v1, v33 :: v_dual_add_f32 v0, v0, v64
	v_add_f32_e32 v15, v15, v49
	s_delay_alu instid0(VALU_DEP_4) | instskip(SKIP_1) | instid1(VALU_DEP_4)
	v_add_f32_e32 v11, v11, v52
	v_add_f32_e32 v7, v7, v39
	v_dual_add_f32 v9, v9, v54 :: v_dual_add_f32 v0, v0, v71
	s_delay_alu instid0(VALU_DEP_4) | instskip(SKIP_3) | instid1(VALU_DEP_4)
	v_add_f32_e32 v15, v15, v51
	v_add_f32_e32 v1, v1, v59
	v_dual_mul_f32 v68, v77, v79 :: v_dual_add_f32 v11, v11, v56
	v_add_f32_e32 v7, v7, v57
	v_add_f32_e32 v15, v15, v61
	;; [unrolled: 1-line block ×4, first 2 shown]
	v_fma_f32 v68, v76, v78, -v68
	v_add_f32_e32 v11, v11, v62
	v_add_f32_e32 v15, v15, v63
	;; [unrolled: 1-line block ×10, first 2 shown]
	s_cbranch_scc0 .LBB344_2
.LBB344_3:
	s_clause 0x1
	s_load_b32 s3, s[0:1], 0x50
	s_load_b64 s[0:1], s[0:1], 0x58
	v_add_nc_u32_e32 v8, s13, v8
	v_add_nc_u32_e32 v2, s12, v6
	s_delay_alu instid0(VALU_DEP_2)
	v_cmp_gt_i32_e32 vcc_lo, s2, v8
	s_waitcnt lgkmcnt(0)
	v_mad_i64_i32 v[3:4], null, v8, s3, 0
	s_mul_i32 s1, s15, s1
	s_mul_hi_u32 s4, s15, s0
	s_mul_i32 s0, s15, s0
	s_add_i32 s1, s4, s1
	s_delay_alu instid0(SALU_CYCLE_1) | instskip(NEXT) | instid1(VALU_DEP_1)
	s_lshl_b64 s[4:5], s[0:1], 3
	v_lshlrev_b64 v[3:4], 3, v[3:4]
	s_add_u32 s4, s20, s4
	v_cmp_le_i32_e64 s0, v2, v8
	s_addc_u32 s5, s21, s5
	s_delay_alu instid0(VALU_DEP_2) | instskip(NEXT) | instid1(VALU_DEP_1)
	v_add_co_u32 v6, s1, s4, v3
	v_add_co_ci_u32_e64 v12, s1, s5, v4, s1
	s_delay_alu instid0(VALU_DEP_3) | instskip(NEXT) | instid1(SALU_CYCLE_1)
	s_and_b32 s0, vcc_lo, s0
	s_and_saveexec_b32 s1, s0
	s_cbranch_execz .LBB344_6
; %bb.4:
	v_ashrrev_i32_e32 v3, 31, v2
	s_delay_alu instid0(VALU_DEP_1) | instskip(NEXT) | instid1(VALU_DEP_1)
	v_lshlrev_b64 v[3:4], 3, v[2:3]
	v_add_co_u32 v3, s0, v6, v3
	s_delay_alu instid0(VALU_DEP_1)
	v_add_co_ci_u32_e64 v4, s0, v12, v4, s0
	v_cmp_eq_u32_e64 s0, v8, v2
	global_load_b64 v[13:14], v[3:4], off
	v_mul_f32_e32 v5, s9, v16
	s_waitcnt vmcnt(0)
	v_dual_mul_f32 v16, s8, v16 :: v_dual_mul_f32 v17, s7, v14
	v_mul_f32_e32 v14, s6, v14
	s_delay_alu instid0(VALU_DEP_3) | instskip(NEXT) | instid1(VALU_DEP_3)
	v_fma_f32 v5, v15, s8, -v5
	v_fmac_f32_e32 v16, s9, v15
	s_delay_alu instid0(VALU_DEP_4) | instskip(NEXT) | instid1(VALU_DEP_1)
	v_fma_f32 v15, v13, s6, -v17
	v_dual_fmac_f32 v14, s7, v13 :: v_dual_add_f32 v13, v5, v15
	s_delay_alu instid0(VALU_DEP_1)
	v_add_f32_e32 v14, v16, v14
	global_store_b64 v[3:4], v[13:14], off
	s_and_b32 exec_lo, exec_lo, s0
	s_cbranch_execz .LBB344_6
; %bb.5:
	v_mov_b32_e32 v5, 0
	global_store_b32 v[3:4], v5, off offset:4
.LBB344_6:
	s_or_b32 exec_lo, exec_lo, s1
	v_add_nc_u32_e32 v4, 16, v2
	s_delay_alu instid0(VALU_DEP_1) | instskip(NEXT) | instid1(VALU_DEP_1)
	v_cmp_le_i32_e64 s0, v4, v8
	s_and_b32 s1, vcc_lo, s0
	s_delay_alu instid0(SALU_CYCLE_1)
	s_and_saveexec_b32 s0, s1
	s_cbranch_execz .LBB344_9
; %bb.7:
	v_ashrrev_i32_e32 v5, 31, v4
	s_delay_alu instid0(VALU_DEP_1) | instskip(NEXT) | instid1(VALU_DEP_1)
	v_lshlrev_b64 v[13:14], 3, v[4:5]
	v_add_co_u32 v5, vcc_lo, v6, v13
	s_delay_alu instid0(VALU_DEP_2)
	v_add_co_ci_u32_e32 v6, vcc_lo, v12, v14, vcc_lo
	v_cmp_eq_u32_e32 vcc_lo, v8, v4
	global_load_b64 v[12:13], v[5:6], off
	s_waitcnt vmcnt(0)
	v_dual_mul_f32 v3, s9, v11 :: v_dual_mul_f32 v14, s7, v13
	v_mul_f32_e32 v13, s6, v13
	s_delay_alu instid0(VALU_DEP_2) | instskip(SKIP_1) | instid1(VALU_DEP_3)
	v_fma_f32 v3, v10, s8, -v3
	v_mul_f32_e32 v11, s8, v11
	v_fmac_f32_e32 v13, s7, v12
	s_delay_alu instid0(VALU_DEP_2) | instskip(SKIP_1) | instid1(VALU_DEP_2)
	v_fmac_f32_e32 v11, s9, v10
	v_fma_f32 v10, v12, s6, -v14
	v_add_f32_e32 v11, v11, v13
	s_delay_alu instid0(VALU_DEP_2)
	v_add_f32_e32 v10, v3, v10
	global_store_b64 v[5:6], v[10:11], off
	s_and_b32 exec_lo, exec_lo, vcc_lo
	s_cbranch_execz .LBB344_9
; %bb.8:
	v_mov_b32_e32 v3, 0
	global_store_b32 v[5:6], v3, off offset:4
.LBB344_9:
	s_or_b32 exec_lo, exec_lo, s0
	v_add_nc_u32_e32 v12, 16, v8
	s_delay_alu instid0(VALU_DEP_1) | instskip(SKIP_2) | instid1(VALU_DEP_1)
	v_mad_i64_i32 v[5:6], null, v12, s3, 0
	v_cmp_gt_i32_e32 vcc_lo, s2, v12
	v_cmp_le_i32_e64 s0, v2, v12
	s_and_b32 s0, vcc_lo, s0
	s_delay_alu instid0(VALU_DEP_3) | instskip(NEXT) | instid1(VALU_DEP_1)
	v_lshlrev_b64 v[5:6], 3, v[5:6]
	v_add_co_u32 v10, s1, s4, v5
	s_delay_alu instid0(VALU_DEP_1)
	v_add_co_ci_u32_e64 v11, s1, s5, v6, s1
	s_and_saveexec_b32 s1, s0
	s_cbranch_execz .LBB344_12
; %bb.10:
	v_ashrrev_i32_e32 v3, 31, v2
	s_delay_alu instid0(VALU_DEP_1) | instskip(NEXT) | instid1(VALU_DEP_1)
	v_lshlrev_b64 v[5:6], 3, v[2:3]
	v_add_co_u32 v5, s0, v10, v5
	s_delay_alu instid0(VALU_DEP_1) | instskip(SKIP_4) | instid1(VALU_DEP_1)
	v_add_co_ci_u32_e64 v6, s0, v11, v6, s0
	v_cmp_eq_u32_e64 s0, v12, v2
	global_load_b64 v[13:14], v[5:6], off
	v_mul_f32_e32 v3, s9, v9
	v_mul_f32_e32 v9, s8, v9
	v_fmac_f32_e32 v9, s9, v7
	s_waitcnt vmcnt(0)
	v_mul_f32_e32 v15, s7, v14
	v_mul_f32_e32 v14, s6, v14
	v_fma_f32 v3, v7, s8, -v3
	s_delay_alu instid0(VALU_DEP_2) | instskip(NEXT) | instid1(VALU_DEP_4)
	v_fmac_f32_e32 v14, s7, v13
	v_fma_f32 v7, v13, s6, -v15
	s_delay_alu instid0(VALU_DEP_1)
	v_dual_add_f32 v14, v9, v14 :: v_dual_add_f32 v13, v3, v7
	global_store_b64 v[5:6], v[13:14], off
	s_and_b32 exec_lo, exec_lo, s0
	s_cbranch_execz .LBB344_12
; %bb.11:
	v_mov_b32_e32 v3, 0
	global_store_b32 v[5:6], v3, off offset:4
.LBB344_12:
	s_or_b32 exec_lo, exec_lo, s1
	v_cmp_le_i32_e64 s0, v4, v12
	s_delay_alu instid0(VALU_DEP_1) | instskip(NEXT) | instid1(SALU_CYCLE_1)
	s_and_b32 s0, vcc_lo, s0
	s_and_saveexec_b32 s1, s0
	s_cbranch_execz .LBB344_15
; %bb.13:
	v_ashrrev_i32_e32 v5, 31, v4
	s_delay_alu instid0(VALU_DEP_1) | instskip(NEXT) | instid1(VALU_DEP_1)
	v_lshlrev_b64 v[3:4], 3, v[4:5]
	v_add_co_u32 v3, vcc_lo, v10, v3
	s_delay_alu instid0(VALU_DEP_2)
	v_add_co_ci_u32_e32 v4, vcc_lo, v11, v4, vcc_lo
	v_cmp_eq_u32_e32 vcc_lo, v8, v2
	global_load_b64 v[5:6], v[3:4], off
	v_mul_f32_e32 v7, s9, v1
	s_waitcnt vmcnt(0)
	v_mul_f32_e32 v9, s7, v6
	v_mul_f32_e32 v6, s6, v6
	s_delay_alu instid0(VALU_DEP_3) | instskip(SKIP_1) | instid1(VALU_DEP_1)
	v_fma_f32 v7, v0, s8, -v7
	v_mul_f32_e32 v1, s8, v1
	v_dual_fmac_f32 v6, s7, v5 :: v_dual_fmac_f32 v1, s9, v0
	v_fma_f32 v0, v5, s6, -v9
	s_delay_alu instid0(VALU_DEP_1)
	v_dual_add_f32 v1, v1, v6 :: v_dual_add_f32 v0, v7, v0
	global_store_b64 v[3:4], v[0:1], off
	s_and_b32 exec_lo, exec_lo, vcc_lo
	s_cbranch_execz .LBB344_15
; %bb.14:
	v_mov_b32_e32 v0, 0
	global_store_b32 v[3:4], v0, off offset:4
.LBB344_15:
	s_nop 0
	s_sendmsg sendmsg(MSG_DEALLOC_VGPRS)
	s_endpgm
	.section	.rodata,"a",@progbits
	.p2align	6, 0x0
	.amdhsa_kernel _ZL37rocblas_syrkx_herkx_restricted_kernelIi19rocblas_complex_numIfELi16ELi32ELi8ELb0ELb1ELc67ELc85EKS1_S1_EviT_T0_PT8_S3_lS6_S3_lS4_PT9_S3_li
		.amdhsa_group_segment_fixed_size 4096
		.amdhsa_private_segment_fixed_size 0
		.amdhsa_kernarg_size 100
		.amdhsa_user_sgpr_count 13
		.amdhsa_user_sgpr_dispatch_ptr 0
		.amdhsa_user_sgpr_queue_ptr 0
		.amdhsa_user_sgpr_kernarg_segment_ptr 1
		.amdhsa_user_sgpr_dispatch_id 0
		.amdhsa_user_sgpr_private_segment_size 0
		.amdhsa_wavefront_size32 1
		.amdhsa_uses_dynamic_stack 0
		.amdhsa_enable_private_segment 0
		.amdhsa_system_sgpr_workgroup_id_x 1
		.amdhsa_system_sgpr_workgroup_id_y 1
		.amdhsa_system_sgpr_workgroup_id_z 1
		.amdhsa_system_sgpr_workgroup_info 0
		.amdhsa_system_vgpr_workitem_id 1
		.amdhsa_next_free_vgpr 91
		.amdhsa_next_free_sgpr 25
		.amdhsa_reserve_vcc 1
		.amdhsa_float_round_mode_32 0
		.amdhsa_float_round_mode_16_64 0
		.amdhsa_float_denorm_mode_32 3
		.amdhsa_float_denorm_mode_16_64 3
		.amdhsa_dx10_clamp 1
		.amdhsa_ieee_mode 1
		.amdhsa_fp16_overflow 0
		.amdhsa_workgroup_processor_mode 1
		.amdhsa_memory_ordered 1
		.amdhsa_forward_progress 0
		.amdhsa_shared_vgpr_count 0
		.amdhsa_exception_fp_ieee_invalid_op 0
		.amdhsa_exception_fp_denorm_src 0
		.amdhsa_exception_fp_ieee_div_zero 0
		.amdhsa_exception_fp_ieee_overflow 0
		.amdhsa_exception_fp_ieee_underflow 0
		.amdhsa_exception_fp_ieee_inexact 0
		.amdhsa_exception_int_div_zero 0
	.end_amdhsa_kernel
	.section	.text._ZL37rocblas_syrkx_herkx_restricted_kernelIi19rocblas_complex_numIfELi16ELi32ELi8ELb0ELb1ELc67ELc85EKS1_S1_EviT_T0_PT8_S3_lS6_S3_lS4_PT9_S3_li,"axG",@progbits,_ZL37rocblas_syrkx_herkx_restricted_kernelIi19rocblas_complex_numIfELi16ELi32ELi8ELb0ELb1ELc67ELc85EKS1_S1_EviT_T0_PT8_S3_lS6_S3_lS4_PT9_S3_li,comdat
.Lfunc_end344:
	.size	_ZL37rocblas_syrkx_herkx_restricted_kernelIi19rocblas_complex_numIfELi16ELi32ELi8ELb0ELb1ELc67ELc85EKS1_S1_EviT_T0_PT8_S3_lS6_S3_lS4_PT9_S3_li, .Lfunc_end344-_ZL37rocblas_syrkx_herkx_restricted_kernelIi19rocblas_complex_numIfELi16ELi32ELi8ELb0ELb1ELc67ELc85EKS1_S1_EviT_T0_PT8_S3_lS6_S3_lS4_PT9_S3_li
                                        ; -- End function
	.section	.AMDGPU.csdata,"",@progbits
; Kernel info:
; codeLenInByte = 2420
; NumSgprs: 27
; NumVgprs: 91
; ScratchSize: 0
; MemoryBound: 0
; FloatMode: 240
; IeeeMode: 1
; LDSByteSize: 4096 bytes/workgroup (compile time only)
; SGPRBlocks: 3
; VGPRBlocks: 11
; NumSGPRsForWavesPerEU: 27
; NumVGPRsForWavesPerEU: 91
; Occupancy: 16
; WaveLimiterHint : 0
; COMPUTE_PGM_RSRC2:SCRATCH_EN: 0
; COMPUTE_PGM_RSRC2:USER_SGPR: 13
; COMPUTE_PGM_RSRC2:TRAP_HANDLER: 0
; COMPUTE_PGM_RSRC2:TGID_X_EN: 1
; COMPUTE_PGM_RSRC2:TGID_Y_EN: 1
; COMPUTE_PGM_RSRC2:TGID_Z_EN: 1
; COMPUTE_PGM_RSRC2:TIDIG_COMP_CNT: 1
	.section	.text._ZL37rocblas_syrkx_herkx_restricted_kernelIi19rocblas_complex_numIfELi16ELi32ELi8ELb0ELb1ELc78ELc85EKS1_S1_EviT_T0_PT8_S3_lS6_S3_lS4_PT9_S3_li,"axG",@progbits,_ZL37rocblas_syrkx_herkx_restricted_kernelIi19rocblas_complex_numIfELi16ELi32ELi8ELb0ELb1ELc78ELc85EKS1_S1_EviT_T0_PT8_S3_lS6_S3_lS4_PT9_S3_li,comdat
	.globl	_ZL37rocblas_syrkx_herkx_restricted_kernelIi19rocblas_complex_numIfELi16ELi32ELi8ELb0ELb1ELc78ELc85EKS1_S1_EviT_T0_PT8_S3_lS6_S3_lS4_PT9_S3_li ; -- Begin function _ZL37rocblas_syrkx_herkx_restricted_kernelIi19rocblas_complex_numIfELi16ELi32ELi8ELb0ELb1ELc78ELc85EKS1_S1_EviT_T0_PT8_S3_lS6_S3_lS4_PT9_S3_li
	.p2align	8
	.type	_ZL37rocblas_syrkx_herkx_restricted_kernelIi19rocblas_complex_numIfELi16ELi32ELi8ELb0ELb1ELc78ELc85EKS1_S1_EviT_T0_PT8_S3_lS6_S3_lS4_PT9_S3_li,@function
_ZL37rocblas_syrkx_herkx_restricted_kernelIi19rocblas_complex_numIfELi16ELi32ELi8ELb0ELb1ELc78ELc85EKS1_S1_EviT_T0_PT8_S3_lS6_S3_lS4_PT9_S3_li: ; @_ZL37rocblas_syrkx_herkx_restricted_kernelIi19rocblas_complex_numIfELi16ELi32ELi8ELb0ELb1ELc78ELc85EKS1_S1_EviT_T0_PT8_S3_lS6_S3_lS4_PT9_S3_li
; %bb.0:
	s_clause 0x3
	s_load_b64 s[2:3], s[0:1], 0x0
	s_load_b128 s[8:11], s[0:1], 0x8
	s_load_b128 s[4:7], s[0:1], 0x38
	s_load_b64 s[20:21], s[0:1], 0x48
	v_dual_mov_b32 v17, 0 :: v_dual_and_b32 v4, 0x3ff, v0
	v_bfe_u32 v7, v0, 10, 10
	v_dual_mov_b32 v16, 0 :: v_dual_mov_b32 v11, 0
	v_dual_mov_b32 v10, 0 :: v_dual_mov_b32 v9, 0
	;; [unrolled: 1-line block ×3, first 2 shown]
	v_mov_b32_e32 v6, 0
	s_lshl_b32 s12, s13, 5
	s_lshl_b32 s13, s14, 5
	s_mov_b32 s14, 0
	s_waitcnt lgkmcnt(0)
	s_cmp_lt_i32 s3, 1
	s_cbranch_scc1 .LBB345_3
; %bb.1:
	s_clause 0x1
	s_load_b32 s22, s[0:1], 0x30
	s_load_b32 s24, s[0:1], 0x18
	v_lshl_add_u32 v0, v7, 4, v4
	v_and_b32_e32 v8, 7, v4
	s_load_b128 s[16:19], s[0:1], 0x20
	s_mul_i32 s5, s5, s15
	v_lshlrev_b32_e32 v14, 3, v4
	v_lshrrev_b32_e32 v1, 3, v0
	v_and_b32_e32 v2, 31, v0
	v_lshlrev_b32_e32 v3, 3, v8
	v_lshrrev_b32_e32 v9, 5, v0
	s_delay_alu instid0(VALU_DEP_4) | instskip(NEXT) | instid1(VALU_DEP_4)
	v_dual_mov_b32 v11, 0 :: v_dual_add_nc_u32 v0, s13, v1
	v_lshlrev_b32_e32 v5, 3, v2
	s_delay_alu instid0(VALU_DEP_4) | instskip(SKIP_1) | instid1(VALU_DEP_4)
	v_lshl_or_b32 v3, v1, 6, v3
	v_dual_mov_b32 v17, 0 :: v_dual_add_nc_u32 v2, s12, v2
	v_ashrrev_i32_e32 v1, 31, v0
	s_delay_alu instid0(VALU_DEP_4) | instskip(NEXT) | instid1(VALU_DEP_4)
	v_lshl_or_b32 v12, v9, 8, v5
	v_dual_mov_b32 v10, 0 :: v_dual_add_nc_u32 v13, 0x800, v3
	s_delay_alu instid0(VALU_DEP_4)
	v_ashrrev_i32_e32 v3, 31, v2
	s_waitcnt lgkmcnt(0)
	v_mad_i64_i32 v[5:6], null, s22, v8, v[0:1]
	s_mul_i32 s17, s17, s15
	s_mul_hi_u32 s26, s16, s15
	v_mad_i64_i32 v[0:1], null, s24, v9, v[2:3]
	s_add_i32 s17, s26, s17
	s_mul_i32 s16, s16, s15
	s_ashr_i32 s25, s24, 31
	s_lshl_b64 s[16:17], s[16:17], 3
	s_ashr_i32 s23, s22, 31
	s_add_u32 s10, s10, s16
	s_delay_alu instid0(VALU_DEP_1)
	v_lshlrev_b64 v[0:1], 3, v[0:1]
	s_addc_u32 s11, s11, s17
	s_mul_hi_u32 s16, s4, s15
	s_mul_i32 s4, s4, s15
	s_add_i32 s5, s16, s5
	v_lshl_add_u32 v15, v7, 6, 0x800
	v_add_co_u32 v2, vcc_lo, s10, v0
	v_add_co_ci_u32_e32 v3, vcc_lo, s11, v1, vcc_lo
	v_lshlrev_b64 v[0:1], 3, v[5:6]
	s_lshl_b64 s[10:11], s[4:5], 3
	s_lshl_b64 s[4:5], s[24:25], 6
	s_add_u32 s10, s18, s10
	s_addc_u32 s11, s19, s11
	v_mov_b32_e32 v9, 0
	v_add_co_u32 v5, vcc_lo, s10, v0
	v_add_co_ci_u32_e32 v6, vcc_lo, s11, v1, vcc_lo
	v_add_co_u32 v0, vcc_lo, v2, 4
	v_add_co_ci_u32_e32 v1, vcc_lo, 0, v3, vcc_lo
	s_delay_alu instid0(VALU_DEP_4) | instskip(NEXT) | instid1(VALU_DEP_4)
	v_add_co_u32 v2, vcc_lo, v5, 4
	v_add_co_ci_u32_e32 v3, vcc_lo, 0, v6, vcc_lo
	v_dual_mov_b32 v6, 0 :: v_dual_mov_b32 v5, 0
	v_mov_b32_e32 v8, 0
	v_mov_b32_e32 v16, 0
	s_lshl_b64 s[10:11], s[22:23], 6
.LBB345_2:                              ; =>This Inner Loop Header: Depth=1
	global_load_b64 v[18:19], v[2:3], off offset:-4
	global_load_b64 v[20:21], v[0:1], off offset:-4
	v_add_co_u32 v0, vcc_lo, v0, s4
	v_add_co_ci_u32_e32 v1, vcc_lo, s5, v1, vcc_lo
	v_add_co_u32 v2, vcc_lo, v2, s10
	v_add_co_ci_u32_e32 v3, vcc_lo, s11, v3, vcc_lo
	s_add_i32 s14, s14, 8
	s_delay_alu instid0(SALU_CYCLE_1)
	s_cmp_ge_i32 s14, s3
	s_waitcnt vmcnt(1)
	v_xor_b32_e32 v19, 0x80000000, v19
	s_waitcnt vmcnt(0)
	ds_store_b64 v12, v[20:21]
	ds_store_b64 v13, v[18:19]
	s_waitcnt lgkmcnt(0)
	s_barrier
	buffer_gl0_inv
	ds_load_2addr_b64 v[18:21], v14 offset1:16
	ds_load_b128 v[22:25], v15
	ds_load_b128 v[26:29], v15 offset:1024
	ds_load_b128 v[30:33], v15 offset:16
	ds_load_2addr_b64 v[34:37], v14 offset0:32 offset1:48
	ds_load_b128 v[38:41], v15 offset:32
	ds_load_b128 v[42:45], v15 offset:48
	ds_load_2addr_b64 v[46:49], v14 offset0:64 offset1:80
	ds_load_b128 v[50:53], v15 offset:1040
	ds_load_2addr_b64 v[54:57], v14 offset0:96 offset1:112
	ds_load_2addr_b64 v[58:61], v14 offset0:128 offset1:144
	;; [unrolled: 1-line block ×4, first 2 shown]
	ds_load_b128 v[70:73], v15 offset:1056
	ds_load_b128 v[74:77], v15 offset:1072
	ds_load_2addr_b64 v[78:81], v14 offset0:224 offset1:240
	s_waitcnt lgkmcnt(0)
	s_barrier
	buffer_gl0_inv
	v_dual_mul_f32 v82, v23, v19 :: v_dual_mul_f32 v85, v22, v21
	v_dual_mul_f32 v83, v22, v19 :: v_dual_mul_f32 v84, v23, v21
	v_mul_f32_e32 v86, v27, v19
	v_dual_mul_f32 v19, v26, v19 :: v_dual_mul_f32 v90, v25, v37
	v_dual_mul_f32 v87, v27, v21 :: v_dual_mul_f32 v88, v25, v35
	v_mul_f32_e32 v21, v26, v21
	v_mul_f32_e32 v89, v24, v35
	;; [unrolled: 1-line block ×3, first 2 shown]
	v_fma_f32 v82, v22, v18, -v82
	v_fmac_f32_e32 v83, v23, v18
	v_fma_f32 v22, v22, v20, -v84
	v_dual_fmac_f32 v85, v23, v20 :: v_dual_mul_f32 v84, v30, v47
	v_fma_f32 v23, v26, v18, -v86
	v_fmac_f32_e32 v19, v27, v18
	v_fma_f32 v18, v26, v20, -v87
	v_dual_mul_f32 v26, v28, v35 :: v_dual_fmac_f32 v21, v27, v20
	v_mul_f32_e32 v20, v29, v35
	v_mul_f32_e32 v27, v29, v37
	v_dual_mul_f32 v35, v28, v37 :: v_dual_fmac_f32 v84, v31, v46
	v_fma_f32 v37, v24, v34, -v88
	v_fma_f32 v24, v24, v36, -v90
	v_dual_fmac_f32 v91, v25, v36 :: v_dual_mul_f32 v90, v32, v57
	v_dual_mul_f32 v86, v31, v49 :: v_dual_fmac_f32 v89, v25, v34
	v_dual_mul_f32 v25, v31, v47 :: v_dual_mul_f32 v88, v33, v57
	v_fma_f32 v20, v28, v34, -v20
	v_fmac_f32_e32 v26, v29, v34
	v_fma_f32 v27, v28, v36, -v27
	v_dual_fmac_f32 v35, v29, v36 :: v_dual_mul_f32 v28, v51, v47
	v_dual_mul_f32 v29, v50, v47 :: v_dual_mul_f32 v34, v51, v49
	v_mul_f32_e32 v36, v50, v49
	v_mul_f32_e32 v87, v30, v49
	;; [unrolled: 1-line block ×3, first 2 shown]
	v_dual_mul_f32 v49, v32, v55 :: v_dual_fmac_f32 v90, v33, v56
	v_fma_f32 v25, v30, v46, -v25
	v_fma_f32 v30, v30, v48, -v86
	;; [unrolled: 1-line block ×3, first 2 shown]
	v_fmac_f32_e32 v36, v51, v48
	v_fmac_f32_e32 v87, v31, v48
	v_fma_f32 v31, v50, v48, -v34
	v_mul_f32_e32 v34, v53, v55
	v_mul_f32_e32 v48, v53, v57
	v_dual_mul_f32 v50, v52, v57 :: v_dual_fmac_f32 v29, v51, v46
	v_mul_f32_e32 v46, v52, v55
	v_fma_f32 v47, v32, v54, -v47
	v_fmac_f32_e32 v49, v33, v54
	v_fma_f32 v32, v32, v56, -v88
	s_delay_alu instid0(VALU_DEP_4)
	v_dual_mul_f32 v33, v39, v59 :: v_dual_fmac_f32 v46, v53, v54
	v_mul_f32_e32 v51, v38, v59
	v_mul_f32_e32 v55, v39, v61
	v_fma_f32 v34, v52, v54, -v34
	v_fma_f32 v48, v52, v56, -v48
	v_fmac_f32_e32 v50, v53, v56
	v_mul_f32_e32 v52, v71, v59
	v_dual_mul_f32 v53, v70, v59 :: v_dual_mul_f32 v86, v41, v65
	v_mul_f32_e32 v54, v71, v61
	v_dual_mul_f32 v56, v70, v61 :: v_dual_mul_f32 v59, v41, v63
	v_mul_f32_e32 v57, v38, v61
	v_mul_f32_e32 v61, v40, v63
	v_dual_mul_f32 v88, v40, v65 :: v_dual_fmac_f32 v51, v39, v58
	v_fma_f32 v33, v38, v58, -v33
	v_fmac_f32_e32 v53, v71, v58
	v_fmac_f32_e32 v56, v71, v60
	s_delay_alu instid0(VALU_DEP_4)
	v_fmac_f32_e32 v88, v41, v64
	v_fmac_f32_e32 v57, v39, v60
	v_fma_f32 v39, v70, v58, -v52
	v_fma_f32 v52, v70, v60, -v54
	v_mul_f32_e32 v54, v73, v63
	v_fma_f32 v38, v38, v60, -v55
	v_mul_f32_e32 v60, v72, v65
	v_dual_mul_f32 v55, v72, v63 :: v_dual_mul_f32 v70, v42, v69
	v_mul_f32_e32 v58, v73, v65
	v_fma_f32 v59, v40, v62, -v59
	v_fmac_f32_e32 v61, v41, v62
	v_fma_f32 v40, v40, v64, -v86
	v_dual_mul_f32 v41, v43, v67 :: v_dual_fmac_f32 v60, v73, v64
	v_dual_mul_f32 v63, v42, v67 :: v_dual_mul_f32 v86, v44, v81
	v_mul_f32_e32 v65, v43, v69
	v_fma_f32 v54, v72, v62, -v54
	v_fmac_f32_e32 v55, v73, v62
	v_fma_f32 v58, v72, v64, -v58
	v_mul_f32_e32 v72, v44, v79
	v_mul_f32_e32 v62, v75, v67
	v_dual_mul_f32 v64, v74, v67 :: v_dual_mul_f32 v67, v75, v69
	v_dual_mul_f32 v69, v74, v69 :: v_dual_fmac_f32 v70, v43, v68
	s_delay_alu instid0(VALU_DEP_2)
	v_dual_mul_f32 v71, v45, v79 :: v_dual_fmac_f32 v64, v75, v66
	v_dual_mul_f32 v73, v45, v81 :: v_dual_add_f32 v16, v16, v82
	v_fma_f32 v41, v42, v66, -v41
	v_fmac_f32_e32 v63, v43, v66
	v_fma_f32 v42, v42, v68, -v65
	v_fma_f32 v43, v74, v66, -v62
	v_dual_mul_f32 v65, v77, v79 :: v_dual_add_f32 v10, v10, v22
	v_mul_f32_e32 v66, v76, v79
	v_fma_f32 v62, v74, v68, -v67
	v_dual_mul_f32 v67, v77, v81 :: v_dual_add_f32 v8, v8, v23
	v_dual_fmac_f32 v86, v45, v80 :: v_dual_add_f32 v11, v11, v85
	v_dual_add_f32 v17, v17, v83 :: v_dual_add_f32 v6, v6, v21
	v_dual_add_f32 v9, v9, v19 :: v_dual_add_f32 v16, v16, v37
	;; [unrolled: 1-line block ×3, first 2 shown]
	v_dual_fmac_f32 v69, v75, v68 :: v_dual_fmac_f32 v72, v45, v78
	v_mul_f32_e32 v68, v76, v81
	v_dual_fmac_f32 v66, v77, v78 :: v_dual_add_f32 v11, v11, v91
	v_dual_add_f32 v17, v17, v89 :: v_dual_add_f32 v8, v8, v20
	v_dual_add_f32 v9, v9, v26 :: v_dual_add_f32 v6, v6, v35
	;; [unrolled: 1-line block ×3, first 2 shown]
	s_delay_alu instid0(VALU_DEP_4) | instskip(NEXT) | instid1(VALU_DEP_4)
	v_dual_fmac_f32 v68, v77, v80 :: v_dual_add_f32 v11, v11, v87
	v_dual_add_f32 v17, v17, v84 :: v_dual_add_f32 v10, v10, v30
	s_delay_alu instid0(VALU_DEP_4) | instskip(NEXT) | instid1(VALU_DEP_4)
	v_dual_add_f32 v8, v8, v28 :: v_dual_add_f32 v9, v9, v29
	v_dual_add_f32 v5, v5, v31 :: v_dual_add_f32 v6, v6, v36
	s_delay_alu instid0(VALU_DEP_3) | instskip(NEXT) | instid1(VALU_DEP_4)
	v_dual_add_f32 v16, v16, v47 :: v_dual_add_f32 v17, v17, v49
	v_dual_add_f32 v10, v10, v32 :: v_dual_add_f32 v11, v11, v90
	s_delay_alu instid0(VALU_DEP_3) | instskip(NEXT) | instid1(VALU_DEP_3)
	v_dual_add_f32 v8, v8, v34 :: v_dual_add_f32 v5, v5, v48
	v_dual_add_f32 v9, v9, v46 :: v_dual_add_f32 v16, v16, v33
	s_delay_alu instid0(VALU_DEP_4) | instskip(NEXT) | instid1(VALU_DEP_4)
	v_dual_add_f32 v6, v6, v50 :: v_dual_add_f32 v17, v17, v51
	v_dual_add_f32 v10, v10, v38 :: v_dual_add_f32 v11, v11, v57
	s_delay_alu instid0(VALU_DEP_3) | instskip(NEXT) | instid1(VALU_DEP_4)
	v_dual_add_f32 v8, v8, v39 :: v_dual_add_f32 v9, v9, v53
	v_dual_add_f32 v5, v5, v52 :: v_dual_add_f32 v16, v16, v59
	s_delay_alu instid0(VALU_DEP_4) | instskip(NEXT) | instid1(VALU_DEP_3)
	v_dual_add_f32 v6, v6, v56 :: v_dual_add_f32 v17, v17, v61
	v_dual_add_f32 v10, v10, v40 :: v_dual_add_f32 v9, v9, v55
	s_delay_alu instid0(VALU_DEP_4) | instskip(NEXT) | instid1(VALU_DEP_3)
	v_dual_add_f32 v11, v11, v88 :: v_dual_add_f32 v8, v8, v54
	v_dual_add_f32 v5, v5, v58 :: v_dual_add_f32 v6, v6, v60
	v_fma_f32 v71, v44, v78, -v71
	v_fma_f32 v44, v44, v80, -v73
	v_fma_f32 v45, v76, v78, -v65
	v_fma_f32 v65, v76, v80, -v67
	v_dual_add_f32 v16, v16, v41 :: v_dual_add_f32 v17, v17, v63
	v_dual_add_f32 v10, v10, v42 :: v_dual_add_f32 v9, v9, v64
	;; [unrolled: 1-line block ×4, first 2 shown]
	s_delay_alu instid0(VALU_DEP_4) | instskip(NEXT) | instid1(VALU_DEP_3)
	v_dual_add_f32 v16, v16, v71 :: v_dual_add_f32 v17, v17, v72
	v_dual_add_f32 v10, v10, v44 :: v_dual_add_f32 v11, v11, v86
	s_delay_alu instid0(VALU_DEP_4) | instskip(NEXT) | instid1(VALU_DEP_4)
	v_dual_add_f32 v8, v8, v45 :: v_dual_add_f32 v9, v9, v66
	v_dual_add_f32 v5, v5, v65 :: v_dual_add_f32 v6, v6, v68
	s_cbranch_scc0 .LBB345_2
.LBB345_3:
	s_clause 0x1
	s_load_b32 s3, s[0:1], 0x50
	s_load_b64 s[0:1], s[0:1], 0x58
	v_add_nc_u32_e32 v7, s13, v7
	v_add_nc_u32_e32 v0, s12, v4
	s_delay_alu instid0(VALU_DEP_2)
	v_cmp_gt_i32_e32 vcc_lo, s2, v7
	s_waitcnt lgkmcnt(0)
	v_mad_i64_i32 v[1:2], null, v7, s3, 0
	s_mul_i32 s1, s15, s1
	s_mul_hi_u32 s4, s15, s0
	s_mul_i32 s0, s15, s0
	s_add_i32 s1, s4, s1
	s_delay_alu instid0(SALU_CYCLE_1) | instskip(NEXT) | instid1(VALU_DEP_1)
	s_lshl_b64 s[4:5], s[0:1], 3
	v_lshlrev_b64 v[1:2], 3, v[1:2]
	s_add_u32 s4, s20, s4
	v_cmp_le_i32_e64 s0, v0, v7
	s_addc_u32 s5, s21, s5
	s_delay_alu instid0(VALU_DEP_2) | instskip(NEXT) | instid1(VALU_DEP_1)
	v_add_co_u32 v4, s1, s4, v1
	v_add_co_ci_u32_e64 v12, s1, s5, v2, s1
	s_delay_alu instid0(VALU_DEP_3) | instskip(NEXT) | instid1(SALU_CYCLE_1)
	s_and_b32 s0, vcc_lo, s0
	s_and_saveexec_b32 s1, s0
	s_cbranch_execz .LBB345_6
; %bb.4:
	v_ashrrev_i32_e32 v1, 31, v0
	v_mul_f32_e32 v15, s8, v17
	s_delay_alu instid0(VALU_DEP_2) | instskip(NEXT) | instid1(VALU_DEP_2)
	v_lshlrev_b64 v[1:2], 3, v[0:1]
	v_fmac_f32_e32 v15, s9, v16
	s_delay_alu instid0(VALU_DEP_2) | instskip(NEXT) | instid1(VALU_DEP_1)
	v_add_co_u32 v1, s0, v4, v1
	v_add_co_ci_u32_e64 v2, s0, v12, v2, s0
	v_cmp_eq_u32_e64 s0, v7, v0
	global_load_b64 v[13:14], v[1:2], off
	v_mul_f32_e32 v3, s9, v17
	s_waitcnt vmcnt(0)
	v_mul_f32_e32 v17, s7, v14
	v_mul_f32_e32 v14, s6, v14
	s_delay_alu instid0(VALU_DEP_3) | instskip(NEXT) | instid1(VALU_DEP_2)
	v_fma_f32 v3, v16, s8, -v3
	v_fmac_f32_e32 v14, s7, v13
	s_delay_alu instid0(VALU_DEP_4) | instskip(NEXT) | instid1(VALU_DEP_2)
	v_fma_f32 v16, v13, s6, -v17
	v_add_f32_e32 v14, v15, v14
	s_delay_alu instid0(VALU_DEP_2)
	v_add_f32_e32 v13, v3, v16
	global_store_b64 v[1:2], v[13:14], off
	s_and_b32 exec_lo, exec_lo, s0
	s_cbranch_execz .LBB345_6
; %bb.5:
	v_mov_b32_e32 v3, 0
	global_store_b32 v[1:2], v3, off offset:4
.LBB345_6:
	s_or_b32 exec_lo, exec_lo, s1
	v_add_nc_u32_e32 v2, 16, v0
	s_delay_alu instid0(VALU_DEP_1) | instskip(NEXT) | instid1(VALU_DEP_1)
	v_cmp_le_i32_e64 s0, v2, v7
	s_and_b32 s1, vcc_lo, s0
	s_delay_alu instid0(SALU_CYCLE_1)
	s_and_saveexec_b32 s0, s1
	s_cbranch_execz .LBB345_9
; %bb.7:
	v_ashrrev_i32_e32 v3, 31, v2
	s_delay_alu instid0(VALU_DEP_1) | instskip(NEXT) | instid1(VALU_DEP_1)
	v_lshlrev_b64 v[13:14], 3, v[2:3]
	v_add_co_u32 v3, vcc_lo, v4, v13
	s_delay_alu instid0(VALU_DEP_2)
	v_add_co_ci_u32_e32 v4, vcc_lo, v12, v14, vcc_lo
	v_cmp_eq_u32_e32 vcc_lo, v7, v2
	global_load_b64 v[12:13], v[3:4], off
	s_waitcnt vmcnt(0)
	v_dual_mul_f32 v1, s9, v11 :: v_dual_mul_f32 v14, s7, v13
	v_mul_f32_e32 v13, s6, v13
	s_delay_alu instid0(VALU_DEP_2) | instskip(SKIP_1) | instid1(VALU_DEP_3)
	v_fma_f32 v1, v10, s8, -v1
	v_mul_f32_e32 v11, s8, v11
	v_fmac_f32_e32 v13, s7, v12
	s_delay_alu instid0(VALU_DEP_2) | instskip(SKIP_1) | instid1(VALU_DEP_1)
	v_fmac_f32_e32 v11, s9, v10
	v_fma_f32 v10, v12, s6, -v14
	v_dual_add_f32 v11, v11, v13 :: v_dual_add_f32 v10, v1, v10
	global_store_b64 v[3:4], v[10:11], off
	s_and_b32 exec_lo, exec_lo, vcc_lo
	s_cbranch_execz .LBB345_9
; %bb.8:
	v_mov_b32_e32 v1, 0
	global_store_b32 v[3:4], v1, off offset:4
.LBB345_9:
	s_or_b32 exec_lo, exec_lo, s0
	v_add_nc_u32_e32 v12, 16, v7
	s_delay_alu instid0(VALU_DEP_1) | instskip(SKIP_2) | instid1(VALU_DEP_1)
	v_mad_i64_i32 v[3:4], null, v12, s3, 0
	v_cmp_gt_i32_e32 vcc_lo, s2, v12
	v_cmp_le_i32_e64 s0, v0, v12
	s_and_b32 s0, vcc_lo, s0
	s_delay_alu instid0(VALU_DEP_3) | instskip(NEXT) | instid1(VALU_DEP_1)
	v_lshlrev_b64 v[3:4], 3, v[3:4]
	v_add_co_u32 v10, s1, s4, v3
	s_delay_alu instid0(VALU_DEP_1)
	v_add_co_ci_u32_e64 v11, s1, s5, v4, s1
	s_and_saveexec_b32 s1, s0
	s_cbranch_execz .LBB345_12
; %bb.10:
	v_ashrrev_i32_e32 v1, 31, v0
	s_delay_alu instid0(VALU_DEP_1) | instskip(NEXT) | instid1(VALU_DEP_1)
	v_lshlrev_b64 v[3:4], 3, v[0:1]
	v_add_co_u32 v3, s0, v10, v3
	s_delay_alu instid0(VALU_DEP_1)
	v_add_co_ci_u32_e64 v4, s0, v11, v4, s0
	v_cmp_eq_u32_e64 s0, v12, v0
	global_load_b64 v[13:14], v[3:4], off
	v_mul_f32_e32 v1, s9, v9
	s_waitcnt vmcnt(0)
	v_mul_f32_e32 v15, s7, v14
	v_mul_f32_e32 v14, s6, v14
	s_delay_alu instid0(VALU_DEP_3) | instskip(SKIP_1) | instid1(VALU_DEP_1)
	v_fma_f32 v1, v8, s8, -v1
	v_mul_f32_e32 v9, s8, v9
	v_dual_fmac_f32 v14, s7, v13 :: v_dual_fmac_f32 v9, s9, v8
	v_fma_f32 v8, v13, s6, -v15
	s_delay_alu instid0(VALU_DEP_2) | instskip(NEXT) | instid1(VALU_DEP_2)
	v_add_f32_e32 v9, v9, v14
	v_add_f32_e32 v8, v1, v8
	global_store_b64 v[3:4], v[8:9], off
	s_and_b32 exec_lo, exec_lo, s0
	s_cbranch_execz .LBB345_12
; %bb.11:
	v_mov_b32_e32 v1, 0
	global_store_b32 v[3:4], v1, off offset:4
.LBB345_12:
	s_or_b32 exec_lo, exec_lo, s1
	v_cmp_le_i32_e64 s0, v2, v12
	s_delay_alu instid0(VALU_DEP_1) | instskip(NEXT) | instid1(SALU_CYCLE_1)
	s_and_b32 s0, vcc_lo, s0
	s_and_saveexec_b32 s1, s0
	s_cbranch_execz .LBB345_15
; %bb.13:
	v_ashrrev_i32_e32 v3, 31, v2
	s_delay_alu instid0(VALU_DEP_1) | instskip(NEXT) | instid1(VALU_DEP_1)
	v_lshlrev_b64 v[1:2], 3, v[2:3]
	v_add_co_u32 v1, vcc_lo, v10, v1
	s_delay_alu instid0(VALU_DEP_2)
	v_add_co_ci_u32_e32 v2, vcc_lo, v11, v2, vcc_lo
	v_cmp_eq_u32_e32 vcc_lo, v7, v0
	global_load_b64 v[3:4], v[1:2], off
	s_waitcnt vmcnt(0)
	v_dual_mul_f32 v8, s9, v6 :: v_dual_mul_f32 v9, s7, v4
	v_mul_f32_e32 v4, s6, v4
	s_delay_alu instid0(VALU_DEP_2) | instskip(SKIP_1) | instid1(VALU_DEP_3)
	v_fma_f32 v8, v5, s8, -v8
	v_mul_f32_e32 v6, s8, v6
	v_fmac_f32_e32 v4, s7, v3
	s_delay_alu instid0(VALU_DEP_2) | instskip(SKIP_1) | instid1(VALU_DEP_1)
	v_fmac_f32_e32 v6, s9, v5
	v_fma_f32 v5, v3, s6, -v9
	v_dual_add_f32 v4, v6, v4 :: v_dual_add_f32 v3, v8, v5
	global_store_b64 v[1:2], v[3:4], off
	s_and_b32 exec_lo, exec_lo, vcc_lo
	s_cbranch_execz .LBB345_15
; %bb.14:
	v_mov_b32_e32 v0, 0
	global_store_b32 v[1:2], v0, off offset:4
.LBB345_15:
	s_nop 0
	s_sendmsg sendmsg(MSG_DEALLOC_VGPRS)
	s_endpgm
	.section	.rodata,"a",@progbits
	.p2align	6, 0x0
	.amdhsa_kernel _ZL37rocblas_syrkx_herkx_restricted_kernelIi19rocblas_complex_numIfELi16ELi32ELi8ELb0ELb1ELc78ELc85EKS1_S1_EviT_T0_PT8_S3_lS6_S3_lS4_PT9_S3_li
		.amdhsa_group_segment_fixed_size 4096
		.amdhsa_private_segment_fixed_size 0
		.amdhsa_kernarg_size 100
		.amdhsa_user_sgpr_count 13
		.amdhsa_user_sgpr_dispatch_ptr 0
		.amdhsa_user_sgpr_queue_ptr 0
		.amdhsa_user_sgpr_kernarg_segment_ptr 1
		.amdhsa_user_sgpr_dispatch_id 0
		.amdhsa_user_sgpr_private_segment_size 0
		.amdhsa_wavefront_size32 1
		.amdhsa_uses_dynamic_stack 0
		.amdhsa_enable_private_segment 0
		.amdhsa_system_sgpr_workgroup_id_x 1
		.amdhsa_system_sgpr_workgroup_id_y 1
		.amdhsa_system_sgpr_workgroup_id_z 1
		.amdhsa_system_sgpr_workgroup_info 0
		.amdhsa_system_vgpr_workitem_id 1
		.amdhsa_next_free_vgpr 92
		.amdhsa_next_free_sgpr 27
		.amdhsa_reserve_vcc 1
		.amdhsa_float_round_mode_32 0
		.amdhsa_float_round_mode_16_64 0
		.amdhsa_float_denorm_mode_32 3
		.amdhsa_float_denorm_mode_16_64 3
		.amdhsa_dx10_clamp 1
		.amdhsa_ieee_mode 1
		.amdhsa_fp16_overflow 0
		.amdhsa_workgroup_processor_mode 1
		.amdhsa_memory_ordered 1
		.amdhsa_forward_progress 0
		.amdhsa_shared_vgpr_count 0
		.amdhsa_exception_fp_ieee_invalid_op 0
		.amdhsa_exception_fp_denorm_src 0
		.amdhsa_exception_fp_ieee_div_zero 0
		.amdhsa_exception_fp_ieee_overflow 0
		.amdhsa_exception_fp_ieee_underflow 0
		.amdhsa_exception_fp_ieee_inexact 0
		.amdhsa_exception_int_div_zero 0
	.end_amdhsa_kernel
	.section	.text._ZL37rocblas_syrkx_herkx_restricted_kernelIi19rocblas_complex_numIfELi16ELi32ELi8ELb0ELb1ELc78ELc85EKS1_S1_EviT_T0_PT8_S3_lS6_S3_lS4_PT9_S3_li,"axG",@progbits,_ZL37rocblas_syrkx_herkx_restricted_kernelIi19rocblas_complex_numIfELi16ELi32ELi8ELb0ELb1ELc78ELc85EKS1_S1_EviT_T0_PT8_S3_lS6_S3_lS4_PT9_S3_li,comdat
.Lfunc_end345:
	.size	_ZL37rocblas_syrkx_herkx_restricted_kernelIi19rocblas_complex_numIfELi16ELi32ELi8ELb0ELb1ELc78ELc85EKS1_S1_EviT_T0_PT8_S3_lS6_S3_lS4_PT9_S3_li, .Lfunc_end345-_ZL37rocblas_syrkx_herkx_restricted_kernelIi19rocblas_complex_numIfELi16ELi32ELi8ELb0ELb1ELc78ELc85EKS1_S1_EviT_T0_PT8_S3_lS6_S3_lS4_PT9_S3_li
                                        ; -- End function
	.section	.AMDGPU.csdata,"",@progbits
; Kernel info:
; codeLenInByte = 2464
; NumSgprs: 29
; NumVgprs: 92
; ScratchSize: 0
; MemoryBound: 0
; FloatMode: 240
; IeeeMode: 1
; LDSByteSize: 4096 bytes/workgroup (compile time only)
; SGPRBlocks: 3
; VGPRBlocks: 11
; NumSGPRsForWavesPerEU: 29
; NumVGPRsForWavesPerEU: 92
; Occupancy: 16
; WaveLimiterHint : 0
; COMPUTE_PGM_RSRC2:SCRATCH_EN: 0
; COMPUTE_PGM_RSRC2:USER_SGPR: 13
; COMPUTE_PGM_RSRC2:TRAP_HANDLER: 0
; COMPUTE_PGM_RSRC2:TGID_X_EN: 1
; COMPUTE_PGM_RSRC2:TGID_Y_EN: 1
; COMPUTE_PGM_RSRC2:TGID_Z_EN: 1
; COMPUTE_PGM_RSRC2:TIDIG_COMP_CNT: 1
	.section	.text._ZL41rocblas_syrkx_herkx_small_restrict_kernelIi19rocblas_complex_numIfELi16ELb1ELb1ELc84ELc76EKS1_S1_EviT_T0_PT6_S3_lS6_S3_lS4_PT7_S3_li,"axG",@progbits,_ZL41rocblas_syrkx_herkx_small_restrict_kernelIi19rocblas_complex_numIfELi16ELb1ELb1ELc84ELc76EKS1_S1_EviT_T0_PT6_S3_lS6_S3_lS4_PT7_S3_li,comdat
	.globl	_ZL41rocblas_syrkx_herkx_small_restrict_kernelIi19rocblas_complex_numIfELi16ELb1ELb1ELc84ELc76EKS1_S1_EviT_T0_PT6_S3_lS6_S3_lS4_PT7_S3_li ; -- Begin function _ZL41rocblas_syrkx_herkx_small_restrict_kernelIi19rocblas_complex_numIfELi16ELb1ELb1ELc84ELc76EKS1_S1_EviT_T0_PT6_S3_lS6_S3_lS4_PT7_S3_li
	.p2align	8
	.type	_ZL41rocblas_syrkx_herkx_small_restrict_kernelIi19rocblas_complex_numIfELi16ELb1ELb1ELc84ELc76EKS1_S1_EviT_T0_PT6_S3_lS6_S3_lS4_PT7_S3_li,@function
_ZL41rocblas_syrkx_herkx_small_restrict_kernelIi19rocblas_complex_numIfELi16ELb1ELb1ELc84ELc76EKS1_S1_EviT_T0_PT6_S3_lS6_S3_lS4_PT7_S3_li: ; @_ZL41rocblas_syrkx_herkx_small_restrict_kernelIi19rocblas_complex_numIfELi16ELb1ELb1ELc84ELc76EKS1_S1_EviT_T0_PT6_S3_lS6_S3_lS4_PT7_S3_li
; %bb.0:
	s_clause 0x1
	s_load_b32 s2, s[0:1], 0x4
	s_load_b128 s[4:7], s[0:1], 0x8
	v_dual_mov_b32 v11, 0 :: v_dual_and_b32 v2, 0x3ff, v0
	v_bfe_u32 v1, v0, 10, 10
	v_mov_b32_e32 v10, 0
	s_mov_b32 s3, 0
	s_delay_alu instid0(VALU_DEP_3) | instskip(NEXT) | instid1(VALU_DEP_3)
	v_lshl_add_u32 v0, s13, 4, v2
	v_lshl_add_u32 v5, s14, 4, v1
	s_waitcnt lgkmcnt(0)
	s_cmp_lt_i32 s2, 1
	s_cbranch_scc1 .LBB346_3
; %bb.1:
	s_clause 0x3
	s_load_b32 s14, s[0:1], 0x30
	s_load_b64 s[12:13], s[0:1], 0x38
	s_load_b32 s16, s[0:1], 0x18
	s_load_b128 s[8:11], s[0:1], 0x20
	v_lshlrev_b32_e32 v3, 7, v1
	v_dual_mov_b32 v11, 0 :: v_dual_lshlrev_b32 v6, 3, v2
	v_lshlrev_b32_e32 v10, 3, v1
	s_delay_alu instid0(VALU_DEP_3) | instskip(NEXT) | instid1(VALU_DEP_3)
	v_add_nc_u32_e32 v7, 0x800, v3
	v_add_nc_u32_e32 v8, v6, v3
	s_delay_alu instid0(VALU_DEP_2)
	v_add_nc_u32_e32 v9, v7, v6
	s_waitcnt lgkmcnt(0)
	v_mad_i64_i32 v[1:2], null, s14, v5, 0
	v_mad_i64_i32 v[3:4], null, s16, v0, 0
	s_mul_i32 s13, s13, s15
	s_mul_hi_u32 s14, s12, s15
	s_mul_i32 s12, s12, s15
	s_add_i32 s13, s14, s13
	s_delay_alu instid0(VALU_DEP_2)
	v_lshlrev_b64 v[1:2], 3, v[1:2]
	s_mul_i32 s9, s9, s15
	s_mul_hi_u32 s16, s8, s15
	v_lshlrev_b64 v[3:4], 3, v[3:4]
	s_lshl_b64 s[12:13], s[12:13], 3
	s_mul_i32 s8, s8, s15
	s_add_i32 s9, s16, s9
	v_add_co_u32 v1, vcc_lo, v1, s12
	s_lshl_b64 s[8:9], s[8:9], 3
	v_add_co_ci_u32_e32 v2, vcc_lo, s13, v2, vcc_lo
	v_add_co_u32 v3, vcc_lo, v3, s8
	v_add_co_ci_u32_e32 v4, vcc_lo, s9, v4, vcc_lo
	v_add_co_u32 v1, vcc_lo, v1, v6
	s_delay_alu instid0(VALU_DEP_4) | instskip(NEXT) | instid1(VALU_DEP_4)
	v_add_co_ci_u32_e32 v2, vcc_lo, 0, v2, vcc_lo
	v_add_co_u32 v3, vcc_lo, v3, v10
	s_delay_alu instid0(VALU_DEP_4) | instskip(NEXT) | instid1(VALU_DEP_4)
	;; [unrolled: 3-line block ×3, first 2 shown]
	v_add_co_ci_u32_e32 v2, vcc_lo, s11, v2, vcc_lo
	v_add_co_u32 v3, vcc_lo, s6, v3
	s_delay_alu instid0(VALU_DEP_4)
	v_add_co_ci_u32_e32 v4, vcc_lo, s7, v4, vcc_lo
	v_mov_b32_e32 v10, 0
.LBB346_2:                              ; =>This Inner Loop Header: Depth=1
	global_load_b64 v[12:13], v[3:4], off
	global_load_b64 v[14:15], v[1:2], off
	v_add_co_u32 v1, vcc_lo, 0x80, v1
	v_add_co_ci_u32_e32 v2, vcc_lo, 0, v2, vcc_lo
	v_add_co_u32 v3, vcc_lo, 0x80, v3
	v_add_co_ci_u32_e32 v4, vcc_lo, 0, v4, vcc_lo
	s_add_i32 s3, s3, 16
	s_waitcnt vmcnt(1)
	ds_store_b64 v8, v[12:13]
	s_waitcnt vmcnt(0)
	ds_store_b64 v9, v[14:15]
	s_waitcnt lgkmcnt(0)
	s_barrier
	buffer_gl0_inv
	ds_load_2addr_b64 v[12:15], v6 offset1:16
	ds_load_b128 v[16:19], v7
	ds_load_b128 v[20:23], v7 offset:16
	ds_load_2addr_b64 v[24:27], v6 offset0:32 offset1:48
	ds_load_2addr_b64 v[28:31], v6 offset0:64 offset1:80
	ds_load_b128 v[32:35], v7 offset:32
	ds_load_b128 v[36:39], v7 offset:48
	ds_load_2addr_b64 v[40:43], v6 offset0:96 offset1:112
	ds_load_2addr_b64 v[44:47], v6 offset0:128 offset1:144
	;; [unrolled: 1-line block ×3, first 2 shown]
	ds_load_b128 v[52:55], v7 offset:64
	ds_load_b128 v[56:59], v7 offset:80
	ds_load_2addr_b64 v[60:63], v6 offset0:192 offset1:208
	ds_load_2addr_b64 v[64:67], v6 offset0:224 offset1:240
	ds_load_b128 v[68:71], v7 offset:96
	ds_load_b128 v[72:75], v7 offset:112
	s_cmp_lt_i32 s3, s2
	s_waitcnt lgkmcnt(0)
	s_barrier
	buffer_gl0_inv
	v_dual_mul_f32 v76, v17, v13 :: v_dual_mul_f32 v77, v19, v15
	v_mul_f32_e32 v13, v16, v13
	v_dual_mul_f32 v15, v18, v15 :: v_dual_mul_f32 v78, v21, v25
	v_mul_f32_e32 v25, v20, v25
	v_dual_mul_f32 v79, v23, v27 :: v_dual_mul_f32 v80, v33, v29
	v_fma_f32 v16, v16, v12, -v76
	v_mul_f32_e32 v29, v32, v29
	s_delay_alu instid0(VALU_DEP_4) | instskip(NEXT) | instid1(VALU_DEP_4)
	v_fmac_f32_e32 v25, v21, v24
	v_fma_f32 v21, v22, v26, -v79
	v_fmac_f32_e32 v13, v17, v12
	v_fma_f32 v12, v18, v14, -v77
	v_add_f32_e32 v10, v10, v16
	v_dual_mul_f32 v27, v22, v27 :: v_dual_mul_f32 v82, v37, v41
	v_mul_f32_e32 v41, v36, v41
	v_fma_f32 v20, v20, v24, -v78
	s_delay_alu instid0(VALU_DEP_4) | instskip(SKIP_2) | instid1(VALU_DEP_3)
	v_dual_add_f32 v10, v10, v12 :: v_dual_fmac_f32 v15, v19, v14
	v_dual_mul_f32 v81, v35, v31 :: v_dual_mul_f32 v84, v53, v45
	v_dual_mul_f32 v83, v39, v43 :: v_dual_mul_f32 v16, v72, v65
	v_add_f32_e32 v10, v10, v20
	v_fma_f32 v20, v32, v28, -v80
	v_mul_f32_e32 v14, v55, v47
	v_mul_f32_e32 v17, v54, v47
	v_dual_mul_f32 v31, v34, v31 :: v_dual_mul_f32 v18, v57, v49
	v_add_f32_e32 v10, v10, v21
	v_mul_f32_e32 v19, v56, v49
	v_fma_f32 v21, v34, v30, -v81
	v_mul_f32_e32 v49, v58, v51
	v_fma_f32 v14, v54, v46, -v14
	v_dual_add_f32 v10, v10, v20 :: v_dual_mul_f32 v47, v59, v51
	v_fma_f32 v20, v36, v40, -v82
	v_fma_f32 v18, v56, v48, -v18
	v_mul_f32_e32 v22, v71, v63
	s_delay_alu instid0(VALU_DEP_4) | instskip(SKIP_3) | instid1(VALU_DEP_4)
	v_add_f32_e32 v10, v10, v21
	v_mul_f32_e32 v51, v69, v61
	v_fma_f32 v21, v38, v42, -v83
	v_dual_mul_f32 v45, v52, v45 :: v_dual_mul_f32 v12, v75, v67
	v_add_f32_e32 v10, v10, v20
	v_fma_f32 v20, v52, v44, -v84
	v_fmac_f32_e32 v31, v35, v30
	v_dual_mul_f32 v43, v38, v43 :: v_dual_fmac_f32 v16, v73, v64
	s_delay_alu instid0(VALU_DEP_4) | instskip(SKIP_3) | instid1(VALU_DEP_4)
	v_add_f32_e32 v10, v10, v21
	v_mul_f32_e32 v61, v68, v61
	v_fma_f32 v12, v74, v66, -v12
	v_fmac_f32_e32 v41, v37, v40
	v_dual_fmac_f32 v43, v39, v42 :: v_dual_add_f32 v10, v10, v20
	v_add_f32_e32 v11, v11, v13
	v_fmac_f32_e32 v45, v53, v44
	v_fmac_f32_e32 v17, v55, v46
	s_delay_alu instid0(VALU_DEP_4) | instskip(SKIP_3) | instid1(VALU_DEP_4)
	v_dual_fmac_f32 v19, v57, v48 :: v_dual_add_f32 v10, v10, v14
	v_mul_f32_e32 v13, v73, v65
	v_fma_f32 v14, v58, v50, -v47
	v_fmac_f32_e32 v49, v59, v50
	v_dual_fmac_f32 v61, v69, v60 :: v_dual_add_f32 v10, v10, v18
	v_add_f32_e32 v11, v11, v15
	v_fma_f32 v13, v72, v64, -v13
	v_fmac_f32_e32 v29, v33, v28
	v_mul_f32_e32 v15, v74, v67
	v_add_f32_e32 v10, v10, v14
	v_fmac_f32_e32 v27, v23, v26
	v_fma_f32 v14, v70, v62, -v22
	v_add_f32_e32 v11, v11, v25
	v_mul_f32_e32 v23, v70, v63
	v_fmac_f32_e32 v15, v75, v66
	s_delay_alu instid0(VALU_DEP_3) | instskip(NEXT) | instid1(VALU_DEP_3)
	v_add_f32_e32 v11, v11, v27
	v_fmac_f32_e32 v23, v71, v62
	s_delay_alu instid0(VALU_DEP_2) | instskip(NEXT) | instid1(VALU_DEP_1)
	v_add_f32_e32 v11, v11, v29
	v_add_f32_e32 v11, v11, v31
	s_delay_alu instid0(VALU_DEP_1) | instskip(NEXT) | instid1(VALU_DEP_1)
	v_add_f32_e32 v11, v11, v41
	v_add_f32_e32 v11, v11, v43
	s_delay_alu instid0(VALU_DEP_1) | instskip(NEXT) | instid1(VALU_DEP_1)
	v_add_f32_e32 v11, v11, v45
	v_add_f32_e32 v11, v11, v17
	v_fma_f32 v17, v68, v60, -v51
	s_delay_alu instid0(VALU_DEP_1) | instskip(NEXT) | instid1(VALU_DEP_1)
	v_dual_add_f32 v11, v11, v19 :: v_dual_add_f32 v10, v10, v17
	v_dual_add_f32 v11, v11, v49 :: v_dual_add_f32 v10, v10, v14
	s_delay_alu instid0(VALU_DEP_1) | instskip(NEXT) | instid1(VALU_DEP_1)
	v_add_f32_e32 v11, v11, v61
	v_dual_add_f32 v10, v10, v13 :: v_dual_add_f32 v11, v11, v23
	s_delay_alu instid0(VALU_DEP_1) | instskip(NEXT) | instid1(VALU_DEP_2)
	v_add_f32_e32 v10, v10, v12
	v_add_f32_e32 v11, v11, v16
	s_delay_alu instid0(VALU_DEP_1)
	v_add_f32_e32 v11, v11, v15
	s_cbranch_scc1 .LBB346_2
.LBB346_3:
	s_mov_b32 s2, exec_lo
	v_cmpx_le_i32_e64 v5, v0
	s_cbranch_execz .LBB346_6
; %bb.4:
	s_clause 0x2
	s_load_b32 s6, s[0:1], 0x50
	s_load_b64 s[2:3], s[0:1], 0x58
	s_load_b64 s[0:1], s[0:1], 0x48
	v_mul_f32_e32 v7, s4, v11
	v_mul_f32_e32 v4, s5, v11
	v_ashrrev_i32_e32 v1, 31, v0
	s_delay_alu instid0(VALU_DEP_3) | instskip(NEXT) | instid1(VALU_DEP_3)
	v_fmac_f32_e32 v7, s5, v10
	v_fma_f32 v6, v10, s4, -v4
	s_delay_alu instid0(VALU_DEP_3)
	v_lshlrev_b64 v[8:9], 3, v[0:1]
	s_waitcnt lgkmcnt(0)
	v_mad_i64_i32 v[2:3], null, s6, v5, 0
	s_mul_i32 s3, s15, s3
	s_mul_hi_u32 s4, s15, s2
	s_mul_i32 s2, s15, s2
	s_add_i32 s3, s4, s3
	s_delay_alu instid0(SALU_CYCLE_1) | instskip(NEXT) | instid1(VALU_DEP_1)
	s_lshl_b64 s[2:3], s[2:3], 3
	v_lshlrev_b64 v[2:3], 3, v[2:3]
	s_add_u32 s0, s0, s2
	s_addc_u32 s1, s1, s3
	s_delay_alu instid0(VALU_DEP_1) | instskip(NEXT) | instid1(VALU_DEP_2)
	v_add_co_u32 v1, vcc_lo, s0, v2
	v_add_co_ci_u32_e32 v2, vcc_lo, s1, v3, vcc_lo
	s_delay_alu instid0(VALU_DEP_2) | instskip(NEXT) | instid1(VALU_DEP_2)
	v_add_co_u32 v1, vcc_lo, v1, v8
	v_add_co_ci_u32_e32 v2, vcc_lo, v2, v9, vcc_lo
	v_cmp_eq_u32_e32 vcc_lo, v0, v5
	global_store_b64 v[1:2], v[6:7], off
	s_and_b32 exec_lo, exec_lo, vcc_lo
	s_cbranch_execz .LBB346_6
; %bb.5:
	v_mov_b32_e32 v0, 0
	global_store_b32 v[1:2], v0, off offset:4
.LBB346_6:
	s_nop 0
	s_sendmsg sendmsg(MSG_DEALLOC_VGPRS)
	s_endpgm
	.section	.rodata,"a",@progbits
	.p2align	6, 0x0
	.amdhsa_kernel _ZL41rocblas_syrkx_herkx_small_restrict_kernelIi19rocblas_complex_numIfELi16ELb1ELb1ELc84ELc76EKS1_S1_EviT_T0_PT6_S3_lS6_S3_lS4_PT7_S3_li
		.amdhsa_group_segment_fixed_size 4096
		.amdhsa_private_segment_fixed_size 0
		.amdhsa_kernarg_size 100
		.amdhsa_user_sgpr_count 13
		.amdhsa_user_sgpr_dispatch_ptr 0
		.amdhsa_user_sgpr_queue_ptr 0
		.amdhsa_user_sgpr_kernarg_segment_ptr 1
		.amdhsa_user_sgpr_dispatch_id 0
		.amdhsa_user_sgpr_private_segment_size 0
		.amdhsa_wavefront_size32 1
		.amdhsa_uses_dynamic_stack 0
		.amdhsa_enable_private_segment 0
		.amdhsa_system_sgpr_workgroup_id_x 1
		.amdhsa_system_sgpr_workgroup_id_y 1
		.amdhsa_system_sgpr_workgroup_id_z 1
		.amdhsa_system_sgpr_workgroup_info 0
		.amdhsa_system_vgpr_workitem_id 1
		.amdhsa_next_free_vgpr 85
		.amdhsa_next_free_sgpr 17
		.amdhsa_reserve_vcc 1
		.amdhsa_float_round_mode_32 0
		.amdhsa_float_round_mode_16_64 0
		.amdhsa_float_denorm_mode_32 3
		.amdhsa_float_denorm_mode_16_64 3
		.amdhsa_dx10_clamp 1
		.amdhsa_ieee_mode 1
		.amdhsa_fp16_overflow 0
		.amdhsa_workgroup_processor_mode 1
		.amdhsa_memory_ordered 1
		.amdhsa_forward_progress 0
		.amdhsa_shared_vgpr_count 0
		.amdhsa_exception_fp_ieee_invalid_op 0
		.amdhsa_exception_fp_denorm_src 0
		.amdhsa_exception_fp_ieee_div_zero 0
		.amdhsa_exception_fp_ieee_overflow 0
		.amdhsa_exception_fp_ieee_underflow 0
		.amdhsa_exception_fp_ieee_inexact 0
		.amdhsa_exception_int_div_zero 0
	.end_amdhsa_kernel
	.section	.text._ZL41rocblas_syrkx_herkx_small_restrict_kernelIi19rocblas_complex_numIfELi16ELb1ELb1ELc84ELc76EKS1_S1_EviT_T0_PT6_S3_lS6_S3_lS4_PT7_S3_li,"axG",@progbits,_ZL41rocblas_syrkx_herkx_small_restrict_kernelIi19rocblas_complex_numIfELi16ELb1ELb1ELc84ELc76EKS1_S1_EviT_T0_PT6_S3_lS6_S3_lS4_PT7_S3_li,comdat
.Lfunc_end346:
	.size	_ZL41rocblas_syrkx_herkx_small_restrict_kernelIi19rocblas_complex_numIfELi16ELb1ELb1ELc84ELc76EKS1_S1_EviT_T0_PT6_S3_lS6_S3_lS4_PT7_S3_li, .Lfunc_end346-_ZL41rocblas_syrkx_herkx_small_restrict_kernelIi19rocblas_complex_numIfELi16ELb1ELb1ELc84ELc76EKS1_S1_EviT_T0_PT6_S3_lS6_S3_lS4_PT7_S3_li
                                        ; -- End function
	.section	.AMDGPU.csdata,"",@progbits
; Kernel info:
; codeLenInByte = 1284
; NumSgprs: 19
; NumVgprs: 85
; ScratchSize: 0
; MemoryBound: 0
; FloatMode: 240
; IeeeMode: 1
; LDSByteSize: 4096 bytes/workgroup (compile time only)
; SGPRBlocks: 2
; VGPRBlocks: 10
; NumSGPRsForWavesPerEU: 19
; NumVGPRsForWavesPerEU: 85
; Occupancy: 16
; WaveLimiterHint : 0
; COMPUTE_PGM_RSRC2:SCRATCH_EN: 0
; COMPUTE_PGM_RSRC2:USER_SGPR: 13
; COMPUTE_PGM_RSRC2:TRAP_HANDLER: 0
; COMPUTE_PGM_RSRC2:TGID_X_EN: 1
; COMPUTE_PGM_RSRC2:TGID_Y_EN: 1
; COMPUTE_PGM_RSRC2:TGID_Z_EN: 1
; COMPUTE_PGM_RSRC2:TIDIG_COMP_CNT: 1
	.section	.text._ZL41rocblas_syrkx_herkx_small_restrict_kernelIi19rocblas_complex_numIfELi16ELb1ELb1ELc67ELc76EKS1_S1_EviT_T0_PT6_S3_lS6_S3_lS4_PT7_S3_li,"axG",@progbits,_ZL41rocblas_syrkx_herkx_small_restrict_kernelIi19rocblas_complex_numIfELi16ELb1ELb1ELc67ELc76EKS1_S1_EviT_T0_PT6_S3_lS6_S3_lS4_PT7_S3_li,comdat
	.globl	_ZL41rocblas_syrkx_herkx_small_restrict_kernelIi19rocblas_complex_numIfELi16ELb1ELb1ELc67ELc76EKS1_S1_EviT_T0_PT6_S3_lS6_S3_lS4_PT7_S3_li ; -- Begin function _ZL41rocblas_syrkx_herkx_small_restrict_kernelIi19rocblas_complex_numIfELi16ELb1ELb1ELc67ELc76EKS1_S1_EviT_T0_PT6_S3_lS6_S3_lS4_PT7_S3_li
	.p2align	8
	.type	_ZL41rocblas_syrkx_herkx_small_restrict_kernelIi19rocblas_complex_numIfELi16ELb1ELb1ELc67ELc76EKS1_S1_EviT_T0_PT6_S3_lS6_S3_lS4_PT7_S3_li,@function
_ZL41rocblas_syrkx_herkx_small_restrict_kernelIi19rocblas_complex_numIfELi16ELb1ELb1ELc67ELc76EKS1_S1_EviT_T0_PT6_S3_lS6_S3_lS4_PT7_S3_li: ; @_ZL41rocblas_syrkx_herkx_small_restrict_kernelIi19rocblas_complex_numIfELi16ELb1ELb1ELc67ELc76EKS1_S1_EviT_T0_PT6_S3_lS6_S3_lS4_PT7_S3_li
; %bb.0:
	s_clause 0x1
	s_load_b32 s2, s[0:1], 0x4
	s_load_b128 s[4:7], s[0:1], 0x8
	v_dual_mov_b32 v11, 0 :: v_dual_and_b32 v2, 0x3ff, v0
	v_bfe_u32 v1, v0, 10, 10
	v_mov_b32_e32 v10, 0
	s_mov_b32 s3, 0
	s_delay_alu instid0(VALU_DEP_3) | instskip(NEXT) | instid1(VALU_DEP_3)
	v_lshl_add_u32 v0, s13, 4, v2
	v_lshl_add_u32 v5, s14, 4, v1
	s_waitcnt lgkmcnt(0)
	s_cmp_lt_i32 s2, 1
	s_cbranch_scc1 .LBB347_3
; %bb.1:
	s_clause 0x3
	s_load_b32 s14, s[0:1], 0x30
	s_load_b32 s16, s[0:1], 0x18
	s_load_b64 s[12:13], s[0:1], 0x38
	s_load_b128 s[8:11], s[0:1], 0x20
	v_lshlrev_b32_e32 v3, 7, v1
	v_dual_mov_b32 v11, 0 :: v_dual_lshlrev_b32 v6, 3, v2
	v_lshlrev_b32_e32 v10, 3, v1
	s_delay_alu instid0(VALU_DEP_3) | instskip(NEXT) | instid1(VALU_DEP_3)
	v_add_nc_u32_e32 v7, 0x800, v3
	v_add_nc_u32_e32 v8, v6, v3
	s_delay_alu instid0(VALU_DEP_2)
	v_add_nc_u32_e32 v9, v7, v6
	s_waitcnt lgkmcnt(0)
	v_mad_i64_i32 v[1:2], null, s14, v5, 0
	v_mad_i64_i32 v[3:4], null, s16, v0, 0
	s_mul_i32 s9, s9, s15
	s_mul_hi_u32 s16, s8, s15
	s_mul_i32 s8, s8, s15
	s_add_i32 s9, s16, s9
	s_mul_i32 s13, s13, s15
	s_mul_hi_u32 s14, s12, s15
	s_delay_alu instid0(VALU_DEP_1) | instskip(SKIP_4) | instid1(VALU_DEP_2)
	v_lshlrev_b64 v[3:4], 3, v[3:4]
	v_lshlrev_b64 v[1:2], 3, v[1:2]
	s_lshl_b64 s[8:9], s[8:9], 3
	s_mul_i32 s12, s12, s15
	s_add_i32 s13, s14, s13
	v_add_co_u32 v3, vcc_lo, v3, s8
	s_lshl_b64 s[12:13], s[12:13], 3
	v_add_co_ci_u32_e32 v4, vcc_lo, s9, v4, vcc_lo
	v_add_co_u32 v1, vcc_lo, v1, s12
	v_add_co_ci_u32_e32 v2, vcc_lo, s13, v2, vcc_lo
	v_add_co_u32 v3, vcc_lo, v3, v10
	s_delay_alu instid0(VALU_DEP_4) | instskip(NEXT) | instid1(VALU_DEP_4)
	v_add_co_ci_u32_e32 v4, vcc_lo, 0, v4, vcc_lo
	v_add_co_u32 v1, vcc_lo, v1, v6
	s_delay_alu instid0(VALU_DEP_4) | instskip(NEXT) | instid1(VALU_DEP_4)
	;; [unrolled: 3-line block ×4, first 2 shown]
	v_add_co_ci_u32_e32 v2, vcc_lo, s11, v2, vcc_lo
	v_add_co_u32 v3, vcc_lo, v3, 4
	s_delay_alu instid0(VALU_DEP_4)
	v_add_co_ci_u32_e32 v4, vcc_lo, 0, v4, vcc_lo
	v_mov_b32_e32 v10, 0
.LBB347_2:                              ; =>This Inner Loop Header: Depth=1
	global_load_b64 v[12:13], v[3:4], off offset:-4
	global_load_b64 v[14:15], v[1:2], off
	v_add_co_u32 v1, vcc_lo, 0x80, v1
	v_add_co_ci_u32_e32 v2, vcc_lo, 0, v2, vcc_lo
	v_add_co_u32 v3, vcc_lo, 0x80, v3
	v_add_co_ci_u32_e32 v4, vcc_lo, 0, v4, vcc_lo
	s_add_i32 s3, s3, 16
	s_delay_alu instid0(SALU_CYCLE_1)
	s_cmp_lt_i32 s3, s2
	s_waitcnt vmcnt(1)
	v_xor_b32_e32 v13, 0x80000000, v13
	ds_store_b64 v8, v[12:13]
	s_waitcnt vmcnt(0)
	ds_store_b64 v9, v[14:15]
	s_waitcnt lgkmcnt(0)
	s_barrier
	buffer_gl0_inv
	ds_load_2addr_b64 v[12:15], v6 offset1:16
	ds_load_b128 v[16:19], v7
	ds_load_b128 v[20:23], v7 offset:16
	ds_load_2addr_b64 v[24:27], v6 offset0:32 offset1:48
	ds_load_2addr_b64 v[28:31], v6 offset0:64 offset1:80
	ds_load_b128 v[32:35], v7 offset:32
	ds_load_b128 v[36:39], v7 offset:48
	ds_load_2addr_b64 v[40:43], v6 offset0:96 offset1:112
	ds_load_2addr_b64 v[44:47], v6 offset0:128 offset1:144
	;; [unrolled: 1-line block ×3, first 2 shown]
	ds_load_b128 v[52:55], v7 offset:64
	ds_load_b128 v[56:59], v7 offset:80
	ds_load_2addr_b64 v[60:63], v6 offset0:192 offset1:208
	ds_load_2addr_b64 v[64:67], v6 offset0:224 offset1:240
	ds_load_b128 v[68:71], v7 offset:96
	ds_load_b128 v[72:75], v7 offset:112
	s_waitcnt lgkmcnt(0)
	s_barrier
	buffer_gl0_inv
	v_dual_mul_f32 v76, v17, v13 :: v_dual_mul_f32 v77, v19, v15
	v_mul_f32_e32 v13, v16, v13
	v_dual_mul_f32 v15, v18, v15 :: v_dual_mul_f32 v78, v21, v25
	v_mul_f32_e32 v25, v20, v25
	v_dual_mul_f32 v79, v23, v27 :: v_dual_mul_f32 v80, v33, v29
	v_fma_f32 v16, v16, v12, -v76
	v_mul_f32_e32 v29, v32, v29
	s_delay_alu instid0(VALU_DEP_4) | instskip(NEXT) | instid1(VALU_DEP_4)
	v_fmac_f32_e32 v25, v21, v24
	v_fma_f32 v21, v22, v26, -v79
	v_fmac_f32_e32 v13, v17, v12
	v_fma_f32 v12, v18, v14, -v77
	v_add_f32_e32 v10, v10, v16
	v_dual_mul_f32 v27, v22, v27 :: v_dual_mul_f32 v82, v37, v41
	v_mul_f32_e32 v41, v36, v41
	v_fma_f32 v20, v20, v24, -v78
	s_delay_alu instid0(VALU_DEP_4) | instskip(SKIP_2) | instid1(VALU_DEP_3)
	v_dual_add_f32 v10, v10, v12 :: v_dual_fmac_f32 v15, v19, v14
	v_dual_mul_f32 v81, v35, v31 :: v_dual_mul_f32 v84, v53, v45
	v_dual_mul_f32 v83, v39, v43 :: v_dual_mul_f32 v16, v72, v65
	v_add_f32_e32 v10, v10, v20
	v_fma_f32 v20, v32, v28, -v80
	v_mul_f32_e32 v14, v55, v47
	v_mul_f32_e32 v17, v54, v47
	v_dual_mul_f32 v31, v34, v31 :: v_dual_mul_f32 v18, v57, v49
	v_add_f32_e32 v10, v10, v21
	v_mul_f32_e32 v19, v56, v49
	v_fma_f32 v21, v34, v30, -v81
	v_mul_f32_e32 v49, v58, v51
	v_fma_f32 v14, v54, v46, -v14
	v_dual_add_f32 v10, v10, v20 :: v_dual_mul_f32 v47, v59, v51
	v_fma_f32 v20, v36, v40, -v82
	v_fma_f32 v18, v56, v48, -v18
	v_mul_f32_e32 v22, v71, v63
	s_delay_alu instid0(VALU_DEP_4) | instskip(SKIP_3) | instid1(VALU_DEP_4)
	v_add_f32_e32 v10, v10, v21
	v_mul_f32_e32 v51, v69, v61
	v_fma_f32 v21, v38, v42, -v83
	v_dual_mul_f32 v45, v52, v45 :: v_dual_mul_f32 v12, v75, v67
	v_add_f32_e32 v10, v10, v20
	v_fma_f32 v20, v52, v44, -v84
	v_fmac_f32_e32 v31, v35, v30
	v_dual_mul_f32 v43, v38, v43 :: v_dual_fmac_f32 v16, v73, v64
	s_delay_alu instid0(VALU_DEP_4) | instskip(SKIP_3) | instid1(VALU_DEP_4)
	v_add_f32_e32 v10, v10, v21
	v_mul_f32_e32 v61, v68, v61
	v_fma_f32 v12, v74, v66, -v12
	v_fmac_f32_e32 v41, v37, v40
	v_dual_fmac_f32 v43, v39, v42 :: v_dual_add_f32 v10, v10, v20
	v_add_f32_e32 v11, v11, v13
	v_fmac_f32_e32 v45, v53, v44
	v_fmac_f32_e32 v17, v55, v46
	s_delay_alu instid0(VALU_DEP_4) | instskip(SKIP_3) | instid1(VALU_DEP_4)
	v_dual_fmac_f32 v19, v57, v48 :: v_dual_add_f32 v10, v10, v14
	v_mul_f32_e32 v13, v73, v65
	v_fma_f32 v14, v58, v50, -v47
	v_fmac_f32_e32 v49, v59, v50
	v_dual_fmac_f32 v61, v69, v60 :: v_dual_add_f32 v10, v10, v18
	v_add_f32_e32 v11, v11, v15
	v_fma_f32 v13, v72, v64, -v13
	v_fmac_f32_e32 v29, v33, v28
	v_mul_f32_e32 v15, v74, v67
	v_add_f32_e32 v10, v10, v14
	v_fmac_f32_e32 v27, v23, v26
	v_fma_f32 v14, v70, v62, -v22
	v_add_f32_e32 v11, v11, v25
	v_mul_f32_e32 v23, v70, v63
	v_fmac_f32_e32 v15, v75, v66
	s_delay_alu instid0(VALU_DEP_3) | instskip(NEXT) | instid1(VALU_DEP_3)
	v_add_f32_e32 v11, v11, v27
	v_fmac_f32_e32 v23, v71, v62
	s_delay_alu instid0(VALU_DEP_2) | instskip(NEXT) | instid1(VALU_DEP_1)
	v_add_f32_e32 v11, v11, v29
	v_add_f32_e32 v11, v11, v31
	s_delay_alu instid0(VALU_DEP_1) | instskip(NEXT) | instid1(VALU_DEP_1)
	v_add_f32_e32 v11, v11, v41
	v_add_f32_e32 v11, v11, v43
	s_delay_alu instid0(VALU_DEP_1) | instskip(NEXT) | instid1(VALU_DEP_1)
	v_add_f32_e32 v11, v11, v45
	v_add_f32_e32 v11, v11, v17
	v_fma_f32 v17, v68, v60, -v51
	s_delay_alu instid0(VALU_DEP_1) | instskip(NEXT) | instid1(VALU_DEP_1)
	v_dual_add_f32 v11, v11, v19 :: v_dual_add_f32 v10, v10, v17
	v_dual_add_f32 v11, v11, v49 :: v_dual_add_f32 v10, v10, v14
	s_delay_alu instid0(VALU_DEP_1) | instskip(NEXT) | instid1(VALU_DEP_1)
	v_add_f32_e32 v11, v11, v61
	v_dual_add_f32 v10, v10, v13 :: v_dual_add_f32 v11, v11, v23
	s_delay_alu instid0(VALU_DEP_1) | instskip(NEXT) | instid1(VALU_DEP_2)
	v_add_f32_e32 v10, v10, v12
	v_add_f32_e32 v11, v11, v16
	s_delay_alu instid0(VALU_DEP_1)
	v_add_f32_e32 v11, v11, v15
	s_cbranch_scc1 .LBB347_2
.LBB347_3:
	s_mov_b32 s2, exec_lo
	v_cmpx_le_i32_e64 v5, v0
	s_cbranch_execz .LBB347_6
; %bb.4:
	s_clause 0x2
	s_load_b32 s6, s[0:1], 0x50
	s_load_b64 s[2:3], s[0:1], 0x58
	s_load_b64 s[0:1], s[0:1], 0x48
	v_mul_f32_e32 v7, s4, v11
	v_mul_f32_e32 v4, s5, v11
	v_ashrrev_i32_e32 v1, 31, v0
	s_delay_alu instid0(VALU_DEP_3) | instskip(NEXT) | instid1(VALU_DEP_3)
	v_fmac_f32_e32 v7, s5, v10
	v_fma_f32 v6, v10, s4, -v4
	s_delay_alu instid0(VALU_DEP_3)
	v_lshlrev_b64 v[8:9], 3, v[0:1]
	s_waitcnt lgkmcnt(0)
	v_mad_i64_i32 v[2:3], null, s6, v5, 0
	s_mul_i32 s3, s15, s3
	s_mul_hi_u32 s4, s15, s2
	s_mul_i32 s2, s15, s2
	s_add_i32 s3, s4, s3
	s_delay_alu instid0(SALU_CYCLE_1) | instskip(NEXT) | instid1(VALU_DEP_1)
	s_lshl_b64 s[2:3], s[2:3], 3
	v_lshlrev_b64 v[2:3], 3, v[2:3]
	s_add_u32 s0, s0, s2
	s_addc_u32 s1, s1, s3
	s_delay_alu instid0(VALU_DEP_1) | instskip(NEXT) | instid1(VALU_DEP_2)
	v_add_co_u32 v1, vcc_lo, s0, v2
	v_add_co_ci_u32_e32 v2, vcc_lo, s1, v3, vcc_lo
	s_delay_alu instid0(VALU_DEP_2) | instskip(NEXT) | instid1(VALU_DEP_2)
	v_add_co_u32 v1, vcc_lo, v1, v8
	v_add_co_ci_u32_e32 v2, vcc_lo, v2, v9, vcc_lo
	v_cmp_eq_u32_e32 vcc_lo, v0, v5
	global_store_b64 v[1:2], v[6:7], off
	s_and_b32 exec_lo, exec_lo, vcc_lo
	s_cbranch_execz .LBB347_6
; %bb.5:
	v_mov_b32_e32 v0, 0
	global_store_b32 v[1:2], v0, off offset:4
.LBB347_6:
	s_nop 0
	s_sendmsg sendmsg(MSG_DEALLOC_VGPRS)
	s_endpgm
	.section	.rodata,"a",@progbits
	.p2align	6, 0x0
	.amdhsa_kernel _ZL41rocblas_syrkx_herkx_small_restrict_kernelIi19rocblas_complex_numIfELi16ELb1ELb1ELc67ELc76EKS1_S1_EviT_T0_PT6_S3_lS6_S3_lS4_PT7_S3_li
		.amdhsa_group_segment_fixed_size 4096
		.amdhsa_private_segment_fixed_size 0
		.amdhsa_kernarg_size 100
		.amdhsa_user_sgpr_count 13
		.amdhsa_user_sgpr_dispatch_ptr 0
		.amdhsa_user_sgpr_queue_ptr 0
		.amdhsa_user_sgpr_kernarg_segment_ptr 1
		.amdhsa_user_sgpr_dispatch_id 0
		.amdhsa_user_sgpr_private_segment_size 0
		.amdhsa_wavefront_size32 1
		.amdhsa_uses_dynamic_stack 0
		.amdhsa_enable_private_segment 0
		.amdhsa_system_sgpr_workgroup_id_x 1
		.amdhsa_system_sgpr_workgroup_id_y 1
		.amdhsa_system_sgpr_workgroup_id_z 1
		.amdhsa_system_sgpr_workgroup_info 0
		.amdhsa_system_vgpr_workitem_id 1
		.amdhsa_next_free_vgpr 85
		.amdhsa_next_free_sgpr 17
		.amdhsa_reserve_vcc 1
		.amdhsa_float_round_mode_32 0
		.amdhsa_float_round_mode_16_64 0
		.amdhsa_float_denorm_mode_32 3
		.amdhsa_float_denorm_mode_16_64 3
		.amdhsa_dx10_clamp 1
		.amdhsa_ieee_mode 1
		.amdhsa_fp16_overflow 0
		.amdhsa_workgroup_processor_mode 1
		.amdhsa_memory_ordered 1
		.amdhsa_forward_progress 0
		.amdhsa_shared_vgpr_count 0
		.amdhsa_exception_fp_ieee_invalid_op 0
		.amdhsa_exception_fp_denorm_src 0
		.amdhsa_exception_fp_ieee_div_zero 0
		.amdhsa_exception_fp_ieee_overflow 0
		.amdhsa_exception_fp_ieee_underflow 0
		.amdhsa_exception_fp_ieee_inexact 0
		.amdhsa_exception_int_div_zero 0
	.end_amdhsa_kernel
	.section	.text._ZL41rocblas_syrkx_herkx_small_restrict_kernelIi19rocblas_complex_numIfELi16ELb1ELb1ELc67ELc76EKS1_S1_EviT_T0_PT6_S3_lS6_S3_lS4_PT7_S3_li,"axG",@progbits,_ZL41rocblas_syrkx_herkx_small_restrict_kernelIi19rocblas_complex_numIfELi16ELb1ELb1ELc67ELc76EKS1_S1_EviT_T0_PT6_S3_lS6_S3_lS4_PT7_S3_li,comdat
.Lfunc_end347:
	.size	_ZL41rocblas_syrkx_herkx_small_restrict_kernelIi19rocblas_complex_numIfELi16ELb1ELb1ELc67ELc76EKS1_S1_EviT_T0_PT6_S3_lS6_S3_lS4_PT7_S3_li, .Lfunc_end347-_ZL41rocblas_syrkx_herkx_small_restrict_kernelIi19rocblas_complex_numIfELi16ELb1ELb1ELc67ELc76EKS1_S1_EviT_T0_PT6_S3_lS6_S3_lS4_PT7_S3_li
                                        ; -- End function
	.section	.AMDGPU.csdata,"",@progbits
; Kernel info:
; codeLenInByte = 1312
; NumSgprs: 19
; NumVgprs: 85
; ScratchSize: 0
; MemoryBound: 0
; FloatMode: 240
; IeeeMode: 1
; LDSByteSize: 4096 bytes/workgroup (compile time only)
; SGPRBlocks: 2
; VGPRBlocks: 10
; NumSGPRsForWavesPerEU: 19
; NumVGPRsForWavesPerEU: 85
; Occupancy: 16
; WaveLimiterHint : 0
; COMPUTE_PGM_RSRC2:SCRATCH_EN: 0
; COMPUTE_PGM_RSRC2:USER_SGPR: 13
; COMPUTE_PGM_RSRC2:TRAP_HANDLER: 0
; COMPUTE_PGM_RSRC2:TGID_X_EN: 1
; COMPUTE_PGM_RSRC2:TGID_Y_EN: 1
; COMPUTE_PGM_RSRC2:TGID_Z_EN: 1
; COMPUTE_PGM_RSRC2:TIDIG_COMP_CNT: 1
	.section	.text._ZL41rocblas_syrkx_herkx_small_restrict_kernelIi19rocblas_complex_numIfELi16ELb1ELb1ELc78ELc76EKS1_S1_EviT_T0_PT6_S3_lS6_S3_lS4_PT7_S3_li,"axG",@progbits,_ZL41rocblas_syrkx_herkx_small_restrict_kernelIi19rocblas_complex_numIfELi16ELb1ELb1ELc78ELc76EKS1_S1_EviT_T0_PT6_S3_lS6_S3_lS4_PT7_S3_li,comdat
	.globl	_ZL41rocblas_syrkx_herkx_small_restrict_kernelIi19rocblas_complex_numIfELi16ELb1ELb1ELc78ELc76EKS1_S1_EviT_T0_PT6_S3_lS6_S3_lS4_PT7_S3_li ; -- Begin function _ZL41rocblas_syrkx_herkx_small_restrict_kernelIi19rocblas_complex_numIfELi16ELb1ELb1ELc78ELc76EKS1_S1_EviT_T0_PT6_S3_lS6_S3_lS4_PT7_S3_li
	.p2align	8
	.type	_ZL41rocblas_syrkx_herkx_small_restrict_kernelIi19rocblas_complex_numIfELi16ELb1ELb1ELc78ELc76EKS1_S1_EviT_T0_PT6_S3_lS6_S3_lS4_PT7_S3_li,@function
_ZL41rocblas_syrkx_herkx_small_restrict_kernelIi19rocblas_complex_numIfELi16ELb1ELb1ELc78ELc76EKS1_S1_EviT_T0_PT6_S3_lS6_S3_lS4_PT7_S3_li: ; @_ZL41rocblas_syrkx_herkx_small_restrict_kernelIi19rocblas_complex_numIfELi16ELb1ELb1ELc78ELc76EKS1_S1_EviT_T0_PT6_S3_lS6_S3_lS4_PT7_S3_li
; %bb.0:
	s_clause 0x1
	s_load_b32 s12, s[0:1], 0x4
	s_load_b128 s[4:7], s[0:1], 0x8
	v_dual_mov_b32 v12, 0 :: v_dual_and_b32 v5, 0x3ff, v0
	v_bfe_u32 v4, v0, 10, 10
	v_mov_b32_e32 v11, 0
	s_delay_alu instid0(VALU_DEP_3) | instskip(SKIP_1) | instid1(VALU_DEP_3)
	v_lshl_add_u32 v0, s13, 4, v5
	s_mov_b32 s13, 0
	v_lshl_add_u32 v2, s14, 4, v4
	s_delay_alu instid0(VALU_DEP_2)
	v_ashrrev_i32_e32 v1, 31, v0
	s_waitcnt lgkmcnt(0)
	s_cmp_lt_i32 s12, 1
	s_cbranch_scc1 .LBB348_3
; %bb.1:
	s_clause 0x3
	s_load_b32 s2, s[0:1], 0x30
	s_load_b64 s[16:17], s[0:1], 0x38
	s_load_b128 s[8:11], s[0:1], 0x20
	s_load_b32 s18, s[0:1], 0x18
	v_lshlrev_b32_e32 v6, 7, v4
	v_lshlrev_b32_e32 v7, 3, v5
	v_ashrrev_i32_e32 v3, 31, v2
	v_lshlrev_b64 v[11:12], 3, v[0:1]
	s_delay_alu instid0(VALU_DEP_4) | instskip(NEXT) | instid1(VALU_DEP_4)
	v_add_nc_u32_e32 v8, 0x800, v6
	v_add_nc_u32_e32 v9, v7, v6
	s_delay_alu instid0(VALU_DEP_4)
	v_lshlrev_b64 v[13:14], 3, v[2:3]
	s_waitcnt lgkmcnt(0)
	v_mad_i64_i32 v[15:16], null, s2, v5, 0
	s_mul_i32 s14, s17, s15
	s_mul_hi_u32 s17, s16, s15
	v_mad_i64_i32 v[5:6], null, s18, v4, 0
	s_mul_i32 s16, s16, s15
	s_add_i32 s17, s17, s14
	s_delay_alu instid0(VALU_DEP_2)
	v_lshlrev_b64 v[3:4], 3, v[15:16]
	s_lshl_b64 s[16:17], s[16:17], 3
	s_mul_i32 s9, s9, s15
	s_mul_hi_u32 s19, s8, s15
	s_mul_i32 s8, s8, s15
	s_add_i32 s9, s19, s9
	v_add_co_u32 v15, vcc_lo, s16, v3
	v_add_co_ci_u32_e32 v16, vcc_lo, s17, v4, vcc_lo
	v_lshlrev_b64 v[3:4], 3, v[5:6]
	s_delay_alu instid0(VALU_DEP_3) | instskip(SKIP_1) | instid1(VALU_DEP_3)
	v_add_co_u32 v5, vcc_lo, v15, v13
	s_lshl_b64 s[8:9], s[8:9], 3
	v_add_co_ci_u32_e32 v6, vcc_lo, v16, v14, vcc_lo
	s_delay_alu instid0(VALU_DEP_3) | instskip(NEXT) | instid1(VALU_DEP_4)
	v_add_co_u32 v3, vcc_lo, s8, v3
	v_add_co_ci_u32_e32 v4, vcc_lo, s9, v4, vcc_lo
	v_add_co_u32 v5, vcc_lo, v5, s10
	s_delay_alu instid0(VALU_DEP_4) | instskip(NEXT) | instid1(VALU_DEP_4)
	v_add_co_ci_u32_e32 v6, vcc_lo, s11, v6, vcc_lo
	v_add_co_u32 v11, vcc_lo, v3, v11
	s_delay_alu instid0(VALU_DEP_4) | instskip(NEXT) | instid1(VALU_DEP_4)
	;; [unrolled: 3-line block ×3, first 2 shown]
	v_add_co_ci_u32_e32 v4, vcc_lo, 0, v6, vcc_lo
	v_add_co_u32 v5, vcc_lo, s6, v11
	s_delay_alu instid0(VALU_DEP_4)
	v_add_co_ci_u32_e32 v6, vcc_lo, s7, v12, vcc_lo
	v_mov_b32_e32 v12, 0
	v_dual_mov_b32 v11, 0 :: v_dual_add_nc_u32 v10, v8, v7
	s_ashr_i32 s3, s2, 31
	s_ashr_i32 s19, s18, 31
	s_lshl_b64 s[2:3], s[2:3], 7
	s_lshl_b64 s[6:7], s[18:19], 7
.LBB348_2:                              ; =>This Inner Loop Header: Depth=1
	global_load_b64 v[13:14], v[3:4], off offset:-4
	global_load_b64 v[15:16], v[5:6], off
	v_add_co_u32 v3, vcc_lo, v3, s2
	v_add_co_ci_u32_e32 v4, vcc_lo, s3, v4, vcc_lo
	v_add_co_u32 v5, vcc_lo, v5, s6
	v_add_co_ci_u32_e32 v6, vcc_lo, s7, v6, vcc_lo
	s_add_i32 s13, s13, 16
	s_delay_alu instid0(SALU_CYCLE_1)
	s_cmp_lt_i32 s13, s12
	s_waitcnt vmcnt(1)
	v_xor_b32_e32 v14, 0x80000000, v14
	s_waitcnt vmcnt(0)
	ds_store_b64 v9, v[15:16]
	ds_store_b64 v10, v[13:14]
	s_waitcnt lgkmcnt(0)
	s_barrier
	buffer_gl0_inv
	ds_load_2addr_b64 v[13:16], v7 offset1:16
	ds_load_b128 v[17:20], v8
	ds_load_b128 v[21:24], v8 offset:16
	ds_load_2addr_b64 v[25:28], v7 offset0:32 offset1:48
	ds_load_2addr_b64 v[29:32], v7 offset0:64 offset1:80
	ds_load_b128 v[33:36], v8 offset:32
	ds_load_b128 v[37:40], v8 offset:48
	ds_load_2addr_b64 v[41:44], v7 offset0:96 offset1:112
	ds_load_2addr_b64 v[45:48], v7 offset0:128 offset1:144
	;; [unrolled: 1-line block ×3, first 2 shown]
	ds_load_b128 v[53:56], v8 offset:64
	ds_load_b128 v[57:60], v8 offset:80
	ds_load_2addr_b64 v[61:64], v7 offset0:192 offset1:208
	ds_load_2addr_b64 v[65:68], v7 offset0:224 offset1:240
	ds_load_b128 v[69:72], v8 offset:96
	ds_load_b128 v[73:76], v8 offset:112
	s_waitcnt lgkmcnt(0)
	s_barrier
	buffer_gl0_inv
	v_dual_mul_f32 v77, v18, v14 :: v_dual_mul_f32 v78, v20, v16
	v_mul_f32_e32 v14, v17, v14
	v_dual_mul_f32 v16, v19, v16 :: v_dual_mul_f32 v79, v22, v26
	v_mul_f32_e32 v26, v21, v26
	v_dual_mul_f32 v80, v24, v28 :: v_dual_mul_f32 v81, v34, v30
	v_fma_f32 v17, v17, v13, -v77
	v_mul_f32_e32 v30, v33, v30
	s_delay_alu instid0(VALU_DEP_4) | instskip(NEXT) | instid1(VALU_DEP_4)
	v_fmac_f32_e32 v26, v22, v25
	v_fma_f32 v22, v23, v27, -v80
	v_fmac_f32_e32 v14, v18, v13
	v_fma_f32 v13, v19, v15, -v78
	v_add_f32_e32 v11, v11, v17
	v_dual_mul_f32 v28, v23, v28 :: v_dual_mul_f32 v83, v38, v42
	v_mul_f32_e32 v42, v37, v42
	v_fma_f32 v21, v21, v25, -v79
	s_delay_alu instid0(VALU_DEP_4) | instskip(SKIP_2) | instid1(VALU_DEP_3)
	v_dual_add_f32 v11, v11, v13 :: v_dual_fmac_f32 v16, v20, v15
	v_dual_mul_f32 v82, v36, v32 :: v_dual_mul_f32 v85, v54, v46
	v_dual_mul_f32 v84, v40, v44 :: v_dual_mul_f32 v17, v73, v66
	v_add_f32_e32 v11, v11, v21
	v_fma_f32 v21, v33, v29, -v81
	v_mul_f32_e32 v15, v56, v48
	v_mul_f32_e32 v18, v55, v48
	v_dual_mul_f32 v32, v35, v32 :: v_dual_mul_f32 v19, v58, v50
	v_add_f32_e32 v11, v11, v22
	v_mul_f32_e32 v20, v57, v50
	v_fma_f32 v22, v35, v31, -v82
	v_mul_f32_e32 v50, v59, v52
	v_fma_f32 v15, v55, v47, -v15
	v_dual_add_f32 v11, v11, v21 :: v_dual_mul_f32 v48, v60, v52
	v_fma_f32 v21, v37, v41, -v83
	v_fma_f32 v19, v57, v49, -v19
	v_mul_f32_e32 v23, v72, v64
	s_delay_alu instid0(VALU_DEP_4) | instskip(SKIP_3) | instid1(VALU_DEP_4)
	v_add_f32_e32 v11, v11, v22
	v_mul_f32_e32 v52, v70, v62
	v_fma_f32 v22, v39, v43, -v84
	v_dual_mul_f32 v46, v53, v46 :: v_dual_mul_f32 v13, v76, v68
	v_add_f32_e32 v11, v11, v21
	v_fma_f32 v21, v53, v45, -v85
	v_fmac_f32_e32 v32, v36, v31
	v_dual_mul_f32 v44, v39, v44 :: v_dual_fmac_f32 v17, v74, v65
	s_delay_alu instid0(VALU_DEP_4) | instskip(SKIP_3) | instid1(VALU_DEP_4)
	v_add_f32_e32 v11, v11, v22
	v_mul_f32_e32 v62, v69, v62
	v_fma_f32 v13, v75, v67, -v13
	v_fmac_f32_e32 v42, v38, v41
	v_dual_fmac_f32 v44, v40, v43 :: v_dual_add_f32 v11, v11, v21
	v_add_f32_e32 v12, v12, v14
	v_fmac_f32_e32 v46, v54, v45
	v_fmac_f32_e32 v18, v56, v47
	s_delay_alu instid0(VALU_DEP_4) | instskip(SKIP_3) | instid1(VALU_DEP_4)
	v_dual_fmac_f32 v20, v58, v49 :: v_dual_add_f32 v11, v11, v15
	v_mul_f32_e32 v14, v74, v66
	v_fma_f32 v15, v59, v51, -v48
	v_fmac_f32_e32 v50, v60, v51
	v_dual_fmac_f32 v62, v70, v61 :: v_dual_add_f32 v11, v11, v19
	v_add_f32_e32 v12, v12, v16
	v_fma_f32 v14, v73, v65, -v14
	v_fmac_f32_e32 v30, v34, v29
	v_mul_f32_e32 v16, v75, v68
	v_add_f32_e32 v11, v11, v15
	v_fmac_f32_e32 v28, v24, v27
	v_fma_f32 v15, v71, v63, -v23
	v_add_f32_e32 v12, v12, v26
	v_mul_f32_e32 v24, v71, v64
	v_fmac_f32_e32 v16, v76, v67
	s_delay_alu instid0(VALU_DEP_3) | instskip(NEXT) | instid1(VALU_DEP_3)
	v_add_f32_e32 v12, v12, v28
	v_fmac_f32_e32 v24, v72, v63
	s_delay_alu instid0(VALU_DEP_2) | instskip(NEXT) | instid1(VALU_DEP_1)
	v_add_f32_e32 v12, v12, v30
	v_add_f32_e32 v12, v12, v32
	s_delay_alu instid0(VALU_DEP_1) | instskip(NEXT) | instid1(VALU_DEP_1)
	v_add_f32_e32 v12, v12, v42
	v_add_f32_e32 v12, v12, v44
	s_delay_alu instid0(VALU_DEP_1) | instskip(NEXT) | instid1(VALU_DEP_1)
	v_add_f32_e32 v12, v12, v46
	v_add_f32_e32 v12, v12, v18
	v_fma_f32 v18, v69, v61, -v52
	s_delay_alu instid0(VALU_DEP_1) | instskip(NEXT) | instid1(VALU_DEP_1)
	v_dual_add_f32 v12, v12, v20 :: v_dual_add_f32 v11, v11, v18
	v_dual_add_f32 v12, v12, v50 :: v_dual_add_f32 v11, v11, v15
	s_delay_alu instid0(VALU_DEP_1) | instskip(NEXT) | instid1(VALU_DEP_1)
	v_add_f32_e32 v12, v12, v62
	v_dual_add_f32 v11, v11, v14 :: v_dual_add_f32 v12, v12, v24
	s_delay_alu instid0(VALU_DEP_1) | instskip(NEXT) | instid1(VALU_DEP_2)
	v_add_f32_e32 v11, v11, v13
	v_add_f32_e32 v12, v12, v17
	s_delay_alu instid0(VALU_DEP_1)
	v_add_f32_e32 v12, v12, v16
	s_cbranch_scc1 .LBB348_2
.LBB348_3:
	s_mov_b32 s2, exec_lo
	v_cmpx_le_i32_e64 v2, v0
	s_cbranch_execz .LBB348_6
; %bb.4:
	s_clause 0x2
	s_load_b32 s6, s[0:1], 0x50
	s_load_b64 s[2:3], s[0:1], 0x58
	s_load_b64 s[0:1], s[0:1], 0x48
	v_lshlrev_b64 v[7:8], 3, v[0:1]
	v_mul_f32_e32 v6, s4, v12
	s_delay_alu instid0(VALU_DEP_1) | instskip(NEXT) | instid1(VALU_DEP_1)
	v_dual_mul_f32 v5, s5, v12 :: v_dual_fmac_f32 v6, s5, v11
	v_fma_f32 v5, v11, s4, -v5
	s_waitcnt lgkmcnt(0)
	v_mad_i64_i32 v[3:4], null, s6, v2, 0
	s_mul_i32 s3, s15, s3
	s_mul_hi_u32 s6, s15, s2
	s_mul_i32 s2, s15, s2
	s_add_i32 s3, s6, s3
	s_delay_alu instid0(SALU_CYCLE_1) | instskip(NEXT) | instid1(VALU_DEP_1)
	s_lshl_b64 s[2:3], s[2:3], 3
	v_lshlrev_b64 v[3:4], 3, v[3:4]
	s_add_u32 s0, s0, s2
	s_addc_u32 s1, s1, s3
	s_delay_alu instid0(VALU_DEP_1) | instskip(NEXT) | instid1(VALU_DEP_2)
	v_add_co_u32 v1, vcc_lo, s0, v3
	v_add_co_ci_u32_e32 v4, vcc_lo, s1, v4, vcc_lo
	s_delay_alu instid0(VALU_DEP_2) | instskip(NEXT) | instid1(VALU_DEP_2)
	v_add_co_u32 v3, vcc_lo, v1, v7
	v_add_co_ci_u32_e32 v4, vcc_lo, v4, v8, vcc_lo
	v_cmp_eq_u32_e32 vcc_lo, v0, v2
	global_store_b64 v[3:4], v[5:6], off
	s_and_b32 exec_lo, exec_lo, vcc_lo
	s_cbranch_execz .LBB348_6
; %bb.5:
	v_mov_b32_e32 v0, 0
	global_store_b32 v[3:4], v0, off offset:4
.LBB348_6:
	s_nop 0
	s_sendmsg sendmsg(MSG_DEALLOC_VGPRS)
	s_endpgm
	.section	.rodata,"a",@progbits
	.p2align	6, 0x0
	.amdhsa_kernel _ZL41rocblas_syrkx_herkx_small_restrict_kernelIi19rocblas_complex_numIfELi16ELb1ELb1ELc78ELc76EKS1_S1_EviT_T0_PT6_S3_lS6_S3_lS4_PT7_S3_li
		.amdhsa_group_segment_fixed_size 4096
		.amdhsa_private_segment_fixed_size 0
		.amdhsa_kernarg_size 100
		.amdhsa_user_sgpr_count 13
		.amdhsa_user_sgpr_dispatch_ptr 0
		.amdhsa_user_sgpr_queue_ptr 0
		.amdhsa_user_sgpr_kernarg_segment_ptr 1
		.amdhsa_user_sgpr_dispatch_id 0
		.amdhsa_user_sgpr_private_segment_size 0
		.amdhsa_wavefront_size32 1
		.amdhsa_uses_dynamic_stack 0
		.amdhsa_enable_private_segment 0
		.amdhsa_system_sgpr_workgroup_id_x 1
		.amdhsa_system_sgpr_workgroup_id_y 1
		.amdhsa_system_sgpr_workgroup_id_z 1
		.amdhsa_system_sgpr_workgroup_info 0
		.amdhsa_system_vgpr_workitem_id 1
		.amdhsa_next_free_vgpr 86
		.amdhsa_next_free_sgpr 20
		.amdhsa_reserve_vcc 1
		.amdhsa_float_round_mode_32 0
		.amdhsa_float_round_mode_16_64 0
		.amdhsa_float_denorm_mode_32 3
		.amdhsa_float_denorm_mode_16_64 3
		.amdhsa_dx10_clamp 1
		.amdhsa_ieee_mode 1
		.amdhsa_fp16_overflow 0
		.amdhsa_workgroup_processor_mode 1
		.amdhsa_memory_ordered 1
		.amdhsa_forward_progress 0
		.amdhsa_shared_vgpr_count 0
		.amdhsa_exception_fp_ieee_invalid_op 0
		.amdhsa_exception_fp_denorm_src 0
		.amdhsa_exception_fp_ieee_div_zero 0
		.amdhsa_exception_fp_ieee_overflow 0
		.amdhsa_exception_fp_ieee_underflow 0
		.amdhsa_exception_fp_ieee_inexact 0
		.amdhsa_exception_int_div_zero 0
	.end_amdhsa_kernel
	.section	.text._ZL41rocblas_syrkx_herkx_small_restrict_kernelIi19rocblas_complex_numIfELi16ELb1ELb1ELc78ELc76EKS1_S1_EviT_T0_PT6_S3_lS6_S3_lS4_PT7_S3_li,"axG",@progbits,_ZL41rocblas_syrkx_herkx_small_restrict_kernelIi19rocblas_complex_numIfELi16ELb1ELb1ELc78ELc76EKS1_S1_EviT_T0_PT6_S3_lS6_S3_lS4_PT7_S3_li,comdat
.Lfunc_end348:
	.size	_ZL41rocblas_syrkx_herkx_small_restrict_kernelIi19rocblas_complex_numIfELi16ELb1ELb1ELc78ELc76EKS1_S1_EviT_T0_PT6_S3_lS6_S3_lS4_PT7_S3_li, .Lfunc_end348-_ZL41rocblas_syrkx_herkx_small_restrict_kernelIi19rocblas_complex_numIfELi16ELb1ELb1ELc78ELc76EKS1_S1_EviT_T0_PT6_S3_lS6_S3_lS4_PT7_S3_li
                                        ; -- End function
	.section	.AMDGPU.csdata,"",@progbits
; Kernel info:
; codeLenInByte = 1340
; NumSgprs: 22
; NumVgprs: 86
; ScratchSize: 0
; MemoryBound: 0
; FloatMode: 240
; IeeeMode: 1
; LDSByteSize: 4096 bytes/workgroup (compile time only)
; SGPRBlocks: 2
; VGPRBlocks: 10
; NumSGPRsForWavesPerEU: 22
; NumVGPRsForWavesPerEU: 86
; Occupancy: 16
; WaveLimiterHint : 0
; COMPUTE_PGM_RSRC2:SCRATCH_EN: 0
; COMPUTE_PGM_RSRC2:USER_SGPR: 13
; COMPUTE_PGM_RSRC2:TRAP_HANDLER: 0
; COMPUTE_PGM_RSRC2:TGID_X_EN: 1
; COMPUTE_PGM_RSRC2:TGID_Y_EN: 1
; COMPUTE_PGM_RSRC2:TGID_Z_EN: 1
; COMPUTE_PGM_RSRC2:TIDIG_COMP_CNT: 1
	.section	.text._ZL41rocblas_syrkx_herkx_small_restrict_kernelIi19rocblas_complex_numIfELi16ELb1ELb1ELc84ELc85EKS1_S1_EviT_T0_PT6_S3_lS6_S3_lS4_PT7_S3_li,"axG",@progbits,_ZL41rocblas_syrkx_herkx_small_restrict_kernelIi19rocblas_complex_numIfELi16ELb1ELb1ELc84ELc85EKS1_S1_EviT_T0_PT6_S3_lS6_S3_lS4_PT7_S3_li,comdat
	.globl	_ZL41rocblas_syrkx_herkx_small_restrict_kernelIi19rocblas_complex_numIfELi16ELb1ELb1ELc84ELc85EKS1_S1_EviT_T0_PT6_S3_lS6_S3_lS4_PT7_S3_li ; -- Begin function _ZL41rocblas_syrkx_herkx_small_restrict_kernelIi19rocblas_complex_numIfELi16ELb1ELb1ELc84ELc85EKS1_S1_EviT_T0_PT6_S3_lS6_S3_lS4_PT7_S3_li
	.p2align	8
	.type	_ZL41rocblas_syrkx_herkx_small_restrict_kernelIi19rocblas_complex_numIfELi16ELb1ELb1ELc84ELc85EKS1_S1_EviT_T0_PT6_S3_lS6_S3_lS4_PT7_S3_li,@function
_ZL41rocblas_syrkx_herkx_small_restrict_kernelIi19rocblas_complex_numIfELi16ELb1ELb1ELc84ELc85EKS1_S1_EviT_T0_PT6_S3_lS6_S3_lS4_PT7_S3_li: ; @_ZL41rocblas_syrkx_herkx_small_restrict_kernelIi19rocblas_complex_numIfELi16ELb1ELb1ELc84ELc85EKS1_S1_EviT_T0_PT6_S3_lS6_S3_lS4_PT7_S3_li
; %bb.0:
	s_clause 0x1
	s_load_b32 s2, s[0:1], 0x4
	s_load_b128 s[4:7], s[0:1], 0x8
	v_dual_mov_b32 v11, 0 :: v_dual_and_b32 v2, 0x3ff, v0
	v_bfe_u32 v1, v0, 10, 10
	v_mov_b32_e32 v10, 0
	s_mov_b32 s3, 0
	s_delay_alu instid0(VALU_DEP_3) | instskip(NEXT) | instid1(VALU_DEP_3)
	v_lshl_add_u32 v0, s13, 4, v2
	v_lshl_add_u32 v5, s14, 4, v1
	s_waitcnt lgkmcnt(0)
	s_cmp_lt_i32 s2, 1
	s_cbranch_scc1 .LBB349_3
; %bb.1:
	s_clause 0x3
	s_load_b32 s14, s[0:1], 0x30
	s_load_b64 s[12:13], s[0:1], 0x38
	s_load_b32 s16, s[0:1], 0x18
	s_load_b128 s[8:11], s[0:1], 0x20
	v_lshlrev_b32_e32 v3, 7, v1
	v_dual_mov_b32 v11, 0 :: v_dual_lshlrev_b32 v6, 3, v2
	v_lshlrev_b32_e32 v10, 3, v1
	s_delay_alu instid0(VALU_DEP_3) | instskip(NEXT) | instid1(VALU_DEP_3)
	v_add_nc_u32_e32 v7, 0x800, v3
	v_add_nc_u32_e32 v8, v6, v3
	s_delay_alu instid0(VALU_DEP_2)
	v_add_nc_u32_e32 v9, v7, v6
	s_waitcnt lgkmcnt(0)
	v_mad_i64_i32 v[1:2], null, s14, v5, 0
	v_mad_i64_i32 v[3:4], null, s16, v0, 0
	s_mul_i32 s13, s13, s15
	s_mul_hi_u32 s14, s12, s15
	s_mul_i32 s12, s12, s15
	s_add_i32 s13, s14, s13
	s_delay_alu instid0(VALU_DEP_2)
	v_lshlrev_b64 v[1:2], 3, v[1:2]
	s_mul_i32 s9, s9, s15
	s_mul_hi_u32 s16, s8, s15
	v_lshlrev_b64 v[3:4], 3, v[3:4]
	s_lshl_b64 s[12:13], s[12:13], 3
	s_mul_i32 s8, s8, s15
	s_add_i32 s9, s16, s9
	v_add_co_u32 v1, vcc_lo, v1, s12
	s_lshl_b64 s[8:9], s[8:9], 3
	v_add_co_ci_u32_e32 v2, vcc_lo, s13, v2, vcc_lo
	v_add_co_u32 v3, vcc_lo, v3, s8
	v_add_co_ci_u32_e32 v4, vcc_lo, s9, v4, vcc_lo
	v_add_co_u32 v1, vcc_lo, v1, v6
	s_delay_alu instid0(VALU_DEP_4) | instskip(NEXT) | instid1(VALU_DEP_4)
	v_add_co_ci_u32_e32 v2, vcc_lo, 0, v2, vcc_lo
	v_add_co_u32 v3, vcc_lo, v3, v10
	s_delay_alu instid0(VALU_DEP_4) | instskip(NEXT) | instid1(VALU_DEP_4)
	;; [unrolled: 3-line block ×3, first 2 shown]
	v_add_co_ci_u32_e32 v2, vcc_lo, s11, v2, vcc_lo
	v_add_co_u32 v3, vcc_lo, s6, v3
	s_delay_alu instid0(VALU_DEP_4)
	v_add_co_ci_u32_e32 v4, vcc_lo, s7, v4, vcc_lo
	v_mov_b32_e32 v10, 0
.LBB349_2:                              ; =>This Inner Loop Header: Depth=1
	global_load_b64 v[12:13], v[3:4], off
	global_load_b64 v[14:15], v[1:2], off
	v_add_co_u32 v1, vcc_lo, 0x80, v1
	v_add_co_ci_u32_e32 v2, vcc_lo, 0, v2, vcc_lo
	v_add_co_u32 v3, vcc_lo, 0x80, v3
	v_add_co_ci_u32_e32 v4, vcc_lo, 0, v4, vcc_lo
	s_add_i32 s3, s3, 16
	s_waitcnt vmcnt(1)
	ds_store_b64 v8, v[12:13]
	s_waitcnt vmcnt(0)
	ds_store_b64 v9, v[14:15]
	s_waitcnt lgkmcnt(0)
	s_barrier
	buffer_gl0_inv
	ds_load_2addr_b64 v[12:15], v6 offset1:16
	ds_load_b128 v[16:19], v7
	ds_load_b128 v[20:23], v7 offset:16
	ds_load_2addr_b64 v[24:27], v6 offset0:32 offset1:48
	ds_load_2addr_b64 v[28:31], v6 offset0:64 offset1:80
	ds_load_b128 v[32:35], v7 offset:32
	ds_load_b128 v[36:39], v7 offset:48
	ds_load_2addr_b64 v[40:43], v6 offset0:96 offset1:112
	ds_load_2addr_b64 v[44:47], v6 offset0:128 offset1:144
	;; [unrolled: 1-line block ×3, first 2 shown]
	ds_load_b128 v[52:55], v7 offset:64
	ds_load_b128 v[56:59], v7 offset:80
	ds_load_2addr_b64 v[60:63], v6 offset0:192 offset1:208
	ds_load_2addr_b64 v[64:67], v6 offset0:224 offset1:240
	ds_load_b128 v[68:71], v7 offset:96
	ds_load_b128 v[72:75], v7 offset:112
	s_cmp_lt_i32 s3, s2
	s_waitcnt lgkmcnt(0)
	s_barrier
	buffer_gl0_inv
	v_dual_mul_f32 v76, v17, v13 :: v_dual_mul_f32 v77, v19, v15
	v_mul_f32_e32 v13, v16, v13
	v_dual_mul_f32 v15, v18, v15 :: v_dual_mul_f32 v78, v21, v25
	v_mul_f32_e32 v25, v20, v25
	v_dual_mul_f32 v79, v23, v27 :: v_dual_mul_f32 v80, v33, v29
	v_fma_f32 v16, v16, v12, -v76
	v_mul_f32_e32 v29, v32, v29
	s_delay_alu instid0(VALU_DEP_4) | instskip(NEXT) | instid1(VALU_DEP_4)
	v_fmac_f32_e32 v25, v21, v24
	v_fma_f32 v21, v22, v26, -v79
	v_fmac_f32_e32 v13, v17, v12
	v_fma_f32 v12, v18, v14, -v77
	v_add_f32_e32 v10, v10, v16
	v_dual_mul_f32 v27, v22, v27 :: v_dual_mul_f32 v82, v37, v41
	v_mul_f32_e32 v41, v36, v41
	v_fma_f32 v20, v20, v24, -v78
	s_delay_alu instid0(VALU_DEP_4) | instskip(SKIP_2) | instid1(VALU_DEP_3)
	v_dual_add_f32 v10, v10, v12 :: v_dual_fmac_f32 v15, v19, v14
	v_dual_mul_f32 v81, v35, v31 :: v_dual_mul_f32 v84, v53, v45
	v_dual_mul_f32 v83, v39, v43 :: v_dual_mul_f32 v16, v72, v65
	v_add_f32_e32 v10, v10, v20
	v_fma_f32 v20, v32, v28, -v80
	v_mul_f32_e32 v14, v55, v47
	v_mul_f32_e32 v17, v54, v47
	v_dual_mul_f32 v31, v34, v31 :: v_dual_mul_f32 v18, v57, v49
	v_add_f32_e32 v10, v10, v21
	v_mul_f32_e32 v19, v56, v49
	v_fma_f32 v21, v34, v30, -v81
	v_mul_f32_e32 v49, v58, v51
	v_fma_f32 v14, v54, v46, -v14
	v_dual_add_f32 v10, v10, v20 :: v_dual_mul_f32 v47, v59, v51
	v_fma_f32 v20, v36, v40, -v82
	v_fma_f32 v18, v56, v48, -v18
	v_mul_f32_e32 v22, v71, v63
	s_delay_alu instid0(VALU_DEP_4) | instskip(SKIP_3) | instid1(VALU_DEP_4)
	v_add_f32_e32 v10, v10, v21
	v_mul_f32_e32 v51, v69, v61
	v_fma_f32 v21, v38, v42, -v83
	v_dual_mul_f32 v45, v52, v45 :: v_dual_mul_f32 v12, v75, v67
	v_add_f32_e32 v10, v10, v20
	v_fma_f32 v20, v52, v44, -v84
	v_fmac_f32_e32 v31, v35, v30
	v_dual_mul_f32 v43, v38, v43 :: v_dual_fmac_f32 v16, v73, v64
	s_delay_alu instid0(VALU_DEP_4) | instskip(SKIP_3) | instid1(VALU_DEP_4)
	v_add_f32_e32 v10, v10, v21
	v_mul_f32_e32 v61, v68, v61
	v_fma_f32 v12, v74, v66, -v12
	v_fmac_f32_e32 v41, v37, v40
	v_dual_fmac_f32 v43, v39, v42 :: v_dual_add_f32 v10, v10, v20
	v_add_f32_e32 v11, v11, v13
	v_fmac_f32_e32 v45, v53, v44
	v_fmac_f32_e32 v17, v55, v46
	s_delay_alu instid0(VALU_DEP_4) | instskip(SKIP_3) | instid1(VALU_DEP_4)
	v_dual_fmac_f32 v19, v57, v48 :: v_dual_add_f32 v10, v10, v14
	v_mul_f32_e32 v13, v73, v65
	v_fma_f32 v14, v58, v50, -v47
	v_fmac_f32_e32 v49, v59, v50
	v_dual_fmac_f32 v61, v69, v60 :: v_dual_add_f32 v10, v10, v18
	v_add_f32_e32 v11, v11, v15
	v_fma_f32 v13, v72, v64, -v13
	v_fmac_f32_e32 v29, v33, v28
	v_mul_f32_e32 v15, v74, v67
	v_add_f32_e32 v10, v10, v14
	v_fmac_f32_e32 v27, v23, v26
	v_fma_f32 v14, v70, v62, -v22
	v_add_f32_e32 v11, v11, v25
	v_mul_f32_e32 v23, v70, v63
	v_fmac_f32_e32 v15, v75, v66
	s_delay_alu instid0(VALU_DEP_3) | instskip(NEXT) | instid1(VALU_DEP_3)
	v_add_f32_e32 v11, v11, v27
	v_fmac_f32_e32 v23, v71, v62
	s_delay_alu instid0(VALU_DEP_2) | instskip(NEXT) | instid1(VALU_DEP_1)
	v_add_f32_e32 v11, v11, v29
	v_add_f32_e32 v11, v11, v31
	s_delay_alu instid0(VALU_DEP_1) | instskip(NEXT) | instid1(VALU_DEP_1)
	v_add_f32_e32 v11, v11, v41
	v_add_f32_e32 v11, v11, v43
	s_delay_alu instid0(VALU_DEP_1) | instskip(NEXT) | instid1(VALU_DEP_1)
	v_add_f32_e32 v11, v11, v45
	v_add_f32_e32 v11, v11, v17
	v_fma_f32 v17, v68, v60, -v51
	s_delay_alu instid0(VALU_DEP_1) | instskip(NEXT) | instid1(VALU_DEP_1)
	v_dual_add_f32 v11, v11, v19 :: v_dual_add_f32 v10, v10, v17
	v_dual_add_f32 v11, v11, v49 :: v_dual_add_f32 v10, v10, v14
	s_delay_alu instid0(VALU_DEP_1) | instskip(NEXT) | instid1(VALU_DEP_1)
	v_add_f32_e32 v11, v11, v61
	v_dual_add_f32 v10, v10, v13 :: v_dual_add_f32 v11, v11, v23
	s_delay_alu instid0(VALU_DEP_1) | instskip(NEXT) | instid1(VALU_DEP_2)
	v_add_f32_e32 v10, v10, v12
	v_add_f32_e32 v11, v11, v16
	s_delay_alu instid0(VALU_DEP_1)
	v_add_f32_e32 v11, v11, v15
	s_cbranch_scc1 .LBB349_2
.LBB349_3:
	s_mov_b32 s2, exec_lo
	v_cmpx_le_i32_e64 v0, v5
	s_cbranch_execz .LBB349_6
; %bb.4:
	s_clause 0x2
	s_load_b32 s6, s[0:1], 0x50
	s_load_b64 s[2:3], s[0:1], 0x58
	s_load_b64 s[0:1], s[0:1], 0x48
	v_mul_f32_e32 v7, s4, v11
	v_mul_f32_e32 v4, s5, v11
	v_ashrrev_i32_e32 v1, 31, v0
	s_delay_alu instid0(VALU_DEP_3) | instskip(NEXT) | instid1(VALU_DEP_3)
	v_fmac_f32_e32 v7, s5, v10
	v_fma_f32 v6, v10, s4, -v4
	s_delay_alu instid0(VALU_DEP_3)
	v_lshlrev_b64 v[8:9], 3, v[0:1]
	s_waitcnt lgkmcnt(0)
	v_mad_i64_i32 v[2:3], null, s6, v5, 0
	s_mul_i32 s3, s15, s3
	s_mul_hi_u32 s4, s15, s2
	s_mul_i32 s2, s15, s2
	s_add_i32 s3, s4, s3
	s_delay_alu instid0(SALU_CYCLE_1) | instskip(NEXT) | instid1(VALU_DEP_1)
	s_lshl_b64 s[2:3], s[2:3], 3
	v_lshlrev_b64 v[2:3], 3, v[2:3]
	s_add_u32 s0, s0, s2
	s_addc_u32 s1, s1, s3
	s_delay_alu instid0(VALU_DEP_1) | instskip(NEXT) | instid1(VALU_DEP_2)
	v_add_co_u32 v1, vcc_lo, s0, v2
	v_add_co_ci_u32_e32 v2, vcc_lo, s1, v3, vcc_lo
	s_delay_alu instid0(VALU_DEP_2) | instskip(NEXT) | instid1(VALU_DEP_2)
	v_add_co_u32 v1, vcc_lo, v1, v8
	v_add_co_ci_u32_e32 v2, vcc_lo, v2, v9, vcc_lo
	v_cmp_eq_u32_e32 vcc_lo, v0, v5
	global_store_b64 v[1:2], v[6:7], off
	s_and_b32 exec_lo, exec_lo, vcc_lo
	s_cbranch_execz .LBB349_6
; %bb.5:
	v_mov_b32_e32 v0, 0
	global_store_b32 v[1:2], v0, off offset:4
.LBB349_6:
	s_nop 0
	s_sendmsg sendmsg(MSG_DEALLOC_VGPRS)
	s_endpgm
	.section	.rodata,"a",@progbits
	.p2align	6, 0x0
	.amdhsa_kernel _ZL41rocblas_syrkx_herkx_small_restrict_kernelIi19rocblas_complex_numIfELi16ELb1ELb1ELc84ELc85EKS1_S1_EviT_T0_PT6_S3_lS6_S3_lS4_PT7_S3_li
		.amdhsa_group_segment_fixed_size 4096
		.amdhsa_private_segment_fixed_size 0
		.amdhsa_kernarg_size 100
		.amdhsa_user_sgpr_count 13
		.amdhsa_user_sgpr_dispatch_ptr 0
		.amdhsa_user_sgpr_queue_ptr 0
		.amdhsa_user_sgpr_kernarg_segment_ptr 1
		.amdhsa_user_sgpr_dispatch_id 0
		.amdhsa_user_sgpr_private_segment_size 0
		.amdhsa_wavefront_size32 1
		.amdhsa_uses_dynamic_stack 0
		.amdhsa_enable_private_segment 0
		.amdhsa_system_sgpr_workgroup_id_x 1
		.amdhsa_system_sgpr_workgroup_id_y 1
		.amdhsa_system_sgpr_workgroup_id_z 1
		.amdhsa_system_sgpr_workgroup_info 0
		.amdhsa_system_vgpr_workitem_id 1
		.amdhsa_next_free_vgpr 85
		.amdhsa_next_free_sgpr 17
		.amdhsa_reserve_vcc 1
		.amdhsa_float_round_mode_32 0
		.amdhsa_float_round_mode_16_64 0
		.amdhsa_float_denorm_mode_32 3
		.amdhsa_float_denorm_mode_16_64 3
		.amdhsa_dx10_clamp 1
		.amdhsa_ieee_mode 1
		.amdhsa_fp16_overflow 0
		.amdhsa_workgroup_processor_mode 1
		.amdhsa_memory_ordered 1
		.amdhsa_forward_progress 0
		.amdhsa_shared_vgpr_count 0
		.amdhsa_exception_fp_ieee_invalid_op 0
		.amdhsa_exception_fp_denorm_src 0
		.amdhsa_exception_fp_ieee_div_zero 0
		.amdhsa_exception_fp_ieee_overflow 0
		.amdhsa_exception_fp_ieee_underflow 0
		.amdhsa_exception_fp_ieee_inexact 0
		.amdhsa_exception_int_div_zero 0
	.end_amdhsa_kernel
	.section	.text._ZL41rocblas_syrkx_herkx_small_restrict_kernelIi19rocblas_complex_numIfELi16ELb1ELb1ELc84ELc85EKS1_S1_EviT_T0_PT6_S3_lS6_S3_lS4_PT7_S3_li,"axG",@progbits,_ZL41rocblas_syrkx_herkx_small_restrict_kernelIi19rocblas_complex_numIfELi16ELb1ELb1ELc84ELc85EKS1_S1_EviT_T0_PT6_S3_lS6_S3_lS4_PT7_S3_li,comdat
.Lfunc_end349:
	.size	_ZL41rocblas_syrkx_herkx_small_restrict_kernelIi19rocblas_complex_numIfELi16ELb1ELb1ELc84ELc85EKS1_S1_EviT_T0_PT6_S3_lS6_S3_lS4_PT7_S3_li, .Lfunc_end349-_ZL41rocblas_syrkx_herkx_small_restrict_kernelIi19rocblas_complex_numIfELi16ELb1ELb1ELc84ELc85EKS1_S1_EviT_T0_PT6_S3_lS6_S3_lS4_PT7_S3_li
                                        ; -- End function
	.section	.AMDGPU.csdata,"",@progbits
; Kernel info:
; codeLenInByte = 1284
; NumSgprs: 19
; NumVgprs: 85
; ScratchSize: 0
; MemoryBound: 0
; FloatMode: 240
; IeeeMode: 1
; LDSByteSize: 4096 bytes/workgroup (compile time only)
; SGPRBlocks: 2
; VGPRBlocks: 10
; NumSGPRsForWavesPerEU: 19
; NumVGPRsForWavesPerEU: 85
; Occupancy: 16
; WaveLimiterHint : 0
; COMPUTE_PGM_RSRC2:SCRATCH_EN: 0
; COMPUTE_PGM_RSRC2:USER_SGPR: 13
; COMPUTE_PGM_RSRC2:TRAP_HANDLER: 0
; COMPUTE_PGM_RSRC2:TGID_X_EN: 1
; COMPUTE_PGM_RSRC2:TGID_Y_EN: 1
; COMPUTE_PGM_RSRC2:TGID_Z_EN: 1
; COMPUTE_PGM_RSRC2:TIDIG_COMP_CNT: 1
	.section	.text._ZL41rocblas_syrkx_herkx_small_restrict_kernelIi19rocblas_complex_numIfELi16ELb1ELb1ELc67ELc85EKS1_S1_EviT_T0_PT6_S3_lS6_S3_lS4_PT7_S3_li,"axG",@progbits,_ZL41rocblas_syrkx_herkx_small_restrict_kernelIi19rocblas_complex_numIfELi16ELb1ELb1ELc67ELc85EKS1_S1_EviT_T0_PT6_S3_lS6_S3_lS4_PT7_S3_li,comdat
	.globl	_ZL41rocblas_syrkx_herkx_small_restrict_kernelIi19rocblas_complex_numIfELi16ELb1ELb1ELc67ELc85EKS1_S1_EviT_T0_PT6_S3_lS6_S3_lS4_PT7_S3_li ; -- Begin function _ZL41rocblas_syrkx_herkx_small_restrict_kernelIi19rocblas_complex_numIfELi16ELb1ELb1ELc67ELc85EKS1_S1_EviT_T0_PT6_S3_lS6_S3_lS4_PT7_S3_li
	.p2align	8
	.type	_ZL41rocblas_syrkx_herkx_small_restrict_kernelIi19rocblas_complex_numIfELi16ELb1ELb1ELc67ELc85EKS1_S1_EviT_T0_PT6_S3_lS6_S3_lS4_PT7_S3_li,@function
_ZL41rocblas_syrkx_herkx_small_restrict_kernelIi19rocblas_complex_numIfELi16ELb1ELb1ELc67ELc85EKS1_S1_EviT_T0_PT6_S3_lS6_S3_lS4_PT7_S3_li: ; @_ZL41rocblas_syrkx_herkx_small_restrict_kernelIi19rocblas_complex_numIfELi16ELb1ELb1ELc67ELc85EKS1_S1_EviT_T0_PT6_S3_lS6_S3_lS4_PT7_S3_li
; %bb.0:
	s_clause 0x1
	s_load_b32 s2, s[0:1], 0x4
	s_load_b128 s[4:7], s[0:1], 0x8
	v_dual_mov_b32 v11, 0 :: v_dual_and_b32 v2, 0x3ff, v0
	v_bfe_u32 v1, v0, 10, 10
	v_mov_b32_e32 v10, 0
	s_mov_b32 s3, 0
	s_delay_alu instid0(VALU_DEP_3) | instskip(NEXT) | instid1(VALU_DEP_3)
	v_lshl_add_u32 v0, s13, 4, v2
	v_lshl_add_u32 v5, s14, 4, v1
	s_waitcnt lgkmcnt(0)
	s_cmp_lt_i32 s2, 1
	s_cbranch_scc1 .LBB350_3
; %bb.1:
	s_clause 0x3
	s_load_b32 s14, s[0:1], 0x30
	s_load_b32 s16, s[0:1], 0x18
	s_load_b64 s[12:13], s[0:1], 0x38
	s_load_b128 s[8:11], s[0:1], 0x20
	v_lshlrev_b32_e32 v3, 7, v1
	v_dual_mov_b32 v11, 0 :: v_dual_lshlrev_b32 v6, 3, v2
	v_lshlrev_b32_e32 v10, 3, v1
	s_delay_alu instid0(VALU_DEP_3) | instskip(NEXT) | instid1(VALU_DEP_3)
	v_add_nc_u32_e32 v7, 0x800, v3
	v_add_nc_u32_e32 v8, v6, v3
	s_delay_alu instid0(VALU_DEP_2)
	v_add_nc_u32_e32 v9, v7, v6
	s_waitcnt lgkmcnt(0)
	v_mad_i64_i32 v[1:2], null, s14, v5, 0
	v_mad_i64_i32 v[3:4], null, s16, v0, 0
	s_mul_i32 s9, s9, s15
	s_mul_hi_u32 s16, s8, s15
	s_mul_i32 s8, s8, s15
	s_add_i32 s9, s16, s9
	s_mul_i32 s13, s13, s15
	s_mul_hi_u32 s14, s12, s15
	s_delay_alu instid0(VALU_DEP_1) | instskip(SKIP_4) | instid1(VALU_DEP_2)
	v_lshlrev_b64 v[3:4], 3, v[3:4]
	v_lshlrev_b64 v[1:2], 3, v[1:2]
	s_lshl_b64 s[8:9], s[8:9], 3
	s_mul_i32 s12, s12, s15
	s_add_i32 s13, s14, s13
	v_add_co_u32 v3, vcc_lo, v3, s8
	s_lshl_b64 s[12:13], s[12:13], 3
	v_add_co_ci_u32_e32 v4, vcc_lo, s9, v4, vcc_lo
	v_add_co_u32 v1, vcc_lo, v1, s12
	v_add_co_ci_u32_e32 v2, vcc_lo, s13, v2, vcc_lo
	v_add_co_u32 v3, vcc_lo, v3, v10
	s_delay_alu instid0(VALU_DEP_4) | instskip(NEXT) | instid1(VALU_DEP_4)
	v_add_co_ci_u32_e32 v4, vcc_lo, 0, v4, vcc_lo
	v_add_co_u32 v1, vcc_lo, v1, v6
	s_delay_alu instid0(VALU_DEP_4) | instskip(NEXT) | instid1(VALU_DEP_4)
	v_add_co_ci_u32_e32 v2, vcc_lo, 0, v2, vcc_lo
	v_add_co_u32 v3, vcc_lo, v3, s6
	s_delay_alu instid0(VALU_DEP_4) | instskip(NEXT) | instid1(VALU_DEP_4)
	v_add_co_ci_u32_e32 v4, vcc_lo, s7, v4, vcc_lo
	v_add_co_u32 v1, vcc_lo, s10, v1
	s_delay_alu instid0(VALU_DEP_4) | instskip(NEXT) | instid1(VALU_DEP_4)
	v_add_co_ci_u32_e32 v2, vcc_lo, s11, v2, vcc_lo
	v_add_co_u32 v3, vcc_lo, v3, 4
	s_delay_alu instid0(VALU_DEP_4)
	v_add_co_ci_u32_e32 v4, vcc_lo, 0, v4, vcc_lo
	v_mov_b32_e32 v10, 0
.LBB350_2:                              ; =>This Inner Loop Header: Depth=1
	global_load_b64 v[12:13], v[3:4], off offset:-4
	global_load_b64 v[14:15], v[1:2], off
	v_add_co_u32 v1, vcc_lo, 0x80, v1
	v_add_co_ci_u32_e32 v2, vcc_lo, 0, v2, vcc_lo
	v_add_co_u32 v3, vcc_lo, 0x80, v3
	v_add_co_ci_u32_e32 v4, vcc_lo, 0, v4, vcc_lo
	s_add_i32 s3, s3, 16
	s_delay_alu instid0(SALU_CYCLE_1)
	s_cmp_lt_i32 s3, s2
	s_waitcnt vmcnt(1)
	v_xor_b32_e32 v13, 0x80000000, v13
	ds_store_b64 v8, v[12:13]
	s_waitcnt vmcnt(0)
	ds_store_b64 v9, v[14:15]
	s_waitcnt lgkmcnt(0)
	s_barrier
	buffer_gl0_inv
	ds_load_2addr_b64 v[12:15], v6 offset1:16
	ds_load_b128 v[16:19], v7
	ds_load_b128 v[20:23], v7 offset:16
	ds_load_2addr_b64 v[24:27], v6 offset0:32 offset1:48
	ds_load_2addr_b64 v[28:31], v6 offset0:64 offset1:80
	ds_load_b128 v[32:35], v7 offset:32
	ds_load_b128 v[36:39], v7 offset:48
	ds_load_2addr_b64 v[40:43], v6 offset0:96 offset1:112
	ds_load_2addr_b64 v[44:47], v6 offset0:128 offset1:144
	;; [unrolled: 1-line block ×3, first 2 shown]
	ds_load_b128 v[52:55], v7 offset:64
	ds_load_b128 v[56:59], v7 offset:80
	ds_load_2addr_b64 v[60:63], v6 offset0:192 offset1:208
	ds_load_2addr_b64 v[64:67], v6 offset0:224 offset1:240
	ds_load_b128 v[68:71], v7 offset:96
	ds_load_b128 v[72:75], v7 offset:112
	s_waitcnt lgkmcnt(0)
	s_barrier
	buffer_gl0_inv
	v_dual_mul_f32 v76, v17, v13 :: v_dual_mul_f32 v77, v19, v15
	v_mul_f32_e32 v13, v16, v13
	v_dual_mul_f32 v15, v18, v15 :: v_dual_mul_f32 v78, v21, v25
	v_mul_f32_e32 v25, v20, v25
	v_dual_mul_f32 v79, v23, v27 :: v_dual_mul_f32 v80, v33, v29
	v_fma_f32 v16, v16, v12, -v76
	v_mul_f32_e32 v29, v32, v29
	s_delay_alu instid0(VALU_DEP_4) | instskip(NEXT) | instid1(VALU_DEP_4)
	v_fmac_f32_e32 v25, v21, v24
	v_fma_f32 v21, v22, v26, -v79
	v_fmac_f32_e32 v13, v17, v12
	v_fma_f32 v12, v18, v14, -v77
	v_add_f32_e32 v10, v10, v16
	v_dual_mul_f32 v27, v22, v27 :: v_dual_mul_f32 v82, v37, v41
	v_mul_f32_e32 v41, v36, v41
	v_fma_f32 v20, v20, v24, -v78
	s_delay_alu instid0(VALU_DEP_4) | instskip(SKIP_2) | instid1(VALU_DEP_3)
	v_dual_add_f32 v10, v10, v12 :: v_dual_fmac_f32 v15, v19, v14
	v_dual_mul_f32 v81, v35, v31 :: v_dual_mul_f32 v84, v53, v45
	v_dual_mul_f32 v83, v39, v43 :: v_dual_mul_f32 v16, v72, v65
	v_add_f32_e32 v10, v10, v20
	v_fma_f32 v20, v32, v28, -v80
	v_mul_f32_e32 v14, v55, v47
	v_mul_f32_e32 v17, v54, v47
	v_dual_mul_f32 v31, v34, v31 :: v_dual_mul_f32 v18, v57, v49
	v_add_f32_e32 v10, v10, v21
	v_mul_f32_e32 v19, v56, v49
	v_fma_f32 v21, v34, v30, -v81
	v_mul_f32_e32 v49, v58, v51
	v_fma_f32 v14, v54, v46, -v14
	v_dual_add_f32 v10, v10, v20 :: v_dual_mul_f32 v47, v59, v51
	v_fma_f32 v20, v36, v40, -v82
	v_fma_f32 v18, v56, v48, -v18
	v_mul_f32_e32 v22, v71, v63
	s_delay_alu instid0(VALU_DEP_4) | instskip(SKIP_3) | instid1(VALU_DEP_4)
	v_add_f32_e32 v10, v10, v21
	v_mul_f32_e32 v51, v69, v61
	v_fma_f32 v21, v38, v42, -v83
	v_dual_mul_f32 v45, v52, v45 :: v_dual_mul_f32 v12, v75, v67
	v_add_f32_e32 v10, v10, v20
	v_fma_f32 v20, v52, v44, -v84
	v_fmac_f32_e32 v31, v35, v30
	v_dual_mul_f32 v43, v38, v43 :: v_dual_fmac_f32 v16, v73, v64
	s_delay_alu instid0(VALU_DEP_4) | instskip(SKIP_3) | instid1(VALU_DEP_4)
	v_add_f32_e32 v10, v10, v21
	v_mul_f32_e32 v61, v68, v61
	v_fma_f32 v12, v74, v66, -v12
	v_fmac_f32_e32 v41, v37, v40
	v_dual_fmac_f32 v43, v39, v42 :: v_dual_add_f32 v10, v10, v20
	v_add_f32_e32 v11, v11, v13
	v_fmac_f32_e32 v45, v53, v44
	v_fmac_f32_e32 v17, v55, v46
	s_delay_alu instid0(VALU_DEP_4) | instskip(SKIP_3) | instid1(VALU_DEP_4)
	v_dual_fmac_f32 v19, v57, v48 :: v_dual_add_f32 v10, v10, v14
	v_mul_f32_e32 v13, v73, v65
	v_fma_f32 v14, v58, v50, -v47
	v_fmac_f32_e32 v49, v59, v50
	v_dual_fmac_f32 v61, v69, v60 :: v_dual_add_f32 v10, v10, v18
	v_add_f32_e32 v11, v11, v15
	v_fma_f32 v13, v72, v64, -v13
	v_fmac_f32_e32 v29, v33, v28
	v_mul_f32_e32 v15, v74, v67
	v_add_f32_e32 v10, v10, v14
	v_fmac_f32_e32 v27, v23, v26
	v_fma_f32 v14, v70, v62, -v22
	v_add_f32_e32 v11, v11, v25
	v_mul_f32_e32 v23, v70, v63
	v_fmac_f32_e32 v15, v75, v66
	s_delay_alu instid0(VALU_DEP_3) | instskip(NEXT) | instid1(VALU_DEP_3)
	v_add_f32_e32 v11, v11, v27
	v_fmac_f32_e32 v23, v71, v62
	s_delay_alu instid0(VALU_DEP_2) | instskip(NEXT) | instid1(VALU_DEP_1)
	v_add_f32_e32 v11, v11, v29
	v_add_f32_e32 v11, v11, v31
	s_delay_alu instid0(VALU_DEP_1) | instskip(NEXT) | instid1(VALU_DEP_1)
	v_add_f32_e32 v11, v11, v41
	v_add_f32_e32 v11, v11, v43
	s_delay_alu instid0(VALU_DEP_1) | instskip(NEXT) | instid1(VALU_DEP_1)
	v_add_f32_e32 v11, v11, v45
	v_add_f32_e32 v11, v11, v17
	v_fma_f32 v17, v68, v60, -v51
	s_delay_alu instid0(VALU_DEP_1) | instskip(NEXT) | instid1(VALU_DEP_1)
	v_dual_add_f32 v11, v11, v19 :: v_dual_add_f32 v10, v10, v17
	v_dual_add_f32 v11, v11, v49 :: v_dual_add_f32 v10, v10, v14
	s_delay_alu instid0(VALU_DEP_1) | instskip(NEXT) | instid1(VALU_DEP_1)
	v_add_f32_e32 v11, v11, v61
	v_dual_add_f32 v10, v10, v13 :: v_dual_add_f32 v11, v11, v23
	s_delay_alu instid0(VALU_DEP_1) | instskip(NEXT) | instid1(VALU_DEP_2)
	v_add_f32_e32 v10, v10, v12
	v_add_f32_e32 v11, v11, v16
	s_delay_alu instid0(VALU_DEP_1)
	v_add_f32_e32 v11, v11, v15
	s_cbranch_scc1 .LBB350_2
.LBB350_3:
	s_mov_b32 s2, exec_lo
	v_cmpx_le_i32_e64 v0, v5
	s_cbranch_execz .LBB350_6
; %bb.4:
	s_clause 0x2
	s_load_b32 s6, s[0:1], 0x50
	s_load_b64 s[2:3], s[0:1], 0x58
	s_load_b64 s[0:1], s[0:1], 0x48
	v_mul_f32_e32 v7, s4, v11
	v_mul_f32_e32 v4, s5, v11
	v_ashrrev_i32_e32 v1, 31, v0
	s_delay_alu instid0(VALU_DEP_3) | instskip(NEXT) | instid1(VALU_DEP_3)
	v_fmac_f32_e32 v7, s5, v10
	v_fma_f32 v6, v10, s4, -v4
	s_delay_alu instid0(VALU_DEP_3)
	v_lshlrev_b64 v[8:9], 3, v[0:1]
	s_waitcnt lgkmcnt(0)
	v_mad_i64_i32 v[2:3], null, s6, v5, 0
	s_mul_i32 s3, s15, s3
	s_mul_hi_u32 s4, s15, s2
	s_mul_i32 s2, s15, s2
	s_add_i32 s3, s4, s3
	s_delay_alu instid0(SALU_CYCLE_1) | instskip(NEXT) | instid1(VALU_DEP_1)
	s_lshl_b64 s[2:3], s[2:3], 3
	v_lshlrev_b64 v[2:3], 3, v[2:3]
	s_add_u32 s0, s0, s2
	s_addc_u32 s1, s1, s3
	s_delay_alu instid0(VALU_DEP_1) | instskip(NEXT) | instid1(VALU_DEP_2)
	v_add_co_u32 v1, vcc_lo, s0, v2
	v_add_co_ci_u32_e32 v2, vcc_lo, s1, v3, vcc_lo
	s_delay_alu instid0(VALU_DEP_2) | instskip(NEXT) | instid1(VALU_DEP_2)
	v_add_co_u32 v1, vcc_lo, v1, v8
	v_add_co_ci_u32_e32 v2, vcc_lo, v2, v9, vcc_lo
	v_cmp_eq_u32_e32 vcc_lo, v0, v5
	global_store_b64 v[1:2], v[6:7], off
	s_and_b32 exec_lo, exec_lo, vcc_lo
	s_cbranch_execz .LBB350_6
; %bb.5:
	v_mov_b32_e32 v0, 0
	global_store_b32 v[1:2], v0, off offset:4
.LBB350_6:
	s_nop 0
	s_sendmsg sendmsg(MSG_DEALLOC_VGPRS)
	s_endpgm
	.section	.rodata,"a",@progbits
	.p2align	6, 0x0
	.amdhsa_kernel _ZL41rocblas_syrkx_herkx_small_restrict_kernelIi19rocblas_complex_numIfELi16ELb1ELb1ELc67ELc85EKS1_S1_EviT_T0_PT6_S3_lS6_S3_lS4_PT7_S3_li
		.amdhsa_group_segment_fixed_size 4096
		.amdhsa_private_segment_fixed_size 0
		.amdhsa_kernarg_size 100
		.amdhsa_user_sgpr_count 13
		.amdhsa_user_sgpr_dispatch_ptr 0
		.amdhsa_user_sgpr_queue_ptr 0
		.amdhsa_user_sgpr_kernarg_segment_ptr 1
		.amdhsa_user_sgpr_dispatch_id 0
		.amdhsa_user_sgpr_private_segment_size 0
		.amdhsa_wavefront_size32 1
		.amdhsa_uses_dynamic_stack 0
		.amdhsa_enable_private_segment 0
		.amdhsa_system_sgpr_workgroup_id_x 1
		.amdhsa_system_sgpr_workgroup_id_y 1
		.amdhsa_system_sgpr_workgroup_id_z 1
		.amdhsa_system_sgpr_workgroup_info 0
		.amdhsa_system_vgpr_workitem_id 1
		.amdhsa_next_free_vgpr 85
		.amdhsa_next_free_sgpr 17
		.amdhsa_reserve_vcc 1
		.amdhsa_float_round_mode_32 0
		.amdhsa_float_round_mode_16_64 0
		.amdhsa_float_denorm_mode_32 3
		.amdhsa_float_denorm_mode_16_64 3
		.amdhsa_dx10_clamp 1
		.amdhsa_ieee_mode 1
		.amdhsa_fp16_overflow 0
		.amdhsa_workgroup_processor_mode 1
		.amdhsa_memory_ordered 1
		.amdhsa_forward_progress 0
		.amdhsa_shared_vgpr_count 0
		.amdhsa_exception_fp_ieee_invalid_op 0
		.amdhsa_exception_fp_denorm_src 0
		.amdhsa_exception_fp_ieee_div_zero 0
		.amdhsa_exception_fp_ieee_overflow 0
		.amdhsa_exception_fp_ieee_underflow 0
		.amdhsa_exception_fp_ieee_inexact 0
		.amdhsa_exception_int_div_zero 0
	.end_amdhsa_kernel
	.section	.text._ZL41rocblas_syrkx_herkx_small_restrict_kernelIi19rocblas_complex_numIfELi16ELb1ELb1ELc67ELc85EKS1_S1_EviT_T0_PT6_S3_lS6_S3_lS4_PT7_S3_li,"axG",@progbits,_ZL41rocblas_syrkx_herkx_small_restrict_kernelIi19rocblas_complex_numIfELi16ELb1ELb1ELc67ELc85EKS1_S1_EviT_T0_PT6_S3_lS6_S3_lS4_PT7_S3_li,comdat
.Lfunc_end350:
	.size	_ZL41rocblas_syrkx_herkx_small_restrict_kernelIi19rocblas_complex_numIfELi16ELb1ELb1ELc67ELc85EKS1_S1_EviT_T0_PT6_S3_lS6_S3_lS4_PT7_S3_li, .Lfunc_end350-_ZL41rocblas_syrkx_herkx_small_restrict_kernelIi19rocblas_complex_numIfELi16ELb1ELb1ELc67ELc85EKS1_S1_EviT_T0_PT6_S3_lS6_S3_lS4_PT7_S3_li
                                        ; -- End function
	.section	.AMDGPU.csdata,"",@progbits
; Kernel info:
; codeLenInByte = 1312
; NumSgprs: 19
; NumVgprs: 85
; ScratchSize: 0
; MemoryBound: 0
; FloatMode: 240
; IeeeMode: 1
; LDSByteSize: 4096 bytes/workgroup (compile time only)
; SGPRBlocks: 2
; VGPRBlocks: 10
; NumSGPRsForWavesPerEU: 19
; NumVGPRsForWavesPerEU: 85
; Occupancy: 16
; WaveLimiterHint : 0
; COMPUTE_PGM_RSRC2:SCRATCH_EN: 0
; COMPUTE_PGM_RSRC2:USER_SGPR: 13
; COMPUTE_PGM_RSRC2:TRAP_HANDLER: 0
; COMPUTE_PGM_RSRC2:TGID_X_EN: 1
; COMPUTE_PGM_RSRC2:TGID_Y_EN: 1
; COMPUTE_PGM_RSRC2:TGID_Z_EN: 1
; COMPUTE_PGM_RSRC2:TIDIG_COMP_CNT: 1
	.section	.text._ZL41rocblas_syrkx_herkx_small_restrict_kernelIi19rocblas_complex_numIfELi16ELb1ELb1ELc78ELc85EKS1_S1_EviT_T0_PT6_S3_lS6_S3_lS4_PT7_S3_li,"axG",@progbits,_ZL41rocblas_syrkx_herkx_small_restrict_kernelIi19rocblas_complex_numIfELi16ELb1ELb1ELc78ELc85EKS1_S1_EviT_T0_PT6_S3_lS6_S3_lS4_PT7_S3_li,comdat
	.globl	_ZL41rocblas_syrkx_herkx_small_restrict_kernelIi19rocblas_complex_numIfELi16ELb1ELb1ELc78ELc85EKS1_S1_EviT_T0_PT6_S3_lS6_S3_lS4_PT7_S3_li ; -- Begin function _ZL41rocblas_syrkx_herkx_small_restrict_kernelIi19rocblas_complex_numIfELi16ELb1ELb1ELc78ELc85EKS1_S1_EviT_T0_PT6_S3_lS6_S3_lS4_PT7_S3_li
	.p2align	8
	.type	_ZL41rocblas_syrkx_herkx_small_restrict_kernelIi19rocblas_complex_numIfELi16ELb1ELb1ELc78ELc85EKS1_S1_EviT_T0_PT6_S3_lS6_S3_lS4_PT7_S3_li,@function
_ZL41rocblas_syrkx_herkx_small_restrict_kernelIi19rocblas_complex_numIfELi16ELb1ELb1ELc78ELc85EKS1_S1_EviT_T0_PT6_S3_lS6_S3_lS4_PT7_S3_li: ; @_ZL41rocblas_syrkx_herkx_small_restrict_kernelIi19rocblas_complex_numIfELi16ELb1ELb1ELc78ELc85EKS1_S1_EviT_T0_PT6_S3_lS6_S3_lS4_PT7_S3_li
; %bb.0:
	s_clause 0x1
	s_load_b32 s12, s[0:1], 0x4
	s_load_b128 s[4:7], s[0:1], 0x8
	v_dual_mov_b32 v12, 0 :: v_dual_and_b32 v5, 0x3ff, v0
	v_bfe_u32 v4, v0, 10, 10
	v_mov_b32_e32 v11, 0
	s_delay_alu instid0(VALU_DEP_3) | instskip(SKIP_1) | instid1(VALU_DEP_3)
	v_lshl_add_u32 v0, s13, 4, v5
	s_mov_b32 s13, 0
	v_lshl_add_u32 v2, s14, 4, v4
	s_delay_alu instid0(VALU_DEP_2)
	v_ashrrev_i32_e32 v1, 31, v0
	s_waitcnt lgkmcnt(0)
	s_cmp_lt_i32 s12, 1
	s_cbranch_scc1 .LBB351_3
; %bb.1:
	s_clause 0x3
	s_load_b32 s2, s[0:1], 0x30
	s_load_b64 s[16:17], s[0:1], 0x38
	s_load_b128 s[8:11], s[0:1], 0x20
	s_load_b32 s18, s[0:1], 0x18
	v_lshlrev_b32_e32 v6, 7, v4
	v_lshlrev_b32_e32 v7, 3, v5
	v_ashrrev_i32_e32 v3, 31, v2
	v_lshlrev_b64 v[11:12], 3, v[0:1]
	s_delay_alu instid0(VALU_DEP_4) | instskip(NEXT) | instid1(VALU_DEP_4)
	v_add_nc_u32_e32 v8, 0x800, v6
	v_add_nc_u32_e32 v9, v7, v6
	s_delay_alu instid0(VALU_DEP_4)
	v_lshlrev_b64 v[13:14], 3, v[2:3]
	s_waitcnt lgkmcnt(0)
	v_mad_i64_i32 v[15:16], null, s2, v5, 0
	s_mul_i32 s14, s17, s15
	s_mul_hi_u32 s17, s16, s15
	v_mad_i64_i32 v[5:6], null, s18, v4, 0
	s_mul_i32 s16, s16, s15
	s_add_i32 s17, s17, s14
	s_delay_alu instid0(VALU_DEP_2)
	v_lshlrev_b64 v[3:4], 3, v[15:16]
	s_lshl_b64 s[16:17], s[16:17], 3
	s_mul_i32 s9, s9, s15
	s_mul_hi_u32 s19, s8, s15
	s_mul_i32 s8, s8, s15
	s_add_i32 s9, s19, s9
	v_add_co_u32 v15, vcc_lo, s16, v3
	v_add_co_ci_u32_e32 v16, vcc_lo, s17, v4, vcc_lo
	v_lshlrev_b64 v[3:4], 3, v[5:6]
	s_delay_alu instid0(VALU_DEP_3) | instskip(SKIP_1) | instid1(VALU_DEP_3)
	v_add_co_u32 v5, vcc_lo, v15, v13
	s_lshl_b64 s[8:9], s[8:9], 3
	v_add_co_ci_u32_e32 v6, vcc_lo, v16, v14, vcc_lo
	s_delay_alu instid0(VALU_DEP_3) | instskip(NEXT) | instid1(VALU_DEP_4)
	v_add_co_u32 v3, vcc_lo, s8, v3
	v_add_co_ci_u32_e32 v4, vcc_lo, s9, v4, vcc_lo
	v_add_co_u32 v5, vcc_lo, v5, s10
	s_delay_alu instid0(VALU_DEP_4) | instskip(NEXT) | instid1(VALU_DEP_4)
	v_add_co_ci_u32_e32 v6, vcc_lo, s11, v6, vcc_lo
	v_add_co_u32 v11, vcc_lo, v3, v11
	s_delay_alu instid0(VALU_DEP_4) | instskip(NEXT) | instid1(VALU_DEP_4)
	;; [unrolled: 3-line block ×3, first 2 shown]
	v_add_co_ci_u32_e32 v4, vcc_lo, 0, v6, vcc_lo
	v_add_co_u32 v5, vcc_lo, s6, v11
	s_delay_alu instid0(VALU_DEP_4)
	v_add_co_ci_u32_e32 v6, vcc_lo, s7, v12, vcc_lo
	v_mov_b32_e32 v12, 0
	v_dual_mov_b32 v11, 0 :: v_dual_add_nc_u32 v10, v8, v7
	s_ashr_i32 s3, s2, 31
	s_ashr_i32 s19, s18, 31
	s_lshl_b64 s[2:3], s[2:3], 7
	s_lshl_b64 s[6:7], s[18:19], 7
.LBB351_2:                              ; =>This Inner Loop Header: Depth=1
	global_load_b64 v[13:14], v[3:4], off offset:-4
	global_load_b64 v[15:16], v[5:6], off
	v_add_co_u32 v3, vcc_lo, v3, s2
	v_add_co_ci_u32_e32 v4, vcc_lo, s3, v4, vcc_lo
	v_add_co_u32 v5, vcc_lo, v5, s6
	v_add_co_ci_u32_e32 v6, vcc_lo, s7, v6, vcc_lo
	s_add_i32 s13, s13, 16
	s_delay_alu instid0(SALU_CYCLE_1)
	s_cmp_lt_i32 s13, s12
	s_waitcnt vmcnt(1)
	v_xor_b32_e32 v14, 0x80000000, v14
	s_waitcnt vmcnt(0)
	ds_store_b64 v9, v[15:16]
	ds_store_b64 v10, v[13:14]
	s_waitcnt lgkmcnt(0)
	s_barrier
	buffer_gl0_inv
	ds_load_2addr_b64 v[13:16], v7 offset1:16
	ds_load_b128 v[17:20], v8
	ds_load_b128 v[21:24], v8 offset:16
	ds_load_2addr_b64 v[25:28], v7 offset0:32 offset1:48
	ds_load_2addr_b64 v[29:32], v7 offset0:64 offset1:80
	ds_load_b128 v[33:36], v8 offset:32
	ds_load_b128 v[37:40], v8 offset:48
	ds_load_2addr_b64 v[41:44], v7 offset0:96 offset1:112
	ds_load_2addr_b64 v[45:48], v7 offset0:128 offset1:144
	;; [unrolled: 1-line block ×3, first 2 shown]
	ds_load_b128 v[53:56], v8 offset:64
	ds_load_b128 v[57:60], v8 offset:80
	ds_load_2addr_b64 v[61:64], v7 offset0:192 offset1:208
	ds_load_2addr_b64 v[65:68], v7 offset0:224 offset1:240
	ds_load_b128 v[69:72], v8 offset:96
	ds_load_b128 v[73:76], v8 offset:112
	s_waitcnt lgkmcnt(0)
	s_barrier
	buffer_gl0_inv
	v_dual_mul_f32 v77, v18, v14 :: v_dual_mul_f32 v78, v20, v16
	v_mul_f32_e32 v14, v17, v14
	v_dual_mul_f32 v16, v19, v16 :: v_dual_mul_f32 v79, v22, v26
	v_mul_f32_e32 v26, v21, v26
	v_dual_mul_f32 v80, v24, v28 :: v_dual_mul_f32 v81, v34, v30
	v_fma_f32 v17, v17, v13, -v77
	v_mul_f32_e32 v30, v33, v30
	s_delay_alu instid0(VALU_DEP_4) | instskip(NEXT) | instid1(VALU_DEP_4)
	v_fmac_f32_e32 v26, v22, v25
	v_fma_f32 v22, v23, v27, -v80
	v_fmac_f32_e32 v14, v18, v13
	v_fma_f32 v13, v19, v15, -v78
	v_add_f32_e32 v11, v11, v17
	v_dual_mul_f32 v28, v23, v28 :: v_dual_mul_f32 v83, v38, v42
	v_mul_f32_e32 v42, v37, v42
	v_fma_f32 v21, v21, v25, -v79
	s_delay_alu instid0(VALU_DEP_4) | instskip(SKIP_2) | instid1(VALU_DEP_3)
	v_dual_add_f32 v11, v11, v13 :: v_dual_fmac_f32 v16, v20, v15
	v_dual_mul_f32 v82, v36, v32 :: v_dual_mul_f32 v85, v54, v46
	v_dual_mul_f32 v84, v40, v44 :: v_dual_mul_f32 v17, v73, v66
	v_add_f32_e32 v11, v11, v21
	v_fma_f32 v21, v33, v29, -v81
	v_mul_f32_e32 v15, v56, v48
	v_mul_f32_e32 v18, v55, v48
	v_dual_mul_f32 v32, v35, v32 :: v_dual_mul_f32 v19, v58, v50
	v_add_f32_e32 v11, v11, v22
	v_mul_f32_e32 v20, v57, v50
	v_fma_f32 v22, v35, v31, -v82
	v_mul_f32_e32 v50, v59, v52
	v_fma_f32 v15, v55, v47, -v15
	v_dual_add_f32 v11, v11, v21 :: v_dual_mul_f32 v48, v60, v52
	v_fma_f32 v21, v37, v41, -v83
	v_fma_f32 v19, v57, v49, -v19
	v_mul_f32_e32 v23, v72, v64
	s_delay_alu instid0(VALU_DEP_4) | instskip(SKIP_3) | instid1(VALU_DEP_4)
	v_add_f32_e32 v11, v11, v22
	v_mul_f32_e32 v52, v70, v62
	v_fma_f32 v22, v39, v43, -v84
	v_dual_mul_f32 v46, v53, v46 :: v_dual_mul_f32 v13, v76, v68
	v_add_f32_e32 v11, v11, v21
	v_fma_f32 v21, v53, v45, -v85
	v_fmac_f32_e32 v32, v36, v31
	v_dual_mul_f32 v44, v39, v44 :: v_dual_fmac_f32 v17, v74, v65
	s_delay_alu instid0(VALU_DEP_4) | instskip(SKIP_3) | instid1(VALU_DEP_4)
	v_add_f32_e32 v11, v11, v22
	v_mul_f32_e32 v62, v69, v62
	v_fma_f32 v13, v75, v67, -v13
	v_fmac_f32_e32 v42, v38, v41
	v_dual_fmac_f32 v44, v40, v43 :: v_dual_add_f32 v11, v11, v21
	v_add_f32_e32 v12, v12, v14
	v_fmac_f32_e32 v46, v54, v45
	v_fmac_f32_e32 v18, v56, v47
	s_delay_alu instid0(VALU_DEP_4) | instskip(SKIP_3) | instid1(VALU_DEP_4)
	v_dual_fmac_f32 v20, v58, v49 :: v_dual_add_f32 v11, v11, v15
	v_mul_f32_e32 v14, v74, v66
	v_fma_f32 v15, v59, v51, -v48
	v_fmac_f32_e32 v50, v60, v51
	v_dual_fmac_f32 v62, v70, v61 :: v_dual_add_f32 v11, v11, v19
	v_add_f32_e32 v12, v12, v16
	v_fma_f32 v14, v73, v65, -v14
	v_fmac_f32_e32 v30, v34, v29
	v_mul_f32_e32 v16, v75, v68
	v_add_f32_e32 v11, v11, v15
	v_fmac_f32_e32 v28, v24, v27
	v_fma_f32 v15, v71, v63, -v23
	v_add_f32_e32 v12, v12, v26
	v_mul_f32_e32 v24, v71, v64
	v_fmac_f32_e32 v16, v76, v67
	s_delay_alu instid0(VALU_DEP_3) | instskip(NEXT) | instid1(VALU_DEP_3)
	v_add_f32_e32 v12, v12, v28
	v_fmac_f32_e32 v24, v72, v63
	s_delay_alu instid0(VALU_DEP_2) | instskip(NEXT) | instid1(VALU_DEP_1)
	v_add_f32_e32 v12, v12, v30
	v_add_f32_e32 v12, v12, v32
	s_delay_alu instid0(VALU_DEP_1) | instskip(NEXT) | instid1(VALU_DEP_1)
	v_add_f32_e32 v12, v12, v42
	v_add_f32_e32 v12, v12, v44
	s_delay_alu instid0(VALU_DEP_1) | instskip(NEXT) | instid1(VALU_DEP_1)
	v_add_f32_e32 v12, v12, v46
	v_add_f32_e32 v12, v12, v18
	v_fma_f32 v18, v69, v61, -v52
	s_delay_alu instid0(VALU_DEP_1) | instskip(NEXT) | instid1(VALU_DEP_1)
	v_dual_add_f32 v12, v12, v20 :: v_dual_add_f32 v11, v11, v18
	v_dual_add_f32 v12, v12, v50 :: v_dual_add_f32 v11, v11, v15
	s_delay_alu instid0(VALU_DEP_1) | instskip(NEXT) | instid1(VALU_DEP_1)
	v_add_f32_e32 v12, v12, v62
	v_dual_add_f32 v11, v11, v14 :: v_dual_add_f32 v12, v12, v24
	s_delay_alu instid0(VALU_DEP_1) | instskip(NEXT) | instid1(VALU_DEP_2)
	v_add_f32_e32 v11, v11, v13
	v_add_f32_e32 v12, v12, v17
	s_delay_alu instid0(VALU_DEP_1)
	v_add_f32_e32 v12, v12, v16
	s_cbranch_scc1 .LBB351_2
.LBB351_3:
	s_mov_b32 s2, exec_lo
	v_cmpx_le_i32_e64 v0, v2
	s_cbranch_execz .LBB351_6
; %bb.4:
	s_clause 0x2
	s_load_b32 s6, s[0:1], 0x50
	s_load_b64 s[2:3], s[0:1], 0x58
	s_load_b64 s[0:1], s[0:1], 0x48
	v_lshlrev_b64 v[7:8], 3, v[0:1]
	v_mul_f32_e32 v6, s4, v12
	s_delay_alu instid0(VALU_DEP_1) | instskip(NEXT) | instid1(VALU_DEP_1)
	v_dual_mul_f32 v5, s5, v12 :: v_dual_fmac_f32 v6, s5, v11
	v_fma_f32 v5, v11, s4, -v5
	s_waitcnt lgkmcnt(0)
	v_mad_i64_i32 v[3:4], null, s6, v2, 0
	s_mul_i32 s3, s15, s3
	s_mul_hi_u32 s6, s15, s2
	s_mul_i32 s2, s15, s2
	s_add_i32 s3, s6, s3
	s_delay_alu instid0(SALU_CYCLE_1) | instskip(NEXT) | instid1(VALU_DEP_1)
	s_lshl_b64 s[2:3], s[2:3], 3
	v_lshlrev_b64 v[3:4], 3, v[3:4]
	s_add_u32 s0, s0, s2
	s_addc_u32 s1, s1, s3
	s_delay_alu instid0(VALU_DEP_1) | instskip(NEXT) | instid1(VALU_DEP_2)
	v_add_co_u32 v1, vcc_lo, s0, v3
	v_add_co_ci_u32_e32 v4, vcc_lo, s1, v4, vcc_lo
	s_delay_alu instid0(VALU_DEP_2) | instskip(NEXT) | instid1(VALU_DEP_2)
	v_add_co_u32 v3, vcc_lo, v1, v7
	v_add_co_ci_u32_e32 v4, vcc_lo, v4, v8, vcc_lo
	v_cmp_eq_u32_e32 vcc_lo, v0, v2
	global_store_b64 v[3:4], v[5:6], off
	s_and_b32 exec_lo, exec_lo, vcc_lo
	s_cbranch_execz .LBB351_6
; %bb.5:
	v_mov_b32_e32 v0, 0
	global_store_b32 v[3:4], v0, off offset:4
.LBB351_6:
	s_nop 0
	s_sendmsg sendmsg(MSG_DEALLOC_VGPRS)
	s_endpgm
	.section	.rodata,"a",@progbits
	.p2align	6, 0x0
	.amdhsa_kernel _ZL41rocblas_syrkx_herkx_small_restrict_kernelIi19rocblas_complex_numIfELi16ELb1ELb1ELc78ELc85EKS1_S1_EviT_T0_PT6_S3_lS6_S3_lS4_PT7_S3_li
		.amdhsa_group_segment_fixed_size 4096
		.amdhsa_private_segment_fixed_size 0
		.amdhsa_kernarg_size 100
		.amdhsa_user_sgpr_count 13
		.amdhsa_user_sgpr_dispatch_ptr 0
		.amdhsa_user_sgpr_queue_ptr 0
		.amdhsa_user_sgpr_kernarg_segment_ptr 1
		.amdhsa_user_sgpr_dispatch_id 0
		.amdhsa_user_sgpr_private_segment_size 0
		.amdhsa_wavefront_size32 1
		.amdhsa_uses_dynamic_stack 0
		.amdhsa_enable_private_segment 0
		.amdhsa_system_sgpr_workgroup_id_x 1
		.amdhsa_system_sgpr_workgroup_id_y 1
		.amdhsa_system_sgpr_workgroup_id_z 1
		.amdhsa_system_sgpr_workgroup_info 0
		.amdhsa_system_vgpr_workitem_id 1
		.amdhsa_next_free_vgpr 86
		.amdhsa_next_free_sgpr 20
		.amdhsa_reserve_vcc 1
		.amdhsa_float_round_mode_32 0
		.amdhsa_float_round_mode_16_64 0
		.amdhsa_float_denorm_mode_32 3
		.amdhsa_float_denorm_mode_16_64 3
		.amdhsa_dx10_clamp 1
		.amdhsa_ieee_mode 1
		.amdhsa_fp16_overflow 0
		.amdhsa_workgroup_processor_mode 1
		.amdhsa_memory_ordered 1
		.amdhsa_forward_progress 0
		.amdhsa_shared_vgpr_count 0
		.amdhsa_exception_fp_ieee_invalid_op 0
		.amdhsa_exception_fp_denorm_src 0
		.amdhsa_exception_fp_ieee_div_zero 0
		.amdhsa_exception_fp_ieee_overflow 0
		.amdhsa_exception_fp_ieee_underflow 0
		.amdhsa_exception_fp_ieee_inexact 0
		.amdhsa_exception_int_div_zero 0
	.end_amdhsa_kernel
	.section	.text._ZL41rocblas_syrkx_herkx_small_restrict_kernelIi19rocblas_complex_numIfELi16ELb1ELb1ELc78ELc85EKS1_S1_EviT_T0_PT6_S3_lS6_S3_lS4_PT7_S3_li,"axG",@progbits,_ZL41rocblas_syrkx_herkx_small_restrict_kernelIi19rocblas_complex_numIfELi16ELb1ELb1ELc78ELc85EKS1_S1_EviT_T0_PT6_S3_lS6_S3_lS4_PT7_S3_li,comdat
.Lfunc_end351:
	.size	_ZL41rocblas_syrkx_herkx_small_restrict_kernelIi19rocblas_complex_numIfELi16ELb1ELb1ELc78ELc85EKS1_S1_EviT_T0_PT6_S3_lS6_S3_lS4_PT7_S3_li, .Lfunc_end351-_ZL41rocblas_syrkx_herkx_small_restrict_kernelIi19rocblas_complex_numIfELi16ELb1ELb1ELc78ELc85EKS1_S1_EviT_T0_PT6_S3_lS6_S3_lS4_PT7_S3_li
                                        ; -- End function
	.section	.AMDGPU.csdata,"",@progbits
; Kernel info:
; codeLenInByte = 1340
; NumSgprs: 22
; NumVgprs: 86
; ScratchSize: 0
; MemoryBound: 0
; FloatMode: 240
; IeeeMode: 1
; LDSByteSize: 4096 bytes/workgroup (compile time only)
; SGPRBlocks: 2
; VGPRBlocks: 10
; NumSGPRsForWavesPerEU: 22
; NumVGPRsForWavesPerEU: 86
; Occupancy: 16
; WaveLimiterHint : 0
; COMPUTE_PGM_RSRC2:SCRATCH_EN: 0
; COMPUTE_PGM_RSRC2:USER_SGPR: 13
; COMPUTE_PGM_RSRC2:TRAP_HANDLER: 0
; COMPUTE_PGM_RSRC2:TGID_X_EN: 1
; COMPUTE_PGM_RSRC2:TGID_Y_EN: 1
; COMPUTE_PGM_RSRC2:TGID_Z_EN: 1
; COMPUTE_PGM_RSRC2:TIDIG_COMP_CNT: 1
	.section	.text._ZL41rocblas_syrkx_herkx_small_restrict_kernelIi19rocblas_complex_numIfELi16ELb0ELb1ELc84ELc76EKS1_S1_EviT_T0_PT6_S3_lS6_S3_lS4_PT7_S3_li,"axG",@progbits,_ZL41rocblas_syrkx_herkx_small_restrict_kernelIi19rocblas_complex_numIfELi16ELb0ELb1ELc84ELc76EKS1_S1_EviT_T0_PT6_S3_lS6_S3_lS4_PT7_S3_li,comdat
	.globl	_ZL41rocblas_syrkx_herkx_small_restrict_kernelIi19rocblas_complex_numIfELi16ELb0ELb1ELc84ELc76EKS1_S1_EviT_T0_PT6_S3_lS6_S3_lS4_PT7_S3_li ; -- Begin function _ZL41rocblas_syrkx_herkx_small_restrict_kernelIi19rocblas_complex_numIfELi16ELb0ELb1ELc84ELc76EKS1_S1_EviT_T0_PT6_S3_lS6_S3_lS4_PT7_S3_li
	.p2align	8
	.type	_ZL41rocblas_syrkx_herkx_small_restrict_kernelIi19rocblas_complex_numIfELi16ELb0ELb1ELc84ELc76EKS1_S1_EviT_T0_PT6_S3_lS6_S3_lS4_PT7_S3_li,@function
_ZL41rocblas_syrkx_herkx_small_restrict_kernelIi19rocblas_complex_numIfELi16ELb0ELb1ELc84ELc76EKS1_S1_EviT_T0_PT6_S3_lS6_S3_lS4_PT7_S3_li: ; @_ZL41rocblas_syrkx_herkx_small_restrict_kernelIi19rocblas_complex_numIfELi16ELb0ELb1ELc84ELc76EKS1_S1_EviT_T0_PT6_S3_lS6_S3_lS4_PT7_S3_li
; %bb.0:
	s_clause 0x3
	s_load_b32 s12, s[0:1], 0x4
	s_load_b128 s[8:11], s[0:1], 0x8
	s_load_b128 s[4:7], s[0:1], 0x38
	s_load_b64 s[2:3], s[0:1], 0x48
	v_dual_mov_b32 v11, 0 :: v_dual_and_b32 v2, 0x3ff, v0
	v_bfe_u32 v1, v0, 10, 10
	v_mov_b32_e32 v10, 0
	s_delay_alu instid0(VALU_DEP_3) | instskip(SKIP_1) | instid1(VALU_DEP_3)
	v_lshl_add_u32 v0, s13, 4, v2
	s_mov_b32 s13, 0
	v_lshl_add_u32 v5, s14, 4, v1
	s_waitcnt lgkmcnt(0)
	s_cmp_lt_i32 s12, 1
	s_cbranch_scc1 .LBB352_3
; %bb.1:
	s_clause 0x2
	s_load_b32 s14, s[0:1], 0x30
	s_load_b32 s20, s[0:1], 0x18
	s_load_b128 s[16:19], s[0:1], 0x20
	v_lshlrev_b32_e32 v3, 7, v1
	v_dual_mov_b32 v11, 0 :: v_dual_lshlrev_b32 v6, 3, v2
	v_lshlrev_b32_e32 v10, 3, v1
	s_mul_i32 s5, s5, s15
	s_delay_alu instid0(VALU_DEP_3) | instskip(NEXT) | instid1(VALU_DEP_3)
	v_add_nc_u32_e32 v8, 0x800, v3
	v_add_nc_u32_e32 v7, v6, v3
	s_mul_hi_u32 s21, s4, s15
	s_mul_i32 s4, s4, s15
	s_add_i32 s5, s21, s5
	v_add_nc_u32_e32 v9, v8, v6
	s_lshl_b64 s[4:5], s[4:5], 3
	s_waitcnt lgkmcnt(0)
	v_mad_i64_i32 v[1:2], null, s14, v5, 0
	v_mad_i64_i32 v[3:4], null, s20, v0, 0
	s_mul_i32 s14, s17, s15
	s_mul_hi_u32 s17, s16, s15
	s_mul_i32 s16, s16, s15
	s_add_i32 s17, s17, s14
	s_delay_alu instid0(VALU_DEP_2) | instskip(SKIP_1) | instid1(VALU_DEP_2)
	v_lshlrev_b64 v[1:2], 3, v[1:2]
	s_lshl_b64 s[16:17], s[16:17], 3
	v_lshlrev_b64 v[3:4], 3, v[3:4]
	s_delay_alu instid0(VALU_DEP_2) | instskip(NEXT) | instid1(VALU_DEP_3)
	v_add_co_u32 v1, vcc_lo, v1, s4
	v_add_co_ci_u32_e32 v2, vcc_lo, s5, v2, vcc_lo
	s_delay_alu instid0(VALU_DEP_3) | instskip(NEXT) | instid1(VALU_DEP_4)
	v_add_co_u32 v3, vcc_lo, v3, s16
	v_add_co_ci_u32_e32 v4, vcc_lo, s17, v4, vcc_lo
	s_delay_alu instid0(VALU_DEP_4) | instskip(NEXT) | instid1(VALU_DEP_4)
	v_add_co_u32 v1, vcc_lo, v1, v6
	v_add_co_ci_u32_e32 v2, vcc_lo, 0, v2, vcc_lo
	s_delay_alu instid0(VALU_DEP_4) | instskip(NEXT) | instid1(VALU_DEP_4)
	;; [unrolled: 3-line block ×4, first 2 shown]
	v_add_co_u32 v3, vcc_lo, s10, v3
	v_add_co_ci_u32_e32 v4, vcc_lo, s11, v4, vcc_lo
	v_mov_b32_e32 v10, 0
.LBB352_2:                              ; =>This Inner Loop Header: Depth=1
	global_load_b64 v[12:13], v[3:4], off
	global_load_b64 v[14:15], v[1:2], off
	v_add_co_u32 v1, vcc_lo, 0x80, v1
	v_add_co_ci_u32_e32 v2, vcc_lo, 0, v2, vcc_lo
	v_add_co_u32 v3, vcc_lo, 0x80, v3
	v_add_co_ci_u32_e32 v4, vcc_lo, 0, v4, vcc_lo
	s_add_i32 s13, s13, 16
	s_waitcnt vmcnt(1)
	ds_store_b64 v7, v[12:13]
	s_waitcnt vmcnt(0)
	ds_store_b64 v9, v[14:15]
	s_waitcnt lgkmcnt(0)
	s_barrier
	buffer_gl0_inv
	ds_load_2addr_b64 v[12:15], v6 offset1:16
	ds_load_b128 v[16:19], v8
	ds_load_b128 v[20:23], v8 offset:16
	ds_load_2addr_b64 v[24:27], v6 offset0:32 offset1:48
	ds_load_2addr_b64 v[28:31], v6 offset0:64 offset1:80
	ds_load_b128 v[32:35], v8 offset:32
	ds_load_b128 v[36:39], v8 offset:48
	ds_load_2addr_b64 v[40:43], v6 offset0:96 offset1:112
	ds_load_2addr_b64 v[44:47], v6 offset0:128 offset1:144
	;; [unrolled: 1-line block ×3, first 2 shown]
	ds_load_b128 v[52:55], v8 offset:64
	ds_load_b128 v[56:59], v8 offset:80
	ds_load_2addr_b64 v[60:63], v6 offset0:192 offset1:208
	ds_load_2addr_b64 v[64:67], v6 offset0:224 offset1:240
	ds_load_b128 v[68:71], v8 offset:96
	ds_load_b128 v[72:75], v8 offset:112
	s_cmp_lt_i32 s13, s12
	s_waitcnt lgkmcnt(0)
	s_barrier
	buffer_gl0_inv
	v_dual_mul_f32 v76, v17, v13 :: v_dual_mul_f32 v77, v19, v15
	v_mul_f32_e32 v13, v16, v13
	v_dual_mul_f32 v15, v18, v15 :: v_dual_mul_f32 v78, v21, v25
	v_mul_f32_e32 v25, v20, v25
	s_delay_alu instid0(VALU_DEP_4) | instskip(SKIP_1) | instid1(VALU_DEP_4)
	v_fma_f32 v16, v16, v12, -v76
	v_dual_mul_f32 v79, v23, v27 :: v_dual_mul_f32 v80, v33, v29
	v_fmac_f32_e32 v15, v19, v14
	s_delay_alu instid0(VALU_DEP_4) | instskip(SKIP_4) | instid1(VALU_DEP_4)
	v_fmac_f32_e32 v25, v21, v24
	v_fmac_f32_e32 v13, v17, v12
	v_mul_f32_e32 v83, v39, v43
	v_dual_mul_f32 v27, v22, v27 :: v_dual_mul_f32 v82, v37, v41
	v_mul_f32_e32 v43, v38, v43
	v_add_f32_e32 v10, v10, v13
	v_mul_f32_e32 v29, v32, v29
	v_dual_add_f32 v11, v11, v16 :: v_dual_mul_f32 v16, v72, v65
	v_mul_f32_e32 v17, v54, v47
	s_delay_alu instid0(VALU_DEP_4) | instskip(SKIP_1) | instid1(VALU_DEP_3)
	v_add_f32_e32 v10, v10, v15
	v_dual_mul_f32 v81, v35, v31 :: v_dual_mul_f32 v84, v53, v45
	v_dual_fmac_f32 v16, v73, v64 :: v_dual_fmac_f32 v17, v55, v46
	s_delay_alu instid0(VALU_DEP_3) | instskip(SKIP_3) | instid1(VALU_DEP_4)
	v_dual_fmac_f32 v27, v23, v26 :: v_dual_add_f32 v10, v10, v25
	v_mul_f32_e32 v31, v34, v31
	v_mul_f32_e32 v45, v52, v45
	v_fmac_f32_e32 v29, v33, v28
	v_dual_mul_f32 v41, v36, v41 :: v_dual_add_f32 v10, v10, v27
	v_fma_f32 v12, v18, v14, -v77
	v_dual_mul_f32 v18, v57, v49 :: v_dual_fmac_f32 v31, v35, v30
	v_mul_f32_e32 v14, v55, v47
	s_delay_alu instid0(VALU_DEP_4) | instskip(SKIP_3) | instid1(VALU_DEP_4)
	v_add_f32_e32 v10, v10, v29
	v_mul_f32_e32 v19, v56, v49
	v_add_f32_e32 v11, v11, v12
	v_dual_mul_f32 v12, v75, v67 :: v_dual_fmac_f32 v41, v37, v40
	v_add_f32_e32 v10, v10, v31
	v_mul_f32_e32 v47, v59, v51
	v_fmac_f32_e32 v43, v39, v42
	v_mul_f32_e32 v49, v58, v51
	s_delay_alu instid0(VALU_DEP_4) | instskip(SKIP_2) | instid1(VALU_DEP_4)
	v_dual_fmac_f32 v45, v53, v44 :: v_dual_add_f32 v10, v10, v41
	v_mul_f32_e32 v51, v69, v61
	v_fmac_f32_e32 v19, v57, v48
	v_fmac_f32_e32 v49, v59, v50
	v_mul_f32_e32 v23, v70, v63
	v_add_f32_e32 v10, v10, v43
	v_fma_f32 v20, v20, v24, -v78
	v_mul_f32_e32 v15, v74, v67
	v_fma_f32 v21, v22, v26, -v79
	s_delay_alu instid0(VALU_DEP_4) | instskip(SKIP_1) | instid1(VALU_DEP_4)
	v_dual_fmac_f32 v23, v71, v62 :: v_dual_add_f32 v10, v10, v45
	v_fma_f32 v14, v54, v46, -v14
	v_fmac_f32_e32 v15, v75, v66
	v_fma_f32 v18, v56, v48, -v18
	v_mul_f32_e32 v22, v71, v63
	v_add_f32_e32 v10, v10, v17
	v_mul_f32_e32 v61, v68, v61
	v_fma_f32 v17, v68, v60, -v51
	v_fma_f32 v12, v74, v66, -v12
	s_delay_alu instid0(VALU_DEP_3) | instskip(NEXT) | instid1(VALU_DEP_1)
	v_dual_add_f32 v10, v10, v19 :: v_dual_fmac_f32 v61, v69, v60
	v_add_f32_e32 v10, v10, v49
	s_delay_alu instid0(VALU_DEP_1) | instskip(NEXT) | instid1(VALU_DEP_1)
	v_add_f32_e32 v10, v10, v61
	v_dual_mul_f32 v13, v73, v65 :: v_dual_add_f32 v10, v10, v23
	s_delay_alu instid0(VALU_DEP_1) | instskip(NEXT) | instid1(VALU_DEP_2)
	v_fma_f32 v13, v72, v64, -v13
	v_add_f32_e32 v10, v10, v16
	v_add_f32_e32 v11, v11, v20
	v_fma_f32 v20, v32, v28, -v80
	s_delay_alu instid0(VALU_DEP_2) | instskip(SKIP_1) | instid1(VALU_DEP_2)
	v_dual_add_f32 v10, v10, v15 :: v_dual_add_f32 v11, v11, v21
	v_fma_f32 v21, v34, v30, -v81
	v_add_f32_e32 v11, v11, v20
	v_fma_f32 v20, v36, v40, -v82
	s_delay_alu instid0(VALU_DEP_2) | instskip(SKIP_1) | instid1(VALU_DEP_2)
	v_add_f32_e32 v11, v11, v21
	v_fma_f32 v21, v38, v42, -v83
	v_add_f32_e32 v11, v11, v20
	v_fma_f32 v20, v52, v44, -v84
	s_delay_alu instid0(VALU_DEP_2) | instskip(NEXT) | instid1(VALU_DEP_1)
	v_add_f32_e32 v11, v11, v21
	v_add_f32_e32 v11, v11, v20
	s_delay_alu instid0(VALU_DEP_1) | instskip(SKIP_1) | instid1(VALU_DEP_2)
	v_add_f32_e32 v11, v11, v14
	v_fma_f32 v14, v58, v50, -v47
	v_add_f32_e32 v11, v11, v18
	s_delay_alu instid0(VALU_DEP_1) | instskip(SKIP_1) | instid1(VALU_DEP_2)
	v_add_f32_e32 v11, v11, v14
	v_fma_f32 v14, v70, v62, -v22
	v_add_f32_e32 v11, v11, v17
	s_delay_alu instid0(VALU_DEP_1) | instskip(NEXT) | instid1(VALU_DEP_1)
	v_add_f32_e32 v11, v11, v14
	v_add_f32_e32 v11, v11, v13
	s_delay_alu instid0(VALU_DEP_1)
	v_add_f32_e32 v11, v11, v12
	s_cbranch_scc1 .LBB352_2
.LBB352_3:
	s_mov_b32 s4, exec_lo
	v_cmpx_le_i32_e64 v5, v0
	s_cbranch_execz .LBB352_6
; %bb.4:
	s_clause 0x1
	s_load_b32 s4, s[0:1], 0x50
	s_load_b64 s[0:1], s[0:1], 0x58
	v_ashrrev_i32_e32 v1, 31, v0
	s_delay_alu instid0(VALU_DEP_1)
	v_lshlrev_b64 v[6:7], 3, v[0:1]
	s_waitcnt lgkmcnt(0)
	v_mad_i64_i32 v[2:3], null, s4, v5, 0
	s_mul_i32 s1, s15, s1
	s_mul_hi_u32 s4, s15, s0
	s_mul_i32 s0, s15, s0
	s_add_i32 s1, s4, s1
	s_delay_alu instid0(SALU_CYCLE_1) | instskip(NEXT) | instid1(VALU_DEP_1)
	s_lshl_b64 s[0:1], s[0:1], 3
	v_lshlrev_b64 v[2:3], 3, v[2:3]
	s_add_u32 s0, s2, s0
	s_addc_u32 s1, s3, s1
	s_delay_alu instid0(VALU_DEP_1) | instskip(NEXT) | instid1(VALU_DEP_2)
	v_add_co_u32 v1, vcc_lo, s0, v2
	v_add_co_ci_u32_e32 v2, vcc_lo, s1, v3, vcc_lo
	s_delay_alu instid0(VALU_DEP_2) | instskip(NEXT) | instid1(VALU_DEP_2)
	v_add_co_u32 v1, vcc_lo, v1, v6
	v_add_co_ci_u32_e32 v2, vcc_lo, v2, v7, vcc_lo
	v_cmp_eq_u32_e32 vcc_lo, v0, v5
	global_load_b64 v[3:4], v[1:2], off
	s_waitcnt vmcnt(0)
	v_dual_mul_f32 v7, s8, v10 :: v_dual_mul_f32 v8, s7, v4
	s_delay_alu instid0(VALU_DEP_1) | instskip(SKIP_1) | instid1(VALU_DEP_3)
	v_dual_mul_f32 v6, s9, v10 :: v_dual_fmac_f32 v7, s9, v11
	v_mul_f32_e32 v4, s6, v4
	v_fma_f32 v8, v3, s6, -v8
	s_delay_alu instid0(VALU_DEP_3) | instskip(NEXT) | instid1(VALU_DEP_1)
	v_fma_f32 v6, v11, s8, -v6
	v_dual_fmac_f32 v4, s7, v3 :: v_dual_add_f32 v3, v6, v8
	s_delay_alu instid0(VALU_DEP_1)
	v_add_f32_e32 v4, v7, v4
	global_store_b64 v[1:2], v[3:4], off
	s_and_b32 exec_lo, exec_lo, vcc_lo
	s_cbranch_execz .LBB352_6
; %bb.5:
	v_mov_b32_e32 v0, 0
	global_store_b32 v[1:2], v0, off offset:4
.LBB352_6:
	s_nop 0
	s_sendmsg sendmsg(MSG_DEALLOC_VGPRS)
	s_endpgm
	.section	.rodata,"a",@progbits
	.p2align	6, 0x0
	.amdhsa_kernel _ZL41rocblas_syrkx_herkx_small_restrict_kernelIi19rocblas_complex_numIfELi16ELb0ELb1ELc84ELc76EKS1_S1_EviT_T0_PT6_S3_lS6_S3_lS4_PT7_S3_li
		.amdhsa_group_segment_fixed_size 4096
		.amdhsa_private_segment_fixed_size 0
		.amdhsa_kernarg_size 100
		.amdhsa_user_sgpr_count 13
		.amdhsa_user_sgpr_dispatch_ptr 0
		.amdhsa_user_sgpr_queue_ptr 0
		.amdhsa_user_sgpr_kernarg_segment_ptr 1
		.amdhsa_user_sgpr_dispatch_id 0
		.amdhsa_user_sgpr_private_segment_size 0
		.amdhsa_wavefront_size32 1
		.amdhsa_uses_dynamic_stack 0
		.amdhsa_enable_private_segment 0
		.amdhsa_system_sgpr_workgroup_id_x 1
		.amdhsa_system_sgpr_workgroup_id_y 1
		.amdhsa_system_sgpr_workgroup_id_z 1
		.amdhsa_system_sgpr_workgroup_info 0
		.amdhsa_system_vgpr_workitem_id 1
		.amdhsa_next_free_vgpr 85
		.amdhsa_next_free_sgpr 22
		.amdhsa_reserve_vcc 1
		.amdhsa_float_round_mode_32 0
		.amdhsa_float_round_mode_16_64 0
		.amdhsa_float_denorm_mode_32 3
		.amdhsa_float_denorm_mode_16_64 3
		.amdhsa_dx10_clamp 1
		.amdhsa_ieee_mode 1
		.amdhsa_fp16_overflow 0
		.amdhsa_workgroup_processor_mode 1
		.amdhsa_memory_ordered 1
		.amdhsa_forward_progress 0
		.amdhsa_shared_vgpr_count 0
		.amdhsa_exception_fp_ieee_invalid_op 0
		.amdhsa_exception_fp_denorm_src 0
		.amdhsa_exception_fp_ieee_div_zero 0
		.amdhsa_exception_fp_ieee_overflow 0
		.amdhsa_exception_fp_ieee_underflow 0
		.amdhsa_exception_fp_ieee_inexact 0
		.amdhsa_exception_int_div_zero 0
	.end_amdhsa_kernel
	.section	.text._ZL41rocblas_syrkx_herkx_small_restrict_kernelIi19rocblas_complex_numIfELi16ELb0ELb1ELc84ELc76EKS1_S1_EviT_T0_PT6_S3_lS6_S3_lS4_PT7_S3_li,"axG",@progbits,_ZL41rocblas_syrkx_herkx_small_restrict_kernelIi19rocblas_complex_numIfELi16ELb0ELb1ELc84ELc76EKS1_S1_EviT_T0_PT6_S3_lS6_S3_lS4_PT7_S3_li,comdat
.Lfunc_end352:
	.size	_ZL41rocblas_syrkx_herkx_small_restrict_kernelIi19rocblas_complex_numIfELi16ELb0ELb1ELc84ELc76EKS1_S1_EviT_T0_PT6_S3_lS6_S3_lS4_PT7_S3_li, .Lfunc_end352-_ZL41rocblas_syrkx_herkx_small_restrict_kernelIi19rocblas_complex_numIfELi16ELb0ELb1ELc84ELc76EKS1_S1_EviT_T0_PT6_S3_lS6_S3_lS4_PT7_S3_li
                                        ; -- End function
	.section	.AMDGPU.csdata,"",@progbits
; Kernel info:
; codeLenInByte = 1352
; NumSgprs: 24
; NumVgprs: 85
; ScratchSize: 0
; MemoryBound: 0
; FloatMode: 240
; IeeeMode: 1
; LDSByteSize: 4096 bytes/workgroup (compile time only)
; SGPRBlocks: 2
; VGPRBlocks: 10
; NumSGPRsForWavesPerEU: 24
; NumVGPRsForWavesPerEU: 85
; Occupancy: 16
; WaveLimiterHint : 0
; COMPUTE_PGM_RSRC2:SCRATCH_EN: 0
; COMPUTE_PGM_RSRC2:USER_SGPR: 13
; COMPUTE_PGM_RSRC2:TRAP_HANDLER: 0
; COMPUTE_PGM_RSRC2:TGID_X_EN: 1
; COMPUTE_PGM_RSRC2:TGID_Y_EN: 1
; COMPUTE_PGM_RSRC2:TGID_Z_EN: 1
; COMPUTE_PGM_RSRC2:TIDIG_COMP_CNT: 1
	.section	.text._ZL41rocblas_syrkx_herkx_small_restrict_kernelIi19rocblas_complex_numIfELi16ELb0ELb1ELc67ELc76EKS1_S1_EviT_T0_PT6_S3_lS6_S3_lS4_PT7_S3_li,"axG",@progbits,_ZL41rocblas_syrkx_herkx_small_restrict_kernelIi19rocblas_complex_numIfELi16ELb0ELb1ELc67ELc76EKS1_S1_EviT_T0_PT6_S3_lS6_S3_lS4_PT7_S3_li,comdat
	.globl	_ZL41rocblas_syrkx_herkx_small_restrict_kernelIi19rocblas_complex_numIfELi16ELb0ELb1ELc67ELc76EKS1_S1_EviT_T0_PT6_S3_lS6_S3_lS4_PT7_S3_li ; -- Begin function _ZL41rocblas_syrkx_herkx_small_restrict_kernelIi19rocblas_complex_numIfELi16ELb0ELb1ELc67ELc76EKS1_S1_EviT_T0_PT6_S3_lS6_S3_lS4_PT7_S3_li
	.p2align	8
	.type	_ZL41rocblas_syrkx_herkx_small_restrict_kernelIi19rocblas_complex_numIfELi16ELb0ELb1ELc67ELc76EKS1_S1_EviT_T0_PT6_S3_lS6_S3_lS4_PT7_S3_li,@function
_ZL41rocblas_syrkx_herkx_small_restrict_kernelIi19rocblas_complex_numIfELi16ELb0ELb1ELc67ELc76EKS1_S1_EviT_T0_PT6_S3_lS6_S3_lS4_PT7_S3_li: ; @_ZL41rocblas_syrkx_herkx_small_restrict_kernelIi19rocblas_complex_numIfELi16ELb0ELb1ELc67ELc76EKS1_S1_EviT_T0_PT6_S3_lS6_S3_lS4_PT7_S3_li
; %bb.0:
	s_clause 0x3
	s_load_b32 s12, s[0:1], 0x4
	s_load_b128 s[8:11], s[0:1], 0x8
	s_load_b128 s[4:7], s[0:1], 0x38
	s_load_b64 s[2:3], s[0:1], 0x48
	v_dual_mov_b32 v11, 0 :: v_dual_and_b32 v2, 0x3ff, v0
	v_bfe_u32 v1, v0, 10, 10
	v_mov_b32_e32 v10, 0
	s_delay_alu instid0(VALU_DEP_3) | instskip(SKIP_1) | instid1(VALU_DEP_3)
	v_lshl_add_u32 v0, s13, 4, v2
	s_mov_b32 s13, 0
	v_lshl_add_u32 v5, s14, 4, v1
	s_waitcnt lgkmcnt(0)
	s_cmp_lt_i32 s12, 1
	s_cbranch_scc1 .LBB353_3
; %bb.1:
	s_clause 0x2
	s_load_b32 s14, s[0:1], 0x18
	s_load_b32 s20, s[0:1], 0x30
	s_load_b128 s[16:19], s[0:1], 0x20
	v_lshlrev_b32_e32 v3, 7, v1
	v_lshlrev_b32_e32 v6, 3, v2
	;; [unrolled: 1-line block ×3, first 2 shown]
	s_mul_i32 s5, s5, s15
	s_mul_hi_u32 s21, s4, s15
	v_add_nc_u32_e32 v8, 0x800, v3
	v_add_nc_u32_e32 v7, v6, v3
	s_mul_i32 s4, s4, s15
	s_add_i32 s5, s21, s5
	s_delay_alu instid0(SALU_CYCLE_1)
	s_lshl_b64 s[4:5], s[4:5], 3
	s_waitcnt lgkmcnt(0)
	v_mad_i64_i32 v[1:2], null, s14, v0, 0
	v_mad_i64_i32 v[3:4], null, s20, v5, 0
	s_mul_i32 s14, s17, s15
	s_mul_hi_u32 s17, s16, s15
	s_mul_i32 s16, s16, s15
	s_add_i32 s17, s17, s14
	s_delay_alu instid0(VALU_DEP_2) | instskip(SKIP_1) | instid1(VALU_DEP_2)
	v_lshlrev_b64 v[1:2], 3, v[1:2]
	s_lshl_b64 s[16:17], s[16:17], 3
	v_lshlrev_b64 v[3:4], 3, v[3:4]
	s_delay_alu instid0(VALU_DEP_2) | instskip(NEXT) | instid1(VALU_DEP_3)
	v_add_co_u32 v1, vcc_lo, v1, s16
	v_add_co_ci_u32_e32 v2, vcc_lo, s17, v2, vcc_lo
	s_delay_alu instid0(VALU_DEP_3) | instskip(NEXT) | instid1(VALU_DEP_4)
	v_add_co_u32 v3, vcc_lo, v3, s4
	v_add_co_ci_u32_e32 v4, vcc_lo, s5, v4, vcc_lo
	s_delay_alu instid0(VALU_DEP_4) | instskip(NEXT) | instid1(VALU_DEP_4)
	v_add_co_u32 v1, vcc_lo, v1, v10
	v_add_co_ci_u32_e32 v2, vcc_lo, 0, v2, vcc_lo
	s_delay_alu instid0(VALU_DEP_4) | instskip(NEXT) | instid1(VALU_DEP_4)
	;; [unrolled: 3-line block ×5, first 2 shown]
	v_add_co_u32 v3, vcc_lo, v10, 4
	v_add_co_ci_u32_e32 v4, vcc_lo, 0, v11, vcc_lo
	v_mov_b32_e32 v11, 0
	v_dual_mov_b32 v10, 0 :: v_dual_add_nc_u32 v9, v8, v6
.LBB353_2:                              ; =>This Inner Loop Header: Depth=1
	global_load_b64 v[12:13], v[3:4], off offset:-4
	global_load_b64 v[14:15], v[1:2], off
	v_add_co_u32 v1, vcc_lo, 0x80, v1
	v_add_co_ci_u32_e32 v2, vcc_lo, 0, v2, vcc_lo
	v_add_co_u32 v3, vcc_lo, 0x80, v3
	v_add_co_ci_u32_e32 v4, vcc_lo, 0, v4, vcc_lo
	s_add_i32 s13, s13, 16
	s_delay_alu instid0(SALU_CYCLE_1)
	s_cmp_lt_i32 s13, s12
	s_waitcnt vmcnt(1)
	v_xor_b32_e32 v13, 0x80000000, v13
	ds_store_b64 v7, v[12:13]
	s_waitcnt vmcnt(0)
	ds_store_b64 v9, v[14:15]
	s_waitcnt lgkmcnt(0)
	s_barrier
	buffer_gl0_inv
	ds_load_2addr_b64 v[12:15], v6 offset1:16
	ds_load_b128 v[16:19], v8
	ds_load_b128 v[20:23], v8 offset:16
	ds_load_2addr_b64 v[24:27], v6 offset0:32 offset1:48
	ds_load_2addr_b64 v[28:31], v6 offset0:64 offset1:80
	ds_load_b128 v[32:35], v8 offset:32
	ds_load_b128 v[36:39], v8 offset:48
	ds_load_2addr_b64 v[40:43], v6 offset0:96 offset1:112
	ds_load_2addr_b64 v[44:47], v6 offset0:128 offset1:144
	ds_load_2addr_b64 v[48:51], v6 offset0:160 offset1:176
	ds_load_b128 v[52:55], v8 offset:64
	ds_load_b128 v[56:59], v8 offset:80
	ds_load_2addr_b64 v[60:63], v6 offset0:192 offset1:208
	ds_load_2addr_b64 v[64:67], v6 offset0:224 offset1:240
	ds_load_b128 v[68:71], v8 offset:96
	ds_load_b128 v[72:75], v8 offset:112
	s_waitcnt lgkmcnt(0)
	s_barrier
	buffer_gl0_inv
	v_dual_mul_f32 v76, v17, v13 :: v_dual_mul_f32 v77, v19, v15
	v_mul_f32_e32 v13, v16, v13
	v_dual_mul_f32 v15, v18, v15 :: v_dual_mul_f32 v78, v21, v25
	v_mul_f32_e32 v25, v20, v25
	s_delay_alu instid0(VALU_DEP_4) | instskip(SKIP_1) | instid1(VALU_DEP_4)
	v_fma_f32 v16, v16, v12, -v76
	v_dual_mul_f32 v79, v23, v27 :: v_dual_mul_f32 v80, v33, v29
	v_fmac_f32_e32 v15, v19, v14
	s_delay_alu instid0(VALU_DEP_4) | instskip(SKIP_4) | instid1(VALU_DEP_4)
	v_fmac_f32_e32 v25, v21, v24
	v_fmac_f32_e32 v13, v17, v12
	v_mul_f32_e32 v83, v39, v43
	v_dual_mul_f32 v27, v22, v27 :: v_dual_mul_f32 v82, v37, v41
	v_mul_f32_e32 v43, v38, v43
	v_add_f32_e32 v10, v10, v13
	v_mul_f32_e32 v29, v32, v29
	v_dual_add_f32 v11, v11, v16 :: v_dual_mul_f32 v16, v72, v65
	v_mul_f32_e32 v17, v54, v47
	s_delay_alu instid0(VALU_DEP_4) | instskip(SKIP_1) | instid1(VALU_DEP_3)
	v_add_f32_e32 v10, v10, v15
	v_dual_mul_f32 v81, v35, v31 :: v_dual_mul_f32 v84, v53, v45
	v_dual_fmac_f32 v16, v73, v64 :: v_dual_fmac_f32 v17, v55, v46
	s_delay_alu instid0(VALU_DEP_3) | instskip(SKIP_3) | instid1(VALU_DEP_4)
	v_dual_fmac_f32 v27, v23, v26 :: v_dual_add_f32 v10, v10, v25
	v_mul_f32_e32 v31, v34, v31
	v_mul_f32_e32 v45, v52, v45
	v_fmac_f32_e32 v29, v33, v28
	v_dual_mul_f32 v41, v36, v41 :: v_dual_add_f32 v10, v10, v27
	v_fma_f32 v12, v18, v14, -v77
	v_dual_mul_f32 v18, v57, v49 :: v_dual_fmac_f32 v31, v35, v30
	v_mul_f32_e32 v14, v55, v47
	s_delay_alu instid0(VALU_DEP_4) | instskip(SKIP_3) | instid1(VALU_DEP_4)
	v_add_f32_e32 v10, v10, v29
	v_mul_f32_e32 v19, v56, v49
	v_add_f32_e32 v11, v11, v12
	v_dual_mul_f32 v12, v75, v67 :: v_dual_fmac_f32 v41, v37, v40
	v_add_f32_e32 v10, v10, v31
	v_mul_f32_e32 v47, v59, v51
	v_fmac_f32_e32 v43, v39, v42
	v_mul_f32_e32 v49, v58, v51
	s_delay_alu instid0(VALU_DEP_4) | instskip(SKIP_2) | instid1(VALU_DEP_4)
	v_dual_fmac_f32 v45, v53, v44 :: v_dual_add_f32 v10, v10, v41
	v_mul_f32_e32 v51, v69, v61
	v_fmac_f32_e32 v19, v57, v48
	v_fmac_f32_e32 v49, v59, v50
	v_mul_f32_e32 v23, v70, v63
	v_add_f32_e32 v10, v10, v43
	v_fma_f32 v20, v20, v24, -v78
	v_mul_f32_e32 v15, v74, v67
	v_fma_f32 v21, v22, v26, -v79
	s_delay_alu instid0(VALU_DEP_4) | instskip(SKIP_1) | instid1(VALU_DEP_4)
	v_dual_fmac_f32 v23, v71, v62 :: v_dual_add_f32 v10, v10, v45
	v_fma_f32 v14, v54, v46, -v14
	v_fmac_f32_e32 v15, v75, v66
	v_fma_f32 v18, v56, v48, -v18
	v_mul_f32_e32 v22, v71, v63
	v_add_f32_e32 v10, v10, v17
	v_mul_f32_e32 v61, v68, v61
	v_fma_f32 v17, v68, v60, -v51
	v_fma_f32 v12, v74, v66, -v12
	s_delay_alu instid0(VALU_DEP_3) | instskip(NEXT) | instid1(VALU_DEP_1)
	v_dual_add_f32 v10, v10, v19 :: v_dual_fmac_f32 v61, v69, v60
	v_add_f32_e32 v10, v10, v49
	s_delay_alu instid0(VALU_DEP_1) | instskip(NEXT) | instid1(VALU_DEP_1)
	v_add_f32_e32 v10, v10, v61
	v_dual_mul_f32 v13, v73, v65 :: v_dual_add_f32 v10, v10, v23
	s_delay_alu instid0(VALU_DEP_1) | instskip(NEXT) | instid1(VALU_DEP_2)
	v_fma_f32 v13, v72, v64, -v13
	v_add_f32_e32 v10, v10, v16
	v_add_f32_e32 v11, v11, v20
	v_fma_f32 v20, v32, v28, -v80
	s_delay_alu instid0(VALU_DEP_2) | instskip(SKIP_1) | instid1(VALU_DEP_2)
	v_dual_add_f32 v10, v10, v15 :: v_dual_add_f32 v11, v11, v21
	v_fma_f32 v21, v34, v30, -v81
	v_add_f32_e32 v11, v11, v20
	v_fma_f32 v20, v36, v40, -v82
	s_delay_alu instid0(VALU_DEP_2) | instskip(SKIP_1) | instid1(VALU_DEP_2)
	v_add_f32_e32 v11, v11, v21
	v_fma_f32 v21, v38, v42, -v83
	v_add_f32_e32 v11, v11, v20
	v_fma_f32 v20, v52, v44, -v84
	s_delay_alu instid0(VALU_DEP_2) | instskip(NEXT) | instid1(VALU_DEP_1)
	v_add_f32_e32 v11, v11, v21
	v_add_f32_e32 v11, v11, v20
	s_delay_alu instid0(VALU_DEP_1) | instskip(SKIP_1) | instid1(VALU_DEP_2)
	v_add_f32_e32 v11, v11, v14
	v_fma_f32 v14, v58, v50, -v47
	v_add_f32_e32 v11, v11, v18
	s_delay_alu instid0(VALU_DEP_1) | instskip(SKIP_1) | instid1(VALU_DEP_2)
	v_add_f32_e32 v11, v11, v14
	v_fma_f32 v14, v70, v62, -v22
	v_add_f32_e32 v11, v11, v17
	s_delay_alu instid0(VALU_DEP_1) | instskip(NEXT) | instid1(VALU_DEP_1)
	v_add_f32_e32 v11, v11, v14
	v_add_f32_e32 v11, v11, v13
	s_delay_alu instid0(VALU_DEP_1)
	v_add_f32_e32 v11, v11, v12
	s_cbranch_scc1 .LBB353_2
.LBB353_3:
	s_mov_b32 s4, exec_lo
	v_cmpx_le_i32_e64 v5, v0
	s_cbranch_execz .LBB353_6
; %bb.4:
	s_clause 0x1
	s_load_b32 s4, s[0:1], 0x50
	s_load_b64 s[0:1], s[0:1], 0x58
	v_ashrrev_i32_e32 v1, 31, v0
	s_delay_alu instid0(VALU_DEP_1)
	v_lshlrev_b64 v[6:7], 3, v[0:1]
	s_waitcnt lgkmcnt(0)
	v_mad_i64_i32 v[2:3], null, s4, v5, 0
	s_mul_i32 s1, s15, s1
	s_mul_hi_u32 s4, s15, s0
	s_mul_i32 s0, s15, s0
	s_add_i32 s1, s4, s1
	s_delay_alu instid0(SALU_CYCLE_1) | instskip(NEXT) | instid1(VALU_DEP_1)
	s_lshl_b64 s[0:1], s[0:1], 3
	v_lshlrev_b64 v[2:3], 3, v[2:3]
	s_add_u32 s0, s2, s0
	s_addc_u32 s1, s3, s1
	s_delay_alu instid0(VALU_DEP_1) | instskip(NEXT) | instid1(VALU_DEP_2)
	v_add_co_u32 v1, vcc_lo, s0, v2
	v_add_co_ci_u32_e32 v2, vcc_lo, s1, v3, vcc_lo
	s_delay_alu instid0(VALU_DEP_2) | instskip(NEXT) | instid1(VALU_DEP_2)
	v_add_co_u32 v1, vcc_lo, v1, v6
	v_add_co_ci_u32_e32 v2, vcc_lo, v2, v7, vcc_lo
	v_cmp_eq_u32_e32 vcc_lo, v0, v5
	global_load_b64 v[3:4], v[1:2], off
	s_waitcnt vmcnt(0)
	v_dual_mul_f32 v7, s8, v10 :: v_dual_mul_f32 v8, s7, v4
	s_delay_alu instid0(VALU_DEP_1) | instskip(SKIP_1) | instid1(VALU_DEP_3)
	v_dual_mul_f32 v6, s9, v10 :: v_dual_fmac_f32 v7, s9, v11
	v_mul_f32_e32 v4, s6, v4
	v_fma_f32 v8, v3, s6, -v8
	s_delay_alu instid0(VALU_DEP_3) | instskip(NEXT) | instid1(VALU_DEP_1)
	v_fma_f32 v6, v11, s8, -v6
	v_dual_fmac_f32 v4, s7, v3 :: v_dual_add_f32 v3, v6, v8
	s_delay_alu instid0(VALU_DEP_1)
	v_add_f32_e32 v4, v7, v4
	global_store_b64 v[1:2], v[3:4], off
	s_and_b32 exec_lo, exec_lo, vcc_lo
	s_cbranch_execz .LBB353_6
; %bb.5:
	v_mov_b32_e32 v0, 0
	global_store_b32 v[1:2], v0, off offset:4
.LBB353_6:
	s_nop 0
	s_sendmsg sendmsg(MSG_DEALLOC_VGPRS)
	s_endpgm
	.section	.rodata,"a",@progbits
	.p2align	6, 0x0
	.amdhsa_kernel _ZL41rocblas_syrkx_herkx_small_restrict_kernelIi19rocblas_complex_numIfELi16ELb0ELb1ELc67ELc76EKS1_S1_EviT_T0_PT6_S3_lS6_S3_lS4_PT7_S3_li
		.amdhsa_group_segment_fixed_size 4096
		.amdhsa_private_segment_fixed_size 0
		.amdhsa_kernarg_size 100
		.amdhsa_user_sgpr_count 13
		.amdhsa_user_sgpr_dispatch_ptr 0
		.amdhsa_user_sgpr_queue_ptr 0
		.amdhsa_user_sgpr_kernarg_segment_ptr 1
		.amdhsa_user_sgpr_dispatch_id 0
		.amdhsa_user_sgpr_private_segment_size 0
		.amdhsa_wavefront_size32 1
		.amdhsa_uses_dynamic_stack 0
		.amdhsa_enable_private_segment 0
		.amdhsa_system_sgpr_workgroup_id_x 1
		.amdhsa_system_sgpr_workgroup_id_y 1
		.amdhsa_system_sgpr_workgroup_id_z 1
		.amdhsa_system_sgpr_workgroup_info 0
		.amdhsa_system_vgpr_workitem_id 1
		.amdhsa_next_free_vgpr 85
		.amdhsa_next_free_sgpr 22
		.amdhsa_reserve_vcc 1
		.amdhsa_float_round_mode_32 0
		.amdhsa_float_round_mode_16_64 0
		.amdhsa_float_denorm_mode_32 3
		.amdhsa_float_denorm_mode_16_64 3
		.amdhsa_dx10_clamp 1
		.amdhsa_ieee_mode 1
		.amdhsa_fp16_overflow 0
		.amdhsa_workgroup_processor_mode 1
		.amdhsa_memory_ordered 1
		.amdhsa_forward_progress 0
		.amdhsa_shared_vgpr_count 0
		.amdhsa_exception_fp_ieee_invalid_op 0
		.amdhsa_exception_fp_denorm_src 0
		.amdhsa_exception_fp_ieee_div_zero 0
		.amdhsa_exception_fp_ieee_overflow 0
		.amdhsa_exception_fp_ieee_underflow 0
		.amdhsa_exception_fp_ieee_inexact 0
		.amdhsa_exception_int_div_zero 0
	.end_amdhsa_kernel
	.section	.text._ZL41rocblas_syrkx_herkx_small_restrict_kernelIi19rocblas_complex_numIfELi16ELb0ELb1ELc67ELc76EKS1_S1_EviT_T0_PT6_S3_lS6_S3_lS4_PT7_S3_li,"axG",@progbits,_ZL41rocblas_syrkx_herkx_small_restrict_kernelIi19rocblas_complex_numIfELi16ELb0ELb1ELc67ELc76EKS1_S1_EviT_T0_PT6_S3_lS6_S3_lS4_PT7_S3_li,comdat
.Lfunc_end353:
	.size	_ZL41rocblas_syrkx_herkx_small_restrict_kernelIi19rocblas_complex_numIfELi16ELb0ELb1ELc67ELc76EKS1_S1_EviT_T0_PT6_S3_lS6_S3_lS4_PT7_S3_li, .Lfunc_end353-_ZL41rocblas_syrkx_herkx_small_restrict_kernelIi19rocblas_complex_numIfELi16ELb0ELb1ELc67ELc76EKS1_S1_EviT_T0_PT6_S3_lS6_S3_lS4_PT7_S3_li
                                        ; -- End function
	.section	.AMDGPU.csdata,"",@progbits
; Kernel info:
; codeLenInByte = 1380
; NumSgprs: 24
; NumVgprs: 85
; ScratchSize: 0
; MemoryBound: 0
; FloatMode: 240
; IeeeMode: 1
; LDSByteSize: 4096 bytes/workgroup (compile time only)
; SGPRBlocks: 2
; VGPRBlocks: 10
; NumSGPRsForWavesPerEU: 24
; NumVGPRsForWavesPerEU: 85
; Occupancy: 16
; WaveLimiterHint : 0
; COMPUTE_PGM_RSRC2:SCRATCH_EN: 0
; COMPUTE_PGM_RSRC2:USER_SGPR: 13
; COMPUTE_PGM_RSRC2:TRAP_HANDLER: 0
; COMPUTE_PGM_RSRC2:TGID_X_EN: 1
; COMPUTE_PGM_RSRC2:TGID_Y_EN: 1
; COMPUTE_PGM_RSRC2:TGID_Z_EN: 1
; COMPUTE_PGM_RSRC2:TIDIG_COMP_CNT: 1
	.section	.text._ZL41rocblas_syrkx_herkx_small_restrict_kernelIi19rocblas_complex_numIfELi16ELb0ELb1ELc78ELc76EKS1_S1_EviT_T0_PT6_S3_lS6_S3_lS4_PT7_S3_li,"axG",@progbits,_ZL41rocblas_syrkx_herkx_small_restrict_kernelIi19rocblas_complex_numIfELi16ELb0ELb1ELc78ELc76EKS1_S1_EviT_T0_PT6_S3_lS6_S3_lS4_PT7_S3_li,comdat
	.globl	_ZL41rocblas_syrkx_herkx_small_restrict_kernelIi19rocblas_complex_numIfELi16ELb0ELb1ELc78ELc76EKS1_S1_EviT_T0_PT6_S3_lS6_S3_lS4_PT7_S3_li ; -- Begin function _ZL41rocblas_syrkx_herkx_small_restrict_kernelIi19rocblas_complex_numIfELi16ELb0ELb1ELc78ELc76EKS1_S1_EviT_T0_PT6_S3_lS6_S3_lS4_PT7_S3_li
	.p2align	8
	.type	_ZL41rocblas_syrkx_herkx_small_restrict_kernelIi19rocblas_complex_numIfELi16ELb0ELb1ELc78ELc76EKS1_S1_EviT_T0_PT6_S3_lS6_S3_lS4_PT7_S3_li,@function
_ZL41rocblas_syrkx_herkx_small_restrict_kernelIi19rocblas_complex_numIfELi16ELb0ELb1ELc78ELc76EKS1_S1_EviT_T0_PT6_S3_lS6_S3_lS4_PT7_S3_li: ; @_ZL41rocblas_syrkx_herkx_small_restrict_kernelIi19rocblas_complex_numIfELi16ELb0ELb1ELc78ELc76EKS1_S1_EviT_T0_PT6_S3_lS6_S3_lS4_PT7_S3_li
; %bb.0:
	s_clause 0x3
	s_load_b32 s12, s[0:1], 0x4
	s_load_b128 s[8:11], s[0:1], 0x8
	s_load_b128 s[4:7], s[0:1], 0x38
	s_load_b64 s[2:3], s[0:1], 0x48
	v_dual_mov_b32 v12, 0 :: v_dual_and_b32 v5, 0x3ff, v0
	v_bfe_u32 v4, v0, 10, 10
	v_mov_b32_e32 v11, 0
	s_delay_alu instid0(VALU_DEP_3) | instskip(SKIP_1) | instid1(VALU_DEP_3)
	v_lshl_add_u32 v0, s13, 4, v5
	s_mov_b32 s13, 0
	v_lshl_add_u32 v2, s14, 4, v4
	s_delay_alu instid0(VALU_DEP_2)
	v_ashrrev_i32_e32 v1, 31, v0
	s_waitcnt lgkmcnt(0)
	s_cmp_lt_i32 s12, 1
	s_cbranch_scc1 .LBB354_3
; %bb.1:
	s_clause 0x2
	s_load_b32 s20, s[0:1], 0x30
	s_load_b128 s[16:19], s[0:1], 0x20
	s_load_b32 s22, s[0:1], 0x18
	v_lshlrev_b32_e32 v6, 7, v4
	v_lshlrev_b32_e32 v7, 3, v5
	v_ashrrev_i32_e32 v3, 31, v2
	s_mul_i32 s5, s5, s15
	s_mul_hi_u32 s14, s4, s15
	s_mul_i32 s4, s4, s15
	s_add_i32 s5, s14, s5
	v_add_nc_u32_e32 v8, 0x800, v6
	s_lshl_b64 s[4:5], s[4:5], 3
	v_add_nc_u32_e32 v9, v7, v6
	v_lshlrev_b64 v[11:12], 3, v[0:1]
	s_waitcnt lgkmcnt(0)
	v_mad_i64_i32 v[13:14], null, s20, v5, 0
	v_mad_i64_i32 v[15:16], null, s22, v4, 0
	v_lshlrev_b64 v[5:6], 3, v[2:3]
	s_mul_i32 s14, s17, s15
	s_mul_hi_u32 s17, s16, s15
	s_mul_i32 s16, s16, s15
	s_delay_alu instid0(VALU_DEP_3) | instskip(SKIP_1) | instid1(VALU_DEP_3)
	v_lshlrev_b64 v[13:14], 3, v[13:14]
	s_add_i32 s17, s17, s14
	v_lshlrev_b64 v[3:4], 3, v[15:16]
	s_lshl_b64 s[16:17], s[16:17], 3
	s_ashr_i32 s21, s20, 31
	s_ashr_i32 s23, s22, 31
	v_add_co_u32 v13, vcc_lo, s4, v13
	v_add_co_ci_u32_e32 v14, vcc_lo, s5, v14, vcc_lo
	s_lshl_b64 s[4:5], s[20:21], 7
	s_delay_alu instid0(VALU_DEP_2) | instskip(NEXT) | instid1(VALU_DEP_2)
	v_add_co_u32 v5, vcc_lo, v13, v5
	v_add_co_ci_u32_e32 v6, vcc_lo, v14, v6, vcc_lo
	v_add_co_u32 v3, vcc_lo, s16, v3
	v_add_co_ci_u32_e32 v4, vcc_lo, s17, v4, vcc_lo
	s_delay_alu instid0(VALU_DEP_4) | instskip(NEXT) | instid1(VALU_DEP_4)
	v_add_co_u32 v5, vcc_lo, v5, s18
	v_add_co_ci_u32_e32 v6, vcc_lo, s19, v6, vcc_lo
	s_delay_alu instid0(VALU_DEP_4) | instskip(NEXT) | instid1(VALU_DEP_4)
	;; [unrolled: 3-line block ×4, first 2 shown]
	v_add_co_u32 v5, vcc_lo, s10, v11
	v_add_co_ci_u32_e32 v6, vcc_lo, s11, v12, vcc_lo
	v_mov_b32_e32 v12, 0
	v_dual_mov_b32 v11, 0 :: v_dual_add_nc_u32 v10, v8, v7
	s_lshl_b64 s[10:11], s[22:23], 7
.LBB354_2:                              ; =>This Inner Loop Header: Depth=1
	global_load_b64 v[13:14], v[3:4], off offset:-4
	global_load_b64 v[15:16], v[5:6], off
	v_add_co_u32 v3, vcc_lo, v3, s4
	v_add_co_ci_u32_e32 v4, vcc_lo, s5, v4, vcc_lo
	v_add_co_u32 v5, vcc_lo, v5, s10
	v_add_co_ci_u32_e32 v6, vcc_lo, s11, v6, vcc_lo
	s_add_i32 s13, s13, 16
	s_delay_alu instid0(SALU_CYCLE_1)
	s_cmp_lt_i32 s13, s12
	s_waitcnt vmcnt(1)
	v_xor_b32_e32 v14, 0x80000000, v14
	s_waitcnt vmcnt(0)
	ds_store_b64 v9, v[15:16]
	ds_store_b64 v10, v[13:14]
	s_waitcnt lgkmcnt(0)
	s_barrier
	buffer_gl0_inv
	ds_load_2addr_b64 v[13:16], v7 offset1:16
	ds_load_b128 v[17:20], v8
	ds_load_b128 v[21:24], v8 offset:16
	ds_load_2addr_b64 v[25:28], v7 offset0:32 offset1:48
	ds_load_2addr_b64 v[29:32], v7 offset0:64 offset1:80
	ds_load_b128 v[33:36], v8 offset:32
	ds_load_b128 v[37:40], v8 offset:48
	ds_load_2addr_b64 v[41:44], v7 offset0:96 offset1:112
	ds_load_2addr_b64 v[45:48], v7 offset0:128 offset1:144
	;; [unrolled: 1-line block ×3, first 2 shown]
	ds_load_b128 v[53:56], v8 offset:64
	ds_load_b128 v[57:60], v8 offset:80
	ds_load_2addr_b64 v[61:64], v7 offset0:192 offset1:208
	ds_load_2addr_b64 v[65:68], v7 offset0:224 offset1:240
	ds_load_b128 v[69:72], v8 offset:96
	ds_load_b128 v[73:76], v8 offset:112
	s_waitcnt lgkmcnt(0)
	s_barrier
	buffer_gl0_inv
	v_dual_mul_f32 v77, v18, v14 :: v_dual_mul_f32 v78, v20, v16
	v_mul_f32_e32 v14, v17, v14
	v_dual_mul_f32 v16, v19, v16 :: v_dual_mul_f32 v79, v22, v26
	v_mul_f32_e32 v26, v21, v26
	s_delay_alu instid0(VALU_DEP_4) | instskip(SKIP_1) | instid1(VALU_DEP_4)
	v_fma_f32 v17, v17, v13, -v77
	v_dual_mul_f32 v80, v24, v28 :: v_dual_mul_f32 v81, v34, v30
	v_fmac_f32_e32 v16, v20, v15
	s_delay_alu instid0(VALU_DEP_4) | instskip(SKIP_4) | instid1(VALU_DEP_4)
	v_fmac_f32_e32 v26, v22, v25
	v_fmac_f32_e32 v14, v18, v13
	v_mul_f32_e32 v84, v40, v44
	v_dual_mul_f32 v28, v23, v28 :: v_dual_mul_f32 v83, v38, v42
	v_mul_f32_e32 v44, v39, v44
	v_add_f32_e32 v11, v11, v14
	v_mul_f32_e32 v30, v33, v30
	v_dual_add_f32 v12, v12, v17 :: v_dual_mul_f32 v17, v73, v66
	v_mul_f32_e32 v18, v55, v48
	s_delay_alu instid0(VALU_DEP_4) | instskip(SKIP_1) | instid1(VALU_DEP_3)
	v_add_f32_e32 v11, v11, v16
	v_dual_mul_f32 v82, v36, v32 :: v_dual_mul_f32 v85, v54, v46
	v_dual_fmac_f32 v17, v74, v65 :: v_dual_fmac_f32 v18, v56, v47
	s_delay_alu instid0(VALU_DEP_3) | instskip(SKIP_3) | instid1(VALU_DEP_4)
	v_dual_fmac_f32 v28, v24, v27 :: v_dual_add_f32 v11, v11, v26
	v_mul_f32_e32 v32, v35, v32
	v_mul_f32_e32 v46, v53, v46
	v_fmac_f32_e32 v30, v34, v29
	v_dual_mul_f32 v42, v37, v42 :: v_dual_add_f32 v11, v11, v28
	v_fma_f32 v13, v19, v15, -v78
	v_dual_mul_f32 v19, v58, v50 :: v_dual_fmac_f32 v32, v36, v31
	v_mul_f32_e32 v15, v56, v48
	s_delay_alu instid0(VALU_DEP_4) | instskip(SKIP_3) | instid1(VALU_DEP_4)
	v_add_f32_e32 v11, v11, v30
	v_mul_f32_e32 v20, v57, v50
	v_add_f32_e32 v12, v12, v13
	v_dual_mul_f32 v13, v76, v68 :: v_dual_fmac_f32 v42, v38, v41
	v_add_f32_e32 v11, v11, v32
	v_mul_f32_e32 v48, v60, v52
	v_fmac_f32_e32 v44, v40, v43
	v_mul_f32_e32 v50, v59, v52
	s_delay_alu instid0(VALU_DEP_4) | instskip(SKIP_2) | instid1(VALU_DEP_4)
	v_dual_fmac_f32 v46, v54, v45 :: v_dual_add_f32 v11, v11, v42
	v_mul_f32_e32 v52, v70, v62
	v_fmac_f32_e32 v20, v58, v49
	v_fmac_f32_e32 v50, v60, v51
	v_mul_f32_e32 v24, v71, v64
	v_add_f32_e32 v11, v11, v44
	v_fma_f32 v21, v21, v25, -v79
	v_mul_f32_e32 v16, v75, v68
	v_fma_f32 v22, v23, v27, -v80
	s_delay_alu instid0(VALU_DEP_4) | instskip(SKIP_1) | instid1(VALU_DEP_4)
	v_dual_fmac_f32 v24, v72, v63 :: v_dual_add_f32 v11, v11, v46
	v_fma_f32 v15, v55, v47, -v15
	v_fmac_f32_e32 v16, v76, v67
	v_fma_f32 v19, v57, v49, -v19
	v_mul_f32_e32 v23, v72, v64
	v_add_f32_e32 v11, v11, v18
	v_mul_f32_e32 v62, v69, v62
	v_fma_f32 v18, v69, v61, -v52
	v_fma_f32 v13, v75, v67, -v13
	s_delay_alu instid0(VALU_DEP_3) | instskip(NEXT) | instid1(VALU_DEP_1)
	v_dual_add_f32 v11, v11, v20 :: v_dual_fmac_f32 v62, v70, v61
	v_add_f32_e32 v11, v11, v50
	s_delay_alu instid0(VALU_DEP_1) | instskip(NEXT) | instid1(VALU_DEP_1)
	v_add_f32_e32 v11, v11, v62
	v_dual_mul_f32 v14, v74, v66 :: v_dual_add_f32 v11, v11, v24
	s_delay_alu instid0(VALU_DEP_1) | instskip(NEXT) | instid1(VALU_DEP_2)
	v_fma_f32 v14, v73, v65, -v14
	v_add_f32_e32 v11, v11, v17
	v_add_f32_e32 v12, v12, v21
	v_fma_f32 v21, v33, v29, -v81
	s_delay_alu instid0(VALU_DEP_2) | instskip(SKIP_1) | instid1(VALU_DEP_2)
	v_dual_add_f32 v11, v11, v16 :: v_dual_add_f32 v12, v12, v22
	v_fma_f32 v22, v35, v31, -v82
	v_add_f32_e32 v12, v12, v21
	v_fma_f32 v21, v37, v41, -v83
	s_delay_alu instid0(VALU_DEP_2) | instskip(SKIP_1) | instid1(VALU_DEP_2)
	v_add_f32_e32 v12, v12, v22
	v_fma_f32 v22, v39, v43, -v84
	v_add_f32_e32 v12, v12, v21
	v_fma_f32 v21, v53, v45, -v85
	s_delay_alu instid0(VALU_DEP_2) | instskip(NEXT) | instid1(VALU_DEP_1)
	v_add_f32_e32 v12, v12, v22
	v_add_f32_e32 v12, v12, v21
	s_delay_alu instid0(VALU_DEP_1) | instskip(SKIP_1) | instid1(VALU_DEP_2)
	v_add_f32_e32 v12, v12, v15
	v_fma_f32 v15, v59, v51, -v48
	v_add_f32_e32 v12, v12, v19
	s_delay_alu instid0(VALU_DEP_1) | instskip(SKIP_1) | instid1(VALU_DEP_2)
	v_add_f32_e32 v12, v12, v15
	v_fma_f32 v15, v71, v63, -v23
	v_add_f32_e32 v12, v12, v18
	s_delay_alu instid0(VALU_DEP_1) | instskip(NEXT) | instid1(VALU_DEP_1)
	v_add_f32_e32 v12, v12, v15
	v_add_f32_e32 v12, v12, v14
	s_delay_alu instid0(VALU_DEP_1)
	v_add_f32_e32 v12, v12, v13
	s_cbranch_scc1 .LBB354_2
.LBB354_3:
	s_mov_b32 s4, exec_lo
	v_cmpx_le_i32_e64 v2, v0
	s_cbranch_execz .LBB354_6
; %bb.4:
	s_clause 0x1
	s_load_b32 s4, s[0:1], 0x50
	s_load_b64 s[0:1], s[0:1], 0x58
	v_lshlrev_b64 v[5:6], 3, v[0:1]
	s_waitcnt lgkmcnt(0)
	v_mad_i64_i32 v[3:4], null, s4, v2, 0
	s_mul_i32 s1, s15, s1
	s_mul_hi_u32 s4, s15, s0
	s_mul_i32 s0, s15, s0
	s_add_i32 s1, s4, s1
	s_delay_alu instid0(SALU_CYCLE_1) | instskip(NEXT) | instid1(VALU_DEP_1)
	s_lshl_b64 s[0:1], s[0:1], 3
	v_lshlrev_b64 v[3:4], 3, v[3:4]
	s_add_u32 s0, s2, s0
	s_addc_u32 s1, s3, s1
	s_delay_alu instid0(VALU_DEP_1) | instskip(NEXT) | instid1(VALU_DEP_2)
	v_add_co_u32 v1, vcc_lo, s0, v3
	v_add_co_ci_u32_e32 v4, vcc_lo, s1, v4, vcc_lo
	s_delay_alu instid0(VALU_DEP_2) | instskip(NEXT) | instid1(VALU_DEP_2)
	v_add_co_u32 v3, vcc_lo, v1, v5
	v_add_co_ci_u32_e32 v4, vcc_lo, v4, v6, vcc_lo
	v_cmp_eq_u32_e32 vcc_lo, v0, v2
	global_load_b64 v[5:6], v[3:4], off
	v_mul_f32_e32 v1, s9, v11
	s_waitcnt vmcnt(0)
	v_dual_mul_f32 v7, s8, v11 :: v_dual_mul_f32 v8, s7, v6
	v_mul_f32_e32 v6, s6, v6
	s_delay_alu instid0(VALU_DEP_3) | instskip(NEXT) | instid1(VALU_DEP_3)
	v_fma_f32 v1, v12, s8, -v1
	v_fmac_f32_e32 v7, s9, v12
	s_delay_alu instid0(VALU_DEP_4) | instskip(NEXT) | instid1(VALU_DEP_1)
	v_fma_f32 v8, v5, s6, -v8
	v_dual_fmac_f32 v6, s7, v5 :: v_dual_add_f32 v5, v1, v8
	s_delay_alu instid0(VALU_DEP_1)
	v_add_f32_e32 v6, v7, v6
	global_store_b64 v[3:4], v[5:6], off
	s_and_b32 exec_lo, exec_lo, vcc_lo
	s_cbranch_execz .LBB354_6
; %bb.5:
	v_mov_b32_e32 v0, 0
	global_store_b32 v[3:4], v0, off offset:4
.LBB354_6:
	s_nop 0
	s_sendmsg sendmsg(MSG_DEALLOC_VGPRS)
	s_endpgm
	.section	.rodata,"a",@progbits
	.p2align	6, 0x0
	.amdhsa_kernel _ZL41rocblas_syrkx_herkx_small_restrict_kernelIi19rocblas_complex_numIfELi16ELb0ELb1ELc78ELc76EKS1_S1_EviT_T0_PT6_S3_lS6_S3_lS4_PT7_S3_li
		.amdhsa_group_segment_fixed_size 4096
		.amdhsa_private_segment_fixed_size 0
		.amdhsa_kernarg_size 100
		.amdhsa_user_sgpr_count 13
		.amdhsa_user_sgpr_dispatch_ptr 0
		.amdhsa_user_sgpr_queue_ptr 0
		.amdhsa_user_sgpr_kernarg_segment_ptr 1
		.amdhsa_user_sgpr_dispatch_id 0
		.amdhsa_user_sgpr_private_segment_size 0
		.amdhsa_wavefront_size32 1
		.amdhsa_uses_dynamic_stack 0
		.amdhsa_enable_private_segment 0
		.amdhsa_system_sgpr_workgroup_id_x 1
		.amdhsa_system_sgpr_workgroup_id_y 1
		.amdhsa_system_sgpr_workgroup_id_z 1
		.amdhsa_system_sgpr_workgroup_info 0
		.amdhsa_system_vgpr_workitem_id 1
		.amdhsa_next_free_vgpr 86
		.amdhsa_next_free_sgpr 24
		.amdhsa_reserve_vcc 1
		.amdhsa_float_round_mode_32 0
		.amdhsa_float_round_mode_16_64 0
		.amdhsa_float_denorm_mode_32 3
		.amdhsa_float_denorm_mode_16_64 3
		.amdhsa_dx10_clamp 1
		.amdhsa_ieee_mode 1
		.amdhsa_fp16_overflow 0
		.amdhsa_workgroup_processor_mode 1
		.amdhsa_memory_ordered 1
		.amdhsa_forward_progress 0
		.amdhsa_shared_vgpr_count 0
		.amdhsa_exception_fp_ieee_invalid_op 0
		.amdhsa_exception_fp_denorm_src 0
		.amdhsa_exception_fp_ieee_div_zero 0
		.amdhsa_exception_fp_ieee_overflow 0
		.amdhsa_exception_fp_ieee_underflow 0
		.amdhsa_exception_fp_ieee_inexact 0
		.amdhsa_exception_int_div_zero 0
	.end_amdhsa_kernel
	.section	.text._ZL41rocblas_syrkx_herkx_small_restrict_kernelIi19rocblas_complex_numIfELi16ELb0ELb1ELc78ELc76EKS1_S1_EviT_T0_PT6_S3_lS6_S3_lS4_PT7_S3_li,"axG",@progbits,_ZL41rocblas_syrkx_herkx_small_restrict_kernelIi19rocblas_complex_numIfELi16ELb0ELb1ELc78ELc76EKS1_S1_EviT_T0_PT6_S3_lS6_S3_lS4_PT7_S3_li,comdat
.Lfunc_end354:
	.size	_ZL41rocblas_syrkx_herkx_small_restrict_kernelIi19rocblas_complex_numIfELi16ELb0ELb1ELc78ELc76EKS1_S1_EviT_T0_PT6_S3_lS6_S3_lS4_PT7_S3_li, .Lfunc_end354-_ZL41rocblas_syrkx_herkx_small_restrict_kernelIi19rocblas_complex_numIfELi16ELb0ELb1ELc78ELc76EKS1_S1_EviT_T0_PT6_S3_lS6_S3_lS4_PT7_S3_li
                                        ; -- End function
	.section	.AMDGPU.csdata,"",@progbits
; Kernel info:
; codeLenInByte = 1392
; NumSgprs: 26
; NumVgprs: 86
; ScratchSize: 0
; MemoryBound: 0
; FloatMode: 240
; IeeeMode: 1
; LDSByteSize: 4096 bytes/workgroup (compile time only)
; SGPRBlocks: 3
; VGPRBlocks: 10
; NumSGPRsForWavesPerEU: 26
; NumVGPRsForWavesPerEU: 86
; Occupancy: 16
; WaveLimiterHint : 0
; COMPUTE_PGM_RSRC2:SCRATCH_EN: 0
; COMPUTE_PGM_RSRC2:USER_SGPR: 13
; COMPUTE_PGM_RSRC2:TRAP_HANDLER: 0
; COMPUTE_PGM_RSRC2:TGID_X_EN: 1
; COMPUTE_PGM_RSRC2:TGID_Y_EN: 1
; COMPUTE_PGM_RSRC2:TGID_Z_EN: 1
; COMPUTE_PGM_RSRC2:TIDIG_COMP_CNT: 1
	.section	.text._ZL41rocblas_syrkx_herkx_small_restrict_kernelIi19rocblas_complex_numIfELi16ELb0ELb1ELc84ELc85EKS1_S1_EviT_T0_PT6_S3_lS6_S3_lS4_PT7_S3_li,"axG",@progbits,_ZL41rocblas_syrkx_herkx_small_restrict_kernelIi19rocblas_complex_numIfELi16ELb0ELb1ELc84ELc85EKS1_S1_EviT_T0_PT6_S3_lS6_S3_lS4_PT7_S3_li,comdat
	.globl	_ZL41rocblas_syrkx_herkx_small_restrict_kernelIi19rocblas_complex_numIfELi16ELb0ELb1ELc84ELc85EKS1_S1_EviT_T0_PT6_S3_lS6_S3_lS4_PT7_S3_li ; -- Begin function _ZL41rocblas_syrkx_herkx_small_restrict_kernelIi19rocblas_complex_numIfELi16ELb0ELb1ELc84ELc85EKS1_S1_EviT_T0_PT6_S3_lS6_S3_lS4_PT7_S3_li
	.p2align	8
	.type	_ZL41rocblas_syrkx_herkx_small_restrict_kernelIi19rocblas_complex_numIfELi16ELb0ELb1ELc84ELc85EKS1_S1_EviT_T0_PT6_S3_lS6_S3_lS4_PT7_S3_li,@function
_ZL41rocblas_syrkx_herkx_small_restrict_kernelIi19rocblas_complex_numIfELi16ELb0ELb1ELc84ELc85EKS1_S1_EviT_T0_PT6_S3_lS6_S3_lS4_PT7_S3_li: ; @_ZL41rocblas_syrkx_herkx_small_restrict_kernelIi19rocblas_complex_numIfELi16ELb0ELb1ELc84ELc85EKS1_S1_EviT_T0_PT6_S3_lS6_S3_lS4_PT7_S3_li
; %bb.0:
	s_clause 0x3
	s_load_b32 s12, s[0:1], 0x4
	s_load_b128 s[8:11], s[0:1], 0x8
	s_load_b128 s[4:7], s[0:1], 0x38
	s_load_b64 s[2:3], s[0:1], 0x48
	v_dual_mov_b32 v11, 0 :: v_dual_and_b32 v2, 0x3ff, v0
	v_bfe_u32 v1, v0, 10, 10
	v_mov_b32_e32 v10, 0
	s_delay_alu instid0(VALU_DEP_3) | instskip(SKIP_1) | instid1(VALU_DEP_3)
	v_lshl_add_u32 v0, s13, 4, v2
	s_mov_b32 s13, 0
	v_lshl_add_u32 v5, s14, 4, v1
	s_waitcnt lgkmcnt(0)
	s_cmp_lt_i32 s12, 1
	s_cbranch_scc1 .LBB355_3
; %bb.1:
	s_clause 0x2
	s_load_b32 s14, s[0:1], 0x30
	s_load_b32 s20, s[0:1], 0x18
	s_load_b128 s[16:19], s[0:1], 0x20
	v_lshlrev_b32_e32 v3, 7, v1
	v_dual_mov_b32 v11, 0 :: v_dual_lshlrev_b32 v6, 3, v2
	v_lshlrev_b32_e32 v10, 3, v1
	s_mul_i32 s5, s5, s15
	s_delay_alu instid0(VALU_DEP_3) | instskip(NEXT) | instid1(VALU_DEP_3)
	v_add_nc_u32_e32 v8, 0x800, v3
	v_add_nc_u32_e32 v7, v6, v3
	s_mul_hi_u32 s21, s4, s15
	s_mul_i32 s4, s4, s15
	s_add_i32 s5, s21, s5
	v_add_nc_u32_e32 v9, v8, v6
	s_lshl_b64 s[4:5], s[4:5], 3
	s_waitcnt lgkmcnt(0)
	v_mad_i64_i32 v[1:2], null, s14, v5, 0
	v_mad_i64_i32 v[3:4], null, s20, v0, 0
	s_mul_i32 s14, s17, s15
	s_mul_hi_u32 s17, s16, s15
	s_mul_i32 s16, s16, s15
	s_add_i32 s17, s17, s14
	s_delay_alu instid0(VALU_DEP_2) | instskip(SKIP_1) | instid1(VALU_DEP_2)
	v_lshlrev_b64 v[1:2], 3, v[1:2]
	s_lshl_b64 s[16:17], s[16:17], 3
	v_lshlrev_b64 v[3:4], 3, v[3:4]
	s_delay_alu instid0(VALU_DEP_2) | instskip(NEXT) | instid1(VALU_DEP_3)
	v_add_co_u32 v1, vcc_lo, v1, s4
	v_add_co_ci_u32_e32 v2, vcc_lo, s5, v2, vcc_lo
	s_delay_alu instid0(VALU_DEP_3) | instskip(NEXT) | instid1(VALU_DEP_4)
	v_add_co_u32 v3, vcc_lo, v3, s16
	v_add_co_ci_u32_e32 v4, vcc_lo, s17, v4, vcc_lo
	s_delay_alu instid0(VALU_DEP_4) | instskip(NEXT) | instid1(VALU_DEP_4)
	v_add_co_u32 v1, vcc_lo, v1, v6
	v_add_co_ci_u32_e32 v2, vcc_lo, 0, v2, vcc_lo
	s_delay_alu instid0(VALU_DEP_4) | instskip(NEXT) | instid1(VALU_DEP_4)
	v_add_co_u32 v3, vcc_lo, v3, v10
	v_add_co_ci_u32_e32 v4, vcc_lo, 0, v4, vcc_lo
	s_delay_alu instid0(VALU_DEP_4) | instskip(NEXT) | instid1(VALU_DEP_4)
	v_add_co_u32 v1, vcc_lo, s18, v1
	v_add_co_ci_u32_e32 v2, vcc_lo, s19, v2, vcc_lo
	s_delay_alu instid0(VALU_DEP_4) | instskip(NEXT) | instid1(VALU_DEP_4)
	v_add_co_u32 v3, vcc_lo, s10, v3
	v_add_co_ci_u32_e32 v4, vcc_lo, s11, v4, vcc_lo
	v_mov_b32_e32 v10, 0
.LBB355_2:                              ; =>This Inner Loop Header: Depth=1
	global_load_b64 v[12:13], v[3:4], off
	global_load_b64 v[14:15], v[1:2], off
	v_add_co_u32 v1, vcc_lo, 0x80, v1
	v_add_co_ci_u32_e32 v2, vcc_lo, 0, v2, vcc_lo
	v_add_co_u32 v3, vcc_lo, 0x80, v3
	v_add_co_ci_u32_e32 v4, vcc_lo, 0, v4, vcc_lo
	s_add_i32 s13, s13, 16
	s_waitcnt vmcnt(1)
	ds_store_b64 v7, v[12:13]
	s_waitcnt vmcnt(0)
	ds_store_b64 v9, v[14:15]
	s_waitcnt lgkmcnt(0)
	s_barrier
	buffer_gl0_inv
	ds_load_2addr_b64 v[12:15], v6 offset1:16
	ds_load_b128 v[16:19], v8
	ds_load_b128 v[20:23], v8 offset:16
	ds_load_2addr_b64 v[24:27], v6 offset0:32 offset1:48
	ds_load_2addr_b64 v[28:31], v6 offset0:64 offset1:80
	ds_load_b128 v[32:35], v8 offset:32
	ds_load_b128 v[36:39], v8 offset:48
	ds_load_2addr_b64 v[40:43], v6 offset0:96 offset1:112
	ds_load_2addr_b64 v[44:47], v6 offset0:128 offset1:144
	;; [unrolled: 1-line block ×3, first 2 shown]
	ds_load_b128 v[52:55], v8 offset:64
	ds_load_b128 v[56:59], v8 offset:80
	ds_load_2addr_b64 v[60:63], v6 offset0:192 offset1:208
	ds_load_2addr_b64 v[64:67], v6 offset0:224 offset1:240
	ds_load_b128 v[68:71], v8 offset:96
	ds_load_b128 v[72:75], v8 offset:112
	s_cmp_lt_i32 s13, s12
	s_waitcnt lgkmcnt(0)
	s_barrier
	buffer_gl0_inv
	v_dual_mul_f32 v76, v17, v13 :: v_dual_mul_f32 v77, v19, v15
	v_mul_f32_e32 v13, v16, v13
	v_dual_mul_f32 v15, v18, v15 :: v_dual_mul_f32 v78, v21, v25
	v_mul_f32_e32 v25, v20, v25
	s_delay_alu instid0(VALU_DEP_4) | instskip(SKIP_1) | instid1(VALU_DEP_4)
	v_fma_f32 v16, v16, v12, -v76
	v_dual_mul_f32 v79, v23, v27 :: v_dual_mul_f32 v80, v33, v29
	v_fmac_f32_e32 v15, v19, v14
	s_delay_alu instid0(VALU_DEP_4) | instskip(SKIP_4) | instid1(VALU_DEP_4)
	v_fmac_f32_e32 v25, v21, v24
	v_fmac_f32_e32 v13, v17, v12
	v_mul_f32_e32 v83, v39, v43
	v_dual_mul_f32 v27, v22, v27 :: v_dual_mul_f32 v82, v37, v41
	v_mul_f32_e32 v43, v38, v43
	v_add_f32_e32 v10, v10, v13
	v_mul_f32_e32 v29, v32, v29
	v_dual_add_f32 v11, v11, v16 :: v_dual_mul_f32 v16, v72, v65
	v_mul_f32_e32 v17, v54, v47
	s_delay_alu instid0(VALU_DEP_4) | instskip(SKIP_1) | instid1(VALU_DEP_3)
	v_add_f32_e32 v10, v10, v15
	v_dual_mul_f32 v81, v35, v31 :: v_dual_mul_f32 v84, v53, v45
	v_dual_fmac_f32 v16, v73, v64 :: v_dual_fmac_f32 v17, v55, v46
	s_delay_alu instid0(VALU_DEP_3) | instskip(SKIP_3) | instid1(VALU_DEP_4)
	v_dual_fmac_f32 v27, v23, v26 :: v_dual_add_f32 v10, v10, v25
	v_mul_f32_e32 v31, v34, v31
	v_mul_f32_e32 v45, v52, v45
	v_fmac_f32_e32 v29, v33, v28
	v_dual_mul_f32 v41, v36, v41 :: v_dual_add_f32 v10, v10, v27
	v_fma_f32 v12, v18, v14, -v77
	v_dual_mul_f32 v18, v57, v49 :: v_dual_fmac_f32 v31, v35, v30
	v_mul_f32_e32 v14, v55, v47
	s_delay_alu instid0(VALU_DEP_4) | instskip(SKIP_3) | instid1(VALU_DEP_4)
	v_add_f32_e32 v10, v10, v29
	v_mul_f32_e32 v19, v56, v49
	v_add_f32_e32 v11, v11, v12
	v_dual_mul_f32 v12, v75, v67 :: v_dual_fmac_f32 v41, v37, v40
	v_add_f32_e32 v10, v10, v31
	v_mul_f32_e32 v47, v59, v51
	v_fmac_f32_e32 v43, v39, v42
	v_mul_f32_e32 v49, v58, v51
	s_delay_alu instid0(VALU_DEP_4) | instskip(SKIP_2) | instid1(VALU_DEP_4)
	v_dual_fmac_f32 v45, v53, v44 :: v_dual_add_f32 v10, v10, v41
	v_mul_f32_e32 v51, v69, v61
	v_fmac_f32_e32 v19, v57, v48
	v_fmac_f32_e32 v49, v59, v50
	v_mul_f32_e32 v23, v70, v63
	v_add_f32_e32 v10, v10, v43
	v_fma_f32 v20, v20, v24, -v78
	v_mul_f32_e32 v15, v74, v67
	v_fma_f32 v21, v22, v26, -v79
	s_delay_alu instid0(VALU_DEP_4) | instskip(SKIP_1) | instid1(VALU_DEP_4)
	v_dual_fmac_f32 v23, v71, v62 :: v_dual_add_f32 v10, v10, v45
	v_fma_f32 v14, v54, v46, -v14
	v_fmac_f32_e32 v15, v75, v66
	v_fma_f32 v18, v56, v48, -v18
	v_mul_f32_e32 v22, v71, v63
	v_add_f32_e32 v10, v10, v17
	v_mul_f32_e32 v61, v68, v61
	v_fma_f32 v17, v68, v60, -v51
	v_fma_f32 v12, v74, v66, -v12
	s_delay_alu instid0(VALU_DEP_3) | instskip(NEXT) | instid1(VALU_DEP_1)
	v_dual_add_f32 v10, v10, v19 :: v_dual_fmac_f32 v61, v69, v60
	v_add_f32_e32 v10, v10, v49
	s_delay_alu instid0(VALU_DEP_1) | instskip(NEXT) | instid1(VALU_DEP_1)
	v_add_f32_e32 v10, v10, v61
	v_dual_mul_f32 v13, v73, v65 :: v_dual_add_f32 v10, v10, v23
	s_delay_alu instid0(VALU_DEP_1) | instskip(NEXT) | instid1(VALU_DEP_2)
	v_fma_f32 v13, v72, v64, -v13
	v_add_f32_e32 v10, v10, v16
	v_add_f32_e32 v11, v11, v20
	v_fma_f32 v20, v32, v28, -v80
	s_delay_alu instid0(VALU_DEP_2) | instskip(SKIP_1) | instid1(VALU_DEP_2)
	v_dual_add_f32 v10, v10, v15 :: v_dual_add_f32 v11, v11, v21
	v_fma_f32 v21, v34, v30, -v81
	v_add_f32_e32 v11, v11, v20
	v_fma_f32 v20, v36, v40, -v82
	s_delay_alu instid0(VALU_DEP_2) | instskip(SKIP_1) | instid1(VALU_DEP_2)
	v_add_f32_e32 v11, v11, v21
	v_fma_f32 v21, v38, v42, -v83
	v_add_f32_e32 v11, v11, v20
	v_fma_f32 v20, v52, v44, -v84
	s_delay_alu instid0(VALU_DEP_2) | instskip(NEXT) | instid1(VALU_DEP_1)
	v_add_f32_e32 v11, v11, v21
	v_add_f32_e32 v11, v11, v20
	s_delay_alu instid0(VALU_DEP_1) | instskip(SKIP_1) | instid1(VALU_DEP_2)
	v_add_f32_e32 v11, v11, v14
	v_fma_f32 v14, v58, v50, -v47
	v_add_f32_e32 v11, v11, v18
	s_delay_alu instid0(VALU_DEP_1) | instskip(SKIP_1) | instid1(VALU_DEP_2)
	v_add_f32_e32 v11, v11, v14
	v_fma_f32 v14, v70, v62, -v22
	v_add_f32_e32 v11, v11, v17
	s_delay_alu instid0(VALU_DEP_1) | instskip(NEXT) | instid1(VALU_DEP_1)
	v_add_f32_e32 v11, v11, v14
	v_add_f32_e32 v11, v11, v13
	s_delay_alu instid0(VALU_DEP_1)
	v_add_f32_e32 v11, v11, v12
	s_cbranch_scc1 .LBB355_2
.LBB355_3:
	s_mov_b32 s4, exec_lo
	v_cmpx_le_i32_e64 v0, v5
	s_cbranch_execz .LBB355_6
; %bb.4:
	s_clause 0x1
	s_load_b32 s4, s[0:1], 0x50
	s_load_b64 s[0:1], s[0:1], 0x58
	v_ashrrev_i32_e32 v1, 31, v0
	s_delay_alu instid0(VALU_DEP_1)
	v_lshlrev_b64 v[6:7], 3, v[0:1]
	s_waitcnt lgkmcnt(0)
	v_mad_i64_i32 v[2:3], null, s4, v5, 0
	s_mul_i32 s1, s15, s1
	s_mul_hi_u32 s4, s15, s0
	s_mul_i32 s0, s15, s0
	s_add_i32 s1, s4, s1
	s_delay_alu instid0(SALU_CYCLE_1) | instskip(NEXT) | instid1(VALU_DEP_1)
	s_lshl_b64 s[0:1], s[0:1], 3
	v_lshlrev_b64 v[2:3], 3, v[2:3]
	s_add_u32 s0, s2, s0
	s_addc_u32 s1, s3, s1
	s_delay_alu instid0(VALU_DEP_1) | instskip(NEXT) | instid1(VALU_DEP_2)
	v_add_co_u32 v1, vcc_lo, s0, v2
	v_add_co_ci_u32_e32 v2, vcc_lo, s1, v3, vcc_lo
	s_delay_alu instid0(VALU_DEP_2) | instskip(NEXT) | instid1(VALU_DEP_2)
	v_add_co_u32 v1, vcc_lo, v1, v6
	v_add_co_ci_u32_e32 v2, vcc_lo, v2, v7, vcc_lo
	v_cmp_eq_u32_e32 vcc_lo, v0, v5
	global_load_b64 v[3:4], v[1:2], off
	s_waitcnt vmcnt(0)
	v_dual_mul_f32 v7, s8, v10 :: v_dual_mul_f32 v8, s7, v4
	s_delay_alu instid0(VALU_DEP_1) | instskip(SKIP_1) | instid1(VALU_DEP_3)
	v_dual_mul_f32 v6, s9, v10 :: v_dual_fmac_f32 v7, s9, v11
	v_mul_f32_e32 v4, s6, v4
	v_fma_f32 v8, v3, s6, -v8
	s_delay_alu instid0(VALU_DEP_3) | instskip(NEXT) | instid1(VALU_DEP_1)
	v_fma_f32 v6, v11, s8, -v6
	v_dual_fmac_f32 v4, s7, v3 :: v_dual_add_f32 v3, v6, v8
	s_delay_alu instid0(VALU_DEP_1)
	v_add_f32_e32 v4, v7, v4
	global_store_b64 v[1:2], v[3:4], off
	s_and_b32 exec_lo, exec_lo, vcc_lo
	s_cbranch_execz .LBB355_6
; %bb.5:
	v_mov_b32_e32 v0, 0
	global_store_b32 v[1:2], v0, off offset:4
.LBB355_6:
	s_nop 0
	s_sendmsg sendmsg(MSG_DEALLOC_VGPRS)
	s_endpgm
	.section	.rodata,"a",@progbits
	.p2align	6, 0x0
	.amdhsa_kernel _ZL41rocblas_syrkx_herkx_small_restrict_kernelIi19rocblas_complex_numIfELi16ELb0ELb1ELc84ELc85EKS1_S1_EviT_T0_PT6_S3_lS6_S3_lS4_PT7_S3_li
		.amdhsa_group_segment_fixed_size 4096
		.amdhsa_private_segment_fixed_size 0
		.amdhsa_kernarg_size 100
		.amdhsa_user_sgpr_count 13
		.amdhsa_user_sgpr_dispatch_ptr 0
		.amdhsa_user_sgpr_queue_ptr 0
		.amdhsa_user_sgpr_kernarg_segment_ptr 1
		.amdhsa_user_sgpr_dispatch_id 0
		.amdhsa_user_sgpr_private_segment_size 0
		.amdhsa_wavefront_size32 1
		.amdhsa_uses_dynamic_stack 0
		.amdhsa_enable_private_segment 0
		.amdhsa_system_sgpr_workgroup_id_x 1
		.amdhsa_system_sgpr_workgroup_id_y 1
		.amdhsa_system_sgpr_workgroup_id_z 1
		.amdhsa_system_sgpr_workgroup_info 0
		.amdhsa_system_vgpr_workitem_id 1
		.amdhsa_next_free_vgpr 85
		.amdhsa_next_free_sgpr 22
		.amdhsa_reserve_vcc 1
		.amdhsa_float_round_mode_32 0
		.amdhsa_float_round_mode_16_64 0
		.amdhsa_float_denorm_mode_32 3
		.amdhsa_float_denorm_mode_16_64 3
		.amdhsa_dx10_clamp 1
		.amdhsa_ieee_mode 1
		.amdhsa_fp16_overflow 0
		.amdhsa_workgroup_processor_mode 1
		.amdhsa_memory_ordered 1
		.amdhsa_forward_progress 0
		.amdhsa_shared_vgpr_count 0
		.amdhsa_exception_fp_ieee_invalid_op 0
		.amdhsa_exception_fp_denorm_src 0
		.amdhsa_exception_fp_ieee_div_zero 0
		.amdhsa_exception_fp_ieee_overflow 0
		.amdhsa_exception_fp_ieee_underflow 0
		.amdhsa_exception_fp_ieee_inexact 0
		.amdhsa_exception_int_div_zero 0
	.end_amdhsa_kernel
	.section	.text._ZL41rocblas_syrkx_herkx_small_restrict_kernelIi19rocblas_complex_numIfELi16ELb0ELb1ELc84ELc85EKS1_S1_EviT_T0_PT6_S3_lS6_S3_lS4_PT7_S3_li,"axG",@progbits,_ZL41rocblas_syrkx_herkx_small_restrict_kernelIi19rocblas_complex_numIfELi16ELb0ELb1ELc84ELc85EKS1_S1_EviT_T0_PT6_S3_lS6_S3_lS4_PT7_S3_li,comdat
.Lfunc_end355:
	.size	_ZL41rocblas_syrkx_herkx_small_restrict_kernelIi19rocblas_complex_numIfELi16ELb0ELb1ELc84ELc85EKS1_S1_EviT_T0_PT6_S3_lS6_S3_lS4_PT7_S3_li, .Lfunc_end355-_ZL41rocblas_syrkx_herkx_small_restrict_kernelIi19rocblas_complex_numIfELi16ELb0ELb1ELc84ELc85EKS1_S1_EviT_T0_PT6_S3_lS6_S3_lS4_PT7_S3_li
                                        ; -- End function
	.section	.AMDGPU.csdata,"",@progbits
; Kernel info:
; codeLenInByte = 1352
; NumSgprs: 24
; NumVgprs: 85
; ScratchSize: 0
; MemoryBound: 0
; FloatMode: 240
; IeeeMode: 1
; LDSByteSize: 4096 bytes/workgroup (compile time only)
; SGPRBlocks: 2
; VGPRBlocks: 10
; NumSGPRsForWavesPerEU: 24
; NumVGPRsForWavesPerEU: 85
; Occupancy: 16
; WaveLimiterHint : 0
; COMPUTE_PGM_RSRC2:SCRATCH_EN: 0
; COMPUTE_PGM_RSRC2:USER_SGPR: 13
; COMPUTE_PGM_RSRC2:TRAP_HANDLER: 0
; COMPUTE_PGM_RSRC2:TGID_X_EN: 1
; COMPUTE_PGM_RSRC2:TGID_Y_EN: 1
; COMPUTE_PGM_RSRC2:TGID_Z_EN: 1
; COMPUTE_PGM_RSRC2:TIDIG_COMP_CNT: 1
	.section	.text._ZL41rocblas_syrkx_herkx_small_restrict_kernelIi19rocblas_complex_numIfELi16ELb0ELb1ELc67ELc85EKS1_S1_EviT_T0_PT6_S3_lS6_S3_lS4_PT7_S3_li,"axG",@progbits,_ZL41rocblas_syrkx_herkx_small_restrict_kernelIi19rocblas_complex_numIfELi16ELb0ELb1ELc67ELc85EKS1_S1_EviT_T0_PT6_S3_lS6_S3_lS4_PT7_S3_li,comdat
	.globl	_ZL41rocblas_syrkx_herkx_small_restrict_kernelIi19rocblas_complex_numIfELi16ELb0ELb1ELc67ELc85EKS1_S1_EviT_T0_PT6_S3_lS6_S3_lS4_PT7_S3_li ; -- Begin function _ZL41rocblas_syrkx_herkx_small_restrict_kernelIi19rocblas_complex_numIfELi16ELb0ELb1ELc67ELc85EKS1_S1_EviT_T0_PT6_S3_lS6_S3_lS4_PT7_S3_li
	.p2align	8
	.type	_ZL41rocblas_syrkx_herkx_small_restrict_kernelIi19rocblas_complex_numIfELi16ELb0ELb1ELc67ELc85EKS1_S1_EviT_T0_PT6_S3_lS6_S3_lS4_PT7_S3_li,@function
_ZL41rocblas_syrkx_herkx_small_restrict_kernelIi19rocblas_complex_numIfELi16ELb0ELb1ELc67ELc85EKS1_S1_EviT_T0_PT6_S3_lS6_S3_lS4_PT7_S3_li: ; @_ZL41rocblas_syrkx_herkx_small_restrict_kernelIi19rocblas_complex_numIfELi16ELb0ELb1ELc67ELc85EKS1_S1_EviT_T0_PT6_S3_lS6_S3_lS4_PT7_S3_li
; %bb.0:
	s_clause 0x3
	s_load_b32 s12, s[0:1], 0x4
	s_load_b128 s[8:11], s[0:1], 0x8
	s_load_b128 s[4:7], s[0:1], 0x38
	s_load_b64 s[2:3], s[0:1], 0x48
	v_dual_mov_b32 v11, 0 :: v_dual_and_b32 v2, 0x3ff, v0
	v_bfe_u32 v1, v0, 10, 10
	v_mov_b32_e32 v10, 0
	s_delay_alu instid0(VALU_DEP_3) | instskip(SKIP_1) | instid1(VALU_DEP_3)
	v_lshl_add_u32 v0, s13, 4, v2
	s_mov_b32 s13, 0
	v_lshl_add_u32 v5, s14, 4, v1
	s_waitcnt lgkmcnt(0)
	s_cmp_lt_i32 s12, 1
	s_cbranch_scc1 .LBB356_3
; %bb.1:
	s_clause 0x2
	s_load_b32 s14, s[0:1], 0x18
	s_load_b32 s20, s[0:1], 0x30
	s_load_b128 s[16:19], s[0:1], 0x20
	v_lshlrev_b32_e32 v3, 7, v1
	v_lshlrev_b32_e32 v6, 3, v2
	;; [unrolled: 1-line block ×3, first 2 shown]
	s_mul_i32 s5, s5, s15
	s_mul_hi_u32 s21, s4, s15
	v_add_nc_u32_e32 v8, 0x800, v3
	v_add_nc_u32_e32 v7, v6, v3
	s_mul_i32 s4, s4, s15
	s_add_i32 s5, s21, s5
	s_delay_alu instid0(SALU_CYCLE_1)
	s_lshl_b64 s[4:5], s[4:5], 3
	s_waitcnt lgkmcnt(0)
	v_mad_i64_i32 v[1:2], null, s14, v0, 0
	v_mad_i64_i32 v[3:4], null, s20, v5, 0
	s_mul_i32 s14, s17, s15
	s_mul_hi_u32 s17, s16, s15
	s_mul_i32 s16, s16, s15
	s_add_i32 s17, s17, s14
	s_delay_alu instid0(VALU_DEP_2) | instskip(SKIP_1) | instid1(VALU_DEP_2)
	v_lshlrev_b64 v[1:2], 3, v[1:2]
	s_lshl_b64 s[16:17], s[16:17], 3
	v_lshlrev_b64 v[3:4], 3, v[3:4]
	s_delay_alu instid0(VALU_DEP_2) | instskip(NEXT) | instid1(VALU_DEP_3)
	v_add_co_u32 v1, vcc_lo, v1, s16
	v_add_co_ci_u32_e32 v2, vcc_lo, s17, v2, vcc_lo
	s_delay_alu instid0(VALU_DEP_3) | instskip(NEXT) | instid1(VALU_DEP_4)
	v_add_co_u32 v3, vcc_lo, v3, s4
	v_add_co_ci_u32_e32 v4, vcc_lo, s5, v4, vcc_lo
	s_delay_alu instid0(VALU_DEP_4) | instskip(NEXT) | instid1(VALU_DEP_4)
	v_add_co_u32 v1, vcc_lo, v1, v10
	v_add_co_ci_u32_e32 v2, vcc_lo, 0, v2, vcc_lo
	s_delay_alu instid0(VALU_DEP_4) | instskip(NEXT) | instid1(VALU_DEP_4)
	;; [unrolled: 3-line block ×5, first 2 shown]
	v_add_co_u32 v3, vcc_lo, v10, 4
	v_add_co_ci_u32_e32 v4, vcc_lo, 0, v11, vcc_lo
	v_mov_b32_e32 v11, 0
	v_dual_mov_b32 v10, 0 :: v_dual_add_nc_u32 v9, v8, v6
.LBB356_2:                              ; =>This Inner Loop Header: Depth=1
	global_load_b64 v[12:13], v[3:4], off offset:-4
	global_load_b64 v[14:15], v[1:2], off
	v_add_co_u32 v1, vcc_lo, 0x80, v1
	v_add_co_ci_u32_e32 v2, vcc_lo, 0, v2, vcc_lo
	v_add_co_u32 v3, vcc_lo, 0x80, v3
	v_add_co_ci_u32_e32 v4, vcc_lo, 0, v4, vcc_lo
	s_add_i32 s13, s13, 16
	s_delay_alu instid0(SALU_CYCLE_1)
	s_cmp_lt_i32 s13, s12
	s_waitcnt vmcnt(1)
	v_xor_b32_e32 v13, 0x80000000, v13
	ds_store_b64 v7, v[12:13]
	s_waitcnt vmcnt(0)
	ds_store_b64 v9, v[14:15]
	s_waitcnt lgkmcnt(0)
	s_barrier
	buffer_gl0_inv
	ds_load_2addr_b64 v[12:15], v6 offset1:16
	ds_load_b128 v[16:19], v8
	ds_load_b128 v[20:23], v8 offset:16
	ds_load_2addr_b64 v[24:27], v6 offset0:32 offset1:48
	ds_load_2addr_b64 v[28:31], v6 offset0:64 offset1:80
	ds_load_b128 v[32:35], v8 offset:32
	ds_load_b128 v[36:39], v8 offset:48
	ds_load_2addr_b64 v[40:43], v6 offset0:96 offset1:112
	ds_load_2addr_b64 v[44:47], v6 offset0:128 offset1:144
	;; [unrolled: 1-line block ×3, first 2 shown]
	ds_load_b128 v[52:55], v8 offset:64
	ds_load_b128 v[56:59], v8 offset:80
	ds_load_2addr_b64 v[60:63], v6 offset0:192 offset1:208
	ds_load_2addr_b64 v[64:67], v6 offset0:224 offset1:240
	ds_load_b128 v[68:71], v8 offset:96
	ds_load_b128 v[72:75], v8 offset:112
	s_waitcnt lgkmcnt(0)
	s_barrier
	buffer_gl0_inv
	v_dual_mul_f32 v76, v17, v13 :: v_dual_mul_f32 v77, v19, v15
	v_mul_f32_e32 v13, v16, v13
	v_dual_mul_f32 v15, v18, v15 :: v_dual_mul_f32 v78, v21, v25
	v_mul_f32_e32 v25, v20, v25
	s_delay_alu instid0(VALU_DEP_4) | instskip(SKIP_1) | instid1(VALU_DEP_4)
	v_fma_f32 v16, v16, v12, -v76
	v_dual_mul_f32 v79, v23, v27 :: v_dual_mul_f32 v80, v33, v29
	v_fmac_f32_e32 v15, v19, v14
	s_delay_alu instid0(VALU_DEP_4) | instskip(SKIP_4) | instid1(VALU_DEP_4)
	v_fmac_f32_e32 v25, v21, v24
	v_fmac_f32_e32 v13, v17, v12
	v_mul_f32_e32 v83, v39, v43
	v_dual_mul_f32 v27, v22, v27 :: v_dual_mul_f32 v82, v37, v41
	v_mul_f32_e32 v43, v38, v43
	v_add_f32_e32 v10, v10, v13
	v_mul_f32_e32 v29, v32, v29
	v_dual_add_f32 v11, v11, v16 :: v_dual_mul_f32 v16, v72, v65
	v_mul_f32_e32 v17, v54, v47
	s_delay_alu instid0(VALU_DEP_4) | instskip(SKIP_1) | instid1(VALU_DEP_3)
	v_add_f32_e32 v10, v10, v15
	v_dual_mul_f32 v81, v35, v31 :: v_dual_mul_f32 v84, v53, v45
	v_dual_fmac_f32 v16, v73, v64 :: v_dual_fmac_f32 v17, v55, v46
	s_delay_alu instid0(VALU_DEP_3) | instskip(SKIP_3) | instid1(VALU_DEP_4)
	v_dual_fmac_f32 v27, v23, v26 :: v_dual_add_f32 v10, v10, v25
	v_mul_f32_e32 v31, v34, v31
	v_mul_f32_e32 v45, v52, v45
	v_fmac_f32_e32 v29, v33, v28
	v_dual_mul_f32 v41, v36, v41 :: v_dual_add_f32 v10, v10, v27
	v_fma_f32 v12, v18, v14, -v77
	v_dual_mul_f32 v18, v57, v49 :: v_dual_fmac_f32 v31, v35, v30
	v_mul_f32_e32 v14, v55, v47
	s_delay_alu instid0(VALU_DEP_4) | instskip(SKIP_3) | instid1(VALU_DEP_4)
	v_add_f32_e32 v10, v10, v29
	v_mul_f32_e32 v19, v56, v49
	v_add_f32_e32 v11, v11, v12
	v_dual_mul_f32 v12, v75, v67 :: v_dual_fmac_f32 v41, v37, v40
	v_add_f32_e32 v10, v10, v31
	v_mul_f32_e32 v47, v59, v51
	v_fmac_f32_e32 v43, v39, v42
	v_mul_f32_e32 v49, v58, v51
	s_delay_alu instid0(VALU_DEP_4) | instskip(SKIP_2) | instid1(VALU_DEP_4)
	v_dual_fmac_f32 v45, v53, v44 :: v_dual_add_f32 v10, v10, v41
	v_mul_f32_e32 v51, v69, v61
	v_fmac_f32_e32 v19, v57, v48
	v_fmac_f32_e32 v49, v59, v50
	v_mul_f32_e32 v23, v70, v63
	v_add_f32_e32 v10, v10, v43
	v_fma_f32 v20, v20, v24, -v78
	v_mul_f32_e32 v15, v74, v67
	v_fma_f32 v21, v22, v26, -v79
	s_delay_alu instid0(VALU_DEP_4) | instskip(SKIP_1) | instid1(VALU_DEP_4)
	v_dual_fmac_f32 v23, v71, v62 :: v_dual_add_f32 v10, v10, v45
	v_fma_f32 v14, v54, v46, -v14
	v_fmac_f32_e32 v15, v75, v66
	v_fma_f32 v18, v56, v48, -v18
	v_mul_f32_e32 v22, v71, v63
	v_add_f32_e32 v10, v10, v17
	v_mul_f32_e32 v61, v68, v61
	v_fma_f32 v17, v68, v60, -v51
	v_fma_f32 v12, v74, v66, -v12
	s_delay_alu instid0(VALU_DEP_3) | instskip(NEXT) | instid1(VALU_DEP_1)
	v_dual_add_f32 v10, v10, v19 :: v_dual_fmac_f32 v61, v69, v60
	v_add_f32_e32 v10, v10, v49
	s_delay_alu instid0(VALU_DEP_1) | instskip(NEXT) | instid1(VALU_DEP_1)
	v_add_f32_e32 v10, v10, v61
	v_dual_mul_f32 v13, v73, v65 :: v_dual_add_f32 v10, v10, v23
	s_delay_alu instid0(VALU_DEP_1) | instskip(NEXT) | instid1(VALU_DEP_2)
	v_fma_f32 v13, v72, v64, -v13
	v_add_f32_e32 v10, v10, v16
	v_add_f32_e32 v11, v11, v20
	v_fma_f32 v20, v32, v28, -v80
	s_delay_alu instid0(VALU_DEP_2) | instskip(SKIP_1) | instid1(VALU_DEP_2)
	v_dual_add_f32 v10, v10, v15 :: v_dual_add_f32 v11, v11, v21
	v_fma_f32 v21, v34, v30, -v81
	v_add_f32_e32 v11, v11, v20
	v_fma_f32 v20, v36, v40, -v82
	s_delay_alu instid0(VALU_DEP_2) | instskip(SKIP_1) | instid1(VALU_DEP_2)
	v_add_f32_e32 v11, v11, v21
	v_fma_f32 v21, v38, v42, -v83
	v_add_f32_e32 v11, v11, v20
	v_fma_f32 v20, v52, v44, -v84
	s_delay_alu instid0(VALU_DEP_2) | instskip(NEXT) | instid1(VALU_DEP_1)
	v_add_f32_e32 v11, v11, v21
	v_add_f32_e32 v11, v11, v20
	s_delay_alu instid0(VALU_DEP_1) | instskip(SKIP_1) | instid1(VALU_DEP_2)
	v_add_f32_e32 v11, v11, v14
	v_fma_f32 v14, v58, v50, -v47
	v_add_f32_e32 v11, v11, v18
	s_delay_alu instid0(VALU_DEP_1) | instskip(SKIP_1) | instid1(VALU_DEP_2)
	v_add_f32_e32 v11, v11, v14
	v_fma_f32 v14, v70, v62, -v22
	v_add_f32_e32 v11, v11, v17
	s_delay_alu instid0(VALU_DEP_1) | instskip(NEXT) | instid1(VALU_DEP_1)
	v_add_f32_e32 v11, v11, v14
	v_add_f32_e32 v11, v11, v13
	s_delay_alu instid0(VALU_DEP_1)
	v_add_f32_e32 v11, v11, v12
	s_cbranch_scc1 .LBB356_2
.LBB356_3:
	s_mov_b32 s4, exec_lo
	v_cmpx_le_i32_e64 v0, v5
	s_cbranch_execz .LBB356_6
; %bb.4:
	s_clause 0x1
	s_load_b32 s4, s[0:1], 0x50
	s_load_b64 s[0:1], s[0:1], 0x58
	v_ashrrev_i32_e32 v1, 31, v0
	s_delay_alu instid0(VALU_DEP_1)
	v_lshlrev_b64 v[6:7], 3, v[0:1]
	s_waitcnt lgkmcnt(0)
	v_mad_i64_i32 v[2:3], null, s4, v5, 0
	s_mul_i32 s1, s15, s1
	s_mul_hi_u32 s4, s15, s0
	s_mul_i32 s0, s15, s0
	s_add_i32 s1, s4, s1
	s_delay_alu instid0(SALU_CYCLE_1) | instskip(NEXT) | instid1(VALU_DEP_1)
	s_lshl_b64 s[0:1], s[0:1], 3
	v_lshlrev_b64 v[2:3], 3, v[2:3]
	s_add_u32 s0, s2, s0
	s_addc_u32 s1, s3, s1
	s_delay_alu instid0(VALU_DEP_1) | instskip(NEXT) | instid1(VALU_DEP_2)
	v_add_co_u32 v1, vcc_lo, s0, v2
	v_add_co_ci_u32_e32 v2, vcc_lo, s1, v3, vcc_lo
	s_delay_alu instid0(VALU_DEP_2) | instskip(NEXT) | instid1(VALU_DEP_2)
	v_add_co_u32 v1, vcc_lo, v1, v6
	v_add_co_ci_u32_e32 v2, vcc_lo, v2, v7, vcc_lo
	v_cmp_eq_u32_e32 vcc_lo, v0, v5
	global_load_b64 v[3:4], v[1:2], off
	s_waitcnt vmcnt(0)
	v_dual_mul_f32 v7, s8, v10 :: v_dual_mul_f32 v8, s7, v4
	s_delay_alu instid0(VALU_DEP_1) | instskip(SKIP_1) | instid1(VALU_DEP_3)
	v_dual_mul_f32 v6, s9, v10 :: v_dual_fmac_f32 v7, s9, v11
	v_mul_f32_e32 v4, s6, v4
	v_fma_f32 v8, v3, s6, -v8
	s_delay_alu instid0(VALU_DEP_3) | instskip(NEXT) | instid1(VALU_DEP_1)
	v_fma_f32 v6, v11, s8, -v6
	v_dual_fmac_f32 v4, s7, v3 :: v_dual_add_f32 v3, v6, v8
	s_delay_alu instid0(VALU_DEP_1)
	v_add_f32_e32 v4, v7, v4
	global_store_b64 v[1:2], v[3:4], off
	s_and_b32 exec_lo, exec_lo, vcc_lo
	s_cbranch_execz .LBB356_6
; %bb.5:
	v_mov_b32_e32 v0, 0
	global_store_b32 v[1:2], v0, off offset:4
.LBB356_6:
	s_nop 0
	s_sendmsg sendmsg(MSG_DEALLOC_VGPRS)
	s_endpgm
	.section	.rodata,"a",@progbits
	.p2align	6, 0x0
	.amdhsa_kernel _ZL41rocblas_syrkx_herkx_small_restrict_kernelIi19rocblas_complex_numIfELi16ELb0ELb1ELc67ELc85EKS1_S1_EviT_T0_PT6_S3_lS6_S3_lS4_PT7_S3_li
		.amdhsa_group_segment_fixed_size 4096
		.amdhsa_private_segment_fixed_size 0
		.amdhsa_kernarg_size 100
		.amdhsa_user_sgpr_count 13
		.amdhsa_user_sgpr_dispatch_ptr 0
		.amdhsa_user_sgpr_queue_ptr 0
		.amdhsa_user_sgpr_kernarg_segment_ptr 1
		.amdhsa_user_sgpr_dispatch_id 0
		.amdhsa_user_sgpr_private_segment_size 0
		.amdhsa_wavefront_size32 1
		.amdhsa_uses_dynamic_stack 0
		.amdhsa_enable_private_segment 0
		.amdhsa_system_sgpr_workgroup_id_x 1
		.amdhsa_system_sgpr_workgroup_id_y 1
		.amdhsa_system_sgpr_workgroup_id_z 1
		.amdhsa_system_sgpr_workgroup_info 0
		.amdhsa_system_vgpr_workitem_id 1
		.amdhsa_next_free_vgpr 85
		.amdhsa_next_free_sgpr 22
		.amdhsa_reserve_vcc 1
		.amdhsa_float_round_mode_32 0
		.amdhsa_float_round_mode_16_64 0
		.amdhsa_float_denorm_mode_32 3
		.amdhsa_float_denorm_mode_16_64 3
		.amdhsa_dx10_clamp 1
		.amdhsa_ieee_mode 1
		.amdhsa_fp16_overflow 0
		.amdhsa_workgroup_processor_mode 1
		.amdhsa_memory_ordered 1
		.amdhsa_forward_progress 0
		.amdhsa_shared_vgpr_count 0
		.amdhsa_exception_fp_ieee_invalid_op 0
		.amdhsa_exception_fp_denorm_src 0
		.amdhsa_exception_fp_ieee_div_zero 0
		.amdhsa_exception_fp_ieee_overflow 0
		.amdhsa_exception_fp_ieee_underflow 0
		.amdhsa_exception_fp_ieee_inexact 0
		.amdhsa_exception_int_div_zero 0
	.end_amdhsa_kernel
	.section	.text._ZL41rocblas_syrkx_herkx_small_restrict_kernelIi19rocblas_complex_numIfELi16ELb0ELb1ELc67ELc85EKS1_S1_EviT_T0_PT6_S3_lS6_S3_lS4_PT7_S3_li,"axG",@progbits,_ZL41rocblas_syrkx_herkx_small_restrict_kernelIi19rocblas_complex_numIfELi16ELb0ELb1ELc67ELc85EKS1_S1_EviT_T0_PT6_S3_lS6_S3_lS4_PT7_S3_li,comdat
.Lfunc_end356:
	.size	_ZL41rocblas_syrkx_herkx_small_restrict_kernelIi19rocblas_complex_numIfELi16ELb0ELb1ELc67ELc85EKS1_S1_EviT_T0_PT6_S3_lS6_S3_lS4_PT7_S3_li, .Lfunc_end356-_ZL41rocblas_syrkx_herkx_small_restrict_kernelIi19rocblas_complex_numIfELi16ELb0ELb1ELc67ELc85EKS1_S1_EviT_T0_PT6_S3_lS6_S3_lS4_PT7_S3_li
                                        ; -- End function
	.section	.AMDGPU.csdata,"",@progbits
; Kernel info:
; codeLenInByte = 1380
; NumSgprs: 24
; NumVgprs: 85
; ScratchSize: 0
; MemoryBound: 0
; FloatMode: 240
; IeeeMode: 1
; LDSByteSize: 4096 bytes/workgroup (compile time only)
; SGPRBlocks: 2
; VGPRBlocks: 10
; NumSGPRsForWavesPerEU: 24
; NumVGPRsForWavesPerEU: 85
; Occupancy: 16
; WaveLimiterHint : 0
; COMPUTE_PGM_RSRC2:SCRATCH_EN: 0
; COMPUTE_PGM_RSRC2:USER_SGPR: 13
; COMPUTE_PGM_RSRC2:TRAP_HANDLER: 0
; COMPUTE_PGM_RSRC2:TGID_X_EN: 1
; COMPUTE_PGM_RSRC2:TGID_Y_EN: 1
; COMPUTE_PGM_RSRC2:TGID_Z_EN: 1
; COMPUTE_PGM_RSRC2:TIDIG_COMP_CNT: 1
	.section	.text._ZL41rocblas_syrkx_herkx_small_restrict_kernelIi19rocblas_complex_numIfELi16ELb0ELb1ELc78ELc85EKS1_S1_EviT_T0_PT6_S3_lS6_S3_lS4_PT7_S3_li,"axG",@progbits,_ZL41rocblas_syrkx_herkx_small_restrict_kernelIi19rocblas_complex_numIfELi16ELb0ELb1ELc78ELc85EKS1_S1_EviT_T0_PT6_S3_lS6_S3_lS4_PT7_S3_li,comdat
	.globl	_ZL41rocblas_syrkx_herkx_small_restrict_kernelIi19rocblas_complex_numIfELi16ELb0ELb1ELc78ELc85EKS1_S1_EviT_T0_PT6_S3_lS6_S3_lS4_PT7_S3_li ; -- Begin function _ZL41rocblas_syrkx_herkx_small_restrict_kernelIi19rocblas_complex_numIfELi16ELb0ELb1ELc78ELc85EKS1_S1_EviT_T0_PT6_S3_lS6_S3_lS4_PT7_S3_li
	.p2align	8
	.type	_ZL41rocblas_syrkx_herkx_small_restrict_kernelIi19rocblas_complex_numIfELi16ELb0ELb1ELc78ELc85EKS1_S1_EviT_T0_PT6_S3_lS6_S3_lS4_PT7_S3_li,@function
_ZL41rocblas_syrkx_herkx_small_restrict_kernelIi19rocblas_complex_numIfELi16ELb0ELb1ELc78ELc85EKS1_S1_EviT_T0_PT6_S3_lS6_S3_lS4_PT7_S3_li: ; @_ZL41rocblas_syrkx_herkx_small_restrict_kernelIi19rocblas_complex_numIfELi16ELb0ELb1ELc78ELc85EKS1_S1_EviT_T0_PT6_S3_lS6_S3_lS4_PT7_S3_li
; %bb.0:
	s_clause 0x3
	s_load_b32 s12, s[0:1], 0x4
	s_load_b128 s[8:11], s[0:1], 0x8
	s_load_b128 s[4:7], s[0:1], 0x38
	s_load_b64 s[2:3], s[0:1], 0x48
	v_dual_mov_b32 v12, 0 :: v_dual_and_b32 v5, 0x3ff, v0
	v_bfe_u32 v4, v0, 10, 10
	v_mov_b32_e32 v11, 0
	s_delay_alu instid0(VALU_DEP_3) | instskip(SKIP_1) | instid1(VALU_DEP_3)
	v_lshl_add_u32 v0, s13, 4, v5
	s_mov_b32 s13, 0
	v_lshl_add_u32 v2, s14, 4, v4
	s_delay_alu instid0(VALU_DEP_2)
	v_ashrrev_i32_e32 v1, 31, v0
	s_waitcnt lgkmcnt(0)
	s_cmp_lt_i32 s12, 1
	s_cbranch_scc1 .LBB357_3
; %bb.1:
	s_clause 0x2
	s_load_b32 s20, s[0:1], 0x30
	s_load_b128 s[16:19], s[0:1], 0x20
	s_load_b32 s22, s[0:1], 0x18
	v_lshlrev_b32_e32 v6, 7, v4
	v_lshlrev_b32_e32 v7, 3, v5
	v_ashrrev_i32_e32 v3, 31, v2
	s_mul_i32 s5, s5, s15
	s_mul_hi_u32 s14, s4, s15
	s_mul_i32 s4, s4, s15
	s_add_i32 s5, s14, s5
	v_add_nc_u32_e32 v8, 0x800, v6
	s_lshl_b64 s[4:5], s[4:5], 3
	v_add_nc_u32_e32 v9, v7, v6
	v_lshlrev_b64 v[11:12], 3, v[0:1]
	s_waitcnt lgkmcnt(0)
	v_mad_i64_i32 v[13:14], null, s20, v5, 0
	v_mad_i64_i32 v[15:16], null, s22, v4, 0
	v_lshlrev_b64 v[5:6], 3, v[2:3]
	s_mul_i32 s14, s17, s15
	s_mul_hi_u32 s17, s16, s15
	s_mul_i32 s16, s16, s15
	s_delay_alu instid0(VALU_DEP_3) | instskip(SKIP_1) | instid1(VALU_DEP_3)
	v_lshlrev_b64 v[13:14], 3, v[13:14]
	s_add_i32 s17, s17, s14
	v_lshlrev_b64 v[3:4], 3, v[15:16]
	s_lshl_b64 s[16:17], s[16:17], 3
	s_ashr_i32 s21, s20, 31
	s_ashr_i32 s23, s22, 31
	v_add_co_u32 v13, vcc_lo, s4, v13
	v_add_co_ci_u32_e32 v14, vcc_lo, s5, v14, vcc_lo
	s_lshl_b64 s[4:5], s[20:21], 7
	s_delay_alu instid0(VALU_DEP_2) | instskip(NEXT) | instid1(VALU_DEP_2)
	v_add_co_u32 v5, vcc_lo, v13, v5
	v_add_co_ci_u32_e32 v6, vcc_lo, v14, v6, vcc_lo
	v_add_co_u32 v3, vcc_lo, s16, v3
	v_add_co_ci_u32_e32 v4, vcc_lo, s17, v4, vcc_lo
	s_delay_alu instid0(VALU_DEP_4) | instskip(NEXT) | instid1(VALU_DEP_4)
	v_add_co_u32 v5, vcc_lo, v5, s18
	v_add_co_ci_u32_e32 v6, vcc_lo, s19, v6, vcc_lo
	s_delay_alu instid0(VALU_DEP_4) | instskip(NEXT) | instid1(VALU_DEP_4)
	;; [unrolled: 3-line block ×4, first 2 shown]
	v_add_co_u32 v5, vcc_lo, s10, v11
	v_add_co_ci_u32_e32 v6, vcc_lo, s11, v12, vcc_lo
	v_mov_b32_e32 v12, 0
	v_dual_mov_b32 v11, 0 :: v_dual_add_nc_u32 v10, v8, v7
	s_lshl_b64 s[10:11], s[22:23], 7
.LBB357_2:                              ; =>This Inner Loop Header: Depth=1
	global_load_b64 v[13:14], v[3:4], off offset:-4
	global_load_b64 v[15:16], v[5:6], off
	v_add_co_u32 v3, vcc_lo, v3, s4
	v_add_co_ci_u32_e32 v4, vcc_lo, s5, v4, vcc_lo
	v_add_co_u32 v5, vcc_lo, v5, s10
	v_add_co_ci_u32_e32 v6, vcc_lo, s11, v6, vcc_lo
	s_add_i32 s13, s13, 16
	s_delay_alu instid0(SALU_CYCLE_1)
	s_cmp_lt_i32 s13, s12
	s_waitcnt vmcnt(1)
	v_xor_b32_e32 v14, 0x80000000, v14
	s_waitcnt vmcnt(0)
	ds_store_b64 v9, v[15:16]
	ds_store_b64 v10, v[13:14]
	s_waitcnt lgkmcnt(0)
	s_barrier
	buffer_gl0_inv
	ds_load_2addr_b64 v[13:16], v7 offset1:16
	ds_load_b128 v[17:20], v8
	ds_load_b128 v[21:24], v8 offset:16
	ds_load_2addr_b64 v[25:28], v7 offset0:32 offset1:48
	ds_load_2addr_b64 v[29:32], v7 offset0:64 offset1:80
	ds_load_b128 v[33:36], v8 offset:32
	ds_load_b128 v[37:40], v8 offset:48
	ds_load_2addr_b64 v[41:44], v7 offset0:96 offset1:112
	ds_load_2addr_b64 v[45:48], v7 offset0:128 offset1:144
	ds_load_2addr_b64 v[49:52], v7 offset0:160 offset1:176
	ds_load_b128 v[53:56], v8 offset:64
	ds_load_b128 v[57:60], v8 offset:80
	ds_load_2addr_b64 v[61:64], v7 offset0:192 offset1:208
	ds_load_2addr_b64 v[65:68], v7 offset0:224 offset1:240
	ds_load_b128 v[69:72], v8 offset:96
	ds_load_b128 v[73:76], v8 offset:112
	s_waitcnt lgkmcnt(0)
	s_barrier
	buffer_gl0_inv
	v_dual_mul_f32 v77, v18, v14 :: v_dual_mul_f32 v78, v20, v16
	v_mul_f32_e32 v14, v17, v14
	v_dual_mul_f32 v16, v19, v16 :: v_dual_mul_f32 v79, v22, v26
	v_mul_f32_e32 v26, v21, v26
	s_delay_alu instid0(VALU_DEP_4) | instskip(SKIP_1) | instid1(VALU_DEP_4)
	v_fma_f32 v17, v17, v13, -v77
	v_dual_mul_f32 v80, v24, v28 :: v_dual_mul_f32 v81, v34, v30
	v_fmac_f32_e32 v16, v20, v15
	s_delay_alu instid0(VALU_DEP_4) | instskip(SKIP_4) | instid1(VALU_DEP_4)
	v_fmac_f32_e32 v26, v22, v25
	v_fmac_f32_e32 v14, v18, v13
	v_mul_f32_e32 v84, v40, v44
	v_dual_mul_f32 v28, v23, v28 :: v_dual_mul_f32 v83, v38, v42
	v_mul_f32_e32 v44, v39, v44
	v_add_f32_e32 v11, v11, v14
	v_mul_f32_e32 v30, v33, v30
	v_dual_add_f32 v12, v12, v17 :: v_dual_mul_f32 v17, v73, v66
	v_mul_f32_e32 v18, v55, v48
	s_delay_alu instid0(VALU_DEP_4) | instskip(SKIP_1) | instid1(VALU_DEP_3)
	v_add_f32_e32 v11, v11, v16
	v_dual_mul_f32 v82, v36, v32 :: v_dual_mul_f32 v85, v54, v46
	v_dual_fmac_f32 v17, v74, v65 :: v_dual_fmac_f32 v18, v56, v47
	s_delay_alu instid0(VALU_DEP_3) | instskip(SKIP_3) | instid1(VALU_DEP_4)
	v_dual_fmac_f32 v28, v24, v27 :: v_dual_add_f32 v11, v11, v26
	v_mul_f32_e32 v32, v35, v32
	v_mul_f32_e32 v46, v53, v46
	v_fmac_f32_e32 v30, v34, v29
	v_dual_mul_f32 v42, v37, v42 :: v_dual_add_f32 v11, v11, v28
	v_fma_f32 v13, v19, v15, -v78
	v_dual_mul_f32 v19, v58, v50 :: v_dual_fmac_f32 v32, v36, v31
	v_mul_f32_e32 v15, v56, v48
	s_delay_alu instid0(VALU_DEP_4) | instskip(SKIP_3) | instid1(VALU_DEP_4)
	v_add_f32_e32 v11, v11, v30
	v_mul_f32_e32 v20, v57, v50
	v_add_f32_e32 v12, v12, v13
	v_dual_mul_f32 v13, v76, v68 :: v_dual_fmac_f32 v42, v38, v41
	v_add_f32_e32 v11, v11, v32
	v_mul_f32_e32 v48, v60, v52
	v_fmac_f32_e32 v44, v40, v43
	v_mul_f32_e32 v50, v59, v52
	s_delay_alu instid0(VALU_DEP_4) | instskip(SKIP_2) | instid1(VALU_DEP_4)
	v_dual_fmac_f32 v46, v54, v45 :: v_dual_add_f32 v11, v11, v42
	v_mul_f32_e32 v52, v70, v62
	v_fmac_f32_e32 v20, v58, v49
	v_fmac_f32_e32 v50, v60, v51
	v_mul_f32_e32 v24, v71, v64
	v_add_f32_e32 v11, v11, v44
	v_fma_f32 v21, v21, v25, -v79
	v_mul_f32_e32 v16, v75, v68
	v_fma_f32 v22, v23, v27, -v80
	s_delay_alu instid0(VALU_DEP_4) | instskip(SKIP_1) | instid1(VALU_DEP_4)
	v_dual_fmac_f32 v24, v72, v63 :: v_dual_add_f32 v11, v11, v46
	v_fma_f32 v15, v55, v47, -v15
	v_fmac_f32_e32 v16, v76, v67
	v_fma_f32 v19, v57, v49, -v19
	v_mul_f32_e32 v23, v72, v64
	v_add_f32_e32 v11, v11, v18
	v_mul_f32_e32 v62, v69, v62
	v_fma_f32 v18, v69, v61, -v52
	v_fma_f32 v13, v75, v67, -v13
	s_delay_alu instid0(VALU_DEP_3) | instskip(NEXT) | instid1(VALU_DEP_1)
	v_dual_add_f32 v11, v11, v20 :: v_dual_fmac_f32 v62, v70, v61
	v_add_f32_e32 v11, v11, v50
	s_delay_alu instid0(VALU_DEP_1) | instskip(NEXT) | instid1(VALU_DEP_1)
	v_add_f32_e32 v11, v11, v62
	v_dual_mul_f32 v14, v74, v66 :: v_dual_add_f32 v11, v11, v24
	s_delay_alu instid0(VALU_DEP_1) | instskip(NEXT) | instid1(VALU_DEP_2)
	v_fma_f32 v14, v73, v65, -v14
	v_add_f32_e32 v11, v11, v17
	v_add_f32_e32 v12, v12, v21
	v_fma_f32 v21, v33, v29, -v81
	s_delay_alu instid0(VALU_DEP_2) | instskip(SKIP_1) | instid1(VALU_DEP_2)
	v_dual_add_f32 v11, v11, v16 :: v_dual_add_f32 v12, v12, v22
	v_fma_f32 v22, v35, v31, -v82
	v_add_f32_e32 v12, v12, v21
	v_fma_f32 v21, v37, v41, -v83
	s_delay_alu instid0(VALU_DEP_2) | instskip(SKIP_1) | instid1(VALU_DEP_2)
	v_add_f32_e32 v12, v12, v22
	v_fma_f32 v22, v39, v43, -v84
	v_add_f32_e32 v12, v12, v21
	v_fma_f32 v21, v53, v45, -v85
	s_delay_alu instid0(VALU_DEP_2) | instskip(NEXT) | instid1(VALU_DEP_1)
	v_add_f32_e32 v12, v12, v22
	v_add_f32_e32 v12, v12, v21
	s_delay_alu instid0(VALU_DEP_1) | instskip(SKIP_1) | instid1(VALU_DEP_2)
	v_add_f32_e32 v12, v12, v15
	v_fma_f32 v15, v59, v51, -v48
	v_add_f32_e32 v12, v12, v19
	s_delay_alu instid0(VALU_DEP_1) | instskip(SKIP_1) | instid1(VALU_DEP_2)
	v_add_f32_e32 v12, v12, v15
	v_fma_f32 v15, v71, v63, -v23
	v_add_f32_e32 v12, v12, v18
	s_delay_alu instid0(VALU_DEP_1) | instskip(NEXT) | instid1(VALU_DEP_1)
	v_add_f32_e32 v12, v12, v15
	v_add_f32_e32 v12, v12, v14
	s_delay_alu instid0(VALU_DEP_1)
	v_add_f32_e32 v12, v12, v13
	s_cbranch_scc1 .LBB357_2
.LBB357_3:
	s_mov_b32 s4, exec_lo
	v_cmpx_le_i32_e64 v0, v2
	s_cbranch_execz .LBB357_6
; %bb.4:
	s_clause 0x1
	s_load_b32 s4, s[0:1], 0x50
	s_load_b64 s[0:1], s[0:1], 0x58
	v_lshlrev_b64 v[5:6], 3, v[0:1]
	s_waitcnt lgkmcnt(0)
	v_mad_i64_i32 v[3:4], null, s4, v2, 0
	s_mul_i32 s1, s15, s1
	s_mul_hi_u32 s4, s15, s0
	s_mul_i32 s0, s15, s0
	s_add_i32 s1, s4, s1
	s_delay_alu instid0(SALU_CYCLE_1) | instskip(NEXT) | instid1(VALU_DEP_1)
	s_lshl_b64 s[0:1], s[0:1], 3
	v_lshlrev_b64 v[3:4], 3, v[3:4]
	s_add_u32 s0, s2, s0
	s_addc_u32 s1, s3, s1
	s_delay_alu instid0(VALU_DEP_1) | instskip(NEXT) | instid1(VALU_DEP_2)
	v_add_co_u32 v1, vcc_lo, s0, v3
	v_add_co_ci_u32_e32 v4, vcc_lo, s1, v4, vcc_lo
	s_delay_alu instid0(VALU_DEP_2) | instskip(NEXT) | instid1(VALU_DEP_2)
	v_add_co_u32 v3, vcc_lo, v1, v5
	v_add_co_ci_u32_e32 v4, vcc_lo, v4, v6, vcc_lo
	v_cmp_eq_u32_e32 vcc_lo, v0, v2
	global_load_b64 v[5:6], v[3:4], off
	v_mul_f32_e32 v1, s9, v11
	s_waitcnt vmcnt(0)
	v_dual_mul_f32 v7, s8, v11 :: v_dual_mul_f32 v8, s7, v6
	v_mul_f32_e32 v6, s6, v6
	s_delay_alu instid0(VALU_DEP_3) | instskip(NEXT) | instid1(VALU_DEP_3)
	v_fma_f32 v1, v12, s8, -v1
	v_fmac_f32_e32 v7, s9, v12
	s_delay_alu instid0(VALU_DEP_4) | instskip(NEXT) | instid1(VALU_DEP_1)
	v_fma_f32 v8, v5, s6, -v8
	v_dual_fmac_f32 v6, s7, v5 :: v_dual_add_f32 v5, v1, v8
	s_delay_alu instid0(VALU_DEP_1)
	v_add_f32_e32 v6, v7, v6
	global_store_b64 v[3:4], v[5:6], off
	s_and_b32 exec_lo, exec_lo, vcc_lo
	s_cbranch_execz .LBB357_6
; %bb.5:
	v_mov_b32_e32 v0, 0
	global_store_b32 v[3:4], v0, off offset:4
.LBB357_6:
	s_nop 0
	s_sendmsg sendmsg(MSG_DEALLOC_VGPRS)
	s_endpgm
	.section	.rodata,"a",@progbits
	.p2align	6, 0x0
	.amdhsa_kernel _ZL41rocblas_syrkx_herkx_small_restrict_kernelIi19rocblas_complex_numIfELi16ELb0ELb1ELc78ELc85EKS1_S1_EviT_T0_PT6_S3_lS6_S3_lS4_PT7_S3_li
		.amdhsa_group_segment_fixed_size 4096
		.amdhsa_private_segment_fixed_size 0
		.amdhsa_kernarg_size 100
		.amdhsa_user_sgpr_count 13
		.amdhsa_user_sgpr_dispatch_ptr 0
		.amdhsa_user_sgpr_queue_ptr 0
		.amdhsa_user_sgpr_kernarg_segment_ptr 1
		.amdhsa_user_sgpr_dispatch_id 0
		.amdhsa_user_sgpr_private_segment_size 0
		.amdhsa_wavefront_size32 1
		.amdhsa_uses_dynamic_stack 0
		.amdhsa_enable_private_segment 0
		.amdhsa_system_sgpr_workgroup_id_x 1
		.amdhsa_system_sgpr_workgroup_id_y 1
		.amdhsa_system_sgpr_workgroup_id_z 1
		.amdhsa_system_sgpr_workgroup_info 0
		.amdhsa_system_vgpr_workitem_id 1
		.amdhsa_next_free_vgpr 86
		.amdhsa_next_free_sgpr 24
		.amdhsa_reserve_vcc 1
		.amdhsa_float_round_mode_32 0
		.amdhsa_float_round_mode_16_64 0
		.amdhsa_float_denorm_mode_32 3
		.amdhsa_float_denorm_mode_16_64 3
		.amdhsa_dx10_clamp 1
		.amdhsa_ieee_mode 1
		.amdhsa_fp16_overflow 0
		.amdhsa_workgroup_processor_mode 1
		.amdhsa_memory_ordered 1
		.amdhsa_forward_progress 0
		.amdhsa_shared_vgpr_count 0
		.amdhsa_exception_fp_ieee_invalid_op 0
		.amdhsa_exception_fp_denorm_src 0
		.amdhsa_exception_fp_ieee_div_zero 0
		.amdhsa_exception_fp_ieee_overflow 0
		.amdhsa_exception_fp_ieee_underflow 0
		.amdhsa_exception_fp_ieee_inexact 0
		.amdhsa_exception_int_div_zero 0
	.end_amdhsa_kernel
	.section	.text._ZL41rocblas_syrkx_herkx_small_restrict_kernelIi19rocblas_complex_numIfELi16ELb0ELb1ELc78ELc85EKS1_S1_EviT_T0_PT6_S3_lS6_S3_lS4_PT7_S3_li,"axG",@progbits,_ZL41rocblas_syrkx_herkx_small_restrict_kernelIi19rocblas_complex_numIfELi16ELb0ELb1ELc78ELc85EKS1_S1_EviT_T0_PT6_S3_lS6_S3_lS4_PT7_S3_li,comdat
.Lfunc_end357:
	.size	_ZL41rocblas_syrkx_herkx_small_restrict_kernelIi19rocblas_complex_numIfELi16ELb0ELb1ELc78ELc85EKS1_S1_EviT_T0_PT6_S3_lS6_S3_lS4_PT7_S3_li, .Lfunc_end357-_ZL41rocblas_syrkx_herkx_small_restrict_kernelIi19rocblas_complex_numIfELi16ELb0ELb1ELc78ELc85EKS1_S1_EviT_T0_PT6_S3_lS6_S3_lS4_PT7_S3_li
                                        ; -- End function
	.section	.AMDGPU.csdata,"",@progbits
; Kernel info:
; codeLenInByte = 1392
; NumSgprs: 26
; NumVgprs: 86
; ScratchSize: 0
; MemoryBound: 0
; FloatMode: 240
; IeeeMode: 1
; LDSByteSize: 4096 bytes/workgroup (compile time only)
; SGPRBlocks: 3
; VGPRBlocks: 10
; NumSGPRsForWavesPerEU: 26
; NumVGPRsForWavesPerEU: 86
; Occupancy: 16
; WaveLimiterHint : 0
; COMPUTE_PGM_RSRC2:SCRATCH_EN: 0
; COMPUTE_PGM_RSRC2:USER_SGPR: 13
; COMPUTE_PGM_RSRC2:TRAP_HANDLER: 0
; COMPUTE_PGM_RSRC2:TGID_X_EN: 1
; COMPUTE_PGM_RSRC2:TGID_Y_EN: 1
; COMPUTE_PGM_RSRC2:TGID_Z_EN: 1
; COMPUTE_PGM_RSRC2:TIDIG_COMP_CNT: 1
	.section	.text._ZL32rocblas_syrkx_herkx_small_kernelIi19rocblas_complex_numIfELi16ELb1ELb1ELc84ELc76EKS1_S1_EviT_T0_PT6_S3_lS6_S3_lS4_PT7_S3_li,"axG",@progbits,_ZL32rocblas_syrkx_herkx_small_kernelIi19rocblas_complex_numIfELi16ELb1ELb1ELc84ELc76EKS1_S1_EviT_T0_PT6_S3_lS6_S3_lS4_PT7_S3_li,comdat
	.globl	_ZL32rocblas_syrkx_herkx_small_kernelIi19rocblas_complex_numIfELi16ELb1ELb1ELc84ELc76EKS1_S1_EviT_T0_PT6_S3_lS6_S3_lS4_PT7_S3_li ; -- Begin function _ZL32rocblas_syrkx_herkx_small_kernelIi19rocblas_complex_numIfELi16ELb1ELb1ELc84ELc76EKS1_S1_EviT_T0_PT6_S3_lS6_S3_lS4_PT7_S3_li
	.p2align	8
	.type	_ZL32rocblas_syrkx_herkx_small_kernelIi19rocblas_complex_numIfELi16ELb1ELb1ELc84ELc76EKS1_S1_EviT_T0_PT6_S3_lS6_S3_lS4_PT7_S3_li,@function
_ZL32rocblas_syrkx_herkx_small_kernelIi19rocblas_complex_numIfELi16ELb1ELb1ELc84ELc76EKS1_S1_EviT_T0_PT6_S3_lS6_S3_lS4_PT7_S3_li: ; @_ZL32rocblas_syrkx_herkx_small_kernelIi19rocblas_complex_numIfELi16ELb1ELb1ELc84ELc76EKS1_S1_EviT_T0_PT6_S3_lS6_S3_lS4_PT7_S3_li
; %bb.0:
	s_clause 0x1
	s_load_b64 s[16:17], s[0:1], 0x0
	s_load_b128 s[4:7], s[0:1], 0x8
	v_dual_mov_b32 v15, 0 :: v_dual_and_b32 v8, 0x3ff, v0
	v_bfe_u32 v9, v0, 10, 10
	v_mov_b32_e32 v14, 0
	s_mov_b32 s12, 0
	s_delay_alu instid0(VALU_DEP_3) | instskip(NEXT) | instid1(VALU_DEP_3)
	v_lshl_add_u32 v0, s13, 4, v8
	v_lshl_add_u32 v7, s14, 4, v9
	s_waitcnt lgkmcnt(0)
	s_delay_alu instid0(VALU_DEP_2)
	v_cmp_gt_i32_e32 vcc_lo, s16, v0
	s_cmp_lt_i32 s17, 1
	s_cbranch_scc1 .LBB358_11
; %bb.1:
	s_clause 0x3
	s_load_b32 s3, s[0:1], 0x30
	s_load_b64 s[18:19], s[0:1], 0x38
	s_load_b32 s13, s[0:1], 0x18
	s_load_b128 s[8:11], s[0:1], 0x20
	v_dual_mov_b32 v14, 0 :: v_dual_lshlrev_b32 v1, 7, v9
	v_lshlrev_b32_e32 v10, 3, v8
	v_lshlrev_b32_e32 v5, 3, v9
	v_cmp_gt_i32_e64 s2, s16, v7
	s_delay_alu instid0(VALU_DEP_4) | instskip(NEXT) | instid1(VALU_DEP_4)
	v_add_nc_u32_e32 v11, 0x800, v1
	v_dual_mov_b32 v15, 0 :: v_dual_add_nc_u32 v12, v10, v1
	s_delay_alu instid0(VALU_DEP_3)
	s_xor_b32 s2, s2, -1
	s_waitcnt lgkmcnt(0)
	v_mad_i64_i32 v[1:2], null, s3, v7, 0
	v_mad_i64_i32 v[3:4], null, s13, v0, 0
	s_mul_i32 s3, s19, s15
	s_mul_hi_u32 s14, s18, s15
	s_mul_i32 s18, s18, s15
	s_add_i32 s19, s14, s3
	s_delay_alu instid0(VALU_DEP_2)
	v_lshlrev_b64 v[1:2], 3, v[1:2]
	s_mul_i32 s9, s9, s15
	s_mul_hi_u32 s13, s8, s15
	v_lshlrev_b64 v[3:4], 3, v[3:4]
	s_lshl_b64 s[18:19], s[18:19], 3
	s_mul_i32 s8, s8, s15
	s_add_i32 s9, s13, s9
	v_add_co_u32 v1, s3, v1, s18
	s_lshl_b64 s[8:9], s[8:9], 3
	v_add_co_ci_u32_e64 v2, s3, s19, v2, s3
	v_add_co_u32 v3, s3, v3, s8
	s_delay_alu instid0(VALU_DEP_1) | instskip(SKIP_1) | instid1(VALU_DEP_1)
	v_add_co_ci_u32_e64 v4, s3, s9, v4, s3
	v_add_co_u32 v1, s3, v1, v10
	v_add_co_ci_u32_e64 v2, s3, 0, v2, s3
	s_delay_alu instid0(VALU_DEP_4) | instskip(NEXT) | instid1(VALU_DEP_1)
	v_add_co_u32 v3, s3, v3, v5
	v_add_co_ci_u32_e64 v4, s3, 0, v4, s3
	s_delay_alu instid0(VALU_DEP_4) | instskip(NEXT) | instid1(VALU_DEP_1)
	;; [unrolled: 3-line block ×3, first 2 shown]
	v_add_co_u32 v3, s3, s6, v3
	v_add_co_ci_u32_e64 v4, s3, s7, v4, s3
	v_mov_b32_e32 v5, 0
	v_add_nc_u32_e32 v13, v11, v10
	s_xor_b32 s3, vcc_lo, -1
	s_branch .LBB358_3
.LBB358_2:                              ;   in Loop: Header=BB358_3 Depth=1
	s_or_b32 exec_lo, exec_lo, s6
	s_waitcnt lgkmcnt(0)
	s_barrier
	buffer_gl0_inv
	ds_load_2addr_b64 v[16:19], v10 offset1:16
	ds_load_b128 v[20:23], v11
	ds_load_b128 v[24:27], v11 offset:16
	ds_load_2addr_b64 v[28:31], v10 offset0:32 offset1:48
	ds_load_2addr_b64 v[32:35], v10 offset0:64 offset1:80
	ds_load_b128 v[36:39], v11 offset:32
	ds_load_b128 v[40:43], v11 offset:48
	ds_load_2addr_b64 v[44:47], v10 offset0:96 offset1:112
	ds_load_2addr_b64 v[48:51], v10 offset0:128 offset1:144
	;; [unrolled: 1-line block ×3, first 2 shown]
	ds_load_b128 v[56:59], v11 offset:64
	ds_load_b128 v[60:63], v11 offset:80
	v_add_co_u32 v1, vcc_lo, 0x80, v1
	v_add_co_ci_u32_e32 v2, vcc_lo, 0, v2, vcc_lo
	v_add_co_u32 v3, vcc_lo, 0x80, v3
	v_add_co_ci_u32_e32 v4, vcc_lo, 0, v4, vcc_lo
	s_add_i32 s12, s12, 16
	s_waitcnt lgkmcnt(10)
	v_mul_f32_e32 v6, v21, v17
	v_dual_mul_f32 v17, v20, v17 :: v_dual_mul_f32 v64, v23, v19
	v_mul_f32_e32 v19, v22, v19
	s_waitcnt lgkmcnt(8)
	v_dual_mul_f32 v65, v25, v29 :: v_dual_mul_f32 v66, v27, v31
	v_fma_f32 v6, v20, v16, -v6
	s_waitcnt lgkmcnt(6)
	v_mul_f32_e32 v67, v37, v33
	v_mul_f32_e32 v33, v36, v33
	v_dual_mul_f32 v29, v24, v29 :: v_dual_mul_f32 v20, v39, v35
	v_dual_add_f32 v6, v14, v6 :: v_dual_fmac_f32 v17, v21, v16
	v_fma_f32 v21, v22, v18, -v64
	s_waitcnt lgkmcnt(4)
	v_dual_fmac_f32 v19, v23, v18 :: v_dual_mul_f32 v18, v40, v45
	v_mul_f32_e32 v16, v38, v35
	v_fma_f32 v20, v38, v34, -v20
	v_add_f32_e32 v6, v6, v21
	v_dual_mul_f32 v31, v26, v31 :: v_dual_add_f32 v14, v15, v17
	v_fma_f32 v17, v24, v28, -v65
	v_mul_f32_e32 v15, v41, v45
	v_fmac_f32_e32 v29, v25, v28
	v_fma_f32 v21, v36, v32, -v67
	v_add_f32_e32 v14, v14, v19
	v_add_f32_e32 v6, v6, v17
	v_fma_f32 v19, v26, v30, -v66
	v_fmac_f32_e32 v31, v27, v30
	s_delay_alu instid0(VALU_DEP_4) | instskip(SKIP_1) | instid1(VALU_DEP_4)
	v_dual_fmac_f32 v33, v37, v32 :: v_dual_add_f32 v14, v14, v29
	v_fmac_f32_e32 v16, v39, v34
	v_add_f32_e32 v6, v6, v19
	v_mul_f32_e32 v17, v43, v47
	v_mul_f32_e32 v19, v42, v47
	v_add_f32_e32 v14, v14, v31
	v_fma_f32 v15, v40, v44, -v15
	v_add_f32_e32 v6, v6, v21
	s_waitcnt lgkmcnt(1)
	v_mul_f32_e32 v21, v57, v49
	v_dual_fmac_f32 v18, v41, v44 :: v_dual_mul_f32 v25, v58, v51
	v_dual_add_f32 v14, v14, v33 :: v_dual_fmac_f32 v19, v43, v46
	v_add_f32_e32 v6, v6, v20
	v_fma_f32 v20, v42, v46, -v17
	s_delay_alu instid0(VALU_DEP_3)
	v_dual_fmac_f32 v25, v59, v50 :: v_dual_add_f32 v14, v14, v16
	s_waitcnt lgkmcnt(0)
	v_mul_f32_e32 v33, v63, v55
	v_add_f32_e32 v6, v6, v15
	v_fma_f32 v21, v56, v48, -v21
	v_mul_f32_e32 v34, v62, v55
	v_add_f32_e32 v18, v14, v18
	v_mul_f32_e32 v22, v56, v49
	v_add_f32_e32 v6, v6, v20
	ds_load_2addr_b64 v[14:17], v10 offset0:192 offset1:208
	v_dual_fmac_f32 v34, v63, v54 :: v_dual_add_f32 v23, v18, v19
	s_cmp_ge_i32 s12, s17
	v_add_f32_e32 v6, v6, v21
	ds_load_b128 v[18:21], v11 offset:96
	v_fmac_f32_e32 v22, v57, v48
	s_delay_alu instid0(VALU_DEP_1) | instskip(NEXT) | instid1(VALU_DEP_1)
	v_add_f32_e32 v22, v23, v22
	v_dual_mul_f32 v24, v59, v51 :: v_dual_add_f32 v31, v22, v25
	s_delay_alu instid0(VALU_DEP_1) | instskip(SKIP_1) | instid1(VALU_DEP_2)
	v_fma_f32 v23, v58, v50, -v24
	v_mul_f32_e32 v24, v61, v53
	v_add_f32_e32 v6, v6, v23
	s_delay_alu instid0(VALU_DEP_2)
	v_fma_f32 v32, v60, v52, -v24
	ds_load_2addr_b64 v[22:25], v10 offset0:224 offset1:240
	ds_load_b128 v[26:29], v11 offset:112
	v_mul_f32_e32 v30, v60, v53
	s_waitcnt lgkmcnt(0)
	s_barrier
	v_add_f32_e32 v6, v6, v32
	v_mul_f32_e32 v32, v19, v15
	v_dual_fmac_f32 v30, v61, v52 :: v_dual_mul_f32 v15, v18, v15
	buffer_gl0_inv
	v_fma_f32 v18, v18, v14, -v32
	v_add_f32_e32 v30, v31, v30
	v_fma_f32 v31, v62, v54, -v33
	v_dual_fmac_f32 v15, v19, v14 :: v_dual_mul_f32 v14, v21, v17
	s_delay_alu instid0(VALU_DEP_3) | instskip(NEXT) | instid1(VALU_DEP_3)
	v_dual_mul_f32 v17, v20, v17 :: v_dual_add_f32 v30, v30, v34
	v_add_f32_e32 v6, v6, v31
	s_delay_alu instid0(VALU_DEP_3) | instskip(NEXT) | instid1(VALU_DEP_3)
	v_fma_f32 v14, v20, v16, -v14
	v_fmac_f32_e32 v17, v21, v16
	s_delay_alu instid0(VALU_DEP_4) | instskip(NEXT) | instid1(VALU_DEP_4)
	v_add_f32_e32 v15, v30, v15
	v_add_f32_e32 v6, v6, v18
	v_mul_f32_e32 v16, v27, v23
	v_mul_f32_e32 v18, v26, v23
	s_delay_alu instid0(VALU_DEP_3) | instskip(SKIP_1) | instid1(VALU_DEP_4)
	v_add_f32_e32 v6, v6, v14
	v_add_f32_e32 v14, v15, v17
	v_fma_f32 v15, v26, v22, -v16
	s_delay_alu instid0(VALU_DEP_4) | instskip(SKIP_1) | instid1(VALU_DEP_3)
	v_fmac_f32_e32 v18, v27, v22
	v_mul_f32_e32 v16, v29, v25
	v_dual_mul_f32 v17, v28, v25 :: v_dual_add_f32 v6, v6, v15
	s_delay_alu instid0(VALU_DEP_3) | instskip(NEXT) | instid1(VALU_DEP_3)
	v_add_f32_e32 v15, v14, v18
	v_fma_f32 v14, v28, v24, -v16
	s_delay_alu instid0(VALU_DEP_1) | instskip(NEXT) | instid1(VALU_DEP_1)
	v_dual_fmac_f32 v17, v29, v24 :: v_dual_add_f32 v14, v6, v14
	v_add_f32_e32 v15, v15, v17
	s_cbranch_scc1 .LBB358_11
.LBB358_3:                              ; =>This Inner Loop Header: Depth=1
	v_add_nc_u32_e32 v6, s12, v9
	s_delay_alu instid0(VALU_DEP_1) | instskip(SKIP_1) | instid1(SALU_CYCLE_1)
	v_cmp_le_i32_e32 vcc_lo, s17, v6
	s_or_b32 s6, s3, vcc_lo
	s_and_saveexec_b32 s7, s6
	s_delay_alu instid0(SALU_CYCLE_1)
	s_xor_b32 s6, exec_lo, s7
	s_cbranch_execz .LBB358_5
; %bb.4:                                ;   in Loop: Header=BB358_3 Depth=1
	v_mov_b32_e32 v6, v5
	ds_store_b64 v12, v[5:6]
.LBB358_5:                              ;   in Loop: Header=BB358_3 Depth=1
	s_and_not1_saveexec_b32 s6, s6
	s_cbranch_execz .LBB358_7
; %bb.6:                                ;   in Loop: Header=BB358_3 Depth=1
	global_load_b64 v[16:17], v[3:4], off
	s_waitcnt vmcnt(0)
	ds_store_b64 v12, v[16:17]
.LBB358_7:                              ;   in Loop: Header=BB358_3 Depth=1
	s_or_b32 exec_lo, exec_lo, s6
	v_add_nc_u32_e32 v6, s12, v8
	s_delay_alu instid0(VALU_DEP_1) | instskip(SKIP_1) | instid1(SALU_CYCLE_1)
	v_cmp_le_i32_e32 vcc_lo, s17, v6
	s_or_b32 s6, s2, vcc_lo
	s_and_saveexec_b32 s7, s6
	s_delay_alu instid0(SALU_CYCLE_1)
	s_xor_b32 s6, exec_lo, s7
	s_cbranch_execz .LBB358_9
; %bb.8:                                ;   in Loop: Header=BB358_3 Depth=1
	v_mov_b32_e32 v6, v5
	ds_store_b64 v13, v[5:6]
.LBB358_9:                              ;   in Loop: Header=BB358_3 Depth=1
	s_and_not1_saveexec_b32 s6, s6
	s_cbranch_execz .LBB358_2
; %bb.10:                               ;   in Loop: Header=BB358_3 Depth=1
	global_load_b64 v[16:17], v[1:2], off
	s_waitcnt vmcnt(0)
	ds_store_b64 v13, v[16:17]
	s_branch .LBB358_2
.LBB358_11:
	v_cmp_le_i32_e32 vcc_lo, v7, v0
	v_cmp_gt_i32_e64 s2, s16, v0
	s_delay_alu instid0(VALU_DEP_1) | instskip(NEXT) | instid1(SALU_CYCLE_1)
	s_and_b32 s2, vcc_lo, s2
	s_and_saveexec_b32 s3, s2
	s_cbranch_execz .LBB358_14
; %bb.12:
	s_clause 0x2
	s_load_b32 s6, s[0:1], 0x50
	s_load_b64 s[2:3], s[0:1], 0x58
	s_load_b64 s[0:1], s[0:1], 0x48
	v_mul_f32_e32 v5, s4, v15
	v_mul_f32_e32 v4, s5, v15
	v_ashrrev_i32_e32 v1, 31, v0
	s_delay_alu instid0(VALU_DEP_3) | instskip(NEXT) | instid1(VALU_DEP_3)
	v_fmac_f32_e32 v5, s5, v14
	v_fma_f32 v4, v14, s4, -v4
	s_delay_alu instid0(VALU_DEP_3)
	v_lshlrev_b64 v[8:9], 3, v[0:1]
	s_waitcnt lgkmcnt(0)
	v_mad_i64_i32 v[2:3], null, s6, v7, 0
	s_mul_i32 s3, s15, s3
	s_mul_hi_u32 s4, s15, s2
	s_mul_i32 s2, s15, s2
	s_add_i32 s3, s4, s3
	s_delay_alu instid0(SALU_CYCLE_1) | instskip(NEXT) | instid1(VALU_DEP_1)
	s_lshl_b64 s[2:3], s[2:3], 3
	v_lshlrev_b64 v[2:3], 3, v[2:3]
	s_add_u32 s0, s0, s2
	s_addc_u32 s1, s1, s3
	s_delay_alu instid0(VALU_DEP_1) | instskip(NEXT) | instid1(VALU_DEP_2)
	v_add_co_u32 v1, vcc_lo, s0, v2
	v_add_co_ci_u32_e32 v2, vcc_lo, s1, v3, vcc_lo
	s_delay_alu instid0(VALU_DEP_2) | instskip(NEXT) | instid1(VALU_DEP_2)
	v_add_co_u32 v1, vcc_lo, v1, v8
	v_add_co_ci_u32_e32 v2, vcc_lo, v2, v9, vcc_lo
	v_cmp_eq_u32_e32 vcc_lo, v0, v7
	global_store_b64 v[1:2], v[4:5], off
	s_and_b32 exec_lo, exec_lo, vcc_lo
	s_cbranch_execz .LBB358_14
; %bb.13:
	v_mov_b32_e32 v0, 0
	global_store_b32 v[1:2], v0, off offset:4
.LBB358_14:
	s_nop 0
	s_sendmsg sendmsg(MSG_DEALLOC_VGPRS)
	s_endpgm
	.section	.rodata,"a",@progbits
	.p2align	6, 0x0
	.amdhsa_kernel _ZL32rocblas_syrkx_herkx_small_kernelIi19rocblas_complex_numIfELi16ELb1ELb1ELc84ELc76EKS1_S1_EviT_T0_PT6_S3_lS6_S3_lS4_PT7_S3_li
		.amdhsa_group_segment_fixed_size 4096
		.amdhsa_private_segment_fixed_size 0
		.amdhsa_kernarg_size 100
		.amdhsa_user_sgpr_count 13
		.amdhsa_user_sgpr_dispatch_ptr 0
		.amdhsa_user_sgpr_queue_ptr 0
		.amdhsa_user_sgpr_kernarg_segment_ptr 1
		.amdhsa_user_sgpr_dispatch_id 0
		.amdhsa_user_sgpr_private_segment_size 0
		.amdhsa_wavefront_size32 1
		.amdhsa_uses_dynamic_stack 0
		.amdhsa_enable_private_segment 0
		.amdhsa_system_sgpr_workgroup_id_x 1
		.amdhsa_system_sgpr_workgroup_id_y 1
		.amdhsa_system_sgpr_workgroup_id_z 1
		.amdhsa_system_sgpr_workgroup_info 0
		.amdhsa_system_vgpr_workitem_id 1
		.amdhsa_next_free_vgpr 68
		.amdhsa_next_free_sgpr 20
		.amdhsa_reserve_vcc 1
		.amdhsa_float_round_mode_32 0
		.amdhsa_float_round_mode_16_64 0
		.amdhsa_float_denorm_mode_32 3
		.amdhsa_float_denorm_mode_16_64 3
		.amdhsa_dx10_clamp 1
		.amdhsa_ieee_mode 1
		.amdhsa_fp16_overflow 0
		.amdhsa_workgroup_processor_mode 1
		.amdhsa_memory_ordered 1
		.amdhsa_forward_progress 0
		.amdhsa_shared_vgpr_count 0
		.amdhsa_exception_fp_ieee_invalid_op 0
		.amdhsa_exception_fp_denorm_src 0
		.amdhsa_exception_fp_ieee_div_zero 0
		.amdhsa_exception_fp_ieee_overflow 0
		.amdhsa_exception_fp_ieee_underflow 0
		.amdhsa_exception_fp_ieee_inexact 0
		.amdhsa_exception_int_div_zero 0
	.end_amdhsa_kernel
	.section	.text._ZL32rocblas_syrkx_herkx_small_kernelIi19rocblas_complex_numIfELi16ELb1ELb1ELc84ELc76EKS1_S1_EviT_T0_PT6_S3_lS6_S3_lS4_PT7_S3_li,"axG",@progbits,_ZL32rocblas_syrkx_herkx_small_kernelIi19rocblas_complex_numIfELi16ELb1ELb1ELc84ELc76EKS1_S1_EviT_T0_PT6_S3_lS6_S3_lS4_PT7_S3_li,comdat
.Lfunc_end358:
	.size	_ZL32rocblas_syrkx_herkx_small_kernelIi19rocblas_complex_numIfELi16ELb1ELb1ELc84ELc76EKS1_S1_EviT_T0_PT6_S3_lS6_S3_lS4_PT7_S3_li, .Lfunc_end358-_ZL32rocblas_syrkx_herkx_small_kernelIi19rocblas_complex_numIfELi16ELb1ELb1ELc84ELc76EKS1_S1_EviT_T0_PT6_S3_lS6_S3_lS4_PT7_S3_li
                                        ; -- End function
	.section	.AMDGPU.csdata,"",@progbits
; Kernel info:
; codeLenInByte = 1488
; NumSgprs: 22
; NumVgprs: 68
; ScratchSize: 0
; MemoryBound: 1
; FloatMode: 240
; IeeeMode: 1
; LDSByteSize: 4096 bytes/workgroup (compile time only)
; SGPRBlocks: 2
; VGPRBlocks: 8
; NumSGPRsForWavesPerEU: 22
; NumVGPRsForWavesPerEU: 68
; Occupancy: 16
; WaveLimiterHint : 0
; COMPUTE_PGM_RSRC2:SCRATCH_EN: 0
; COMPUTE_PGM_RSRC2:USER_SGPR: 13
; COMPUTE_PGM_RSRC2:TRAP_HANDLER: 0
; COMPUTE_PGM_RSRC2:TGID_X_EN: 1
; COMPUTE_PGM_RSRC2:TGID_Y_EN: 1
; COMPUTE_PGM_RSRC2:TGID_Z_EN: 1
; COMPUTE_PGM_RSRC2:TIDIG_COMP_CNT: 1
	.section	.text._ZL32rocblas_syrkx_herkx_small_kernelIi19rocblas_complex_numIfELi16ELb1ELb1ELc67ELc76EKS1_S1_EviT_T0_PT6_S3_lS6_S3_lS4_PT7_S3_li,"axG",@progbits,_ZL32rocblas_syrkx_herkx_small_kernelIi19rocblas_complex_numIfELi16ELb1ELb1ELc67ELc76EKS1_S1_EviT_T0_PT6_S3_lS6_S3_lS4_PT7_S3_li,comdat
	.globl	_ZL32rocblas_syrkx_herkx_small_kernelIi19rocblas_complex_numIfELi16ELb1ELb1ELc67ELc76EKS1_S1_EviT_T0_PT6_S3_lS6_S3_lS4_PT7_S3_li ; -- Begin function _ZL32rocblas_syrkx_herkx_small_kernelIi19rocblas_complex_numIfELi16ELb1ELb1ELc67ELc76EKS1_S1_EviT_T0_PT6_S3_lS6_S3_lS4_PT7_S3_li
	.p2align	8
	.type	_ZL32rocblas_syrkx_herkx_small_kernelIi19rocblas_complex_numIfELi16ELb1ELb1ELc67ELc76EKS1_S1_EviT_T0_PT6_S3_lS6_S3_lS4_PT7_S3_li,@function
_ZL32rocblas_syrkx_herkx_small_kernelIi19rocblas_complex_numIfELi16ELb1ELb1ELc67ELc76EKS1_S1_EviT_T0_PT6_S3_lS6_S3_lS4_PT7_S3_li: ; @_ZL32rocblas_syrkx_herkx_small_kernelIi19rocblas_complex_numIfELi16ELb1ELb1ELc67ELc76EKS1_S1_EviT_T0_PT6_S3_lS6_S3_lS4_PT7_S3_li
; %bb.0:
	s_clause 0x1
	s_load_b64 s[16:17], s[0:1], 0x0
	s_load_b128 s[4:7], s[0:1], 0x8
	v_dual_mov_b32 v15, 0 :: v_dual_and_b32 v8, 0x3ff, v0
	v_bfe_u32 v9, v0, 10, 10
	v_mov_b32_e32 v16, 0
	s_mov_b32 s12, 0
	s_delay_alu instid0(VALU_DEP_3) | instskip(NEXT) | instid1(VALU_DEP_3)
	v_lshl_add_u32 v0, s13, 4, v8
	v_lshl_add_u32 v7, s14, 4, v9
	s_waitcnt lgkmcnt(0)
	s_delay_alu instid0(VALU_DEP_2)
	v_cmp_gt_i32_e32 vcc_lo, s16, v0
	s_cmp_lt_i32 s17, 1
	s_cbranch_scc1 .LBB359_11
; %bb.1:
	s_clause 0x3
	s_load_b32 s3, s[0:1], 0x30
	s_load_b32 s13, s[0:1], 0x18
	s_load_b64 s[18:19], s[0:1], 0x38
	s_load_b128 s[8:11], s[0:1], 0x20
	v_dual_mov_b32 v14, 0 :: v_dual_lshlrev_b32 v1, 7, v9
	v_lshlrev_b32_e32 v10, 3, v8
	v_lshlrev_b32_e32 v5, 3, v9
	v_cmp_gt_i32_e64 s2, s16, v7
	s_delay_alu instid0(VALU_DEP_4) | instskip(NEXT) | instid1(VALU_DEP_4)
	v_dual_mov_b32 v16, 0 :: v_dual_add_nc_u32 v11, 0x800, v1
	v_dual_mov_b32 v15, 0 :: v_dual_add_nc_u32 v12, v10, v1
	s_delay_alu instid0(VALU_DEP_3)
	s_xor_b32 s2, s2, -1
	s_waitcnt lgkmcnt(0)
	v_mad_i64_i32 v[1:2], null, s3, v7, 0
	v_mad_i64_i32 v[3:4], null, s13, v0, 0
	s_mul_i32 s9, s9, s15
	s_mul_hi_u32 s14, s8, s15
	s_mul_i32 s8, s8, s15
	s_add_i32 s9, s14, s9
	s_mul_i32 s3, s19, s15
	s_mul_hi_u32 s13, s18, s15
	s_delay_alu instid0(VALU_DEP_1) | instskip(SKIP_4) | instid1(VALU_DEP_2)
	v_lshlrev_b64 v[3:4], 3, v[3:4]
	v_lshlrev_b64 v[1:2], 3, v[1:2]
	s_lshl_b64 s[8:9], s[8:9], 3
	s_mul_i32 s18, s18, s15
	s_add_i32 s19, s13, s3
	v_add_co_u32 v3, s3, v3, s8
	s_lshl_b64 s[18:19], s[18:19], 3
	v_add_co_ci_u32_e64 v4, s3, s9, v4, s3
	v_add_co_u32 v1, s3, v1, s18
	s_delay_alu instid0(VALU_DEP_1) | instskip(SKIP_1) | instid1(VALU_DEP_1)
	v_add_co_ci_u32_e64 v2, s3, s19, v2, s3
	v_add_co_u32 v3, s3, v3, v5
	v_add_co_ci_u32_e64 v4, s3, 0, v4, s3
	v_mov_b32_e32 v5, 0
	v_add_co_u32 v1, s3, v1, v10
	s_delay_alu instid0(VALU_DEP_1) | instskip(SKIP_1) | instid1(VALU_DEP_1)
	v_add_co_ci_u32_e64 v2, s3, 0, v2, s3
	v_add_co_u32 v3, s3, v3, s6
	v_add_co_ci_u32_e64 v4, s3, s7, v4, s3
	s_delay_alu instid0(VALU_DEP_4) | instskip(NEXT) | instid1(VALU_DEP_1)
	v_add_co_u32 v1, s3, s10, v1
	v_add_co_ci_u32_e64 v2, s3, s11, v2, s3
	s_delay_alu instid0(VALU_DEP_4)
	v_add_co_u32 v3, s3, v3, 4
	v_add_nc_u32_e32 v13, v11, v10
	v_add_co_ci_u32_e64 v4, s3, 0, v4, s3
	s_xor_b32 s3, vcc_lo, -1
	s_branch .LBB359_3
.LBB359_2:                              ;   in Loop: Header=BB359_3 Depth=1
	s_or_b32 exec_lo, exec_lo, s6
	s_waitcnt lgkmcnt(0)
	s_barrier
	buffer_gl0_inv
	ds_load_2addr_b64 v[17:20], v10 offset1:16
	ds_load_b128 v[21:24], v11
	ds_load_b128 v[25:28], v11 offset:16
	ds_load_2addr_b64 v[29:32], v10 offset0:32 offset1:48
	ds_load_2addr_b64 v[33:36], v10 offset0:64 offset1:80
	ds_load_b128 v[37:40], v11 offset:32
	ds_load_b128 v[41:44], v11 offset:48
	ds_load_2addr_b64 v[45:48], v10 offset0:96 offset1:112
	ds_load_2addr_b64 v[49:52], v10 offset0:128 offset1:144
	;; [unrolled: 1-line block ×3, first 2 shown]
	ds_load_b128 v[57:60], v11 offset:64
	ds_load_b128 v[61:64], v11 offset:80
	v_add_co_u32 v1, vcc_lo, 0x80, v1
	v_add_co_ci_u32_e32 v2, vcc_lo, 0, v2, vcc_lo
	v_add_co_u32 v3, vcc_lo, 0x80, v3
	v_add_co_ci_u32_e32 v4, vcc_lo, 0, v4, vcc_lo
	s_add_i32 s12, s12, 16
	s_waitcnt lgkmcnt(10)
	v_dual_mul_f32 v6, v22, v18 :: v_dual_mul_f32 v65, v24, v20
	s_waitcnt lgkmcnt(8)
	v_dual_mul_f32 v18, v21, v18 :: v_dual_mul_f32 v67, v28, v32
	v_mul_f32_e32 v66, v26, v30
	s_delay_alu instid0(VALU_DEP_3) | instskip(SKIP_1) | instid1(VALU_DEP_3)
	v_fma_f32 v6, v21, v17, -v6
	s_waitcnt lgkmcnt(6)
	v_dual_mul_f32 v21, v40, v36 :: v_dual_fmac_f32 v18, v22, v17
	v_mul_f32_e32 v20, v23, v20
	v_dual_mul_f32 v30, v25, v30 :: v_dual_mul_f32 v17, v39, v36
	v_add_f32_e32 v6, v15, v6
	s_delay_alu instid0(VALU_DEP_4) | instskip(NEXT) | instid1(VALU_DEP_4)
	v_add_f32_e32 v15, v16, v18
	v_fmac_f32_e32 v20, v24, v19
	v_mul_f32_e32 v32, v27, v32
	v_mul_f32_e32 v68, v38, v34
	v_fma_f32 v22, v23, v19, -v65
	s_waitcnt lgkmcnt(1)
	v_dual_fmac_f32 v30, v26, v29 :: v_dual_mul_f32 v23, v57, v50
	v_add_f32_e32 v15, v15, v20
	v_dual_mul_f32 v19, v41, v46 :: v_dual_fmac_f32 v32, v28, v31
	v_fma_f32 v20, v27, v31, -v67
	v_fmac_f32_e32 v17, v40, v35
	s_delay_alu instid0(VALU_DEP_4) | instskip(NEXT) | instid1(VALU_DEP_4)
	v_add_f32_e32 v15, v15, v30
	v_dual_fmac_f32 v19, v42, v45 :: v_dual_mul_f32 v34, v37, v34
	s_waitcnt lgkmcnt(0)
	v_mul_f32_e32 v31, v61, v54
	v_fma_f32 v18, v25, v29, -v66
	v_add_f32_e32 v15, v15, v32
	v_mul_f32_e32 v26, v59, v52
	v_fmac_f32_e32 v34, v38, v33
	v_fma_f32 v21, v39, v35, -v21
	s_cmp_ge_i32 s12, s17
	v_fmac_f32_e32 v23, v58, v49
	v_mul_f32_e32 v25, v60, v52
	v_add_f32_e32 v15, v15, v34
	v_mul_f32_e32 v16, v42, v46
	v_dual_fmac_f32 v26, v60, v51 :: v_dual_fmac_f32 v31, v62, v53
	v_mul_f32_e32 v35, v63, v56
	s_delay_alu instid0(VALU_DEP_4) | instskip(SKIP_2) | instid1(VALU_DEP_4)
	v_dual_add_f32 v15, v15, v17 :: v_dual_add_f32 v6, v6, v22
	v_fma_f32 v22, v37, v33, -v68
	v_fma_f32 v16, v41, v45, -v16
	v_fmac_f32_e32 v35, v64, v55
	s_delay_alu instid0(VALU_DEP_4) | instskip(SKIP_1) | instid1(VALU_DEP_2)
	v_dual_add_f32 v19, v15, v19 :: v_dual_add_f32 v6, v6, v18
	v_mul_f32_e32 v18, v44, v48
	v_add_f32_e32 v6, v6, v20
	v_mul_f32_e32 v20, v43, v48
	s_delay_alu instid0(VALU_DEP_1) | instskip(NEXT) | instid1(VALU_DEP_1)
	v_fmac_f32_e32 v20, v44, v47
	v_add_f32_e32 v24, v19, v20
	s_delay_alu instid0(VALU_DEP_1) | instskip(SKIP_2) | instid1(VALU_DEP_3)
	v_dual_add_f32 v23, v24, v23 :: v_dual_add_f32 v6, v6, v22
	v_fma_f32 v24, v59, v51, -v25
	v_mul_f32_e32 v25, v62, v54
	v_add_f32_e32 v32, v23, v26
	s_delay_alu instid0(VALU_DEP_4) | instskip(SKIP_3) | instid1(VALU_DEP_4)
	v_add_f32_e32 v6, v6, v21
	v_mul_f32_e32 v22, v58, v50
	v_fma_f32 v21, v43, v47, -v18
	v_fma_f32 v33, v61, v53, -v25
	v_dual_add_f32 v31, v32, v31 :: v_dual_add_f32 v6, v6, v16
	ds_load_2addr_b64 v[15:18], v10 offset0:192 offset1:208
	v_fma_f32 v22, v57, v49, -v22
	v_dual_add_f32 v31, v31, v35 :: v_dual_add_f32 v6, v6, v21
	s_delay_alu instid0(VALU_DEP_1)
	v_add_f32_e32 v6, v6, v22
	ds_load_b128 v[19:22], v11 offset:96
	v_add_f32_e32 v6, v6, v24
	ds_load_2addr_b64 v[23:26], v10 offset0:224 offset1:240
	ds_load_b128 v[27:30], v11 offset:112
	v_mul_f32_e32 v34, v64, v56
	s_waitcnt lgkmcnt(0)
	s_barrier
	v_add_f32_e32 v6, v6, v33
	buffer_gl0_inv
	v_fma_f32 v32, v63, v55, -v34
	s_delay_alu instid0(VALU_DEP_1) | instskip(SKIP_2) | instid1(VALU_DEP_2)
	v_add_f32_e32 v6, v6, v32
	v_mul_f32_e32 v33, v20, v16
	v_mul_f32_e32 v16, v19, v16
	v_fma_f32 v19, v19, v15, -v33
	s_delay_alu instid0(VALU_DEP_2) | instskip(SKIP_1) | instid1(VALU_DEP_3)
	v_dual_fmac_f32 v16, v20, v15 :: v_dual_mul_f32 v15, v22, v18
	v_mul_f32_e32 v18, v21, v18
	v_add_f32_e32 v6, v6, v19
	s_delay_alu instid0(VALU_DEP_3) | instskip(NEXT) | instid1(VALU_DEP_4)
	v_add_f32_e32 v16, v31, v16
	v_fma_f32 v15, v21, v17, -v15
	s_delay_alu instid0(VALU_DEP_4) | instskip(NEXT) | instid1(VALU_DEP_2)
	v_dual_fmac_f32 v18, v22, v17 :: v_dual_mul_f32 v17, v28, v24
	v_dual_mul_f32 v19, v27, v24 :: v_dual_add_f32 v6, v6, v15
	s_delay_alu instid0(VALU_DEP_2) | instskip(NEXT) | instid1(VALU_DEP_3)
	v_add_f32_e32 v15, v16, v18
	v_fma_f32 v16, v27, v23, -v17
	v_mul_f32_e32 v17, v30, v26
	s_delay_alu instid0(VALU_DEP_4) | instskip(NEXT) | instid1(VALU_DEP_3)
	v_dual_fmac_f32 v19, v28, v23 :: v_dual_mul_f32 v18, v29, v26
	v_add_f32_e32 v6, v6, v16
	s_delay_alu instid0(VALU_DEP_2) | instskip(NEXT) | instid1(VALU_DEP_4)
	v_add_f32_e32 v16, v15, v19
	v_fma_f32 v15, v29, v25, -v17
	s_delay_alu instid0(VALU_DEP_4) | instskip(NEXT) | instid1(VALU_DEP_1)
	v_fmac_f32_e32 v18, v30, v25
	v_dual_add_f32 v15, v6, v15 :: v_dual_add_f32 v16, v16, v18
	s_cbranch_scc1 .LBB359_11
.LBB359_3:                              ; =>This Inner Loop Header: Depth=1
	v_add_nc_u32_e32 v6, s12, v9
                                        ; implicit-def: $sgpr7
	s_delay_alu instid0(VALU_DEP_1) | instskip(SKIP_1) | instid1(SALU_CYCLE_1)
	v_cmp_le_i32_e32 vcc_lo, s17, v6
	s_or_b32 s6, s3, vcc_lo
	s_and_saveexec_b32 s8, s6
	s_delay_alu instid0(SALU_CYCLE_1)
	s_xor_b32 s6, exec_lo, s8
	s_cbranch_execz .LBB359_5
; %bb.4:                                ;   in Loop: Header=BB359_3 Depth=1
	s_mov_b32 s7, 0
	ds_store_b32 v12, v14
.LBB359_5:                              ;   in Loop: Header=BB359_3 Depth=1
	s_or_saveexec_b32 s6, s6
	v_mov_b32_e32 v6, s7
	s_xor_b32 exec_lo, exec_lo, s6
	s_cbranch_execz .LBB359_7
; %bb.6:                                ;   in Loop: Header=BB359_3 Depth=1
	global_load_b64 v[17:18], v[3:4], off offset:-4
	s_waitcnt vmcnt(0)
	v_xor_b32_e32 v6, 0x80000000, v18
	ds_store_b32 v12, v17
.LBB359_7:                              ;   in Loop: Header=BB359_3 Depth=1
	s_or_b32 exec_lo, exec_lo, s6
	v_add_nc_u32_e32 v17, s12, v8
	ds_store_b32 v12, v6 offset:4
	v_cmp_le_i32_e32 vcc_lo, s17, v17
	s_or_b32 s6, s2, vcc_lo
	s_delay_alu instid0(SALU_CYCLE_1) | instskip(NEXT) | instid1(SALU_CYCLE_1)
	s_and_saveexec_b32 s7, s6
	s_xor_b32 s6, exec_lo, s7
	s_cbranch_execz .LBB359_9
; %bb.8:                                ;   in Loop: Header=BB359_3 Depth=1
	v_mov_b32_e32 v6, v5
	ds_store_b64 v13, v[5:6]
.LBB359_9:                              ;   in Loop: Header=BB359_3 Depth=1
	s_and_not1_saveexec_b32 s6, s6
	s_cbranch_execz .LBB359_2
; %bb.10:                               ;   in Loop: Header=BB359_3 Depth=1
	global_load_b64 v[17:18], v[1:2], off
	s_waitcnt vmcnt(0)
	ds_store_b64 v13, v[17:18]
	s_branch .LBB359_2
.LBB359_11:
	v_cmp_le_i32_e32 vcc_lo, v7, v0
	v_cmp_gt_i32_e64 s2, s16, v0
	s_delay_alu instid0(VALU_DEP_1) | instskip(NEXT) | instid1(SALU_CYCLE_1)
	s_and_b32 s2, vcc_lo, s2
	s_and_saveexec_b32 s3, s2
	s_cbranch_execz .LBB359_14
; %bb.12:
	s_clause 0x2
	s_load_b32 s6, s[0:1], 0x50
	s_load_b64 s[2:3], s[0:1], 0x58
	s_load_b64 s[0:1], s[0:1], 0x48
	v_mul_f32_e32 v5, s4, v16
	v_mul_f32_e32 v4, s5, v16
	v_ashrrev_i32_e32 v1, 31, v0
	s_delay_alu instid0(VALU_DEP_3) | instskip(NEXT) | instid1(VALU_DEP_3)
	v_fmac_f32_e32 v5, s5, v15
	v_fma_f32 v4, v15, s4, -v4
	s_delay_alu instid0(VALU_DEP_3)
	v_lshlrev_b64 v[8:9], 3, v[0:1]
	s_waitcnt lgkmcnt(0)
	v_mad_i64_i32 v[2:3], null, s6, v7, 0
	s_mul_i32 s3, s15, s3
	s_mul_hi_u32 s4, s15, s2
	s_mul_i32 s2, s15, s2
	s_add_i32 s3, s4, s3
	s_delay_alu instid0(SALU_CYCLE_1) | instskip(NEXT) | instid1(VALU_DEP_1)
	s_lshl_b64 s[2:3], s[2:3], 3
	v_lshlrev_b64 v[2:3], 3, v[2:3]
	s_add_u32 s0, s0, s2
	s_addc_u32 s1, s1, s3
	s_delay_alu instid0(VALU_DEP_1) | instskip(NEXT) | instid1(VALU_DEP_2)
	v_add_co_u32 v1, vcc_lo, s0, v2
	v_add_co_ci_u32_e32 v2, vcc_lo, s1, v3, vcc_lo
	s_delay_alu instid0(VALU_DEP_2) | instskip(NEXT) | instid1(VALU_DEP_2)
	v_add_co_u32 v1, vcc_lo, v1, v8
	v_add_co_ci_u32_e32 v2, vcc_lo, v2, v9, vcc_lo
	v_cmp_eq_u32_e32 vcc_lo, v0, v7
	global_store_b64 v[1:2], v[4:5], off
	s_and_b32 exec_lo, exec_lo, vcc_lo
	s_cbranch_execz .LBB359_14
; %bb.13:
	v_mov_b32_e32 v0, 0
	global_store_b32 v[1:2], v0, off offset:4
.LBB359_14:
	s_nop 0
	s_sendmsg sendmsg(MSG_DEALLOC_VGPRS)
	s_endpgm
	.section	.rodata,"a",@progbits
	.p2align	6, 0x0
	.amdhsa_kernel _ZL32rocblas_syrkx_herkx_small_kernelIi19rocblas_complex_numIfELi16ELb1ELb1ELc67ELc76EKS1_S1_EviT_T0_PT6_S3_lS6_S3_lS4_PT7_S3_li
		.amdhsa_group_segment_fixed_size 4096
		.amdhsa_private_segment_fixed_size 0
		.amdhsa_kernarg_size 100
		.amdhsa_user_sgpr_count 13
		.amdhsa_user_sgpr_dispatch_ptr 0
		.amdhsa_user_sgpr_queue_ptr 0
		.amdhsa_user_sgpr_kernarg_segment_ptr 1
		.amdhsa_user_sgpr_dispatch_id 0
		.amdhsa_user_sgpr_private_segment_size 0
		.amdhsa_wavefront_size32 1
		.amdhsa_uses_dynamic_stack 0
		.amdhsa_enable_private_segment 0
		.amdhsa_system_sgpr_workgroup_id_x 1
		.amdhsa_system_sgpr_workgroup_id_y 1
		.amdhsa_system_sgpr_workgroup_id_z 1
		.amdhsa_system_sgpr_workgroup_info 0
		.amdhsa_system_vgpr_workitem_id 1
		.amdhsa_next_free_vgpr 69
		.amdhsa_next_free_sgpr 20
		.amdhsa_reserve_vcc 1
		.amdhsa_float_round_mode_32 0
		.amdhsa_float_round_mode_16_64 0
		.amdhsa_float_denorm_mode_32 3
		.amdhsa_float_denorm_mode_16_64 3
		.amdhsa_dx10_clamp 1
		.amdhsa_ieee_mode 1
		.amdhsa_fp16_overflow 0
		.amdhsa_workgroup_processor_mode 1
		.amdhsa_memory_ordered 1
		.amdhsa_forward_progress 0
		.amdhsa_shared_vgpr_count 0
		.amdhsa_exception_fp_ieee_invalid_op 0
		.amdhsa_exception_fp_denorm_src 0
		.amdhsa_exception_fp_ieee_div_zero 0
		.amdhsa_exception_fp_ieee_overflow 0
		.amdhsa_exception_fp_ieee_underflow 0
		.amdhsa_exception_fp_ieee_inexact 0
		.amdhsa_exception_int_div_zero 0
	.end_amdhsa_kernel
	.section	.text._ZL32rocblas_syrkx_herkx_small_kernelIi19rocblas_complex_numIfELi16ELb1ELb1ELc67ELc76EKS1_S1_EviT_T0_PT6_S3_lS6_S3_lS4_PT7_S3_li,"axG",@progbits,_ZL32rocblas_syrkx_herkx_small_kernelIi19rocblas_complex_numIfELi16ELb1ELb1ELc67ELc76EKS1_S1_EviT_T0_PT6_S3_lS6_S3_lS4_PT7_S3_li,comdat
.Lfunc_end359:
	.size	_ZL32rocblas_syrkx_herkx_small_kernelIi19rocblas_complex_numIfELi16ELb1ELb1ELc67ELc76EKS1_S1_EviT_T0_PT6_S3_lS6_S3_lS4_PT7_S3_li, .Lfunc_end359-_ZL32rocblas_syrkx_herkx_small_kernelIi19rocblas_complex_numIfELi16ELb1ELb1ELc67ELc76EKS1_S1_EviT_T0_PT6_S3_lS6_S3_lS4_PT7_S3_li
                                        ; -- End function
	.section	.AMDGPU.csdata,"",@progbits
; Kernel info:
; codeLenInByte = 1544
; NumSgprs: 22
; NumVgprs: 69
; ScratchSize: 0
; MemoryBound: 1
; FloatMode: 240
; IeeeMode: 1
; LDSByteSize: 4096 bytes/workgroup (compile time only)
; SGPRBlocks: 2
; VGPRBlocks: 8
; NumSGPRsForWavesPerEU: 22
; NumVGPRsForWavesPerEU: 69
; Occupancy: 16
; WaveLimiterHint : 0
; COMPUTE_PGM_RSRC2:SCRATCH_EN: 0
; COMPUTE_PGM_RSRC2:USER_SGPR: 13
; COMPUTE_PGM_RSRC2:TRAP_HANDLER: 0
; COMPUTE_PGM_RSRC2:TGID_X_EN: 1
; COMPUTE_PGM_RSRC2:TGID_Y_EN: 1
; COMPUTE_PGM_RSRC2:TGID_Z_EN: 1
; COMPUTE_PGM_RSRC2:TIDIG_COMP_CNT: 1
	.section	.text._ZL32rocblas_syrkx_herkx_small_kernelIi19rocblas_complex_numIfELi16ELb1ELb1ELc78ELc76EKS1_S1_EviT_T0_PT6_S3_lS6_S3_lS4_PT7_S3_li,"axG",@progbits,_ZL32rocblas_syrkx_herkx_small_kernelIi19rocblas_complex_numIfELi16ELb1ELb1ELc78ELc76EKS1_S1_EviT_T0_PT6_S3_lS6_S3_lS4_PT7_S3_li,comdat
	.globl	_ZL32rocblas_syrkx_herkx_small_kernelIi19rocblas_complex_numIfELi16ELb1ELb1ELc78ELc76EKS1_S1_EviT_T0_PT6_S3_lS6_S3_lS4_PT7_S3_li ; -- Begin function _ZL32rocblas_syrkx_herkx_small_kernelIi19rocblas_complex_numIfELi16ELb1ELb1ELc78ELc76EKS1_S1_EviT_T0_PT6_S3_lS6_S3_lS4_PT7_S3_li
	.p2align	8
	.type	_ZL32rocblas_syrkx_herkx_small_kernelIi19rocblas_complex_numIfELi16ELb1ELb1ELc78ELc76EKS1_S1_EviT_T0_PT6_S3_lS6_S3_lS4_PT7_S3_li,@function
_ZL32rocblas_syrkx_herkx_small_kernelIi19rocblas_complex_numIfELi16ELb1ELb1ELc78ELc76EKS1_S1_EviT_T0_PT6_S3_lS6_S3_lS4_PT7_S3_li: ; @_ZL32rocblas_syrkx_herkx_small_kernelIi19rocblas_complex_numIfELi16ELb1ELb1ELc78ELc76EKS1_S1_EviT_T0_PT6_S3_lS6_S3_lS4_PT7_S3_li
; %bb.0:
	s_clause 0x1
	s_load_b64 s[16:17], s[0:1], 0x0
	s_load_b128 s[4:7], s[0:1], 0x8
	v_dual_mov_b32 v16, 0 :: v_dual_and_b32 v9, 0x3ff, v0
	v_bfe_u32 v10, v0, 10, 10
	v_mov_b32_e32 v17, 0
	s_delay_alu instid0(VALU_DEP_3) | instskip(NEXT) | instid1(VALU_DEP_3)
	v_lshl_add_u32 v0, s13, 4, v9
	v_lshl_add_u32 v2, s14, 4, v10
	s_mov_b32 s14, 0
	s_delay_alu instid0(VALU_DEP_2)
	v_ashrrev_i32_e32 v1, 31, v0
	s_waitcnt lgkmcnt(0)
	v_cmp_gt_i32_e32 vcc_lo, s16, v0
	s_cmp_lt_i32 s17, 1
	s_cbranch_scc1 .LBB360_11
; %bb.1:
	s_clause 0x3
	s_load_b32 s12, s[0:1], 0x18
	s_load_b32 s18, s[0:1], 0x30
	s_load_b64 s[20:21], s[0:1], 0x38
	s_load_b128 s[8:11], s[0:1], 0x20
	v_lshlrev_b32_e32 v4, 7, v10
	v_lshlrev_b32_e32 v11, 3, v9
	v_ashrrev_i32_e32 v3, 31, v2
	v_lshlrev_b64 v[5:6], 3, v[0:1]
	v_cmp_gt_i32_e64 s2, s16, v2
	v_add_nc_u32_e32 v12, 0x800, v4
	v_add_nc_u32_e32 v13, v11, v4
	v_lshlrev_b64 v[3:4], 3, v[2:3]
	v_mov_b32_e32 v17, 0
	s_xor_b32 s2, s2, -1
	s_waitcnt lgkmcnt(0)
	v_mad_i64_i32 v[15:16], null, s12, v10, 0
	v_mad_i64_i32 v[7:8], null, s18, v9, 0
	s_mul_i32 s3, s21, s15
	s_mul_hi_u32 s21, s20, s15
	s_mul_i32 s20, s20, s15
	s_add_i32 s21, s21, s3
	s_mul_i32 s9, s9, s15
	s_lshl_b64 s[20:21], s[20:21], 3
	s_delay_alu instid0(VALU_DEP_1)
	v_lshlrev_b64 v[7:8], 3, v[7:8]
	s_mul_hi_u32 s22, s8, s15
	s_mul_i32 s8, s8, s15
	s_add_i32 s9, s22, s9
	s_ashr_i32 s13, s12, 31
	s_lshl_b64 s[8:9], s[8:9], 3
	v_add_co_u32 v7, s3, s20, v7
	s_delay_alu instid0(VALU_DEP_1) | instskip(SKIP_1) | instid1(VALU_DEP_2)
	v_add_co_ci_u32_e64 v8, s3, s21, v8, s3
	s_ashr_i32 s19, s18, 31
	v_add_co_u32 v7, s3, v7, v3
	s_delay_alu instid0(VALU_DEP_1) | instskip(SKIP_1) | instid1(VALU_DEP_3)
	v_add_co_ci_u32_e64 v8, s3, v8, v4, s3
	v_lshlrev_b64 v[3:4], 3, v[15:16]
	v_add_co_u32 v7, s3, v7, s10
	s_delay_alu instid0(VALU_DEP_1) | instskip(NEXT) | instid1(VALU_DEP_3)
	v_add_co_ci_u32_e64 v8, s3, s11, v8, s3
	v_add_co_u32 v15, s3, s8, v3
	s_delay_alu instid0(VALU_DEP_1) | instskip(NEXT) | instid1(VALU_DEP_4)
	v_add_co_ci_u32_e64 v16, s3, s9, v4, s3
	v_add_co_u32 v3, s3, v7, 4
	s_delay_alu instid0(VALU_DEP_1) | instskip(NEXT) | instid1(VALU_DEP_4)
	v_add_co_ci_u32_e64 v4, s3, 0, v8, s3
	v_add_co_u32 v5, s3, v15, v5
	v_mov_b32_e32 v15, 0
	v_add_co_ci_u32_e64 v6, s3, v16, v6, s3
	s_delay_alu instid0(VALU_DEP_3) | instskip(SKIP_1) | instid1(VALU_DEP_3)
	v_add_co_u32 v5, s3, s6, v5
	v_mov_b32_e32 v7, 0
	v_add_co_ci_u32_e64 v6, s3, s7, v6, s3
	v_mov_b32_e32 v16, 0
	v_add_nc_u32_e32 v14, v12, v11
	s_lshl_b64 s[8:9], s[18:19], 7
	s_lshl_b64 s[6:7], s[12:13], 7
	s_xor_b32 s3, vcc_lo, -1
	s_branch .LBB360_3
.LBB360_2:                              ;   in Loop: Header=BB360_3 Depth=1
	s_or_b32 exec_lo, exec_lo, s10
	ds_store_b32 v14, v8 offset:4
	s_waitcnt lgkmcnt(0)
	s_barrier
	buffer_gl0_inv
	ds_load_2addr_b64 v[18:21], v11 offset1:16
	ds_load_b128 v[22:25], v12
	ds_load_b128 v[26:29], v12 offset:16
	ds_load_2addr_b64 v[30:33], v11 offset0:32 offset1:48
	ds_load_2addr_b64 v[34:37], v11 offset0:64 offset1:80
	ds_load_b128 v[38:41], v12 offset:32
	ds_load_b128 v[42:45], v12 offset:48
	ds_load_2addr_b64 v[46:49], v11 offset0:96 offset1:112
	ds_load_2addr_b64 v[50:53], v11 offset0:128 offset1:144
	;; [unrolled: 1-line block ×3, first 2 shown]
	ds_load_b128 v[58:61], v12 offset:64
	ds_load_b128 v[62:65], v12 offset:80
	v_add_co_u32 v3, vcc_lo, v3, s8
	v_add_co_ci_u32_e32 v4, vcc_lo, s9, v4, vcc_lo
	v_add_co_u32 v5, vcc_lo, v5, s6
	v_add_co_ci_u32_e32 v6, vcc_lo, s7, v6, vcc_lo
	s_add_i32 s14, s14, 16
	s_waitcnt lgkmcnt(10)
	v_mul_f32_e32 v8, v23, v19
	v_dual_mul_f32 v19, v22, v19 :: v_dual_mul_f32 v66, v25, v21
	v_mul_f32_e32 v21, v24, v21
	s_waitcnt lgkmcnt(8)
	v_dual_mul_f32 v67, v27, v31 :: v_dual_mul_f32 v68, v29, v33
	v_fma_f32 v8, v22, v18, -v8
	v_mul_f32_e32 v31, v26, v31
	v_fmac_f32_e32 v19, v23, v18
	v_fma_f32 v18, v24, v20, -v66
	s_waitcnt lgkmcnt(6)
	v_dual_mul_f32 v33, v28, v33 :: v_dual_mul_f32 v22, v38, v35
	v_dual_add_f32 v8, v16, v8 :: v_dual_mul_f32 v69, v39, v35
	v_mul_f32_e32 v16, v40, v37
	v_mul_f32_e32 v35, v41, v37
	s_delay_alu instid0(VALU_DEP_4)
	v_dual_add_f32 v17, v17, v19 :: v_dual_fmac_f32 v22, v39, v34
	v_fma_f32 v19, v26, v30, -v67
	v_dual_add_f32 v8, v8, v18 :: v_dual_fmac_f32 v21, v25, v20
	s_waitcnt lgkmcnt(4)
	v_mul_f32_e32 v18, v43, v47
	v_fmac_f32_e32 v31, v27, v30
	v_fma_f32 v20, v28, v32, -v68
	v_add_f32_e32 v8, v8, v19
	v_fma_f32 v23, v40, v36, -v35
	v_add_f32_e32 v17, v17, v21
	v_fma_f32 v21, v38, v34, -v69
	v_fma_f32 v18, v42, v46, -v18
	v_add_f32_e32 v8, v8, v20
	v_fmac_f32_e32 v33, v29, v32
	v_dual_mul_f32 v19, v42, v47 :: v_dual_mul_f32 v20, v45, v49
	v_fmac_f32_e32 v16, v41, v36
	s_delay_alu instid0(VALU_DEP_4)
	v_add_f32_e32 v8, v8, v21
	v_mul_f32_e32 v21, v44, v49
	s_cmp_ge_i32 s14, s17
	s_waitcnt lgkmcnt(1)
	v_dual_mul_f32 v24, v58, v51 :: v_dual_mul_f32 v25, v61, v53
	v_add_f32_e32 v8, v8, v23
	v_add_f32_e32 v17, v17, v31
	s_waitcnt lgkmcnt(0)
	s_delay_alu instid0(VALU_DEP_3) | instskip(SKIP_1) | instid1(VALU_DEP_3)
	v_dual_mul_f32 v35, v65, v57 :: v_dual_fmac_f32 v24, v59, v50
	v_fma_f32 v25, v60, v52, -v25
	v_dual_add_f32 v8, v8, v18 :: v_dual_add_f32 v17, v17, v33
	s_delay_alu instid0(VALU_DEP_1) | instskip(SKIP_2) | instid1(VALU_DEP_3)
	v_add_f32_e32 v17, v17, v22
	v_fmac_f32_e32 v19, v43, v46
	v_mul_f32_e32 v22, v59, v51
	v_add_f32_e32 v16, v17, v16
	v_fmac_f32_e32 v21, v45, v48
	v_fma_f32 v17, v44, v48, -v20
	s_delay_alu instid0(VALU_DEP_4) | instskip(NEXT) | instid1(VALU_DEP_4)
	v_fma_f32 v18, v58, v50, -v22
	v_add_f32_e32 v16, v16, v19
	s_delay_alu instid0(VALU_DEP_1) | instskip(NEXT) | instid1(VALU_DEP_1)
	v_add_f32_e32 v26, v16, v21
	v_dual_mul_f32 v27, v60, v53 :: v_dual_add_f32 v24, v26, v24
	s_delay_alu instid0(VALU_DEP_1) | instskip(NEXT) | instid1(VALU_DEP_1)
	v_dual_add_f32 v8, v8, v17 :: v_dual_fmac_f32 v27, v61, v52
	v_add_f32_e32 v8, v8, v18
	ds_load_2addr_b64 v[16:19], v11 offset0:192 offset1:208
	ds_load_b128 v[20:23], v12 offset:96
	v_mul_f32_e32 v26, v63, v55
	v_add_f32_e32 v8, v8, v25
	s_delay_alu instid0(VALU_DEP_2) | instskip(NEXT) | instid1(VALU_DEP_1)
	v_fma_f32 v34, v62, v54, -v26
	v_add_f32_e32 v8, v8, v34
	s_waitcnt lgkmcnt(0)
	v_mul_f32_e32 v34, v21, v17
	v_mul_f32_e32 v17, v20, v17
	s_delay_alu instid0(VALU_DEP_2) | instskip(NEXT) | instid1(VALU_DEP_2)
	v_fma_f32 v20, v20, v16, -v34
	v_dual_fmac_f32 v17, v21, v16 :: v_dual_mul_f32 v16, v23, v19
	v_mul_f32_e32 v19, v22, v19
	v_mul_f32_e32 v32, v62, v55
	s_delay_alu instid0(VALU_DEP_3) | instskip(NEXT) | instid1(VALU_DEP_3)
	v_fma_f32 v16, v22, v18, -v16
	v_fmac_f32_e32 v19, v23, v18
	s_delay_alu instid0(VALU_DEP_3)
	v_dual_add_f32 v33, v24, v27 :: v_dual_fmac_f32 v32, v63, v54
	ds_load_2addr_b64 v[24:27], v11 offset0:224 offset1:240
	ds_load_b128 v[28:31], v12 offset:112
	v_mul_f32_e32 v36, v64, v57
	s_waitcnt lgkmcnt(0)
	s_barrier
	v_add_f32_e32 v32, v33, v32
	v_fma_f32 v33, v64, v56, -v35
	v_fmac_f32_e32 v36, v65, v56
	buffer_gl0_inv
	v_add_f32_e32 v8, v8, v33
	v_add_f32_e32 v32, v32, v36
	s_delay_alu instid0(VALU_DEP_2) | instskip(NEXT) | instid1(VALU_DEP_2)
	v_add_f32_e32 v8, v8, v20
	v_add_f32_e32 v17, v32, v17
	v_mul_f32_e32 v18, v29, v25
	v_mul_f32_e32 v20, v28, v25
	s_delay_alu instid0(VALU_DEP_4) | instskip(NEXT) | instid1(VALU_DEP_4)
	v_add_f32_e32 v8, v8, v16
	v_add_f32_e32 v16, v17, v19
	v_mul_f32_e32 v19, v30, v27
	v_fma_f32 v17, v28, v24, -v18
	v_fmac_f32_e32 v20, v29, v24
	v_mul_f32_e32 v18, v31, v27
	s_delay_alu instid0(VALU_DEP_3) | instskip(NEXT) | instid1(VALU_DEP_3)
	v_dual_fmac_f32 v19, v31, v26 :: v_dual_add_f32 v8, v8, v17
	v_add_f32_e32 v17, v16, v20
	s_delay_alu instid0(VALU_DEP_3) | instskip(NEXT) | instid1(VALU_DEP_1)
	v_fma_f32 v16, v30, v26, -v18
	v_dual_add_f32 v17, v17, v19 :: v_dual_add_f32 v16, v8, v16
	s_cbranch_scc1 .LBB360_11
.LBB360_3:                              ; =>This Inner Loop Header: Depth=1
	v_add_nc_u32_e32 v8, s14, v10
	s_delay_alu instid0(VALU_DEP_1) | instskip(SKIP_1) | instid1(SALU_CYCLE_1)
	v_cmp_le_i32_e32 vcc_lo, s17, v8
	s_or_b32 s10, s3, vcc_lo
	s_and_saveexec_b32 s11, s10
	s_delay_alu instid0(SALU_CYCLE_1)
	s_xor_b32 s10, exec_lo, s11
	s_cbranch_execz .LBB360_5
; %bb.4:                                ;   in Loop: Header=BB360_3 Depth=1
	v_mov_b32_e32 v8, v7
	ds_store_b64 v13, v[7:8]
.LBB360_5:                              ;   in Loop: Header=BB360_3 Depth=1
	s_and_not1_saveexec_b32 s10, s10
	s_cbranch_execz .LBB360_7
; %bb.6:                                ;   in Loop: Header=BB360_3 Depth=1
	global_load_b64 v[18:19], v[5:6], off
	s_waitcnt vmcnt(0)
	ds_store_b64 v13, v[18:19]
.LBB360_7:                              ;   in Loop: Header=BB360_3 Depth=1
	s_or_b32 exec_lo, exec_lo, s10
	v_add_nc_u32_e32 v8, s14, v9
                                        ; implicit-def: $sgpr11
	s_delay_alu instid0(VALU_DEP_1) | instskip(SKIP_1) | instid1(SALU_CYCLE_1)
	v_cmp_le_i32_e32 vcc_lo, s17, v8
	s_or_b32 s10, s2, vcc_lo
	s_and_saveexec_b32 s12, s10
	s_delay_alu instid0(SALU_CYCLE_1)
	s_xor_b32 s10, exec_lo, s12
	s_cbranch_execz .LBB360_9
; %bb.8:                                ;   in Loop: Header=BB360_3 Depth=1
	s_mov_b32 s11, 0
	ds_store_b32 v14, v15
.LBB360_9:                              ;   in Loop: Header=BB360_3 Depth=1
	s_or_saveexec_b32 s10, s10
	v_mov_b32_e32 v8, s11
	s_xor_b32 exec_lo, exec_lo, s10
	s_cbranch_execz .LBB360_2
; %bb.10:                               ;   in Loop: Header=BB360_3 Depth=1
	global_load_b64 v[18:19], v[3:4], off offset:-4
	s_waitcnt vmcnt(0)
	v_xor_b32_e32 v8, 0x80000000, v19
	ds_store_b32 v14, v18
	s_branch .LBB360_2
.LBB360_11:
	v_cmp_le_i32_e32 vcc_lo, v2, v0
	v_cmp_gt_i32_e64 s2, s16, v0
	s_delay_alu instid0(VALU_DEP_1) | instskip(NEXT) | instid1(SALU_CYCLE_1)
	s_and_b32 s2, vcc_lo, s2
	s_and_saveexec_b32 s3, s2
	s_cbranch_execz .LBB360_14
; %bb.12:
	s_clause 0x2
	s_load_b32 s6, s[0:1], 0x50
	s_load_b64 s[2:3], s[0:1], 0x58
	s_load_b64 s[0:1], s[0:1], 0x48
	v_lshlrev_b64 v[7:8], 3, v[0:1]
	v_mul_f32_e32 v6, s4, v17
	s_delay_alu instid0(VALU_DEP_1) | instskip(NEXT) | instid1(VALU_DEP_1)
	v_dual_mul_f32 v5, s5, v17 :: v_dual_fmac_f32 v6, s5, v16
	v_fma_f32 v5, v16, s4, -v5
	s_waitcnt lgkmcnt(0)
	v_mad_i64_i32 v[3:4], null, s6, v2, 0
	s_mul_i32 s3, s15, s3
	s_mul_hi_u32 s6, s15, s2
	s_mul_i32 s2, s15, s2
	s_add_i32 s3, s6, s3
	s_delay_alu instid0(SALU_CYCLE_1) | instskip(NEXT) | instid1(VALU_DEP_1)
	s_lshl_b64 s[2:3], s[2:3], 3
	v_lshlrev_b64 v[3:4], 3, v[3:4]
	s_add_u32 s0, s0, s2
	s_addc_u32 s1, s1, s3
	s_delay_alu instid0(VALU_DEP_1) | instskip(NEXT) | instid1(VALU_DEP_2)
	v_add_co_u32 v1, vcc_lo, s0, v3
	v_add_co_ci_u32_e32 v4, vcc_lo, s1, v4, vcc_lo
	s_delay_alu instid0(VALU_DEP_2) | instskip(NEXT) | instid1(VALU_DEP_2)
	v_add_co_u32 v3, vcc_lo, v1, v7
	v_add_co_ci_u32_e32 v4, vcc_lo, v4, v8, vcc_lo
	v_cmp_eq_u32_e32 vcc_lo, v0, v2
	global_store_b64 v[3:4], v[5:6], off
	s_and_b32 exec_lo, exec_lo, vcc_lo
	s_cbranch_execz .LBB360_14
; %bb.13:
	v_mov_b32_e32 v0, 0
	global_store_b32 v[3:4], v0, off offset:4
.LBB360_14:
	s_nop 0
	s_sendmsg sendmsg(MSG_DEALLOC_VGPRS)
	s_endpgm
	.section	.rodata,"a",@progbits
	.p2align	6, 0x0
	.amdhsa_kernel _ZL32rocblas_syrkx_herkx_small_kernelIi19rocblas_complex_numIfELi16ELb1ELb1ELc78ELc76EKS1_S1_EviT_T0_PT6_S3_lS6_S3_lS4_PT7_S3_li
		.amdhsa_group_segment_fixed_size 4096
		.amdhsa_private_segment_fixed_size 0
		.amdhsa_kernarg_size 100
		.amdhsa_user_sgpr_count 13
		.amdhsa_user_sgpr_dispatch_ptr 0
		.amdhsa_user_sgpr_queue_ptr 0
		.amdhsa_user_sgpr_kernarg_segment_ptr 1
		.amdhsa_user_sgpr_dispatch_id 0
		.amdhsa_user_sgpr_private_segment_size 0
		.amdhsa_wavefront_size32 1
		.amdhsa_uses_dynamic_stack 0
		.amdhsa_enable_private_segment 0
		.amdhsa_system_sgpr_workgroup_id_x 1
		.amdhsa_system_sgpr_workgroup_id_y 1
		.amdhsa_system_sgpr_workgroup_id_z 1
		.amdhsa_system_sgpr_workgroup_info 0
		.amdhsa_system_vgpr_workitem_id 1
		.amdhsa_next_free_vgpr 70
		.amdhsa_next_free_sgpr 23
		.amdhsa_reserve_vcc 1
		.amdhsa_float_round_mode_32 0
		.amdhsa_float_round_mode_16_64 0
		.amdhsa_float_denorm_mode_32 3
		.amdhsa_float_denorm_mode_16_64 3
		.amdhsa_dx10_clamp 1
		.amdhsa_ieee_mode 1
		.amdhsa_fp16_overflow 0
		.amdhsa_workgroup_processor_mode 1
		.amdhsa_memory_ordered 1
		.amdhsa_forward_progress 0
		.amdhsa_shared_vgpr_count 0
		.amdhsa_exception_fp_ieee_invalid_op 0
		.amdhsa_exception_fp_denorm_src 0
		.amdhsa_exception_fp_ieee_div_zero 0
		.amdhsa_exception_fp_ieee_overflow 0
		.amdhsa_exception_fp_ieee_underflow 0
		.amdhsa_exception_fp_ieee_inexact 0
		.amdhsa_exception_int_div_zero 0
	.end_amdhsa_kernel
	.section	.text._ZL32rocblas_syrkx_herkx_small_kernelIi19rocblas_complex_numIfELi16ELb1ELb1ELc78ELc76EKS1_S1_EviT_T0_PT6_S3_lS6_S3_lS4_PT7_S3_li,"axG",@progbits,_ZL32rocblas_syrkx_herkx_small_kernelIi19rocblas_complex_numIfELi16ELb1ELb1ELc78ELc76EKS1_S1_EviT_T0_PT6_S3_lS6_S3_lS4_PT7_S3_li,comdat
.Lfunc_end360:
	.size	_ZL32rocblas_syrkx_herkx_small_kernelIi19rocblas_complex_numIfELi16ELb1ELb1ELc78ELc76EKS1_S1_EviT_T0_PT6_S3_lS6_S3_lS4_PT7_S3_li, .Lfunc_end360-_ZL32rocblas_syrkx_herkx_small_kernelIi19rocblas_complex_numIfELi16ELb1ELb1ELc78ELc76EKS1_S1_EviT_T0_PT6_S3_lS6_S3_lS4_PT7_S3_li
                                        ; -- End function
	.section	.AMDGPU.csdata,"",@progbits
; Kernel info:
; codeLenInByte = 1568
; NumSgprs: 25
; NumVgprs: 70
; ScratchSize: 0
; MemoryBound: 1
; FloatMode: 240
; IeeeMode: 1
; LDSByteSize: 4096 bytes/workgroup (compile time only)
; SGPRBlocks: 3
; VGPRBlocks: 8
; NumSGPRsForWavesPerEU: 25
; NumVGPRsForWavesPerEU: 70
; Occupancy: 16
; WaveLimiterHint : 0
; COMPUTE_PGM_RSRC2:SCRATCH_EN: 0
; COMPUTE_PGM_RSRC2:USER_SGPR: 13
; COMPUTE_PGM_RSRC2:TRAP_HANDLER: 0
; COMPUTE_PGM_RSRC2:TGID_X_EN: 1
; COMPUTE_PGM_RSRC2:TGID_Y_EN: 1
; COMPUTE_PGM_RSRC2:TGID_Z_EN: 1
; COMPUTE_PGM_RSRC2:TIDIG_COMP_CNT: 1
	.section	.text._ZL32rocblas_syrkx_herkx_small_kernelIi19rocblas_complex_numIfELi16ELb1ELb1ELc84ELc85EKS1_S1_EviT_T0_PT6_S3_lS6_S3_lS4_PT7_S3_li,"axG",@progbits,_ZL32rocblas_syrkx_herkx_small_kernelIi19rocblas_complex_numIfELi16ELb1ELb1ELc84ELc85EKS1_S1_EviT_T0_PT6_S3_lS6_S3_lS4_PT7_S3_li,comdat
	.globl	_ZL32rocblas_syrkx_herkx_small_kernelIi19rocblas_complex_numIfELi16ELb1ELb1ELc84ELc85EKS1_S1_EviT_T0_PT6_S3_lS6_S3_lS4_PT7_S3_li ; -- Begin function _ZL32rocblas_syrkx_herkx_small_kernelIi19rocblas_complex_numIfELi16ELb1ELb1ELc84ELc85EKS1_S1_EviT_T0_PT6_S3_lS6_S3_lS4_PT7_S3_li
	.p2align	8
	.type	_ZL32rocblas_syrkx_herkx_small_kernelIi19rocblas_complex_numIfELi16ELb1ELb1ELc84ELc85EKS1_S1_EviT_T0_PT6_S3_lS6_S3_lS4_PT7_S3_li,@function
_ZL32rocblas_syrkx_herkx_small_kernelIi19rocblas_complex_numIfELi16ELb1ELb1ELc84ELc85EKS1_S1_EviT_T0_PT6_S3_lS6_S3_lS4_PT7_S3_li: ; @_ZL32rocblas_syrkx_herkx_small_kernelIi19rocblas_complex_numIfELi16ELb1ELb1ELc84ELc85EKS1_S1_EviT_T0_PT6_S3_lS6_S3_lS4_PT7_S3_li
; %bb.0:
	s_clause 0x1
	s_load_b64 s[16:17], s[0:1], 0x0
	s_load_b128 s[4:7], s[0:1], 0x8
	v_bfe_u32 v8, v0, 10, 10
	v_dual_mov_b32 v14, 0 :: v_dual_and_b32 v9, 0x3ff, v0
	v_mov_b32_e32 v15, 0
	s_mov_b32 s12, 0
	s_delay_alu instid0(VALU_DEP_3) | instskip(NEXT) | instid1(VALU_DEP_3)
	v_lshl_add_u32 v7, s14, 4, v8
	v_lshl_add_u32 v0, s13, 4, v9
	s_waitcnt lgkmcnt(0)
	s_delay_alu instid0(VALU_DEP_2)
	v_cmp_gt_i32_e32 vcc_lo, s16, v7
	s_cmp_lt_i32 s17, 1
	s_cbranch_scc1 .LBB361_11
; %bb.1:
	s_clause 0x3
	s_load_b32 s3, s[0:1], 0x30
	s_load_b64 s[18:19], s[0:1], 0x38
	s_load_b32 s13, s[0:1], 0x18
	s_load_b128 s[8:11], s[0:1], 0x20
	v_dual_mov_b32 v14, 0 :: v_dual_lshlrev_b32 v1, 7, v8
	v_lshlrev_b32_e32 v10, 3, v9
	v_lshlrev_b32_e32 v5, 3, v8
	v_cmp_gt_i32_e64 s2, s16, v0
	s_delay_alu instid0(VALU_DEP_4) | instskip(NEXT) | instid1(VALU_DEP_4)
	v_add_nc_u32_e32 v11, 0x800, v1
	v_dual_mov_b32 v15, 0 :: v_dual_add_nc_u32 v12, v10, v1
	s_delay_alu instid0(VALU_DEP_3)
	s_xor_b32 s2, s2, -1
	s_waitcnt lgkmcnt(0)
	v_mad_i64_i32 v[1:2], null, s3, v7, 0
	v_mad_i64_i32 v[3:4], null, s13, v0, 0
	s_mul_i32 s3, s19, s15
	s_mul_hi_u32 s14, s18, s15
	s_mul_i32 s18, s18, s15
	s_add_i32 s19, s14, s3
	s_delay_alu instid0(VALU_DEP_2)
	v_lshlrev_b64 v[1:2], 3, v[1:2]
	s_mul_i32 s9, s9, s15
	s_mul_hi_u32 s13, s8, s15
	v_lshlrev_b64 v[3:4], 3, v[3:4]
	s_lshl_b64 s[18:19], s[18:19], 3
	s_mul_i32 s8, s8, s15
	s_add_i32 s9, s13, s9
	v_add_co_u32 v1, s3, v1, s18
	s_lshl_b64 s[8:9], s[8:9], 3
	v_add_co_ci_u32_e64 v2, s3, s19, v2, s3
	v_add_co_u32 v3, s3, v3, s8
	s_delay_alu instid0(VALU_DEP_1) | instskip(SKIP_1) | instid1(VALU_DEP_1)
	v_add_co_ci_u32_e64 v4, s3, s9, v4, s3
	v_add_co_u32 v1, s3, v1, v10
	v_add_co_ci_u32_e64 v2, s3, 0, v2, s3
	s_delay_alu instid0(VALU_DEP_4) | instskip(NEXT) | instid1(VALU_DEP_1)
	v_add_co_u32 v3, s3, v3, v5
	v_add_co_ci_u32_e64 v4, s3, 0, v4, s3
	s_delay_alu instid0(VALU_DEP_4) | instskip(NEXT) | instid1(VALU_DEP_1)
	v_add_co_u32 v1, s3, s10, v1
	v_add_co_ci_u32_e64 v2, s3, s11, v2, s3
	s_delay_alu instid0(VALU_DEP_4) | instskip(NEXT) | instid1(VALU_DEP_1)
	v_add_co_u32 v3, s3, s6, v3
	v_add_co_ci_u32_e64 v4, s3, s7, v4, s3
	v_mov_b32_e32 v5, 0
	v_add_nc_u32_e32 v13, v11, v10
	s_xor_b32 s3, vcc_lo, -1
	s_branch .LBB361_3
.LBB361_2:                              ;   in Loop: Header=BB361_3 Depth=1
	s_or_b32 exec_lo, exec_lo, s6
	s_waitcnt lgkmcnt(0)
	s_barrier
	buffer_gl0_inv
	ds_load_2addr_b64 v[16:19], v10 offset1:16
	ds_load_b128 v[20:23], v11
	ds_load_b128 v[24:27], v11 offset:16
	ds_load_2addr_b64 v[28:31], v10 offset0:32 offset1:48
	ds_load_2addr_b64 v[32:35], v10 offset0:64 offset1:80
	ds_load_b128 v[36:39], v11 offset:32
	ds_load_b128 v[40:43], v11 offset:48
	ds_load_2addr_b64 v[44:47], v10 offset0:96 offset1:112
	ds_load_2addr_b64 v[48:51], v10 offset0:128 offset1:144
	;; [unrolled: 1-line block ×3, first 2 shown]
	ds_load_b128 v[56:59], v11 offset:64
	ds_load_b128 v[60:63], v11 offset:80
	v_add_co_u32 v1, vcc_lo, 0x80, v1
	v_add_co_ci_u32_e32 v2, vcc_lo, 0, v2, vcc_lo
	v_add_co_u32 v3, vcc_lo, 0x80, v3
	v_add_co_ci_u32_e32 v4, vcc_lo, 0, v4, vcc_lo
	s_add_i32 s12, s12, 16
	s_waitcnt lgkmcnt(10)
	v_mul_f32_e32 v6, v21, v17
	v_dual_mul_f32 v17, v20, v17 :: v_dual_mul_f32 v64, v23, v19
	v_mul_f32_e32 v19, v22, v19
	s_waitcnt lgkmcnt(8)
	v_dual_mul_f32 v65, v25, v29 :: v_dual_mul_f32 v66, v27, v31
	v_fma_f32 v6, v20, v16, -v6
	s_waitcnt lgkmcnt(6)
	v_mul_f32_e32 v67, v37, v33
	v_mul_f32_e32 v33, v36, v33
	v_dual_mul_f32 v29, v24, v29 :: v_dual_mul_f32 v20, v39, v35
	v_dual_add_f32 v6, v14, v6 :: v_dual_fmac_f32 v17, v21, v16
	v_fma_f32 v21, v22, v18, -v64
	s_waitcnt lgkmcnt(4)
	v_dual_fmac_f32 v19, v23, v18 :: v_dual_mul_f32 v18, v40, v45
	v_mul_f32_e32 v16, v38, v35
	v_fma_f32 v20, v38, v34, -v20
	v_add_f32_e32 v6, v6, v21
	v_dual_mul_f32 v31, v26, v31 :: v_dual_add_f32 v14, v15, v17
	v_fma_f32 v17, v24, v28, -v65
	v_mul_f32_e32 v15, v41, v45
	v_fmac_f32_e32 v29, v25, v28
	v_fma_f32 v21, v36, v32, -v67
	v_add_f32_e32 v14, v14, v19
	v_add_f32_e32 v6, v6, v17
	v_fma_f32 v19, v26, v30, -v66
	v_fmac_f32_e32 v31, v27, v30
	s_delay_alu instid0(VALU_DEP_4) | instskip(SKIP_1) | instid1(VALU_DEP_4)
	v_dual_fmac_f32 v33, v37, v32 :: v_dual_add_f32 v14, v14, v29
	v_fmac_f32_e32 v16, v39, v34
	v_add_f32_e32 v6, v6, v19
	v_mul_f32_e32 v17, v43, v47
	v_mul_f32_e32 v19, v42, v47
	v_add_f32_e32 v14, v14, v31
	v_fma_f32 v15, v40, v44, -v15
	v_add_f32_e32 v6, v6, v21
	s_waitcnt lgkmcnt(1)
	v_mul_f32_e32 v21, v57, v49
	v_dual_fmac_f32 v18, v41, v44 :: v_dual_mul_f32 v25, v58, v51
	v_dual_add_f32 v14, v14, v33 :: v_dual_fmac_f32 v19, v43, v46
	v_add_f32_e32 v6, v6, v20
	v_fma_f32 v20, v42, v46, -v17
	s_delay_alu instid0(VALU_DEP_3)
	v_dual_fmac_f32 v25, v59, v50 :: v_dual_add_f32 v14, v14, v16
	s_waitcnt lgkmcnt(0)
	v_mul_f32_e32 v33, v63, v55
	v_add_f32_e32 v6, v6, v15
	v_fma_f32 v21, v56, v48, -v21
	v_mul_f32_e32 v34, v62, v55
	v_add_f32_e32 v18, v14, v18
	v_mul_f32_e32 v22, v56, v49
	v_add_f32_e32 v6, v6, v20
	ds_load_2addr_b64 v[14:17], v10 offset0:192 offset1:208
	v_dual_fmac_f32 v34, v63, v54 :: v_dual_add_f32 v23, v18, v19
	s_cmp_ge_i32 s12, s17
	v_add_f32_e32 v6, v6, v21
	ds_load_b128 v[18:21], v11 offset:96
	v_fmac_f32_e32 v22, v57, v48
	s_delay_alu instid0(VALU_DEP_1) | instskip(NEXT) | instid1(VALU_DEP_1)
	v_add_f32_e32 v22, v23, v22
	v_dual_mul_f32 v24, v59, v51 :: v_dual_add_f32 v31, v22, v25
	s_delay_alu instid0(VALU_DEP_1) | instskip(SKIP_1) | instid1(VALU_DEP_2)
	v_fma_f32 v23, v58, v50, -v24
	v_mul_f32_e32 v24, v61, v53
	v_add_f32_e32 v6, v6, v23
	s_delay_alu instid0(VALU_DEP_2)
	v_fma_f32 v32, v60, v52, -v24
	ds_load_2addr_b64 v[22:25], v10 offset0:224 offset1:240
	ds_load_b128 v[26:29], v11 offset:112
	v_mul_f32_e32 v30, v60, v53
	s_waitcnt lgkmcnt(0)
	s_barrier
	v_add_f32_e32 v6, v6, v32
	v_mul_f32_e32 v32, v19, v15
	v_dual_fmac_f32 v30, v61, v52 :: v_dual_mul_f32 v15, v18, v15
	buffer_gl0_inv
	v_fma_f32 v18, v18, v14, -v32
	v_add_f32_e32 v30, v31, v30
	v_fma_f32 v31, v62, v54, -v33
	v_dual_fmac_f32 v15, v19, v14 :: v_dual_mul_f32 v14, v21, v17
	s_delay_alu instid0(VALU_DEP_3) | instskip(NEXT) | instid1(VALU_DEP_3)
	v_dual_mul_f32 v17, v20, v17 :: v_dual_add_f32 v30, v30, v34
	v_add_f32_e32 v6, v6, v31
	s_delay_alu instid0(VALU_DEP_3) | instskip(NEXT) | instid1(VALU_DEP_3)
	v_fma_f32 v14, v20, v16, -v14
	v_fmac_f32_e32 v17, v21, v16
	s_delay_alu instid0(VALU_DEP_4) | instskip(NEXT) | instid1(VALU_DEP_4)
	v_add_f32_e32 v15, v30, v15
	v_add_f32_e32 v6, v6, v18
	v_mul_f32_e32 v16, v27, v23
	v_mul_f32_e32 v18, v26, v23
	s_delay_alu instid0(VALU_DEP_3) | instskip(SKIP_1) | instid1(VALU_DEP_4)
	v_add_f32_e32 v6, v6, v14
	v_add_f32_e32 v14, v15, v17
	v_fma_f32 v15, v26, v22, -v16
	s_delay_alu instid0(VALU_DEP_4) | instskip(SKIP_1) | instid1(VALU_DEP_3)
	v_fmac_f32_e32 v18, v27, v22
	v_mul_f32_e32 v16, v29, v25
	v_dual_mul_f32 v17, v28, v25 :: v_dual_add_f32 v6, v6, v15
	s_delay_alu instid0(VALU_DEP_3) | instskip(NEXT) | instid1(VALU_DEP_3)
	v_add_f32_e32 v15, v14, v18
	v_fma_f32 v14, v28, v24, -v16
	s_delay_alu instid0(VALU_DEP_1) | instskip(NEXT) | instid1(VALU_DEP_1)
	v_dual_fmac_f32 v17, v29, v24 :: v_dual_add_f32 v14, v6, v14
	v_add_f32_e32 v15, v15, v17
	s_cbranch_scc1 .LBB361_11
.LBB361_3:                              ; =>This Inner Loop Header: Depth=1
	v_add_nc_u32_e32 v6, s12, v8
	s_delay_alu instid0(VALU_DEP_1) | instskip(SKIP_1) | instid1(SALU_CYCLE_1)
	v_cmp_le_i32_e32 vcc_lo, s17, v6
	s_or_b32 s6, s2, vcc_lo
	s_and_saveexec_b32 s7, s6
	s_delay_alu instid0(SALU_CYCLE_1)
	s_xor_b32 s6, exec_lo, s7
	s_cbranch_execz .LBB361_5
; %bb.4:                                ;   in Loop: Header=BB361_3 Depth=1
	v_mov_b32_e32 v6, v5
	ds_store_b64 v12, v[5:6]
.LBB361_5:                              ;   in Loop: Header=BB361_3 Depth=1
	s_and_not1_saveexec_b32 s6, s6
	s_cbranch_execz .LBB361_7
; %bb.6:                                ;   in Loop: Header=BB361_3 Depth=1
	global_load_b64 v[16:17], v[3:4], off
	s_waitcnt vmcnt(0)
	ds_store_b64 v12, v[16:17]
.LBB361_7:                              ;   in Loop: Header=BB361_3 Depth=1
	s_or_b32 exec_lo, exec_lo, s6
	v_add_nc_u32_e32 v6, s12, v9
	s_delay_alu instid0(VALU_DEP_1) | instskip(SKIP_1) | instid1(SALU_CYCLE_1)
	v_cmp_le_i32_e32 vcc_lo, s17, v6
	s_or_b32 s6, s3, vcc_lo
	s_and_saveexec_b32 s7, s6
	s_delay_alu instid0(SALU_CYCLE_1)
	s_xor_b32 s6, exec_lo, s7
	s_cbranch_execz .LBB361_9
; %bb.8:                                ;   in Loop: Header=BB361_3 Depth=1
	v_mov_b32_e32 v6, v5
	ds_store_b64 v13, v[5:6]
.LBB361_9:                              ;   in Loop: Header=BB361_3 Depth=1
	s_and_not1_saveexec_b32 s6, s6
	s_cbranch_execz .LBB361_2
; %bb.10:                               ;   in Loop: Header=BB361_3 Depth=1
	global_load_b64 v[16:17], v[1:2], off
	s_waitcnt vmcnt(0)
	ds_store_b64 v13, v[16:17]
	s_branch .LBB361_2
.LBB361_11:
	v_cmp_le_i32_e32 vcc_lo, v0, v7
	v_cmp_gt_i32_e64 s2, s16, v7
	s_delay_alu instid0(VALU_DEP_1) | instskip(NEXT) | instid1(SALU_CYCLE_1)
	s_and_b32 s2, vcc_lo, s2
	s_and_saveexec_b32 s3, s2
	s_cbranch_execz .LBB361_14
; %bb.12:
	s_clause 0x2
	s_load_b32 s6, s[0:1], 0x50
	s_load_b64 s[2:3], s[0:1], 0x58
	s_load_b64 s[0:1], s[0:1], 0x48
	v_mul_f32_e32 v5, s4, v15
	v_mul_f32_e32 v4, s5, v15
	v_ashrrev_i32_e32 v1, 31, v0
	s_delay_alu instid0(VALU_DEP_3) | instskip(NEXT) | instid1(VALU_DEP_3)
	v_fmac_f32_e32 v5, s5, v14
	v_fma_f32 v4, v14, s4, -v4
	s_delay_alu instid0(VALU_DEP_3)
	v_lshlrev_b64 v[8:9], 3, v[0:1]
	s_waitcnt lgkmcnt(0)
	v_mad_i64_i32 v[2:3], null, s6, v7, 0
	s_mul_i32 s3, s15, s3
	s_mul_hi_u32 s4, s15, s2
	s_mul_i32 s2, s15, s2
	s_add_i32 s3, s4, s3
	s_delay_alu instid0(SALU_CYCLE_1) | instskip(NEXT) | instid1(VALU_DEP_1)
	s_lshl_b64 s[2:3], s[2:3], 3
	v_lshlrev_b64 v[2:3], 3, v[2:3]
	s_add_u32 s0, s0, s2
	s_addc_u32 s1, s1, s3
	s_delay_alu instid0(VALU_DEP_1) | instskip(NEXT) | instid1(VALU_DEP_2)
	v_add_co_u32 v1, vcc_lo, s0, v2
	v_add_co_ci_u32_e32 v2, vcc_lo, s1, v3, vcc_lo
	s_delay_alu instid0(VALU_DEP_2) | instskip(NEXT) | instid1(VALU_DEP_2)
	v_add_co_u32 v1, vcc_lo, v1, v8
	v_add_co_ci_u32_e32 v2, vcc_lo, v2, v9, vcc_lo
	v_cmp_eq_u32_e32 vcc_lo, v0, v7
	global_store_b64 v[1:2], v[4:5], off
	s_and_b32 exec_lo, exec_lo, vcc_lo
	s_cbranch_execz .LBB361_14
; %bb.13:
	v_mov_b32_e32 v0, 0
	global_store_b32 v[1:2], v0, off offset:4
.LBB361_14:
	s_nop 0
	s_sendmsg sendmsg(MSG_DEALLOC_VGPRS)
	s_endpgm
	.section	.rodata,"a",@progbits
	.p2align	6, 0x0
	.amdhsa_kernel _ZL32rocblas_syrkx_herkx_small_kernelIi19rocblas_complex_numIfELi16ELb1ELb1ELc84ELc85EKS1_S1_EviT_T0_PT6_S3_lS6_S3_lS4_PT7_S3_li
		.amdhsa_group_segment_fixed_size 4096
		.amdhsa_private_segment_fixed_size 0
		.amdhsa_kernarg_size 100
		.amdhsa_user_sgpr_count 13
		.amdhsa_user_sgpr_dispatch_ptr 0
		.amdhsa_user_sgpr_queue_ptr 0
		.amdhsa_user_sgpr_kernarg_segment_ptr 1
		.amdhsa_user_sgpr_dispatch_id 0
		.amdhsa_user_sgpr_private_segment_size 0
		.amdhsa_wavefront_size32 1
		.amdhsa_uses_dynamic_stack 0
		.amdhsa_enable_private_segment 0
		.amdhsa_system_sgpr_workgroup_id_x 1
		.amdhsa_system_sgpr_workgroup_id_y 1
		.amdhsa_system_sgpr_workgroup_id_z 1
		.amdhsa_system_sgpr_workgroup_info 0
		.amdhsa_system_vgpr_workitem_id 1
		.amdhsa_next_free_vgpr 68
		.amdhsa_next_free_sgpr 20
		.amdhsa_reserve_vcc 1
		.amdhsa_float_round_mode_32 0
		.amdhsa_float_round_mode_16_64 0
		.amdhsa_float_denorm_mode_32 3
		.amdhsa_float_denorm_mode_16_64 3
		.amdhsa_dx10_clamp 1
		.amdhsa_ieee_mode 1
		.amdhsa_fp16_overflow 0
		.amdhsa_workgroup_processor_mode 1
		.amdhsa_memory_ordered 1
		.amdhsa_forward_progress 0
		.amdhsa_shared_vgpr_count 0
		.amdhsa_exception_fp_ieee_invalid_op 0
		.amdhsa_exception_fp_denorm_src 0
		.amdhsa_exception_fp_ieee_div_zero 0
		.amdhsa_exception_fp_ieee_overflow 0
		.amdhsa_exception_fp_ieee_underflow 0
		.amdhsa_exception_fp_ieee_inexact 0
		.amdhsa_exception_int_div_zero 0
	.end_amdhsa_kernel
	.section	.text._ZL32rocblas_syrkx_herkx_small_kernelIi19rocblas_complex_numIfELi16ELb1ELb1ELc84ELc85EKS1_S1_EviT_T0_PT6_S3_lS6_S3_lS4_PT7_S3_li,"axG",@progbits,_ZL32rocblas_syrkx_herkx_small_kernelIi19rocblas_complex_numIfELi16ELb1ELb1ELc84ELc85EKS1_S1_EviT_T0_PT6_S3_lS6_S3_lS4_PT7_S3_li,comdat
.Lfunc_end361:
	.size	_ZL32rocblas_syrkx_herkx_small_kernelIi19rocblas_complex_numIfELi16ELb1ELb1ELc84ELc85EKS1_S1_EviT_T0_PT6_S3_lS6_S3_lS4_PT7_S3_li, .Lfunc_end361-_ZL32rocblas_syrkx_herkx_small_kernelIi19rocblas_complex_numIfELi16ELb1ELb1ELc84ELc85EKS1_S1_EviT_T0_PT6_S3_lS6_S3_lS4_PT7_S3_li
                                        ; -- End function
	.section	.AMDGPU.csdata,"",@progbits
; Kernel info:
; codeLenInByte = 1488
; NumSgprs: 22
; NumVgprs: 68
; ScratchSize: 0
; MemoryBound: 1
; FloatMode: 240
; IeeeMode: 1
; LDSByteSize: 4096 bytes/workgroup (compile time only)
; SGPRBlocks: 2
; VGPRBlocks: 8
; NumSGPRsForWavesPerEU: 22
; NumVGPRsForWavesPerEU: 68
; Occupancy: 16
; WaveLimiterHint : 0
; COMPUTE_PGM_RSRC2:SCRATCH_EN: 0
; COMPUTE_PGM_RSRC2:USER_SGPR: 13
; COMPUTE_PGM_RSRC2:TRAP_HANDLER: 0
; COMPUTE_PGM_RSRC2:TGID_X_EN: 1
; COMPUTE_PGM_RSRC2:TGID_Y_EN: 1
; COMPUTE_PGM_RSRC2:TGID_Z_EN: 1
; COMPUTE_PGM_RSRC2:TIDIG_COMP_CNT: 1
	.section	.text._ZL32rocblas_syrkx_herkx_small_kernelIi19rocblas_complex_numIfELi16ELb1ELb1ELc67ELc85EKS1_S1_EviT_T0_PT6_S3_lS6_S3_lS4_PT7_S3_li,"axG",@progbits,_ZL32rocblas_syrkx_herkx_small_kernelIi19rocblas_complex_numIfELi16ELb1ELb1ELc67ELc85EKS1_S1_EviT_T0_PT6_S3_lS6_S3_lS4_PT7_S3_li,comdat
	.globl	_ZL32rocblas_syrkx_herkx_small_kernelIi19rocblas_complex_numIfELi16ELb1ELb1ELc67ELc85EKS1_S1_EviT_T0_PT6_S3_lS6_S3_lS4_PT7_S3_li ; -- Begin function _ZL32rocblas_syrkx_herkx_small_kernelIi19rocblas_complex_numIfELi16ELb1ELb1ELc67ELc85EKS1_S1_EviT_T0_PT6_S3_lS6_S3_lS4_PT7_S3_li
	.p2align	8
	.type	_ZL32rocblas_syrkx_herkx_small_kernelIi19rocblas_complex_numIfELi16ELb1ELb1ELc67ELc85EKS1_S1_EviT_T0_PT6_S3_lS6_S3_lS4_PT7_S3_li,@function
_ZL32rocblas_syrkx_herkx_small_kernelIi19rocblas_complex_numIfELi16ELb1ELb1ELc67ELc85EKS1_S1_EviT_T0_PT6_S3_lS6_S3_lS4_PT7_S3_li: ; @_ZL32rocblas_syrkx_herkx_small_kernelIi19rocblas_complex_numIfELi16ELb1ELb1ELc67ELc85EKS1_S1_EviT_T0_PT6_S3_lS6_S3_lS4_PT7_S3_li
; %bb.0:
	s_clause 0x1
	s_load_b64 s[16:17], s[0:1], 0x0
	s_load_b128 s[4:7], s[0:1], 0x8
	v_bfe_u32 v8, v0, 10, 10
	v_dual_mov_b32 v16, 0 :: v_dual_and_b32 v9, 0x3ff, v0
	v_mov_b32_e32 v15, 0
	s_mov_b32 s12, 0
	s_delay_alu instid0(VALU_DEP_3) | instskip(NEXT) | instid1(VALU_DEP_3)
	v_lshl_add_u32 v7, s14, 4, v8
	v_lshl_add_u32 v0, s13, 4, v9
	s_waitcnt lgkmcnt(0)
	s_delay_alu instid0(VALU_DEP_2)
	v_cmp_gt_i32_e32 vcc_lo, s16, v7
	s_cmp_lt_i32 s17, 1
	s_cbranch_scc1 .LBB362_11
; %bb.1:
	s_clause 0x3
	s_load_b32 s3, s[0:1], 0x30
	s_load_b32 s13, s[0:1], 0x18
	s_load_b64 s[18:19], s[0:1], 0x38
	s_load_b128 s[8:11], s[0:1], 0x20
	v_dual_mov_b32 v14, 0 :: v_dual_lshlrev_b32 v1, 7, v8
	v_lshlrev_b32_e32 v10, 3, v9
	v_lshlrev_b32_e32 v5, 3, v8
	v_cmp_gt_i32_e64 s2, s16, v0
	s_delay_alu instid0(VALU_DEP_4) | instskip(NEXT) | instid1(VALU_DEP_4)
	v_dual_mov_b32 v16, 0 :: v_dual_add_nc_u32 v11, 0x800, v1
	v_dual_mov_b32 v15, 0 :: v_dual_add_nc_u32 v12, v10, v1
	s_delay_alu instid0(VALU_DEP_3)
	s_xor_b32 s2, s2, -1
	s_waitcnt lgkmcnt(0)
	v_mad_i64_i32 v[1:2], null, s3, v7, 0
	v_mad_i64_i32 v[3:4], null, s13, v0, 0
	s_mul_i32 s9, s9, s15
	s_mul_hi_u32 s14, s8, s15
	s_mul_i32 s8, s8, s15
	s_add_i32 s9, s14, s9
	s_mul_i32 s3, s19, s15
	s_mul_hi_u32 s13, s18, s15
	s_delay_alu instid0(VALU_DEP_1) | instskip(SKIP_4) | instid1(VALU_DEP_2)
	v_lshlrev_b64 v[3:4], 3, v[3:4]
	v_lshlrev_b64 v[1:2], 3, v[1:2]
	s_lshl_b64 s[8:9], s[8:9], 3
	s_mul_i32 s18, s18, s15
	s_add_i32 s19, s13, s3
	v_add_co_u32 v3, s3, v3, s8
	s_lshl_b64 s[18:19], s[18:19], 3
	v_add_co_ci_u32_e64 v4, s3, s9, v4, s3
	v_add_co_u32 v1, s3, v1, s18
	s_delay_alu instid0(VALU_DEP_1) | instskip(SKIP_1) | instid1(VALU_DEP_1)
	v_add_co_ci_u32_e64 v2, s3, s19, v2, s3
	v_add_co_u32 v3, s3, v3, v5
	v_add_co_ci_u32_e64 v4, s3, 0, v4, s3
	v_mov_b32_e32 v5, 0
	v_add_co_u32 v1, s3, v1, v10
	s_delay_alu instid0(VALU_DEP_1) | instskip(SKIP_1) | instid1(VALU_DEP_1)
	v_add_co_ci_u32_e64 v2, s3, 0, v2, s3
	v_add_co_u32 v3, s3, v3, s6
	v_add_co_ci_u32_e64 v4, s3, s7, v4, s3
	s_delay_alu instid0(VALU_DEP_4) | instskip(NEXT) | instid1(VALU_DEP_1)
	v_add_co_u32 v1, s3, s10, v1
	v_add_co_ci_u32_e64 v2, s3, s11, v2, s3
	s_delay_alu instid0(VALU_DEP_4)
	v_add_co_u32 v3, s3, v3, 4
	v_add_nc_u32_e32 v13, v11, v10
	v_add_co_ci_u32_e64 v4, s3, 0, v4, s3
	s_xor_b32 s3, vcc_lo, -1
	s_branch .LBB362_3
.LBB362_2:                              ;   in Loop: Header=BB362_3 Depth=1
	s_or_b32 exec_lo, exec_lo, s6
	s_waitcnt lgkmcnt(0)
	s_barrier
	buffer_gl0_inv
	ds_load_2addr_b64 v[17:20], v10 offset1:16
	ds_load_b128 v[21:24], v11
	ds_load_b128 v[25:28], v11 offset:16
	ds_load_2addr_b64 v[29:32], v10 offset0:32 offset1:48
	ds_load_2addr_b64 v[33:36], v10 offset0:64 offset1:80
	ds_load_b128 v[37:40], v11 offset:32
	ds_load_b128 v[41:44], v11 offset:48
	ds_load_2addr_b64 v[45:48], v10 offset0:96 offset1:112
	ds_load_2addr_b64 v[49:52], v10 offset0:128 offset1:144
	;; [unrolled: 1-line block ×3, first 2 shown]
	ds_load_b128 v[57:60], v11 offset:64
	ds_load_b128 v[61:64], v11 offset:80
	v_add_co_u32 v1, vcc_lo, 0x80, v1
	v_add_co_ci_u32_e32 v2, vcc_lo, 0, v2, vcc_lo
	v_add_co_u32 v3, vcc_lo, 0x80, v3
	v_add_co_ci_u32_e32 v4, vcc_lo, 0, v4, vcc_lo
	s_add_i32 s12, s12, 16
	s_waitcnt lgkmcnt(10)
	v_dual_mul_f32 v6, v22, v18 :: v_dual_mul_f32 v65, v24, v20
	s_waitcnt lgkmcnt(8)
	v_dual_mul_f32 v18, v21, v18 :: v_dual_mul_f32 v67, v28, v32
	v_mul_f32_e32 v66, v26, v30
	s_delay_alu instid0(VALU_DEP_3) | instskip(SKIP_1) | instid1(VALU_DEP_3)
	v_fma_f32 v6, v21, v17, -v6
	s_waitcnt lgkmcnt(6)
	v_dual_mul_f32 v21, v40, v36 :: v_dual_fmac_f32 v18, v22, v17
	v_mul_f32_e32 v20, v23, v20
	v_dual_mul_f32 v30, v25, v30 :: v_dual_mul_f32 v17, v39, v36
	v_add_f32_e32 v6, v15, v6
	s_delay_alu instid0(VALU_DEP_4) | instskip(NEXT) | instid1(VALU_DEP_4)
	v_add_f32_e32 v15, v16, v18
	v_fmac_f32_e32 v20, v24, v19
	v_mul_f32_e32 v32, v27, v32
	v_mul_f32_e32 v68, v38, v34
	v_fma_f32 v22, v23, v19, -v65
	s_waitcnt lgkmcnt(1)
	v_dual_fmac_f32 v30, v26, v29 :: v_dual_mul_f32 v23, v57, v50
	v_add_f32_e32 v15, v15, v20
	v_dual_mul_f32 v19, v41, v46 :: v_dual_fmac_f32 v32, v28, v31
	v_fma_f32 v20, v27, v31, -v67
	v_fmac_f32_e32 v17, v40, v35
	s_delay_alu instid0(VALU_DEP_4) | instskip(NEXT) | instid1(VALU_DEP_4)
	v_add_f32_e32 v15, v15, v30
	v_dual_fmac_f32 v19, v42, v45 :: v_dual_mul_f32 v34, v37, v34
	s_waitcnt lgkmcnt(0)
	v_mul_f32_e32 v31, v61, v54
	v_fma_f32 v18, v25, v29, -v66
	v_add_f32_e32 v15, v15, v32
	v_mul_f32_e32 v26, v59, v52
	v_fmac_f32_e32 v34, v38, v33
	v_fma_f32 v21, v39, v35, -v21
	s_cmp_ge_i32 s12, s17
	v_fmac_f32_e32 v23, v58, v49
	v_mul_f32_e32 v25, v60, v52
	v_add_f32_e32 v15, v15, v34
	v_mul_f32_e32 v16, v42, v46
	v_dual_fmac_f32 v26, v60, v51 :: v_dual_fmac_f32 v31, v62, v53
	v_mul_f32_e32 v35, v63, v56
	s_delay_alu instid0(VALU_DEP_4) | instskip(SKIP_2) | instid1(VALU_DEP_4)
	v_dual_add_f32 v15, v15, v17 :: v_dual_add_f32 v6, v6, v22
	v_fma_f32 v22, v37, v33, -v68
	v_fma_f32 v16, v41, v45, -v16
	v_fmac_f32_e32 v35, v64, v55
	s_delay_alu instid0(VALU_DEP_4) | instskip(SKIP_1) | instid1(VALU_DEP_2)
	v_dual_add_f32 v19, v15, v19 :: v_dual_add_f32 v6, v6, v18
	v_mul_f32_e32 v18, v44, v48
	v_add_f32_e32 v6, v6, v20
	v_mul_f32_e32 v20, v43, v48
	s_delay_alu instid0(VALU_DEP_1) | instskip(NEXT) | instid1(VALU_DEP_1)
	v_fmac_f32_e32 v20, v44, v47
	v_add_f32_e32 v24, v19, v20
	s_delay_alu instid0(VALU_DEP_1) | instskip(SKIP_2) | instid1(VALU_DEP_3)
	v_dual_add_f32 v23, v24, v23 :: v_dual_add_f32 v6, v6, v22
	v_fma_f32 v24, v59, v51, -v25
	v_mul_f32_e32 v25, v62, v54
	v_add_f32_e32 v32, v23, v26
	s_delay_alu instid0(VALU_DEP_4) | instskip(SKIP_3) | instid1(VALU_DEP_4)
	v_add_f32_e32 v6, v6, v21
	v_mul_f32_e32 v22, v58, v50
	v_fma_f32 v21, v43, v47, -v18
	v_fma_f32 v33, v61, v53, -v25
	v_dual_add_f32 v31, v32, v31 :: v_dual_add_f32 v6, v6, v16
	ds_load_2addr_b64 v[15:18], v10 offset0:192 offset1:208
	v_fma_f32 v22, v57, v49, -v22
	v_dual_add_f32 v31, v31, v35 :: v_dual_add_f32 v6, v6, v21
	s_delay_alu instid0(VALU_DEP_1)
	v_add_f32_e32 v6, v6, v22
	ds_load_b128 v[19:22], v11 offset:96
	v_add_f32_e32 v6, v6, v24
	ds_load_2addr_b64 v[23:26], v10 offset0:224 offset1:240
	ds_load_b128 v[27:30], v11 offset:112
	v_mul_f32_e32 v34, v64, v56
	s_waitcnt lgkmcnt(0)
	s_barrier
	v_add_f32_e32 v6, v6, v33
	buffer_gl0_inv
	v_fma_f32 v32, v63, v55, -v34
	s_delay_alu instid0(VALU_DEP_1) | instskip(SKIP_2) | instid1(VALU_DEP_2)
	v_add_f32_e32 v6, v6, v32
	v_mul_f32_e32 v33, v20, v16
	v_mul_f32_e32 v16, v19, v16
	v_fma_f32 v19, v19, v15, -v33
	s_delay_alu instid0(VALU_DEP_2) | instskip(SKIP_1) | instid1(VALU_DEP_3)
	v_dual_fmac_f32 v16, v20, v15 :: v_dual_mul_f32 v15, v22, v18
	v_mul_f32_e32 v18, v21, v18
	v_add_f32_e32 v6, v6, v19
	s_delay_alu instid0(VALU_DEP_3) | instskip(NEXT) | instid1(VALU_DEP_4)
	v_add_f32_e32 v16, v31, v16
	v_fma_f32 v15, v21, v17, -v15
	s_delay_alu instid0(VALU_DEP_4) | instskip(NEXT) | instid1(VALU_DEP_2)
	v_dual_fmac_f32 v18, v22, v17 :: v_dual_mul_f32 v17, v28, v24
	v_dual_mul_f32 v19, v27, v24 :: v_dual_add_f32 v6, v6, v15
	s_delay_alu instid0(VALU_DEP_2) | instskip(NEXT) | instid1(VALU_DEP_3)
	v_add_f32_e32 v15, v16, v18
	v_fma_f32 v16, v27, v23, -v17
	v_mul_f32_e32 v17, v30, v26
	s_delay_alu instid0(VALU_DEP_4) | instskip(NEXT) | instid1(VALU_DEP_3)
	v_dual_fmac_f32 v19, v28, v23 :: v_dual_mul_f32 v18, v29, v26
	v_add_f32_e32 v6, v6, v16
	s_delay_alu instid0(VALU_DEP_2) | instskip(NEXT) | instid1(VALU_DEP_4)
	v_add_f32_e32 v16, v15, v19
	v_fma_f32 v15, v29, v25, -v17
	s_delay_alu instid0(VALU_DEP_4) | instskip(NEXT) | instid1(VALU_DEP_1)
	v_fmac_f32_e32 v18, v30, v25
	v_dual_add_f32 v15, v6, v15 :: v_dual_add_f32 v16, v16, v18
	s_cbranch_scc1 .LBB362_11
.LBB362_3:                              ; =>This Inner Loop Header: Depth=1
	v_add_nc_u32_e32 v6, s12, v8
                                        ; implicit-def: $sgpr7
	s_delay_alu instid0(VALU_DEP_1) | instskip(SKIP_1) | instid1(SALU_CYCLE_1)
	v_cmp_le_i32_e32 vcc_lo, s17, v6
	s_or_b32 s6, s2, vcc_lo
	s_and_saveexec_b32 s8, s6
	s_delay_alu instid0(SALU_CYCLE_1)
	s_xor_b32 s6, exec_lo, s8
	s_cbranch_execz .LBB362_5
; %bb.4:                                ;   in Loop: Header=BB362_3 Depth=1
	s_mov_b32 s7, 0
	ds_store_b32 v12, v14
.LBB362_5:                              ;   in Loop: Header=BB362_3 Depth=1
	s_or_saveexec_b32 s6, s6
	v_mov_b32_e32 v6, s7
	s_xor_b32 exec_lo, exec_lo, s6
	s_cbranch_execz .LBB362_7
; %bb.6:                                ;   in Loop: Header=BB362_3 Depth=1
	global_load_b64 v[17:18], v[3:4], off offset:-4
	s_waitcnt vmcnt(0)
	v_xor_b32_e32 v6, 0x80000000, v18
	ds_store_b32 v12, v17
.LBB362_7:                              ;   in Loop: Header=BB362_3 Depth=1
	s_or_b32 exec_lo, exec_lo, s6
	v_add_nc_u32_e32 v17, s12, v9
	ds_store_b32 v12, v6 offset:4
	v_cmp_le_i32_e32 vcc_lo, s17, v17
	s_or_b32 s6, s3, vcc_lo
	s_delay_alu instid0(SALU_CYCLE_1) | instskip(NEXT) | instid1(SALU_CYCLE_1)
	s_and_saveexec_b32 s7, s6
	s_xor_b32 s6, exec_lo, s7
	s_cbranch_execz .LBB362_9
; %bb.8:                                ;   in Loop: Header=BB362_3 Depth=1
	v_mov_b32_e32 v6, v5
	ds_store_b64 v13, v[5:6]
.LBB362_9:                              ;   in Loop: Header=BB362_3 Depth=1
	s_and_not1_saveexec_b32 s6, s6
	s_cbranch_execz .LBB362_2
; %bb.10:                               ;   in Loop: Header=BB362_3 Depth=1
	global_load_b64 v[17:18], v[1:2], off
	s_waitcnt vmcnt(0)
	ds_store_b64 v13, v[17:18]
	s_branch .LBB362_2
.LBB362_11:
	v_cmp_le_i32_e32 vcc_lo, v0, v7
	v_cmp_gt_i32_e64 s2, s16, v7
	s_delay_alu instid0(VALU_DEP_1) | instskip(NEXT) | instid1(SALU_CYCLE_1)
	s_and_b32 s2, vcc_lo, s2
	s_and_saveexec_b32 s3, s2
	s_cbranch_execz .LBB362_14
; %bb.12:
	s_clause 0x2
	s_load_b32 s6, s[0:1], 0x50
	s_load_b64 s[2:3], s[0:1], 0x58
	s_load_b64 s[0:1], s[0:1], 0x48
	v_mul_f32_e32 v5, s4, v16
	v_mul_f32_e32 v4, s5, v16
	v_ashrrev_i32_e32 v1, 31, v0
	s_delay_alu instid0(VALU_DEP_3) | instskip(NEXT) | instid1(VALU_DEP_3)
	v_fmac_f32_e32 v5, s5, v15
	v_fma_f32 v4, v15, s4, -v4
	s_delay_alu instid0(VALU_DEP_3)
	v_lshlrev_b64 v[8:9], 3, v[0:1]
	s_waitcnt lgkmcnt(0)
	v_mad_i64_i32 v[2:3], null, s6, v7, 0
	s_mul_i32 s3, s15, s3
	s_mul_hi_u32 s4, s15, s2
	s_mul_i32 s2, s15, s2
	s_add_i32 s3, s4, s3
	s_delay_alu instid0(SALU_CYCLE_1) | instskip(NEXT) | instid1(VALU_DEP_1)
	s_lshl_b64 s[2:3], s[2:3], 3
	v_lshlrev_b64 v[2:3], 3, v[2:3]
	s_add_u32 s0, s0, s2
	s_addc_u32 s1, s1, s3
	s_delay_alu instid0(VALU_DEP_1) | instskip(NEXT) | instid1(VALU_DEP_2)
	v_add_co_u32 v1, vcc_lo, s0, v2
	v_add_co_ci_u32_e32 v2, vcc_lo, s1, v3, vcc_lo
	s_delay_alu instid0(VALU_DEP_2) | instskip(NEXT) | instid1(VALU_DEP_2)
	v_add_co_u32 v1, vcc_lo, v1, v8
	v_add_co_ci_u32_e32 v2, vcc_lo, v2, v9, vcc_lo
	v_cmp_eq_u32_e32 vcc_lo, v0, v7
	global_store_b64 v[1:2], v[4:5], off
	s_and_b32 exec_lo, exec_lo, vcc_lo
	s_cbranch_execz .LBB362_14
; %bb.13:
	v_mov_b32_e32 v0, 0
	global_store_b32 v[1:2], v0, off offset:4
.LBB362_14:
	s_nop 0
	s_sendmsg sendmsg(MSG_DEALLOC_VGPRS)
	s_endpgm
	.section	.rodata,"a",@progbits
	.p2align	6, 0x0
	.amdhsa_kernel _ZL32rocblas_syrkx_herkx_small_kernelIi19rocblas_complex_numIfELi16ELb1ELb1ELc67ELc85EKS1_S1_EviT_T0_PT6_S3_lS6_S3_lS4_PT7_S3_li
		.amdhsa_group_segment_fixed_size 4096
		.amdhsa_private_segment_fixed_size 0
		.amdhsa_kernarg_size 100
		.amdhsa_user_sgpr_count 13
		.amdhsa_user_sgpr_dispatch_ptr 0
		.amdhsa_user_sgpr_queue_ptr 0
		.amdhsa_user_sgpr_kernarg_segment_ptr 1
		.amdhsa_user_sgpr_dispatch_id 0
		.amdhsa_user_sgpr_private_segment_size 0
		.amdhsa_wavefront_size32 1
		.amdhsa_uses_dynamic_stack 0
		.amdhsa_enable_private_segment 0
		.amdhsa_system_sgpr_workgroup_id_x 1
		.amdhsa_system_sgpr_workgroup_id_y 1
		.amdhsa_system_sgpr_workgroup_id_z 1
		.amdhsa_system_sgpr_workgroup_info 0
		.amdhsa_system_vgpr_workitem_id 1
		.amdhsa_next_free_vgpr 69
		.amdhsa_next_free_sgpr 20
		.amdhsa_reserve_vcc 1
		.amdhsa_float_round_mode_32 0
		.amdhsa_float_round_mode_16_64 0
		.amdhsa_float_denorm_mode_32 3
		.amdhsa_float_denorm_mode_16_64 3
		.amdhsa_dx10_clamp 1
		.amdhsa_ieee_mode 1
		.amdhsa_fp16_overflow 0
		.amdhsa_workgroup_processor_mode 1
		.amdhsa_memory_ordered 1
		.amdhsa_forward_progress 0
		.amdhsa_shared_vgpr_count 0
		.amdhsa_exception_fp_ieee_invalid_op 0
		.amdhsa_exception_fp_denorm_src 0
		.amdhsa_exception_fp_ieee_div_zero 0
		.amdhsa_exception_fp_ieee_overflow 0
		.amdhsa_exception_fp_ieee_underflow 0
		.amdhsa_exception_fp_ieee_inexact 0
		.amdhsa_exception_int_div_zero 0
	.end_amdhsa_kernel
	.section	.text._ZL32rocblas_syrkx_herkx_small_kernelIi19rocblas_complex_numIfELi16ELb1ELb1ELc67ELc85EKS1_S1_EviT_T0_PT6_S3_lS6_S3_lS4_PT7_S3_li,"axG",@progbits,_ZL32rocblas_syrkx_herkx_small_kernelIi19rocblas_complex_numIfELi16ELb1ELb1ELc67ELc85EKS1_S1_EviT_T0_PT6_S3_lS6_S3_lS4_PT7_S3_li,comdat
.Lfunc_end362:
	.size	_ZL32rocblas_syrkx_herkx_small_kernelIi19rocblas_complex_numIfELi16ELb1ELb1ELc67ELc85EKS1_S1_EviT_T0_PT6_S3_lS6_S3_lS4_PT7_S3_li, .Lfunc_end362-_ZL32rocblas_syrkx_herkx_small_kernelIi19rocblas_complex_numIfELi16ELb1ELb1ELc67ELc85EKS1_S1_EviT_T0_PT6_S3_lS6_S3_lS4_PT7_S3_li
                                        ; -- End function
	.section	.AMDGPU.csdata,"",@progbits
; Kernel info:
; codeLenInByte = 1544
; NumSgprs: 22
; NumVgprs: 69
; ScratchSize: 0
; MemoryBound: 1
; FloatMode: 240
; IeeeMode: 1
; LDSByteSize: 4096 bytes/workgroup (compile time only)
; SGPRBlocks: 2
; VGPRBlocks: 8
; NumSGPRsForWavesPerEU: 22
; NumVGPRsForWavesPerEU: 69
; Occupancy: 16
; WaveLimiterHint : 0
; COMPUTE_PGM_RSRC2:SCRATCH_EN: 0
; COMPUTE_PGM_RSRC2:USER_SGPR: 13
; COMPUTE_PGM_RSRC2:TRAP_HANDLER: 0
; COMPUTE_PGM_RSRC2:TGID_X_EN: 1
; COMPUTE_PGM_RSRC2:TGID_Y_EN: 1
; COMPUTE_PGM_RSRC2:TGID_Z_EN: 1
; COMPUTE_PGM_RSRC2:TIDIG_COMP_CNT: 1
	.section	.text._ZL32rocblas_syrkx_herkx_small_kernelIi19rocblas_complex_numIfELi16ELb1ELb1ELc78ELc85EKS1_S1_EviT_T0_PT6_S3_lS6_S3_lS4_PT7_S3_li,"axG",@progbits,_ZL32rocblas_syrkx_herkx_small_kernelIi19rocblas_complex_numIfELi16ELb1ELb1ELc78ELc85EKS1_S1_EviT_T0_PT6_S3_lS6_S3_lS4_PT7_S3_li,comdat
	.globl	_ZL32rocblas_syrkx_herkx_small_kernelIi19rocblas_complex_numIfELi16ELb1ELb1ELc78ELc85EKS1_S1_EviT_T0_PT6_S3_lS6_S3_lS4_PT7_S3_li ; -- Begin function _ZL32rocblas_syrkx_herkx_small_kernelIi19rocblas_complex_numIfELi16ELb1ELb1ELc78ELc85EKS1_S1_EviT_T0_PT6_S3_lS6_S3_lS4_PT7_S3_li
	.p2align	8
	.type	_ZL32rocblas_syrkx_herkx_small_kernelIi19rocblas_complex_numIfELi16ELb1ELb1ELc78ELc85EKS1_S1_EviT_T0_PT6_S3_lS6_S3_lS4_PT7_S3_li,@function
_ZL32rocblas_syrkx_herkx_small_kernelIi19rocblas_complex_numIfELi16ELb1ELb1ELc78ELc85EKS1_S1_EviT_T0_PT6_S3_lS6_S3_lS4_PT7_S3_li: ; @_ZL32rocblas_syrkx_herkx_small_kernelIi19rocblas_complex_numIfELi16ELb1ELb1ELc78ELc85EKS1_S1_EviT_T0_PT6_S3_lS6_S3_lS4_PT7_S3_li
; %bb.0:
	s_clause 0x1
	s_load_b64 s[16:17], s[0:1], 0x0
	s_load_b128 s[4:7], s[0:1], 0x8
	v_dual_mov_b32 v16, 0 :: v_dual_and_b32 v9, 0x3ff, v0
	v_bfe_u32 v10, v0, 10, 10
	v_mov_b32_e32 v17, 0
	s_delay_alu instid0(VALU_DEP_3) | instskip(NEXT) | instid1(VALU_DEP_3)
	v_lshl_add_u32 v0, s13, 4, v9
	v_lshl_add_u32 v2, s14, 4, v10
	s_mov_b32 s14, 0
	s_delay_alu instid0(VALU_DEP_2) | instskip(SKIP_1) | instid1(VALU_DEP_2)
	v_ashrrev_i32_e32 v1, 31, v0
	s_waitcnt lgkmcnt(0)
	v_cmp_gt_i32_e32 vcc_lo, s16, v2
	s_cmp_lt_i32 s17, 1
	s_cbranch_scc1 .LBB363_11
; %bb.1:
	s_clause 0x3
	s_load_b32 s12, s[0:1], 0x18
	s_load_b32 s18, s[0:1], 0x30
	s_load_b64 s[20:21], s[0:1], 0x38
	s_load_b128 s[8:11], s[0:1], 0x20
	v_lshlrev_b32_e32 v4, 7, v10
	v_lshlrev_b32_e32 v11, 3, v9
	v_ashrrev_i32_e32 v3, 31, v2
	v_lshlrev_b64 v[5:6], 3, v[0:1]
	v_cmp_gt_i32_e64 s2, s16, v0
	v_add_nc_u32_e32 v12, 0x800, v4
	v_add_nc_u32_e32 v13, v11, v4
	v_lshlrev_b64 v[3:4], 3, v[2:3]
	v_mov_b32_e32 v17, 0
	s_xor_b32 s2, s2, -1
	s_waitcnt lgkmcnt(0)
	v_mad_i64_i32 v[15:16], null, s12, v10, 0
	v_mad_i64_i32 v[7:8], null, s18, v9, 0
	s_mul_i32 s3, s21, s15
	s_mul_hi_u32 s21, s20, s15
	s_mul_i32 s20, s20, s15
	s_add_i32 s21, s21, s3
	s_mul_i32 s9, s9, s15
	s_lshl_b64 s[20:21], s[20:21], 3
	s_delay_alu instid0(VALU_DEP_1)
	v_lshlrev_b64 v[7:8], 3, v[7:8]
	s_mul_hi_u32 s22, s8, s15
	s_mul_i32 s8, s8, s15
	s_add_i32 s9, s22, s9
	s_ashr_i32 s13, s12, 31
	s_lshl_b64 s[8:9], s[8:9], 3
	v_add_co_u32 v7, s3, s20, v7
	s_delay_alu instid0(VALU_DEP_1) | instskip(SKIP_1) | instid1(VALU_DEP_2)
	v_add_co_ci_u32_e64 v8, s3, s21, v8, s3
	s_ashr_i32 s19, s18, 31
	v_add_co_u32 v7, s3, v7, v3
	s_delay_alu instid0(VALU_DEP_1) | instskip(SKIP_1) | instid1(VALU_DEP_3)
	v_add_co_ci_u32_e64 v8, s3, v8, v4, s3
	v_lshlrev_b64 v[3:4], 3, v[15:16]
	v_add_co_u32 v7, s3, v7, s10
	s_delay_alu instid0(VALU_DEP_1) | instskip(NEXT) | instid1(VALU_DEP_3)
	v_add_co_ci_u32_e64 v8, s3, s11, v8, s3
	v_add_co_u32 v15, s3, s8, v3
	s_delay_alu instid0(VALU_DEP_1) | instskip(NEXT) | instid1(VALU_DEP_4)
	v_add_co_ci_u32_e64 v16, s3, s9, v4, s3
	v_add_co_u32 v3, s3, v7, 4
	s_delay_alu instid0(VALU_DEP_1) | instskip(NEXT) | instid1(VALU_DEP_4)
	v_add_co_ci_u32_e64 v4, s3, 0, v8, s3
	v_add_co_u32 v5, s3, v15, v5
	v_mov_b32_e32 v15, 0
	v_add_co_ci_u32_e64 v6, s3, v16, v6, s3
	s_delay_alu instid0(VALU_DEP_3) | instskip(SKIP_1) | instid1(VALU_DEP_3)
	v_add_co_u32 v5, s3, s6, v5
	v_mov_b32_e32 v7, 0
	v_add_co_ci_u32_e64 v6, s3, s7, v6, s3
	v_mov_b32_e32 v16, 0
	v_add_nc_u32_e32 v14, v12, v11
	s_lshl_b64 s[8:9], s[18:19], 7
	s_lshl_b64 s[6:7], s[12:13], 7
	s_xor_b32 s3, vcc_lo, -1
	s_branch .LBB363_3
.LBB363_2:                              ;   in Loop: Header=BB363_3 Depth=1
	s_or_b32 exec_lo, exec_lo, s10
	ds_store_b32 v14, v8 offset:4
	s_waitcnt lgkmcnt(0)
	s_barrier
	buffer_gl0_inv
	ds_load_2addr_b64 v[18:21], v11 offset1:16
	ds_load_b128 v[22:25], v12
	ds_load_b128 v[26:29], v12 offset:16
	ds_load_2addr_b64 v[30:33], v11 offset0:32 offset1:48
	ds_load_2addr_b64 v[34:37], v11 offset0:64 offset1:80
	ds_load_b128 v[38:41], v12 offset:32
	ds_load_b128 v[42:45], v12 offset:48
	ds_load_2addr_b64 v[46:49], v11 offset0:96 offset1:112
	ds_load_2addr_b64 v[50:53], v11 offset0:128 offset1:144
	;; [unrolled: 1-line block ×3, first 2 shown]
	ds_load_b128 v[58:61], v12 offset:64
	ds_load_b128 v[62:65], v12 offset:80
	v_add_co_u32 v3, vcc_lo, v3, s8
	v_add_co_ci_u32_e32 v4, vcc_lo, s9, v4, vcc_lo
	v_add_co_u32 v5, vcc_lo, v5, s6
	v_add_co_ci_u32_e32 v6, vcc_lo, s7, v6, vcc_lo
	s_add_i32 s14, s14, 16
	s_waitcnt lgkmcnt(10)
	v_mul_f32_e32 v8, v23, v19
	v_dual_mul_f32 v19, v22, v19 :: v_dual_mul_f32 v66, v25, v21
	v_mul_f32_e32 v21, v24, v21
	s_waitcnt lgkmcnt(8)
	v_dual_mul_f32 v67, v27, v31 :: v_dual_mul_f32 v68, v29, v33
	v_fma_f32 v8, v22, v18, -v8
	v_mul_f32_e32 v31, v26, v31
	v_fmac_f32_e32 v19, v23, v18
	v_fma_f32 v18, v24, v20, -v66
	s_waitcnt lgkmcnt(6)
	v_dual_mul_f32 v33, v28, v33 :: v_dual_mul_f32 v22, v38, v35
	v_dual_add_f32 v8, v16, v8 :: v_dual_mul_f32 v69, v39, v35
	v_mul_f32_e32 v16, v40, v37
	v_mul_f32_e32 v35, v41, v37
	s_delay_alu instid0(VALU_DEP_4)
	v_dual_add_f32 v17, v17, v19 :: v_dual_fmac_f32 v22, v39, v34
	v_fma_f32 v19, v26, v30, -v67
	v_dual_add_f32 v8, v8, v18 :: v_dual_fmac_f32 v21, v25, v20
	s_waitcnt lgkmcnt(4)
	v_mul_f32_e32 v18, v43, v47
	v_fmac_f32_e32 v31, v27, v30
	v_fma_f32 v20, v28, v32, -v68
	v_add_f32_e32 v8, v8, v19
	v_fma_f32 v23, v40, v36, -v35
	v_add_f32_e32 v17, v17, v21
	v_fma_f32 v21, v38, v34, -v69
	v_fma_f32 v18, v42, v46, -v18
	v_add_f32_e32 v8, v8, v20
	v_fmac_f32_e32 v33, v29, v32
	v_dual_mul_f32 v19, v42, v47 :: v_dual_mul_f32 v20, v45, v49
	v_fmac_f32_e32 v16, v41, v36
	s_delay_alu instid0(VALU_DEP_4)
	v_add_f32_e32 v8, v8, v21
	v_mul_f32_e32 v21, v44, v49
	s_cmp_ge_i32 s14, s17
	s_waitcnt lgkmcnt(1)
	v_dual_mul_f32 v24, v58, v51 :: v_dual_mul_f32 v25, v61, v53
	v_add_f32_e32 v8, v8, v23
	v_add_f32_e32 v17, v17, v31
	s_waitcnt lgkmcnt(0)
	s_delay_alu instid0(VALU_DEP_3) | instskip(SKIP_1) | instid1(VALU_DEP_3)
	v_dual_mul_f32 v35, v65, v57 :: v_dual_fmac_f32 v24, v59, v50
	v_fma_f32 v25, v60, v52, -v25
	v_dual_add_f32 v8, v8, v18 :: v_dual_add_f32 v17, v17, v33
	s_delay_alu instid0(VALU_DEP_1) | instskip(SKIP_2) | instid1(VALU_DEP_3)
	v_add_f32_e32 v17, v17, v22
	v_fmac_f32_e32 v19, v43, v46
	v_mul_f32_e32 v22, v59, v51
	v_add_f32_e32 v16, v17, v16
	v_fmac_f32_e32 v21, v45, v48
	v_fma_f32 v17, v44, v48, -v20
	s_delay_alu instid0(VALU_DEP_4) | instskip(NEXT) | instid1(VALU_DEP_4)
	v_fma_f32 v18, v58, v50, -v22
	v_add_f32_e32 v16, v16, v19
	s_delay_alu instid0(VALU_DEP_1) | instskip(NEXT) | instid1(VALU_DEP_1)
	v_add_f32_e32 v26, v16, v21
	v_dual_mul_f32 v27, v60, v53 :: v_dual_add_f32 v24, v26, v24
	s_delay_alu instid0(VALU_DEP_1) | instskip(NEXT) | instid1(VALU_DEP_1)
	v_dual_add_f32 v8, v8, v17 :: v_dual_fmac_f32 v27, v61, v52
	v_add_f32_e32 v8, v8, v18
	ds_load_2addr_b64 v[16:19], v11 offset0:192 offset1:208
	ds_load_b128 v[20:23], v12 offset:96
	v_mul_f32_e32 v26, v63, v55
	v_add_f32_e32 v8, v8, v25
	s_delay_alu instid0(VALU_DEP_2) | instskip(NEXT) | instid1(VALU_DEP_1)
	v_fma_f32 v34, v62, v54, -v26
	v_add_f32_e32 v8, v8, v34
	s_waitcnt lgkmcnt(0)
	v_mul_f32_e32 v34, v21, v17
	v_mul_f32_e32 v17, v20, v17
	s_delay_alu instid0(VALU_DEP_2) | instskip(NEXT) | instid1(VALU_DEP_2)
	v_fma_f32 v20, v20, v16, -v34
	v_dual_fmac_f32 v17, v21, v16 :: v_dual_mul_f32 v16, v23, v19
	v_mul_f32_e32 v19, v22, v19
	v_mul_f32_e32 v32, v62, v55
	s_delay_alu instid0(VALU_DEP_3) | instskip(NEXT) | instid1(VALU_DEP_3)
	v_fma_f32 v16, v22, v18, -v16
	v_fmac_f32_e32 v19, v23, v18
	s_delay_alu instid0(VALU_DEP_3)
	v_dual_add_f32 v33, v24, v27 :: v_dual_fmac_f32 v32, v63, v54
	ds_load_2addr_b64 v[24:27], v11 offset0:224 offset1:240
	ds_load_b128 v[28:31], v12 offset:112
	v_mul_f32_e32 v36, v64, v57
	s_waitcnt lgkmcnt(0)
	s_barrier
	v_add_f32_e32 v32, v33, v32
	v_fma_f32 v33, v64, v56, -v35
	v_fmac_f32_e32 v36, v65, v56
	buffer_gl0_inv
	v_add_f32_e32 v8, v8, v33
	v_add_f32_e32 v32, v32, v36
	s_delay_alu instid0(VALU_DEP_2) | instskip(NEXT) | instid1(VALU_DEP_2)
	v_add_f32_e32 v8, v8, v20
	v_add_f32_e32 v17, v32, v17
	v_mul_f32_e32 v18, v29, v25
	v_mul_f32_e32 v20, v28, v25
	s_delay_alu instid0(VALU_DEP_4) | instskip(NEXT) | instid1(VALU_DEP_4)
	v_add_f32_e32 v8, v8, v16
	v_add_f32_e32 v16, v17, v19
	v_mul_f32_e32 v19, v30, v27
	v_fma_f32 v17, v28, v24, -v18
	v_fmac_f32_e32 v20, v29, v24
	v_mul_f32_e32 v18, v31, v27
	s_delay_alu instid0(VALU_DEP_3) | instskip(NEXT) | instid1(VALU_DEP_3)
	v_dual_fmac_f32 v19, v31, v26 :: v_dual_add_f32 v8, v8, v17
	v_add_f32_e32 v17, v16, v20
	s_delay_alu instid0(VALU_DEP_3) | instskip(NEXT) | instid1(VALU_DEP_1)
	v_fma_f32 v16, v30, v26, -v18
	v_dual_add_f32 v17, v17, v19 :: v_dual_add_f32 v16, v8, v16
	s_cbranch_scc1 .LBB363_11
.LBB363_3:                              ; =>This Inner Loop Header: Depth=1
	v_add_nc_u32_e32 v8, s14, v10
	s_delay_alu instid0(VALU_DEP_1) | instskip(SKIP_1) | instid1(SALU_CYCLE_1)
	v_cmp_le_i32_e32 vcc_lo, s17, v8
	s_or_b32 s10, s2, vcc_lo
	s_and_saveexec_b32 s11, s10
	s_delay_alu instid0(SALU_CYCLE_1)
	s_xor_b32 s10, exec_lo, s11
	s_cbranch_execz .LBB363_5
; %bb.4:                                ;   in Loop: Header=BB363_3 Depth=1
	v_mov_b32_e32 v8, v7
	ds_store_b64 v13, v[7:8]
.LBB363_5:                              ;   in Loop: Header=BB363_3 Depth=1
	s_and_not1_saveexec_b32 s10, s10
	s_cbranch_execz .LBB363_7
; %bb.6:                                ;   in Loop: Header=BB363_3 Depth=1
	global_load_b64 v[18:19], v[5:6], off
	s_waitcnt vmcnt(0)
	ds_store_b64 v13, v[18:19]
.LBB363_7:                              ;   in Loop: Header=BB363_3 Depth=1
	s_or_b32 exec_lo, exec_lo, s10
	v_add_nc_u32_e32 v8, s14, v9
                                        ; implicit-def: $sgpr11
	s_delay_alu instid0(VALU_DEP_1) | instskip(SKIP_1) | instid1(SALU_CYCLE_1)
	v_cmp_le_i32_e32 vcc_lo, s17, v8
	s_or_b32 s10, s3, vcc_lo
	s_and_saveexec_b32 s12, s10
	s_delay_alu instid0(SALU_CYCLE_1)
	s_xor_b32 s10, exec_lo, s12
	s_cbranch_execz .LBB363_9
; %bb.8:                                ;   in Loop: Header=BB363_3 Depth=1
	s_mov_b32 s11, 0
	ds_store_b32 v14, v15
.LBB363_9:                              ;   in Loop: Header=BB363_3 Depth=1
	s_or_saveexec_b32 s10, s10
	v_mov_b32_e32 v8, s11
	s_xor_b32 exec_lo, exec_lo, s10
	s_cbranch_execz .LBB363_2
; %bb.10:                               ;   in Loop: Header=BB363_3 Depth=1
	global_load_b64 v[18:19], v[3:4], off offset:-4
	s_waitcnt vmcnt(0)
	v_xor_b32_e32 v8, 0x80000000, v19
	ds_store_b32 v14, v18
	s_branch .LBB363_2
.LBB363_11:
	v_cmp_le_i32_e32 vcc_lo, v0, v2
	v_cmp_gt_i32_e64 s2, s16, v2
	s_delay_alu instid0(VALU_DEP_1) | instskip(NEXT) | instid1(SALU_CYCLE_1)
	s_and_b32 s2, vcc_lo, s2
	s_and_saveexec_b32 s3, s2
	s_cbranch_execz .LBB363_14
; %bb.12:
	s_clause 0x2
	s_load_b32 s6, s[0:1], 0x50
	s_load_b64 s[2:3], s[0:1], 0x58
	s_load_b64 s[0:1], s[0:1], 0x48
	v_lshlrev_b64 v[7:8], 3, v[0:1]
	v_mul_f32_e32 v6, s4, v17
	s_delay_alu instid0(VALU_DEP_1) | instskip(NEXT) | instid1(VALU_DEP_1)
	v_dual_mul_f32 v5, s5, v17 :: v_dual_fmac_f32 v6, s5, v16
	v_fma_f32 v5, v16, s4, -v5
	s_waitcnt lgkmcnt(0)
	v_mad_i64_i32 v[3:4], null, s6, v2, 0
	s_mul_i32 s3, s15, s3
	s_mul_hi_u32 s6, s15, s2
	s_mul_i32 s2, s15, s2
	s_add_i32 s3, s6, s3
	s_delay_alu instid0(SALU_CYCLE_1) | instskip(NEXT) | instid1(VALU_DEP_1)
	s_lshl_b64 s[2:3], s[2:3], 3
	v_lshlrev_b64 v[3:4], 3, v[3:4]
	s_add_u32 s0, s0, s2
	s_addc_u32 s1, s1, s3
	s_delay_alu instid0(VALU_DEP_1) | instskip(NEXT) | instid1(VALU_DEP_2)
	v_add_co_u32 v1, vcc_lo, s0, v3
	v_add_co_ci_u32_e32 v4, vcc_lo, s1, v4, vcc_lo
	s_delay_alu instid0(VALU_DEP_2) | instskip(NEXT) | instid1(VALU_DEP_2)
	v_add_co_u32 v3, vcc_lo, v1, v7
	v_add_co_ci_u32_e32 v4, vcc_lo, v4, v8, vcc_lo
	v_cmp_eq_u32_e32 vcc_lo, v0, v2
	global_store_b64 v[3:4], v[5:6], off
	s_and_b32 exec_lo, exec_lo, vcc_lo
	s_cbranch_execz .LBB363_14
; %bb.13:
	v_mov_b32_e32 v0, 0
	global_store_b32 v[3:4], v0, off offset:4
.LBB363_14:
	s_nop 0
	s_sendmsg sendmsg(MSG_DEALLOC_VGPRS)
	s_endpgm
	.section	.rodata,"a",@progbits
	.p2align	6, 0x0
	.amdhsa_kernel _ZL32rocblas_syrkx_herkx_small_kernelIi19rocblas_complex_numIfELi16ELb1ELb1ELc78ELc85EKS1_S1_EviT_T0_PT6_S3_lS6_S3_lS4_PT7_S3_li
		.amdhsa_group_segment_fixed_size 4096
		.amdhsa_private_segment_fixed_size 0
		.amdhsa_kernarg_size 100
		.amdhsa_user_sgpr_count 13
		.amdhsa_user_sgpr_dispatch_ptr 0
		.amdhsa_user_sgpr_queue_ptr 0
		.amdhsa_user_sgpr_kernarg_segment_ptr 1
		.amdhsa_user_sgpr_dispatch_id 0
		.amdhsa_user_sgpr_private_segment_size 0
		.amdhsa_wavefront_size32 1
		.amdhsa_uses_dynamic_stack 0
		.amdhsa_enable_private_segment 0
		.amdhsa_system_sgpr_workgroup_id_x 1
		.amdhsa_system_sgpr_workgroup_id_y 1
		.amdhsa_system_sgpr_workgroup_id_z 1
		.amdhsa_system_sgpr_workgroup_info 0
		.amdhsa_system_vgpr_workitem_id 1
		.amdhsa_next_free_vgpr 70
		.amdhsa_next_free_sgpr 23
		.amdhsa_reserve_vcc 1
		.amdhsa_float_round_mode_32 0
		.amdhsa_float_round_mode_16_64 0
		.amdhsa_float_denorm_mode_32 3
		.amdhsa_float_denorm_mode_16_64 3
		.amdhsa_dx10_clamp 1
		.amdhsa_ieee_mode 1
		.amdhsa_fp16_overflow 0
		.amdhsa_workgroup_processor_mode 1
		.amdhsa_memory_ordered 1
		.amdhsa_forward_progress 0
		.amdhsa_shared_vgpr_count 0
		.amdhsa_exception_fp_ieee_invalid_op 0
		.amdhsa_exception_fp_denorm_src 0
		.amdhsa_exception_fp_ieee_div_zero 0
		.amdhsa_exception_fp_ieee_overflow 0
		.amdhsa_exception_fp_ieee_underflow 0
		.amdhsa_exception_fp_ieee_inexact 0
		.amdhsa_exception_int_div_zero 0
	.end_amdhsa_kernel
	.section	.text._ZL32rocblas_syrkx_herkx_small_kernelIi19rocblas_complex_numIfELi16ELb1ELb1ELc78ELc85EKS1_S1_EviT_T0_PT6_S3_lS6_S3_lS4_PT7_S3_li,"axG",@progbits,_ZL32rocblas_syrkx_herkx_small_kernelIi19rocblas_complex_numIfELi16ELb1ELb1ELc78ELc85EKS1_S1_EviT_T0_PT6_S3_lS6_S3_lS4_PT7_S3_li,comdat
.Lfunc_end363:
	.size	_ZL32rocblas_syrkx_herkx_small_kernelIi19rocblas_complex_numIfELi16ELb1ELb1ELc78ELc85EKS1_S1_EviT_T0_PT6_S3_lS6_S3_lS4_PT7_S3_li, .Lfunc_end363-_ZL32rocblas_syrkx_herkx_small_kernelIi19rocblas_complex_numIfELi16ELb1ELb1ELc78ELc85EKS1_S1_EviT_T0_PT6_S3_lS6_S3_lS4_PT7_S3_li
                                        ; -- End function
	.section	.AMDGPU.csdata,"",@progbits
; Kernel info:
; codeLenInByte = 1568
; NumSgprs: 25
; NumVgprs: 70
; ScratchSize: 0
; MemoryBound: 1
; FloatMode: 240
; IeeeMode: 1
; LDSByteSize: 4096 bytes/workgroup (compile time only)
; SGPRBlocks: 3
; VGPRBlocks: 8
; NumSGPRsForWavesPerEU: 25
; NumVGPRsForWavesPerEU: 70
; Occupancy: 16
; WaveLimiterHint : 0
; COMPUTE_PGM_RSRC2:SCRATCH_EN: 0
; COMPUTE_PGM_RSRC2:USER_SGPR: 13
; COMPUTE_PGM_RSRC2:TRAP_HANDLER: 0
; COMPUTE_PGM_RSRC2:TGID_X_EN: 1
; COMPUTE_PGM_RSRC2:TGID_Y_EN: 1
; COMPUTE_PGM_RSRC2:TGID_Z_EN: 1
; COMPUTE_PGM_RSRC2:TIDIG_COMP_CNT: 1
	.section	.text._ZL32rocblas_syrkx_herkx_small_kernelIi19rocblas_complex_numIfELi16ELb0ELb1ELc84ELc76EKS1_S1_EviT_T0_PT6_S3_lS6_S3_lS4_PT7_S3_li,"axG",@progbits,_ZL32rocblas_syrkx_herkx_small_kernelIi19rocblas_complex_numIfELi16ELb0ELb1ELc84ELc76EKS1_S1_EviT_T0_PT6_S3_lS6_S3_lS4_PT7_S3_li,comdat
	.globl	_ZL32rocblas_syrkx_herkx_small_kernelIi19rocblas_complex_numIfELi16ELb0ELb1ELc84ELc76EKS1_S1_EviT_T0_PT6_S3_lS6_S3_lS4_PT7_S3_li ; -- Begin function _ZL32rocblas_syrkx_herkx_small_kernelIi19rocblas_complex_numIfELi16ELb0ELb1ELc84ELc76EKS1_S1_EviT_T0_PT6_S3_lS6_S3_lS4_PT7_S3_li
	.p2align	8
	.type	_ZL32rocblas_syrkx_herkx_small_kernelIi19rocblas_complex_numIfELi16ELb0ELb1ELc84ELc76EKS1_S1_EviT_T0_PT6_S3_lS6_S3_lS4_PT7_S3_li,@function
_ZL32rocblas_syrkx_herkx_small_kernelIi19rocblas_complex_numIfELi16ELb0ELb1ELc84ELc76EKS1_S1_EviT_T0_PT6_S3_lS6_S3_lS4_PT7_S3_li: ; @_ZL32rocblas_syrkx_herkx_small_kernelIi19rocblas_complex_numIfELi16ELb0ELb1ELc84ELc76EKS1_S1_EviT_T0_PT6_S3_lS6_S3_lS4_PT7_S3_li
; %bb.0:
	s_clause 0x3
	s_load_b64 s[22:23], s[0:1], 0x0
	s_load_b128 s[8:11], s[0:1], 0x8
	s_load_b128 s[4:7], s[0:1], 0x38
	s_load_b64 s[20:21], s[0:1], 0x48
	v_dual_mov_b32 v15, 0 :: v_dual_and_b32 v8, 0x3ff, v0
	v_bfe_u32 v9, v0, 10, 10
	v_mov_b32_e32 v14, 0
	s_mov_b32 s12, 0
	s_delay_alu instid0(VALU_DEP_3) | instskip(NEXT) | instid1(VALU_DEP_3)
	v_lshl_add_u32 v0, s13, 4, v8
	v_lshl_add_u32 v7, s14, 4, v9
	s_waitcnt lgkmcnt(0)
	s_delay_alu instid0(VALU_DEP_2)
	v_cmp_gt_i32_e32 vcc_lo, s22, v0
	s_cmp_lt_i32 s23, 1
	s_cbranch_scc1 .LBB364_11
; %bb.1:
	s_clause 0x2
	s_load_b32 s3, s[0:1], 0x30
	s_load_b32 s13, s[0:1], 0x18
	s_load_b128 s[16:19], s[0:1], 0x20
	v_dual_mov_b32 v14, 0 :: v_dual_lshlrev_b32 v3, 7, v9
	v_lshlrev_b32_e32 v10, 3, v8
	s_mul_i32 s5, s5, s15
	s_mul_hi_u32 s14, s4, s15
	s_delay_alu instid0(VALU_DEP_2) | instskip(NEXT) | instid1(VALU_DEP_2)
	v_dual_mov_b32 v15, 0 :: v_dual_add_nc_u32 v12, 0x800, v3
	v_add_nc_u32_e32 v11, v10, v3
	s_mul_i32 s4, s4, s15
	s_add_i32 s5, s14, s5
	v_lshlrev_b32_e32 v5, 3, v9
	s_lshl_b64 s[4:5], s[4:5], 3
	v_cmp_gt_i32_e64 s2, s22, v7
	s_delay_alu instid0(VALU_DEP_1)
	s_xor_b32 s2, s2, -1
	s_waitcnt lgkmcnt(0)
	v_mad_i64_i32 v[1:2], null, s3, v7, 0
	v_mad_i64_i32 v[3:4], null, s13, v0, 0
	s_mul_i32 s3, s17, s15
	s_mul_hi_u32 s13, s16, s15
	s_mul_i32 s16, s16, s15
	s_add_i32 s17, s13, s3
	s_delay_alu instid0(VALU_DEP_2) | instskip(SKIP_1) | instid1(VALU_DEP_2)
	v_lshlrev_b64 v[1:2], 3, v[1:2]
	s_lshl_b64 s[16:17], s[16:17], 3
	v_lshlrev_b64 v[3:4], 3, v[3:4]
	s_delay_alu instid0(VALU_DEP_2) | instskip(NEXT) | instid1(VALU_DEP_1)
	v_add_co_u32 v1, s3, v1, s4
	v_add_co_ci_u32_e64 v2, s3, s5, v2, s3
	s_delay_alu instid0(VALU_DEP_3) | instskip(NEXT) | instid1(VALU_DEP_1)
	v_add_co_u32 v3, s3, v3, s16
	v_add_co_ci_u32_e64 v4, s3, s17, v4, s3
	s_delay_alu instid0(VALU_DEP_4) | instskip(NEXT) | instid1(VALU_DEP_1)
	v_add_co_u32 v1, s3, v1, v10
	v_add_co_ci_u32_e64 v2, s3, 0, v2, s3
	s_delay_alu instid0(VALU_DEP_4) | instskip(NEXT) | instid1(VALU_DEP_1)
	;; [unrolled: 3-line block ×4, first 2 shown]
	v_add_co_u32 v3, s3, s10, v3
	v_add_co_ci_u32_e64 v4, s3, s11, v4, s3
	v_mov_b32_e32 v5, 0
	v_add_nc_u32_e32 v13, v12, v10
	s_xor_b32 s3, vcc_lo, -1
	s_branch .LBB364_3
.LBB364_2:                              ;   in Loop: Header=BB364_3 Depth=1
	s_or_b32 exec_lo, exec_lo, s4
	s_waitcnt lgkmcnt(0)
	s_barrier
	buffer_gl0_inv
	ds_load_2addr_b64 v[16:19], v10 offset1:16
	ds_load_b128 v[20:23], v12
	ds_load_b128 v[24:27], v12 offset:16
	ds_load_2addr_b64 v[28:31], v10 offset0:32 offset1:48
	ds_load_2addr_b64 v[32:35], v10 offset0:64 offset1:80
	ds_load_b128 v[36:39], v12 offset:32
	ds_load_b128 v[40:43], v12 offset:48
	ds_load_2addr_b64 v[44:47], v10 offset0:96 offset1:112
	ds_load_2addr_b64 v[48:51], v10 offset0:128 offset1:144
	;; [unrolled: 1-line block ×3, first 2 shown]
	ds_load_b128 v[56:59], v12 offset:64
	ds_load_b128 v[60:63], v12 offset:80
	v_add_co_u32 v1, vcc_lo, 0x80, v1
	v_add_co_ci_u32_e32 v2, vcc_lo, 0, v2, vcc_lo
	v_add_co_u32 v3, vcc_lo, 0x80, v3
	v_add_co_ci_u32_e32 v4, vcc_lo, 0, v4, vcc_lo
	s_add_i32 s12, s12, 16
	s_waitcnt lgkmcnt(10)
	v_mul_f32_e32 v6, v21, v17
	v_dual_mul_f32 v17, v20, v17 :: v_dual_mul_f32 v64, v23, v19
	v_mul_f32_e32 v19, v22, v19
	s_waitcnt lgkmcnt(8)
	v_dual_mul_f32 v65, v25, v29 :: v_dual_mul_f32 v66, v27, v31
	v_fma_f32 v6, v20, v16, -v6
	v_mul_f32_e32 v31, v26, v31
	s_waitcnt lgkmcnt(6)
	v_dual_mul_f32 v29, v24, v29 :: v_dual_mul_f32 v20, v39, v35
	s_delay_alu instid0(VALU_DEP_3) | instskip(SKIP_2) | instid1(VALU_DEP_4)
	v_dual_mul_f32 v67, v37, v33 :: v_dual_add_f32 v6, v15, v6
	v_fmac_f32_e32 v17, v21, v16
	v_fma_f32 v21, v22, v18, -v64
	v_dual_fmac_f32 v29, v25, v28 :: v_dual_mul_f32 v16, v38, v35
	v_fma_f32 v20, v38, v34, -v20
	s_delay_alu instid0(VALU_DEP_3)
	v_dual_fmac_f32 v31, v27, v30 :: v_dual_add_f32 v6, v6, v21
	v_dual_fmac_f32 v19, v23, v18 :: v_dual_add_f32 v14, v14, v17
	v_fma_f32 v17, v24, v28, -v65
	v_mul_f32_e32 v33, v36, v33
	s_waitcnt lgkmcnt(4)
	v_mul_f32_e32 v18, v40, v45
	v_fma_f32 v21, v36, v32, -v67
	v_add_f32_e32 v14, v14, v19
	v_fma_f32 v19, v26, v30, -v66
	v_add_f32_e32 v6, v6, v17
	v_mul_f32_e32 v15, v41, v45
	s_delay_alu instid0(VALU_DEP_4) | instskip(NEXT) | instid1(VALU_DEP_3)
	v_dual_mul_f32 v17, v43, v47 :: v_dual_add_f32 v14, v14, v29
	v_dual_fmac_f32 v33, v37, v32 :: v_dual_add_f32 v6, v6, v19
	v_dual_mul_f32 v19, v42, v47 :: v_dual_fmac_f32 v16, v39, v34
	s_delay_alu instid0(VALU_DEP_3) | instskip(SKIP_1) | instid1(VALU_DEP_3)
	v_add_f32_e32 v14, v14, v31
	v_fma_f32 v15, v40, v44, -v15
	v_dual_add_f32 v6, v6, v21 :: v_dual_fmac_f32 v19, v43, v46
	s_waitcnt lgkmcnt(1)
	v_mul_f32_e32 v21, v57, v49
	v_dual_fmac_f32 v18, v41, v44 :: v_dual_mul_f32 v25, v58, v51
	v_add_f32_e32 v14, v14, v33
	v_add_f32_e32 v6, v6, v20
	v_fma_f32 v20, v42, v46, -v17
	v_fma_f32 v21, v56, v48, -v21
	s_delay_alu instid0(VALU_DEP_4)
	v_dual_fmac_f32 v25, v59, v50 :: v_dual_add_f32 v14, v14, v16
	s_waitcnt lgkmcnt(0)
	v_mul_f32_e32 v33, v63, v55
	v_add_f32_e32 v6, v6, v15
	v_mul_f32_e32 v34, v62, v55
	s_cmp_ge_i32 s12, s23
	v_add_f32_e32 v18, v14, v18
	v_mul_f32_e32 v22, v56, v49
	v_add_f32_e32 v6, v6, v20
	ds_load_2addr_b64 v[14:17], v10 offset0:192 offset1:208
	v_dual_fmac_f32 v34, v63, v54 :: v_dual_add_f32 v23, v18, v19
	v_add_f32_e32 v6, v6, v21
	ds_load_b128 v[18:21], v12 offset:96
	v_fmac_f32_e32 v22, v57, v48
	s_delay_alu instid0(VALU_DEP_1) | instskip(NEXT) | instid1(VALU_DEP_1)
	v_add_f32_e32 v22, v23, v22
	v_dual_mul_f32 v24, v59, v51 :: v_dual_add_f32 v31, v22, v25
	s_delay_alu instid0(VALU_DEP_1) | instskip(SKIP_1) | instid1(VALU_DEP_2)
	v_fma_f32 v23, v58, v50, -v24
	v_mul_f32_e32 v24, v61, v53
	v_add_f32_e32 v6, v6, v23
	s_delay_alu instid0(VALU_DEP_2)
	v_fma_f32 v32, v60, v52, -v24
	ds_load_2addr_b64 v[22:25], v10 offset0:224 offset1:240
	ds_load_b128 v[26:29], v12 offset:112
	v_mul_f32_e32 v30, v60, v53
	s_waitcnt lgkmcnt(0)
	s_barrier
	v_add_f32_e32 v6, v6, v32
	v_mul_f32_e32 v32, v19, v15
	v_dual_fmac_f32 v30, v61, v52 :: v_dual_mul_f32 v15, v18, v15
	buffer_gl0_inv
	v_fma_f32 v18, v18, v14, -v32
	v_add_f32_e32 v30, v31, v30
	v_fma_f32 v31, v62, v54, -v33
	v_dual_fmac_f32 v15, v19, v14 :: v_dual_mul_f32 v14, v21, v17
	s_delay_alu instid0(VALU_DEP_3) | instskip(NEXT) | instid1(VALU_DEP_3)
	v_dual_mul_f32 v17, v20, v17 :: v_dual_add_f32 v30, v30, v34
	v_add_f32_e32 v6, v6, v31
	s_delay_alu instid0(VALU_DEP_3) | instskip(NEXT) | instid1(VALU_DEP_3)
	v_fma_f32 v14, v20, v16, -v14
	v_fmac_f32_e32 v17, v21, v16
	s_delay_alu instid0(VALU_DEP_4) | instskip(NEXT) | instid1(VALU_DEP_4)
	v_add_f32_e32 v15, v30, v15
	v_add_f32_e32 v6, v6, v18
	v_mul_f32_e32 v16, v27, v23
	v_mul_f32_e32 v18, v26, v23
	s_delay_alu instid0(VALU_DEP_3) | instskip(SKIP_1) | instid1(VALU_DEP_4)
	v_add_f32_e32 v6, v6, v14
	v_add_f32_e32 v14, v15, v17
	v_fma_f32 v15, v26, v22, -v16
	s_delay_alu instid0(VALU_DEP_4) | instskip(SKIP_1) | instid1(VALU_DEP_3)
	v_fmac_f32_e32 v18, v27, v22
	v_mul_f32_e32 v16, v29, v25
	v_dual_mul_f32 v17, v28, v25 :: v_dual_add_f32 v6, v6, v15
	s_delay_alu instid0(VALU_DEP_3) | instskip(NEXT) | instid1(VALU_DEP_3)
	v_add_f32_e32 v14, v14, v18
	v_fma_f32 v15, v28, v24, -v16
	s_delay_alu instid0(VALU_DEP_3) | instskip(NEXT) | instid1(VALU_DEP_2)
	v_fmac_f32_e32 v17, v29, v24
	v_add_f32_e32 v15, v6, v15
	s_delay_alu instid0(VALU_DEP_2)
	v_add_f32_e32 v14, v14, v17
	s_cbranch_scc1 .LBB364_11
.LBB364_3:                              ; =>This Inner Loop Header: Depth=1
	v_add_nc_u32_e32 v6, s12, v9
	s_delay_alu instid0(VALU_DEP_1) | instskip(SKIP_1) | instid1(SALU_CYCLE_1)
	v_cmp_le_i32_e32 vcc_lo, s23, v6
	s_or_b32 s4, s3, vcc_lo
	s_and_saveexec_b32 s5, s4
	s_delay_alu instid0(SALU_CYCLE_1)
	s_xor_b32 s4, exec_lo, s5
	s_cbranch_execz .LBB364_5
; %bb.4:                                ;   in Loop: Header=BB364_3 Depth=1
	v_mov_b32_e32 v6, v5
	ds_store_b64 v11, v[5:6]
.LBB364_5:                              ;   in Loop: Header=BB364_3 Depth=1
	s_and_not1_saveexec_b32 s4, s4
	s_cbranch_execz .LBB364_7
; %bb.6:                                ;   in Loop: Header=BB364_3 Depth=1
	global_load_b64 v[16:17], v[3:4], off
	s_waitcnt vmcnt(0)
	ds_store_b64 v11, v[16:17]
.LBB364_7:                              ;   in Loop: Header=BB364_3 Depth=1
	s_or_b32 exec_lo, exec_lo, s4
	v_add_nc_u32_e32 v6, s12, v8
	s_delay_alu instid0(VALU_DEP_1) | instskip(SKIP_1) | instid1(SALU_CYCLE_1)
	v_cmp_le_i32_e32 vcc_lo, s23, v6
	s_or_b32 s4, s2, vcc_lo
	s_and_saveexec_b32 s5, s4
	s_delay_alu instid0(SALU_CYCLE_1)
	s_xor_b32 s4, exec_lo, s5
	s_cbranch_execz .LBB364_9
; %bb.8:                                ;   in Loop: Header=BB364_3 Depth=1
	v_mov_b32_e32 v6, v5
	ds_store_b64 v13, v[5:6]
.LBB364_9:                              ;   in Loop: Header=BB364_3 Depth=1
	s_and_not1_saveexec_b32 s4, s4
	s_cbranch_execz .LBB364_2
; %bb.10:                               ;   in Loop: Header=BB364_3 Depth=1
	global_load_b64 v[16:17], v[1:2], off
	s_waitcnt vmcnt(0)
	ds_store_b64 v13, v[16:17]
	s_branch .LBB364_2
.LBB364_11:
	v_cmp_le_i32_e32 vcc_lo, v7, v0
	v_cmp_gt_i32_e64 s2, s22, v0
	s_delay_alu instid0(VALU_DEP_1) | instskip(NEXT) | instid1(SALU_CYCLE_1)
	s_and_b32 s2, vcc_lo, s2
	s_and_saveexec_b32 s3, s2
	s_cbranch_execz .LBB364_14
; %bb.12:
	s_clause 0x1
	s_load_b32 s2, s[0:1], 0x50
	s_load_b64 s[0:1], s[0:1], 0x58
	v_ashrrev_i32_e32 v1, 31, v0
	s_delay_alu instid0(VALU_DEP_1)
	v_lshlrev_b64 v[4:5], 3, v[0:1]
	s_waitcnt lgkmcnt(0)
	v_mad_i64_i32 v[2:3], null, s2, v7, 0
	s_mul_i32 s1, s15, s1
	s_mul_hi_u32 s2, s15, s0
	s_mul_i32 s0, s15, s0
	s_add_i32 s1, s2, s1
	s_delay_alu instid0(SALU_CYCLE_1) | instskip(NEXT) | instid1(VALU_DEP_1)
	s_lshl_b64 s[0:1], s[0:1], 3
	v_lshlrev_b64 v[2:3], 3, v[2:3]
	s_add_u32 s0, s20, s0
	s_addc_u32 s1, s21, s1
	s_delay_alu instid0(VALU_DEP_1) | instskip(NEXT) | instid1(VALU_DEP_2)
	v_add_co_u32 v1, vcc_lo, s0, v2
	v_add_co_ci_u32_e32 v2, vcc_lo, s1, v3, vcc_lo
	s_delay_alu instid0(VALU_DEP_2) | instskip(NEXT) | instid1(VALU_DEP_2)
	v_add_co_u32 v1, vcc_lo, v1, v4
	v_add_co_ci_u32_e32 v2, vcc_lo, v2, v5, vcc_lo
	v_cmp_eq_u32_e32 vcc_lo, v0, v7
	global_load_b64 v[3:4], v[1:2], off
	s_waitcnt vmcnt(0)
	v_dual_mul_f32 v5, s9, v14 :: v_dual_mul_f32 v8, s7, v4
	v_mul_f32_e32 v4, s6, v4
	s_delay_alu instid0(VALU_DEP_2) | instskip(NEXT) | instid1(VALU_DEP_3)
	v_fma_f32 v5, v15, s8, -v5
	v_fma_f32 v8, v3, s6, -v8
	v_mul_f32_e32 v6, s8, v14
	s_delay_alu instid0(VALU_DEP_2) | instskip(NEXT) | instid1(VALU_DEP_2)
	v_dual_fmac_f32 v4, s7, v3 :: v_dual_add_f32 v3, v5, v8
	v_fmac_f32_e32 v6, s9, v15
	s_delay_alu instid0(VALU_DEP_1)
	v_add_f32_e32 v4, v6, v4
	global_store_b64 v[1:2], v[3:4], off
	s_and_b32 exec_lo, exec_lo, vcc_lo
	s_cbranch_execz .LBB364_14
; %bb.13:
	v_mov_b32_e32 v0, 0
	global_store_b32 v[1:2], v0, off offset:4
.LBB364_14:
	s_nop 0
	s_sendmsg sendmsg(MSG_DEALLOC_VGPRS)
	s_endpgm
	.section	.rodata,"a",@progbits
	.p2align	6, 0x0
	.amdhsa_kernel _ZL32rocblas_syrkx_herkx_small_kernelIi19rocblas_complex_numIfELi16ELb0ELb1ELc84ELc76EKS1_S1_EviT_T0_PT6_S3_lS6_S3_lS4_PT7_S3_li
		.amdhsa_group_segment_fixed_size 4096
		.amdhsa_private_segment_fixed_size 0
		.amdhsa_kernarg_size 100
		.amdhsa_user_sgpr_count 13
		.amdhsa_user_sgpr_dispatch_ptr 0
		.amdhsa_user_sgpr_queue_ptr 0
		.amdhsa_user_sgpr_kernarg_segment_ptr 1
		.amdhsa_user_sgpr_dispatch_id 0
		.amdhsa_user_sgpr_private_segment_size 0
		.amdhsa_wavefront_size32 1
		.amdhsa_uses_dynamic_stack 0
		.amdhsa_enable_private_segment 0
		.amdhsa_system_sgpr_workgroup_id_x 1
		.amdhsa_system_sgpr_workgroup_id_y 1
		.amdhsa_system_sgpr_workgroup_id_z 1
		.amdhsa_system_sgpr_workgroup_info 0
		.amdhsa_system_vgpr_workitem_id 1
		.amdhsa_next_free_vgpr 68
		.amdhsa_next_free_sgpr 24
		.amdhsa_reserve_vcc 1
		.amdhsa_float_round_mode_32 0
		.amdhsa_float_round_mode_16_64 0
		.amdhsa_float_denorm_mode_32 3
		.amdhsa_float_denorm_mode_16_64 3
		.amdhsa_dx10_clamp 1
		.amdhsa_ieee_mode 1
		.amdhsa_fp16_overflow 0
		.amdhsa_workgroup_processor_mode 1
		.amdhsa_memory_ordered 1
		.amdhsa_forward_progress 0
		.amdhsa_shared_vgpr_count 0
		.amdhsa_exception_fp_ieee_invalid_op 0
		.amdhsa_exception_fp_denorm_src 0
		.amdhsa_exception_fp_ieee_div_zero 0
		.amdhsa_exception_fp_ieee_overflow 0
		.amdhsa_exception_fp_ieee_underflow 0
		.amdhsa_exception_fp_ieee_inexact 0
		.amdhsa_exception_int_div_zero 0
	.end_amdhsa_kernel
	.section	.text._ZL32rocblas_syrkx_herkx_small_kernelIi19rocblas_complex_numIfELi16ELb0ELb1ELc84ELc76EKS1_S1_EviT_T0_PT6_S3_lS6_S3_lS4_PT7_S3_li,"axG",@progbits,_ZL32rocblas_syrkx_herkx_small_kernelIi19rocblas_complex_numIfELi16ELb0ELb1ELc84ELc76EKS1_S1_EviT_T0_PT6_S3_lS6_S3_lS4_PT7_S3_li,comdat
.Lfunc_end364:
	.size	_ZL32rocblas_syrkx_herkx_small_kernelIi19rocblas_complex_numIfELi16ELb0ELb1ELc84ELc76EKS1_S1_EviT_T0_PT6_S3_lS6_S3_lS4_PT7_S3_li, .Lfunc_end364-_ZL32rocblas_syrkx_herkx_small_kernelIi19rocblas_complex_numIfELi16ELb0ELb1ELc84ELc76EKS1_S1_EviT_T0_PT6_S3_lS6_S3_lS4_PT7_S3_li
                                        ; -- End function
	.section	.AMDGPU.csdata,"",@progbits
; Kernel info:
; codeLenInByte = 1560
; NumSgprs: 26
; NumVgprs: 68
; ScratchSize: 0
; MemoryBound: 1
; FloatMode: 240
; IeeeMode: 1
; LDSByteSize: 4096 bytes/workgroup (compile time only)
; SGPRBlocks: 3
; VGPRBlocks: 8
; NumSGPRsForWavesPerEU: 26
; NumVGPRsForWavesPerEU: 68
; Occupancy: 16
; WaveLimiterHint : 0
; COMPUTE_PGM_RSRC2:SCRATCH_EN: 0
; COMPUTE_PGM_RSRC2:USER_SGPR: 13
; COMPUTE_PGM_RSRC2:TRAP_HANDLER: 0
; COMPUTE_PGM_RSRC2:TGID_X_EN: 1
; COMPUTE_PGM_RSRC2:TGID_Y_EN: 1
; COMPUTE_PGM_RSRC2:TGID_Z_EN: 1
; COMPUTE_PGM_RSRC2:TIDIG_COMP_CNT: 1
	.section	.text._ZL32rocblas_syrkx_herkx_small_kernelIi19rocblas_complex_numIfELi16ELb0ELb1ELc67ELc76EKS1_S1_EviT_T0_PT6_S3_lS6_S3_lS4_PT7_S3_li,"axG",@progbits,_ZL32rocblas_syrkx_herkx_small_kernelIi19rocblas_complex_numIfELi16ELb0ELb1ELc67ELc76EKS1_S1_EviT_T0_PT6_S3_lS6_S3_lS4_PT7_S3_li,comdat
	.globl	_ZL32rocblas_syrkx_herkx_small_kernelIi19rocblas_complex_numIfELi16ELb0ELb1ELc67ELc76EKS1_S1_EviT_T0_PT6_S3_lS6_S3_lS4_PT7_S3_li ; -- Begin function _ZL32rocblas_syrkx_herkx_small_kernelIi19rocblas_complex_numIfELi16ELb0ELb1ELc67ELc76EKS1_S1_EviT_T0_PT6_S3_lS6_S3_lS4_PT7_S3_li
	.p2align	8
	.type	_ZL32rocblas_syrkx_herkx_small_kernelIi19rocblas_complex_numIfELi16ELb0ELb1ELc67ELc76EKS1_S1_EviT_T0_PT6_S3_lS6_S3_lS4_PT7_S3_li,@function
_ZL32rocblas_syrkx_herkx_small_kernelIi19rocblas_complex_numIfELi16ELb0ELb1ELc67ELc76EKS1_S1_EviT_T0_PT6_S3_lS6_S3_lS4_PT7_S3_li: ; @_ZL32rocblas_syrkx_herkx_small_kernelIi19rocblas_complex_numIfELi16ELb0ELb1ELc67ELc76EKS1_S1_EviT_T0_PT6_S3_lS6_S3_lS4_PT7_S3_li
; %bb.0:
	s_clause 0x3
	s_load_b64 s[22:23], s[0:1], 0x0
	s_load_b128 s[8:11], s[0:1], 0x8
	s_load_b128 s[4:7], s[0:1], 0x38
	s_load_b64 s[20:21], s[0:1], 0x48
	v_dual_mov_b32 v15, 0 :: v_dual_and_b32 v8, 0x3ff, v0
	v_bfe_u32 v9, v0, 10, 10
	v_mov_b32_e32 v16, 0
	s_mov_b32 s12, 0
	s_delay_alu instid0(VALU_DEP_3) | instskip(NEXT) | instid1(VALU_DEP_3)
	v_lshl_add_u32 v0, s13, 4, v8
	v_lshl_add_u32 v7, s14, 4, v9
	s_waitcnt lgkmcnt(0)
	s_delay_alu instid0(VALU_DEP_2)
	v_cmp_gt_i32_e32 vcc_lo, s22, v0
	s_cmp_lt_i32 s23, 1
	s_cbranch_scc1 .LBB365_11
; %bb.1:
	s_clause 0x2
	s_load_b32 s3, s[0:1], 0x18
	s_load_b32 s13, s[0:1], 0x30
	s_load_b128 s[16:19], s[0:1], 0x20
	v_dual_mov_b32 v14, 0 :: v_dual_lshlrev_b32 v3, 7, v9
	v_lshlrev_b32_e32 v10, 3, v8
	s_mul_i32 s5, s5, s15
	s_mul_hi_u32 s14, s4, s15
	s_delay_alu instid0(VALU_DEP_2) | instskip(NEXT) | instid1(VALU_DEP_2)
	v_dual_mov_b32 v15, 0 :: v_dual_add_nc_u32 v12, 0x800, v3
	v_add_nc_u32_e32 v11, v10, v3
	s_mul_i32 s4, s4, s15
	s_add_i32 s5, s14, s5
	v_dual_mov_b32 v16, 0 :: v_dual_lshlrev_b32 v5, 3, v9
	s_lshl_b64 s[4:5], s[4:5], 3
	v_cmp_gt_i32_e64 s2, s22, v7
	s_waitcnt lgkmcnt(0)
	v_mad_i64_i32 v[1:2], null, s3, v0, 0
	v_mad_i64_i32 v[3:4], null, s13, v7, 0
	s_mul_i32 s3, s17, s15
	s_mul_hi_u32 s13, s16, s15
	s_mul_i32 s16, s16, s15
	s_add_i32 s17, s13, s3
	s_delay_alu instid0(VALU_DEP_2) | instskip(SKIP_1) | instid1(VALU_DEP_2)
	v_lshlrev_b64 v[1:2], 3, v[1:2]
	s_lshl_b64 s[16:17], s[16:17], 3
	v_lshlrev_b64 v[3:4], 3, v[3:4]
	s_xor_b32 s2, s2, -1
	s_delay_alu instid0(VALU_DEP_2) | instskip(NEXT) | instid1(VALU_DEP_1)
	v_add_co_u32 v1, s3, v1, s16
	v_add_co_ci_u32_e64 v2, s3, s17, v2, s3
	s_delay_alu instid0(VALU_DEP_3) | instskip(NEXT) | instid1(VALU_DEP_1)
	v_add_co_u32 v3, s3, v3, s4
	v_add_co_ci_u32_e64 v4, s3, s5, v4, s3
	s_delay_alu instid0(VALU_DEP_4) | instskip(NEXT) | instid1(VALU_DEP_1)
	v_add_co_u32 v1, s3, v1, v5
	v_add_co_ci_u32_e64 v2, s3, 0, v2, s3
	s_delay_alu instid0(VALU_DEP_4) | instskip(NEXT) | instid1(VALU_DEP_1)
	v_add_co_u32 v3, s3, v3, v10
	v_add_co_ci_u32_e64 v4, s3, 0, v4, s3
	s_delay_alu instid0(VALU_DEP_4) | instskip(NEXT) | instid1(VALU_DEP_1)
	v_add_co_u32 v5, s3, v1, s10
	v_add_co_ci_u32_e64 v6, s3, s11, v2, s3
	s_delay_alu instid0(VALU_DEP_4) | instskip(NEXT) | instid1(VALU_DEP_1)
	v_add_co_u32 v1, s3, s18, v3
	v_add_co_ci_u32_e64 v2, s3, s19, v4, s3
	s_delay_alu instid0(VALU_DEP_4) | instskip(NEXT) | instid1(VALU_DEP_1)
	v_add_co_u32 v3, s3, v5, 4
	v_add_co_ci_u32_e64 v4, s3, 0, v6, s3
	v_mov_b32_e32 v5, 0
	v_add_nc_u32_e32 v13, v12, v10
	s_xor_b32 s3, vcc_lo, -1
	s_branch .LBB365_3
.LBB365_2:                              ;   in Loop: Header=BB365_3 Depth=1
	s_or_b32 exec_lo, exec_lo, s4
	s_waitcnt lgkmcnt(0)
	s_barrier
	buffer_gl0_inv
	ds_load_2addr_b64 v[17:20], v10 offset1:16
	ds_load_b128 v[21:24], v12
	ds_load_b128 v[25:28], v12 offset:16
	ds_load_2addr_b64 v[29:32], v10 offset0:32 offset1:48
	ds_load_2addr_b64 v[33:36], v10 offset0:64 offset1:80
	ds_load_b128 v[37:40], v12 offset:32
	ds_load_b128 v[41:44], v12 offset:48
	ds_load_2addr_b64 v[45:48], v10 offset0:96 offset1:112
	ds_load_2addr_b64 v[49:52], v10 offset0:128 offset1:144
	;; [unrolled: 1-line block ×3, first 2 shown]
	ds_load_b128 v[57:60], v12 offset:64
	ds_load_b128 v[61:64], v12 offset:80
	v_add_co_u32 v1, vcc_lo, 0x80, v1
	v_add_co_ci_u32_e32 v2, vcc_lo, 0, v2, vcc_lo
	v_add_co_u32 v3, vcc_lo, 0x80, v3
	v_add_co_ci_u32_e32 v4, vcc_lo, 0, v4, vcc_lo
	s_add_i32 s12, s12, 16
	s_waitcnt lgkmcnt(10)
	v_dual_mul_f32 v6, v22, v18 :: v_dual_mul_f32 v65, v24, v20
	s_waitcnt lgkmcnt(8)
	v_dual_mul_f32 v18, v21, v18 :: v_dual_mul_f32 v67, v28, v32
	v_mul_f32_e32 v20, v23, v20
	v_mul_f32_e32 v66, v26, v30
	;; [unrolled: 1-line block ×3, first 2 shown]
	s_delay_alu instid0(VALU_DEP_4)
	v_fmac_f32_e32 v18, v22, v17
	v_fma_f32 v6, v21, v17, -v6
	s_waitcnt lgkmcnt(6)
	v_dual_fmac_f32 v20, v24, v19 :: v_dual_mul_f32 v17, v39, v36
	v_mul_f32_e32 v32, v27, v32
	v_add_f32_e32 v15, v15, v18
	v_mul_f32_e32 v68, v38, v34
	v_fmac_f32_e32 v30, v26, v29
	v_fma_f32 v22, v23, v19, -v65
	v_fmac_f32_e32 v17, v40, v35
	v_dual_add_f32 v15, v15, v20 :: v_dual_fmac_f32 v32, v28, v31
	s_waitcnt lgkmcnt(1)
	v_mul_f32_e32 v23, v57, v50
	v_mul_f32_e32 v19, v41, v46
	v_add_f32_e32 v6, v16, v6
	v_add_f32_e32 v15, v15, v30
	v_mul_f32_e32 v34, v37, v34
	v_fma_f32 v20, v27, v31, -v67
	s_waitcnt lgkmcnt(0)
	v_mul_f32_e32 v31, v61, v54
	v_mul_f32_e32 v21, v40, v36
	v_dual_add_f32 v15, v15, v32 :: v_dual_fmac_f32 v34, v38, v33
	v_fma_f32 v18, v25, v29, -v66
	v_dual_fmac_f32 v19, v42, v45 :: v_dual_mul_f32 v26, v59, v52
	s_delay_alu instid0(VALU_DEP_4) | instskip(NEXT) | instid1(VALU_DEP_4)
	v_fma_f32 v21, v39, v35, -v21
	v_add_f32_e32 v15, v15, v34
	v_mul_f32_e32 v16, v42, v46
	s_cmp_ge_i32 s12, s23
	v_dual_fmac_f32 v26, v60, v51 :: v_dual_fmac_f32 v23, v58, v49
	s_delay_alu instid0(VALU_DEP_3) | instskip(SKIP_3) | instid1(VALU_DEP_4)
	v_dual_add_f32 v15, v15, v17 :: v_dual_add_f32 v6, v6, v22
	v_mul_f32_e32 v25, v60, v52
	v_fma_f32 v22, v37, v33, -v68
	v_fma_f32 v16, v41, v45, -v16
	v_dual_add_f32 v19, v15, v19 :: v_dual_add_f32 v6, v6, v18
	v_dual_mul_f32 v18, v44, v48 :: v_dual_fmac_f32 v31, v62, v53
	v_mul_f32_e32 v35, v63, v56
	s_delay_alu instid0(VALU_DEP_3) | instskip(NEXT) | instid1(VALU_DEP_2)
	v_add_f32_e32 v6, v6, v20
	v_dual_mul_f32 v20, v43, v48 :: v_dual_fmac_f32 v35, v64, v55
	s_delay_alu instid0(VALU_DEP_1) | instskip(NEXT) | instid1(VALU_DEP_1)
	v_fmac_f32_e32 v20, v44, v47
	v_add_f32_e32 v24, v19, v20
	s_delay_alu instid0(VALU_DEP_1) | instskip(SKIP_2) | instid1(VALU_DEP_3)
	v_dual_add_f32 v23, v24, v23 :: v_dual_add_f32 v6, v6, v22
	v_fma_f32 v24, v59, v51, -v25
	v_mul_f32_e32 v25, v62, v54
	v_add_f32_e32 v32, v23, v26
	s_delay_alu instid0(VALU_DEP_4) | instskip(SKIP_3) | instid1(VALU_DEP_4)
	v_add_f32_e32 v6, v6, v21
	v_mul_f32_e32 v22, v58, v50
	v_fma_f32 v21, v43, v47, -v18
	v_fma_f32 v33, v61, v53, -v25
	v_dual_add_f32 v31, v32, v31 :: v_dual_add_f32 v6, v6, v16
	ds_load_2addr_b64 v[15:18], v10 offset0:192 offset1:208
	v_fma_f32 v22, v57, v49, -v22
	v_dual_add_f32 v31, v31, v35 :: v_dual_add_f32 v6, v6, v21
	s_delay_alu instid0(VALU_DEP_1)
	v_add_f32_e32 v6, v6, v22
	ds_load_b128 v[19:22], v12 offset:96
	v_add_f32_e32 v6, v6, v24
	ds_load_2addr_b64 v[23:26], v10 offset0:224 offset1:240
	ds_load_b128 v[27:30], v12 offset:112
	v_mul_f32_e32 v34, v64, v56
	s_waitcnt lgkmcnt(0)
	s_barrier
	v_add_f32_e32 v6, v6, v33
	buffer_gl0_inv
	v_fma_f32 v32, v63, v55, -v34
	s_delay_alu instid0(VALU_DEP_1) | instskip(SKIP_2) | instid1(VALU_DEP_2)
	v_add_f32_e32 v6, v6, v32
	v_mul_f32_e32 v33, v20, v16
	v_mul_f32_e32 v16, v19, v16
	v_fma_f32 v19, v19, v15, -v33
	s_delay_alu instid0(VALU_DEP_2) | instskip(SKIP_1) | instid1(VALU_DEP_3)
	v_dual_fmac_f32 v16, v20, v15 :: v_dual_mul_f32 v15, v22, v18
	v_mul_f32_e32 v18, v21, v18
	v_add_f32_e32 v6, v6, v19
	s_delay_alu instid0(VALU_DEP_3) | instskip(NEXT) | instid1(VALU_DEP_4)
	v_add_f32_e32 v16, v31, v16
	v_fma_f32 v15, v21, v17, -v15
	s_delay_alu instid0(VALU_DEP_4) | instskip(NEXT) | instid1(VALU_DEP_2)
	v_dual_fmac_f32 v18, v22, v17 :: v_dual_mul_f32 v17, v28, v24
	v_dual_mul_f32 v19, v27, v24 :: v_dual_add_f32 v6, v6, v15
	s_delay_alu instid0(VALU_DEP_2) | instskip(NEXT) | instid1(VALU_DEP_3)
	v_add_f32_e32 v15, v16, v18
	v_fma_f32 v16, v27, v23, -v17
	s_delay_alu instid0(VALU_DEP_3) | instskip(SKIP_2) | instid1(VALU_DEP_3)
	v_fmac_f32_e32 v19, v28, v23
	v_mul_f32_e32 v17, v30, v26
	v_mul_f32_e32 v18, v29, v26
	v_dual_add_f32 v6, v6, v16 :: v_dual_add_f32 v15, v15, v19
	s_delay_alu instid0(VALU_DEP_3) | instskip(NEXT) | instid1(VALU_DEP_3)
	v_fma_f32 v16, v29, v25, -v17
	v_fmac_f32_e32 v18, v30, v25
	s_delay_alu instid0(VALU_DEP_1)
	v_dual_add_f32 v16, v6, v16 :: v_dual_add_f32 v15, v15, v18
	s_cbranch_scc1 .LBB365_11
.LBB365_3:                              ; =>This Inner Loop Header: Depth=1
	v_add_nc_u32_e32 v6, s12, v9
                                        ; implicit-def: $sgpr5
	s_delay_alu instid0(VALU_DEP_1) | instskip(SKIP_1) | instid1(SALU_CYCLE_1)
	v_cmp_le_i32_e32 vcc_lo, s23, v6
	s_or_b32 s4, s3, vcc_lo
	s_and_saveexec_b32 s10, s4
	s_delay_alu instid0(SALU_CYCLE_1)
	s_xor_b32 s4, exec_lo, s10
	s_cbranch_execz .LBB365_5
; %bb.4:                                ;   in Loop: Header=BB365_3 Depth=1
	s_mov_b32 s5, 0
	ds_store_b32 v11, v14
.LBB365_5:                              ;   in Loop: Header=BB365_3 Depth=1
	s_or_saveexec_b32 s4, s4
	v_mov_b32_e32 v6, s5
	s_xor_b32 exec_lo, exec_lo, s4
	s_cbranch_execz .LBB365_7
; %bb.6:                                ;   in Loop: Header=BB365_3 Depth=1
	global_load_b64 v[17:18], v[3:4], off offset:-4
	s_waitcnt vmcnt(0)
	v_xor_b32_e32 v6, 0x80000000, v18
	ds_store_b32 v11, v17
.LBB365_7:                              ;   in Loop: Header=BB365_3 Depth=1
	s_or_b32 exec_lo, exec_lo, s4
	v_add_nc_u32_e32 v17, s12, v8
	ds_store_b32 v11, v6 offset:4
	v_cmp_le_i32_e32 vcc_lo, s23, v17
	s_or_b32 s4, s2, vcc_lo
	s_delay_alu instid0(SALU_CYCLE_1) | instskip(NEXT) | instid1(SALU_CYCLE_1)
	s_and_saveexec_b32 s5, s4
	s_xor_b32 s4, exec_lo, s5
	s_cbranch_execz .LBB365_9
; %bb.8:                                ;   in Loop: Header=BB365_3 Depth=1
	v_mov_b32_e32 v6, v5
	ds_store_b64 v13, v[5:6]
.LBB365_9:                              ;   in Loop: Header=BB365_3 Depth=1
	s_and_not1_saveexec_b32 s4, s4
	s_cbranch_execz .LBB365_2
; %bb.10:                               ;   in Loop: Header=BB365_3 Depth=1
	global_load_b64 v[17:18], v[1:2], off
	s_waitcnt vmcnt(0)
	ds_store_b64 v13, v[17:18]
	s_branch .LBB365_2
.LBB365_11:
	v_cmp_le_i32_e32 vcc_lo, v7, v0
	v_cmp_gt_i32_e64 s2, s22, v0
	s_delay_alu instid0(VALU_DEP_1) | instskip(NEXT) | instid1(SALU_CYCLE_1)
	s_and_b32 s2, vcc_lo, s2
	s_and_saveexec_b32 s3, s2
	s_cbranch_execz .LBB365_14
; %bb.12:
	s_clause 0x1
	s_load_b32 s2, s[0:1], 0x50
	s_load_b64 s[0:1], s[0:1], 0x58
	v_ashrrev_i32_e32 v1, 31, v0
	s_delay_alu instid0(VALU_DEP_1)
	v_lshlrev_b64 v[4:5], 3, v[0:1]
	s_waitcnt lgkmcnt(0)
	v_mad_i64_i32 v[2:3], null, s2, v7, 0
	s_mul_i32 s1, s15, s1
	s_mul_hi_u32 s2, s15, s0
	s_mul_i32 s0, s15, s0
	s_add_i32 s1, s2, s1
	s_delay_alu instid0(SALU_CYCLE_1) | instskip(NEXT) | instid1(VALU_DEP_1)
	s_lshl_b64 s[0:1], s[0:1], 3
	v_lshlrev_b64 v[2:3], 3, v[2:3]
	s_add_u32 s0, s20, s0
	s_addc_u32 s1, s21, s1
	s_delay_alu instid0(VALU_DEP_1) | instskip(NEXT) | instid1(VALU_DEP_2)
	v_add_co_u32 v1, vcc_lo, s0, v2
	v_add_co_ci_u32_e32 v2, vcc_lo, s1, v3, vcc_lo
	s_delay_alu instid0(VALU_DEP_2) | instskip(NEXT) | instid1(VALU_DEP_2)
	v_add_co_u32 v1, vcc_lo, v1, v4
	v_add_co_ci_u32_e32 v2, vcc_lo, v2, v5, vcc_lo
	v_cmp_eq_u32_e32 vcc_lo, v0, v7
	global_load_b64 v[3:4], v[1:2], off
	s_waitcnt vmcnt(0)
	v_dual_mul_f32 v5, s9, v15 :: v_dual_mul_f32 v8, s7, v4
	v_mul_f32_e32 v4, s6, v4
	s_delay_alu instid0(VALU_DEP_2) | instskip(NEXT) | instid1(VALU_DEP_3)
	v_fma_f32 v5, v16, s8, -v5
	v_fma_f32 v8, v3, s6, -v8
	v_mul_f32_e32 v6, s8, v15
	s_delay_alu instid0(VALU_DEP_2) | instskip(NEXT) | instid1(VALU_DEP_2)
	v_dual_fmac_f32 v4, s7, v3 :: v_dual_add_f32 v3, v5, v8
	v_fmac_f32_e32 v6, s9, v16
	s_delay_alu instid0(VALU_DEP_1)
	v_add_f32_e32 v4, v6, v4
	global_store_b64 v[1:2], v[3:4], off
	s_and_b32 exec_lo, exec_lo, vcc_lo
	s_cbranch_execz .LBB365_14
; %bb.13:
	v_mov_b32_e32 v0, 0
	global_store_b32 v[1:2], v0, off offset:4
.LBB365_14:
	s_nop 0
	s_sendmsg sendmsg(MSG_DEALLOC_VGPRS)
	s_endpgm
	.section	.rodata,"a",@progbits
	.p2align	6, 0x0
	.amdhsa_kernel _ZL32rocblas_syrkx_herkx_small_kernelIi19rocblas_complex_numIfELi16ELb0ELb1ELc67ELc76EKS1_S1_EviT_T0_PT6_S3_lS6_S3_lS4_PT7_S3_li
		.amdhsa_group_segment_fixed_size 4096
		.amdhsa_private_segment_fixed_size 0
		.amdhsa_kernarg_size 100
		.amdhsa_user_sgpr_count 13
		.amdhsa_user_sgpr_dispatch_ptr 0
		.amdhsa_user_sgpr_queue_ptr 0
		.amdhsa_user_sgpr_kernarg_segment_ptr 1
		.amdhsa_user_sgpr_dispatch_id 0
		.amdhsa_user_sgpr_private_segment_size 0
		.amdhsa_wavefront_size32 1
		.amdhsa_uses_dynamic_stack 0
		.amdhsa_enable_private_segment 0
		.amdhsa_system_sgpr_workgroup_id_x 1
		.amdhsa_system_sgpr_workgroup_id_y 1
		.amdhsa_system_sgpr_workgroup_id_z 1
		.amdhsa_system_sgpr_workgroup_info 0
		.amdhsa_system_vgpr_workitem_id 1
		.amdhsa_next_free_vgpr 69
		.amdhsa_next_free_sgpr 24
		.amdhsa_reserve_vcc 1
		.amdhsa_float_round_mode_32 0
		.amdhsa_float_round_mode_16_64 0
		.amdhsa_float_denorm_mode_32 3
		.amdhsa_float_denorm_mode_16_64 3
		.amdhsa_dx10_clamp 1
		.amdhsa_ieee_mode 1
		.amdhsa_fp16_overflow 0
		.amdhsa_workgroup_processor_mode 1
		.amdhsa_memory_ordered 1
		.amdhsa_forward_progress 0
		.amdhsa_shared_vgpr_count 0
		.amdhsa_exception_fp_ieee_invalid_op 0
		.amdhsa_exception_fp_denorm_src 0
		.amdhsa_exception_fp_ieee_div_zero 0
		.amdhsa_exception_fp_ieee_overflow 0
		.amdhsa_exception_fp_ieee_underflow 0
		.amdhsa_exception_fp_ieee_inexact 0
		.amdhsa_exception_int_div_zero 0
	.end_amdhsa_kernel
	.section	.text._ZL32rocblas_syrkx_herkx_small_kernelIi19rocblas_complex_numIfELi16ELb0ELb1ELc67ELc76EKS1_S1_EviT_T0_PT6_S3_lS6_S3_lS4_PT7_S3_li,"axG",@progbits,_ZL32rocblas_syrkx_herkx_small_kernelIi19rocblas_complex_numIfELi16ELb0ELb1ELc67ELc76EKS1_S1_EviT_T0_PT6_S3_lS6_S3_lS4_PT7_S3_li,comdat
.Lfunc_end365:
	.size	_ZL32rocblas_syrkx_herkx_small_kernelIi19rocblas_complex_numIfELi16ELb0ELb1ELc67ELc76EKS1_S1_EviT_T0_PT6_S3_lS6_S3_lS4_PT7_S3_li, .Lfunc_end365-_ZL32rocblas_syrkx_herkx_small_kernelIi19rocblas_complex_numIfELi16ELb0ELb1ELc67ELc76EKS1_S1_EviT_T0_PT6_S3_lS6_S3_lS4_PT7_S3_li
                                        ; -- End function
	.section	.AMDGPU.csdata,"",@progbits
; Kernel info:
; codeLenInByte = 1596
; NumSgprs: 26
; NumVgprs: 69
; ScratchSize: 0
; MemoryBound: 1
; FloatMode: 240
; IeeeMode: 1
; LDSByteSize: 4096 bytes/workgroup (compile time only)
; SGPRBlocks: 3
; VGPRBlocks: 8
; NumSGPRsForWavesPerEU: 26
; NumVGPRsForWavesPerEU: 69
; Occupancy: 16
; WaveLimiterHint : 0
; COMPUTE_PGM_RSRC2:SCRATCH_EN: 0
; COMPUTE_PGM_RSRC2:USER_SGPR: 13
; COMPUTE_PGM_RSRC2:TRAP_HANDLER: 0
; COMPUTE_PGM_RSRC2:TGID_X_EN: 1
; COMPUTE_PGM_RSRC2:TGID_Y_EN: 1
; COMPUTE_PGM_RSRC2:TGID_Z_EN: 1
; COMPUTE_PGM_RSRC2:TIDIG_COMP_CNT: 1
	.section	.text._ZL32rocblas_syrkx_herkx_small_kernelIi19rocblas_complex_numIfELi16ELb0ELb1ELc78ELc76EKS1_S1_EviT_T0_PT6_S3_lS6_S3_lS4_PT7_S3_li,"axG",@progbits,_ZL32rocblas_syrkx_herkx_small_kernelIi19rocblas_complex_numIfELi16ELb0ELb1ELc78ELc76EKS1_S1_EviT_T0_PT6_S3_lS6_S3_lS4_PT7_S3_li,comdat
	.globl	_ZL32rocblas_syrkx_herkx_small_kernelIi19rocblas_complex_numIfELi16ELb0ELb1ELc78ELc76EKS1_S1_EviT_T0_PT6_S3_lS6_S3_lS4_PT7_S3_li ; -- Begin function _ZL32rocblas_syrkx_herkx_small_kernelIi19rocblas_complex_numIfELi16ELb0ELb1ELc78ELc76EKS1_S1_EviT_T0_PT6_S3_lS6_S3_lS4_PT7_S3_li
	.p2align	8
	.type	_ZL32rocblas_syrkx_herkx_small_kernelIi19rocblas_complex_numIfELi16ELb0ELb1ELc78ELc76EKS1_S1_EviT_T0_PT6_S3_lS6_S3_lS4_PT7_S3_li,@function
_ZL32rocblas_syrkx_herkx_small_kernelIi19rocblas_complex_numIfELi16ELb0ELb1ELc78ELc76EKS1_S1_EviT_T0_PT6_S3_lS6_S3_lS4_PT7_S3_li: ; @_ZL32rocblas_syrkx_herkx_small_kernelIi19rocblas_complex_numIfELi16ELb0ELb1ELc78ELc76EKS1_S1_EviT_T0_PT6_S3_lS6_S3_lS4_PT7_S3_li
; %bb.0:
	s_clause 0x3
	s_load_b64 s[22:23], s[0:1], 0x0
	s_load_b128 s[8:11], s[0:1], 0x8
	s_load_b128 s[4:7], s[0:1], 0x38
	s_load_b64 s[20:21], s[0:1], 0x48
	v_dual_mov_b32 v16, 0 :: v_dual_and_b32 v9, 0x3ff, v0
	v_bfe_u32 v10, v0, 10, 10
	v_mov_b32_e32 v17, 0
	s_mov_b32 s12, 0
	s_delay_alu instid0(VALU_DEP_3) | instskip(NEXT) | instid1(VALU_DEP_3)
	v_lshl_add_u32 v0, s13, 4, v9
	v_lshl_add_u32 v2, s14, 4, v10
	s_delay_alu instid0(VALU_DEP_2)
	v_ashrrev_i32_e32 v1, 31, v0
	s_waitcnt lgkmcnt(0)
	v_cmp_gt_i32_e32 vcc_lo, s22, v0
	s_cmp_lt_i32 s23, 1
	s_cbranch_scc1 .LBB366_11
; %bb.1:
	s_clause 0x2
	s_load_b32 s24, s[0:1], 0x30
	s_load_b32 s26, s[0:1], 0x18
	s_load_b128 s[16:19], s[0:1], 0x20
	v_lshlrev_b32_e32 v4, 7, v10
	v_lshlrev_b32_e32 v11, 3, v9
	v_ashrrev_i32_e32 v3, 31, v2
	s_mul_i32 s3, s5, s15
	s_mul_hi_u32 s5, s4, s15
	s_mul_i32 s4, s4, s15
	s_add_i32 s5, s5, s3
	v_add_nc_u32_e32 v12, 0x800, v4
	s_lshl_b64 s[4:5], s[4:5], 3
	v_add_nc_u32_e32 v13, v11, v4
	v_lshlrev_b64 v[3:4], 3, v[2:3]
	v_lshlrev_b64 v[5:6], 3, v[0:1]
	v_cmp_gt_i32_e64 s2, s22, v2
	v_mov_b32_e32 v17, 0
	s_waitcnt lgkmcnt(0)
	v_mad_i64_i32 v[7:8], null, s24, v9, 0
	s_mul_i32 s3, s17, s15
	s_mul_hi_u32 s13, s16, s15
	v_mad_i64_i32 v[15:16], null, s26, v10, 0
	s_add_i32 s17, s13, s3
	s_mul_i32 s16, s16, s15
	s_delay_alu instid0(VALU_DEP_2) | instskip(SKIP_3) | instid1(VALU_DEP_1)
	v_lshlrev_b64 v[7:8], 3, v[7:8]
	s_ashr_i32 s27, s26, 31
	s_ashr_i32 s25, s24, 31
	s_xor_b32 s2, s2, -1
	v_add_co_u32 v7, s3, s4, v7
	s_delay_alu instid0(VALU_DEP_1) | instskip(SKIP_1) | instid1(VALU_DEP_2)
	v_add_co_ci_u32_e64 v8, s3, s5, v8, s3
	s_lshl_b64 s[4:5], s[16:17], 3
	v_add_co_u32 v7, s3, v7, v3
	s_delay_alu instid0(VALU_DEP_1) | instskip(SKIP_1) | instid1(VALU_DEP_3)
	v_add_co_ci_u32_e64 v8, s3, v8, v4, s3
	v_lshlrev_b64 v[3:4], 3, v[15:16]
	v_add_co_u32 v7, s3, v7, s18
	s_delay_alu instid0(VALU_DEP_1) | instskip(NEXT) | instid1(VALU_DEP_3)
	v_add_co_ci_u32_e64 v8, s3, s19, v8, s3
	v_add_co_u32 v15, s3, s4, v3
	s_delay_alu instid0(VALU_DEP_1) | instskip(NEXT) | instid1(VALU_DEP_4)
	v_add_co_ci_u32_e64 v16, s3, s5, v4, s3
	v_add_co_u32 v3, s3, v7, 4
	s_delay_alu instid0(VALU_DEP_1) | instskip(NEXT) | instid1(VALU_DEP_4)
	v_add_co_ci_u32_e64 v4, s3, 0, v8, s3
	v_add_co_u32 v5, s3, v15, v5
	v_mov_b32_e32 v15, 0
	v_add_co_ci_u32_e64 v6, s3, v16, v6, s3
	s_delay_alu instid0(VALU_DEP_3) | instskip(SKIP_1) | instid1(VALU_DEP_3)
	v_add_co_u32 v5, s3, s10, v5
	v_mov_b32_e32 v7, 0
	v_add_co_ci_u32_e64 v6, s3, s11, v6, s3
	v_mov_b32_e32 v16, 0
	v_add_nc_u32_e32 v14, v12, v11
	s_lshl_b64 s[4:5], s[24:25], 7
	s_lshl_b64 s[10:11], s[26:27], 7
	s_xor_b32 s3, vcc_lo, -1
	s_branch .LBB366_3
.LBB366_2:                              ;   in Loop: Header=BB366_3 Depth=1
	s_or_b32 exec_lo, exec_lo, s13
	ds_store_b32 v14, v8 offset:4
	s_waitcnt lgkmcnt(0)
	s_barrier
	buffer_gl0_inv
	ds_load_2addr_b64 v[18:21], v11 offset1:16
	ds_load_b128 v[22:25], v12
	ds_load_b128 v[26:29], v12 offset:16
	ds_load_2addr_b64 v[30:33], v11 offset0:32 offset1:48
	ds_load_2addr_b64 v[34:37], v11 offset0:64 offset1:80
	ds_load_b128 v[38:41], v12 offset:32
	ds_load_b128 v[42:45], v12 offset:48
	ds_load_2addr_b64 v[46:49], v11 offset0:96 offset1:112
	ds_load_2addr_b64 v[50:53], v11 offset0:128 offset1:144
	;; [unrolled: 1-line block ×3, first 2 shown]
	ds_load_b128 v[58:61], v12 offset:64
	ds_load_b128 v[62:65], v12 offset:80
	v_add_co_u32 v3, vcc_lo, v3, s4
	v_add_co_ci_u32_e32 v4, vcc_lo, s5, v4, vcc_lo
	v_add_co_u32 v5, vcc_lo, v5, s10
	v_add_co_ci_u32_e32 v6, vcc_lo, s11, v6, vcc_lo
	s_add_i32 s12, s12, 16
	s_waitcnt lgkmcnt(10)
	v_mul_f32_e32 v8, v23, v19
	v_dual_mul_f32 v19, v22, v19 :: v_dual_mul_f32 v66, v25, v21
	v_mul_f32_e32 v21, v24, v21
	s_waitcnt lgkmcnt(8)
	v_dual_mul_f32 v67, v27, v31 :: v_dual_mul_f32 v68, v29, v33
	v_fma_f32 v8, v22, v18, -v8
	v_mul_f32_e32 v31, v26, v31
	v_fmac_f32_e32 v21, v25, v20
	v_fmac_f32_e32 v19, v23, v18
	v_fma_f32 v18, v24, v20, -v66
	v_dual_add_f32 v8, v17, v8 :: v_dual_mul_f32 v33, v28, v33
	s_waitcnt lgkmcnt(6)
	v_mul_f32_e32 v22, v38, v35
	v_mul_f32_e32 v69, v39, v35
	v_dual_mul_f32 v35, v41, v37 :: v_dual_add_f32 v16, v16, v19
	v_fma_f32 v19, v26, v30, -v67
	v_add_f32_e32 v8, v8, v18
	v_fma_f32 v20, v28, v32, -v68
	s_waitcnt lgkmcnt(4)
	v_dual_mul_f32 v17, v40, v37 :: v_dual_mul_f32 v18, v43, v47
	v_fmac_f32_e32 v22, v39, v34
	v_dual_add_f32 v8, v8, v19 :: v_dual_fmac_f32 v31, v27, v30
	v_add_f32_e32 v16, v16, v21
	v_fma_f32 v21, v38, v34, -v69
	s_delay_alu instid0(VALU_DEP_3) | instskip(SKIP_1) | instid1(VALU_DEP_4)
	v_dual_mul_f32 v19, v42, v47 :: v_dual_add_f32 v8, v8, v20
	v_mul_f32_e32 v20, v45, v49
	v_dual_fmac_f32 v33, v29, v32 :: v_dual_add_f32 v16, v16, v31
	v_fma_f32 v23, v40, v36, -v35
	s_delay_alu instid0(VALU_DEP_4) | instskip(SKIP_1) | instid1(VALU_DEP_4)
	v_dual_add_f32 v8, v8, v21 :: v_dual_fmac_f32 v19, v43, v46
	v_mul_f32_e32 v21, v44, v49
	v_dual_add_f32 v16, v16, v33 :: v_dual_fmac_f32 v17, v41, v36
	v_fma_f32 v18, v42, v46, -v18
	s_waitcnt lgkmcnt(1)
	v_dual_add_f32 v8, v8, v23 :: v_dual_mul_f32 v25, v61, v53
	s_delay_alu instid0(VALU_DEP_3) | instskip(SKIP_2) | instid1(VALU_DEP_3)
	v_dual_add_f32 v16, v16, v22 :: v_dual_fmac_f32 v21, v45, v48
	v_dual_mul_f32 v22, v59, v51 :: v_dual_mul_f32 v27, v60, v53
	s_waitcnt lgkmcnt(0)
	v_dual_add_f32 v8, v8, v18 :: v_dual_mul_f32 v35, v65, v57
	s_delay_alu instid0(VALU_DEP_3)
	v_add_f32_e32 v16, v16, v17
	v_fma_f32 v17, v44, v48, -v20
	v_fmac_f32_e32 v27, v61, v52
	v_fma_f32 v18, v58, v50, -v22
	v_fma_f32 v25, v60, v52, -v25
	v_add_f32_e32 v16, v16, v19
	v_add_f32_e32 v8, v8, v17
	v_mul_f32_e32 v36, v64, v57
	s_cmp_ge_i32 s12, s23
	s_delay_alu instid0(VALU_DEP_3) | instskip(NEXT) | instid1(VALU_DEP_3)
	v_add_f32_e32 v26, v16, v21
	v_add_f32_e32 v8, v8, v18
	ds_load_2addr_b64 v[16:19], v11 offset0:192 offset1:208
	ds_load_b128 v[20:23], v12 offset:96
	v_mul_f32_e32 v24, v58, v51
	v_fmac_f32_e32 v36, v65, v56
	v_add_f32_e32 v8, v8, v25
	s_delay_alu instid0(VALU_DEP_3) | instskip(NEXT) | instid1(VALU_DEP_1)
	v_fmac_f32_e32 v24, v59, v50
	v_add_f32_e32 v24, v26, v24
	v_mul_f32_e32 v26, v63, v55
	s_delay_alu instid0(VALU_DEP_2) | instskip(NEXT) | instid1(VALU_DEP_2)
	v_add_f32_e32 v33, v24, v27
	v_fma_f32 v34, v62, v54, -v26
	ds_load_2addr_b64 v[24:27], v11 offset0:224 offset1:240
	ds_load_b128 v[28:31], v12 offset:112
	v_mul_f32_e32 v32, v62, v55
	s_waitcnt lgkmcnt(0)
	s_barrier
	v_add_f32_e32 v8, v8, v34
	v_mul_f32_e32 v34, v21, v17
	v_dual_fmac_f32 v32, v63, v54 :: v_dual_mul_f32 v17, v20, v17
	buffer_gl0_inv
	v_fma_f32 v20, v20, v16, -v34
	v_add_f32_e32 v32, v33, v32
	v_fma_f32 v33, v64, v56, -v35
	v_dual_fmac_f32 v17, v21, v16 :: v_dual_mul_f32 v16, v23, v19
	s_delay_alu instid0(VALU_DEP_3) | instskip(NEXT) | instid1(VALU_DEP_3)
	v_dual_mul_f32 v19, v22, v19 :: v_dual_add_f32 v32, v32, v36
	v_add_f32_e32 v8, v8, v33
	s_delay_alu instid0(VALU_DEP_3) | instskip(NEXT) | instid1(VALU_DEP_3)
	v_fma_f32 v16, v22, v18, -v16
	v_fmac_f32_e32 v19, v23, v18
	s_delay_alu instid0(VALU_DEP_4) | instskip(NEXT) | instid1(VALU_DEP_4)
	v_add_f32_e32 v17, v32, v17
	v_add_f32_e32 v8, v8, v20
	v_mul_f32_e32 v18, v29, v25
	v_mul_f32_e32 v20, v28, v25
	s_delay_alu instid0(VALU_DEP_3) | instskip(SKIP_1) | instid1(VALU_DEP_4)
	v_add_f32_e32 v8, v8, v16
	v_add_f32_e32 v16, v17, v19
	v_fma_f32 v17, v28, v24, -v18
	s_delay_alu instid0(VALU_DEP_4) | instskip(SKIP_1) | instid1(VALU_DEP_3)
	v_fmac_f32_e32 v20, v29, v24
	v_mul_f32_e32 v18, v31, v27
	v_dual_mul_f32 v19, v30, v27 :: v_dual_add_f32 v8, v8, v17
	s_delay_alu instid0(VALU_DEP_3) | instskip(NEXT) | instid1(VALU_DEP_3)
	v_add_f32_e32 v16, v16, v20
	v_fma_f32 v17, v30, v26, -v18
	s_delay_alu instid0(VALU_DEP_3) | instskip(NEXT) | instid1(VALU_DEP_2)
	v_fmac_f32_e32 v19, v31, v26
	v_add_f32_e32 v17, v8, v17
	s_delay_alu instid0(VALU_DEP_2)
	v_add_f32_e32 v16, v16, v19
	s_cbranch_scc1 .LBB366_11
.LBB366_3:                              ; =>This Inner Loop Header: Depth=1
	v_add_nc_u32_e32 v8, s12, v10
	s_delay_alu instid0(VALU_DEP_1) | instskip(SKIP_1) | instid1(SALU_CYCLE_1)
	v_cmp_le_i32_e32 vcc_lo, s23, v8
	s_or_b32 s13, s3, vcc_lo
	s_and_saveexec_b32 s14, s13
	s_delay_alu instid0(SALU_CYCLE_1)
	s_xor_b32 s13, exec_lo, s14
	s_cbranch_execz .LBB366_5
; %bb.4:                                ;   in Loop: Header=BB366_3 Depth=1
	v_mov_b32_e32 v8, v7
	ds_store_b64 v13, v[7:8]
.LBB366_5:                              ;   in Loop: Header=BB366_3 Depth=1
	s_and_not1_saveexec_b32 s13, s13
	s_cbranch_execz .LBB366_7
; %bb.6:                                ;   in Loop: Header=BB366_3 Depth=1
	global_load_b64 v[18:19], v[5:6], off
	s_waitcnt vmcnt(0)
	ds_store_b64 v13, v[18:19]
.LBB366_7:                              ;   in Loop: Header=BB366_3 Depth=1
	s_or_b32 exec_lo, exec_lo, s13
	v_add_nc_u32_e32 v8, s12, v9
                                        ; implicit-def: $sgpr14
	s_delay_alu instid0(VALU_DEP_1) | instskip(SKIP_1) | instid1(SALU_CYCLE_1)
	v_cmp_le_i32_e32 vcc_lo, s23, v8
	s_or_b32 s13, s2, vcc_lo
	s_and_saveexec_b32 s16, s13
	s_delay_alu instid0(SALU_CYCLE_1)
	s_xor_b32 s13, exec_lo, s16
	s_cbranch_execz .LBB366_9
; %bb.8:                                ;   in Loop: Header=BB366_3 Depth=1
	s_mov_b32 s14, 0
	ds_store_b32 v14, v15
.LBB366_9:                              ;   in Loop: Header=BB366_3 Depth=1
	s_or_saveexec_b32 s13, s13
	v_mov_b32_e32 v8, s14
	s_xor_b32 exec_lo, exec_lo, s13
	s_cbranch_execz .LBB366_2
; %bb.10:                               ;   in Loop: Header=BB366_3 Depth=1
	global_load_b64 v[18:19], v[3:4], off offset:-4
	s_waitcnt vmcnt(0)
	v_xor_b32_e32 v8, 0x80000000, v19
	ds_store_b32 v14, v18
	s_branch .LBB366_2
.LBB366_11:
	v_cmp_le_i32_e32 vcc_lo, v2, v0
	v_cmp_gt_i32_e64 s2, s22, v0
	s_delay_alu instid0(VALU_DEP_1) | instskip(NEXT) | instid1(SALU_CYCLE_1)
	s_and_b32 s2, vcc_lo, s2
	s_and_saveexec_b32 s3, s2
	s_cbranch_execz .LBB366_14
; %bb.12:
	s_clause 0x1
	s_load_b32 s2, s[0:1], 0x50
	s_load_b64 s[0:1], s[0:1], 0x58
	v_lshlrev_b64 v[5:6], 3, v[0:1]
	s_waitcnt lgkmcnt(0)
	v_mad_i64_i32 v[3:4], null, s2, v2, 0
	s_mul_i32 s1, s15, s1
	s_mul_hi_u32 s2, s15, s0
	s_mul_i32 s0, s15, s0
	s_add_i32 s1, s2, s1
	s_delay_alu instid0(SALU_CYCLE_1) | instskip(NEXT) | instid1(VALU_DEP_1)
	s_lshl_b64 s[0:1], s[0:1], 3
	v_lshlrev_b64 v[3:4], 3, v[3:4]
	s_add_u32 s0, s20, s0
	s_addc_u32 s1, s21, s1
	s_delay_alu instid0(VALU_DEP_1) | instskip(NEXT) | instid1(VALU_DEP_2)
	v_add_co_u32 v1, vcc_lo, s0, v3
	v_add_co_ci_u32_e32 v4, vcc_lo, s1, v4, vcc_lo
	s_delay_alu instid0(VALU_DEP_2) | instskip(NEXT) | instid1(VALU_DEP_2)
	v_add_co_u32 v3, vcc_lo, v1, v5
	v_add_co_ci_u32_e32 v4, vcc_lo, v4, v6, vcc_lo
	v_cmp_eq_u32_e32 vcc_lo, v0, v2
	global_load_b64 v[5:6], v[3:4], off
	v_mul_f32_e32 v1, s9, v16
	s_waitcnt vmcnt(0)
	v_dual_mul_f32 v7, s8, v16 :: v_dual_mul_f32 v8, s7, v6
	v_mul_f32_e32 v6, s6, v6
	s_delay_alu instid0(VALU_DEP_3) | instskip(NEXT) | instid1(VALU_DEP_3)
	v_fma_f32 v1, v17, s8, -v1
	v_fmac_f32_e32 v7, s9, v17
	s_delay_alu instid0(VALU_DEP_4) | instskip(NEXT) | instid1(VALU_DEP_1)
	v_fma_f32 v8, v5, s6, -v8
	v_dual_fmac_f32 v6, s7, v5 :: v_dual_add_f32 v5, v1, v8
	s_delay_alu instid0(VALU_DEP_1)
	v_add_f32_e32 v6, v7, v6
	global_store_b64 v[3:4], v[5:6], off
	s_and_b32 exec_lo, exec_lo, vcc_lo
	s_cbranch_execz .LBB366_14
; %bb.13:
	v_mov_b32_e32 v0, 0
	global_store_b32 v[3:4], v0, off offset:4
.LBB366_14:
	s_nop 0
	s_sendmsg sendmsg(MSG_DEALLOC_VGPRS)
	s_endpgm
	.section	.rodata,"a",@progbits
	.p2align	6, 0x0
	.amdhsa_kernel _ZL32rocblas_syrkx_herkx_small_kernelIi19rocblas_complex_numIfELi16ELb0ELb1ELc78ELc76EKS1_S1_EviT_T0_PT6_S3_lS6_S3_lS4_PT7_S3_li
		.amdhsa_group_segment_fixed_size 4096
		.amdhsa_private_segment_fixed_size 0
		.amdhsa_kernarg_size 100
		.amdhsa_user_sgpr_count 13
		.amdhsa_user_sgpr_dispatch_ptr 0
		.amdhsa_user_sgpr_queue_ptr 0
		.amdhsa_user_sgpr_kernarg_segment_ptr 1
		.amdhsa_user_sgpr_dispatch_id 0
		.amdhsa_user_sgpr_private_segment_size 0
		.amdhsa_wavefront_size32 1
		.amdhsa_uses_dynamic_stack 0
		.amdhsa_enable_private_segment 0
		.amdhsa_system_sgpr_workgroup_id_x 1
		.amdhsa_system_sgpr_workgroup_id_y 1
		.amdhsa_system_sgpr_workgroup_id_z 1
		.amdhsa_system_sgpr_workgroup_info 0
		.amdhsa_system_vgpr_workitem_id 1
		.amdhsa_next_free_vgpr 70
		.amdhsa_next_free_sgpr 28
		.amdhsa_reserve_vcc 1
		.amdhsa_float_round_mode_32 0
		.amdhsa_float_round_mode_16_64 0
		.amdhsa_float_denorm_mode_32 3
		.amdhsa_float_denorm_mode_16_64 3
		.amdhsa_dx10_clamp 1
		.amdhsa_ieee_mode 1
		.amdhsa_fp16_overflow 0
		.amdhsa_workgroup_processor_mode 1
		.amdhsa_memory_ordered 1
		.amdhsa_forward_progress 0
		.amdhsa_shared_vgpr_count 0
		.amdhsa_exception_fp_ieee_invalid_op 0
		.amdhsa_exception_fp_denorm_src 0
		.amdhsa_exception_fp_ieee_div_zero 0
		.amdhsa_exception_fp_ieee_overflow 0
		.amdhsa_exception_fp_ieee_underflow 0
		.amdhsa_exception_fp_ieee_inexact 0
		.amdhsa_exception_int_div_zero 0
	.end_amdhsa_kernel
	.section	.text._ZL32rocblas_syrkx_herkx_small_kernelIi19rocblas_complex_numIfELi16ELb0ELb1ELc78ELc76EKS1_S1_EviT_T0_PT6_S3_lS6_S3_lS4_PT7_S3_li,"axG",@progbits,_ZL32rocblas_syrkx_herkx_small_kernelIi19rocblas_complex_numIfELi16ELb0ELb1ELc78ELc76EKS1_S1_EviT_T0_PT6_S3_lS6_S3_lS4_PT7_S3_li,comdat
.Lfunc_end366:
	.size	_ZL32rocblas_syrkx_herkx_small_kernelIi19rocblas_complex_numIfELi16ELb0ELb1ELc78ELc76EKS1_S1_EviT_T0_PT6_S3_lS6_S3_lS4_PT7_S3_li, .Lfunc_end366-_ZL32rocblas_syrkx_herkx_small_kernelIi19rocblas_complex_numIfELi16ELb0ELb1ELc78ELc76EKS1_S1_EviT_T0_PT6_S3_lS6_S3_lS4_PT7_S3_li
                                        ; -- End function
	.section	.AMDGPU.csdata,"",@progbits
; Kernel info:
; codeLenInByte = 1612
; NumSgprs: 30
; NumVgprs: 70
; ScratchSize: 0
; MemoryBound: 1
; FloatMode: 240
; IeeeMode: 1
; LDSByteSize: 4096 bytes/workgroup (compile time only)
; SGPRBlocks: 3
; VGPRBlocks: 8
; NumSGPRsForWavesPerEU: 30
; NumVGPRsForWavesPerEU: 70
; Occupancy: 16
; WaveLimiterHint : 0
; COMPUTE_PGM_RSRC2:SCRATCH_EN: 0
; COMPUTE_PGM_RSRC2:USER_SGPR: 13
; COMPUTE_PGM_RSRC2:TRAP_HANDLER: 0
; COMPUTE_PGM_RSRC2:TGID_X_EN: 1
; COMPUTE_PGM_RSRC2:TGID_Y_EN: 1
; COMPUTE_PGM_RSRC2:TGID_Z_EN: 1
; COMPUTE_PGM_RSRC2:TIDIG_COMP_CNT: 1
	.section	.text._ZL32rocblas_syrkx_herkx_small_kernelIi19rocblas_complex_numIfELi16ELb0ELb1ELc84ELc85EKS1_S1_EviT_T0_PT6_S3_lS6_S3_lS4_PT7_S3_li,"axG",@progbits,_ZL32rocblas_syrkx_herkx_small_kernelIi19rocblas_complex_numIfELi16ELb0ELb1ELc84ELc85EKS1_S1_EviT_T0_PT6_S3_lS6_S3_lS4_PT7_S3_li,comdat
	.globl	_ZL32rocblas_syrkx_herkx_small_kernelIi19rocblas_complex_numIfELi16ELb0ELb1ELc84ELc85EKS1_S1_EviT_T0_PT6_S3_lS6_S3_lS4_PT7_S3_li ; -- Begin function _ZL32rocblas_syrkx_herkx_small_kernelIi19rocblas_complex_numIfELi16ELb0ELb1ELc84ELc85EKS1_S1_EviT_T0_PT6_S3_lS6_S3_lS4_PT7_S3_li
	.p2align	8
	.type	_ZL32rocblas_syrkx_herkx_small_kernelIi19rocblas_complex_numIfELi16ELb0ELb1ELc84ELc85EKS1_S1_EviT_T0_PT6_S3_lS6_S3_lS4_PT7_S3_li,@function
_ZL32rocblas_syrkx_herkx_small_kernelIi19rocblas_complex_numIfELi16ELb0ELb1ELc84ELc85EKS1_S1_EviT_T0_PT6_S3_lS6_S3_lS4_PT7_S3_li: ; @_ZL32rocblas_syrkx_herkx_small_kernelIi19rocblas_complex_numIfELi16ELb0ELb1ELc84ELc85EKS1_S1_EviT_T0_PT6_S3_lS6_S3_lS4_PT7_S3_li
; %bb.0:
	s_clause 0x3
	s_load_b64 s[22:23], s[0:1], 0x0
	s_load_b128 s[8:11], s[0:1], 0x8
	s_load_b128 s[4:7], s[0:1], 0x38
	s_load_b64 s[20:21], s[0:1], 0x48
	v_bfe_u32 v8, v0, 10, 10
	v_dual_mov_b32 v14, 0 :: v_dual_and_b32 v9, 0x3ff, v0
	v_mov_b32_e32 v15, 0
	s_mov_b32 s12, 0
	s_delay_alu instid0(VALU_DEP_3) | instskip(NEXT) | instid1(VALU_DEP_3)
	v_lshl_add_u32 v7, s14, 4, v8
	v_lshl_add_u32 v0, s13, 4, v9
	s_waitcnt lgkmcnt(0)
	s_delay_alu instid0(VALU_DEP_2)
	v_cmp_gt_i32_e32 vcc_lo, s22, v7
	s_cmp_lt_i32 s23, 1
	s_cbranch_scc1 .LBB367_11
; %bb.1:
	s_clause 0x2
	s_load_b32 s3, s[0:1], 0x30
	s_load_b32 s13, s[0:1], 0x18
	s_load_b128 s[16:19], s[0:1], 0x20
	v_dual_mov_b32 v14, 0 :: v_dual_lshlrev_b32 v3, 7, v8
	v_lshlrev_b32_e32 v10, 3, v9
	s_mul_i32 s5, s5, s15
	s_mul_hi_u32 s14, s4, s15
	s_delay_alu instid0(VALU_DEP_2) | instskip(NEXT) | instid1(VALU_DEP_2)
	v_dual_mov_b32 v15, 0 :: v_dual_add_nc_u32 v12, 0x800, v3
	v_add_nc_u32_e32 v11, v10, v3
	s_mul_i32 s4, s4, s15
	s_add_i32 s5, s14, s5
	v_lshlrev_b32_e32 v5, 3, v8
	s_lshl_b64 s[4:5], s[4:5], 3
	v_cmp_gt_i32_e64 s2, s22, v0
	s_delay_alu instid0(VALU_DEP_1)
	s_xor_b32 s2, s2, -1
	s_waitcnt lgkmcnt(0)
	v_mad_i64_i32 v[1:2], null, s3, v7, 0
	v_mad_i64_i32 v[3:4], null, s13, v0, 0
	s_mul_i32 s3, s17, s15
	s_mul_hi_u32 s13, s16, s15
	s_mul_i32 s16, s16, s15
	s_add_i32 s17, s13, s3
	s_delay_alu instid0(VALU_DEP_2) | instskip(SKIP_1) | instid1(VALU_DEP_2)
	v_lshlrev_b64 v[1:2], 3, v[1:2]
	s_lshl_b64 s[16:17], s[16:17], 3
	v_lshlrev_b64 v[3:4], 3, v[3:4]
	s_delay_alu instid0(VALU_DEP_2) | instskip(NEXT) | instid1(VALU_DEP_1)
	v_add_co_u32 v1, s3, v1, s4
	v_add_co_ci_u32_e64 v2, s3, s5, v2, s3
	s_delay_alu instid0(VALU_DEP_3) | instskip(NEXT) | instid1(VALU_DEP_1)
	v_add_co_u32 v3, s3, v3, s16
	v_add_co_ci_u32_e64 v4, s3, s17, v4, s3
	s_delay_alu instid0(VALU_DEP_4) | instskip(NEXT) | instid1(VALU_DEP_1)
	v_add_co_u32 v1, s3, v1, v10
	v_add_co_ci_u32_e64 v2, s3, 0, v2, s3
	s_delay_alu instid0(VALU_DEP_4) | instskip(NEXT) | instid1(VALU_DEP_1)
	v_add_co_u32 v3, s3, v3, v5
	v_add_co_ci_u32_e64 v4, s3, 0, v4, s3
	s_delay_alu instid0(VALU_DEP_4) | instskip(NEXT) | instid1(VALU_DEP_1)
	v_add_co_u32 v1, s3, s18, v1
	v_add_co_ci_u32_e64 v2, s3, s19, v2, s3
	s_delay_alu instid0(VALU_DEP_4) | instskip(NEXT) | instid1(VALU_DEP_1)
	v_add_co_u32 v3, s3, s10, v3
	v_add_co_ci_u32_e64 v4, s3, s11, v4, s3
	v_mov_b32_e32 v5, 0
	v_add_nc_u32_e32 v13, v12, v10
	s_xor_b32 s3, vcc_lo, -1
	s_branch .LBB367_3
.LBB367_2:                              ;   in Loop: Header=BB367_3 Depth=1
	s_or_b32 exec_lo, exec_lo, s4
	s_waitcnt lgkmcnt(0)
	s_barrier
	buffer_gl0_inv
	ds_load_2addr_b64 v[16:19], v10 offset1:16
	ds_load_b128 v[20:23], v12
	ds_load_b128 v[24:27], v12 offset:16
	ds_load_2addr_b64 v[28:31], v10 offset0:32 offset1:48
	ds_load_2addr_b64 v[32:35], v10 offset0:64 offset1:80
	ds_load_b128 v[36:39], v12 offset:32
	ds_load_b128 v[40:43], v12 offset:48
	ds_load_2addr_b64 v[44:47], v10 offset0:96 offset1:112
	ds_load_2addr_b64 v[48:51], v10 offset0:128 offset1:144
	;; [unrolled: 1-line block ×3, first 2 shown]
	ds_load_b128 v[56:59], v12 offset:64
	ds_load_b128 v[60:63], v12 offset:80
	v_add_co_u32 v1, vcc_lo, 0x80, v1
	v_add_co_ci_u32_e32 v2, vcc_lo, 0, v2, vcc_lo
	v_add_co_u32 v3, vcc_lo, 0x80, v3
	v_add_co_ci_u32_e32 v4, vcc_lo, 0, v4, vcc_lo
	s_add_i32 s12, s12, 16
	s_waitcnt lgkmcnt(10)
	v_mul_f32_e32 v6, v21, v17
	v_dual_mul_f32 v17, v20, v17 :: v_dual_mul_f32 v64, v23, v19
	v_mul_f32_e32 v19, v22, v19
	s_waitcnt lgkmcnt(8)
	v_dual_mul_f32 v65, v25, v29 :: v_dual_mul_f32 v66, v27, v31
	v_fma_f32 v6, v20, v16, -v6
	v_mul_f32_e32 v31, v26, v31
	s_waitcnt lgkmcnt(6)
	v_dual_mul_f32 v29, v24, v29 :: v_dual_mul_f32 v20, v39, v35
	s_delay_alu instid0(VALU_DEP_3) | instskip(SKIP_2) | instid1(VALU_DEP_4)
	v_dual_mul_f32 v67, v37, v33 :: v_dual_add_f32 v6, v15, v6
	v_fmac_f32_e32 v17, v21, v16
	v_fma_f32 v21, v22, v18, -v64
	v_dual_fmac_f32 v29, v25, v28 :: v_dual_mul_f32 v16, v38, v35
	v_fma_f32 v20, v38, v34, -v20
	s_delay_alu instid0(VALU_DEP_3)
	v_dual_fmac_f32 v31, v27, v30 :: v_dual_add_f32 v6, v6, v21
	v_dual_fmac_f32 v19, v23, v18 :: v_dual_add_f32 v14, v14, v17
	v_fma_f32 v17, v24, v28, -v65
	v_mul_f32_e32 v33, v36, v33
	s_waitcnt lgkmcnt(4)
	v_mul_f32_e32 v18, v40, v45
	v_fma_f32 v21, v36, v32, -v67
	v_add_f32_e32 v14, v14, v19
	v_fma_f32 v19, v26, v30, -v66
	v_add_f32_e32 v6, v6, v17
	v_mul_f32_e32 v15, v41, v45
	s_delay_alu instid0(VALU_DEP_4) | instskip(NEXT) | instid1(VALU_DEP_3)
	v_dual_mul_f32 v17, v43, v47 :: v_dual_add_f32 v14, v14, v29
	v_dual_fmac_f32 v33, v37, v32 :: v_dual_add_f32 v6, v6, v19
	v_dual_mul_f32 v19, v42, v47 :: v_dual_fmac_f32 v16, v39, v34
	s_delay_alu instid0(VALU_DEP_3) | instskip(SKIP_1) | instid1(VALU_DEP_3)
	v_add_f32_e32 v14, v14, v31
	v_fma_f32 v15, v40, v44, -v15
	v_dual_add_f32 v6, v6, v21 :: v_dual_fmac_f32 v19, v43, v46
	s_waitcnt lgkmcnt(1)
	v_mul_f32_e32 v21, v57, v49
	v_dual_fmac_f32 v18, v41, v44 :: v_dual_mul_f32 v25, v58, v51
	v_add_f32_e32 v14, v14, v33
	v_add_f32_e32 v6, v6, v20
	v_fma_f32 v20, v42, v46, -v17
	v_fma_f32 v21, v56, v48, -v21
	s_delay_alu instid0(VALU_DEP_4)
	v_dual_fmac_f32 v25, v59, v50 :: v_dual_add_f32 v14, v14, v16
	s_waitcnt lgkmcnt(0)
	v_mul_f32_e32 v33, v63, v55
	v_add_f32_e32 v6, v6, v15
	v_mul_f32_e32 v34, v62, v55
	s_cmp_ge_i32 s12, s23
	v_add_f32_e32 v18, v14, v18
	v_mul_f32_e32 v22, v56, v49
	v_add_f32_e32 v6, v6, v20
	ds_load_2addr_b64 v[14:17], v10 offset0:192 offset1:208
	v_dual_fmac_f32 v34, v63, v54 :: v_dual_add_f32 v23, v18, v19
	v_add_f32_e32 v6, v6, v21
	ds_load_b128 v[18:21], v12 offset:96
	v_fmac_f32_e32 v22, v57, v48
	s_delay_alu instid0(VALU_DEP_1) | instskip(NEXT) | instid1(VALU_DEP_1)
	v_add_f32_e32 v22, v23, v22
	v_dual_mul_f32 v24, v59, v51 :: v_dual_add_f32 v31, v22, v25
	s_delay_alu instid0(VALU_DEP_1) | instskip(SKIP_1) | instid1(VALU_DEP_2)
	v_fma_f32 v23, v58, v50, -v24
	v_mul_f32_e32 v24, v61, v53
	v_add_f32_e32 v6, v6, v23
	s_delay_alu instid0(VALU_DEP_2)
	v_fma_f32 v32, v60, v52, -v24
	ds_load_2addr_b64 v[22:25], v10 offset0:224 offset1:240
	ds_load_b128 v[26:29], v12 offset:112
	v_mul_f32_e32 v30, v60, v53
	s_waitcnt lgkmcnt(0)
	s_barrier
	v_add_f32_e32 v6, v6, v32
	v_mul_f32_e32 v32, v19, v15
	v_dual_fmac_f32 v30, v61, v52 :: v_dual_mul_f32 v15, v18, v15
	buffer_gl0_inv
	v_fma_f32 v18, v18, v14, -v32
	v_add_f32_e32 v30, v31, v30
	v_fma_f32 v31, v62, v54, -v33
	v_dual_fmac_f32 v15, v19, v14 :: v_dual_mul_f32 v14, v21, v17
	s_delay_alu instid0(VALU_DEP_3) | instskip(NEXT) | instid1(VALU_DEP_3)
	v_dual_mul_f32 v17, v20, v17 :: v_dual_add_f32 v30, v30, v34
	v_add_f32_e32 v6, v6, v31
	s_delay_alu instid0(VALU_DEP_3) | instskip(NEXT) | instid1(VALU_DEP_3)
	v_fma_f32 v14, v20, v16, -v14
	v_fmac_f32_e32 v17, v21, v16
	s_delay_alu instid0(VALU_DEP_4) | instskip(NEXT) | instid1(VALU_DEP_4)
	v_add_f32_e32 v15, v30, v15
	v_add_f32_e32 v6, v6, v18
	v_mul_f32_e32 v16, v27, v23
	v_mul_f32_e32 v18, v26, v23
	s_delay_alu instid0(VALU_DEP_3) | instskip(SKIP_1) | instid1(VALU_DEP_4)
	v_add_f32_e32 v6, v6, v14
	v_add_f32_e32 v14, v15, v17
	v_fma_f32 v15, v26, v22, -v16
	s_delay_alu instid0(VALU_DEP_4) | instskip(SKIP_1) | instid1(VALU_DEP_3)
	v_fmac_f32_e32 v18, v27, v22
	v_mul_f32_e32 v16, v29, v25
	v_dual_mul_f32 v17, v28, v25 :: v_dual_add_f32 v6, v6, v15
	s_delay_alu instid0(VALU_DEP_3) | instskip(NEXT) | instid1(VALU_DEP_3)
	v_add_f32_e32 v14, v14, v18
	v_fma_f32 v15, v28, v24, -v16
	s_delay_alu instid0(VALU_DEP_3) | instskip(NEXT) | instid1(VALU_DEP_2)
	v_fmac_f32_e32 v17, v29, v24
	v_add_f32_e32 v15, v6, v15
	s_delay_alu instid0(VALU_DEP_2)
	v_add_f32_e32 v14, v14, v17
	s_cbranch_scc1 .LBB367_11
.LBB367_3:                              ; =>This Inner Loop Header: Depth=1
	v_add_nc_u32_e32 v6, s12, v8
	s_delay_alu instid0(VALU_DEP_1) | instskip(SKIP_1) | instid1(SALU_CYCLE_1)
	v_cmp_le_i32_e32 vcc_lo, s23, v6
	s_or_b32 s4, s2, vcc_lo
	s_and_saveexec_b32 s5, s4
	s_delay_alu instid0(SALU_CYCLE_1)
	s_xor_b32 s4, exec_lo, s5
	s_cbranch_execz .LBB367_5
; %bb.4:                                ;   in Loop: Header=BB367_3 Depth=1
	v_mov_b32_e32 v6, v5
	ds_store_b64 v11, v[5:6]
.LBB367_5:                              ;   in Loop: Header=BB367_3 Depth=1
	s_and_not1_saveexec_b32 s4, s4
	s_cbranch_execz .LBB367_7
; %bb.6:                                ;   in Loop: Header=BB367_3 Depth=1
	global_load_b64 v[16:17], v[3:4], off
	s_waitcnt vmcnt(0)
	ds_store_b64 v11, v[16:17]
.LBB367_7:                              ;   in Loop: Header=BB367_3 Depth=1
	s_or_b32 exec_lo, exec_lo, s4
	v_add_nc_u32_e32 v6, s12, v9
	s_delay_alu instid0(VALU_DEP_1) | instskip(SKIP_1) | instid1(SALU_CYCLE_1)
	v_cmp_le_i32_e32 vcc_lo, s23, v6
	s_or_b32 s4, s3, vcc_lo
	s_and_saveexec_b32 s5, s4
	s_delay_alu instid0(SALU_CYCLE_1)
	s_xor_b32 s4, exec_lo, s5
	s_cbranch_execz .LBB367_9
; %bb.8:                                ;   in Loop: Header=BB367_3 Depth=1
	v_mov_b32_e32 v6, v5
	ds_store_b64 v13, v[5:6]
.LBB367_9:                              ;   in Loop: Header=BB367_3 Depth=1
	s_and_not1_saveexec_b32 s4, s4
	s_cbranch_execz .LBB367_2
; %bb.10:                               ;   in Loop: Header=BB367_3 Depth=1
	global_load_b64 v[16:17], v[1:2], off
	s_waitcnt vmcnt(0)
	ds_store_b64 v13, v[16:17]
	s_branch .LBB367_2
.LBB367_11:
	v_cmp_le_i32_e32 vcc_lo, v0, v7
	v_cmp_gt_i32_e64 s2, s22, v7
	s_delay_alu instid0(VALU_DEP_1) | instskip(NEXT) | instid1(SALU_CYCLE_1)
	s_and_b32 s2, vcc_lo, s2
	s_and_saveexec_b32 s3, s2
	s_cbranch_execz .LBB367_14
; %bb.12:
	s_clause 0x1
	s_load_b32 s2, s[0:1], 0x50
	s_load_b64 s[0:1], s[0:1], 0x58
	v_ashrrev_i32_e32 v1, 31, v0
	s_delay_alu instid0(VALU_DEP_1)
	v_lshlrev_b64 v[4:5], 3, v[0:1]
	s_waitcnt lgkmcnt(0)
	v_mad_i64_i32 v[2:3], null, s2, v7, 0
	s_mul_i32 s1, s15, s1
	s_mul_hi_u32 s2, s15, s0
	s_mul_i32 s0, s15, s0
	s_add_i32 s1, s2, s1
	s_delay_alu instid0(SALU_CYCLE_1) | instskip(NEXT) | instid1(VALU_DEP_1)
	s_lshl_b64 s[0:1], s[0:1], 3
	v_lshlrev_b64 v[2:3], 3, v[2:3]
	s_add_u32 s0, s20, s0
	s_addc_u32 s1, s21, s1
	s_delay_alu instid0(VALU_DEP_1) | instskip(NEXT) | instid1(VALU_DEP_2)
	v_add_co_u32 v1, vcc_lo, s0, v2
	v_add_co_ci_u32_e32 v2, vcc_lo, s1, v3, vcc_lo
	s_delay_alu instid0(VALU_DEP_2) | instskip(NEXT) | instid1(VALU_DEP_2)
	v_add_co_u32 v1, vcc_lo, v1, v4
	v_add_co_ci_u32_e32 v2, vcc_lo, v2, v5, vcc_lo
	v_cmp_eq_u32_e32 vcc_lo, v0, v7
	global_load_b64 v[3:4], v[1:2], off
	s_waitcnt vmcnt(0)
	v_dual_mul_f32 v5, s9, v14 :: v_dual_mul_f32 v8, s7, v4
	v_mul_f32_e32 v4, s6, v4
	s_delay_alu instid0(VALU_DEP_2) | instskip(NEXT) | instid1(VALU_DEP_3)
	v_fma_f32 v5, v15, s8, -v5
	v_fma_f32 v8, v3, s6, -v8
	v_mul_f32_e32 v6, s8, v14
	s_delay_alu instid0(VALU_DEP_2) | instskip(NEXT) | instid1(VALU_DEP_2)
	v_dual_fmac_f32 v4, s7, v3 :: v_dual_add_f32 v3, v5, v8
	v_fmac_f32_e32 v6, s9, v15
	s_delay_alu instid0(VALU_DEP_1)
	v_add_f32_e32 v4, v6, v4
	global_store_b64 v[1:2], v[3:4], off
	s_and_b32 exec_lo, exec_lo, vcc_lo
	s_cbranch_execz .LBB367_14
; %bb.13:
	v_mov_b32_e32 v0, 0
	global_store_b32 v[1:2], v0, off offset:4
.LBB367_14:
	s_nop 0
	s_sendmsg sendmsg(MSG_DEALLOC_VGPRS)
	s_endpgm
	.section	.rodata,"a",@progbits
	.p2align	6, 0x0
	.amdhsa_kernel _ZL32rocblas_syrkx_herkx_small_kernelIi19rocblas_complex_numIfELi16ELb0ELb1ELc84ELc85EKS1_S1_EviT_T0_PT6_S3_lS6_S3_lS4_PT7_S3_li
		.amdhsa_group_segment_fixed_size 4096
		.amdhsa_private_segment_fixed_size 0
		.amdhsa_kernarg_size 100
		.amdhsa_user_sgpr_count 13
		.amdhsa_user_sgpr_dispatch_ptr 0
		.amdhsa_user_sgpr_queue_ptr 0
		.amdhsa_user_sgpr_kernarg_segment_ptr 1
		.amdhsa_user_sgpr_dispatch_id 0
		.amdhsa_user_sgpr_private_segment_size 0
		.amdhsa_wavefront_size32 1
		.amdhsa_uses_dynamic_stack 0
		.amdhsa_enable_private_segment 0
		.amdhsa_system_sgpr_workgroup_id_x 1
		.amdhsa_system_sgpr_workgroup_id_y 1
		.amdhsa_system_sgpr_workgroup_id_z 1
		.amdhsa_system_sgpr_workgroup_info 0
		.amdhsa_system_vgpr_workitem_id 1
		.amdhsa_next_free_vgpr 68
		.amdhsa_next_free_sgpr 24
		.amdhsa_reserve_vcc 1
		.amdhsa_float_round_mode_32 0
		.amdhsa_float_round_mode_16_64 0
		.amdhsa_float_denorm_mode_32 3
		.amdhsa_float_denorm_mode_16_64 3
		.amdhsa_dx10_clamp 1
		.amdhsa_ieee_mode 1
		.amdhsa_fp16_overflow 0
		.amdhsa_workgroup_processor_mode 1
		.amdhsa_memory_ordered 1
		.amdhsa_forward_progress 0
		.amdhsa_shared_vgpr_count 0
		.amdhsa_exception_fp_ieee_invalid_op 0
		.amdhsa_exception_fp_denorm_src 0
		.amdhsa_exception_fp_ieee_div_zero 0
		.amdhsa_exception_fp_ieee_overflow 0
		.amdhsa_exception_fp_ieee_underflow 0
		.amdhsa_exception_fp_ieee_inexact 0
		.amdhsa_exception_int_div_zero 0
	.end_amdhsa_kernel
	.section	.text._ZL32rocblas_syrkx_herkx_small_kernelIi19rocblas_complex_numIfELi16ELb0ELb1ELc84ELc85EKS1_S1_EviT_T0_PT6_S3_lS6_S3_lS4_PT7_S3_li,"axG",@progbits,_ZL32rocblas_syrkx_herkx_small_kernelIi19rocblas_complex_numIfELi16ELb0ELb1ELc84ELc85EKS1_S1_EviT_T0_PT6_S3_lS6_S3_lS4_PT7_S3_li,comdat
.Lfunc_end367:
	.size	_ZL32rocblas_syrkx_herkx_small_kernelIi19rocblas_complex_numIfELi16ELb0ELb1ELc84ELc85EKS1_S1_EviT_T0_PT6_S3_lS6_S3_lS4_PT7_S3_li, .Lfunc_end367-_ZL32rocblas_syrkx_herkx_small_kernelIi19rocblas_complex_numIfELi16ELb0ELb1ELc84ELc85EKS1_S1_EviT_T0_PT6_S3_lS6_S3_lS4_PT7_S3_li
                                        ; -- End function
	.section	.AMDGPU.csdata,"",@progbits
; Kernel info:
; codeLenInByte = 1560
; NumSgprs: 26
; NumVgprs: 68
; ScratchSize: 0
; MemoryBound: 1
; FloatMode: 240
; IeeeMode: 1
; LDSByteSize: 4096 bytes/workgroup (compile time only)
; SGPRBlocks: 3
; VGPRBlocks: 8
; NumSGPRsForWavesPerEU: 26
; NumVGPRsForWavesPerEU: 68
; Occupancy: 16
; WaveLimiterHint : 0
; COMPUTE_PGM_RSRC2:SCRATCH_EN: 0
; COMPUTE_PGM_RSRC2:USER_SGPR: 13
; COMPUTE_PGM_RSRC2:TRAP_HANDLER: 0
; COMPUTE_PGM_RSRC2:TGID_X_EN: 1
; COMPUTE_PGM_RSRC2:TGID_Y_EN: 1
; COMPUTE_PGM_RSRC2:TGID_Z_EN: 1
; COMPUTE_PGM_RSRC2:TIDIG_COMP_CNT: 1
	.section	.text._ZL32rocblas_syrkx_herkx_small_kernelIi19rocblas_complex_numIfELi16ELb0ELb1ELc67ELc85EKS1_S1_EviT_T0_PT6_S3_lS6_S3_lS4_PT7_S3_li,"axG",@progbits,_ZL32rocblas_syrkx_herkx_small_kernelIi19rocblas_complex_numIfELi16ELb0ELb1ELc67ELc85EKS1_S1_EviT_T0_PT6_S3_lS6_S3_lS4_PT7_S3_li,comdat
	.globl	_ZL32rocblas_syrkx_herkx_small_kernelIi19rocblas_complex_numIfELi16ELb0ELb1ELc67ELc85EKS1_S1_EviT_T0_PT6_S3_lS6_S3_lS4_PT7_S3_li ; -- Begin function _ZL32rocblas_syrkx_herkx_small_kernelIi19rocblas_complex_numIfELi16ELb0ELb1ELc67ELc85EKS1_S1_EviT_T0_PT6_S3_lS6_S3_lS4_PT7_S3_li
	.p2align	8
	.type	_ZL32rocblas_syrkx_herkx_small_kernelIi19rocblas_complex_numIfELi16ELb0ELb1ELc67ELc85EKS1_S1_EviT_T0_PT6_S3_lS6_S3_lS4_PT7_S3_li,@function
_ZL32rocblas_syrkx_herkx_small_kernelIi19rocblas_complex_numIfELi16ELb0ELb1ELc67ELc85EKS1_S1_EviT_T0_PT6_S3_lS6_S3_lS4_PT7_S3_li: ; @_ZL32rocblas_syrkx_herkx_small_kernelIi19rocblas_complex_numIfELi16ELb0ELb1ELc67ELc85EKS1_S1_EviT_T0_PT6_S3_lS6_S3_lS4_PT7_S3_li
; %bb.0:
	s_clause 0x3
	s_load_b64 s[22:23], s[0:1], 0x0
	s_load_b128 s[8:11], s[0:1], 0x8
	s_load_b128 s[4:7], s[0:1], 0x38
	s_load_b64 s[20:21], s[0:1], 0x48
	v_bfe_u32 v8, v0, 10, 10
	v_dual_mov_b32 v16, 0 :: v_dual_and_b32 v9, 0x3ff, v0
	v_mov_b32_e32 v15, 0
	s_mov_b32 s12, 0
	s_delay_alu instid0(VALU_DEP_3) | instskip(NEXT) | instid1(VALU_DEP_3)
	v_lshl_add_u32 v7, s14, 4, v8
	v_lshl_add_u32 v0, s13, 4, v9
	s_waitcnt lgkmcnt(0)
	s_delay_alu instid0(VALU_DEP_2)
	v_cmp_gt_i32_e32 vcc_lo, s22, v7
	s_cmp_lt_i32 s23, 1
	s_cbranch_scc1 .LBB368_11
; %bb.1:
	s_clause 0x2
	s_load_b32 s3, s[0:1], 0x18
	s_load_b32 s13, s[0:1], 0x30
	s_load_b128 s[16:19], s[0:1], 0x20
	v_dual_mov_b32 v14, 0 :: v_dual_lshlrev_b32 v3, 7, v8
	v_lshlrev_b32_e32 v10, 3, v9
	s_mul_i32 s5, s5, s15
	s_mul_hi_u32 s14, s4, s15
	s_delay_alu instid0(VALU_DEP_2) | instskip(NEXT) | instid1(VALU_DEP_2)
	v_dual_mov_b32 v15, 0 :: v_dual_add_nc_u32 v12, 0x800, v3
	v_add_nc_u32_e32 v11, v10, v3
	s_mul_i32 s4, s4, s15
	s_add_i32 s5, s14, s5
	v_dual_mov_b32 v16, 0 :: v_dual_lshlrev_b32 v5, 3, v8
	s_lshl_b64 s[4:5], s[4:5], 3
	v_cmp_gt_i32_e64 s2, s22, v0
	s_waitcnt lgkmcnt(0)
	v_mad_i64_i32 v[1:2], null, s3, v0, 0
	v_mad_i64_i32 v[3:4], null, s13, v7, 0
	s_mul_i32 s3, s17, s15
	s_mul_hi_u32 s13, s16, s15
	s_mul_i32 s16, s16, s15
	s_add_i32 s17, s13, s3
	s_delay_alu instid0(VALU_DEP_2) | instskip(SKIP_1) | instid1(VALU_DEP_2)
	v_lshlrev_b64 v[1:2], 3, v[1:2]
	s_lshl_b64 s[16:17], s[16:17], 3
	v_lshlrev_b64 v[3:4], 3, v[3:4]
	s_xor_b32 s2, s2, -1
	s_delay_alu instid0(VALU_DEP_2) | instskip(NEXT) | instid1(VALU_DEP_1)
	v_add_co_u32 v1, s3, v1, s16
	v_add_co_ci_u32_e64 v2, s3, s17, v2, s3
	s_delay_alu instid0(VALU_DEP_3) | instskip(NEXT) | instid1(VALU_DEP_1)
	v_add_co_u32 v3, s3, v3, s4
	v_add_co_ci_u32_e64 v4, s3, s5, v4, s3
	s_delay_alu instid0(VALU_DEP_4) | instskip(NEXT) | instid1(VALU_DEP_1)
	v_add_co_u32 v1, s3, v1, v5
	v_add_co_ci_u32_e64 v2, s3, 0, v2, s3
	s_delay_alu instid0(VALU_DEP_4) | instskip(NEXT) | instid1(VALU_DEP_1)
	;; [unrolled: 3-line block ×5, first 2 shown]
	v_add_co_u32 v3, s3, v5, 4
	v_add_co_ci_u32_e64 v4, s3, 0, v6, s3
	v_mov_b32_e32 v5, 0
	v_add_nc_u32_e32 v13, v12, v10
	s_xor_b32 s3, vcc_lo, -1
	s_branch .LBB368_3
.LBB368_2:                              ;   in Loop: Header=BB368_3 Depth=1
	s_or_b32 exec_lo, exec_lo, s4
	s_waitcnt lgkmcnt(0)
	s_barrier
	buffer_gl0_inv
	ds_load_2addr_b64 v[17:20], v10 offset1:16
	ds_load_b128 v[21:24], v12
	ds_load_b128 v[25:28], v12 offset:16
	ds_load_2addr_b64 v[29:32], v10 offset0:32 offset1:48
	ds_load_2addr_b64 v[33:36], v10 offset0:64 offset1:80
	ds_load_b128 v[37:40], v12 offset:32
	ds_load_b128 v[41:44], v12 offset:48
	ds_load_2addr_b64 v[45:48], v10 offset0:96 offset1:112
	ds_load_2addr_b64 v[49:52], v10 offset0:128 offset1:144
	;; [unrolled: 1-line block ×3, first 2 shown]
	ds_load_b128 v[57:60], v12 offset:64
	ds_load_b128 v[61:64], v12 offset:80
	v_add_co_u32 v1, vcc_lo, 0x80, v1
	v_add_co_ci_u32_e32 v2, vcc_lo, 0, v2, vcc_lo
	v_add_co_u32 v3, vcc_lo, 0x80, v3
	v_add_co_ci_u32_e32 v4, vcc_lo, 0, v4, vcc_lo
	s_add_i32 s12, s12, 16
	s_waitcnt lgkmcnt(10)
	v_dual_mul_f32 v6, v22, v18 :: v_dual_mul_f32 v65, v24, v20
	s_waitcnt lgkmcnt(8)
	v_dual_mul_f32 v18, v21, v18 :: v_dual_mul_f32 v67, v28, v32
	v_mul_f32_e32 v20, v23, v20
	v_mul_f32_e32 v66, v26, v30
	;; [unrolled: 1-line block ×3, first 2 shown]
	s_delay_alu instid0(VALU_DEP_4)
	v_fmac_f32_e32 v18, v22, v17
	v_fma_f32 v6, v21, v17, -v6
	s_waitcnt lgkmcnt(6)
	v_dual_fmac_f32 v20, v24, v19 :: v_dual_mul_f32 v17, v39, v36
	v_mul_f32_e32 v32, v27, v32
	v_add_f32_e32 v15, v15, v18
	v_mul_f32_e32 v68, v38, v34
	v_fmac_f32_e32 v30, v26, v29
	v_fma_f32 v22, v23, v19, -v65
	v_fmac_f32_e32 v17, v40, v35
	v_dual_add_f32 v15, v15, v20 :: v_dual_fmac_f32 v32, v28, v31
	s_waitcnt lgkmcnt(1)
	v_mul_f32_e32 v23, v57, v50
	v_mul_f32_e32 v19, v41, v46
	v_add_f32_e32 v6, v16, v6
	v_add_f32_e32 v15, v15, v30
	v_mul_f32_e32 v34, v37, v34
	v_fma_f32 v20, v27, v31, -v67
	s_waitcnt lgkmcnt(0)
	v_mul_f32_e32 v31, v61, v54
	v_mul_f32_e32 v21, v40, v36
	v_dual_add_f32 v15, v15, v32 :: v_dual_fmac_f32 v34, v38, v33
	v_fma_f32 v18, v25, v29, -v66
	v_dual_fmac_f32 v19, v42, v45 :: v_dual_mul_f32 v26, v59, v52
	s_delay_alu instid0(VALU_DEP_4) | instskip(NEXT) | instid1(VALU_DEP_4)
	v_fma_f32 v21, v39, v35, -v21
	v_add_f32_e32 v15, v15, v34
	v_mul_f32_e32 v16, v42, v46
	s_cmp_ge_i32 s12, s23
	v_dual_fmac_f32 v26, v60, v51 :: v_dual_fmac_f32 v23, v58, v49
	s_delay_alu instid0(VALU_DEP_3) | instskip(SKIP_3) | instid1(VALU_DEP_4)
	v_dual_add_f32 v15, v15, v17 :: v_dual_add_f32 v6, v6, v22
	v_mul_f32_e32 v25, v60, v52
	v_fma_f32 v22, v37, v33, -v68
	v_fma_f32 v16, v41, v45, -v16
	v_dual_add_f32 v19, v15, v19 :: v_dual_add_f32 v6, v6, v18
	v_dual_mul_f32 v18, v44, v48 :: v_dual_fmac_f32 v31, v62, v53
	v_mul_f32_e32 v35, v63, v56
	s_delay_alu instid0(VALU_DEP_3) | instskip(NEXT) | instid1(VALU_DEP_2)
	v_add_f32_e32 v6, v6, v20
	v_dual_mul_f32 v20, v43, v48 :: v_dual_fmac_f32 v35, v64, v55
	s_delay_alu instid0(VALU_DEP_1) | instskip(NEXT) | instid1(VALU_DEP_1)
	v_fmac_f32_e32 v20, v44, v47
	v_add_f32_e32 v24, v19, v20
	s_delay_alu instid0(VALU_DEP_1) | instskip(SKIP_2) | instid1(VALU_DEP_3)
	v_dual_add_f32 v23, v24, v23 :: v_dual_add_f32 v6, v6, v22
	v_fma_f32 v24, v59, v51, -v25
	v_mul_f32_e32 v25, v62, v54
	v_add_f32_e32 v32, v23, v26
	s_delay_alu instid0(VALU_DEP_4) | instskip(SKIP_3) | instid1(VALU_DEP_4)
	v_add_f32_e32 v6, v6, v21
	v_mul_f32_e32 v22, v58, v50
	v_fma_f32 v21, v43, v47, -v18
	v_fma_f32 v33, v61, v53, -v25
	v_dual_add_f32 v31, v32, v31 :: v_dual_add_f32 v6, v6, v16
	ds_load_2addr_b64 v[15:18], v10 offset0:192 offset1:208
	v_fma_f32 v22, v57, v49, -v22
	v_dual_add_f32 v31, v31, v35 :: v_dual_add_f32 v6, v6, v21
	s_delay_alu instid0(VALU_DEP_1)
	v_add_f32_e32 v6, v6, v22
	ds_load_b128 v[19:22], v12 offset:96
	v_add_f32_e32 v6, v6, v24
	ds_load_2addr_b64 v[23:26], v10 offset0:224 offset1:240
	ds_load_b128 v[27:30], v12 offset:112
	v_mul_f32_e32 v34, v64, v56
	s_waitcnt lgkmcnt(0)
	s_barrier
	v_add_f32_e32 v6, v6, v33
	buffer_gl0_inv
	v_fma_f32 v32, v63, v55, -v34
	s_delay_alu instid0(VALU_DEP_1) | instskip(SKIP_2) | instid1(VALU_DEP_2)
	v_add_f32_e32 v6, v6, v32
	v_mul_f32_e32 v33, v20, v16
	v_mul_f32_e32 v16, v19, v16
	v_fma_f32 v19, v19, v15, -v33
	s_delay_alu instid0(VALU_DEP_2) | instskip(SKIP_1) | instid1(VALU_DEP_3)
	v_dual_fmac_f32 v16, v20, v15 :: v_dual_mul_f32 v15, v22, v18
	v_mul_f32_e32 v18, v21, v18
	v_add_f32_e32 v6, v6, v19
	s_delay_alu instid0(VALU_DEP_3) | instskip(NEXT) | instid1(VALU_DEP_4)
	v_add_f32_e32 v16, v31, v16
	v_fma_f32 v15, v21, v17, -v15
	s_delay_alu instid0(VALU_DEP_4) | instskip(NEXT) | instid1(VALU_DEP_2)
	v_dual_fmac_f32 v18, v22, v17 :: v_dual_mul_f32 v17, v28, v24
	v_dual_mul_f32 v19, v27, v24 :: v_dual_add_f32 v6, v6, v15
	s_delay_alu instid0(VALU_DEP_2) | instskip(NEXT) | instid1(VALU_DEP_3)
	v_add_f32_e32 v15, v16, v18
	v_fma_f32 v16, v27, v23, -v17
	s_delay_alu instid0(VALU_DEP_3) | instskip(SKIP_2) | instid1(VALU_DEP_3)
	v_fmac_f32_e32 v19, v28, v23
	v_mul_f32_e32 v17, v30, v26
	v_mul_f32_e32 v18, v29, v26
	v_dual_add_f32 v6, v6, v16 :: v_dual_add_f32 v15, v15, v19
	s_delay_alu instid0(VALU_DEP_3) | instskip(NEXT) | instid1(VALU_DEP_3)
	v_fma_f32 v16, v29, v25, -v17
	v_fmac_f32_e32 v18, v30, v25
	s_delay_alu instid0(VALU_DEP_1)
	v_dual_add_f32 v16, v6, v16 :: v_dual_add_f32 v15, v15, v18
	s_cbranch_scc1 .LBB368_11
.LBB368_3:                              ; =>This Inner Loop Header: Depth=1
	v_add_nc_u32_e32 v6, s12, v8
                                        ; implicit-def: $sgpr5
	s_delay_alu instid0(VALU_DEP_1) | instskip(SKIP_1) | instid1(SALU_CYCLE_1)
	v_cmp_le_i32_e32 vcc_lo, s23, v6
	s_or_b32 s4, s2, vcc_lo
	s_and_saveexec_b32 s10, s4
	s_delay_alu instid0(SALU_CYCLE_1)
	s_xor_b32 s4, exec_lo, s10
	s_cbranch_execz .LBB368_5
; %bb.4:                                ;   in Loop: Header=BB368_3 Depth=1
	s_mov_b32 s5, 0
	ds_store_b32 v11, v14
.LBB368_5:                              ;   in Loop: Header=BB368_3 Depth=1
	s_or_saveexec_b32 s4, s4
	v_mov_b32_e32 v6, s5
	s_xor_b32 exec_lo, exec_lo, s4
	s_cbranch_execz .LBB368_7
; %bb.6:                                ;   in Loop: Header=BB368_3 Depth=1
	global_load_b64 v[17:18], v[3:4], off offset:-4
	s_waitcnt vmcnt(0)
	v_xor_b32_e32 v6, 0x80000000, v18
	ds_store_b32 v11, v17
.LBB368_7:                              ;   in Loop: Header=BB368_3 Depth=1
	s_or_b32 exec_lo, exec_lo, s4
	v_add_nc_u32_e32 v17, s12, v9
	ds_store_b32 v11, v6 offset:4
	v_cmp_le_i32_e32 vcc_lo, s23, v17
	s_or_b32 s4, s3, vcc_lo
	s_delay_alu instid0(SALU_CYCLE_1) | instskip(NEXT) | instid1(SALU_CYCLE_1)
	s_and_saveexec_b32 s5, s4
	s_xor_b32 s4, exec_lo, s5
	s_cbranch_execz .LBB368_9
; %bb.8:                                ;   in Loop: Header=BB368_3 Depth=1
	v_mov_b32_e32 v6, v5
	ds_store_b64 v13, v[5:6]
.LBB368_9:                              ;   in Loop: Header=BB368_3 Depth=1
	s_and_not1_saveexec_b32 s4, s4
	s_cbranch_execz .LBB368_2
; %bb.10:                               ;   in Loop: Header=BB368_3 Depth=1
	global_load_b64 v[17:18], v[1:2], off
	s_waitcnt vmcnt(0)
	ds_store_b64 v13, v[17:18]
	s_branch .LBB368_2
.LBB368_11:
	v_cmp_le_i32_e32 vcc_lo, v0, v7
	v_cmp_gt_i32_e64 s2, s22, v7
	s_delay_alu instid0(VALU_DEP_1) | instskip(NEXT) | instid1(SALU_CYCLE_1)
	s_and_b32 s2, vcc_lo, s2
	s_and_saveexec_b32 s3, s2
	s_cbranch_execz .LBB368_14
; %bb.12:
	s_clause 0x1
	s_load_b32 s2, s[0:1], 0x50
	s_load_b64 s[0:1], s[0:1], 0x58
	v_ashrrev_i32_e32 v1, 31, v0
	s_delay_alu instid0(VALU_DEP_1)
	v_lshlrev_b64 v[4:5], 3, v[0:1]
	s_waitcnt lgkmcnt(0)
	v_mad_i64_i32 v[2:3], null, s2, v7, 0
	s_mul_i32 s1, s15, s1
	s_mul_hi_u32 s2, s15, s0
	s_mul_i32 s0, s15, s0
	s_add_i32 s1, s2, s1
	s_delay_alu instid0(SALU_CYCLE_1) | instskip(NEXT) | instid1(VALU_DEP_1)
	s_lshl_b64 s[0:1], s[0:1], 3
	v_lshlrev_b64 v[2:3], 3, v[2:3]
	s_add_u32 s0, s20, s0
	s_addc_u32 s1, s21, s1
	s_delay_alu instid0(VALU_DEP_1) | instskip(NEXT) | instid1(VALU_DEP_2)
	v_add_co_u32 v1, vcc_lo, s0, v2
	v_add_co_ci_u32_e32 v2, vcc_lo, s1, v3, vcc_lo
	s_delay_alu instid0(VALU_DEP_2) | instskip(NEXT) | instid1(VALU_DEP_2)
	v_add_co_u32 v1, vcc_lo, v1, v4
	v_add_co_ci_u32_e32 v2, vcc_lo, v2, v5, vcc_lo
	v_cmp_eq_u32_e32 vcc_lo, v0, v7
	global_load_b64 v[3:4], v[1:2], off
	s_waitcnt vmcnt(0)
	v_dual_mul_f32 v5, s9, v15 :: v_dual_mul_f32 v8, s7, v4
	v_mul_f32_e32 v4, s6, v4
	s_delay_alu instid0(VALU_DEP_2) | instskip(NEXT) | instid1(VALU_DEP_3)
	v_fma_f32 v5, v16, s8, -v5
	v_fma_f32 v8, v3, s6, -v8
	v_mul_f32_e32 v6, s8, v15
	s_delay_alu instid0(VALU_DEP_2) | instskip(NEXT) | instid1(VALU_DEP_2)
	v_dual_fmac_f32 v4, s7, v3 :: v_dual_add_f32 v3, v5, v8
	v_fmac_f32_e32 v6, s9, v16
	s_delay_alu instid0(VALU_DEP_1)
	v_add_f32_e32 v4, v6, v4
	global_store_b64 v[1:2], v[3:4], off
	s_and_b32 exec_lo, exec_lo, vcc_lo
	s_cbranch_execz .LBB368_14
; %bb.13:
	v_mov_b32_e32 v0, 0
	global_store_b32 v[1:2], v0, off offset:4
.LBB368_14:
	s_nop 0
	s_sendmsg sendmsg(MSG_DEALLOC_VGPRS)
	s_endpgm
	.section	.rodata,"a",@progbits
	.p2align	6, 0x0
	.amdhsa_kernel _ZL32rocblas_syrkx_herkx_small_kernelIi19rocblas_complex_numIfELi16ELb0ELb1ELc67ELc85EKS1_S1_EviT_T0_PT6_S3_lS6_S3_lS4_PT7_S3_li
		.amdhsa_group_segment_fixed_size 4096
		.amdhsa_private_segment_fixed_size 0
		.amdhsa_kernarg_size 100
		.amdhsa_user_sgpr_count 13
		.amdhsa_user_sgpr_dispatch_ptr 0
		.amdhsa_user_sgpr_queue_ptr 0
		.amdhsa_user_sgpr_kernarg_segment_ptr 1
		.amdhsa_user_sgpr_dispatch_id 0
		.amdhsa_user_sgpr_private_segment_size 0
		.amdhsa_wavefront_size32 1
		.amdhsa_uses_dynamic_stack 0
		.amdhsa_enable_private_segment 0
		.amdhsa_system_sgpr_workgroup_id_x 1
		.amdhsa_system_sgpr_workgroup_id_y 1
		.amdhsa_system_sgpr_workgroup_id_z 1
		.amdhsa_system_sgpr_workgroup_info 0
		.amdhsa_system_vgpr_workitem_id 1
		.amdhsa_next_free_vgpr 69
		.amdhsa_next_free_sgpr 24
		.amdhsa_reserve_vcc 1
		.amdhsa_float_round_mode_32 0
		.amdhsa_float_round_mode_16_64 0
		.amdhsa_float_denorm_mode_32 3
		.amdhsa_float_denorm_mode_16_64 3
		.amdhsa_dx10_clamp 1
		.amdhsa_ieee_mode 1
		.amdhsa_fp16_overflow 0
		.amdhsa_workgroup_processor_mode 1
		.amdhsa_memory_ordered 1
		.amdhsa_forward_progress 0
		.amdhsa_shared_vgpr_count 0
		.amdhsa_exception_fp_ieee_invalid_op 0
		.amdhsa_exception_fp_denorm_src 0
		.amdhsa_exception_fp_ieee_div_zero 0
		.amdhsa_exception_fp_ieee_overflow 0
		.amdhsa_exception_fp_ieee_underflow 0
		.amdhsa_exception_fp_ieee_inexact 0
		.amdhsa_exception_int_div_zero 0
	.end_amdhsa_kernel
	.section	.text._ZL32rocblas_syrkx_herkx_small_kernelIi19rocblas_complex_numIfELi16ELb0ELb1ELc67ELc85EKS1_S1_EviT_T0_PT6_S3_lS6_S3_lS4_PT7_S3_li,"axG",@progbits,_ZL32rocblas_syrkx_herkx_small_kernelIi19rocblas_complex_numIfELi16ELb0ELb1ELc67ELc85EKS1_S1_EviT_T0_PT6_S3_lS6_S3_lS4_PT7_S3_li,comdat
.Lfunc_end368:
	.size	_ZL32rocblas_syrkx_herkx_small_kernelIi19rocblas_complex_numIfELi16ELb0ELb1ELc67ELc85EKS1_S1_EviT_T0_PT6_S3_lS6_S3_lS4_PT7_S3_li, .Lfunc_end368-_ZL32rocblas_syrkx_herkx_small_kernelIi19rocblas_complex_numIfELi16ELb0ELb1ELc67ELc85EKS1_S1_EviT_T0_PT6_S3_lS6_S3_lS4_PT7_S3_li
                                        ; -- End function
	.section	.AMDGPU.csdata,"",@progbits
; Kernel info:
; codeLenInByte = 1596
; NumSgprs: 26
; NumVgprs: 69
; ScratchSize: 0
; MemoryBound: 1
; FloatMode: 240
; IeeeMode: 1
; LDSByteSize: 4096 bytes/workgroup (compile time only)
; SGPRBlocks: 3
; VGPRBlocks: 8
; NumSGPRsForWavesPerEU: 26
; NumVGPRsForWavesPerEU: 69
; Occupancy: 16
; WaveLimiterHint : 0
; COMPUTE_PGM_RSRC2:SCRATCH_EN: 0
; COMPUTE_PGM_RSRC2:USER_SGPR: 13
; COMPUTE_PGM_RSRC2:TRAP_HANDLER: 0
; COMPUTE_PGM_RSRC2:TGID_X_EN: 1
; COMPUTE_PGM_RSRC2:TGID_Y_EN: 1
; COMPUTE_PGM_RSRC2:TGID_Z_EN: 1
; COMPUTE_PGM_RSRC2:TIDIG_COMP_CNT: 1
	.section	.text._ZL32rocblas_syrkx_herkx_small_kernelIi19rocblas_complex_numIfELi16ELb0ELb1ELc78ELc85EKS1_S1_EviT_T0_PT6_S3_lS6_S3_lS4_PT7_S3_li,"axG",@progbits,_ZL32rocblas_syrkx_herkx_small_kernelIi19rocblas_complex_numIfELi16ELb0ELb1ELc78ELc85EKS1_S1_EviT_T0_PT6_S3_lS6_S3_lS4_PT7_S3_li,comdat
	.globl	_ZL32rocblas_syrkx_herkx_small_kernelIi19rocblas_complex_numIfELi16ELb0ELb1ELc78ELc85EKS1_S1_EviT_T0_PT6_S3_lS6_S3_lS4_PT7_S3_li ; -- Begin function _ZL32rocblas_syrkx_herkx_small_kernelIi19rocblas_complex_numIfELi16ELb0ELb1ELc78ELc85EKS1_S1_EviT_T0_PT6_S3_lS6_S3_lS4_PT7_S3_li
	.p2align	8
	.type	_ZL32rocblas_syrkx_herkx_small_kernelIi19rocblas_complex_numIfELi16ELb0ELb1ELc78ELc85EKS1_S1_EviT_T0_PT6_S3_lS6_S3_lS4_PT7_S3_li,@function
_ZL32rocblas_syrkx_herkx_small_kernelIi19rocblas_complex_numIfELi16ELb0ELb1ELc78ELc85EKS1_S1_EviT_T0_PT6_S3_lS6_S3_lS4_PT7_S3_li: ; @_ZL32rocblas_syrkx_herkx_small_kernelIi19rocblas_complex_numIfELi16ELb0ELb1ELc78ELc85EKS1_S1_EviT_T0_PT6_S3_lS6_S3_lS4_PT7_S3_li
; %bb.0:
	s_clause 0x3
	s_load_b64 s[22:23], s[0:1], 0x0
	s_load_b128 s[8:11], s[0:1], 0x8
	s_load_b128 s[4:7], s[0:1], 0x38
	s_load_b64 s[20:21], s[0:1], 0x48
	v_dual_mov_b32 v16, 0 :: v_dual_and_b32 v9, 0x3ff, v0
	v_bfe_u32 v10, v0, 10, 10
	v_mov_b32_e32 v17, 0
	s_mov_b32 s12, 0
	s_delay_alu instid0(VALU_DEP_3) | instskip(NEXT) | instid1(VALU_DEP_3)
	v_lshl_add_u32 v0, s13, 4, v9
	v_lshl_add_u32 v2, s14, 4, v10
	s_delay_alu instid0(VALU_DEP_2) | instskip(SKIP_1) | instid1(VALU_DEP_2)
	v_ashrrev_i32_e32 v1, 31, v0
	s_waitcnt lgkmcnt(0)
	v_cmp_gt_i32_e32 vcc_lo, s22, v2
	s_cmp_lt_i32 s23, 1
	s_cbranch_scc1 .LBB369_11
; %bb.1:
	s_clause 0x2
	s_load_b32 s24, s[0:1], 0x30
	s_load_b32 s26, s[0:1], 0x18
	s_load_b128 s[16:19], s[0:1], 0x20
	v_lshlrev_b32_e32 v4, 7, v10
	v_lshlrev_b32_e32 v11, 3, v9
	v_ashrrev_i32_e32 v3, 31, v2
	s_mul_i32 s3, s5, s15
	s_mul_hi_u32 s5, s4, s15
	s_mul_i32 s4, s4, s15
	s_add_i32 s5, s5, s3
	v_add_nc_u32_e32 v12, 0x800, v4
	s_lshl_b64 s[4:5], s[4:5], 3
	v_add_nc_u32_e32 v13, v11, v4
	v_lshlrev_b64 v[3:4], 3, v[2:3]
	v_lshlrev_b64 v[5:6], 3, v[0:1]
	v_cmp_gt_i32_e64 s2, s22, v0
	v_mov_b32_e32 v17, 0
	s_waitcnt lgkmcnt(0)
	v_mad_i64_i32 v[7:8], null, s24, v9, 0
	s_mul_i32 s3, s17, s15
	s_mul_hi_u32 s13, s16, s15
	v_mad_i64_i32 v[15:16], null, s26, v10, 0
	s_add_i32 s17, s13, s3
	s_mul_i32 s16, s16, s15
	s_delay_alu instid0(VALU_DEP_2) | instskip(SKIP_3) | instid1(VALU_DEP_1)
	v_lshlrev_b64 v[7:8], 3, v[7:8]
	s_ashr_i32 s27, s26, 31
	s_ashr_i32 s25, s24, 31
	s_xor_b32 s2, s2, -1
	v_add_co_u32 v7, s3, s4, v7
	s_delay_alu instid0(VALU_DEP_1) | instskip(SKIP_1) | instid1(VALU_DEP_2)
	v_add_co_ci_u32_e64 v8, s3, s5, v8, s3
	s_lshl_b64 s[4:5], s[16:17], 3
	v_add_co_u32 v7, s3, v7, v3
	s_delay_alu instid0(VALU_DEP_1) | instskip(SKIP_1) | instid1(VALU_DEP_3)
	v_add_co_ci_u32_e64 v8, s3, v8, v4, s3
	v_lshlrev_b64 v[3:4], 3, v[15:16]
	v_add_co_u32 v7, s3, v7, s18
	s_delay_alu instid0(VALU_DEP_1) | instskip(NEXT) | instid1(VALU_DEP_3)
	v_add_co_ci_u32_e64 v8, s3, s19, v8, s3
	v_add_co_u32 v15, s3, s4, v3
	s_delay_alu instid0(VALU_DEP_1) | instskip(NEXT) | instid1(VALU_DEP_4)
	v_add_co_ci_u32_e64 v16, s3, s5, v4, s3
	v_add_co_u32 v3, s3, v7, 4
	s_delay_alu instid0(VALU_DEP_1) | instskip(NEXT) | instid1(VALU_DEP_4)
	v_add_co_ci_u32_e64 v4, s3, 0, v8, s3
	v_add_co_u32 v5, s3, v15, v5
	v_mov_b32_e32 v15, 0
	v_add_co_ci_u32_e64 v6, s3, v16, v6, s3
	s_delay_alu instid0(VALU_DEP_3) | instskip(SKIP_1) | instid1(VALU_DEP_3)
	v_add_co_u32 v5, s3, s10, v5
	v_mov_b32_e32 v7, 0
	v_add_co_ci_u32_e64 v6, s3, s11, v6, s3
	v_mov_b32_e32 v16, 0
	v_add_nc_u32_e32 v14, v12, v11
	s_lshl_b64 s[4:5], s[24:25], 7
	s_lshl_b64 s[10:11], s[26:27], 7
	s_xor_b32 s3, vcc_lo, -1
	s_branch .LBB369_3
.LBB369_2:                              ;   in Loop: Header=BB369_3 Depth=1
	s_or_b32 exec_lo, exec_lo, s13
	ds_store_b32 v14, v8 offset:4
	s_waitcnt lgkmcnt(0)
	s_barrier
	buffer_gl0_inv
	ds_load_2addr_b64 v[18:21], v11 offset1:16
	ds_load_b128 v[22:25], v12
	ds_load_b128 v[26:29], v12 offset:16
	ds_load_2addr_b64 v[30:33], v11 offset0:32 offset1:48
	ds_load_2addr_b64 v[34:37], v11 offset0:64 offset1:80
	ds_load_b128 v[38:41], v12 offset:32
	ds_load_b128 v[42:45], v12 offset:48
	ds_load_2addr_b64 v[46:49], v11 offset0:96 offset1:112
	ds_load_2addr_b64 v[50:53], v11 offset0:128 offset1:144
	;; [unrolled: 1-line block ×3, first 2 shown]
	ds_load_b128 v[58:61], v12 offset:64
	ds_load_b128 v[62:65], v12 offset:80
	v_add_co_u32 v3, vcc_lo, v3, s4
	v_add_co_ci_u32_e32 v4, vcc_lo, s5, v4, vcc_lo
	v_add_co_u32 v5, vcc_lo, v5, s10
	v_add_co_ci_u32_e32 v6, vcc_lo, s11, v6, vcc_lo
	s_add_i32 s12, s12, 16
	s_waitcnt lgkmcnt(10)
	v_mul_f32_e32 v8, v23, v19
	v_dual_mul_f32 v19, v22, v19 :: v_dual_mul_f32 v66, v25, v21
	v_mul_f32_e32 v21, v24, v21
	s_waitcnt lgkmcnt(8)
	v_dual_mul_f32 v67, v27, v31 :: v_dual_mul_f32 v68, v29, v33
	v_fma_f32 v8, v22, v18, -v8
	v_mul_f32_e32 v31, v26, v31
	v_fmac_f32_e32 v21, v25, v20
	v_fmac_f32_e32 v19, v23, v18
	v_fma_f32 v18, v24, v20, -v66
	v_dual_add_f32 v8, v17, v8 :: v_dual_mul_f32 v33, v28, v33
	s_waitcnt lgkmcnt(6)
	v_mul_f32_e32 v22, v38, v35
	v_mul_f32_e32 v69, v39, v35
	v_dual_mul_f32 v35, v41, v37 :: v_dual_add_f32 v16, v16, v19
	v_fma_f32 v19, v26, v30, -v67
	v_add_f32_e32 v8, v8, v18
	v_fma_f32 v20, v28, v32, -v68
	s_waitcnt lgkmcnt(4)
	v_dual_mul_f32 v17, v40, v37 :: v_dual_mul_f32 v18, v43, v47
	v_fmac_f32_e32 v22, v39, v34
	v_dual_add_f32 v8, v8, v19 :: v_dual_fmac_f32 v31, v27, v30
	v_add_f32_e32 v16, v16, v21
	v_fma_f32 v21, v38, v34, -v69
	s_delay_alu instid0(VALU_DEP_3) | instskip(SKIP_1) | instid1(VALU_DEP_4)
	v_dual_mul_f32 v19, v42, v47 :: v_dual_add_f32 v8, v8, v20
	v_mul_f32_e32 v20, v45, v49
	v_dual_fmac_f32 v33, v29, v32 :: v_dual_add_f32 v16, v16, v31
	v_fma_f32 v23, v40, v36, -v35
	s_delay_alu instid0(VALU_DEP_4) | instskip(SKIP_1) | instid1(VALU_DEP_4)
	v_dual_add_f32 v8, v8, v21 :: v_dual_fmac_f32 v19, v43, v46
	v_mul_f32_e32 v21, v44, v49
	v_dual_add_f32 v16, v16, v33 :: v_dual_fmac_f32 v17, v41, v36
	v_fma_f32 v18, v42, v46, -v18
	s_waitcnt lgkmcnt(1)
	v_dual_add_f32 v8, v8, v23 :: v_dual_mul_f32 v25, v61, v53
	s_delay_alu instid0(VALU_DEP_3) | instskip(SKIP_2) | instid1(VALU_DEP_3)
	v_dual_add_f32 v16, v16, v22 :: v_dual_fmac_f32 v21, v45, v48
	v_dual_mul_f32 v22, v59, v51 :: v_dual_mul_f32 v27, v60, v53
	s_waitcnt lgkmcnt(0)
	v_dual_add_f32 v8, v8, v18 :: v_dual_mul_f32 v35, v65, v57
	s_delay_alu instid0(VALU_DEP_3)
	v_add_f32_e32 v16, v16, v17
	v_fma_f32 v17, v44, v48, -v20
	v_fmac_f32_e32 v27, v61, v52
	v_fma_f32 v18, v58, v50, -v22
	v_fma_f32 v25, v60, v52, -v25
	v_add_f32_e32 v16, v16, v19
	v_add_f32_e32 v8, v8, v17
	v_mul_f32_e32 v36, v64, v57
	s_cmp_ge_i32 s12, s23
	s_delay_alu instid0(VALU_DEP_3) | instskip(NEXT) | instid1(VALU_DEP_3)
	v_add_f32_e32 v26, v16, v21
	v_add_f32_e32 v8, v8, v18
	ds_load_2addr_b64 v[16:19], v11 offset0:192 offset1:208
	ds_load_b128 v[20:23], v12 offset:96
	v_mul_f32_e32 v24, v58, v51
	v_fmac_f32_e32 v36, v65, v56
	v_add_f32_e32 v8, v8, v25
	s_delay_alu instid0(VALU_DEP_3) | instskip(NEXT) | instid1(VALU_DEP_1)
	v_fmac_f32_e32 v24, v59, v50
	v_add_f32_e32 v24, v26, v24
	v_mul_f32_e32 v26, v63, v55
	s_delay_alu instid0(VALU_DEP_2) | instskip(NEXT) | instid1(VALU_DEP_2)
	v_add_f32_e32 v33, v24, v27
	v_fma_f32 v34, v62, v54, -v26
	ds_load_2addr_b64 v[24:27], v11 offset0:224 offset1:240
	ds_load_b128 v[28:31], v12 offset:112
	v_mul_f32_e32 v32, v62, v55
	s_waitcnt lgkmcnt(0)
	s_barrier
	v_add_f32_e32 v8, v8, v34
	v_mul_f32_e32 v34, v21, v17
	v_dual_fmac_f32 v32, v63, v54 :: v_dual_mul_f32 v17, v20, v17
	buffer_gl0_inv
	v_fma_f32 v20, v20, v16, -v34
	v_add_f32_e32 v32, v33, v32
	v_fma_f32 v33, v64, v56, -v35
	v_dual_fmac_f32 v17, v21, v16 :: v_dual_mul_f32 v16, v23, v19
	s_delay_alu instid0(VALU_DEP_3) | instskip(NEXT) | instid1(VALU_DEP_3)
	v_dual_mul_f32 v19, v22, v19 :: v_dual_add_f32 v32, v32, v36
	v_add_f32_e32 v8, v8, v33
	s_delay_alu instid0(VALU_DEP_3) | instskip(NEXT) | instid1(VALU_DEP_3)
	v_fma_f32 v16, v22, v18, -v16
	v_fmac_f32_e32 v19, v23, v18
	s_delay_alu instid0(VALU_DEP_4) | instskip(NEXT) | instid1(VALU_DEP_4)
	v_add_f32_e32 v17, v32, v17
	v_add_f32_e32 v8, v8, v20
	v_mul_f32_e32 v18, v29, v25
	v_mul_f32_e32 v20, v28, v25
	s_delay_alu instid0(VALU_DEP_3) | instskip(SKIP_1) | instid1(VALU_DEP_4)
	v_add_f32_e32 v8, v8, v16
	v_add_f32_e32 v16, v17, v19
	v_fma_f32 v17, v28, v24, -v18
	s_delay_alu instid0(VALU_DEP_4) | instskip(SKIP_1) | instid1(VALU_DEP_3)
	v_fmac_f32_e32 v20, v29, v24
	v_mul_f32_e32 v18, v31, v27
	v_dual_mul_f32 v19, v30, v27 :: v_dual_add_f32 v8, v8, v17
	s_delay_alu instid0(VALU_DEP_3) | instskip(NEXT) | instid1(VALU_DEP_3)
	v_add_f32_e32 v16, v16, v20
	v_fma_f32 v17, v30, v26, -v18
	s_delay_alu instid0(VALU_DEP_3) | instskip(NEXT) | instid1(VALU_DEP_2)
	v_fmac_f32_e32 v19, v31, v26
	v_add_f32_e32 v17, v8, v17
	s_delay_alu instid0(VALU_DEP_2)
	v_add_f32_e32 v16, v16, v19
	s_cbranch_scc1 .LBB369_11
.LBB369_3:                              ; =>This Inner Loop Header: Depth=1
	v_add_nc_u32_e32 v8, s12, v10
	s_delay_alu instid0(VALU_DEP_1) | instskip(SKIP_1) | instid1(SALU_CYCLE_1)
	v_cmp_le_i32_e32 vcc_lo, s23, v8
	s_or_b32 s13, s2, vcc_lo
	s_and_saveexec_b32 s14, s13
	s_delay_alu instid0(SALU_CYCLE_1)
	s_xor_b32 s13, exec_lo, s14
	s_cbranch_execz .LBB369_5
; %bb.4:                                ;   in Loop: Header=BB369_3 Depth=1
	v_mov_b32_e32 v8, v7
	ds_store_b64 v13, v[7:8]
.LBB369_5:                              ;   in Loop: Header=BB369_3 Depth=1
	s_and_not1_saveexec_b32 s13, s13
	s_cbranch_execz .LBB369_7
; %bb.6:                                ;   in Loop: Header=BB369_3 Depth=1
	global_load_b64 v[18:19], v[5:6], off
	s_waitcnt vmcnt(0)
	ds_store_b64 v13, v[18:19]
.LBB369_7:                              ;   in Loop: Header=BB369_3 Depth=1
	s_or_b32 exec_lo, exec_lo, s13
	v_add_nc_u32_e32 v8, s12, v9
                                        ; implicit-def: $sgpr14
	s_delay_alu instid0(VALU_DEP_1) | instskip(SKIP_1) | instid1(SALU_CYCLE_1)
	v_cmp_le_i32_e32 vcc_lo, s23, v8
	s_or_b32 s13, s3, vcc_lo
	s_and_saveexec_b32 s16, s13
	s_delay_alu instid0(SALU_CYCLE_1)
	s_xor_b32 s13, exec_lo, s16
	s_cbranch_execz .LBB369_9
; %bb.8:                                ;   in Loop: Header=BB369_3 Depth=1
	s_mov_b32 s14, 0
	ds_store_b32 v14, v15
.LBB369_9:                              ;   in Loop: Header=BB369_3 Depth=1
	s_or_saveexec_b32 s13, s13
	v_mov_b32_e32 v8, s14
	s_xor_b32 exec_lo, exec_lo, s13
	s_cbranch_execz .LBB369_2
; %bb.10:                               ;   in Loop: Header=BB369_3 Depth=1
	global_load_b64 v[18:19], v[3:4], off offset:-4
	s_waitcnt vmcnt(0)
	v_xor_b32_e32 v8, 0x80000000, v19
	ds_store_b32 v14, v18
	s_branch .LBB369_2
.LBB369_11:
	v_cmp_le_i32_e32 vcc_lo, v0, v2
	v_cmp_gt_i32_e64 s2, s22, v2
	s_delay_alu instid0(VALU_DEP_1) | instskip(NEXT) | instid1(SALU_CYCLE_1)
	s_and_b32 s2, vcc_lo, s2
	s_and_saveexec_b32 s3, s2
	s_cbranch_execz .LBB369_14
; %bb.12:
	s_clause 0x1
	s_load_b32 s2, s[0:1], 0x50
	s_load_b64 s[0:1], s[0:1], 0x58
	v_lshlrev_b64 v[5:6], 3, v[0:1]
	s_waitcnt lgkmcnt(0)
	v_mad_i64_i32 v[3:4], null, s2, v2, 0
	s_mul_i32 s1, s15, s1
	s_mul_hi_u32 s2, s15, s0
	s_mul_i32 s0, s15, s0
	s_add_i32 s1, s2, s1
	s_delay_alu instid0(SALU_CYCLE_1) | instskip(NEXT) | instid1(VALU_DEP_1)
	s_lshl_b64 s[0:1], s[0:1], 3
	v_lshlrev_b64 v[3:4], 3, v[3:4]
	s_add_u32 s0, s20, s0
	s_addc_u32 s1, s21, s1
	s_delay_alu instid0(VALU_DEP_1) | instskip(NEXT) | instid1(VALU_DEP_2)
	v_add_co_u32 v1, vcc_lo, s0, v3
	v_add_co_ci_u32_e32 v4, vcc_lo, s1, v4, vcc_lo
	s_delay_alu instid0(VALU_DEP_2) | instskip(NEXT) | instid1(VALU_DEP_2)
	v_add_co_u32 v3, vcc_lo, v1, v5
	v_add_co_ci_u32_e32 v4, vcc_lo, v4, v6, vcc_lo
	v_cmp_eq_u32_e32 vcc_lo, v0, v2
	global_load_b64 v[5:6], v[3:4], off
	v_mul_f32_e32 v1, s9, v16
	s_waitcnt vmcnt(0)
	v_dual_mul_f32 v7, s8, v16 :: v_dual_mul_f32 v8, s7, v6
	v_mul_f32_e32 v6, s6, v6
	s_delay_alu instid0(VALU_DEP_3) | instskip(NEXT) | instid1(VALU_DEP_3)
	v_fma_f32 v1, v17, s8, -v1
	v_fmac_f32_e32 v7, s9, v17
	s_delay_alu instid0(VALU_DEP_4) | instskip(NEXT) | instid1(VALU_DEP_1)
	v_fma_f32 v8, v5, s6, -v8
	v_dual_fmac_f32 v6, s7, v5 :: v_dual_add_f32 v5, v1, v8
	s_delay_alu instid0(VALU_DEP_1)
	v_add_f32_e32 v6, v7, v6
	global_store_b64 v[3:4], v[5:6], off
	s_and_b32 exec_lo, exec_lo, vcc_lo
	s_cbranch_execz .LBB369_14
; %bb.13:
	v_mov_b32_e32 v0, 0
	global_store_b32 v[3:4], v0, off offset:4
.LBB369_14:
	s_nop 0
	s_sendmsg sendmsg(MSG_DEALLOC_VGPRS)
	s_endpgm
	.section	.rodata,"a",@progbits
	.p2align	6, 0x0
	.amdhsa_kernel _ZL32rocblas_syrkx_herkx_small_kernelIi19rocblas_complex_numIfELi16ELb0ELb1ELc78ELc85EKS1_S1_EviT_T0_PT6_S3_lS6_S3_lS4_PT7_S3_li
		.amdhsa_group_segment_fixed_size 4096
		.amdhsa_private_segment_fixed_size 0
		.amdhsa_kernarg_size 100
		.amdhsa_user_sgpr_count 13
		.amdhsa_user_sgpr_dispatch_ptr 0
		.amdhsa_user_sgpr_queue_ptr 0
		.amdhsa_user_sgpr_kernarg_segment_ptr 1
		.amdhsa_user_sgpr_dispatch_id 0
		.amdhsa_user_sgpr_private_segment_size 0
		.amdhsa_wavefront_size32 1
		.amdhsa_uses_dynamic_stack 0
		.amdhsa_enable_private_segment 0
		.amdhsa_system_sgpr_workgroup_id_x 1
		.amdhsa_system_sgpr_workgroup_id_y 1
		.amdhsa_system_sgpr_workgroup_id_z 1
		.amdhsa_system_sgpr_workgroup_info 0
		.amdhsa_system_vgpr_workitem_id 1
		.amdhsa_next_free_vgpr 70
		.amdhsa_next_free_sgpr 28
		.amdhsa_reserve_vcc 1
		.amdhsa_float_round_mode_32 0
		.amdhsa_float_round_mode_16_64 0
		.amdhsa_float_denorm_mode_32 3
		.amdhsa_float_denorm_mode_16_64 3
		.amdhsa_dx10_clamp 1
		.amdhsa_ieee_mode 1
		.amdhsa_fp16_overflow 0
		.amdhsa_workgroup_processor_mode 1
		.amdhsa_memory_ordered 1
		.amdhsa_forward_progress 0
		.amdhsa_shared_vgpr_count 0
		.amdhsa_exception_fp_ieee_invalid_op 0
		.amdhsa_exception_fp_denorm_src 0
		.amdhsa_exception_fp_ieee_div_zero 0
		.amdhsa_exception_fp_ieee_overflow 0
		.amdhsa_exception_fp_ieee_underflow 0
		.amdhsa_exception_fp_ieee_inexact 0
		.amdhsa_exception_int_div_zero 0
	.end_amdhsa_kernel
	.section	.text._ZL32rocblas_syrkx_herkx_small_kernelIi19rocblas_complex_numIfELi16ELb0ELb1ELc78ELc85EKS1_S1_EviT_T0_PT6_S3_lS6_S3_lS4_PT7_S3_li,"axG",@progbits,_ZL32rocblas_syrkx_herkx_small_kernelIi19rocblas_complex_numIfELi16ELb0ELb1ELc78ELc85EKS1_S1_EviT_T0_PT6_S3_lS6_S3_lS4_PT7_S3_li,comdat
.Lfunc_end369:
	.size	_ZL32rocblas_syrkx_herkx_small_kernelIi19rocblas_complex_numIfELi16ELb0ELb1ELc78ELc85EKS1_S1_EviT_T0_PT6_S3_lS6_S3_lS4_PT7_S3_li, .Lfunc_end369-_ZL32rocblas_syrkx_herkx_small_kernelIi19rocblas_complex_numIfELi16ELb0ELb1ELc78ELc85EKS1_S1_EviT_T0_PT6_S3_lS6_S3_lS4_PT7_S3_li
                                        ; -- End function
	.section	.AMDGPU.csdata,"",@progbits
; Kernel info:
; codeLenInByte = 1612
; NumSgprs: 30
; NumVgprs: 70
; ScratchSize: 0
; MemoryBound: 1
; FloatMode: 240
; IeeeMode: 1
; LDSByteSize: 4096 bytes/workgroup (compile time only)
; SGPRBlocks: 3
; VGPRBlocks: 8
; NumSGPRsForWavesPerEU: 30
; NumVGPRsForWavesPerEU: 70
; Occupancy: 16
; WaveLimiterHint : 0
; COMPUTE_PGM_RSRC2:SCRATCH_EN: 0
; COMPUTE_PGM_RSRC2:USER_SGPR: 13
; COMPUTE_PGM_RSRC2:TRAP_HANDLER: 0
; COMPUTE_PGM_RSRC2:TGID_X_EN: 1
; COMPUTE_PGM_RSRC2:TGID_Y_EN: 1
; COMPUTE_PGM_RSRC2:TGID_Z_EN: 1
; COMPUTE_PGM_RSRC2:TIDIG_COMP_CNT: 1
	.section	.text._ZL34rocblas_syrkx_herkx_general_kernelIi19rocblas_complex_numIfELi16ELi32ELi8ELb1ELb1ELc84ELc76EKS1_S1_EviT_T0_PT8_S3_lS6_S3_lS4_PT9_S3_li,"axG",@progbits,_ZL34rocblas_syrkx_herkx_general_kernelIi19rocblas_complex_numIfELi16ELi32ELi8ELb1ELb1ELc84ELc76EKS1_S1_EviT_T0_PT8_S3_lS6_S3_lS4_PT9_S3_li,comdat
	.globl	_ZL34rocblas_syrkx_herkx_general_kernelIi19rocblas_complex_numIfELi16ELi32ELi8ELb1ELb1ELc84ELc76EKS1_S1_EviT_T0_PT8_S3_lS6_S3_lS4_PT9_S3_li ; -- Begin function _ZL34rocblas_syrkx_herkx_general_kernelIi19rocblas_complex_numIfELi16ELi32ELi8ELb1ELb1ELc84ELc76EKS1_S1_EviT_T0_PT8_S3_lS6_S3_lS4_PT9_S3_li
	.p2align	8
	.type	_ZL34rocblas_syrkx_herkx_general_kernelIi19rocblas_complex_numIfELi16ELi32ELi8ELb1ELb1ELc84ELc76EKS1_S1_EviT_T0_PT8_S3_lS6_S3_lS4_PT9_S3_li,@function
_ZL34rocblas_syrkx_herkx_general_kernelIi19rocblas_complex_numIfELi16ELi32ELi8ELb1ELb1ELc84ELc76EKS1_S1_EviT_T0_PT8_S3_lS6_S3_lS4_PT9_S3_li: ; @_ZL34rocblas_syrkx_herkx_general_kernelIi19rocblas_complex_numIfELi16ELi32ELi8ELb1ELb1ELc84ELc76EKS1_S1_EviT_T0_PT8_S3_lS6_S3_lS4_PT9_S3_li
; %bb.0:
	s_clause 0x1
	s_load_b64 s[16:17], s[0:1], 0x0
	s_load_b128 s[4:7], s[0:1], 0x8
	v_dual_mov_b32 v21, 0 :: v_dual_and_b32 v6, 0x3ff, v0
	v_bfe_u32 v7, v0, 10, 10
	v_dual_mov_b32 v20, 0 :: v_dual_mov_b32 v19, 0
	v_dual_mov_b32 v18, 0 :: v_dual_mov_b32 v17, 0
	;; [unrolled: 1-line block ×3, first 2 shown]
	v_mov_b32_e32 v14, 0
	s_lshl_b32 s12, s13, 5
	s_lshl_b32 s13, s14, 5
	s_mov_b32 s14, 0
	s_waitcnt lgkmcnt(0)
	s_cmp_lt_i32 s17, 1
	s_cbranch_scc1 .LBB370_11
; %bb.1:
	s_load_b32 s2, s[0:1], 0x18
	v_lshl_add_u32 v0, v7, 4, v6
	s_clause 0x2
	s_load_b128 s[8:11], s[0:1], 0x20
	s_load_b32 s3, s[0:1], 0x30
	s_load_b64 s[18:19], s[0:1], 0x38
	v_dual_mov_b32 v15, 0 :: v_dual_and_b32 v8, 7, v6
	v_dual_mov_b32 v17, 0 :: v_dual_and_b32 v2, 31, v0
	v_lshrrev_b32_e32 v1, 3, v0
	s_delay_alu instid0(VALU_DEP_3) | instskip(SKIP_1) | instid1(VALU_DEP_4)
	v_dual_mov_b32 v19, 0 :: v_dual_lshlrev_b32 v4, 3, v8
	v_lshrrev_b32_e32 v11, 5, v0
	v_dual_mov_b32 v16, 0 :: v_dual_add_nc_u32 v3, s12, v2
	s_delay_alu instid0(VALU_DEP_4) | instskip(NEXT) | instid1(VALU_DEP_4)
	v_add_nc_u32_e32 v5, s13, v1
	v_lshl_or_b32 v13, v1, 6, v4
	v_or_b32_e32 v12, s12, v2
	v_dual_mov_b32 v21, 0 :: v_dual_lshlrev_b32 v2, 3, v2
	v_lshlrev_b32_e32 v9, 3, v6
	v_lshl_add_u32 v10, v7, 6, 0x800
	s_waitcnt lgkmcnt(0)
	v_mad_i64_i32 v[0:1], null, s2, v3, 0
	s_mul_i32 s9, s9, s15
	s_mul_hi_u32 s20, s8, s15
	v_cmp_gt_i32_e32 vcc_lo, s16, v12
	v_lshl_or_b32 v12, v11, 8, v2
	v_mad_i64_i32 v[2:3], null, s3, v5, 0
	s_delay_alu instid0(VALU_DEP_4)
	v_lshlrev_b64 v[0:1], 3, v[0:1]
	s_mul_i32 s8, s8, s15
	s_add_i32 s9, s20, s9
	v_cmp_gt_i32_e64 s2, s16, v5
	s_lshl_b64 s[8:9], s[8:9], 3
	v_dual_mov_b32 v18, 0 :: v_dual_add_nc_u32 v13, 0x800, v13
	v_add_co_u32 v5, s3, v0, s8
	s_delay_alu instid0(VALU_DEP_1)
	v_add_co_ci_u32_e64 v14, s3, s9, v1, s3
	s_mul_i32 s3, s19, s15
	s_mul_hi_u32 s8, s18, s15
	v_lshlrev_b64 v[0:1], 3, v[2:3]
	s_add_i32 s9, s8, s3
	s_mul_i32 s8, s18, s15
	v_lshlrev_b32_e32 v2, 3, v11
	s_lshl_b64 s[8:9], s[8:9], 3
	v_mov_b32_e32 v20, 0
	v_add_co_u32 v0, s3, v0, s8
	s_delay_alu instid0(VALU_DEP_1) | instskip(SKIP_1) | instid1(VALU_DEP_1)
	v_add_co_ci_u32_e64 v1, s3, s9, v1, s3
	v_add_co_u32 v2, s3, v5, v2
	v_add_co_ci_u32_e64 v3, s3, 0, v14, s3
	s_delay_alu instid0(VALU_DEP_4) | instskip(NEXT) | instid1(VALU_DEP_1)
	v_add_co_u32 v4, s3, v0, v4
	v_add_co_ci_u32_e64 v5, s3, 0, v1, s3
	s_delay_alu instid0(VALU_DEP_4) | instskip(NEXT) | instid1(VALU_DEP_1)
	;; [unrolled: 3-line block ×3, first 2 shown]
	v_add_co_u32 v2, s3, s10, v4
	v_add_co_ci_u32_e64 v3, s3, s11, v5, s3
	v_mov_b32_e32 v4, 0
	v_mov_b32_e32 v14, 0
	s_xor_b32 s3, vcc_lo, -1
	s_xor_b32 s2, s2, -1
	s_branch .LBB370_3
.LBB370_2:                              ;   in Loop: Header=BB370_3 Depth=1
	s_or_b32 exec_lo, exec_lo, s6
	s_waitcnt lgkmcnt(0)
	s_barrier
	buffer_gl0_inv
	ds_load_2addr_b64 v[22:25], v9 offset1:16
	ds_load_b128 v[26:29], v10
	ds_load_b128 v[30:33], v10 offset:1024
	ds_load_b128 v[34:37], v10 offset:16
	;; [unrolled: 1-line block ×4, first 2 shown]
	ds_load_2addr_b64 v[46:49], v9 offset0:32 offset1:48
	ds_load_b128 v[50:53], v10 offset:1040
	v_add_co_u32 v0, vcc_lo, v0, 64
	v_add_co_ci_u32_e32 v1, vcc_lo, 0, v1, vcc_lo
	v_add_co_u32 v2, vcc_lo, v2, 64
	v_add_co_ci_u32_e32 v3, vcc_lo, 0, v3, vcc_lo
	s_add_i32 s14, s14, 8
	s_delay_alu instid0(SALU_CYCLE_1)
	s_cmp_ge_i32 s14, s17
	s_waitcnt lgkmcnt(6)
	v_dual_mul_f32 v5, v27, v23 :: v_dual_mul_f32 v56, v26, v25
	v_dual_mul_f32 v54, v26, v23 :: v_dual_mul_f32 v55, v27, v25
	s_waitcnt lgkmcnt(5)
	v_mul_f32_e32 v58, v31, v25
	s_delay_alu instid0(VALU_DEP_3) | instskip(SKIP_3) | instid1(VALU_DEP_4)
	v_fma_f32 v5, v26, v22, -v5
	v_dual_mul_f32 v25, v30, v25 :: v_dual_fmac_f32 v56, v27, v24
	v_fmac_f32_e32 v54, v27, v22
	v_fma_f32 v26, v26, v24, -v55
	v_add_f32_e32 v5, v20, v5
	v_mul_f32_e32 v57, v31, v23
	s_delay_alu instid0(VALU_DEP_4) | instskip(SKIP_2) | instid1(VALU_DEP_4)
	v_dual_mul_f32 v23, v30, v23 :: v_dual_add_f32 v20, v21, v54
	v_fmac_f32_e32 v25, v31, v24
	v_dual_add_f32 v21, v18, v26 :: v_dual_add_f32 v26, v19, v56
	v_fma_f32 v27, v30, v22, -v57
	s_delay_alu instid0(VALU_DEP_4) | instskip(SKIP_3) | instid1(VALU_DEP_2)
	v_fmac_f32_e32 v23, v31, v22
	v_fma_f32 v22, v30, v24, -v58
	s_waitcnt lgkmcnt(1)
	v_mul_f32_e32 v30, v29, v47
	v_dual_add_f32 v27, v16, v27 :: v_dual_add_f32 v14, v14, v22
	v_dual_mul_f32 v22, v28, v47 :: v_dual_add_f32 v15, v15, v25
	v_mul_f32_e32 v25, v28, v49
	s_delay_alu instid0(VALU_DEP_4) | instskip(NEXT) | instid1(VALU_DEP_3)
	v_fma_f32 v24, v28, v46, -v30
	v_fmac_f32_e32 v22, v29, v46
	v_add_f32_e32 v23, v17, v23
	ds_load_2addr_b64 v[16:19], v9 offset0:64 offset1:80
	v_mul_f32_e32 v30, v29, v49
	v_fmac_f32_e32 v25, v29, v48
	v_add_f32_e32 v5, v5, v24
	s_delay_alu instid0(VALU_DEP_2) | instskip(SKIP_1) | instid1(VALU_DEP_1)
	v_add_f32_e32 v25, v26, v25
	v_mul_f32_e32 v26, v32, v49
	v_fmac_f32_e32 v26, v33, v48
	s_waitcnt lgkmcnt(0)
	s_delay_alu instid0(VALU_DEP_1) | instskip(SKIP_1) | instid1(VALU_DEP_2)
	v_dual_add_f32 v26, v15, v26 :: v_dual_mul_f32 v29, v34, v17
	v_mul_f32_e32 v15, v34, v19
	v_fmac_f32_e32 v29, v35, v16
	v_fma_f32 v24, v28, v48, -v30
	v_mul_f32_e32 v28, v33, v47
	v_add_f32_e32 v30, v20, v22
	v_mul_f32_e32 v20, v32, v47
	v_mul_f32_e32 v22, v33, v49
	v_add_f32_e32 v24, v21, v24
	v_fma_f32 v21, v32, v46, -v28
	s_delay_alu instid0(VALU_DEP_4) | instskip(SKIP_1) | instid1(VALU_DEP_3)
	v_dual_add_f32 v29, v30, v29 :: v_dual_fmac_f32 v20, v33, v46
	v_fmac_f32_e32 v15, v35, v18
	v_add_f32_e32 v27, v27, v21
	v_fma_f32 v21, v32, v48, -v22
	v_mul_f32_e32 v22, v35, v17
	v_mul_f32_e32 v32, v35, v19
	v_add_f32_e32 v28, v23, v20
	s_delay_alu instid0(VALU_DEP_4) | instskip(NEXT) | instid1(VALU_DEP_4)
	v_add_f32_e32 v14, v14, v21
	v_fma_f32 v31, v34, v16, -v22
	ds_load_2addr_b64 v[20:23], v9 offset0:96 offset1:112
	v_add_f32_e32 v5, v5, v31
	v_fma_f32 v31, v34, v18, -v32
	s_delay_alu instid0(VALU_DEP_1) | instskip(SKIP_3) | instid1(VALU_DEP_3)
	v_add_f32_e32 v24, v24, v31
	v_mul_f32_e32 v31, v51, v19
	v_mul_f32_e32 v19, v50, v19
	v_add_f32_e32 v32, v25, v15
	v_fma_f32 v15, v50, v18, -v31
	s_delay_alu instid0(VALU_DEP_3)
	v_fmac_f32_e32 v19, v51, v18
	v_mul_f32_e32 v30, v51, v17
	v_mul_f32_e32 v17, v50, v17
	s_waitcnt lgkmcnt(0)
	v_dual_mul_f32 v18, v37, v21 :: v_dual_add_f32 v31, v14, v15
	v_add_f32_e32 v33, v26, v19
	v_fma_f32 v30, v50, v16, -v30
	v_fmac_f32_e32 v17, v51, v16
	s_delay_alu instid0(VALU_DEP_4) | instskip(SKIP_1) | instid1(VALU_DEP_4)
	v_fma_f32 v18, v36, v20, -v18
	v_mul_f32_e32 v25, v36, v21
	v_dual_mul_f32 v19, v36, v23 :: v_dual_add_f32 v30, v27, v30
	s_delay_alu instid0(VALU_DEP_4) | instskip(SKIP_4) | instid1(VALU_DEP_2)
	v_add_f32_e32 v28, v28, v17
	ds_load_2addr_b64 v[14:17], v9 offset0:128 offset1:144
	v_add_f32_e32 v5, v5, v18
	v_mul_f32_e32 v18, v53, v21
	v_fmac_f32_e32 v19, v37, v22
	v_fma_f32 v18, v52, v20, -v18
	v_mul_f32_e32 v27, v37, v23
	s_delay_alu instid0(VALU_DEP_1) | instskip(NEXT) | instid1(VALU_DEP_3)
	v_fma_f32 v26, v36, v22, -v27
	v_add_f32_e32 v36, v30, v18
	s_waitcnt lgkmcnt(0)
	s_delay_alu instid0(VALU_DEP_2) | instskip(SKIP_2) | instid1(VALU_DEP_3)
	v_dual_add_f32 v35, v24, v26 :: v_dual_mul_f32 v46, v38, v15
	v_dual_fmac_f32 v25, v37, v20 :: v_dual_add_f32 v32, v32, v19
	v_mul_f32_e32 v18, v39, v15
	v_fmac_f32_e32 v46, v39, v14
	s_delay_alu instid0(VALU_DEP_3)
	v_add_f32_e32 v34, v29, v25
	v_mul_f32_e32 v29, v53, v23
	v_mul_f32_e32 v23, v52, v23
	ds_load_b128 v[24:27], v10 offset:1056
	v_add_f32_e32 v34, v34, v46
	v_fma_f32 v19, v52, v22, -v29
	v_mul_f32_e32 v21, v52, v21
	v_fmac_f32_e32 v23, v53, v22
	v_mul_f32_e32 v29, v39, v17
	s_delay_alu instid0(VALU_DEP_3) | instskip(NEXT) | instid1(VALU_DEP_3)
	v_dual_add_f32 v22, v31, v19 :: v_dual_fmac_f32 v21, v53, v20
	v_add_f32_e32 v23, v33, v23
	s_delay_alu instid0(VALU_DEP_2) | instskip(SKIP_4) | instid1(VALU_DEP_2)
	v_add_f32_e32 v37, v28, v21
	v_fma_f32 v28, v38, v14, -v18
	ds_load_2addr_b64 v[18:21], v9 offset0:160 offset1:176
	v_mul_f32_e32 v33, v38, v17
	v_fma_f32 v38, v38, v16, -v29
	v_fmac_f32_e32 v33, v39, v16
	s_delay_alu instid0(VALU_DEP_1)
	v_dual_add_f32 v35, v35, v38 :: v_dual_add_f32 v32, v32, v33
	v_add_f32_e32 v5, v5, v28
	ds_load_b128 v[28:31], v10 offset:1072
	s_waitcnt lgkmcnt(2)
	v_mul_f32_e32 v47, v25, v15
	v_mul_f32_e32 v15, v24, v15
	;; [unrolled: 1-line block ×4, first 2 shown]
	s_delay_alu instid0(VALU_DEP_4) | instskip(NEXT) | instid1(VALU_DEP_4)
	v_fma_f32 v38, v24, v14, -v47
	v_fmac_f32_e32 v15, v25, v14
	s_delay_alu instid0(VALU_DEP_4)
	v_fma_f32 v14, v24, v16, -v39
	s_waitcnt lgkmcnt(1)
	v_mul_f32_e32 v17, v41, v19
	v_dual_fmac_f32 v33, v25, v16 :: v_dual_add_f32 v36, v36, v38
	v_add_f32_e32 v24, v37, v15
	v_add_f32_e32 v22, v22, v14
	s_delay_alu instid0(VALU_DEP_4) | instskip(SKIP_2) | instid1(VALU_DEP_1)
	v_fma_f32 v37, v40, v18, -v17
	ds_load_2addr_b64 v[14:17], v9 offset0:192 offset1:208
	v_dual_mul_f32 v25, v40, v19 :: v_dual_mul_f32 v38, v41, v21
	v_fmac_f32_e32 v25, v41, v18
	s_delay_alu instid0(VALU_DEP_1) | instskip(SKIP_4) | instid1(VALU_DEP_3)
	v_add_f32_e32 v34, v34, v25
	v_add_f32_e32 v33, v23, v33
	v_mul_f32_e32 v23, v40, v21
	v_mul_f32_e32 v25, v27, v19
	;; [unrolled: 1-line block ×3, first 2 shown]
	v_fmac_f32_e32 v23, v41, v20
	s_delay_alu instid0(VALU_DEP_3) | instskip(NEXT) | instid1(VALU_DEP_2)
	v_fma_f32 v25, v26, v18, -v25
	v_dual_fmac_f32 v19, v27, v18 :: v_dual_add_f32 v18, v32, v23
	s_waitcnt lgkmcnt(0)
	v_dual_mul_f32 v32, v43, v15 :: v_dual_add_f32 v5, v5, v37
	v_fma_f32 v37, v40, v20, -v38
	s_delay_alu instid0(VALU_DEP_3) | instskip(NEXT) | instid1(VALU_DEP_3)
	v_add_f32_e32 v19, v24, v19
	v_fma_f32 v32, v42, v14, -v32
	s_delay_alu instid0(VALU_DEP_1) | instskip(NEXT) | instid1(VALU_DEP_4)
	v_add_f32_e32 v5, v5, v32
	v_add_f32_e32 v35, v35, v37
	v_mul_f32_e32 v37, v27, v21
	v_dual_mul_f32 v21, v26, v21 :: v_dual_mul_f32 v32, v29, v15
	s_delay_alu instid0(VALU_DEP_2) | instskip(NEXT) | instid1(VALU_DEP_2)
	v_fma_f32 v23, v26, v20, -v37
	v_dual_add_f32 v26, v36, v25 :: v_dual_fmac_f32 v21, v27, v20
	v_mul_f32_e32 v27, v42, v15
	v_mul_f32_e32 v15, v28, v15
	s_delay_alu instid0(VALU_DEP_4)
	v_add_f32_e32 v20, v22, v23
	ds_load_2addr_b64 v[22:25], v9 offset0:224 offset1:240
	v_fma_f32 v32, v28, v14, -v32
	v_dual_fmac_f32 v27, v43, v14 :: v_dual_mul_f32 v36, v42, v17
	v_fmac_f32_e32 v15, v29, v14
	s_waitcnt lgkmcnt(0)
	s_delay_alu instid0(VALU_DEP_3) | instskip(NEXT) | instid1(VALU_DEP_3)
	v_add_f32_e32 v14, v26, v32
	v_dual_add_f32 v27, v34, v27 :: v_dual_fmac_f32 v36, v43, v16
	s_delay_alu instid0(VALU_DEP_3)
	v_dual_mul_f32 v34, v29, v17 :: v_dual_add_f32 v15, v19, v15
	s_barrier
	buffer_gl0_inv
	v_mul_f32_e32 v26, v45, v23
	v_add_f32_e32 v21, v33, v21
	v_mul_f32_e32 v33, v43, v17
	v_mul_f32_e32 v17, v28, v17
	;; [unrolled: 1-line block ×3, first 2 shown]
	s_delay_alu instid0(VALU_DEP_3) | instskip(NEXT) | instid1(VALU_DEP_3)
	v_fma_f32 v33, v42, v16, -v33
	v_fmac_f32_e32 v17, v29, v16
	s_delay_alu instid0(VALU_DEP_3) | instskip(NEXT) | instid1(VALU_DEP_3)
	v_fmac_f32_e32 v19, v45, v24
	v_add_f32_e32 v33, v35, v33
	v_add_f32_e32 v35, v18, v36
	v_fma_f32 v18, v28, v16, -v34
	v_fma_f32 v16, v44, v22, -v26
	v_mul_f32_e32 v28, v44, v23
	v_dual_add_f32 v26, v21, v17 :: v_dual_mul_f32 v17, v30, v23
	s_delay_alu instid0(VALU_DEP_4) | instskip(NEXT) | instid1(VALU_DEP_4)
	v_dual_add_f32 v29, v20, v18 :: v_dual_mul_f32 v18, v45, v25
	v_add_f32_e32 v20, v5, v16
	v_mul_f32_e32 v16, v31, v23
	v_mul_f32_e32 v23, v31, v25
	;; [unrolled: 1-line block ×3, first 2 shown]
	v_fma_f32 v5, v44, v24, -v18
	v_fmac_f32_e32 v28, v45, v22
	v_fmac_f32_e32 v17, v31, v22
	v_add_f32_e32 v19, v35, v19
	s_delay_alu instid0(VALU_DEP_4)
	v_dual_fmac_f32 v25, v31, v24 :: v_dual_add_f32 v18, v33, v5
	v_fma_f32 v5, v30, v22, -v16
	v_fma_f32 v22, v30, v24, -v23
	v_add_f32_e32 v21, v27, v28
	v_add_f32_e32 v17, v15, v17
	;; [unrolled: 1-line block ×5, first 2 shown]
	s_cbranch_scc1 .LBB370_11
.LBB370_3:                              ; =>This Inner Loop Header: Depth=1
	v_add_nc_u32_e32 v5, s14, v11
	s_delay_alu instid0(VALU_DEP_1) | instskip(SKIP_1) | instid1(SALU_CYCLE_1)
	v_cmp_le_i32_e32 vcc_lo, s17, v5
	s_or_b32 s6, s3, vcc_lo
	s_and_saveexec_b32 s7, s6
	s_delay_alu instid0(SALU_CYCLE_1)
	s_xor_b32 s6, exec_lo, s7
	s_cbranch_execz .LBB370_5
; %bb.4:                                ;   in Loop: Header=BB370_3 Depth=1
	v_mov_b32_e32 v5, v4
	ds_store_b64 v12, v[4:5]
.LBB370_5:                              ;   in Loop: Header=BB370_3 Depth=1
	s_and_not1_saveexec_b32 s6, s6
	s_cbranch_execz .LBB370_7
; %bb.6:                                ;   in Loop: Header=BB370_3 Depth=1
	global_load_b64 v[22:23], v[0:1], off
	s_waitcnt vmcnt(0)
	ds_store_b64 v12, v[22:23]
.LBB370_7:                              ;   in Loop: Header=BB370_3 Depth=1
	s_or_b32 exec_lo, exec_lo, s6
	v_add_nc_u32_e32 v5, s14, v8
	s_delay_alu instid0(VALU_DEP_1) | instskip(SKIP_1) | instid1(SALU_CYCLE_1)
	v_cmp_le_i32_e32 vcc_lo, s17, v5
	s_or_b32 s6, vcc_lo, s2
	s_and_saveexec_b32 s7, s6
	s_delay_alu instid0(SALU_CYCLE_1)
	s_xor_b32 s6, exec_lo, s7
	s_cbranch_execz .LBB370_9
; %bb.8:                                ;   in Loop: Header=BB370_3 Depth=1
	v_mov_b32_e32 v5, v4
	ds_store_b64 v13, v[4:5]
.LBB370_9:                              ;   in Loop: Header=BB370_3 Depth=1
	s_and_not1_saveexec_b32 s6, s6
	s_cbranch_execz .LBB370_2
; %bb.10:                               ;   in Loop: Header=BB370_3 Depth=1
	global_load_b64 v[22:23], v[2:3], off
	s_waitcnt vmcnt(0)
	ds_store_b64 v13, v[22:23]
	s_branch .LBB370_2
.LBB370_11:
	s_clause 0x2
	s_load_b32 s2, s[0:1], 0x50
	s_load_b64 s[6:7], s[0:1], 0x58
	s_load_b64 s[8:9], s[0:1], 0x48
	v_add_nc_u32_e32 v5, s13, v7
	v_add_nc_u32_e32 v0, s12, v6
	s_delay_alu instid0(VALU_DEP_1)
	v_cmp_le_i32_e64 s0, v5, v0
	v_cmp_gt_i32_e32 vcc_lo, s16, v0
	s_waitcnt lgkmcnt(0)
	v_mad_i64_i32 v[1:2], null, v5, s2, 0
	s_mul_i32 s1, s15, s7
	s_mul_hi_u32 s3, s15, s6
	s_mul_i32 s6, s15, s6
	s_add_i32 s7, s3, s1
	s_delay_alu instid0(SALU_CYCLE_1) | instskip(NEXT) | instid1(VALU_DEP_1)
	s_lshl_b64 s[6:7], s[6:7], 3
	v_lshlrev_b64 v[1:2], 3, v[1:2]
	s_add_u32 s3, s8, s6
	s_addc_u32 s6, s9, s7
	s_and_b32 s0, s0, vcc_lo
	s_delay_alu instid0(VALU_DEP_1) | instskip(NEXT) | instid1(VALU_DEP_1)
	v_add_co_u32 v4, s1, s3, v1
	v_add_co_ci_u32_e64 v6, s1, s6, v2, s1
	s_and_saveexec_b32 s1, s0
	s_cbranch_execz .LBB370_14
; %bb.12:
	v_ashrrev_i32_e32 v1, 31, v0
	v_mul_f32_e32 v8, s4, v21
	v_mul_f32_e32 v3, s5, v21
	s_delay_alu instid0(VALU_DEP_3) | instskip(NEXT) | instid1(VALU_DEP_3)
	v_lshlrev_b64 v[1:2], 3, v[0:1]
	v_fmac_f32_e32 v8, s5, v20
	s_delay_alu instid0(VALU_DEP_3) | instskip(NEXT) | instid1(VALU_DEP_3)
	v_fma_f32 v7, v20, s4, -v3
	v_add_co_u32 v1, s0, v4, v1
	s_delay_alu instid0(VALU_DEP_1)
	v_add_co_ci_u32_e64 v2, s0, v6, v2, s0
	v_cmp_eq_u32_e64 s0, v5, v0
	global_store_b64 v[1:2], v[7:8], off
	s_and_b32 exec_lo, exec_lo, s0
	s_cbranch_execz .LBB370_14
; %bb.13:
	v_mov_b32_e32 v3, 0
	global_store_b32 v[1:2], v3, off offset:4
.LBB370_14:
	s_or_b32 exec_lo, exec_lo, s1
	v_add_nc_u32_e32 v2, 16, v0
	s_delay_alu instid0(VALU_DEP_1) | instskip(SKIP_1) | instid1(VALU_DEP_1)
	v_cmp_le_i32_e64 s1, v5, v2
	v_cmp_gt_i32_e64 s0, s16, v2
	s_and_b32 s1, s1, s0
	s_delay_alu instid0(SALU_CYCLE_1)
	s_and_saveexec_b32 s7, s1
	s_cbranch_execz .LBB370_17
; %bb.15:
	v_ashrrev_i32_e32 v3, 31, v2
	v_mul_f32_e32 v8, s4, v19
	v_mul_f32_e32 v1, s5, v19
	s_delay_alu instid0(VALU_DEP_3) | instskip(NEXT) | instid1(VALU_DEP_3)
	v_lshlrev_b64 v[9:10], 3, v[2:3]
	v_fmac_f32_e32 v8, s5, v18
	s_delay_alu instid0(VALU_DEP_3) | instskip(NEXT) | instid1(VALU_DEP_3)
	v_fma_f32 v7, v18, s4, -v1
	v_add_co_u32 v3, s1, v4, v9
	s_delay_alu instid0(VALU_DEP_1)
	v_add_co_ci_u32_e64 v4, s1, v6, v10, s1
	v_cmp_eq_u32_e64 s1, v5, v2
	global_store_b64 v[3:4], v[7:8], off
	s_and_b32 exec_lo, exec_lo, s1
	s_cbranch_execz .LBB370_17
; %bb.16:
	v_mov_b32_e32 v1, 0
	global_store_b32 v[3:4], v1, off offset:4
.LBB370_17:
	s_or_b32 exec_lo, exec_lo, s7
	v_add_nc_u32_e32 v8, 16, v5
	s_delay_alu instid0(VALU_DEP_1) | instskip(SKIP_1) | instid1(VALU_DEP_2)
	v_mad_i64_i32 v[3:4], null, v8, s2, 0
	v_cmp_le_i32_e64 s1, v8, v0
	v_lshlrev_b64 v[3:4], 3, v[3:4]
	s_delay_alu instid0(VALU_DEP_1) | instskip(NEXT) | instid1(VALU_DEP_1)
	v_add_co_u32 v6, s2, s3, v3
	v_add_co_ci_u32_e64 v7, s2, s6, v4, s2
	s_delay_alu instid0(VALU_DEP_4) | instskip(NEXT) | instid1(SALU_CYCLE_1)
	s_and_b32 s2, s1, vcc_lo
	s_and_saveexec_b32 s1, s2
	s_cbranch_execz .LBB370_20
; %bb.18:
	v_ashrrev_i32_e32 v1, 31, v0
	v_mul_f32_e32 v10, s4, v17
	v_mul_f32_e32 v9, s5, v17
	s_delay_alu instid0(VALU_DEP_3) | instskip(NEXT) | instid1(VALU_DEP_3)
	v_lshlrev_b64 v[3:4], 3, v[0:1]
	v_fmac_f32_e32 v10, s5, v16
	s_delay_alu instid0(VALU_DEP_3) | instskip(NEXT) | instid1(VALU_DEP_3)
	v_fma_f32 v9, v16, s4, -v9
	v_add_co_u32 v3, vcc_lo, v6, v3
	s_delay_alu instid0(VALU_DEP_4)
	v_add_co_ci_u32_e32 v4, vcc_lo, v7, v4, vcc_lo
	v_cmp_eq_u32_e32 vcc_lo, v8, v0
	global_store_b64 v[3:4], v[9:10], off
	s_and_b32 exec_lo, exec_lo, vcc_lo
	s_cbranch_execz .LBB370_20
; %bb.19:
	v_mov_b32_e32 v1, 0
	global_store_b32 v[3:4], v1, off offset:4
.LBB370_20:
	s_or_b32 exec_lo, exec_lo, s1
	v_cmp_le_i32_e32 vcc_lo, v8, v2
	s_and_b32 s0, vcc_lo, s0
	s_delay_alu instid0(SALU_CYCLE_1)
	s_and_saveexec_b32 s1, s0
	s_cbranch_execz .LBB370_23
; %bb.21:
	v_ashrrev_i32_e32 v3, 31, v2
	v_mul_f32_e32 v8, s5, v15
	v_mul_f32_e32 v4, s4, v15
	s_delay_alu instid0(VALU_DEP_3) | instskip(NEXT) | instid1(VALU_DEP_3)
	v_lshlrev_b64 v[1:2], 3, v[2:3]
	v_fma_f32 v3, v14, s4, -v8
	s_delay_alu instid0(VALU_DEP_3) | instskip(NEXT) | instid1(VALU_DEP_3)
	v_fmac_f32_e32 v4, s5, v14
	v_add_co_u32 v1, vcc_lo, v6, v1
	s_delay_alu instid0(VALU_DEP_4)
	v_add_co_ci_u32_e32 v2, vcc_lo, v7, v2, vcc_lo
	v_cmp_eq_u32_e32 vcc_lo, v5, v0
	global_store_b64 v[1:2], v[3:4], off
	s_and_b32 exec_lo, exec_lo, vcc_lo
	s_cbranch_execz .LBB370_23
; %bb.22:
	v_mov_b32_e32 v0, 0
	global_store_b32 v[1:2], v0, off offset:4
.LBB370_23:
	s_nop 0
	s_sendmsg sendmsg(MSG_DEALLOC_VGPRS)
	s_endpgm
	.section	.rodata,"a",@progbits
	.p2align	6, 0x0
	.amdhsa_kernel _ZL34rocblas_syrkx_herkx_general_kernelIi19rocblas_complex_numIfELi16ELi32ELi8ELb1ELb1ELc84ELc76EKS1_S1_EviT_T0_PT8_S3_lS6_S3_lS4_PT9_S3_li
		.amdhsa_group_segment_fixed_size 4096
		.amdhsa_private_segment_fixed_size 0
		.amdhsa_kernarg_size 100
		.amdhsa_user_sgpr_count 13
		.amdhsa_user_sgpr_dispatch_ptr 0
		.amdhsa_user_sgpr_queue_ptr 0
		.amdhsa_user_sgpr_kernarg_segment_ptr 1
		.amdhsa_user_sgpr_dispatch_id 0
		.amdhsa_user_sgpr_private_segment_size 0
		.amdhsa_wavefront_size32 1
		.amdhsa_uses_dynamic_stack 0
		.amdhsa_enable_private_segment 0
		.amdhsa_system_sgpr_workgroup_id_x 1
		.amdhsa_system_sgpr_workgroup_id_y 1
		.amdhsa_system_sgpr_workgroup_id_z 1
		.amdhsa_system_sgpr_workgroup_info 0
		.amdhsa_system_vgpr_workitem_id 1
		.amdhsa_next_free_vgpr 59
		.amdhsa_next_free_sgpr 21
		.amdhsa_reserve_vcc 1
		.amdhsa_float_round_mode_32 0
		.amdhsa_float_round_mode_16_64 0
		.amdhsa_float_denorm_mode_32 3
		.amdhsa_float_denorm_mode_16_64 3
		.amdhsa_dx10_clamp 1
		.amdhsa_ieee_mode 1
		.amdhsa_fp16_overflow 0
		.amdhsa_workgroup_processor_mode 1
		.amdhsa_memory_ordered 1
		.amdhsa_forward_progress 0
		.amdhsa_shared_vgpr_count 0
		.amdhsa_exception_fp_ieee_invalid_op 0
		.amdhsa_exception_fp_denorm_src 0
		.amdhsa_exception_fp_ieee_div_zero 0
		.amdhsa_exception_fp_ieee_overflow 0
		.amdhsa_exception_fp_ieee_underflow 0
		.amdhsa_exception_fp_ieee_inexact 0
		.amdhsa_exception_int_div_zero 0
	.end_amdhsa_kernel
	.section	.text._ZL34rocblas_syrkx_herkx_general_kernelIi19rocblas_complex_numIfELi16ELi32ELi8ELb1ELb1ELc84ELc76EKS1_S1_EviT_T0_PT8_S3_lS6_S3_lS4_PT9_S3_li,"axG",@progbits,_ZL34rocblas_syrkx_herkx_general_kernelIi19rocblas_complex_numIfELi16ELi32ELi8ELb1ELb1ELc84ELc76EKS1_S1_EviT_T0_PT8_S3_lS6_S3_lS4_PT9_S3_li,comdat
.Lfunc_end370:
	.size	_ZL34rocblas_syrkx_herkx_general_kernelIi19rocblas_complex_numIfELi16ELi32ELi8ELb1ELb1ELc84ELc76EKS1_S1_EviT_T0_PT8_S3_lS6_S3_lS4_PT9_S3_li, .Lfunc_end370-_ZL34rocblas_syrkx_herkx_general_kernelIi19rocblas_complex_numIfELi16ELi32ELi8ELb1ELb1ELc84ELc76EKS1_S1_EviT_T0_PT8_S3_lS6_S3_lS4_PT9_S3_li
                                        ; -- End function
	.section	.AMDGPU.csdata,"",@progbits
; Kernel info:
; codeLenInByte = 2556
; NumSgprs: 23
; NumVgprs: 59
; ScratchSize: 0
; MemoryBound: 1
; FloatMode: 240
; IeeeMode: 1
; LDSByteSize: 4096 bytes/workgroup (compile time only)
; SGPRBlocks: 2
; VGPRBlocks: 7
; NumSGPRsForWavesPerEU: 23
; NumVGPRsForWavesPerEU: 59
; Occupancy: 16
; WaveLimiterHint : 0
; COMPUTE_PGM_RSRC2:SCRATCH_EN: 0
; COMPUTE_PGM_RSRC2:USER_SGPR: 13
; COMPUTE_PGM_RSRC2:TRAP_HANDLER: 0
; COMPUTE_PGM_RSRC2:TGID_X_EN: 1
; COMPUTE_PGM_RSRC2:TGID_Y_EN: 1
; COMPUTE_PGM_RSRC2:TGID_Z_EN: 1
; COMPUTE_PGM_RSRC2:TIDIG_COMP_CNT: 1
	.section	.text._ZL34rocblas_syrkx_herkx_general_kernelIi19rocblas_complex_numIfELi16ELi32ELi8ELb1ELb1ELc67ELc76EKS1_S1_EviT_T0_PT8_S3_lS6_S3_lS4_PT9_S3_li,"axG",@progbits,_ZL34rocblas_syrkx_herkx_general_kernelIi19rocblas_complex_numIfELi16ELi32ELi8ELb1ELb1ELc67ELc76EKS1_S1_EviT_T0_PT8_S3_lS6_S3_lS4_PT9_S3_li,comdat
	.globl	_ZL34rocblas_syrkx_herkx_general_kernelIi19rocblas_complex_numIfELi16ELi32ELi8ELb1ELb1ELc67ELc76EKS1_S1_EviT_T0_PT8_S3_lS6_S3_lS4_PT9_S3_li ; -- Begin function _ZL34rocblas_syrkx_herkx_general_kernelIi19rocblas_complex_numIfELi16ELi32ELi8ELb1ELb1ELc67ELc76EKS1_S1_EviT_T0_PT8_S3_lS6_S3_lS4_PT9_S3_li
	.p2align	8
	.type	_ZL34rocblas_syrkx_herkx_general_kernelIi19rocblas_complex_numIfELi16ELi32ELi8ELb1ELb1ELc67ELc76EKS1_S1_EviT_T0_PT8_S3_lS6_S3_lS4_PT9_S3_li,@function
_ZL34rocblas_syrkx_herkx_general_kernelIi19rocblas_complex_numIfELi16ELi32ELi8ELb1ELb1ELc67ELc76EKS1_S1_EviT_T0_PT8_S3_lS6_S3_lS4_PT9_S3_li: ; @_ZL34rocblas_syrkx_herkx_general_kernelIi19rocblas_complex_numIfELi16ELi32ELi8ELb1ELb1ELc67ELc76EKS1_S1_EviT_T0_PT8_S3_lS6_S3_lS4_PT9_S3_li
; %bb.0:
	s_clause 0x1
	s_load_b64 s[16:17], s[0:1], 0x0
	s_load_b128 s[4:7], s[0:1], 0x8
	v_dual_mov_b32 v21, 0 :: v_dual_and_b32 v6, 0x3ff, v0
	v_bfe_u32 v7, v0, 10, 10
	v_dual_mov_b32 v22, 0 :: v_dual_mov_b32 v19, 0
	v_dual_mov_b32 v20, 0 :: v_dual_mov_b32 v17, 0
	;; [unrolled: 1-line block ×3, first 2 shown]
	v_mov_b32_e32 v16, 0
	s_lshl_b32 s12, s13, 5
	s_lshl_b32 s13, s14, 5
	s_mov_b32 s14, 0
	s_waitcnt lgkmcnt(0)
	s_cmp_lt_i32 s17, 1
	s_cbranch_scc1 .LBB371_11
; %bb.1:
	s_load_b32 s2, s[0:1], 0x18
	v_lshl_add_u32 v0, v7, 4, v6
	s_clause 0x2
	s_load_b128 s[8:11], s[0:1], 0x20
	s_load_b32 s3, s[0:1], 0x30
	s_load_b64 s[18:19], s[0:1], 0x38
	v_and_b32_e32 v8, 7, v6
	v_lshlrev_b32_e32 v9, 3, v6
	v_dual_mov_b32 v17, 0 :: v_dual_and_b32 v2, 31, v0
	v_lshrrev_b32_e32 v1, 3, v0
	s_delay_alu instid0(VALU_DEP_4) | instskip(SKIP_1) | instid1(VALU_DEP_4)
	v_dual_mov_b32 v19, 0 :: v_dual_lshlrev_b32 v4, 3, v8
	v_lshrrev_b32_e32 v11, 5, v0
	v_dual_mov_b32 v16, 0 :: v_dual_add_nc_u32 v3, s12, v2
	s_delay_alu instid0(VALU_DEP_4) | instskip(NEXT) | instid1(VALU_DEP_4)
	v_add_nc_u32_e32 v5, s13, v1
	v_lshl_or_b32 v13, v1, 6, v4
	v_or_b32_e32 v12, s12, v2
	v_dual_mov_b32 v21, 0 :: v_dual_lshlrev_b32 v2, 3, v2
	v_dual_mov_b32 v20, 0 :: v_dual_lshlrev_b32 v15, 3, v11
	s_waitcnt lgkmcnt(0)
	v_mad_i64_i32 v[0:1], null, s2, v3, 0
	s_mul_i32 s9, s9, s15
	s_mul_hi_u32 s20, s8, s15
	v_cmp_gt_i32_e32 vcc_lo, s16, v12
	v_lshl_or_b32 v12, v11, 8, v2
	v_mad_i64_i32 v[2:3], null, s3, v5, 0
	s_delay_alu instid0(VALU_DEP_4)
	v_lshlrev_b64 v[0:1], 3, v[0:1]
	s_mul_i32 s8, s8, s15
	s_add_i32 s9, s20, s9
	v_cmp_gt_i32_e64 s2, s16, v5
	s_lshl_b64 s[8:9], s[8:9], 3
	v_lshl_add_u32 v10, v7, 6, 0x800
	v_add_co_u32 v5, s3, v0, s8
	s_delay_alu instid0(VALU_DEP_1)
	v_add_co_ci_u32_e64 v14, s3, s9, v1, s3
	s_mul_i32 s3, s19, s15
	s_mul_hi_u32 s8, s18, s15
	v_lshlrev_b64 v[0:1], 3, v[2:3]
	s_add_i32 s9, s8, s3
	s_mul_i32 s8, s18, s15
	v_add_co_u32 v2, s3, v5, v15
	s_lshl_b64 s[8:9], s[8:9], 3
	v_add_co_ci_u32_e64 v3, s3, 0, v14, s3
	v_add_co_u32 v0, s3, v0, s8
	s_delay_alu instid0(VALU_DEP_1) | instskip(SKIP_1) | instid1(VALU_DEP_1)
	v_add_co_ci_u32_e64 v1, s3, s9, v1, s3
	v_add_co_u32 v2, s3, v2, s6
	v_add_co_ci_u32_e64 v3, s3, s7, v3, s3
	s_delay_alu instid0(VALU_DEP_4) | instskip(NEXT) | instid1(VALU_DEP_1)
	v_add_co_u32 v4, s3, v0, v4
	v_add_co_ci_u32_e64 v5, s3, 0, v1, s3
	s_delay_alu instid0(VALU_DEP_4) | instskip(NEXT) | instid1(VALU_DEP_1)
	v_add_co_u32 v0, s3, v2, 4
	v_add_co_ci_u32_e64 v1, s3, 0, v3, s3
	s_delay_alu instid0(VALU_DEP_4)
	v_add_co_u32 v2, s3, s10, v4
	v_dual_mov_b32 v18, 0 :: v_dual_add_nc_u32 v13, 0x800, v13
	v_add_co_ci_u32_e64 v3, s3, s11, v5, s3
	v_mov_b32_e32 v4, 0
	v_dual_mov_b32 v14, 0 :: v_dual_mov_b32 v15, 0
	v_mov_b32_e32 v22, 0
	s_xor_b32 s3, vcc_lo, -1
	s_xor_b32 s2, s2, -1
	s_branch .LBB371_3
.LBB371_2:                              ;   in Loop: Header=BB371_3 Depth=1
	s_or_b32 exec_lo, exec_lo, s6
	s_waitcnt lgkmcnt(0)
	s_barrier
	buffer_gl0_inv
	ds_load_2addr_b64 v[23:26], v9 offset1:16
	ds_load_b128 v[27:30], v10
	ds_load_b128 v[31:34], v10 offset:1024
	ds_load_b128 v[35:38], v10 offset:16
	;; [unrolled: 1-line block ×4, first 2 shown]
	ds_load_2addr_b64 v[47:50], v9 offset0:32 offset1:48
	ds_load_b128 v[51:54], v10 offset:1040
	v_add_co_u32 v0, vcc_lo, v0, 64
	v_add_co_ci_u32_e32 v1, vcc_lo, 0, v1, vcc_lo
	v_add_co_u32 v2, vcc_lo, v2, 64
	v_add_co_ci_u32_e32 v3, vcc_lo, 0, v3, vcc_lo
	s_add_i32 s14, s14, 8
	s_delay_alu instid0(SALU_CYCLE_1)
	s_cmp_ge_i32 s14, s17
	s_waitcnt lgkmcnt(6)
	v_mul_f32_e32 v5, v28, v24
	v_dual_mul_f32 v55, v27, v24 :: v_dual_mul_f32 v56, v28, v26
	s_waitcnt lgkmcnt(5)
	v_dual_mul_f32 v57, v27, v26 :: v_dual_mul_f32 v58, v32, v24
	v_dual_mul_f32 v24, v31, v24 :: v_dual_mul_f32 v59, v32, v26
	v_mul_f32_e32 v26, v31, v26
	v_fma_f32 v5, v27, v23, -v5
	v_fmac_f32_e32 v55, v28, v23
	v_fma_f32 v27, v27, v25, -v56
	v_fmac_f32_e32 v57, v28, v25
	v_fma_f32 v28, v31, v23, -v58
	v_dual_fmac_f32 v24, v32, v23 :: v_dual_add_f32 v5, v21, v5
	v_fma_f32 v23, v31, v25, -v59
	v_fmac_f32_e32 v26, v32, v25
	s_delay_alu instid0(VALU_DEP_4)
	v_dual_add_f32 v28, v17, v28 :: v_dual_add_f32 v21, v22, v55
	v_dual_add_f32 v22, v19, v27 :: v_dual_add_f32 v27, v20, v57
	v_add_f32_e32 v24, v18, v24
	ds_load_2addr_b64 v[17:20], v9 offset0:64 offset1:80
	s_waitcnt lgkmcnt(2)
	v_dual_mul_f32 v31, v30, v48 :: v_dual_add_f32 v16, v16, v26
	v_dual_add_f32 v15, v15, v23 :: v_dual_mul_f32 v26, v29, v50
	v_mul_f32_e32 v23, v29, v48
	s_delay_alu instid0(VALU_DEP_3) | instskip(SKIP_1) | instid1(VALU_DEP_4)
	v_fma_f32 v25, v29, v47, -v31
	v_mul_f32_e32 v31, v30, v50
	v_fmac_f32_e32 v26, v30, v49
	s_delay_alu instid0(VALU_DEP_4) | instskip(NEXT) | instid1(VALU_DEP_2)
	v_fmac_f32_e32 v23, v30, v47
	v_dual_add_f32 v5, v5, v25 :: v_dual_add_f32 v26, v27, v26
	v_mul_f32_e32 v27, v33, v50
	s_waitcnt lgkmcnt(0)
	s_delay_alu instid0(VALU_DEP_1) | instskip(NEXT) | instid1(VALU_DEP_1)
	v_dual_fmac_f32 v27, v34, v49 :: v_dual_mul_f32 v30, v35, v18
	v_add_f32_e32 v27, v16, v27
	s_delay_alu instid0(VALU_DEP_2) | instskip(SKIP_4) | instid1(VALU_DEP_3)
	v_fmac_f32_e32 v30, v36, v17
	v_fma_f32 v25, v29, v49, -v31
	v_dual_add_f32 v31, v21, v23 :: v_dual_mul_f32 v16, v35, v20
	v_mul_f32_e32 v29, v34, v48
	v_mul_f32_e32 v23, v34, v50
	v_dual_add_f32 v25, v22, v25 :: v_dual_add_f32 v30, v31, v30
	s_delay_alu instid0(VALU_DEP_4) | instskip(NEXT) | instid1(VALU_DEP_4)
	v_fmac_f32_e32 v16, v36, v19
	v_fma_f32 v22, v33, v47, -v29
	v_mul_f32_e32 v21, v33, v48
	v_mul_f32_e32 v31, v52, v18
	s_delay_alu instid0(VALU_DEP_3) | instskip(SKIP_1) | instid1(VALU_DEP_3)
	v_add_f32_e32 v28, v28, v22
	v_fma_f32 v22, v33, v49, -v23
	v_fma_f32 v31, v51, v17, -v31
	s_delay_alu instid0(VALU_DEP_2) | instskip(SKIP_2) | instid1(VALU_DEP_2)
	v_add_f32_e32 v15, v15, v22
	v_mul_f32_e32 v23, v36, v18
	v_dual_mul_f32 v18, v51, v18 :: v_dual_fmac_f32 v21, v34, v47
	v_fma_f32 v32, v35, v17, -v23
	s_delay_alu instid0(VALU_DEP_2) | instskip(NEXT) | instid1(VALU_DEP_3)
	v_fmac_f32_e32 v18, v52, v17
	v_add_f32_e32 v29, v24, v21
	ds_load_2addr_b64 v[21:24], v9 offset0:96 offset1:112
	v_mul_f32_e32 v33, v36, v20
	v_add_f32_e32 v5, v5, v32
	v_add_f32_e32 v31, v28, v31
	s_delay_alu instid0(VALU_DEP_3) | instskip(NEXT) | instid1(VALU_DEP_1)
	v_fma_f32 v32, v35, v19, -v33
	v_add_f32_e32 v25, v25, v32
	v_mul_f32_e32 v32, v52, v20
	v_mul_f32_e32 v20, v51, v20
	s_delay_alu instid0(VALU_DEP_1) | instskip(SKIP_2) | instid1(VALU_DEP_2)
	v_fmac_f32_e32 v20, v52, v19
	s_waitcnt lgkmcnt(0)
	v_mul_f32_e32 v28, v38, v24
	v_add_f32_e32 v34, v27, v20
	v_mul_f32_e32 v20, v37, v24
	s_delay_alu instid0(VALU_DEP_3)
	v_fma_f32 v27, v37, v23, -v28
	v_add_f32_e32 v33, v26, v16
	v_fma_f32 v16, v51, v19, -v32
	v_mul_f32_e32 v26, v37, v22
	v_add_f32_e32 v29, v29, v18
	v_mul_f32_e32 v19, v38, v22
	v_fmac_f32_e32 v20, v38, v23
	v_add_f32_e32 v32, v15, v16
	ds_load_2addr_b64 v[15:18], v9 offset0:128 offset1:144
	v_fmac_f32_e32 v26, v38, v21
	s_delay_alu instid0(VALU_DEP_1) | instskip(SKIP_3) | instid1(VALU_DEP_2)
	v_add_f32_e32 v35, v30, v26
	v_mul_f32_e32 v30, v54, v24
	v_mul_f32_e32 v24, v53, v24
	v_fma_f32 v19, v37, v21, -v19
	v_fmac_f32_e32 v24, v54, v23
	s_delay_alu instid0(VALU_DEP_1) | instskip(SKIP_2) | instid1(VALU_DEP_1)
	v_dual_add_f32 v5, v5, v19 :: v_dual_add_f32 v24, v34, v24
	s_waitcnt lgkmcnt(0)
	v_mul_f32_e32 v34, v39, v18
	v_dual_mul_f32 v19, v54, v22 :: v_dual_fmac_f32 v34, v40, v17
	s_delay_alu instid0(VALU_DEP_1) | instskip(NEXT) | instid1(VALU_DEP_1)
	v_fma_f32 v19, v53, v21, -v19
	v_dual_mul_f32 v22, v53, v22 :: v_dual_add_f32 v37, v31, v19
	s_delay_alu instid0(VALU_DEP_1)
	v_fmac_f32_e32 v22, v54, v21
	v_add_f32_e32 v36, v25, v27
	ds_load_b128 v[25:28], v10 offset:1056
	v_add_f32_e32 v33, v33, v20
	v_fma_f32 v20, v53, v23, -v30
	v_dual_mul_f32 v19, v40, v16 :: v_dual_add_f32 v38, v29, v22
	v_dual_mul_f32 v47, v39, v16 :: v_dual_mul_f32 v30, v40, v18
	s_delay_alu instid0(VALU_DEP_3) | instskip(NEXT) | instid1(VALU_DEP_3)
	v_add_f32_e32 v23, v32, v20
	v_fma_f32 v29, v39, v15, -v19
	ds_load_2addr_b64 v[19:22], v9 offset0:160 offset1:176
	v_fmac_f32_e32 v47, v40, v15
	v_fma_f32 v39, v39, v17, -v30
	v_add_f32_e32 v5, v5, v29
	ds_load_b128 v[29:32], v10 offset:1072
	v_add_f32_e32 v36, v36, v39
	s_waitcnt lgkmcnt(2)
	v_mul_f32_e32 v48, v26, v16
	v_mul_f32_e32 v16, v25, v16
	v_dual_mul_f32 v40, v26, v18 :: v_dual_add_f32 v35, v35, v47
	v_add_f32_e32 v33, v33, v34
	s_delay_alu instid0(VALU_DEP_4) | instskip(NEXT) | instid1(VALU_DEP_4)
	v_fma_f32 v39, v25, v15, -v48
	v_fmac_f32_e32 v16, v26, v15
	v_mul_f32_e32 v34, v25, v18
	v_fma_f32 v15, v25, v17, -v40
	s_waitcnt lgkmcnt(1)
	v_dual_mul_f32 v18, v42, v20 :: v_dual_add_f32 v37, v37, v39
	v_mul_f32_e32 v39, v42, v22
	v_fmac_f32_e32 v34, v26, v17
	v_add_f32_e32 v25, v38, v16
	v_add_f32_e32 v23, v23, v15
	v_fma_f32 v38, v41, v19, -v18
	v_mul_f32_e32 v26, v41, v20
	ds_load_2addr_b64 v[15:18], v9 offset0:192 offset1:208
	v_add_f32_e32 v5, v5, v38
	v_add_f32_e32 v34, v24, v34
	v_mul_f32_e32 v24, v41, v22
	v_fma_f32 v38, v41, v21, -v39
	s_delay_alu instid0(VALU_DEP_2) | instskip(SKIP_1) | instid1(VALU_DEP_3)
	v_fmac_f32_e32 v24, v42, v21
	v_fmac_f32_e32 v26, v42, v19
	v_add_f32_e32 v36, v36, v38
	s_delay_alu instid0(VALU_DEP_2) | instskip(NEXT) | instid1(VALU_DEP_1)
	v_dual_add_f32 v35, v35, v26 :: v_dual_mul_f32 v26, v28, v20
	v_fma_f32 v26, v27, v19, -v26
	v_mul_f32_e32 v20, v27, v20
	s_delay_alu instid0(VALU_DEP_1) | instskip(SKIP_2) | instid1(VALU_DEP_1)
	v_dual_fmac_f32 v20, v28, v19 :: v_dual_add_f32 v19, v33, v24
	s_waitcnt lgkmcnt(0)
	v_mul_f32_e32 v33, v44, v16
	v_fma_f32 v33, v43, v15, -v33
	v_mul_f32_e32 v38, v28, v22
	s_delay_alu instid0(VALU_DEP_2) | instskip(NEXT) | instid1(VALU_DEP_2)
	v_dual_mul_f32 v22, v27, v22 :: v_dual_add_f32 v5, v5, v33
	v_fma_f32 v24, v27, v21, -v38
	v_add_f32_e32 v27, v37, v26
	v_mul_f32_e32 v37, v43, v18
	v_mul_f32_e32 v33, v30, v16
	s_delay_alu instid0(VALU_DEP_2)
	v_dual_add_f32 v20, v25, v20 :: v_dual_fmac_f32 v37, v44, v17
	v_dual_fmac_f32 v22, v28, v21 :: v_dual_add_f32 v21, v23, v24
	ds_load_2addr_b64 v[23:26], v9 offset0:224 offset1:240
	v_mul_f32_e32 v28, v43, v16
	v_mul_f32_e32 v16, v29, v16
	v_fma_f32 v33, v29, v15, -v33
	s_waitcnt lgkmcnt(0)
	s_barrier
	v_fmac_f32_e32 v28, v44, v15
	s_delay_alu instid0(VALU_DEP_2)
	v_dual_fmac_f32 v16, v30, v15 :: v_dual_add_f32 v15, v27, v33
	buffer_gl0_inv
	v_dual_add_f32 v28, v35, v28 :: v_dual_mul_f32 v35, v30, v18
	v_mul_f32_e32 v27, v46, v24
	v_add_f32_e32 v22, v34, v22
	v_mul_f32_e32 v34, v44, v18
	s_delay_alu instid0(VALU_DEP_1) | instskip(NEXT) | instid1(VALU_DEP_1)
	v_fma_f32 v34, v43, v17, -v34
	v_add_f32_e32 v34, v36, v34
	v_add_f32_e32 v36, v19, v37
	v_mul_f32_e32 v18, v29, v18
	v_fma_f32 v19, v29, v17, -v35
	s_delay_alu instid0(VALU_DEP_2) | instskip(NEXT) | instid1(VALU_DEP_2)
	v_dual_mul_f32 v29, v45, v24 :: v_dual_fmac_f32 v18, v30, v17
	v_add_f32_e32 v30, v21, v19
	v_fma_f32 v17, v45, v23, -v27
	v_mul_f32_e32 v19, v46, v26
	s_delay_alu instid0(VALU_DEP_4) | instskip(SKIP_1) | instid1(VALU_DEP_4)
	v_fmac_f32_e32 v29, v46, v23
	v_dual_add_f32 v27, v22, v18 :: v_dual_mul_f32 v18, v31, v24
	v_add_f32_e32 v21, v5, v17
	s_delay_alu instid0(VALU_DEP_4)
	v_fma_f32 v5, v45, v25, -v19
	v_mul_f32_e32 v17, v32, v24
	v_mul_f32_e32 v24, v32, v26
	v_fmac_f32_e32 v18, v32, v23
	v_add_f32_e32 v22, v28, v29
	v_add_f32_e32 v19, v34, v5
	v_fma_f32 v5, v31, v23, -v17
	v_fma_f32 v23, v31, v25, -v24
	v_add_f32_e32 v16, v20, v16
	v_mul_f32_e32 v20, v45, v26
	v_mul_f32_e32 v26, v31, v26
	v_add_f32_e32 v17, v15, v5
	s_delay_alu instid0(VALU_DEP_4) | instskip(NEXT) | instid1(VALU_DEP_4)
	v_dual_add_f32 v15, v30, v23 :: v_dual_add_f32 v18, v16, v18
	v_fmac_f32_e32 v20, v46, v25
	s_delay_alu instid0(VALU_DEP_4) | instskip(NEXT) | instid1(VALU_DEP_2)
	v_fmac_f32_e32 v26, v32, v25
	v_add_f32_e32 v20, v36, v20
	s_delay_alu instid0(VALU_DEP_2)
	v_add_f32_e32 v16, v27, v26
	s_cbranch_scc1 .LBB371_11
.LBB371_3:                              ; =>This Inner Loop Header: Depth=1
	v_add_nc_u32_e32 v5, s14, v11
                                        ; implicit-def: $sgpr7
	s_delay_alu instid0(VALU_DEP_1) | instskip(SKIP_1) | instid1(SALU_CYCLE_1)
	v_cmp_le_i32_e32 vcc_lo, s17, v5
	s_or_b32 s6, s3, vcc_lo
	s_and_saveexec_b32 s8, s6
	s_delay_alu instid0(SALU_CYCLE_1)
	s_xor_b32 s6, exec_lo, s8
	s_cbranch_execz .LBB371_5
; %bb.4:                                ;   in Loop: Header=BB371_3 Depth=1
	s_mov_b32 s7, 0
	ds_store_b32 v12, v14
.LBB371_5:                              ;   in Loop: Header=BB371_3 Depth=1
	s_or_saveexec_b32 s6, s6
	v_mov_b32_e32 v5, s7
	s_xor_b32 exec_lo, exec_lo, s6
	s_cbranch_execz .LBB371_7
; %bb.6:                                ;   in Loop: Header=BB371_3 Depth=1
	global_load_b64 v[23:24], v[0:1], off offset:-4
	s_waitcnt vmcnt(0)
	v_xor_b32_e32 v5, 0x80000000, v24
	ds_store_b32 v12, v23
.LBB371_7:                              ;   in Loop: Header=BB371_3 Depth=1
	s_or_b32 exec_lo, exec_lo, s6
	v_add_nc_u32_e32 v23, s14, v8
	ds_store_b32 v12, v5 offset:4
	v_cmp_le_i32_e32 vcc_lo, s17, v23
	s_or_b32 s6, vcc_lo, s2
	s_delay_alu instid0(SALU_CYCLE_1) | instskip(NEXT) | instid1(SALU_CYCLE_1)
	s_and_saveexec_b32 s7, s6
	s_xor_b32 s6, exec_lo, s7
	s_cbranch_execz .LBB371_9
; %bb.8:                                ;   in Loop: Header=BB371_3 Depth=1
	v_mov_b32_e32 v5, v4
	ds_store_b64 v13, v[4:5]
.LBB371_9:                              ;   in Loop: Header=BB371_3 Depth=1
	s_and_not1_saveexec_b32 s6, s6
	s_cbranch_execz .LBB371_2
; %bb.10:                               ;   in Loop: Header=BB371_3 Depth=1
	global_load_b64 v[23:24], v[2:3], off
	s_waitcnt vmcnt(0)
	ds_store_b64 v13, v[23:24]
	s_branch .LBB371_2
.LBB371_11:
	s_clause 0x2
	s_load_b32 s2, s[0:1], 0x50
	s_load_b64 s[6:7], s[0:1], 0x58
	s_load_b64 s[8:9], s[0:1], 0x48
	v_add_nc_u32_e32 v5, s13, v7
	v_add_nc_u32_e32 v0, s12, v6
	s_delay_alu instid0(VALU_DEP_1)
	v_cmp_le_i32_e64 s0, v5, v0
	v_cmp_gt_i32_e32 vcc_lo, s16, v0
	s_waitcnt lgkmcnt(0)
	v_mad_i64_i32 v[1:2], null, v5, s2, 0
	s_mul_i32 s1, s15, s7
	s_mul_hi_u32 s3, s15, s6
	s_mul_i32 s6, s15, s6
	s_add_i32 s7, s3, s1
	s_delay_alu instid0(SALU_CYCLE_1) | instskip(NEXT) | instid1(VALU_DEP_1)
	s_lshl_b64 s[6:7], s[6:7], 3
	v_lshlrev_b64 v[1:2], 3, v[1:2]
	s_add_u32 s3, s8, s6
	s_addc_u32 s6, s9, s7
	s_and_b32 s0, s0, vcc_lo
	s_delay_alu instid0(VALU_DEP_1) | instskip(NEXT) | instid1(VALU_DEP_1)
	v_add_co_u32 v4, s1, s3, v1
	v_add_co_ci_u32_e64 v6, s1, s6, v2, s1
	s_and_saveexec_b32 s1, s0
	s_cbranch_execz .LBB371_14
; %bb.12:
	v_ashrrev_i32_e32 v1, 31, v0
	v_mul_f32_e32 v8, s4, v22
	v_mul_f32_e32 v3, s5, v22
	s_delay_alu instid0(VALU_DEP_3) | instskip(NEXT) | instid1(VALU_DEP_3)
	v_lshlrev_b64 v[1:2], 3, v[0:1]
	v_fmac_f32_e32 v8, s5, v21
	s_delay_alu instid0(VALU_DEP_3) | instskip(NEXT) | instid1(VALU_DEP_3)
	v_fma_f32 v7, v21, s4, -v3
	v_add_co_u32 v1, s0, v4, v1
	s_delay_alu instid0(VALU_DEP_1)
	v_add_co_ci_u32_e64 v2, s0, v6, v2, s0
	v_cmp_eq_u32_e64 s0, v5, v0
	global_store_b64 v[1:2], v[7:8], off
	s_and_b32 exec_lo, exec_lo, s0
	s_cbranch_execz .LBB371_14
; %bb.13:
	v_mov_b32_e32 v3, 0
	global_store_b32 v[1:2], v3, off offset:4
.LBB371_14:
	s_or_b32 exec_lo, exec_lo, s1
	v_add_nc_u32_e32 v2, 16, v0
	s_delay_alu instid0(VALU_DEP_1) | instskip(SKIP_1) | instid1(VALU_DEP_1)
	v_cmp_le_i32_e64 s1, v5, v2
	v_cmp_gt_i32_e64 s0, s16, v2
	s_and_b32 s1, s1, s0
	s_delay_alu instid0(SALU_CYCLE_1)
	s_and_saveexec_b32 s7, s1
	s_cbranch_execz .LBB371_17
; %bb.15:
	v_ashrrev_i32_e32 v3, 31, v2
	v_mul_f32_e32 v8, s4, v20
	v_mul_f32_e32 v1, s5, v20
	s_delay_alu instid0(VALU_DEP_3) | instskip(NEXT) | instid1(VALU_DEP_3)
	v_lshlrev_b64 v[9:10], 3, v[2:3]
	v_fmac_f32_e32 v8, s5, v19
	s_delay_alu instid0(VALU_DEP_3) | instskip(NEXT) | instid1(VALU_DEP_3)
	v_fma_f32 v7, v19, s4, -v1
	v_add_co_u32 v3, s1, v4, v9
	s_delay_alu instid0(VALU_DEP_1)
	v_add_co_ci_u32_e64 v4, s1, v6, v10, s1
	v_cmp_eq_u32_e64 s1, v5, v2
	global_store_b64 v[3:4], v[7:8], off
	s_and_b32 exec_lo, exec_lo, s1
	s_cbranch_execz .LBB371_17
; %bb.16:
	v_mov_b32_e32 v1, 0
	global_store_b32 v[3:4], v1, off offset:4
.LBB371_17:
	s_or_b32 exec_lo, exec_lo, s7
	v_add_nc_u32_e32 v8, 16, v5
	s_delay_alu instid0(VALU_DEP_1) | instskip(SKIP_1) | instid1(VALU_DEP_2)
	v_mad_i64_i32 v[3:4], null, v8, s2, 0
	v_cmp_le_i32_e64 s1, v8, v0
	v_lshlrev_b64 v[3:4], 3, v[3:4]
	s_delay_alu instid0(VALU_DEP_1) | instskip(NEXT) | instid1(VALU_DEP_1)
	v_add_co_u32 v6, s2, s3, v3
	v_add_co_ci_u32_e64 v7, s2, s6, v4, s2
	s_delay_alu instid0(VALU_DEP_4) | instskip(NEXT) | instid1(SALU_CYCLE_1)
	s_and_b32 s2, s1, vcc_lo
	s_and_saveexec_b32 s1, s2
	s_cbranch_execz .LBB371_20
; %bb.18:
	v_ashrrev_i32_e32 v1, 31, v0
	v_mul_f32_e32 v10, s4, v18
	v_mul_f32_e32 v9, s5, v18
	s_delay_alu instid0(VALU_DEP_3) | instskip(NEXT) | instid1(VALU_DEP_3)
	v_lshlrev_b64 v[3:4], 3, v[0:1]
	v_fmac_f32_e32 v10, s5, v17
	s_delay_alu instid0(VALU_DEP_3) | instskip(NEXT) | instid1(VALU_DEP_3)
	v_fma_f32 v9, v17, s4, -v9
	v_add_co_u32 v3, vcc_lo, v6, v3
	s_delay_alu instid0(VALU_DEP_4)
	v_add_co_ci_u32_e32 v4, vcc_lo, v7, v4, vcc_lo
	v_cmp_eq_u32_e32 vcc_lo, v8, v0
	global_store_b64 v[3:4], v[9:10], off
	s_and_b32 exec_lo, exec_lo, vcc_lo
	s_cbranch_execz .LBB371_20
; %bb.19:
	v_mov_b32_e32 v1, 0
	global_store_b32 v[3:4], v1, off offset:4
.LBB371_20:
	s_or_b32 exec_lo, exec_lo, s1
	v_cmp_le_i32_e32 vcc_lo, v8, v2
	s_and_b32 s0, vcc_lo, s0
	s_delay_alu instid0(SALU_CYCLE_1)
	s_and_saveexec_b32 s1, s0
	s_cbranch_execz .LBB371_23
; %bb.21:
	v_ashrrev_i32_e32 v3, 31, v2
	v_mul_f32_e32 v8, s5, v16
	v_mul_f32_e32 v4, s4, v16
	s_delay_alu instid0(VALU_DEP_3) | instskip(NEXT) | instid1(VALU_DEP_3)
	v_lshlrev_b64 v[1:2], 3, v[2:3]
	v_fma_f32 v3, v15, s4, -v8
	s_delay_alu instid0(VALU_DEP_3) | instskip(NEXT) | instid1(VALU_DEP_3)
	v_fmac_f32_e32 v4, s5, v15
	v_add_co_u32 v1, vcc_lo, v6, v1
	s_delay_alu instid0(VALU_DEP_4)
	v_add_co_ci_u32_e32 v2, vcc_lo, v7, v2, vcc_lo
	v_cmp_eq_u32_e32 vcc_lo, v5, v0
	global_store_b64 v[1:2], v[3:4], off
	s_and_b32 exec_lo, exec_lo, vcc_lo
	s_cbranch_execz .LBB371_23
; %bb.22:
	v_mov_b32_e32 v0, 0
	global_store_b32 v[1:2], v0, off offset:4
.LBB371_23:
	s_nop 0
	s_sendmsg sendmsg(MSG_DEALLOC_VGPRS)
	s_endpgm
	.section	.rodata,"a",@progbits
	.p2align	6, 0x0
	.amdhsa_kernel _ZL34rocblas_syrkx_herkx_general_kernelIi19rocblas_complex_numIfELi16ELi32ELi8ELb1ELb1ELc67ELc76EKS1_S1_EviT_T0_PT8_S3_lS6_S3_lS4_PT9_S3_li
		.amdhsa_group_segment_fixed_size 4096
		.amdhsa_private_segment_fixed_size 0
		.amdhsa_kernarg_size 100
		.amdhsa_user_sgpr_count 13
		.amdhsa_user_sgpr_dispatch_ptr 0
		.amdhsa_user_sgpr_queue_ptr 0
		.amdhsa_user_sgpr_kernarg_segment_ptr 1
		.amdhsa_user_sgpr_dispatch_id 0
		.amdhsa_user_sgpr_private_segment_size 0
		.amdhsa_wavefront_size32 1
		.amdhsa_uses_dynamic_stack 0
		.amdhsa_enable_private_segment 0
		.amdhsa_system_sgpr_workgroup_id_x 1
		.amdhsa_system_sgpr_workgroup_id_y 1
		.amdhsa_system_sgpr_workgroup_id_z 1
		.amdhsa_system_sgpr_workgroup_info 0
		.amdhsa_system_vgpr_workitem_id 1
		.amdhsa_next_free_vgpr 60
		.amdhsa_next_free_sgpr 21
		.amdhsa_reserve_vcc 1
		.amdhsa_float_round_mode_32 0
		.amdhsa_float_round_mode_16_64 0
		.amdhsa_float_denorm_mode_32 3
		.amdhsa_float_denorm_mode_16_64 3
		.amdhsa_dx10_clamp 1
		.amdhsa_ieee_mode 1
		.amdhsa_fp16_overflow 0
		.amdhsa_workgroup_processor_mode 1
		.amdhsa_memory_ordered 1
		.amdhsa_forward_progress 0
		.amdhsa_shared_vgpr_count 0
		.amdhsa_exception_fp_ieee_invalid_op 0
		.amdhsa_exception_fp_denorm_src 0
		.amdhsa_exception_fp_ieee_div_zero 0
		.amdhsa_exception_fp_ieee_overflow 0
		.amdhsa_exception_fp_ieee_underflow 0
		.amdhsa_exception_fp_ieee_inexact 0
		.amdhsa_exception_int_div_zero 0
	.end_amdhsa_kernel
	.section	.text._ZL34rocblas_syrkx_herkx_general_kernelIi19rocblas_complex_numIfELi16ELi32ELi8ELb1ELb1ELc67ELc76EKS1_S1_EviT_T0_PT8_S3_lS6_S3_lS4_PT9_S3_li,"axG",@progbits,_ZL34rocblas_syrkx_herkx_general_kernelIi19rocblas_complex_numIfELi16ELi32ELi8ELb1ELb1ELc67ELc76EKS1_S1_EviT_T0_PT8_S3_lS6_S3_lS4_PT9_S3_li,comdat
.Lfunc_end371:
	.size	_ZL34rocblas_syrkx_herkx_general_kernelIi19rocblas_complex_numIfELi16ELi32ELi8ELb1ELb1ELc67ELc76EKS1_S1_EviT_T0_PT8_S3_lS6_S3_lS4_PT9_S3_li, .Lfunc_end371-_ZL34rocblas_syrkx_herkx_general_kernelIi19rocblas_complex_numIfELi16ELi32ELi8ELb1ELb1ELc67ELc76EKS1_S1_EviT_T0_PT8_S3_lS6_S3_lS4_PT9_S3_li
                                        ; -- End function
	.section	.AMDGPU.csdata,"",@progbits
; Kernel info:
; codeLenInByte = 2588
; NumSgprs: 23
; NumVgprs: 60
; ScratchSize: 0
; MemoryBound: 1
; FloatMode: 240
; IeeeMode: 1
; LDSByteSize: 4096 bytes/workgroup (compile time only)
; SGPRBlocks: 2
; VGPRBlocks: 7
; NumSGPRsForWavesPerEU: 23
; NumVGPRsForWavesPerEU: 60
; Occupancy: 16
; WaveLimiterHint : 0
; COMPUTE_PGM_RSRC2:SCRATCH_EN: 0
; COMPUTE_PGM_RSRC2:USER_SGPR: 13
; COMPUTE_PGM_RSRC2:TRAP_HANDLER: 0
; COMPUTE_PGM_RSRC2:TGID_X_EN: 1
; COMPUTE_PGM_RSRC2:TGID_Y_EN: 1
; COMPUTE_PGM_RSRC2:TGID_Z_EN: 1
; COMPUTE_PGM_RSRC2:TIDIG_COMP_CNT: 1
	.section	.text._ZL34rocblas_syrkx_herkx_general_kernelIi19rocblas_complex_numIfELi16ELi32ELi8ELb1ELb1ELc78ELc76EKS1_S1_EviT_T0_PT8_S3_lS6_S3_lS4_PT9_S3_li,"axG",@progbits,_ZL34rocblas_syrkx_herkx_general_kernelIi19rocblas_complex_numIfELi16ELi32ELi8ELb1ELb1ELc78ELc76EKS1_S1_EviT_T0_PT8_S3_lS6_S3_lS4_PT9_S3_li,comdat
	.globl	_ZL34rocblas_syrkx_herkx_general_kernelIi19rocblas_complex_numIfELi16ELi32ELi8ELb1ELb1ELc78ELc76EKS1_S1_EviT_T0_PT8_S3_lS6_S3_lS4_PT9_S3_li ; -- Begin function _ZL34rocblas_syrkx_herkx_general_kernelIi19rocblas_complex_numIfELi16ELi32ELi8ELb1ELb1ELc78ELc76EKS1_S1_EviT_T0_PT8_S3_lS6_S3_lS4_PT9_S3_li
	.p2align	8
	.type	_ZL34rocblas_syrkx_herkx_general_kernelIi19rocblas_complex_numIfELi16ELi32ELi8ELb1ELb1ELc78ELc76EKS1_S1_EviT_T0_PT8_S3_lS6_S3_lS4_PT9_S3_li,@function
_ZL34rocblas_syrkx_herkx_general_kernelIi19rocblas_complex_numIfELi16ELi32ELi8ELb1ELb1ELc78ELc76EKS1_S1_EviT_T0_PT8_S3_lS6_S3_lS4_PT9_S3_li: ; @_ZL34rocblas_syrkx_herkx_general_kernelIi19rocblas_complex_numIfELi16ELi32ELi8ELb1ELb1ELc78ELc76EKS1_S1_EviT_T0_PT8_S3_lS6_S3_lS4_PT9_S3_li
; %bb.0:
	s_clause 0x1
	s_load_b64 s[16:17], s[0:1], 0x0
	s_load_b128 s[4:7], s[0:1], 0x8
	v_dual_mov_b32 v21, 0 :: v_dual_and_b32 v6, 0x3ff, v0
	v_bfe_u32 v7, v0, 10, 10
	v_dual_mov_b32 v22, 0 :: v_dual_mov_b32 v19, 0
	v_dual_mov_b32 v20, 0 :: v_dual_mov_b32 v17, 0
	;; [unrolled: 1-line block ×3, first 2 shown]
	v_mov_b32_e32 v16, 0
	s_lshl_b32 s18, s13, 5
	s_lshl_b32 s14, s14, 5
	s_mov_b32 s19, 0
	s_waitcnt lgkmcnt(0)
	s_cmp_lt_i32 s17, 1
	s_cbranch_scc1 .LBB372_11
; %bb.1:
	s_clause 0x1
	s_load_b32 s12, s[0:1], 0x30
	s_load_b32 s20, s[0:1], 0x18
	v_lshl_add_u32 v0, v7, 4, v6
	s_clause 0x1
	s_load_b128 s[8:11], s[0:1], 0x20
	s_load_b64 s[22:23], s[0:1], 0x38
	v_dual_mov_b32 v19, 0 :: v_dual_and_b32 v8, 7, v6
	v_and_b32_e32 v4, 31, v0
	v_lshrrev_b32_e32 v1, 3, v0
	v_lshrrev_b32_e32 v9, 5, v0
	s_delay_alu instid0(VALU_DEP_4) | instskip(NEXT) | instid1(VALU_DEP_4)
	v_dual_mov_b32 v21, 0 :: v_dual_lshlrev_b32 v2, 3, v8
	v_or_b32_e32 v3, s18, v4
	s_delay_alu instid0(VALU_DEP_4) | instskip(SKIP_1) | instid1(VALU_DEP_4)
	v_add_nc_u32_e32 v0, s14, v1
	v_lshlrev_b32_e32 v5, 3, v4
	v_lshl_or_b32 v1, v1, 6, v2
	v_add_nc_u32_e32 v4, s18, v4
	v_cmp_gt_i32_e32 vcc_lo, s16, v3
	v_cmp_gt_i32_e64 s2, s16, v0
	v_lshl_or_b32 v10, v9, 8, v5
	s_waitcnt lgkmcnt(0)
	v_mad_i64_i32 v[14:15], null, s12, v8, 0
	v_mad_i64_i32 v[2:3], null, v9, s20, 0
	s_mul_i32 s3, s9, s15
	s_mul_hi_u32 s9, s8, s15
	s_mul_i32 s8, s8, s15
	s_add_i32 s9, s9, s3
	v_ashrrev_i32_e32 v5, 31, v4
	s_lshl_b64 s[8:9], s[8:9], 3
	s_delay_alu instid0(VALU_DEP_2)
	v_lshlrev_b64 v[2:3], 3, v[2:3]
	v_add_nc_u32_e32 v11, 0x800, v1
	v_ashrrev_i32_e32 v1, 31, v0
	v_lshlrev_b64 v[4:5], 3, v[4:5]
	v_lshlrev_b32_e32 v12, 3, v6
	v_lshl_add_u32 v13, v7, 6, 0x800
	v_add_co_u32 v16, s3, v2, s8
	s_delay_alu instid0(VALU_DEP_1)
	v_add_co_ci_u32_e64 v17, s3, s9, v3, s3
	s_mul_i32 s3, s23, s15
	s_mul_hi_u32 s8, s22, s15
	v_lshlrev_b64 v[2:3], 3, v[14:15]
	v_mov_b32_e32 v14, 0
	s_add_i32 s9, s8, s3
	s_mul_i32 s8, s22, s15
	v_lshlrev_b64 v[0:1], 3, v[0:1]
	s_lshl_b64 s[8:9], s[8:9], 3
	v_mov_b32_e32 v15, 0
	v_add_co_u32 v2, s3, s8, v2
	s_delay_alu instid0(VALU_DEP_1) | instskip(SKIP_1) | instid1(VALU_DEP_1)
	v_add_co_ci_u32_e64 v3, s3, s9, v3, s3
	v_add_co_u32 v4, s3, v16, v4
	v_add_co_ci_u32_e64 v5, s3, v17, v5, s3
	s_delay_alu instid0(VALU_DEP_4) | instskip(NEXT) | instid1(VALU_DEP_1)
	v_add_co_u32 v2, s3, v2, v0
	v_add_co_ci_u32_e64 v3, s3, v3, v1, s3
	s_delay_alu instid0(VALU_DEP_4) | instskip(NEXT) | instid1(VALU_DEP_1)
	;; [unrolled: 3-line block ×3, first 2 shown]
	v_add_co_u32 v2, s3, v2, s10
	v_add_co_ci_u32_e64 v3, s3, s11, v3, s3
	v_mov_b32_e32 v4, 0
	s_delay_alu instid0(VALU_DEP_3) | instskip(NEXT) | instid1(VALU_DEP_1)
	v_add_co_u32 v2, s3, v2, 4
	v_add_co_ci_u32_e64 v3, s3, 0, v3, s3
	v_mov_b32_e32 v16, 0
	v_dual_mov_b32 v18, 0 :: v_dual_mov_b32 v17, 0
	v_mov_b32_e32 v20, 0
	v_mov_b32_e32 v22, 0
	s_ashr_i32 s21, s20, 31
	s_ashr_i32 s13, s12, 31
	s_lshl_b64 s[6:7], s[20:21], 6
	s_lshl_b64 s[8:9], s[12:13], 6
	s_xor_b32 s3, vcc_lo, -1
	s_xor_b32 s2, s2, -1
	s_branch .LBB372_3
.LBB372_2:                              ;   in Loop: Header=BB372_3 Depth=1
	s_or_b32 exec_lo, exec_lo, s10
	ds_store_b32 v11, v5 offset:4
	s_waitcnt lgkmcnt(0)
	s_barrier
	buffer_gl0_inv
	ds_load_2addr_b64 v[23:26], v12 offset1:16
	ds_load_b128 v[27:30], v13
	ds_load_b128 v[31:34], v13 offset:1024
	ds_load_b128 v[35:38], v13 offset:16
	ds_load_b128 v[39:42], v13 offset:32
	ds_load_b128 v[43:46], v13 offset:48
	ds_load_2addr_b64 v[47:50], v12 offset0:32 offset1:48
	ds_load_b128 v[51:54], v13 offset:1040
	v_add_co_u32 v0, vcc_lo, v0, s6
	v_add_co_ci_u32_e32 v1, vcc_lo, s7, v1, vcc_lo
	v_add_co_u32 v2, vcc_lo, v2, s8
	v_add_co_ci_u32_e32 v3, vcc_lo, s9, v3, vcc_lo
	s_add_i32 s19, s19, 8
	s_delay_alu instid0(SALU_CYCLE_1)
	s_cmp_ge_i32 s19, s17
	s_waitcnt lgkmcnt(6)
	v_mul_f32_e32 v5, v28, v24
	v_dual_mul_f32 v55, v27, v24 :: v_dual_mul_f32 v56, v28, v26
	s_waitcnt lgkmcnt(5)
	v_dual_mul_f32 v57, v27, v26 :: v_dual_mul_f32 v58, v32, v24
	v_dual_mul_f32 v24, v31, v24 :: v_dual_mul_f32 v59, v32, v26
	v_mul_f32_e32 v26, v31, v26
	v_fma_f32 v5, v27, v23, -v5
	v_fmac_f32_e32 v55, v28, v23
	v_fma_f32 v27, v27, v25, -v56
	v_fmac_f32_e32 v57, v28, v25
	v_fma_f32 v28, v31, v23, -v58
	v_dual_fmac_f32 v24, v32, v23 :: v_dual_add_f32 v5, v21, v5
	v_fma_f32 v23, v31, v25, -v59
	v_fmac_f32_e32 v26, v32, v25
	s_delay_alu instid0(VALU_DEP_4)
	v_dual_add_f32 v28, v17, v28 :: v_dual_add_f32 v21, v22, v55
	v_dual_add_f32 v22, v19, v27 :: v_dual_add_f32 v27, v20, v57
	v_add_f32_e32 v24, v18, v24
	ds_load_2addr_b64 v[17:20], v12 offset0:64 offset1:80
	s_waitcnt lgkmcnt(2)
	v_dual_mul_f32 v31, v30, v48 :: v_dual_add_f32 v16, v16, v26
	v_dual_add_f32 v15, v15, v23 :: v_dual_mul_f32 v26, v29, v50
	v_mul_f32_e32 v23, v29, v48
	s_delay_alu instid0(VALU_DEP_3) | instskip(SKIP_1) | instid1(VALU_DEP_4)
	v_fma_f32 v25, v29, v47, -v31
	v_mul_f32_e32 v31, v30, v50
	v_fmac_f32_e32 v26, v30, v49
	s_delay_alu instid0(VALU_DEP_4) | instskip(NEXT) | instid1(VALU_DEP_2)
	v_fmac_f32_e32 v23, v30, v47
	v_dual_add_f32 v5, v5, v25 :: v_dual_add_f32 v26, v27, v26
	v_mul_f32_e32 v27, v33, v50
	s_waitcnt lgkmcnt(0)
	s_delay_alu instid0(VALU_DEP_1) | instskip(NEXT) | instid1(VALU_DEP_1)
	v_dual_fmac_f32 v27, v34, v49 :: v_dual_mul_f32 v30, v35, v18
	v_add_f32_e32 v27, v16, v27
	s_delay_alu instid0(VALU_DEP_2) | instskip(SKIP_4) | instid1(VALU_DEP_3)
	v_fmac_f32_e32 v30, v36, v17
	v_fma_f32 v25, v29, v49, -v31
	v_dual_add_f32 v31, v21, v23 :: v_dual_mul_f32 v16, v35, v20
	v_mul_f32_e32 v29, v34, v48
	v_mul_f32_e32 v23, v34, v50
	v_dual_add_f32 v25, v22, v25 :: v_dual_add_f32 v30, v31, v30
	s_delay_alu instid0(VALU_DEP_4) | instskip(NEXT) | instid1(VALU_DEP_4)
	v_fmac_f32_e32 v16, v36, v19
	v_fma_f32 v22, v33, v47, -v29
	v_mul_f32_e32 v21, v33, v48
	v_mul_f32_e32 v31, v52, v18
	s_delay_alu instid0(VALU_DEP_3) | instskip(SKIP_1) | instid1(VALU_DEP_3)
	v_add_f32_e32 v28, v28, v22
	v_fma_f32 v22, v33, v49, -v23
	v_fma_f32 v31, v51, v17, -v31
	s_delay_alu instid0(VALU_DEP_2) | instskip(SKIP_2) | instid1(VALU_DEP_2)
	v_add_f32_e32 v15, v15, v22
	v_mul_f32_e32 v23, v36, v18
	v_dual_mul_f32 v18, v51, v18 :: v_dual_fmac_f32 v21, v34, v47
	v_fma_f32 v32, v35, v17, -v23
	s_delay_alu instid0(VALU_DEP_2) | instskip(NEXT) | instid1(VALU_DEP_3)
	v_fmac_f32_e32 v18, v52, v17
	v_add_f32_e32 v29, v24, v21
	ds_load_2addr_b64 v[21:24], v12 offset0:96 offset1:112
	v_mul_f32_e32 v33, v36, v20
	v_add_f32_e32 v5, v5, v32
	v_add_f32_e32 v31, v28, v31
	s_delay_alu instid0(VALU_DEP_3) | instskip(NEXT) | instid1(VALU_DEP_1)
	v_fma_f32 v32, v35, v19, -v33
	v_add_f32_e32 v25, v25, v32
	v_mul_f32_e32 v32, v52, v20
	v_mul_f32_e32 v20, v51, v20
	s_delay_alu instid0(VALU_DEP_1) | instskip(SKIP_2) | instid1(VALU_DEP_2)
	v_fmac_f32_e32 v20, v52, v19
	s_waitcnt lgkmcnt(0)
	v_mul_f32_e32 v28, v38, v24
	v_add_f32_e32 v34, v27, v20
	v_mul_f32_e32 v20, v37, v24
	s_delay_alu instid0(VALU_DEP_3)
	v_fma_f32 v27, v37, v23, -v28
	v_add_f32_e32 v33, v26, v16
	v_fma_f32 v16, v51, v19, -v32
	v_mul_f32_e32 v26, v37, v22
	v_add_f32_e32 v29, v29, v18
	v_mul_f32_e32 v19, v38, v22
	v_fmac_f32_e32 v20, v38, v23
	v_add_f32_e32 v32, v15, v16
	ds_load_2addr_b64 v[15:18], v12 offset0:128 offset1:144
	v_fmac_f32_e32 v26, v38, v21
	s_delay_alu instid0(VALU_DEP_1) | instskip(SKIP_3) | instid1(VALU_DEP_2)
	v_add_f32_e32 v35, v30, v26
	v_mul_f32_e32 v30, v54, v24
	v_mul_f32_e32 v24, v53, v24
	v_fma_f32 v19, v37, v21, -v19
	v_fmac_f32_e32 v24, v54, v23
	s_delay_alu instid0(VALU_DEP_1) | instskip(SKIP_2) | instid1(VALU_DEP_1)
	v_dual_add_f32 v5, v5, v19 :: v_dual_add_f32 v24, v34, v24
	s_waitcnt lgkmcnt(0)
	v_mul_f32_e32 v34, v39, v18
	v_dual_mul_f32 v19, v54, v22 :: v_dual_fmac_f32 v34, v40, v17
	s_delay_alu instid0(VALU_DEP_1) | instskip(NEXT) | instid1(VALU_DEP_1)
	v_fma_f32 v19, v53, v21, -v19
	v_dual_mul_f32 v22, v53, v22 :: v_dual_add_f32 v37, v31, v19
	s_delay_alu instid0(VALU_DEP_1)
	v_fmac_f32_e32 v22, v54, v21
	v_add_f32_e32 v36, v25, v27
	ds_load_b128 v[25:28], v13 offset:1056
	v_add_f32_e32 v33, v33, v20
	v_fma_f32 v20, v53, v23, -v30
	v_dual_mul_f32 v19, v40, v16 :: v_dual_add_f32 v38, v29, v22
	v_dual_mul_f32 v47, v39, v16 :: v_dual_mul_f32 v30, v40, v18
	s_delay_alu instid0(VALU_DEP_3) | instskip(NEXT) | instid1(VALU_DEP_3)
	v_add_f32_e32 v23, v32, v20
	v_fma_f32 v29, v39, v15, -v19
	ds_load_2addr_b64 v[19:22], v12 offset0:160 offset1:176
	v_fmac_f32_e32 v47, v40, v15
	v_fma_f32 v39, v39, v17, -v30
	v_add_f32_e32 v5, v5, v29
	ds_load_b128 v[29:32], v13 offset:1072
	v_add_f32_e32 v36, v36, v39
	s_waitcnt lgkmcnt(2)
	v_mul_f32_e32 v48, v26, v16
	v_mul_f32_e32 v16, v25, v16
	v_dual_mul_f32 v40, v26, v18 :: v_dual_add_f32 v35, v35, v47
	v_add_f32_e32 v33, v33, v34
	s_delay_alu instid0(VALU_DEP_4) | instskip(NEXT) | instid1(VALU_DEP_4)
	v_fma_f32 v39, v25, v15, -v48
	v_fmac_f32_e32 v16, v26, v15
	v_mul_f32_e32 v34, v25, v18
	v_fma_f32 v15, v25, v17, -v40
	s_waitcnt lgkmcnt(1)
	v_dual_mul_f32 v18, v42, v20 :: v_dual_add_f32 v37, v37, v39
	v_mul_f32_e32 v39, v42, v22
	v_fmac_f32_e32 v34, v26, v17
	v_add_f32_e32 v25, v38, v16
	v_add_f32_e32 v23, v23, v15
	v_fma_f32 v38, v41, v19, -v18
	v_mul_f32_e32 v26, v41, v20
	ds_load_2addr_b64 v[15:18], v12 offset0:192 offset1:208
	v_add_f32_e32 v5, v5, v38
	v_add_f32_e32 v34, v24, v34
	v_mul_f32_e32 v24, v41, v22
	v_fma_f32 v38, v41, v21, -v39
	s_delay_alu instid0(VALU_DEP_2) | instskip(SKIP_1) | instid1(VALU_DEP_3)
	v_fmac_f32_e32 v24, v42, v21
	v_fmac_f32_e32 v26, v42, v19
	v_add_f32_e32 v36, v36, v38
	s_delay_alu instid0(VALU_DEP_2) | instskip(NEXT) | instid1(VALU_DEP_1)
	v_dual_add_f32 v35, v35, v26 :: v_dual_mul_f32 v26, v28, v20
	v_fma_f32 v26, v27, v19, -v26
	v_mul_f32_e32 v20, v27, v20
	s_delay_alu instid0(VALU_DEP_1) | instskip(SKIP_2) | instid1(VALU_DEP_1)
	v_dual_fmac_f32 v20, v28, v19 :: v_dual_add_f32 v19, v33, v24
	s_waitcnt lgkmcnt(0)
	v_mul_f32_e32 v33, v44, v16
	v_fma_f32 v33, v43, v15, -v33
	v_mul_f32_e32 v38, v28, v22
	s_delay_alu instid0(VALU_DEP_2) | instskip(NEXT) | instid1(VALU_DEP_2)
	v_dual_mul_f32 v22, v27, v22 :: v_dual_add_f32 v5, v5, v33
	v_fma_f32 v24, v27, v21, -v38
	v_add_f32_e32 v27, v37, v26
	v_mul_f32_e32 v37, v43, v18
	v_mul_f32_e32 v33, v30, v16
	s_delay_alu instid0(VALU_DEP_2)
	v_dual_add_f32 v20, v25, v20 :: v_dual_fmac_f32 v37, v44, v17
	v_dual_fmac_f32 v22, v28, v21 :: v_dual_add_f32 v21, v23, v24
	ds_load_2addr_b64 v[23:26], v12 offset0:224 offset1:240
	v_mul_f32_e32 v28, v43, v16
	v_mul_f32_e32 v16, v29, v16
	v_fma_f32 v33, v29, v15, -v33
	s_waitcnt lgkmcnt(0)
	s_barrier
	v_fmac_f32_e32 v28, v44, v15
	s_delay_alu instid0(VALU_DEP_2)
	v_dual_fmac_f32 v16, v30, v15 :: v_dual_add_f32 v15, v27, v33
	buffer_gl0_inv
	v_dual_add_f32 v28, v35, v28 :: v_dual_mul_f32 v35, v30, v18
	v_mul_f32_e32 v27, v46, v24
	v_add_f32_e32 v22, v34, v22
	v_mul_f32_e32 v34, v44, v18
	s_delay_alu instid0(VALU_DEP_1) | instskip(NEXT) | instid1(VALU_DEP_1)
	v_fma_f32 v34, v43, v17, -v34
	v_add_f32_e32 v34, v36, v34
	v_add_f32_e32 v36, v19, v37
	v_mul_f32_e32 v18, v29, v18
	v_fma_f32 v19, v29, v17, -v35
	s_delay_alu instid0(VALU_DEP_2) | instskip(NEXT) | instid1(VALU_DEP_2)
	v_dual_mul_f32 v29, v45, v24 :: v_dual_fmac_f32 v18, v30, v17
	v_add_f32_e32 v30, v21, v19
	v_fma_f32 v17, v45, v23, -v27
	v_mul_f32_e32 v19, v46, v26
	s_delay_alu instid0(VALU_DEP_4) | instskip(SKIP_1) | instid1(VALU_DEP_4)
	v_fmac_f32_e32 v29, v46, v23
	v_dual_add_f32 v27, v22, v18 :: v_dual_mul_f32 v18, v31, v24
	v_add_f32_e32 v21, v5, v17
	s_delay_alu instid0(VALU_DEP_4)
	v_fma_f32 v5, v45, v25, -v19
	v_mul_f32_e32 v17, v32, v24
	v_mul_f32_e32 v24, v32, v26
	v_fmac_f32_e32 v18, v32, v23
	v_add_f32_e32 v22, v28, v29
	v_add_f32_e32 v19, v34, v5
	v_fma_f32 v5, v31, v23, -v17
	v_fma_f32 v23, v31, v25, -v24
	v_add_f32_e32 v16, v20, v16
	v_mul_f32_e32 v20, v45, v26
	v_mul_f32_e32 v26, v31, v26
	v_add_f32_e32 v17, v15, v5
	s_delay_alu instid0(VALU_DEP_4) | instskip(NEXT) | instid1(VALU_DEP_4)
	v_dual_add_f32 v15, v30, v23 :: v_dual_add_f32 v18, v16, v18
	v_fmac_f32_e32 v20, v46, v25
	s_delay_alu instid0(VALU_DEP_4) | instskip(NEXT) | instid1(VALU_DEP_2)
	v_fmac_f32_e32 v26, v32, v25
	v_add_f32_e32 v20, v36, v20
	s_delay_alu instid0(VALU_DEP_2)
	v_add_f32_e32 v16, v27, v26
	s_cbranch_scc1 .LBB372_11
.LBB372_3:                              ; =>This Inner Loop Header: Depth=1
	v_add_nc_u32_e32 v5, s19, v9
	s_delay_alu instid0(VALU_DEP_1) | instskip(SKIP_1) | instid1(SALU_CYCLE_1)
	v_cmp_le_i32_e32 vcc_lo, s17, v5
	s_or_b32 s10, s3, vcc_lo
	s_and_saveexec_b32 s11, s10
	s_delay_alu instid0(SALU_CYCLE_1)
	s_xor_b32 s10, exec_lo, s11
	s_cbranch_execz .LBB372_5
; %bb.4:                                ;   in Loop: Header=BB372_3 Depth=1
	v_mov_b32_e32 v5, v4
	ds_store_b64 v10, v[4:5]
.LBB372_5:                              ;   in Loop: Header=BB372_3 Depth=1
	s_and_not1_saveexec_b32 s10, s10
	s_cbranch_execz .LBB372_7
; %bb.6:                                ;   in Loop: Header=BB372_3 Depth=1
	global_load_b64 v[23:24], v[0:1], off
	s_waitcnt vmcnt(0)
	ds_store_b64 v10, v[23:24]
.LBB372_7:                              ;   in Loop: Header=BB372_3 Depth=1
	s_or_b32 exec_lo, exec_lo, s10
	v_add_nc_u32_e32 v5, s19, v8
                                        ; implicit-def: $sgpr11
	s_delay_alu instid0(VALU_DEP_1) | instskip(SKIP_1) | instid1(SALU_CYCLE_1)
	v_cmp_le_i32_e32 vcc_lo, s17, v5
	s_or_b32 s10, vcc_lo, s2
	s_and_saveexec_b32 s12, s10
	s_delay_alu instid0(SALU_CYCLE_1)
	s_xor_b32 s10, exec_lo, s12
	s_cbranch_execz .LBB372_9
; %bb.8:                                ;   in Loop: Header=BB372_3 Depth=1
	s_mov_b32 s11, 0
	ds_store_b32 v11, v14
.LBB372_9:                              ;   in Loop: Header=BB372_3 Depth=1
	s_or_saveexec_b32 s10, s10
	v_mov_b32_e32 v5, s11
	s_xor_b32 exec_lo, exec_lo, s10
	s_cbranch_execz .LBB372_2
; %bb.10:                               ;   in Loop: Header=BB372_3 Depth=1
	global_load_b64 v[23:24], v[2:3], off offset:-4
	s_waitcnt vmcnt(0)
	v_xor_b32_e32 v5, 0x80000000, v24
	ds_store_b32 v11, v23
	s_branch .LBB372_2
.LBB372_11:
	s_clause 0x2
	s_load_b32 s2, s[0:1], 0x50
	s_load_b64 s[6:7], s[0:1], 0x58
	s_load_b64 s[8:9], s[0:1], 0x48
	v_add_nc_u32_e32 v5, s14, v7
	v_add_nc_u32_e32 v0, s18, v6
	s_delay_alu instid0(VALU_DEP_1)
	v_cmp_le_i32_e64 s0, v5, v0
	v_cmp_gt_i32_e32 vcc_lo, s16, v0
	s_waitcnt lgkmcnt(0)
	v_mad_i64_i32 v[1:2], null, v5, s2, 0
	s_mul_i32 s1, s15, s7
	s_mul_hi_u32 s3, s15, s6
	s_mul_i32 s6, s15, s6
	s_add_i32 s7, s3, s1
	s_delay_alu instid0(SALU_CYCLE_1) | instskip(NEXT) | instid1(VALU_DEP_1)
	s_lshl_b64 s[6:7], s[6:7], 3
	v_lshlrev_b64 v[1:2], 3, v[1:2]
	s_add_u32 s3, s8, s6
	s_addc_u32 s6, s9, s7
	s_and_b32 s0, s0, vcc_lo
	s_delay_alu instid0(VALU_DEP_1) | instskip(NEXT) | instid1(VALU_DEP_1)
	v_add_co_u32 v4, s1, s3, v1
	v_add_co_ci_u32_e64 v6, s1, s6, v2, s1
	s_and_saveexec_b32 s1, s0
	s_cbranch_execz .LBB372_14
; %bb.12:
	v_ashrrev_i32_e32 v1, 31, v0
	v_mul_f32_e32 v8, s4, v22
	v_mul_f32_e32 v3, s5, v22
	s_delay_alu instid0(VALU_DEP_3) | instskip(NEXT) | instid1(VALU_DEP_3)
	v_lshlrev_b64 v[1:2], 3, v[0:1]
	v_fmac_f32_e32 v8, s5, v21
	s_delay_alu instid0(VALU_DEP_3) | instskip(NEXT) | instid1(VALU_DEP_3)
	v_fma_f32 v7, v21, s4, -v3
	v_add_co_u32 v1, s0, v4, v1
	s_delay_alu instid0(VALU_DEP_1)
	v_add_co_ci_u32_e64 v2, s0, v6, v2, s0
	v_cmp_eq_u32_e64 s0, v5, v0
	global_store_b64 v[1:2], v[7:8], off
	s_and_b32 exec_lo, exec_lo, s0
	s_cbranch_execz .LBB372_14
; %bb.13:
	v_mov_b32_e32 v3, 0
	global_store_b32 v[1:2], v3, off offset:4
.LBB372_14:
	s_or_b32 exec_lo, exec_lo, s1
	v_add_nc_u32_e32 v2, 16, v0
	s_delay_alu instid0(VALU_DEP_1) | instskip(SKIP_1) | instid1(VALU_DEP_1)
	v_cmp_le_i32_e64 s1, v5, v2
	v_cmp_gt_i32_e64 s0, s16, v2
	s_and_b32 s1, s1, s0
	s_delay_alu instid0(SALU_CYCLE_1)
	s_and_saveexec_b32 s7, s1
	s_cbranch_execz .LBB372_17
; %bb.15:
	v_ashrrev_i32_e32 v3, 31, v2
	v_mul_f32_e32 v8, s4, v20
	v_mul_f32_e32 v1, s5, v20
	s_delay_alu instid0(VALU_DEP_3) | instskip(NEXT) | instid1(VALU_DEP_3)
	v_lshlrev_b64 v[9:10], 3, v[2:3]
	v_fmac_f32_e32 v8, s5, v19
	s_delay_alu instid0(VALU_DEP_3) | instskip(NEXT) | instid1(VALU_DEP_3)
	v_fma_f32 v7, v19, s4, -v1
	v_add_co_u32 v3, s1, v4, v9
	s_delay_alu instid0(VALU_DEP_1)
	v_add_co_ci_u32_e64 v4, s1, v6, v10, s1
	v_cmp_eq_u32_e64 s1, v5, v2
	global_store_b64 v[3:4], v[7:8], off
	s_and_b32 exec_lo, exec_lo, s1
	s_cbranch_execz .LBB372_17
; %bb.16:
	v_mov_b32_e32 v1, 0
	global_store_b32 v[3:4], v1, off offset:4
.LBB372_17:
	s_or_b32 exec_lo, exec_lo, s7
	v_add_nc_u32_e32 v8, 16, v5
	s_delay_alu instid0(VALU_DEP_1) | instskip(SKIP_1) | instid1(VALU_DEP_2)
	v_mad_i64_i32 v[3:4], null, v8, s2, 0
	v_cmp_le_i32_e64 s1, v8, v0
	v_lshlrev_b64 v[3:4], 3, v[3:4]
	s_delay_alu instid0(VALU_DEP_1) | instskip(NEXT) | instid1(VALU_DEP_1)
	v_add_co_u32 v6, s2, s3, v3
	v_add_co_ci_u32_e64 v7, s2, s6, v4, s2
	s_delay_alu instid0(VALU_DEP_4) | instskip(NEXT) | instid1(SALU_CYCLE_1)
	s_and_b32 s2, s1, vcc_lo
	s_and_saveexec_b32 s1, s2
	s_cbranch_execz .LBB372_20
; %bb.18:
	v_ashrrev_i32_e32 v1, 31, v0
	v_mul_f32_e32 v10, s4, v18
	v_mul_f32_e32 v9, s5, v18
	s_delay_alu instid0(VALU_DEP_3) | instskip(NEXT) | instid1(VALU_DEP_3)
	v_lshlrev_b64 v[3:4], 3, v[0:1]
	v_fmac_f32_e32 v10, s5, v17
	s_delay_alu instid0(VALU_DEP_3) | instskip(NEXT) | instid1(VALU_DEP_3)
	v_fma_f32 v9, v17, s4, -v9
	v_add_co_u32 v3, vcc_lo, v6, v3
	s_delay_alu instid0(VALU_DEP_4)
	v_add_co_ci_u32_e32 v4, vcc_lo, v7, v4, vcc_lo
	v_cmp_eq_u32_e32 vcc_lo, v8, v0
	global_store_b64 v[3:4], v[9:10], off
	s_and_b32 exec_lo, exec_lo, vcc_lo
	s_cbranch_execz .LBB372_20
; %bb.19:
	v_mov_b32_e32 v1, 0
	global_store_b32 v[3:4], v1, off offset:4
.LBB372_20:
	s_or_b32 exec_lo, exec_lo, s1
	v_cmp_le_i32_e32 vcc_lo, v8, v2
	s_and_b32 s0, vcc_lo, s0
	s_delay_alu instid0(SALU_CYCLE_1)
	s_and_saveexec_b32 s1, s0
	s_cbranch_execz .LBB372_23
; %bb.21:
	v_ashrrev_i32_e32 v3, 31, v2
	v_mul_f32_e32 v8, s5, v16
	v_mul_f32_e32 v4, s4, v16
	s_delay_alu instid0(VALU_DEP_3) | instskip(NEXT) | instid1(VALU_DEP_3)
	v_lshlrev_b64 v[1:2], 3, v[2:3]
	v_fma_f32 v3, v15, s4, -v8
	s_delay_alu instid0(VALU_DEP_3) | instskip(NEXT) | instid1(VALU_DEP_3)
	v_fmac_f32_e32 v4, s5, v15
	v_add_co_u32 v1, vcc_lo, v6, v1
	s_delay_alu instid0(VALU_DEP_4)
	v_add_co_ci_u32_e32 v2, vcc_lo, v7, v2, vcc_lo
	v_cmp_eq_u32_e32 vcc_lo, v5, v0
	global_store_b64 v[1:2], v[3:4], off
	s_and_b32 exec_lo, exec_lo, vcc_lo
	s_cbranch_execz .LBB372_23
; %bb.22:
	v_mov_b32_e32 v0, 0
	global_store_b32 v[1:2], v0, off offset:4
.LBB372_23:
	s_nop 0
	s_sendmsg sendmsg(MSG_DEALLOC_VGPRS)
	s_endpgm
	.section	.rodata,"a",@progbits
	.p2align	6, 0x0
	.amdhsa_kernel _ZL34rocblas_syrkx_herkx_general_kernelIi19rocblas_complex_numIfELi16ELi32ELi8ELb1ELb1ELc78ELc76EKS1_S1_EviT_T0_PT8_S3_lS6_S3_lS4_PT9_S3_li
		.amdhsa_group_segment_fixed_size 4096
		.amdhsa_private_segment_fixed_size 0
		.amdhsa_kernarg_size 100
		.amdhsa_user_sgpr_count 13
		.amdhsa_user_sgpr_dispatch_ptr 0
		.amdhsa_user_sgpr_queue_ptr 0
		.amdhsa_user_sgpr_kernarg_segment_ptr 1
		.amdhsa_user_sgpr_dispatch_id 0
		.amdhsa_user_sgpr_private_segment_size 0
		.amdhsa_wavefront_size32 1
		.amdhsa_uses_dynamic_stack 0
		.amdhsa_enable_private_segment 0
		.amdhsa_system_sgpr_workgroup_id_x 1
		.amdhsa_system_sgpr_workgroup_id_y 1
		.amdhsa_system_sgpr_workgroup_id_z 1
		.amdhsa_system_sgpr_workgroup_info 0
		.amdhsa_system_vgpr_workitem_id 1
		.amdhsa_next_free_vgpr 60
		.amdhsa_next_free_sgpr 24
		.amdhsa_reserve_vcc 1
		.amdhsa_float_round_mode_32 0
		.amdhsa_float_round_mode_16_64 0
		.amdhsa_float_denorm_mode_32 3
		.amdhsa_float_denorm_mode_16_64 3
		.amdhsa_dx10_clamp 1
		.amdhsa_ieee_mode 1
		.amdhsa_fp16_overflow 0
		.amdhsa_workgroup_processor_mode 1
		.amdhsa_memory_ordered 1
		.amdhsa_forward_progress 0
		.amdhsa_shared_vgpr_count 0
		.amdhsa_exception_fp_ieee_invalid_op 0
		.amdhsa_exception_fp_denorm_src 0
		.amdhsa_exception_fp_ieee_div_zero 0
		.amdhsa_exception_fp_ieee_overflow 0
		.amdhsa_exception_fp_ieee_underflow 0
		.amdhsa_exception_fp_ieee_inexact 0
		.amdhsa_exception_int_div_zero 0
	.end_amdhsa_kernel
	.section	.text._ZL34rocblas_syrkx_herkx_general_kernelIi19rocblas_complex_numIfELi16ELi32ELi8ELb1ELb1ELc78ELc76EKS1_S1_EviT_T0_PT8_S3_lS6_S3_lS4_PT9_S3_li,"axG",@progbits,_ZL34rocblas_syrkx_herkx_general_kernelIi19rocblas_complex_numIfELi16ELi32ELi8ELb1ELb1ELc78ELc76EKS1_S1_EviT_T0_PT8_S3_lS6_S3_lS4_PT9_S3_li,comdat
.Lfunc_end372:
	.size	_ZL34rocblas_syrkx_herkx_general_kernelIi19rocblas_complex_numIfELi16ELi32ELi8ELb1ELb1ELc78ELc76EKS1_S1_EviT_T0_PT8_S3_lS6_S3_lS4_PT9_S3_li, .Lfunc_end372-_ZL34rocblas_syrkx_herkx_general_kernelIi19rocblas_complex_numIfELi16ELi32ELi8ELb1ELb1ELc78ELc76EKS1_S1_EviT_T0_PT8_S3_lS6_S3_lS4_PT9_S3_li
                                        ; -- End function
	.section	.AMDGPU.csdata,"",@progbits
; Kernel info:
; codeLenInByte = 2636
; NumSgprs: 26
; NumVgprs: 60
; ScratchSize: 0
; MemoryBound: 1
; FloatMode: 240
; IeeeMode: 1
; LDSByteSize: 4096 bytes/workgroup (compile time only)
; SGPRBlocks: 3
; VGPRBlocks: 7
; NumSGPRsForWavesPerEU: 26
; NumVGPRsForWavesPerEU: 60
; Occupancy: 16
; WaveLimiterHint : 0
; COMPUTE_PGM_RSRC2:SCRATCH_EN: 0
; COMPUTE_PGM_RSRC2:USER_SGPR: 13
; COMPUTE_PGM_RSRC2:TRAP_HANDLER: 0
; COMPUTE_PGM_RSRC2:TGID_X_EN: 1
; COMPUTE_PGM_RSRC2:TGID_Y_EN: 1
; COMPUTE_PGM_RSRC2:TGID_Z_EN: 1
; COMPUTE_PGM_RSRC2:TIDIG_COMP_CNT: 1
	.section	.text._ZL34rocblas_syrkx_herkx_general_kernelIi19rocblas_complex_numIfELi16ELi32ELi8ELb1ELb1ELc84ELc85EKS1_S1_EviT_T0_PT8_S3_lS6_S3_lS4_PT9_S3_li,"axG",@progbits,_ZL34rocblas_syrkx_herkx_general_kernelIi19rocblas_complex_numIfELi16ELi32ELi8ELb1ELb1ELc84ELc85EKS1_S1_EviT_T0_PT8_S3_lS6_S3_lS4_PT9_S3_li,comdat
	.globl	_ZL34rocblas_syrkx_herkx_general_kernelIi19rocblas_complex_numIfELi16ELi32ELi8ELb1ELb1ELc84ELc85EKS1_S1_EviT_T0_PT8_S3_lS6_S3_lS4_PT9_S3_li ; -- Begin function _ZL34rocblas_syrkx_herkx_general_kernelIi19rocblas_complex_numIfELi16ELi32ELi8ELb1ELb1ELc84ELc85EKS1_S1_EviT_T0_PT8_S3_lS6_S3_lS4_PT9_S3_li
	.p2align	8
	.type	_ZL34rocblas_syrkx_herkx_general_kernelIi19rocblas_complex_numIfELi16ELi32ELi8ELb1ELb1ELc84ELc85EKS1_S1_EviT_T0_PT8_S3_lS6_S3_lS4_PT9_S3_li,@function
_ZL34rocblas_syrkx_herkx_general_kernelIi19rocblas_complex_numIfELi16ELi32ELi8ELb1ELb1ELc84ELc85EKS1_S1_EviT_T0_PT8_S3_lS6_S3_lS4_PT9_S3_li: ; @_ZL34rocblas_syrkx_herkx_general_kernelIi19rocblas_complex_numIfELi16ELi32ELi8ELb1ELb1ELc84ELc85EKS1_S1_EviT_T0_PT8_S3_lS6_S3_lS4_PT9_S3_li
; %bb.0:
	s_clause 0x1
	s_load_b64 s[16:17], s[0:1], 0x0
	s_load_b128 s[4:7], s[0:1], 0x8
	v_dual_mov_b32 v21, 0 :: v_dual_and_b32 v6, 0x3ff, v0
	v_bfe_u32 v7, v0, 10, 10
	v_dual_mov_b32 v20, 0 :: v_dual_mov_b32 v19, 0
	v_dual_mov_b32 v18, 0 :: v_dual_mov_b32 v17, 0
	;; [unrolled: 1-line block ×3, first 2 shown]
	v_mov_b32_e32 v14, 0
	s_lshl_b32 s12, s13, 5
	s_lshl_b32 s13, s14, 5
	s_mov_b32 s14, 0
	s_waitcnt lgkmcnt(0)
	s_cmp_lt_i32 s17, 1
	s_cbranch_scc1 .LBB373_11
; %bb.1:
	s_load_b32 s2, s[0:1], 0x18
	v_lshl_add_u32 v0, v7, 4, v6
	s_clause 0x2
	s_load_b128 s[8:11], s[0:1], 0x20
	s_load_b32 s3, s[0:1], 0x30
	s_load_b64 s[18:19], s[0:1], 0x38
	v_dual_mov_b32 v15, 0 :: v_dual_and_b32 v8, 7, v6
	v_dual_mov_b32 v17, 0 :: v_dual_and_b32 v2, 31, v0
	v_lshrrev_b32_e32 v1, 3, v0
	s_delay_alu instid0(VALU_DEP_3) | instskip(SKIP_1) | instid1(VALU_DEP_4)
	v_dual_mov_b32 v19, 0 :: v_dual_lshlrev_b32 v4, 3, v8
	v_lshrrev_b32_e32 v11, 5, v0
	v_dual_mov_b32 v16, 0 :: v_dual_add_nc_u32 v3, s12, v2
	s_delay_alu instid0(VALU_DEP_4) | instskip(NEXT) | instid1(VALU_DEP_4)
	v_add_nc_u32_e32 v5, s13, v1
	v_lshl_or_b32 v13, v1, 6, v4
	v_or_b32_e32 v12, s12, v2
	v_dual_mov_b32 v21, 0 :: v_dual_lshlrev_b32 v2, 3, v2
	v_lshlrev_b32_e32 v9, 3, v6
	v_lshl_add_u32 v10, v7, 6, 0x800
	s_waitcnt lgkmcnt(0)
	v_mad_i64_i32 v[0:1], null, s2, v3, 0
	s_mul_i32 s9, s9, s15
	s_mul_hi_u32 s20, s8, s15
	v_cmp_gt_i32_e32 vcc_lo, s16, v12
	v_lshl_or_b32 v12, v11, 8, v2
	v_mad_i64_i32 v[2:3], null, s3, v5, 0
	s_delay_alu instid0(VALU_DEP_4)
	v_lshlrev_b64 v[0:1], 3, v[0:1]
	s_mul_i32 s8, s8, s15
	s_add_i32 s9, s20, s9
	v_cmp_gt_i32_e64 s2, s16, v5
	s_lshl_b64 s[8:9], s[8:9], 3
	v_dual_mov_b32 v18, 0 :: v_dual_add_nc_u32 v13, 0x800, v13
	v_add_co_u32 v5, s3, v0, s8
	s_delay_alu instid0(VALU_DEP_1)
	v_add_co_ci_u32_e64 v14, s3, s9, v1, s3
	s_mul_i32 s3, s19, s15
	s_mul_hi_u32 s8, s18, s15
	v_lshlrev_b64 v[0:1], 3, v[2:3]
	s_add_i32 s9, s8, s3
	s_mul_i32 s8, s18, s15
	v_lshlrev_b32_e32 v2, 3, v11
	s_lshl_b64 s[8:9], s[8:9], 3
	v_mov_b32_e32 v20, 0
	v_add_co_u32 v0, s3, v0, s8
	s_delay_alu instid0(VALU_DEP_1) | instskip(SKIP_1) | instid1(VALU_DEP_1)
	v_add_co_ci_u32_e64 v1, s3, s9, v1, s3
	v_add_co_u32 v2, s3, v5, v2
	v_add_co_ci_u32_e64 v3, s3, 0, v14, s3
	s_delay_alu instid0(VALU_DEP_4) | instskip(NEXT) | instid1(VALU_DEP_1)
	v_add_co_u32 v4, s3, v0, v4
	v_add_co_ci_u32_e64 v5, s3, 0, v1, s3
	s_delay_alu instid0(VALU_DEP_4) | instskip(NEXT) | instid1(VALU_DEP_1)
	;; [unrolled: 3-line block ×3, first 2 shown]
	v_add_co_u32 v2, s3, s10, v4
	v_add_co_ci_u32_e64 v3, s3, s11, v5, s3
	v_mov_b32_e32 v4, 0
	v_mov_b32_e32 v14, 0
	s_xor_b32 s3, vcc_lo, -1
	s_xor_b32 s2, s2, -1
	s_branch .LBB373_3
.LBB373_2:                              ;   in Loop: Header=BB373_3 Depth=1
	s_or_b32 exec_lo, exec_lo, s6
	s_waitcnt lgkmcnt(0)
	s_barrier
	buffer_gl0_inv
	ds_load_2addr_b64 v[22:25], v9 offset1:16
	ds_load_b128 v[26:29], v10
	ds_load_b128 v[30:33], v10 offset:1024
	ds_load_b128 v[34:37], v10 offset:16
	;; [unrolled: 1-line block ×4, first 2 shown]
	ds_load_2addr_b64 v[46:49], v9 offset0:32 offset1:48
	ds_load_b128 v[50:53], v10 offset:1040
	v_add_co_u32 v0, vcc_lo, v0, 64
	v_add_co_ci_u32_e32 v1, vcc_lo, 0, v1, vcc_lo
	v_add_co_u32 v2, vcc_lo, v2, 64
	v_add_co_ci_u32_e32 v3, vcc_lo, 0, v3, vcc_lo
	s_add_i32 s14, s14, 8
	s_delay_alu instid0(SALU_CYCLE_1)
	s_cmp_ge_i32 s14, s17
	s_waitcnt lgkmcnt(6)
	v_dual_mul_f32 v5, v27, v23 :: v_dual_mul_f32 v56, v26, v25
	v_dual_mul_f32 v54, v26, v23 :: v_dual_mul_f32 v55, v27, v25
	s_waitcnt lgkmcnt(5)
	v_mul_f32_e32 v58, v31, v25
	s_delay_alu instid0(VALU_DEP_3) | instskip(SKIP_3) | instid1(VALU_DEP_4)
	v_fma_f32 v5, v26, v22, -v5
	v_dual_mul_f32 v25, v30, v25 :: v_dual_fmac_f32 v56, v27, v24
	v_fmac_f32_e32 v54, v27, v22
	v_fma_f32 v26, v26, v24, -v55
	v_add_f32_e32 v5, v20, v5
	v_mul_f32_e32 v57, v31, v23
	s_delay_alu instid0(VALU_DEP_4) | instskip(SKIP_2) | instid1(VALU_DEP_4)
	v_dual_mul_f32 v23, v30, v23 :: v_dual_add_f32 v20, v21, v54
	v_fmac_f32_e32 v25, v31, v24
	v_dual_add_f32 v21, v18, v26 :: v_dual_add_f32 v26, v19, v56
	v_fma_f32 v27, v30, v22, -v57
	s_delay_alu instid0(VALU_DEP_4) | instskip(SKIP_3) | instid1(VALU_DEP_2)
	v_fmac_f32_e32 v23, v31, v22
	v_fma_f32 v22, v30, v24, -v58
	s_waitcnt lgkmcnt(1)
	v_mul_f32_e32 v30, v29, v47
	v_dual_add_f32 v27, v16, v27 :: v_dual_add_f32 v14, v14, v22
	v_dual_mul_f32 v22, v28, v47 :: v_dual_add_f32 v15, v15, v25
	v_mul_f32_e32 v25, v28, v49
	s_delay_alu instid0(VALU_DEP_4) | instskip(NEXT) | instid1(VALU_DEP_3)
	v_fma_f32 v24, v28, v46, -v30
	v_fmac_f32_e32 v22, v29, v46
	v_add_f32_e32 v23, v17, v23
	ds_load_2addr_b64 v[16:19], v9 offset0:64 offset1:80
	v_mul_f32_e32 v30, v29, v49
	v_fmac_f32_e32 v25, v29, v48
	v_add_f32_e32 v5, v5, v24
	s_delay_alu instid0(VALU_DEP_2) | instskip(SKIP_1) | instid1(VALU_DEP_1)
	v_add_f32_e32 v25, v26, v25
	v_mul_f32_e32 v26, v32, v49
	v_fmac_f32_e32 v26, v33, v48
	s_waitcnt lgkmcnt(0)
	s_delay_alu instid0(VALU_DEP_1) | instskip(SKIP_1) | instid1(VALU_DEP_2)
	v_dual_add_f32 v26, v15, v26 :: v_dual_mul_f32 v29, v34, v17
	v_mul_f32_e32 v15, v34, v19
	v_fmac_f32_e32 v29, v35, v16
	v_fma_f32 v24, v28, v48, -v30
	v_mul_f32_e32 v28, v33, v47
	v_add_f32_e32 v30, v20, v22
	v_mul_f32_e32 v20, v32, v47
	v_mul_f32_e32 v22, v33, v49
	v_add_f32_e32 v24, v21, v24
	v_fma_f32 v21, v32, v46, -v28
	s_delay_alu instid0(VALU_DEP_4) | instskip(SKIP_1) | instid1(VALU_DEP_3)
	v_dual_add_f32 v29, v30, v29 :: v_dual_fmac_f32 v20, v33, v46
	v_fmac_f32_e32 v15, v35, v18
	v_add_f32_e32 v27, v27, v21
	v_fma_f32 v21, v32, v48, -v22
	v_mul_f32_e32 v22, v35, v17
	v_mul_f32_e32 v32, v35, v19
	v_add_f32_e32 v28, v23, v20
	s_delay_alu instid0(VALU_DEP_4) | instskip(NEXT) | instid1(VALU_DEP_4)
	v_add_f32_e32 v14, v14, v21
	v_fma_f32 v31, v34, v16, -v22
	ds_load_2addr_b64 v[20:23], v9 offset0:96 offset1:112
	v_add_f32_e32 v5, v5, v31
	v_fma_f32 v31, v34, v18, -v32
	s_delay_alu instid0(VALU_DEP_1) | instskip(SKIP_3) | instid1(VALU_DEP_3)
	v_add_f32_e32 v24, v24, v31
	v_mul_f32_e32 v31, v51, v19
	v_mul_f32_e32 v19, v50, v19
	v_add_f32_e32 v32, v25, v15
	v_fma_f32 v15, v50, v18, -v31
	s_delay_alu instid0(VALU_DEP_3)
	v_fmac_f32_e32 v19, v51, v18
	v_mul_f32_e32 v30, v51, v17
	v_mul_f32_e32 v17, v50, v17
	s_waitcnt lgkmcnt(0)
	v_dual_mul_f32 v18, v37, v21 :: v_dual_add_f32 v31, v14, v15
	v_add_f32_e32 v33, v26, v19
	v_fma_f32 v30, v50, v16, -v30
	v_fmac_f32_e32 v17, v51, v16
	s_delay_alu instid0(VALU_DEP_4) | instskip(SKIP_1) | instid1(VALU_DEP_4)
	v_fma_f32 v18, v36, v20, -v18
	v_mul_f32_e32 v25, v36, v21
	v_dual_mul_f32 v19, v36, v23 :: v_dual_add_f32 v30, v27, v30
	s_delay_alu instid0(VALU_DEP_4) | instskip(SKIP_4) | instid1(VALU_DEP_2)
	v_add_f32_e32 v28, v28, v17
	ds_load_2addr_b64 v[14:17], v9 offset0:128 offset1:144
	v_add_f32_e32 v5, v5, v18
	v_mul_f32_e32 v18, v53, v21
	v_fmac_f32_e32 v19, v37, v22
	v_fma_f32 v18, v52, v20, -v18
	v_mul_f32_e32 v27, v37, v23
	s_delay_alu instid0(VALU_DEP_1) | instskip(NEXT) | instid1(VALU_DEP_3)
	v_fma_f32 v26, v36, v22, -v27
	v_add_f32_e32 v36, v30, v18
	s_waitcnt lgkmcnt(0)
	s_delay_alu instid0(VALU_DEP_2) | instskip(SKIP_2) | instid1(VALU_DEP_3)
	v_dual_add_f32 v35, v24, v26 :: v_dual_mul_f32 v46, v38, v15
	v_dual_fmac_f32 v25, v37, v20 :: v_dual_add_f32 v32, v32, v19
	v_mul_f32_e32 v18, v39, v15
	v_fmac_f32_e32 v46, v39, v14
	s_delay_alu instid0(VALU_DEP_3)
	v_add_f32_e32 v34, v29, v25
	v_mul_f32_e32 v29, v53, v23
	v_mul_f32_e32 v23, v52, v23
	ds_load_b128 v[24:27], v10 offset:1056
	v_add_f32_e32 v34, v34, v46
	v_fma_f32 v19, v52, v22, -v29
	v_mul_f32_e32 v21, v52, v21
	v_fmac_f32_e32 v23, v53, v22
	v_mul_f32_e32 v29, v39, v17
	s_delay_alu instid0(VALU_DEP_3) | instskip(NEXT) | instid1(VALU_DEP_3)
	v_dual_add_f32 v22, v31, v19 :: v_dual_fmac_f32 v21, v53, v20
	v_add_f32_e32 v23, v33, v23
	s_delay_alu instid0(VALU_DEP_2) | instskip(SKIP_4) | instid1(VALU_DEP_2)
	v_add_f32_e32 v37, v28, v21
	v_fma_f32 v28, v38, v14, -v18
	ds_load_2addr_b64 v[18:21], v9 offset0:160 offset1:176
	v_mul_f32_e32 v33, v38, v17
	v_fma_f32 v38, v38, v16, -v29
	v_fmac_f32_e32 v33, v39, v16
	s_delay_alu instid0(VALU_DEP_1)
	v_dual_add_f32 v35, v35, v38 :: v_dual_add_f32 v32, v32, v33
	v_add_f32_e32 v5, v5, v28
	ds_load_b128 v[28:31], v10 offset:1072
	s_waitcnt lgkmcnt(2)
	v_mul_f32_e32 v47, v25, v15
	v_mul_f32_e32 v15, v24, v15
	;; [unrolled: 1-line block ×4, first 2 shown]
	s_delay_alu instid0(VALU_DEP_4) | instskip(NEXT) | instid1(VALU_DEP_4)
	v_fma_f32 v38, v24, v14, -v47
	v_fmac_f32_e32 v15, v25, v14
	s_delay_alu instid0(VALU_DEP_4)
	v_fma_f32 v14, v24, v16, -v39
	s_waitcnt lgkmcnt(1)
	v_mul_f32_e32 v17, v41, v19
	v_dual_fmac_f32 v33, v25, v16 :: v_dual_add_f32 v36, v36, v38
	v_add_f32_e32 v24, v37, v15
	v_add_f32_e32 v22, v22, v14
	s_delay_alu instid0(VALU_DEP_4) | instskip(SKIP_2) | instid1(VALU_DEP_1)
	v_fma_f32 v37, v40, v18, -v17
	ds_load_2addr_b64 v[14:17], v9 offset0:192 offset1:208
	v_dual_mul_f32 v25, v40, v19 :: v_dual_mul_f32 v38, v41, v21
	v_fmac_f32_e32 v25, v41, v18
	s_delay_alu instid0(VALU_DEP_1) | instskip(SKIP_4) | instid1(VALU_DEP_3)
	v_add_f32_e32 v34, v34, v25
	v_add_f32_e32 v33, v23, v33
	v_mul_f32_e32 v23, v40, v21
	v_mul_f32_e32 v25, v27, v19
	;; [unrolled: 1-line block ×3, first 2 shown]
	v_fmac_f32_e32 v23, v41, v20
	s_delay_alu instid0(VALU_DEP_3) | instskip(NEXT) | instid1(VALU_DEP_2)
	v_fma_f32 v25, v26, v18, -v25
	v_dual_fmac_f32 v19, v27, v18 :: v_dual_add_f32 v18, v32, v23
	s_waitcnt lgkmcnt(0)
	v_dual_mul_f32 v32, v43, v15 :: v_dual_add_f32 v5, v5, v37
	v_fma_f32 v37, v40, v20, -v38
	s_delay_alu instid0(VALU_DEP_3) | instskip(NEXT) | instid1(VALU_DEP_3)
	v_add_f32_e32 v19, v24, v19
	v_fma_f32 v32, v42, v14, -v32
	s_delay_alu instid0(VALU_DEP_1) | instskip(NEXT) | instid1(VALU_DEP_4)
	v_add_f32_e32 v5, v5, v32
	v_add_f32_e32 v35, v35, v37
	v_mul_f32_e32 v37, v27, v21
	v_dual_mul_f32 v21, v26, v21 :: v_dual_mul_f32 v32, v29, v15
	s_delay_alu instid0(VALU_DEP_2) | instskip(NEXT) | instid1(VALU_DEP_2)
	v_fma_f32 v23, v26, v20, -v37
	v_dual_add_f32 v26, v36, v25 :: v_dual_fmac_f32 v21, v27, v20
	v_mul_f32_e32 v27, v42, v15
	v_mul_f32_e32 v15, v28, v15
	s_delay_alu instid0(VALU_DEP_4)
	v_add_f32_e32 v20, v22, v23
	ds_load_2addr_b64 v[22:25], v9 offset0:224 offset1:240
	v_fma_f32 v32, v28, v14, -v32
	v_dual_fmac_f32 v27, v43, v14 :: v_dual_mul_f32 v36, v42, v17
	v_fmac_f32_e32 v15, v29, v14
	s_waitcnt lgkmcnt(0)
	s_delay_alu instid0(VALU_DEP_3) | instskip(NEXT) | instid1(VALU_DEP_3)
	v_add_f32_e32 v14, v26, v32
	v_dual_add_f32 v27, v34, v27 :: v_dual_fmac_f32 v36, v43, v16
	s_delay_alu instid0(VALU_DEP_3)
	v_dual_mul_f32 v34, v29, v17 :: v_dual_add_f32 v15, v19, v15
	s_barrier
	buffer_gl0_inv
	v_mul_f32_e32 v26, v45, v23
	v_add_f32_e32 v21, v33, v21
	v_mul_f32_e32 v33, v43, v17
	v_mul_f32_e32 v17, v28, v17
	;; [unrolled: 1-line block ×3, first 2 shown]
	s_delay_alu instid0(VALU_DEP_3) | instskip(NEXT) | instid1(VALU_DEP_3)
	v_fma_f32 v33, v42, v16, -v33
	v_fmac_f32_e32 v17, v29, v16
	s_delay_alu instid0(VALU_DEP_3) | instskip(NEXT) | instid1(VALU_DEP_3)
	v_fmac_f32_e32 v19, v45, v24
	v_add_f32_e32 v33, v35, v33
	v_add_f32_e32 v35, v18, v36
	v_fma_f32 v18, v28, v16, -v34
	v_fma_f32 v16, v44, v22, -v26
	v_mul_f32_e32 v28, v44, v23
	v_dual_add_f32 v26, v21, v17 :: v_dual_mul_f32 v17, v30, v23
	s_delay_alu instid0(VALU_DEP_4) | instskip(NEXT) | instid1(VALU_DEP_4)
	v_dual_add_f32 v29, v20, v18 :: v_dual_mul_f32 v18, v45, v25
	v_add_f32_e32 v20, v5, v16
	v_mul_f32_e32 v16, v31, v23
	v_mul_f32_e32 v23, v31, v25
	;; [unrolled: 1-line block ×3, first 2 shown]
	v_fma_f32 v5, v44, v24, -v18
	v_fmac_f32_e32 v28, v45, v22
	v_fmac_f32_e32 v17, v31, v22
	v_add_f32_e32 v19, v35, v19
	s_delay_alu instid0(VALU_DEP_4)
	v_dual_fmac_f32 v25, v31, v24 :: v_dual_add_f32 v18, v33, v5
	v_fma_f32 v5, v30, v22, -v16
	v_fma_f32 v22, v30, v24, -v23
	v_add_f32_e32 v21, v27, v28
	v_add_f32_e32 v17, v15, v17
	;; [unrolled: 1-line block ×5, first 2 shown]
	s_cbranch_scc1 .LBB373_11
.LBB373_3:                              ; =>This Inner Loop Header: Depth=1
	v_add_nc_u32_e32 v5, s14, v11
	s_delay_alu instid0(VALU_DEP_1) | instskip(SKIP_1) | instid1(SALU_CYCLE_1)
	v_cmp_le_i32_e32 vcc_lo, s17, v5
	s_or_b32 s6, s3, vcc_lo
	s_and_saveexec_b32 s7, s6
	s_delay_alu instid0(SALU_CYCLE_1)
	s_xor_b32 s6, exec_lo, s7
	s_cbranch_execz .LBB373_5
; %bb.4:                                ;   in Loop: Header=BB373_3 Depth=1
	v_mov_b32_e32 v5, v4
	ds_store_b64 v12, v[4:5]
.LBB373_5:                              ;   in Loop: Header=BB373_3 Depth=1
	s_and_not1_saveexec_b32 s6, s6
	s_cbranch_execz .LBB373_7
; %bb.6:                                ;   in Loop: Header=BB373_3 Depth=1
	global_load_b64 v[22:23], v[0:1], off
	s_waitcnt vmcnt(0)
	ds_store_b64 v12, v[22:23]
.LBB373_7:                              ;   in Loop: Header=BB373_3 Depth=1
	s_or_b32 exec_lo, exec_lo, s6
	v_add_nc_u32_e32 v5, s14, v8
	s_delay_alu instid0(VALU_DEP_1) | instskip(SKIP_1) | instid1(SALU_CYCLE_1)
	v_cmp_le_i32_e32 vcc_lo, s17, v5
	s_or_b32 s6, vcc_lo, s2
	s_and_saveexec_b32 s7, s6
	s_delay_alu instid0(SALU_CYCLE_1)
	s_xor_b32 s6, exec_lo, s7
	s_cbranch_execz .LBB373_9
; %bb.8:                                ;   in Loop: Header=BB373_3 Depth=1
	v_mov_b32_e32 v5, v4
	ds_store_b64 v13, v[4:5]
.LBB373_9:                              ;   in Loop: Header=BB373_3 Depth=1
	s_and_not1_saveexec_b32 s6, s6
	s_cbranch_execz .LBB373_2
; %bb.10:                               ;   in Loop: Header=BB373_3 Depth=1
	global_load_b64 v[22:23], v[2:3], off
	s_waitcnt vmcnt(0)
	ds_store_b64 v13, v[22:23]
	s_branch .LBB373_2
.LBB373_11:
	s_clause 0x2
	s_load_b32 s2, s[0:1], 0x50
	s_load_b64 s[6:7], s[0:1], 0x58
	s_load_b64 s[8:9], s[0:1], 0x48
	v_add_nc_u32_e32 v5, s13, v7
	v_add_nc_u32_e32 v0, s12, v6
	s_delay_alu instid0(VALU_DEP_2)
	v_cmp_gt_i32_e32 vcc_lo, s16, v5
	s_waitcnt lgkmcnt(0)
	v_mad_i64_i32 v[1:2], null, v5, s2, 0
	s_mul_i32 s1, s15, s7
	s_mul_hi_u32 s3, s15, s6
	s_mul_i32 s0, s15, s6
	s_add_i32 s1, s3, s1
	s_delay_alu instid0(SALU_CYCLE_1) | instskip(NEXT) | instid1(VALU_DEP_1)
	s_lshl_b64 s[6:7], s[0:1], 3
	v_lshlrev_b64 v[1:2], 3, v[1:2]
	s_add_u32 s3, s8, s6
	v_cmp_le_i32_e64 s0, v0, v5
	s_addc_u32 s6, s9, s7
	s_delay_alu instid0(VALU_DEP_2) | instskip(NEXT) | instid1(VALU_DEP_1)
	v_add_co_u32 v4, s1, s3, v1
	v_add_co_ci_u32_e64 v6, s1, s6, v2, s1
	s_delay_alu instid0(VALU_DEP_3) | instskip(NEXT) | instid1(SALU_CYCLE_1)
	s_and_b32 s0, vcc_lo, s0
	s_and_saveexec_b32 s1, s0
	s_cbranch_execz .LBB373_14
; %bb.12:
	v_ashrrev_i32_e32 v1, 31, v0
	v_mul_f32_e32 v8, s4, v21
	v_mul_f32_e32 v3, s5, v21
	s_delay_alu instid0(VALU_DEP_3) | instskip(NEXT) | instid1(VALU_DEP_3)
	v_lshlrev_b64 v[1:2], 3, v[0:1]
	v_fmac_f32_e32 v8, s5, v20
	s_delay_alu instid0(VALU_DEP_3) | instskip(NEXT) | instid1(VALU_DEP_3)
	v_fma_f32 v7, v20, s4, -v3
	v_add_co_u32 v1, s0, v4, v1
	s_delay_alu instid0(VALU_DEP_1)
	v_add_co_ci_u32_e64 v2, s0, v6, v2, s0
	v_cmp_eq_u32_e64 s0, v5, v0
	global_store_b64 v[1:2], v[7:8], off
	s_and_b32 exec_lo, exec_lo, s0
	s_cbranch_execz .LBB373_14
; %bb.13:
	v_mov_b32_e32 v3, 0
	global_store_b32 v[1:2], v3, off offset:4
.LBB373_14:
	s_or_b32 exec_lo, exec_lo, s1
	v_add_nc_u32_e32 v2, 16, v0
	s_delay_alu instid0(VALU_DEP_1) | instskip(NEXT) | instid1(VALU_DEP_1)
	v_cmp_le_i32_e64 s0, v2, v5
	s_and_b32 s1, vcc_lo, s0
	s_delay_alu instid0(SALU_CYCLE_1)
	s_and_saveexec_b32 s0, s1
	s_cbranch_execz .LBB373_17
; %bb.15:
	v_ashrrev_i32_e32 v3, 31, v2
	v_mul_f32_e32 v8, s4, v19
	v_mul_f32_e32 v1, s5, v19
	s_delay_alu instid0(VALU_DEP_3) | instskip(NEXT) | instid1(VALU_DEP_3)
	v_lshlrev_b64 v[9:10], 3, v[2:3]
	v_fmac_f32_e32 v8, s5, v18
	s_delay_alu instid0(VALU_DEP_3) | instskip(NEXT) | instid1(VALU_DEP_3)
	v_fma_f32 v7, v18, s4, -v1
	v_add_co_u32 v3, vcc_lo, v4, v9
	s_delay_alu instid0(VALU_DEP_4)
	v_add_co_ci_u32_e32 v4, vcc_lo, v6, v10, vcc_lo
	v_cmp_eq_u32_e32 vcc_lo, v5, v2
	global_store_b64 v[3:4], v[7:8], off
	s_and_b32 exec_lo, exec_lo, vcc_lo
	s_cbranch_execz .LBB373_17
; %bb.16:
	v_mov_b32_e32 v1, 0
	global_store_b32 v[3:4], v1, off offset:4
.LBB373_17:
	s_or_b32 exec_lo, exec_lo, s0
	v_add_nc_u32_e32 v8, 16, v5
	s_delay_alu instid0(VALU_DEP_1) | instskip(SKIP_2) | instid1(VALU_DEP_1)
	v_mad_i64_i32 v[3:4], null, v8, s2, 0
	v_cmp_gt_i32_e32 vcc_lo, s16, v8
	v_cmp_le_i32_e64 s0, v0, v8
	s_and_b32 s0, vcc_lo, s0
	s_delay_alu instid0(VALU_DEP_3) | instskip(NEXT) | instid1(VALU_DEP_1)
	v_lshlrev_b64 v[3:4], 3, v[3:4]
	v_add_co_u32 v6, s1, s3, v3
	s_delay_alu instid0(VALU_DEP_1)
	v_add_co_ci_u32_e64 v7, s1, s6, v4, s1
	s_and_saveexec_b32 s1, s0
	s_cbranch_execz .LBB373_20
; %bb.18:
	v_ashrrev_i32_e32 v1, 31, v0
	v_mul_f32_e32 v10, s4, v17
	v_mul_f32_e32 v9, s5, v17
	s_delay_alu instid0(VALU_DEP_3) | instskip(NEXT) | instid1(VALU_DEP_3)
	v_lshlrev_b64 v[3:4], 3, v[0:1]
	v_fmac_f32_e32 v10, s5, v16
	s_delay_alu instid0(VALU_DEP_3) | instskip(NEXT) | instid1(VALU_DEP_3)
	v_fma_f32 v9, v16, s4, -v9
	v_add_co_u32 v3, s0, v6, v3
	s_delay_alu instid0(VALU_DEP_1)
	v_add_co_ci_u32_e64 v4, s0, v7, v4, s0
	v_cmp_eq_u32_e64 s0, v8, v0
	global_store_b64 v[3:4], v[9:10], off
	s_and_b32 exec_lo, exec_lo, s0
	s_cbranch_execz .LBB373_20
; %bb.19:
	v_mov_b32_e32 v1, 0
	global_store_b32 v[3:4], v1, off offset:4
.LBB373_20:
	s_or_b32 exec_lo, exec_lo, s1
	v_cmp_le_i32_e64 s0, v2, v8
	s_delay_alu instid0(VALU_DEP_1) | instskip(NEXT) | instid1(SALU_CYCLE_1)
	s_and_b32 s0, vcc_lo, s0
	s_and_saveexec_b32 s1, s0
	s_cbranch_execz .LBB373_23
; %bb.21:
	v_ashrrev_i32_e32 v3, 31, v2
	v_mul_f32_e32 v8, s5, v15
	v_mul_f32_e32 v4, s4, v15
	s_delay_alu instid0(VALU_DEP_3) | instskip(NEXT) | instid1(VALU_DEP_3)
	v_lshlrev_b64 v[1:2], 3, v[2:3]
	v_fma_f32 v3, v14, s4, -v8
	s_delay_alu instid0(VALU_DEP_3) | instskip(NEXT) | instid1(VALU_DEP_3)
	v_fmac_f32_e32 v4, s5, v14
	v_add_co_u32 v1, vcc_lo, v6, v1
	s_delay_alu instid0(VALU_DEP_4)
	v_add_co_ci_u32_e32 v2, vcc_lo, v7, v2, vcc_lo
	v_cmp_eq_u32_e32 vcc_lo, v5, v0
	global_store_b64 v[1:2], v[3:4], off
	s_and_b32 exec_lo, exec_lo, vcc_lo
	s_cbranch_execz .LBB373_23
; %bb.22:
	v_mov_b32_e32 v0, 0
	global_store_b32 v[1:2], v0, off offset:4
.LBB373_23:
	s_nop 0
	s_sendmsg sendmsg(MSG_DEALLOC_VGPRS)
	s_endpgm
	.section	.rodata,"a",@progbits
	.p2align	6, 0x0
	.amdhsa_kernel _ZL34rocblas_syrkx_herkx_general_kernelIi19rocblas_complex_numIfELi16ELi32ELi8ELb1ELb1ELc84ELc85EKS1_S1_EviT_T0_PT8_S3_lS6_S3_lS4_PT9_S3_li
		.amdhsa_group_segment_fixed_size 4096
		.amdhsa_private_segment_fixed_size 0
		.amdhsa_kernarg_size 100
		.amdhsa_user_sgpr_count 13
		.amdhsa_user_sgpr_dispatch_ptr 0
		.amdhsa_user_sgpr_queue_ptr 0
		.amdhsa_user_sgpr_kernarg_segment_ptr 1
		.amdhsa_user_sgpr_dispatch_id 0
		.amdhsa_user_sgpr_private_segment_size 0
		.amdhsa_wavefront_size32 1
		.amdhsa_uses_dynamic_stack 0
		.amdhsa_enable_private_segment 0
		.amdhsa_system_sgpr_workgroup_id_x 1
		.amdhsa_system_sgpr_workgroup_id_y 1
		.amdhsa_system_sgpr_workgroup_id_z 1
		.amdhsa_system_sgpr_workgroup_info 0
		.amdhsa_system_vgpr_workitem_id 1
		.amdhsa_next_free_vgpr 59
		.amdhsa_next_free_sgpr 21
		.amdhsa_reserve_vcc 1
		.amdhsa_float_round_mode_32 0
		.amdhsa_float_round_mode_16_64 0
		.amdhsa_float_denorm_mode_32 3
		.amdhsa_float_denorm_mode_16_64 3
		.amdhsa_dx10_clamp 1
		.amdhsa_ieee_mode 1
		.amdhsa_fp16_overflow 0
		.amdhsa_workgroup_processor_mode 1
		.amdhsa_memory_ordered 1
		.amdhsa_forward_progress 0
		.amdhsa_shared_vgpr_count 0
		.amdhsa_exception_fp_ieee_invalid_op 0
		.amdhsa_exception_fp_denorm_src 0
		.amdhsa_exception_fp_ieee_div_zero 0
		.amdhsa_exception_fp_ieee_overflow 0
		.amdhsa_exception_fp_ieee_underflow 0
		.amdhsa_exception_fp_ieee_inexact 0
		.amdhsa_exception_int_div_zero 0
	.end_amdhsa_kernel
	.section	.text._ZL34rocblas_syrkx_herkx_general_kernelIi19rocblas_complex_numIfELi16ELi32ELi8ELb1ELb1ELc84ELc85EKS1_S1_EviT_T0_PT8_S3_lS6_S3_lS4_PT9_S3_li,"axG",@progbits,_ZL34rocblas_syrkx_herkx_general_kernelIi19rocblas_complex_numIfELi16ELi32ELi8ELb1ELb1ELc84ELc85EKS1_S1_EviT_T0_PT8_S3_lS6_S3_lS4_PT9_S3_li,comdat
.Lfunc_end373:
	.size	_ZL34rocblas_syrkx_herkx_general_kernelIi19rocblas_complex_numIfELi16ELi32ELi8ELb1ELb1ELc84ELc85EKS1_S1_EviT_T0_PT8_S3_lS6_S3_lS4_PT9_S3_li, .Lfunc_end373-_ZL34rocblas_syrkx_herkx_general_kernelIi19rocblas_complex_numIfELi16ELi32ELi8ELb1ELb1ELc84ELc85EKS1_S1_EviT_T0_PT8_S3_lS6_S3_lS4_PT9_S3_li
                                        ; -- End function
	.section	.AMDGPU.csdata,"",@progbits
; Kernel info:
; codeLenInByte = 2560
; NumSgprs: 23
; NumVgprs: 59
; ScratchSize: 0
; MemoryBound: 1
; FloatMode: 240
; IeeeMode: 1
; LDSByteSize: 4096 bytes/workgroup (compile time only)
; SGPRBlocks: 2
; VGPRBlocks: 7
; NumSGPRsForWavesPerEU: 23
; NumVGPRsForWavesPerEU: 59
; Occupancy: 16
; WaveLimiterHint : 0
; COMPUTE_PGM_RSRC2:SCRATCH_EN: 0
; COMPUTE_PGM_RSRC2:USER_SGPR: 13
; COMPUTE_PGM_RSRC2:TRAP_HANDLER: 0
; COMPUTE_PGM_RSRC2:TGID_X_EN: 1
; COMPUTE_PGM_RSRC2:TGID_Y_EN: 1
; COMPUTE_PGM_RSRC2:TGID_Z_EN: 1
; COMPUTE_PGM_RSRC2:TIDIG_COMP_CNT: 1
	.section	.text._ZL34rocblas_syrkx_herkx_general_kernelIi19rocblas_complex_numIfELi16ELi32ELi8ELb1ELb1ELc67ELc85EKS1_S1_EviT_T0_PT8_S3_lS6_S3_lS4_PT9_S3_li,"axG",@progbits,_ZL34rocblas_syrkx_herkx_general_kernelIi19rocblas_complex_numIfELi16ELi32ELi8ELb1ELb1ELc67ELc85EKS1_S1_EviT_T0_PT8_S3_lS6_S3_lS4_PT9_S3_li,comdat
	.globl	_ZL34rocblas_syrkx_herkx_general_kernelIi19rocblas_complex_numIfELi16ELi32ELi8ELb1ELb1ELc67ELc85EKS1_S1_EviT_T0_PT8_S3_lS6_S3_lS4_PT9_S3_li ; -- Begin function _ZL34rocblas_syrkx_herkx_general_kernelIi19rocblas_complex_numIfELi16ELi32ELi8ELb1ELb1ELc67ELc85EKS1_S1_EviT_T0_PT8_S3_lS6_S3_lS4_PT9_S3_li
	.p2align	8
	.type	_ZL34rocblas_syrkx_herkx_general_kernelIi19rocblas_complex_numIfELi16ELi32ELi8ELb1ELb1ELc67ELc85EKS1_S1_EviT_T0_PT8_S3_lS6_S3_lS4_PT9_S3_li,@function
_ZL34rocblas_syrkx_herkx_general_kernelIi19rocblas_complex_numIfELi16ELi32ELi8ELb1ELb1ELc67ELc85EKS1_S1_EviT_T0_PT8_S3_lS6_S3_lS4_PT9_S3_li: ; @_ZL34rocblas_syrkx_herkx_general_kernelIi19rocblas_complex_numIfELi16ELi32ELi8ELb1ELb1ELc67ELc85EKS1_S1_EviT_T0_PT8_S3_lS6_S3_lS4_PT9_S3_li
; %bb.0:
	s_clause 0x1
	s_load_b64 s[16:17], s[0:1], 0x0
	s_load_b128 s[4:7], s[0:1], 0x8
	v_dual_mov_b32 v21, 0 :: v_dual_and_b32 v6, 0x3ff, v0
	v_bfe_u32 v7, v0, 10, 10
	v_dual_mov_b32 v22, 0 :: v_dual_mov_b32 v19, 0
	v_dual_mov_b32 v20, 0 :: v_dual_mov_b32 v17, 0
	;; [unrolled: 1-line block ×3, first 2 shown]
	v_mov_b32_e32 v16, 0
	s_lshl_b32 s12, s13, 5
	s_lshl_b32 s13, s14, 5
	s_mov_b32 s14, 0
	s_waitcnt lgkmcnt(0)
	s_cmp_lt_i32 s17, 1
	s_cbranch_scc1 .LBB374_11
; %bb.1:
	s_load_b32 s2, s[0:1], 0x18
	v_lshl_add_u32 v0, v7, 4, v6
	s_clause 0x2
	s_load_b128 s[8:11], s[0:1], 0x20
	s_load_b32 s3, s[0:1], 0x30
	s_load_b64 s[18:19], s[0:1], 0x38
	v_and_b32_e32 v8, 7, v6
	v_lshlrev_b32_e32 v9, 3, v6
	v_dual_mov_b32 v17, 0 :: v_dual_and_b32 v2, 31, v0
	v_lshrrev_b32_e32 v1, 3, v0
	s_delay_alu instid0(VALU_DEP_4) | instskip(SKIP_1) | instid1(VALU_DEP_4)
	v_dual_mov_b32 v19, 0 :: v_dual_lshlrev_b32 v4, 3, v8
	v_lshrrev_b32_e32 v11, 5, v0
	v_dual_mov_b32 v16, 0 :: v_dual_add_nc_u32 v3, s12, v2
	s_delay_alu instid0(VALU_DEP_4) | instskip(NEXT) | instid1(VALU_DEP_4)
	v_add_nc_u32_e32 v5, s13, v1
	v_lshl_or_b32 v13, v1, 6, v4
	v_or_b32_e32 v12, s12, v2
	v_dual_mov_b32 v21, 0 :: v_dual_lshlrev_b32 v2, 3, v2
	v_dual_mov_b32 v20, 0 :: v_dual_lshlrev_b32 v15, 3, v11
	s_waitcnt lgkmcnt(0)
	v_mad_i64_i32 v[0:1], null, s2, v3, 0
	s_mul_i32 s9, s9, s15
	s_mul_hi_u32 s20, s8, s15
	v_cmp_gt_i32_e32 vcc_lo, s16, v12
	v_lshl_or_b32 v12, v11, 8, v2
	v_mad_i64_i32 v[2:3], null, s3, v5, 0
	s_delay_alu instid0(VALU_DEP_4)
	v_lshlrev_b64 v[0:1], 3, v[0:1]
	s_mul_i32 s8, s8, s15
	s_add_i32 s9, s20, s9
	v_cmp_gt_i32_e64 s2, s16, v5
	s_lshl_b64 s[8:9], s[8:9], 3
	v_lshl_add_u32 v10, v7, 6, 0x800
	v_add_co_u32 v5, s3, v0, s8
	s_delay_alu instid0(VALU_DEP_1)
	v_add_co_ci_u32_e64 v14, s3, s9, v1, s3
	s_mul_i32 s3, s19, s15
	s_mul_hi_u32 s8, s18, s15
	v_lshlrev_b64 v[0:1], 3, v[2:3]
	s_add_i32 s9, s8, s3
	s_mul_i32 s8, s18, s15
	v_add_co_u32 v2, s3, v5, v15
	s_lshl_b64 s[8:9], s[8:9], 3
	v_add_co_ci_u32_e64 v3, s3, 0, v14, s3
	v_add_co_u32 v0, s3, v0, s8
	s_delay_alu instid0(VALU_DEP_1) | instskip(SKIP_1) | instid1(VALU_DEP_1)
	v_add_co_ci_u32_e64 v1, s3, s9, v1, s3
	v_add_co_u32 v2, s3, v2, s6
	v_add_co_ci_u32_e64 v3, s3, s7, v3, s3
	s_delay_alu instid0(VALU_DEP_4) | instskip(NEXT) | instid1(VALU_DEP_1)
	v_add_co_u32 v4, s3, v0, v4
	v_add_co_ci_u32_e64 v5, s3, 0, v1, s3
	s_delay_alu instid0(VALU_DEP_4) | instskip(NEXT) | instid1(VALU_DEP_1)
	v_add_co_u32 v0, s3, v2, 4
	v_add_co_ci_u32_e64 v1, s3, 0, v3, s3
	s_delay_alu instid0(VALU_DEP_4)
	v_add_co_u32 v2, s3, s10, v4
	v_dual_mov_b32 v18, 0 :: v_dual_add_nc_u32 v13, 0x800, v13
	v_add_co_ci_u32_e64 v3, s3, s11, v5, s3
	v_mov_b32_e32 v4, 0
	v_dual_mov_b32 v14, 0 :: v_dual_mov_b32 v15, 0
	v_mov_b32_e32 v22, 0
	s_xor_b32 s3, vcc_lo, -1
	s_xor_b32 s2, s2, -1
	s_branch .LBB374_3
.LBB374_2:                              ;   in Loop: Header=BB374_3 Depth=1
	s_or_b32 exec_lo, exec_lo, s6
	s_waitcnt lgkmcnt(0)
	s_barrier
	buffer_gl0_inv
	ds_load_2addr_b64 v[23:26], v9 offset1:16
	ds_load_b128 v[27:30], v10
	ds_load_b128 v[31:34], v10 offset:1024
	ds_load_b128 v[35:38], v10 offset:16
	;; [unrolled: 1-line block ×4, first 2 shown]
	ds_load_2addr_b64 v[47:50], v9 offset0:32 offset1:48
	ds_load_b128 v[51:54], v10 offset:1040
	v_add_co_u32 v0, vcc_lo, v0, 64
	v_add_co_ci_u32_e32 v1, vcc_lo, 0, v1, vcc_lo
	v_add_co_u32 v2, vcc_lo, v2, 64
	v_add_co_ci_u32_e32 v3, vcc_lo, 0, v3, vcc_lo
	s_add_i32 s14, s14, 8
	s_delay_alu instid0(SALU_CYCLE_1)
	s_cmp_ge_i32 s14, s17
	s_waitcnt lgkmcnt(6)
	v_mul_f32_e32 v5, v28, v24
	v_dual_mul_f32 v55, v27, v24 :: v_dual_mul_f32 v56, v28, v26
	s_waitcnt lgkmcnt(5)
	v_dual_mul_f32 v57, v27, v26 :: v_dual_mul_f32 v58, v32, v24
	v_dual_mul_f32 v24, v31, v24 :: v_dual_mul_f32 v59, v32, v26
	v_mul_f32_e32 v26, v31, v26
	v_fma_f32 v5, v27, v23, -v5
	v_fmac_f32_e32 v55, v28, v23
	v_fma_f32 v27, v27, v25, -v56
	v_fmac_f32_e32 v57, v28, v25
	v_fma_f32 v28, v31, v23, -v58
	v_dual_fmac_f32 v24, v32, v23 :: v_dual_add_f32 v5, v21, v5
	v_fma_f32 v23, v31, v25, -v59
	v_fmac_f32_e32 v26, v32, v25
	s_delay_alu instid0(VALU_DEP_4)
	v_dual_add_f32 v28, v17, v28 :: v_dual_add_f32 v21, v22, v55
	v_dual_add_f32 v22, v19, v27 :: v_dual_add_f32 v27, v20, v57
	v_add_f32_e32 v24, v18, v24
	ds_load_2addr_b64 v[17:20], v9 offset0:64 offset1:80
	s_waitcnt lgkmcnt(2)
	v_dual_mul_f32 v31, v30, v48 :: v_dual_add_f32 v16, v16, v26
	v_dual_add_f32 v15, v15, v23 :: v_dual_mul_f32 v26, v29, v50
	v_mul_f32_e32 v23, v29, v48
	s_delay_alu instid0(VALU_DEP_3) | instskip(SKIP_1) | instid1(VALU_DEP_4)
	v_fma_f32 v25, v29, v47, -v31
	v_mul_f32_e32 v31, v30, v50
	v_fmac_f32_e32 v26, v30, v49
	s_delay_alu instid0(VALU_DEP_4) | instskip(NEXT) | instid1(VALU_DEP_2)
	v_fmac_f32_e32 v23, v30, v47
	v_dual_add_f32 v5, v5, v25 :: v_dual_add_f32 v26, v27, v26
	v_mul_f32_e32 v27, v33, v50
	s_waitcnt lgkmcnt(0)
	s_delay_alu instid0(VALU_DEP_1) | instskip(NEXT) | instid1(VALU_DEP_1)
	v_dual_fmac_f32 v27, v34, v49 :: v_dual_mul_f32 v30, v35, v18
	v_add_f32_e32 v27, v16, v27
	s_delay_alu instid0(VALU_DEP_2) | instskip(SKIP_4) | instid1(VALU_DEP_3)
	v_fmac_f32_e32 v30, v36, v17
	v_fma_f32 v25, v29, v49, -v31
	v_dual_add_f32 v31, v21, v23 :: v_dual_mul_f32 v16, v35, v20
	v_mul_f32_e32 v29, v34, v48
	v_mul_f32_e32 v23, v34, v50
	v_dual_add_f32 v25, v22, v25 :: v_dual_add_f32 v30, v31, v30
	s_delay_alu instid0(VALU_DEP_4) | instskip(NEXT) | instid1(VALU_DEP_4)
	v_fmac_f32_e32 v16, v36, v19
	v_fma_f32 v22, v33, v47, -v29
	v_mul_f32_e32 v21, v33, v48
	v_mul_f32_e32 v31, v52, v18
	s_delay_alu instid0(VALU_DEP_3) | instskip(SKIP_1) | instid1(VALU_DEP_3)
	v_add_f32_e32 v28, v28, v22
	v_fma_f32 v22, v33, v49, -v23
	v_fma_f32 v31, v51, v17, -v31
	s_delay_alu instid0(VALU_DEP_2) | instskip(SKIP_2) | instid1(VALU_DEP_2)
	v_add_f32_e32 v15, v15, v22
	v_mul_f32_e32 v23, v36, v18
	v_dual_mul_f32 v18, v51, v18 :: v_dual_fmac_f32 v21, v34, v47
	v_fma_f32 v32, v35, v17, -v23
	s_delay_alu instid0(VALU_DEP_2) | instskip(NEXT) | instid1(VALU_DEP_3)
	v_fmac_f32_e32 v18, v52, v17
	v_add_f32_e32 v29, v24, v21
	ds_load_2addr_b64 v[21:24], v9 offset0:96 offset1:112
	v_mul_f32_e32 v33, v36, v20
	v_add_f32_e32 v5, v5, v32
	v_add_f32_e32 v31, v28, v31
	s_delay_alu instid0(VALU_DEP_3) | instskip(NEXT) | instid1(VALU_DEP_1)
	v_fma_f32 v32, v35, v19, -v33
	v_add_f32_e32 v25, v25, v32
	v_mul_f32_e32 v32, v52, v20
	v_mul_f32_e32 v20, v51, v20
	s_delay_alu instid0(VALU_DEP_1) | instskip(SKIP_2) | instid1(VALU_DEP_2)
	v_fmac_f32_e32 v20, v52, v19
	s_waitcnt lgkmcnt(0)
	v_mul_f32_e32 v28, v38, v24
	v_add_f32_e32 v34, v27, v20
	v_mul_f32_e32 v20, v37, v24
	s_delay_alu instid0(VALU_DEP_3)
	v_fma_f32 v27, v37, v23, -v28
	v_add_f32_e32 v33, v26, v16
	v_fma_f32 v16, v51, v19, -v32
	v_mul_f32_e32 v26, v37, v22
	v_add_f32_e32 v29, v29, v18
	v_mul_f32_e32 v19, v38, v22
	v_fmac_f32_e32 v20, v38, v23
	v_add_f32_e32 v32, v15, v16
	ds_load_2addr_b64 v[15:18], v9 offset0:128 offset1:144
	v_fmac_f32_e32 v26, v38, v21
	s_delay_alu instid0(VALU_DEP_1) | instskip(SKIP_3) | instid1(VALU_DEP_2)
	v_add_f32_e32 v35, v30, v26
	v_mul_f32_e32 v30, v54, v24
	v_mul_f32_e32 v24, v53, v24
	v_fma_f32 v19, v37, v21, -v19
	v_fmac_f32_e32 v24, v54, v23
	s_delay_alu instid0(VALU_DEP_1) | instskip(SKIP_2) | instid1(VALU_DEP_1)
	v_dual_add_f32 v5, v5, v19 :: v_dual_add_f32 v24, v34, v24
	s_waitcnt lgkmcnt(0)
	v_mul_f32_e32 v34, v39, v18
	v_dual_mul_f32 v19, v54, v22 :: v_dual_fmac_f32 v34, v40, v17
	s_delay_alu instid0(VALU_DEP_1) | instskip(NEXT) | instid1(VALU_DEP_1)
	v_fma_f32 v19, v53, v21, -v19
	v_dual_mul_f32 v22, v53, v22 :: v_dual_add_f32 v37, v31, v19
	s_delay_alu instid0(VALU_DEP_1)
	v_fmac_f32_e32 v22, v54, v21
	v_add_f32_e32 v36, v25, v27
	ds_load_b128 v[25:28], v10 offset:1056
	v_add_f32_e32 v33, v33, v20
	v_fma_f32 v20, v53, v23, -v30
	v_dual_mul_f32 v19, v40, v16 :: v_dual_add_f32 v38, v29, v22
	v_dual_mul_f32 v47, v39, v16 :: v_dual_mul_f32 v30, v40, v18
	s_delay_alu instid0(VALU_DEP_3) | instskip(NEXT) | instid1(VALU_DEP_3)
	v_add_f32_e32 v23, v32, v20
	v_fma_f32 v29, v39, v15, -v19
	ds_load_2addr_b64 v[19:22], v9 offset0:160 offset1:176
	v_fmac_f32_e32 v47, v40, v15
	v_fma_f32 v39, v39, v17, -v30
	v_add_f32_e32 v5, v5, v29
	ds_load_b128 v[29:32], v10 offset:1072
	v_add_f32_e32 v36, v36, v39
	s_waitcnt lgkmcnt(2)
	v_mul_f32_e32 v48, v26, v16
	v_mul_f32_e32 v16, v25, v16
	v_dual_mul_f32 v40, v26, v18 :: v_dual_add_f32 v35, v35, v47
	v_add_f32_e32 v33, v33, v34
	s_delay_alu instid0(VALU_DEP_4) | instskip(NEXT) | instid1(VALU_DEP_4)
	v_fma_f32 v39, v25, v15, -v48
	v_fmac_f32_e32 v16, v26, v15
	v_mul_f32_e32 v34, v25, v18
	v_fma_f32 v15, v25, v17, -v40
	s_waitcnt lgkmcnt(1)
	v_dual_mul_f32 v18, v42, v20 :: v_dual_add_f32 v37, v37, v39
	v_mul_f32_e32 v39, v42, v22
	v_fmac_f32_e32 v34, v26, v17
	v_add_f32_e32 v25, v38, v16
	v_add_f32_e32 v23, v23, v15
	v_fma_f32 v38, v41, v19, -v18
	v_mul_f32_e32 v26, v41, v20
	ds_load_2addr_b64 v[15:18], v9 offset0:192 offset1:208
	v_add_f32_e32 v5, v5, v38
	v_add_f32_e32 v34, v24, v34
	v_mul_f32_e32 v24, v41, v22
	v_fma_f32 v38, v41, v21, -v39
	s_delay_alu instid0(VALU_DEP_2) | instskip(SKIP_1) | instid1(VALU_DEP_3)
	v_fmac_f32_e32 v24, v42, v21
	v_fmac_f32_e32 v26, v42, v19
	v_add_f32_e32 v36, v36, v38
	s_delay_alu instid0(VALU_DEP_2) | instskip(NEXT) | instid1(VALU_DEP_1)
	v_dual_add_f32 v35, v35, v26 :: v_dual_mul_f32 v26, v28, v20
	v_fma_f32 v26, v27, v19, -v26
	v_mul_f32_e32 v20, v27, v20
	s_delay_alu instid0(VALU_DEP_1) | instskip(SKIP_2) | instid1(VALU_DEP_1)
	v_dual_fmac_f32 v20, v28, v19 :: v_dual_add_f32 v19, v33, v24
	s_waitcnt lgkmcnt(0)
	v_mul_f32_e32 v33, v44, v16
	v_fma_f32 v33, v43, v15, -v33
	v_mul_f32_e32 v38, v28, v22
	s_delay_alu instid0(VALU_DEP_2) | instskip(NEXT) | instid1(VALU_DEP_2)
	v_dual_mul_f32 v22, v27, v22 :: v_dual_add_f32 v5, v5, v33
	v_fma_f32 v24, v27, v21, -v38
	v_add_f32_e32 v27, v37, v26
	v_mul_f32_e32 v37, v43, v18
	v_mul_f32_e32 v33, v30, v16
	s_delay_alu instid0(VALU_DEP_2)
	v_dual_add_f32 v20, v25, v20 :: v_dual_fmac_f32 v37, v44, v17
	v_dual_fmac_f32 v22, v28, v21 :: v_dual_add_f32 v21, v23, v24
	ds_load_2addr_b64 v[23:26], v9 offset0:224 offset1:240
	v_mul_f32_e32 v28, v43, v16
	v_mul_f32_e32 v16, v29, v16
	v_fma_f32 v33, v29, v15, -v33
	s_waitcnt lgkmcnt(0)
	s_barrier
	v_fmac_f32_e32 v28, v44, v15
	s_delay_alu instid0(VALU_DEP_2)
	v_dual_fmac_f32 v16, v30, v15 :: v_dual_add_f32 v15, v27, v33
	buffer_gl0_inv
	v_dual_add_f32 v28, v35, v28 :: v_dual_mul_f32 v35, v30, v18
	v_mul_f32_e32 v27, v46, v24
	v_add_f32_e32 v22, v34, v22
	v_mul_f32_e32 v34, v44, v18
	s_delay_alu instid0(VALU_DEP_1) | instskip(NEXT) | instid1(VALU_DEP_1)
	v_fma_f32 v34, v43, v17, -v34
	v_add_f32_e32 v34, v36, v34
	v_add_f32_e32 v36, v19, v37
	v_mul_f32_e32 v18, v29, v18
	v_fma_f32 v19, v29, v17, -v35
	s_delay_alu instid0(VALU_DEP_2) | instskip(NEXT) | instid1(VALU_DEP_2)
	v_dual_mul_f32 v29, v45, v24 :: v_dual_fmac_f32 v18, v30, v17
	v_add_f32_e32 v30, v21, v19
	v_fma_f32 v17, v45, v23, -v27
	v_mul_f32_e32 v19, v46, v26
	s_delay_alu instid0(VALU_DEP_4) | instskip(SKIP_1) | instid1(VALU_DEP_4)
	v_fmac_f32_e32 v29, v46, v23
	v_dual_add_f32 v27, v22, v18 :: v_dual_mul_f32 v18, v31, v24
	v_add_f32_e32 v21, v5, v17
	s_delay_alu instid0(VALU_DEP_4)
	v_fma_f32 v5, v45, v25, -v19
	v_mul_f32_e32 v17, v32, v24
	v_mul_f32_e32 v24, v32, v26
	v_fmac_f32_e32 v18, v32, v23
	v_add_f32_e32 v22, v28, v29
	v_add_f32_e32 v19, v34, v5
	v_fma_f32 v5, v31, v23, -v17
	v_fma_f32 v23, v31, v25, -v24
	v_add_f32_e32 v16, v20, v16
	v_mul_f32_e32 v20, v45, v26
	v_mul_f32_e32 v26, v31, v26
	v_add_f32_e32 v17, v15, v5
	s_delay_alu instid0(VALU_DEP_4) | instskip(NEXT) | instid1(VALU_DEP_4)
	v_dual_add_f32 v15, v30, v23 :: v_dual_add_f32 v18, v16, v18
	v_fmac_f32_e32 v20, v46, v25
	s_delay_alu instid0(VALU_DEP_4) | instskip(NEXT) | instid1(VALU_DEP_2)
	v_fmac_f32_e32 v26, v32, v25
	v_add_f32_e32 v20, v36, v20
	s_delay_alu instid0(VALU_DEP_2)
	v_add_f32_e32 v16, v27, v26
	s_cbranch_scc1 .LBB374_11
.LBB374_3:                              ; =>This Inner Loop Header: Depth=1
	v_add_nc_u32_e32 v5, s14, v11
                                        ; implicit-def: $sgpr7
	s_delay_alu instid0(VALU_DEP_1) | instskip(SKIP_1) | instid1(SALU_CYCLE_1)
	v_cmp_le_i32_e32 vcc_lo, s17, v5
	s_or_b32 s6, s3, vcc_lo
	s_and_saveexec_b32 s8, s6
	s_delay_alu instid0(SALU_CYCLE_1)
	s_xor_b32 s6, exec_lo, s8
	s_cbranch_execz .LBB374_5
; %bb.4:                                ;   in Loop: Header=BB374_3 Depth=1
	s_mov_b32 s7, 0
	ds_store_b32 v12, v14
.LBB374_5:                              ;   in Loop: Header=BB374_3 Depth=1
	s_or_saveexec_b32 s6, s6
	v_mov_b32_e32 v5, s7
	s_xor_b32 exec_lo, exec_lo, s6
	s_cbranch_execz .LBB374_7
; %bb.6:                                ;   in Loop: Header=BB374_3 Depth=1
	global_load_b64 v[23:24], v[0:1], off offset:-4
	s_waitcnt vmcnt(0)
	v_xor_b32_e32 v5, 0x80000000, v24
	ds_store_b32 v12, v23
.LBB374_7:                              ;   in Loop: Header=BB374_3 Depth=1
	s_or_b32 exec_lo, exec_lo, s6
	v_add_nc_u32_e32 v23, s14, v8
	ds_store_b32 v12, v5 offset:4
	v_cmp_le_i32_e32 vcc_lo, s17, v23
	s_or_b32 s6, vcc_lo, s2
	s_delay_alu instid0(SALU_CYCLE_1) | instskip(NEXT) | instid1(SALU_CYCLE_1)
	s_and_saveexec_b32 s7, s6
	s_xor_b32 s6, exec_lo, s7
	s_cbranch_execz .LBB374_9
; %bb.8:                                ;   in Loop: Header=BB374_3 Depth=1
	v_mov_b32_e32 v5, v4
	ds_store_b64 v13, v[4:5]
.LBB374_9:                              ;   in Loop: Header=BB374_3 Depth=1
	s_and_not1_saveexec_b32 s6, s6
	s_cbranch_execz .LBB374_2
; %bb.10:                               ;   in Loop: Header=BB374_3 Depth=1
	global_load_b64 v[23:24], v[2:3], off
	s_waitcnt vmcnt(0)
	ds_store_b64 v13, v[23:24]
	s_branch .LBB374_2
.LBB374_11:
	s_clause 0x2
	s_load_b32 s2, s[0:1], 0x50
	s_load_b64 s[6:7], s[0:1], 0x58
	s_load_b64 s[8:9], s[0:1], 0x48
	v_add_nc_u32_e32 v5, s13, v7
	v_add_nc_u32_e32 v0, s12, v6
	s_delay_alu instid0(VALU_DEP_2)
	v_cmp_gt_i32_e32 vcc_lo, s16, v5
	s_waitcnt lgkmcnt(0)
	v_mad_i64_i32 v[1:2], null, v5, s2, 0
	s_mul_i32 s1, s15, s7
	s_mul_hi_u32 s3, s15, s6
	s_mul_i32 s0, s15, s6
	s_add_i32 s1, s3, s1
	s_delay_alu instid0(SALU_CYCLE_1) | instskip(NEXT) | instid1(VALU_DEP_1)
	s_lshl_b64 s[6:7], s[0:1], 3
	v_lshlrev_b64 v[1:2], 3, v[1:2]
	s_add_u32 s3, s8, s6
	v_cmp_le_i32_e64 s0, v0, v5
	s_addc_u32 s6, s9, s7
	s_delay_alu instid0(VALU_DEP_2) | instskip(NEXT) | instid1(VALU_DEP_1)
	v_add_co_u32 v4, s1, s3, v1
	v_add_co_ci_u32_e64 v6, s1, s6, v2, s1
	s_delay_alu instid0(VALU_DEP_3) | instskip(NEXT) | instid1(SALU_CYCLE_1)
	s_and_b32 s0, vcc_lo, s0
	s_and_saveexec_b32 s1, s0
	s_cbranch_execz .LBB374_14
; %bb.12:
	v_ashrrev_i32_e32 v1, 31, v0
	v_mul_f32_e32 v8, s4, v22
	v_mul_f32_e32 v3, s5, v22
	s_delay_alu instid0(VALU_DEP_3) | instskip(NEXT) | instid1(VALU_DEP_3)
	v_lshlrev_b64 v[1:2], 3, v[0:1]
	v_fmac_f32_e32 v8, s5, v21
	s_delay_alu instid0(VALU_DEP_3) | instskip(NEXT) | instid1(VALU_DEP_3)
	v_fma_f32 v7, v21, s4, -v3
	v_add_co_u32 v1, s0, v4, v1
	s_delay_alu instid0(VALU_DEP_1)
	v_add_co_ci_u32_e64 v2, s0, v6, v2, s0
	v_cmp_eq_u32_e64 s0, v5, v0
	global_store_b64 v[1:2], v[7:8], off
	s_and_b32 exec_lo, exec_lo, s0
	s_cbranch_execz .LBB374_14
; %bb.13:
	v_mov_b32_e32 v3, 0
	global_store_b32 v[1:2], v3, off offset:4
.LBB374_14:
	s_or_b32 exec_lo, exec_lo, s1
	v_add_nc_u32_e32 v2, 16, v0
	s_delay_alu instid0(VALU_DEP_1) | instskip(NEXT) | instid1(VALU_DEP_1)
	v_cmp_le_i32_e64 s0, v2, v5
	s_and_b32 s1, vcc_lo, s0
	s_delay_alu instid0(SALU_CYCLE_1)
	s_and_saveexec_b32 s0, s1
	s_cbranch_execz .LBB374_17
; %bb.15:
	v_ashrrev_i32_e32 v3, 31, v2
	v_mul_f32_e32 v8, s4, v20
	v_mul_f32_e32 v1, s5, v20
	s_delay_alu instid0(VALU_DEP_3) | instskip(NEXT) | instid1(VALU_DEP_3)
	v_lshlrev_b64 v[9:10], 3, v[2:3]
	v_fmac_f32_e32 v8, s5, v19
	s_delay_alu instid0(VALU_DEP_3) | instskip(NEXT) | instid1(VALU_DEP_3)
	v_fma_f32 v7, v19, s4, -v1
	v_add_co_u32 v3, vcc_lo, v4, v9
	s_delay_alu instid0(VALU_DEP_4)
	v_add_co_ci_u32_e32 v4, vcc_lo, v6, v10, vcc_lo
	v_cmp_eq_u32_e32 vcc_lo, v5, v2
	global_store_b64 v[3:4], v[7:8], off
	s_and_b32 exec_lo, exec_lo, vcc_lo
	s_cbranch_execz .LBB374_17
; %bb.16:
	v_mov_b32_e32 v1, 0
	global_store_b32 v[3:4], v1, off offset:4
.LBB374_17:
	s_or_b32 exec_lo, exec_lo, s0
	v_add_nc_u32_e32 v8, 16, v5
	s_delay_alu instid0(VALU_DEP_1) | instskip(SKIP_2) | instid1(VALU_DEP_1)
	v_mad_i64_i32 v[3:4], null, v8, s2, 0
	v_cmp_gt_i32_e32 vcc_lo, s16, v8
	v_cmp_le_i32_e64 s0, v0, v8
	s_and_b32 s0, vcc_lo, s0
	s_delay_alu instid0(VALU_DEP_3) | instskip(NEXT) | instid1(VALU_DEP_1)
	v_lshlrev_b64 v[3:4], 3, v[3:4]
	v_add_co_u32 v6, s1, s3, v3
	s_delay_alu instid0(VALU_DEP_1)
	v_add_co_ci_u32_e64 v7, s1, s6, v4, s1
	s_and_saveexec_b32 s1, s0
	s_cbranch_execz .LBB374_20
; %bb.18:
	v_ashrrev_i32_e32 v1, 31, v0
	v_mul_f32_e32 v10, s4, v18
	v_mul_f32_e32 v9, s5, v18
	s_delay_alu instid0(VALU_DEP_3) | instskip(NEXT) | instid1(VALU_DEP_3)
	v_lshlrev_b64 v[3:4], 3, v[0:1]
	v_fmac_f32_e32 v10, s5, v17
	s_delay_alu instid0(VALU_DEP_3) | instskip(NEXT) | instid1(VALU_DEP_3)
	v_fma_f32 v9, v17, s4, -v9
	v_add_co_u32 v3, s0, v6, v3
	s_delay_alu instid0(VALU_DEP_1)
	v_add_co_ci_u32_e64 v4, s0, v7, v4, s0
	v_cmp_eq_u32_e64 s0, v8, v0
	global_store_b64 v[3:4], v[9:10], off
	s_and_b32 exec_lo, exec_lo, s0
	s_cbranch_execz .LBB374_20
; %bb.19:
	v_mov_b32_e32 v1, 0
	global_store_b32 v[3:4], v1, off offset:4
.LBB374_20:
	s_or_b32 exec_lo, exec_lo, s1
	v_cmp_le_i32_e64 s0, v2, v8
	s_delay_alu instid0(VALU_DEP_1) | instskip(NEXT) | instid1(SALU_CYCLE_1)
	s_and_b32 s0, vcc_lo, s0
	s_and_saveexec_b32 s1, s0
	s_cbranch_execz .LBB374_23
; %bb.21:
	v_ashrrev_i32_e32 v3, 31, v2
	v_mul_f32_e32 v8, s5, v16
	v_mul_f32_e32 v4, s4, v16
	s_delay_alu instid0(VALU_DEP_3) | instskip(NEXT) | instid1(VALU_DEP_3)
	v_lshlrev_b64 v[1:2], 3, v[2:3]
	v_fma_f32 v3, v15, s4, -v8
	s_delay_alu instid0(VALU_DEP_3) | instskip(NEXT) | instid1(VALU_DEP_3)
	v_fmac_f32_e32 v4, s5, v15
	v_add_co_u32 v1, vcc_lo, v6, v1
	s_delay_alu instid0(VALU_DEP_4)
	v_add_co_ci_u32_e32 v2, vcc_lo, v7, v2, vcc_lo
	v_cmp_eq_u32_e32 vcc_lo, v5, v0
	global_store_b64 v[1:2], v[3:4], off
	s_and_b32 exec_lo, exec_lo, vcc_lo
	s_cbranch_execz .LBB374_23
; %bb.22:
	v_mov_b32_e32 v0, 0
	global_store_b32 v[1:2], v0, off offset:4
.LBB374_23:
	s_nop 0
	s_sendmsg sendmsg(MSG_DEALLOC_VGPRS)
	s_endpgm
	.section	.rodata,"a",@progbits
	.p2align	6, 0x0
	.amdhsa_kernel _ZL34rocblas_syrkx_herkx_general_kernelIi19rocblas_complex_numIfELi16ELi32ELi8ELb1ELb1ELc67ELc85EKS1_S1_EviT_T0_PT8_S3_lS6_S3_lS4_PT9_S3_li
		.amdhsa_group_segment_fixed_size 4096
		.amdhsa_private_segment_fixed_size 0
		.amdhsa_kernarg_size 100
		.amdhsa_user_sgpr_count 13
		.amdhsa_user_sgpr_dispatch_ptr 0
		.amdhsa_user_sgpr_queue_ptr 0
		.amdhsa_user_sgpr_kernarg_segment_ptr 1
		.amdhsa_user_sgpr_dispatch_id 0
		.amdhsa_user_sgpr_private_segment_size 0
		.amdhsa_wavefront_size32 1
		.amdhsa_uses_dynamic_stack 0
		.amdhsa_enable_private_segment 0
		.amdhsa_system_sgpr_workgroup_id_x 1
		.amdhsa_system_sgpr_workgroup_id_y 1
		.amdhsa_system_sgpr_workgroup_id_z 1
		.amdhsa_system_sgpr_workgroup_info 0
		.amdhsa_system_vgpr_workitem_id 1
		.amdhsa_next_free_vgpr 60
		.amdhsa_next_free_sgpr 21
		.amdhsa_reserve_vcc 1
		.amdhsa_float_round_mode_32 0
		.amdhsa_float_round_mode_16_64 0
		.amdhsa_float_denorm_mode_32 3
		.amdhsa_float_denorm_mode_16_64 3
		.amdhsa_dx10_clamp 1
		.amdhsa_ieee_mode 1
		.amdhsa_fp16_overflow 0
		.amdhsa_workgroup_processor_mode 1
		.amdhsa_memory_ordered 1
		.amdhsa_forward_progress 0
		.amdhsa_shared_vgpr_count 0
		.amdhsa_exception_fp_ieee_invalid_op 0
		.amdhsa_exception_fp_denorm_src 0
		.amdhsa_exception_fp_ieee_div_zero 0
		.amdhsa_exception_fp_ieee_overflow 0
		.amdhsa_exception_fp_ieee_underflow 0
		.amdhsa_exception_fp_ieee_inexact 0
		.amdhsa_exception_int_div_zero 0
	.end_amdhsa_kernel
	.section	.text._ZL34rocblas_syrkx_herkx_general_kernelIi19rocblas_complex_numIfELi16ELi32ELi8ELb1ELb1ELc67ELc85EKS1_S1_EviT_T0_PT8_S3_lS6_S3_lS4_PT9_S3_li,"axG",@progbits,_ZL34rocblas_syrkx_herkx_general_kernelIi19rocblas_complex_numIfELi16ELi32ELi8ELb1ELb1ELc67ELc85EKS1_S1_EviT_T0_PT8_S3_lS6_S3_lS4_PT9_S3_li,comdat
.Lfunc_end374:
	.size	_ZL34rocblas_syrkx_herkx_general_kernelIi19rocblas_complex_numIfELi16ELi32ELi8ELb1ELb1ELc67ELc85EKS1_S1_EviT_T0_PT8_S3_lS6_S3_lS4_PT9_S3_li, .Lfunc_end374-_ZL34rocblas_syrkx_herkx_general_kernelIi19rocblas_complex_numIfELi16ELi32ELi8ELb1ELb1ELc67ELc85EKS1_S1_EviT_T0_PT8_S3_lS6_S3_lS4_PT9_S3_li
                                        ; -- End function
	.section	.AMDGPU.csdata,"",@progbits
; Kernel info:
; codeLenInByte = 2592
; NumSgprs: 23
; NumVgprs: 60
; ScratchSize: 0
; MemoryBound: 1
; FloatMode: 240
; IeeeMode: 1
; LDSByteSize: 4096 bytes/workgroup (compile time only)
; SGPRBlocks: 2
; VGPRBlocks: 7
; NumSGPRsForWavesPerEU: 23
; NumVGPRsForWavesPerEU: 60
; Occupancy: 16
; WaveLimiterHint : 0
; COMPUTE_PGM_RSRC2:SCRATCH_EN: 0
; COMPUTE_PGM_RSRC2:USER_SGPR: 13
; COMPUTE_PGM_RSRC2:TRAP_HANDLER: 0
; COMPUTE_PGM_RSRC2:TGID_X_EN: 1
; COMPUTE_PGM_RSRC2:TGID_Y_EN: 1
; COMPUTE_PGM_RSRC2:TGID_Z_EN: 1
; COMPUTE_PGM_RSRC2:TIDIG_COMP_CNT: 1
	.section	.text._ZL34rocblas_syrkx_herkx_general_kernelIi19rocblas_complex_numIfELi16ELi32ELi8ELb1ELb1ELc78ELc85EKS1_S1_EviT_T0_PT8_S3_lS6_S3_lS4_PT9_S3_li,"axG",@progbits,_ZL34rocblas_syrkx_herkx_general_kernelIi19rocblas_complex_numIfELi16ELi32ELi8ELb1ELb1ELc78ELc85EKS1_S1_EviT_T0_PT8_S3_lS6_S3_lS4_PT9_S3_li,comdat
	.globl	_ZL34rocblas_syrkx_herkx_general_kernelIi19rocblas_complex_numIfELi16ELi32ELi8ELb1ELb1ELc78ELc85EKS1_S1_EviT_T0_PT8_S3_lS6_S3_lS4_PT9_S3_li ; -- Begin function _ZL34rocblas_syrkx_herkx_general_kernelIi19rocblas_complex_numIfELi16ELi32ELi8ELb1ELb1ELc78ELc85EKS1_S1_EviT_T0_PT8_S3_lS6_S3_lS4_PT9_S3_li
	.p2align	8
	.type	_ZL34rocblas_syrkx_herkx_general_kernelIi19rocblas_complex_numIfELi16ELi32ELi8ELb1ELb1ELc78ELc85EKS1_S1_EviT_T0_PT8_S3_lS6_S3_lS4_PT9_S3_li,@function
_ZL34rocblas_syrkx_herkx_general_kernelIi19rocblas_complex_numIfELi16ELi32ELi8ELb1ELb1ELc78ELc85EKS1_S1_EviT_T0_PT8_S3_lS6_S3_lS4_PT9_S3_li: ; @_ZL34rocblas_syrkx_herkx_general_kernelIi19rocblas_complex_numIfELi16ELi32ELi8ELb1ELb1ELc78ELc85EKS1_S1_EviT_T0_PT8_S3_lS6_S3_lS4_PT9_S3_li
; %bb.0:
	s_clause 0x1
	s_load_b64 s[16:17], s[0:1], 0x0
	s_load_b128 s[4:7], s[0:1], 0x8
	v_dual_mov_b32 v21, 0 :: v_dual_and_b32 v6, 0x3ff, v0
	v_bfe_u32 v7, v0, 10, 10
	v_dual_mov_b32 v22, 0 :: v_dual_mov_b32 v19, 0
	v_dual_mov_b32 v20, 0 :: v_dual_mov_b32 v17, 0
	;; [unrolled: 1-line block ×3, first 2 shown]
	v_mov_b32_e32 v16, 0
	s_lshl_b32 s18, s13, 5
	s_lshl_b32 s14, s14, 5
	s_mov_b32 s19, 0
	s_waitcnt lgkmcnt(0)
	s_cmp_lt_i32 s17, 1
	s_cbranch_scc1 .LBB375_11
; %bb.1:
	s_clause 0x1
	s_load_b32 s12, s[0:1], 0x30
	s_load_b32 s20, s[0:1], 0x18
	v_lshl_add_u32 v0, v7, 4, v6
	s_clause 0x1
	s_load_b128 s[8:11], s[0:1], 0x20
	s_load_b64 s[22:23], s[0:1], 0x38
	v_dual_mov_b32 v19, 0 :: v_dual_and_b32 v8, 7, v6
	v_and_b32_e32 v4, 31, v0
	v_lshrrev_b32_e32 v1, 3, v0
	v_lshrrev_b32_e32 v9, 5, v0
	s_delay_alu instid0(VALU_DEP_4) | instskip(NEXT) | instid1(VALU_DEP_4)
	v_dual_mov_b32 v21, 0 :: v_dual_lshlrev_b32 v2, 3, v8
	v_or_b32_e32 v3, s18, v4
	s_delay_alu instid0(VALU_DEP_4) | instskip(SKIP_1) | instid1(VALU_DEP_4)
	v_add_nc_u32_e32 v0, s14, v1
	v_lshlrev_b32_e32 v5, 3, v4
	v_lshl_or_b32 v1, v1, 6, v2
	v_add_nc_u32_e32 v4, s18, v4
	v_cmp_gt_i32_e32 vcc_lo, s16, v3
	v_cmp_gt_i32_e64 s2, s16, v0
	v_lshl_or_b32 v10, v9, 8, v5
	s_waitcnt lgkmcnt(0)
	v_mad_i64_i32 v[14:15], null, s12, v8, 0
	v_mad_i64_i32 v[2:3], null, v9, s20, 0
	s_mul_i32 s3, s9, s15
	s_mul_hi_u32 s9, s8, s15
	s_mul_i32 s8, s8, s15
	s_add_i32 s9, s9, s3
	v_ashrrev_i32_e32 v5, 31, v4
	s_lshl_b64 s[8:9], s[8:9], 3
	s_delay_alu instid0(VALU_DEP_2)
	v_lshlrev_b64 v[2:3], 3, v[2:3]
	v_add_nc_u32_e32 v11, 0x800, v1
	v_ashrrev_i32_e32 v1, 31, v0
	v_lshlrev_b64 v[4:5], 3, v[4:5]
	v_lshlrev_b32_e32 v12, 3, v6
	v_lshl_add_u32 v13, v7, 6, 0x800
	v_add_co_u32 v16, s3, v2, s8
	s_delay_alu instid0(VALU_DEP_1)
	v_add_co_ci_u32_e64 v17, s3, s9, v3, s3
	s_mul_i32 s3, s23, s15
	s_mul_hi_u32 s8, s22, s15
	v_lshlrev_b64 v[2:3], 3, v[14:15]
	v_mov_b32_e32 v14, 0
	s_add_i32 s9, s8, s3
	s_mul_i32 s8, s22, s15
	v_lshlrev_b64 v[0:1], 3, v[0:1]
	s_lshl_b64 s[8:9], s[8:9], 3
	v_mov_b32_e32 v15, 0
	v_add_co_u32 v2, s3, s8, v2
	s_delay_alu instid0(VALU_DEP_1) | instskip(SKIP_1) | instid1(VALU_DEP_1)
	v_add_co_ci_u32_e64 v3, s3, s9, v3, s3
	v_add_co_u32 v4, s3, v16, v4
	v_add_co_ci_u32_e64 v5, s3, v17, v5, s3
	s_delay_alu instid0(VALU_DEP_4) | instskip(NEXT) | instid1(VALU_DEP_1)
	v_add_co_u32 v2, s3, v2, v0
	v_add_co_ci_u32_e64 v3, s3, v3, v1, s3
	s_delay_alu instid0(VALU_DEP_4) | instskip(NEXT) | instid1(VALU_DEP_1)
	;; [unrolled: 3-line block ×3, first 2 shown]
	v_add_co_u32 v2, s3, v2, s10
	v_add_co_ci_u32_e64 v3, s3, s11, v3, s3
	v_mov_b32_e32 v4, 0
	s_delay_alu instid0(VALU_DEP_3) | instskip(NEXT) | instid1(VALU_DEP_1)
	v_add_co_u32 v2, s3, v2, 4
	v_add_co_ci_u32_e64 v3, s3, 0, v3, s3
	v_mov_b32_e32 v16, 0
	v_dual_mov_b32 v18, 0 :: v_dual_mov_b32 v17, 0
	v_mov_b32_e32 v20, 0
	v_mov_b32_e32 v22, 0
	s_ashr_i32 s21, s20, 31
	s_ashr_i32 s13, s12, 31
	s_lshl_b64 s[6:7], s[20:21], 6
	s_lshl_b64 s[8:9], s[12:13], 6
	s_xor_b32 s3, vcc_lo, -1
	s_xor_b32 s2, s2, -1
	s_branch .LBB375_3
.LBB375_2:                              ;   in Loop: Header=BB375_3 Depth=1
	s_or_b32 exec_lo, exec_lo, s10
	ds_store_b32 v11, v5 offset:4
	s_waitcnt lgkmcnt(0)
	s_barrier
	buffer_gl0_inv
	ds_load_2addr_b64 v[23:26], v12 offset1:16
	ds_load_b128 v[27:30], v13
	ds_load_b128 v[31:34], v13 offset:1024
	ds_load_b128 v[35:38], v13 offset:16
	;; [unrolled: 1-line block ×4, first 2 shown]
	ds_load_2addr_b64 v[47:50], v12 offset0:32 offset1:48
	ds_load_b128 v[51:54], v13 offset:1040
	v_add_co_u32 v0, vcc_lo, v0, s6
	v_add_co_ci_u32_e32 v1, vcc_lo, s7, v1, vcc_lo
	v_add_co_u32 v2, vcc_lo, v2, s8
	v_add_co_ci_u32_e32 v3, vcc_lo, s9, v3, vcc_lo
	s_add_i32 s19, s19, 8
	s_delay_alu instid0(SALU_CYCLE_1)
	s_cmp_ge_i32 s19, s17
	s_waitcnt lgkmcnt(6)
	v_mul_f32_e32 v5, v28, v24
	v_dual_mul_f32 v55, v27, v24 :: v_dual_mul_f32 v56, v28, v26
	s_waitcnt lgkmcnt(5)
	v_dual_mul_f32 v57, v27, v26 :: v_dual_mul_f32 v58, v32, v24
	v_dual_mul_f32 v24, v31, v24 :: v_dual_mul_f32 v59, v32, v26
	v_mul_f32_e32 v26, v31, v26
	v_fma_f32 v5, v27, v23, -v5
	v_fmac_f32_e32 v55, v28, v23
	v_fma_f32 v27, v27, v25, -v56
	v_fmac_f32_e32 v57, v28, v25
	v_fma_f32 v28, v31, v23, -v58
	v_dual_fmac_f32 v24, v32, v23 :: v_dual_add_f32 v5, v21, v5
	v_fma_f32 v23, v31, v25, -v59
	v_fmac_f32_e32 v26, v32, v25
	s_delay_alu instid0(VALU_DEP_4)
	v_dual_add_f32 v28, v17, v28 :: v_dual_add_f32 v21, v22, v55
	v_dual_add_f32 v22, v19, v27 :: v_dual_add_f32 v27, v20, v57
	v_add_f32_e32 v24, v18, v24
	ds_load_2addr_b64 v[17:20], v12 offset0:64 offset1:80
	s_waitcnt lgkmcnt(2)
	v_dual_mul_f32 v31, v30, v48 :: v_dual_add_f32 v16, v16, v26
	v_dual_add_f32 v15, v15, v23 :: v_dual_mul_f32 v26, v29, v50
	v_mul_f32_e32 v23, v29, v48
	s_delay_alu instid0(VALU_DEP_3) | instskip(SKIP_1) | instid1(VALU_DEP_4)
	v_fma_f32 v25, v29, v47, -v31
	v_mul_f32_e32 v31, v30, v50
	v_fmac_f32_e32 v26, v30, v49
	s_delay_alu instid0(VALU_DEP_4) | instskip(NEXT) | instid1(VALU_DEP_2)
	v_fmac_f32_e32 v23, v30, v47
	v_dual_add_f32 v5, v5, v25 :: v_dual_add_f32 v26, v27, v26
	v_mul_f32_e32 v27, v33, v50
	s_waitcnt lgkmcnt(0)
	s_delay_alu instid0(VALU_DEP_1) | instskip(NEXT) | instid1(VALU_DEP_1)
	v_dual_fmac_f32 v27, v34, v49 :: v_dual_mul_f32 v30, v35, v18
	v_add_f32_e32 v27, v16, v27
	s_delay_alu instid0(VALU_DEP_2) | instskip(SKIP_4) | instid1(VALU_DEP_3)
	v_fmac_f32_e32 v30, v36, v17
	v_fma_f32 v25, v29, v49, -v31
	v_dual_add_f32 v31, v21, v23 :: v_dual_mul_f32 v16, v35, v20
	v_mul_f32_e32 v29, v34, v48
	v_mul_f32_e32 v23, v34, v50
	v_dual_add_f32 v25, v22, v25 :: v_dual_add_f32 v30, v31, v30
	s_delay_alu instid0(VALU_DEP_4) | instskip(NEXT) | instid1(VALU_DEP_4)
	v_fmac_f32_e32 v16, v36, v19
	v_fma_f32 v22, v33, v47, -v29
	v_mul_f32_e32 v21, v33, v48
	v_mul_f32_e32 v31, v52, v18
	s_delay_alu instid0(VALU_DEP_3) | instskip(SKIP_1) | instid1(VALU_DEP_3)
	v_add_f32_e32 v28, v28, v22
	v_fma_f32 v22, v33, v49, -v23
	v_fma_f32 v31, v51, v17, -v31
	s_delay_alu instid0(VALU_DEP_2) | instskip(SKIP_2) | instid1(VALU_DEP_2)
	v_add_f32_e32 v15, v15, v22
	v_mul_f32_e32 v23, v36, v18
	v_dual_mul_f32 v18, v51, v18 :: v_dual_fmac_f32 v21, v34, v47
	v_fma_f32 v32, v35, v17, -v23
	s_delay_alu instid0(VALU_DEP_2) | instskip(NEXT) | instid1(VALU_DEP_3)
	v_fmac_f32_e32 v18, v52, v17
	v_add_f32_e32 v29, v24, v21
	ds_load_2addr_b64 v[21:24], v12 offset0:96 offset1:112
	v_mul_f32_e32 v33, v36, v20
	v_add_f32_e32 v5, v5, v32
	v_add_f32_e32 v31, v28, v31
	s_delay_alu instid0(VALU_DEP_3) | instskip(NEXT) | instid1(VALU_DEP_1)
	v_fma_f32 v32, v35, v19, -v33
	v_add_f32_e32 v25, v25, v32
	v_mul_f32_e32 v32, v52, v20
	v_mul_f32_e32 v20, v51, v20
	s_delay_alu instid0(VALU_DEP_1) | instskip(SKIP_2) | instid1(VALU_DEP_2)
	v_fmac_f32_e32 v20, v52, v19
	s_waitcnt lgkmcnt(0)
	v_mul_f32_e32 v28, v38, v24
	v_add_f32_e32 v34, v27, v20
	v_mul_f32_e32 v20, v37, v24
	s_delay_alu instid0(VALU_DEP_3)
	v_fma_f32 v27, v37, v23, -v28
	v_add_f32_e32 v33, v26, v16
	v_fma_f32 v16, v51, v19, -v32
	v_mul_f32_e32 v26, v37, v22
	v_add_f32_e32 v29, v29, v18
	v_mul_f32_e32 v19, v38, v22
	v_fmac_f32_e32 v20, v38, v23
	v_add_f32_e32 v32, v15, v16
	ds_load_2addr_b64 v[15:18], v12 offset0:128 offset1:144
	v_fmac_f32_e32 v26, v38, v21
	s_delay_alu instid0(VALU_DEP_1) | instskip(SKIP_3) | instid1(VALU_DEP_2)
	v_add_f32_e32 v35, v30, v26
	v_mul_f32_e32 v30, v54, v24
	v_mul_f32_e32 v24, v53, v24
	v_fma_f32 v19, v37, v21, -v19
	v_fmac_f32_e32 v24, v54, v23
	s_delay_alu instid0(VALU_DEP_1) | instskip(SKIP_2) | instid1(VALU_DEP_1)
	v_dual_add_f32 v5, v5, v19 :: v_dual_add_f32 v24, v34, v24
	s_waitcnt lgkmcnt(0)
	v_mul_f32_e32 v34, v39, v18
	v_dual_mul_f32 v19, v54, v22 :: v_dual_fmac_f32 v34, v40, v17
	s_delay_alu instid0(VALU_DEP_1) | instskip(NEXT) | instid1(VALU_DEP_1)
	v_fma_f32 v19, v53, v21, -v19
	v_dual_mul_f32 v22, v53, v22 :: v_dual_add_f32 v37, v31, v19
	s_delay_alu instid0(VALU_DEP_1)
	v_fmac_f32_e32 v22, v54, v21
	v_add_f32_e32 v36, v25, v27
	ds_load_b128 v[25:28], v13 offset:1056
	v_add_f32_e32 v33, v33, v20
	v_fma_f32 v20, v53, v23, -v30
	v_dual_mul_f32 v19, v40, v16 :: v_dual_add_f32 v38, v29, v22
	v_dual_mul_f32 v47, v39, v16 :: v_dual_mul_f32 v30, v40, v18
	s_delay_alu instid0(VALU_DEP_3) | instskip(NEXT) | instid1(VALU_DEP_3)
	v_add_f32_e32 v23, v32, v20
	v_fma_f32 v29, v39, v15, -v19
	ds_load_2addr_b64 v[19:22], v12 offset0:160 offset1:176
	v_fmac_f32_e32 v47, v40, v15
	v_fma_f32 v39, v39, v17, -v30
	v_add_f32_e32 v5, v5, v29
	ds_load_b128 v[29:32], v13 offset:1072
	v_add_f32_e32 v36, v36, v39
	s_waitcnt lgkmcnt(2)
	v_mul_f32_e32 v48, v26, v16
	v_mul_f32_e32 v16, v25, v16
	v_dual_mul_f32 v40, v26, v18 :: v_dual_add_f32 v35, v35, v47
	v_add_f32_e32 v33, v33, v34
	s_delay_alu instid0(VALU_DEP_4) | instskip(NEXT) | instid1(VALU_DEP_4)
	v_fma_f32 v39, v25, v15, -v48
	v_fmac_f32_e32 v16, v26, v15
	v_mul_f32_e32 v34, v25, v18
	v_fma_f32 v15, v25, v17, -v40
	s_waitcnt lgkmcnt(1)
	v_dual_mul_f32 v18, v42, v20 :: v_dual_add_f32 v37, v37, v39
	v_mul_f32_e32 v39, v42, v22
	v_fmac_f32_e32 v34, v26, v17
	v_add_f32_e32 v25, v38, v16
	v_add_f32_e32 v23, v23, v15
	v_fma_f32 v38, v41, v19, -v18
	v_mul_f32_e32 v26, v41, v20
	ds_load_2addr_b64 v[15:18], v12 offset0:192 offset1:208
	v_add_f32_e32 v5, v5, v38
	v_add_f32_e32 v34, v24, v34
	v_mul_f32_e32 v24, v41, v22
	v_fma_f32 v38, v41, v21, -v39
	s_delay_alu instid0(VALU_DEP_2) | instskip(SKIP_1) | instid1(VALU_DEP_3)
	v_fmac_f32_e32 v24, v42, v21
	v_fmac_f32_e32 v26, v42, v19
	v_add_f32_e32 v36, v36, v38
	s_delay_alu instid0(VALU_DEP_2) | instskip(NEXT) | instid1(VALU_DEP_1)
	v_dual_add_f32 v35, v35, v26 :: v_dual_mul_f32 v26, v28, v20
	v_fma_f32 v26, v27, v19, -v26
	v_mul_f32_e32 v20, v27, v20
	s_delay_alu instid0(VALU_DEP_1) | instskip(SKIP_2) | instid1(VALU_DEP_1)
	v_dual_fmac_f32 v20, v28, v19 :: v_dual_add_f32 v19, v33, v24
	s_waitcnt lgkmcnt(0)
	v_mul_f32_e32 v33, v44, v16
	v_fma_f32 v33, v43, v15, -v33
	v_mul_f32_e32 v38, v28, v22
	s_delay_alu instid0(VALU_DEP_2) | instskip(NEXT) | instid1(VALU_DEP_2)
	v_dual_mul_f32 v22, v27, v22 :: v_dual_add_f32 v5, v5, v33
	v_fma_f32 v24, v27, v21, -v38
	v_add_f32_e32 v27, v37, v26
	v_mul_f32_e32 v37, v43, v18
	v_mul_f32_e32 v33, v30, v16
	s_delay_alu instid0(VALU_DEP_2)
	v_dual_add_f32 v20, v25, v20 :: v_dual_fmac_f32 v37, v44, v17
	v_dual_fmac_f32 v22, v28, v21 :: v_dual_add_f32 v21, v23, v24
	ds_load_2addr_b64 v[23:26], v12 offset0:224 offset1:240
	v_mul_f32_e32 v28, v43, v16
	v_mul_f32_e32 v16, v29, v16
	v_fma_f32 v33, v29, v15, -v33
	s_waitcnt lgkmcnt(0)
	s_barrier
	v_fmac_f32_e32 v28, v44, v15
	s_delay_alu instid0(VALU_DEP_2)
	v_dual_fmac_f32 v16, v30, v15 :: v_dual_add_f32 v15, v27, v33
	buffer_gl0_inv
	v_dual_add_f32 v28, v35, v28 :: v_dual_mul_f32 v35, v30, v18
	v_mul_f32_e32 v27, v46, v24
	v_add_f32_e32 v22, v34, v22
	v_mul_f32_e32 v34, v44, v18
	s_delay_alu instid0(VALU_DEP_1) | instskip(NEXT) | instid1(VALU_DEP_1)
	v_fma_f32 v34, v43, v17, -v34
	v_add_f32_e32 v34, v36, v34
	v_add_f32_e32 v36, v19, v37
	v_mul_f32_e32 v18, v29, v18
	v_fma_f32 v19, v29, v17, -v35
	s_delay_alu instid0(VALU_DEP_2) | instskip(NEXT) | instid1(VALU_DEP_2)
	v_dual_mul_f32 v29, v45, v24 :: v_dual_fmac_f32 v18, v30, v17
	v_add_f32_e32 v30, v21, v19
	v_fma_f32 v17, v45, v23, -v27
	v_mul_f32_e32 v19, v46, v26
	s_delay_alu instid0(VALU_DEP_4) | instskip(SKIP_1) | instid1(VALU_DEP_4)
	v_fmac_f32_e32 v29, v46, v23
	v_dual_add_f32 v27, v22, v18 :: v_dual_mul_f32 v18, v31, v24
	v_add_f32_e32 v21, v5, v17
	s_delay_alu instid0(VALU_DEP_4)
	v_fma_f32 v5, v45, v25, -v19
	v_mul_f32_e32 v17, v32, v24
	v_mul_f32_e32 v24, v32, v26
	v_fmac_f32_e32 v18, v32, v23
	v_add_f32_e32 v22, v28, v29
	v_add_f32_e32 v19, v34, v5
	v_fma_f32 v5, v31, v23, -v17
	v_fma_f32 v23, v31, v25, -v24
	v_add_f32_e32 v16, v20, v16
	v_mul_f32_e32 v20, v45, v26
	v_mul_f32_e32 v26, v31, v26
	v_add_f32_e32 v17, v15, v5
	s_delay_alu instid0(VALU_DEP_4) | instskip(NEXT) | instid1(VALU_DEP_4)
	v_dual_add_f32 v15, v30, v23 :: v_dual_add_f32 v18, v16, v18
	v_fmac_f32_e32 v20, v46, v25
	s_delay_alu instid0(VALU_DEP_4) | instskip(NEXT) | instid1(VALU_DEP_2)
	v_fmac_f32_e32 v26, v32, v25
	v_add_f32_e32 v20, v36, v20
	s_delay_alu instid0(VALU_DEP_2)
	v_add_f32_e32 v16, v27, v26
	s_cbranch_scc1 .LBB375_11
.LBB375_3:                              ; =>This Inner Loop Header: Depth=1
	v_add_nc_u32_e32 v5, s19, v9
	s_delay_alu instid0(VALU_DEP_1) | instskip(SKIP_1) | instid1(SALU_CYCLE_1)
	v_cmp_le_i32_e32 vcc_lo, s17, v5
	s_or_b32 s10, s3, vcc_lo
	s_and_saveexec_b32 s11, s10
	s_delay_alu instid0(SALU_CYCLE_1)
	s_xor_b32 s10, exec_lo, s11
	s_cbranch_execz .LBB375_5
; %bb.4:                                ;   in Loop: Header=BB375_3 Depth=1
	v_mov_b32_e32 v5, v4
	ds_store_b64 v10, v[4:5]
.LBB375_5:                              ;   in Loop: Header=BB375_3 Depth=1
	s_and_not1_saveexec_b32 s10, s10
	s_cbranch_execz .LBB375_7
; %bb.6:                                ;   in Loop: Header=BB375_3 Depth=1
	global_load_b64 v[23:24], v[0:1], off
	s_waitcnt vmcnt(0)
	ds_store_b64 v10, v[23:24]
.LBB375_7:                              ;   in Loop: Header=BB375_3 Depth=1
	s_or_b32 exec_lo, exec_lo, s10
	v_add_nc_u32_e32 v5, s19, v8
                                        ; implicit-def: $sgpr11
	s_delay_alu instid0(VALU_DEP_1) | instskip(SKIP_1) | instid1(SALU_CYCLE_1)
	v_cmp_le_i32_e32 vcc_lo, s17, v5
	s_or_b32 s10, vcc_lo, s2
	s_and_saveexec_b32 s12, s10
	s_delay_alu instid0(SALU_CYCLE_1)
	s_xor_b32 s10, exec_lo, s12
	s_cbranch_execz .LBB375_9
; %bb.8:                                ;   in Loop: Header=BB375_3 Depth=1
	s_mov_b32 s11, 0
	ds_store_b32 v11, v14
.LBB375_9:                              ;   in Loop: Header=BB375_3 Depth=1
	s_or_saveexec_b32 s10, s10
	v_mov_b32_e32 v5, s11
	s_xor_b32 exec_lo, exec_lo, s10
	s_cbranch_execz .LBB375_2
; %bb.10:                               ;   in Loop: Header=BB375_3 Depth=1
	global_load_b64 v[23:24], v[2:3], off offset:-4
	s_waitcnt vmcnt(0)
	v_xor_b32_e32 v5, 0x80000000, v24
	ds_store_b32 v11, v23
	s_branch .LBB375_2
.LBB375_11:
	s_clause 0x2
	s_load_b32 s2, s[0:1], 0x50
	s_load_b64 s[6:7], s[0:1], 0x58
	s_load_b64 s[8:9], s[0:1], 0x48
	v_add_nc_u32_e32 v5, s14, v7
	v_add_nc_u32_e32 v0, s18, v6
	s_delay_alu instid0(VALU_DEP_2)
	v_cmp_gt_i32_e32 vcc_lo, s16, v5
	s_waitcnt lgkmcnt(0)
	v_mad_i64_i32 v[1:2], null, v5, s2, 0
	s_mul_i32 s1, s15, s7
	s_mul_hi_u32 s3, s15, s6
	s_mul_i32 s0, s15, s6
	s_add_i32 s1, s3, s1
	s_delay_alu instid0(SALU_CYCLE_1) | instskip(NEXT) | instid1(VALU_DEP_1)
	s_lshl_b64 s[6:7], s[0:1], 3
	v_lshlrev_b64 v[1:2], 3, v[1:2]
	s_add_u32 s3, s8, s6
	v_cmp_le_i32_e64 s0, v0, v5
	s_addc_u32 s6, s9, s7
	s_delay_alu instid0(VALU_DEP_2) | instskip(NEXT) | instid1(VALU_DEP_1)
	v_add_co_u32 v4, s1, s3, v1
	v_add_co_ci_u32_e64 v6, s1, s6, v2, s1
	s_delay_alu instid0(VALU_DEP_3) | instskip(NEXT) | instid1(SALU_CYCLE_1)
	s_and_b32 s0, vcc_lo, s0
	s_and_saveexec_b32 s1, s0
	s_cbranch_execz .LBB375_14
; %bb.12:
	v_ashrrev_i32_e32 v1, 31, v0
	v_mul_f32_e32 v8, s4, v22
	v_mul_f32_e32 v3, s5, v22
	s_delay_alu instid0(VALU_DEP_3) | instskip(NEXT) | instid1(VALU_DEP_3)
	v_lshlrev_b64 v[1:2], 3, v[0:1]
	v_fmac_f32_e32 v8, s5, v21
	s_delay_alu instid0(VALU_DEP_3) | instskip(NEXT) | instid1(VALU_DEP_3)
	v_fma_f32 v7, v21, s4, -v3
	v_add_co_u32 v1, s0, v4, v1
	s_delay_alu instid0(VALU_DEP_1)
	v_add_co_ci_u32_e64 v2, s0, v6, v2, s0
	v_cmp_eq_u32_e64 s0, v5, v0
	global_store_b64 v[1:2], v[7:8], off
	s_and_b32 exec_lo, exec_lo, s0
	s_cbranch_execz .LBB375_14
; %bb.13:
	v_mov_b32_e32 v3, 0
	global_store_b32 v[1:2], v3, off offset:4
.LBB375_14:
	s_or_b32 exec_lo, exec_lo, s1
	v_add_nc_u32_e32 v2, 16, v0
	s_delay_alu instid0(VALU_DEP_1) | instskip(NEXT) | instid1(VALU_DEP_1)
	v_cmp_le_i32_e64 s0, v2, v5
	s_and_b32 s1, vcc_lo, s0
	s_delay_alu instid0(SALU_CYCLE_1)
	s_and_saveexec_b32 s0, s1
	s_cbranch_execz .LBB375_17
; %bb.15:
	v_ashrrev_i32_e32 v3, 31, v2
	v_mul_f32_e32 v8, s4, v20
	v_mul_f32_e32 v1, s5, v20
	s_delay_alu instid0(VALU_DEP_3) | instskip(NEXT) | instid1(VALU_DEP_3)
	v_lshlrev_b64 v[9:10], 3, v[2:3]
	v_fmac_f32_e32 v8, s5, v19
	s_delay_alu instid0(VALU_DEP_3) | instskip(NEXT) | instid1(VALU_DEP_3)
	v_fma_f32 v7, v19, s4, -v1
	v_add_co_u32 v3, vcc_lo, v4, v9
	s_delay_alu instid0(VALU_DEP_4)
	v_add_co_ci_u32_e32 v4, vcc_lo, v6, v10, vcc_lo
	v_cmp_eq_u32_e32 vcc_lo, v5, v2
	global_store_b64 v[3:4], v[7:8], off
	s_and_b32 exec_lo, exec_lo, vcc_lo
	s_cbranch_execz .LBB375_17
; %bb.16:
	v_mov_b32_e32 v1, 0
	global_store_b32 v[3:4], v1, off offset:4
.LBB375_17:
	s_or_b32 exec_lo, exec_lo, s0
	v_add_nc_u32_e32 v8, 16, v5
	s_delay_alu instid0(VALU_DEP_1) | instskip(SKIP_2) | instid1(VALU_DEP_1)
	v_mad_i64_i32 v[3:4], null, v8, s2, 0
	v_cmp_gt_i32_e32 vcc_lo, s16, v8
	v_cmp_le_i32_e64 s0, v0, v8
	s_and_b32 s0, vcc_lo, s0
	s_delay_alu instid0(VALU_DEP_3) | instskip(NEXT) | instid1(VALU_DEP_1)
	v_lshlrev_b64 v[3:4], 3, v[3:4]
	v_add_co_u32 v6, s1, s3, v3
	s_delay_alu instid0(VALU_DEP_1)
	v_add_co_ci_u32_e64 v7, s1, s6, v4, s1
	s_and_saveexec_b32 s1, s0
	s_cbranch_execz .LBB375_20
; %bb.18:
	v_ashrrev_i32_e32 v1, 31, v0
	v_mul_f32_e32 v10, s4, v18
	v_mul_f32_e32 v9, s5, v18
	s_delay_alu instid0(VALU_DEP_3) | instskip(NEXT) | instid1(VALU_DEP_3)
	v_lshlrev_b64 v[3:4], 3, v[0:1]
	v_fmac_f32_e32 v10, s5, v17
	s_delay_alu instid0(VALU_DEP_3) | instskip(NEXT) | instid1(VALU_DEP_3)
	v_fma_f32 v9, v17, s4, -v9
	v_add_co_u32 v3, s0, v6, v3
	s_delay_alu instid0(VALU_DEP_1)
	v_add_co_ci_u32_e64 v4, s0, v7, v4, s0
	v_cmp_eq_u32_e64 s0, v8, v0
	global_store_b64 v[3:4], v[9:10], off
	s_and_b32 exec_lo, exec_lo, s0
	s_cbranch_execz .LBB375_20
; %bb.19:
	v_mov_b32_e32 v1, 0
	global_store_b32 v[3:4], v1, off offset:4
.LBB375_20:
	s_or_b32 exec_lo, exec_lo, s1
	v_cmp_le_i32_e64 s0, v2, v8
	s_delay_alu instid0(VALU_DEP_1) | instskip(NEXT) | instid1(SALU_CYCLE_1)
	s_and_b32 s0, vcc_lo, s0
	s_and_saveexec_b32 s1, s0
	s_cbranch_execz .LBB375_23
; %bb.21:
	v_ashrrev_i32_e32 v3, 31, v2
	v_mul_f32_e32 v8, s5, v16
	v_mul_f32_e32 v4, s4, v16
	s_delay_alu instid0(VALU_DEP_3) | instskip(NEXT) | instid1(VALU_DEP_3)
	v_lshlrev_b64 v[1:2], 3, v[2:3]
	v_fma_f32 v3, v15, s4, -v8
	s_delay_alu instid0(VALU_DEP_3) | instskip(NEXT) | instid1(VALU_DEP_3)
	v_fmac_f32_e32 v4, s5, v15
	v_add_co_u32 v1, vcc_lo, v6, v1
	s_delay_alu instid0(VALU_DEP_4)
	v_add_co_ci_u32_e32 v2, vcc_lo, v7, v2, vcc_lo
	v_cmp_eq_u32_e32 vcc_lo, v5, v0
	global_store_b64 v[1:2], v[3:4], off
	s_and_b32 exec_lo, exec_lo, vcc_lo
	s_cbranch_execz .LBB375_23
; %bb.22:
	v_mov_b32_e32 v0, 0
	global_store_b32 v[1:2], v0, off offset:4
.LBB375_23:
	s_nop 0
	s_sendmsg sendmsg(MSG_DEALLOC_VGPRS)
	s_endpgm
	.section	.rodata,"a",@progbits
	.p2align	6, 0x0
	.amdhsa_kernel _ZL34rocblas_syrkx_herkx_general_kernelIi19rocblas_complex_numIfELi16ELi32ELi8ELb1ELb1ELc78ELc85EKS1_S1_EviT_T0_PT8_S3_lS6_S3_lS4_PT9_S3_li
		.amdhsa_group_segment_fixed_size 4096
		.amdhsa_private_segment_fixed_size 0
		.amdhsa_kernarg_size 100
		.amdhsa_user_sgpr_count 13
		.amdhsa_user_sgpr_dispatch_ptr 0
		.amdhsa_user_sgpr_queue_ptr 0
		.amdhsa_user_sgpr_kernarg_segment_ptr 1
		.amdhsa_user_sgpr_dispatch_id 0
		.amdhsa_user_sgpr_private_segment_size 0
		.amdhsa_wavefront_size32 1
		.amdhsa_uses_dynamic_stack 0
		.amdhsa_enable_private_segment 0
		.amdhsa_system_sgpr_workgroup_id_x 1
		.amdhsa_system_sgpr_workgroup_id_y 1
		.amdhsa_system_sgpr_workgroup_id_z 1
		.amdhsa_system_sgpr_workgroup_info 0
		.amdhsa_system_vgpr_workitem_id 1
		.amdhsa_next_free_vgpr 60
		.amdhsa_next_free_sgpr 24
		.amdhsa_reserve_vcc 1
		.amdhsa_float_round_mode_32 0
		.amdhsa_float_round_mode_16_64 0
		.amdhsa_float_denorm_mode_32 3
		.amdhsa_float_denorm_mode_16_64 3
		.amdhsa_dx10_clamp 1
		.amdhsa_ieee_mode 1
		.amdhsa_fp16_overflow 0
		.amdhsa_workgroup_processor_mode 1
		.amdhsa_memory_ordered 1
		.amdhsa_forward_progress 0
		.amdhsa_shared_vgpr_count 0
		.amdhsa_exception_fp_ieee_invalid_op 0
		.amdhsa_exception_fp_denorm_src 0
		.amdhsa_exception_fp_ieee_div_zero 0
		.amdhsa_exception_fp_ieee_overflow 0
		.amdhsa_exception_fp_ieee_underflow 0
		.amdhsa_exception_fp_ieee_inexact 0
		.amdhsa_exception_int_div_zero 0
	.end_amdhsa_kernel
	.section	.text._ZL34rocblas_syrkx_herkx_general_kernelIi19rocblas_complex_numIfELi16ELi32ELi8ELb1ELb1ELc78ELc85EKS1_S1_EviT_T0_PT8_S3_lS6_S3_lS4_PT9_S3_li,"axG",@progbits,_ZL34rocblas_syrkx_herkx_general_kernelIi19rocblas_complex_numIfELi16ELi32ELi8ELb1ELb1ELc78ELc85EKS1_S1_EviT_T0_PT8_S3_lS6_S3_lS4_PT9_S3_li,comdat
.Lfunc_end375:
	.size	_ZL34rocblas_syrkx_herkx_general_kernelIi19rocblas_complex_numIfELi16ELi32ELi8ELb1ELb1ELc78ELc85EKS1_S1_EviT_T0_PT8_S3_lS6_S3_lS4_PT9_S3_li, .Lfunc_end375-_ZL34rocblas_syrkx_herkx_general_kernelIi19rocblas_complex_numIfELi16ELi32ELi8ELb1ELb1ELc78ELc85EKS1_S1_EviT_T0_PT8_S3_lS6_S3_lS4_PT9_S3_li
                                        ; -- End function
	.section	.AMDGPU.csdata,"",@progbits
; Kernel info:
; codeLenInByte = 2640
; NumSgprs: 26
; NumVgprs: 60
; ScratchSize: 0
; MemoryBound: 1
; FloatMode: 240
; IeeeMode: 1
; LDSByteSize: 4096 bytes/workgroup (compile time only)
; SGPRBlocks: 3
; VGPRBlocks: 7
; NumSGPRsForWavesPerEU: 26
; NumVGPRsForWavesPerEU: 60
; Occupancy: 16
; WaveLimiterHint : 0
; COMPUTE_PGM_RSRC2:SCRATCH_EN: 0
; COMPUTE_PGM_RSRC2:USER_SGPR: 13
; COMPUTE_PGM_RSRC2:TRAP_HANDLER: 0
; COMPUTE_PGM_RSRC2:TGID_X_EN: 1
; COMPUTE_PGM_RSRC2:TGID_Y_EN: 1
; COMPUTE_PGM_RSRC2:TGID_Z_EN: 1
; COMPUTE_PGM_RSRC2:TIDIG_COMP_CNT: 1
	.section	.text._ZL34rocblas_syrkx_herkx_general_kernelIi19rocblas_complex_numIfELi16ELi32ELi8ELb0ELb1ELc84ELc76EKS1_S1_EviT_T0_PT8_S3_lS6_S3_lS4_PT9_S3_li,"axG",@progbits,_ZL34rocblas_syrkx_herkx_general_kernelIi19rocblas_complex_numIfELi16ELi32ELi8ELb0ELb1ELc84ELc76EKS1_S1_EviT_T0_PT8_S3_lS6_S3_lS4_PT9_S3_li,comdat
	.globl	_ZL34rocblas_syrkx_herkx_general_kernelIi19rocblas_complex_numIfELi16ELi32ELi8ELb0ELb1ELc84ELc76EKS1_S1_EviT_T0_PT8_S3_lS6_S3_lS4_PT9_S3_li ; -- Begin function _ZL34rocblas_syrkx_herkx_general_kernelIi19rocblas_complex_numIfELi16ELi32ELi8ELb0ELb1ELc84ELc76EKS1_S1_EviT_T0_PT8_S3_lS6_S3_lS4_PT9_S3_li
	.p2align	8
	.type	_ZL34rocblas_syrkx_herkx_general_kernelIi19rocblas_complex_numIfELi16ELi32ELi8ELb0ELb1ELc84ELc76EKS1_S1_EviT_T0_PT8_S3_lS6_S3_lS4_PT9_S3_li,@function
_ZL34rocblas_syrkx_herkx_general_kernelIi19rocblas_complex_numIfELi16ELi32ELi8ELb0ELb1ELc84ELc76EKS1_S1_EviT_T0_PT8_S3_lS6_S3_lS4_PT9_S3_li: ; @_ZL34rocblas_syrkx_herkx_general_kernelIi19rocblas_complex_numIfELi16ELi32ELi8ELb0ELb1ELc84ELc76EKS1_S1_EviT_T0_PT8_S3_lS6_S3_lS4_PT9_S3_li
; %bb.0:
	s_clause 0x3
	s_load_b64 s[20:21], s[0:1], 0x0
	s_load_b128 s[8:11], s[0:1], 0x8
	s_load_b128 s[4:7], s[0:1], 0x38
	s_load_b64 s[22:23], s[0:1], 0x48
	v_dual_mov_b32 v21, 0 :: v_dual_and_b32 v6, 0x3ff, v0
	v_bfe_u32 v7, v0, 10, 10
	v_dual_mov_b32 v20, 0 :: v_dual_mov_b32 v19, 0
	v_dual_mov_b32 v18, 0 :: v_dual_mov_b32 v17, 0
	;; [unrolled: 1-line block ×3, first 2 shown]
	v_mov_b32_e32 v14, 0
	s_lshl_b32 s12, s13, 5
	s_lshl_b32 s13, s14, 5
	s_mov_b32 s14, 0
	s_waitcnt lgkmcnt(0)
	s_cmp_lt_i32 s21, 1
	s_cbranch_scc1 .LBB376_11
; %bb.1:
	s_load_b32 s2, s[0:1], 0x18
	v_lshl_add_u32 v0, v7, 4, v6
	s_clause 0x1
	s_load_b128 s[16:19], s[0:1], 0x20
	s_load_b32 s3, s[0:1], 0x30
	v_dual_mov_b32 v15, 0 :: v_dual_and_b32 v8, 7, v6
	v_mov_b32_e32 v17, 0
	v_and_b32_e32 v1, 31, v0
	v_lshrrev_b32_e32 v2, 3, v0
	v_lshrrev_b32_e32 v11, 5, v0
	v_lshlrev_b32_e32 v4, 3, v8
	s_delay_alu instid0(VALU_DEP_4) | instskip(SKIP_4) | instid1(VALU_DEP_4)
	v_dual_mov_b32 v16, 0 :: v_dual_add_nc_u32 v3, s12, v1
	v_or_b32_e32 v12, s12, v1
	v_dual_mov_b32 v20, 0 :: v_dual_lshlrev_b32 v13, 3, v1
	v_dual_mov_b32 v18, 0 :: v_dual_add_nc_u32 v5, s13, v2
	v_lshl_or_b32 v14, v2, 6, v4
	v_cmp_gt_i32_e32 vcc_lo, s20, v12
	s_delay_alu instid0(VALU_DEP_4)
	v_lshl_or_b32 v12, v11, 8, v13
	s_waitcnt lgkmcnt(0)
	v_mad_i64_i32 v[0:1], null, s2, v3, 0
	s_mul_i32 s17, s17, s15
	s_mul_hi_u32 s24, s16, s15
	v_mad_i64_i32 v[2:3], null, s3, v5, 0
	s_mul_i32 s16, s16, s15
	s_add_i32 s17, s24, s17
	s_delay_alu instid0(VALU_DEP_2)
	v_lshlrev_b64 v[0:1], 3, v[0:1]
	s_lshl_b64 s[16:17], s[16:17], 3
	v_cmp_gt_i32_e64 s2, s20, v5
	v_add_nc_u32_e32 v13, 0x800, v14
	s_mul_i32 s5, s5, s15
	v_lshlrev_b32_e32 v9, 3, v6
	v_add_co_u32 v5, s3, v0, s16
	s_delay_alu instid0(VALU_DEP_1)
	v_add_co_ci_u32_e64 v14, s3, s17, v1, s3
	s_mul_hi_u32 s3, s4, s15
	v_lshlrev_b64 v[0:1], 3, v[2:3]
	s_add_i32 s5, s3, s5
	s_mul_i32 s4, s4, s15
	v_dual_mov_b32 v19, 0 :: v_dual_lshlrev_b32 v2, 3, v11
	s_lshl_b64 s[4:5], s[4:5], 3
	v_lshl_add_u32 v10, v7, 6, 0x800
	v_add_co_u32 v0, s3, v0, s4
	s_delay_alu instid0(VALU_DEP_1) | instskip(SKIP_1) | instid1(VALU_DEP_1)
	v_add_co_ci_u32_e64 v1, s3, s5, v1, s3
	v_add_co_u32 v2, s3, v5, v2
	v_add_co_ci_u32_e64 v3, s3, 0, v14, s3
	s_delay_alu instid0(VALU_DEP_4) | instskip(NEXT) | instid1(VALU_DEP_1)
	v_add_co_u32 v4, s3, v0, v4
	v_add_co_ci_u32_e64 v5, s3, 0, v1, s3
	s_delay_alu instid0(VALU_DEP_4) | instskip(NEXT) | instid1(VALU_DEP_1)
	;; [unrolled: 3-line block ×3, first 2 shown]
	v_add_co_u32 v2, s3, s18, v4
	v_add_co_ci_u32_e64 v3, s3, s19, v5, s3
	v_mov_b32_e32 v4, 0
	v_dual_mov_b32 v14, 0 :: v_dual_mov_b32 v21, 0
	s_xor_b32 s3, vcc_lo, -1
	s_xor_b32 s2, s2, -1
	s_branch .LBB376_3
.LBB376_2:                              ;   in Loop: Header=BB376_3 Depth=1
	s_or_b32 exec_lo, exec_lo, s4
	s_waitcnt lgkmcnt(0)
	s_barrier
	buffer_gl0_inv
	ds_load_2addr_b64 v[22:25], v9 offset1:16
	ds_load_b128 v[26:29], v10
	ds_load_b128 v[30:33], v10 offset:1024
	ds_load_b128 v[34:37], v10 offset:16
	ds_load_b128 v[38:41], v10 offset:32
	ds_load_b128 v[42:45], v10 offset:48
	ds_load_2addr_b64 v[46:49], v9 offset0:32 offset1:48
	ds_load_b128 v[50:53], v10 offset:1040
	v_add_co_u32 v0, vcc_lo, v0, 64
	v_add_co_ci_u32_e32 v1, vcc_lo, 0, v1, vcc_lo
	v_add_co_u32 v2, vcc_lo, v2, 64
	v_add_co_ci_u32_e32 v3, vcc_lo, 0, v3, vcc_lo
	s_add_i32 s14, s14, 8
	s_delay_alu instid0(SALU_CYCLE_1)
	s_cmp_ge_i32 s14, s21
	s_waitcnt lgkmcnt(6)
	v_dual_mul_f32 v5, v27, v23 :: v_dual_mul_f32 v56, v26, v25
	v_dual_mul_f32 v54, v26, v23 :: v_dual_mul_f32 v55, v27, v25
	s_waitcnt lgkmcnt(5)
	v_mul_f32_e32 v58, v31, v25
	s_delay_alu instid0(VALU_DEP_3) | instskip(SKIP_3) | instid1(VALU_DEP_4)
	v_fma_f32 v5, v26, v22, -v5
	v_dual_mul_f32 v25, v30, v25 :: v_dual_fmac_f32 v56, v27, v24
	v_fmac_f32_e32 v54, v27, v22
	v_fma_f32 v26, v26, v24, -v55
	v_add_f32_e32 v5, v20, v5
	v_mul_f32_e32 v57, v31, v23
	s_delay_alu instid0(VALU_DEP_4) | instskip(SKIP_2) | instid1(VALU_DEP_4)
	v_dual_mul_f32 v23, v30, v23 :: v_dual_add_f32 v20, v21, v54
	v_fmac_f32_e32 v25, v31, v24
	v_dual_add_f32 v21, v18, v26 :: v_dual_add_f32 v26, v19, v56
	v_fma_f32 v27, v30, v22, -v57
	s_delay_alu instid0(VALU_DEP_4) | instskip(SKIP_3) | instid1(VALU_DEP_2)
	v_fmac_f32_e32 v23, v31, v22
	v_fma_f32 v22, v30, v24, -v58
	s_waitcnt lgkmcnt(1)
	v_mul_f32_e32 v30, v29, v47
	v_dual_add_f32 v27, v16, v27 :: v_dual_add_f32 v14, v14, v22
	v_dual_mul_f32 v22, v28, v47 :: v_dual_add_f32 v15, v15, v25
	v_mul_f32_e32 v25, v28, v49
	s_delay_alu instid0(VALU_DEP_4) | instskip(NEXT) | instid1(VALU_DEP_3)
	v_fma_f32 v24, v28, v46, -v30
	v_fmac_f32_e32 v22, v29, v46
	v_add_f32_e32 v23, v17, v23
	ds_load_2addr_b64 v[16:19], v9 offset0:64 offset1:80
	v_mul_f32_e32 v30, v29, v49
	v_fmac_f32_e32 v25, v29, v48
	v_add_f32_e32 v5, v5, v24
	s_delay_alu instid0(VALU_DEP_2) | instskip(SKIP_1) | instid1(VALU_DEP_1)
	v_add_f32_e32 v25, v26, v25
	v_mul_f32_e32 v26, v32, v49
	v_fmac_f32_e32 v26, v33, v48
	s_waitcnt lgkmcnt(0)
	s_delay_alu instid0(VALU_DEP_1) | instskip(SKIP_1) | instid1(VALU_DEP_2)
	v_dual_add_f32 v26, v15, v26 :: v_dual_mul_f32 v29, v34, v17
	v_mul_f32_e32 v15, v34, v19
	v_fmac_f32_e32 v29, v35, v16
	v_fma_f32 v24, v28, v48, -v30
	v_mul_f32_e32 v28, v33, v47
	v_add_f32_e32 v30, v20, v22
	v_mul_f32_e32 v20, v32, v47
	v_mul_f32_e32 v22, v33, v49
	v_add_f32_e32 v24, v21, v24
	v_fma_f32 v21, v32, v46, -v28
	s_delay_alu instid0(VALU_DEP_4) | instskip(SKIP_1) | instid1(VALU_DEP_3)
	v_dual_add_f32 v29, v30, v29 :: v_dual_fmac_f32 v20, v33, v46
	v_fmac_f32_e32 v15, v35, v18
	v_add_f32_e32 v27, v27, v21
	v_fma_f32 v21, v32, v48, -v22
	v_mul_f32_e32 v22, v35, v17
	v_mul_f32_e32 v32, v35, v19
	v_add_f32_e32 v28, v23, v20
	s_delay_alu instid0(VALU_DEP_4) | instskip(NEXT) | instid1(VALU_DEP_4)
	v_add_f32_e32 v14, v14, v21
	v_fma_f32 v31, v34, v16, -v22
	ds_load_2addr_b64 v[20:23], v9 offset0:96 offset1:112
	v_add_f32_e32 v5, v5, v31
	v_fma_f32 v31, v34, v18, -v32
	s_delay_alu instid0(VALU_DEP_1) | instskip(SKIP_3) | instid1(VALU_DEP_3)
	v_add_f32_e32 v24, v24, v31
	v_mul_f32_e32 v31, v51, v19
	v_mul_f32_e32 v19, v50, v19
	v_add_f32_e32 v32, v25, v15
	v_fma_f32 v15, v50, v18, -v31
	s_delay_alu instid0(VALU_DEP_3)
	v_fmac_f32_e32 v19, v51, v18
	v_mul_f32_e32 v30, v51, v17
	v_mul_f32_e32 v17, v50, v17
	s_waitcnt lgkmcnt(0)
	v_dual_mul_f32 v18, v37, v21 :: v_dual_add_f32 v31, v14, v15
	v_add_f32_e32 v33, v26, v19
	v_fma_f32 v30, v50, v16, -v30
	v_fmac_f32_e32 v17, v51, v16
	s_delay_alu instid0(VALU_DEP_4) | instskip(SKIP_1) | instid1(VALU_DEP_4)
	v_fma_f32 v18, v36, v20, -v18
	v_mul_f32_e32 v25, v36, v21
	v_dual_mul_f32 v19, v36, v23 :: v_dual_add_f32 v30, v27, v30
	s_delay_alu instid0(VALU_DEP_4) | instskip(SKIP_4) | instid1(VALU_DEP_2)
	v_add_f32_e32 v28, v28, v17
	ds_load_2addr_b64 v[14:17], v9 offset0:128 offset1:144
	v_add_f32_e32 v5, v5, v18
	v_mul_f32_e32 v18, v53, v21
	v_fmac_f32_e32 v19, v37, v22
	v_fma_f32 v18, v52, v20, -v18
	v_mul_f32_e32 v27, v37, v23
	s_delay_alu instid0(VALU_DEP_1) | instskip(NEXT) | instid1(VALU_DEP_3)
	v_fma_f32 v26, v36, v22, -v27
	v_add_f32_e32 v36, v30, v18
	s_waitcnt lgkmcnt(0)
	s_delay_alu instid0(VALU_DEP_2) | instskip(SKIP_2) | instid1(VALU_DEP_3)
	v_dual_add_f32 v35, v24, v26 :: v_dual_mul_f32 v46, v38, v15
	v_dual_fmac_f32 v25, v37, v20 :: v_dual_add_f32 v32, v32, v19
	v_mul_f32_e32 v18, v39, v15
	v_fmac_f32_e32 v46, v39, v14
	s_delay_alu instid0(VALU_DEP_3)
	v_add_f32_e32 v34, v29, v25
	v_mul_f32_e32 v29, v53, v23
	v_mul_f32_e32 v23, v52, v23
	ds_load_b128 v[24:27], v10 offset:1056
	v_add_f32_e32 v34, v34, v46
	v_fma_f32 v19, v52, v22, -v29
	v_mul_f32_e32 v21, v52, v21
	v_fmac_f32_e32 v23, v53, v22
	v_mul_f32_e32 v29, v39, v17
	s_delay_alu instid0(VALU_DEP_3) | instskip(NEXT) | instid1(VALU_DEP_3)
	v_dual_add_f32 v22, v31, v19 :: v_dual_fmac_f32 v21, v53, v20
	v_add_f32_e32 v23, v33, v23
	s_delay_alu instid0(VALU_DEP_2) | instskip(SKIP_4) | instid1(VALU_DEP_2)
	v_add_f32_e32 v37, v28, v21
	v_fma_f32 v28, v38, v14, -v18
	ds_load_2addr_b64 v[18:21], v9 offset0:160 offset1:176
	v_mul_f32_e32 v33, v38, v17
	v_fma_f32 v38, v38, v16, -v29
	v_fmac_f32_e32 v33, v39, v16
	s_delay_alu instid0(VALU_DEP_1)
	v_dual_add_f32 v35, v35, v38 :: v_dual_add_f32 v32, v32, v33
	v_add_f32_e32 v5, v5, v28
	ds_load_b128 v[28:31], v10 offset:1072
	s_waitcnt lgkmcnt(2)
	v_mul_f32_e32 v47, v25, v15
	v_mul_f32_e32 v15, v24, v15
	;; [unrolled: 1-line block ×4, first 2 shown]
	s_delay_alu instid0(VALU_DEP_4) | instskip(NEXT) | instid1(VALU_DEP_4)
	v_fma_f32 v38, v24, v14, -v47
	v_fmac_f32_e32 v15, v25, v14
	s_delay_alu instid0(VALU_DEP_4)
	v_fma_f32 v14, v24, v16, -v39
	s_waitcnt lgkmcnt(1)
	v_mul_f32_e32 v17, v41, v19
	v_dual_fmac_f32 v33, v25, v16 :: v_dual_add_f32 v36, v36, v38
	v_add_f32_e32 v24, v37, v15
	v_add_f32_e32 v22, v22, v14
	s_delay_alu instid0(VALU_DEP_4) | instskip(SKIP_2) | instid1(VALU_DEP_1)
	v_fma_f32 v37, v40, v18, -v17
	ds_load_2addr_b64 v[14:17], v9 offset0:192 offset1:208
	v_dual_mul_f32 v25, v40, v19 :: v_dual_mul_f32 v38, v41, v21
	v_fmac_f32_e32 v25, v41, v18
	s_delay_alu instid0(VALU_DEP_1) | instskip(SKIP_4) | instid1(VALU_DEP_3)
	v_add_f32_e32 v34, v34, v25
	v_add_f32_e32 v33, v23, v33
	v_mul_f32_e32 v23, v40, v21
	v_mul_f32_e32 v25, v27, v19
	;; [unrolled: 1-line block ×3, first 2 shown]
	v_fmac_f32_e32 v23, v41, v20
	s_delay_alu instid0(VALU_DEP_3) | instskip(NEXT) | instid1(VALU_DEP_2)
	v_fma_f32 v25, v26, v18, -v25
	v_dual_fmac_f32 v19, v27, v18 :: v_dual_add_f32 v18, v32, v23
	s_waitcnt lgkmcnt(0)
	v_dual_mul_f32 v32, v43, v15 :: v_dual_add_f32 v5, v5, v37
	v_fma_f32 v37, v40, v20, -v38
	s_delay_alu instid0(VALU_DEP_3) | instskip(NEXT) | instid1(VALU_DEP_3)
	v_add_f32_e32 v19, v24, v19
	v_fma_f32 v32, v42, v14, -v32
	s_delay_alu instid0(VALU_DEP_1) | instskip(NEXT) | instid1(VALU_DEP_4)
	v_add_f32_e32 v5, v5, v32
	v_add_f32_e32 v35, v35, v37
	v_mul_f32_e32 v37, v27, v21
	v_dual_mul_f32 v21, v26, v21 :: v_dual_mul_f32 v32, v29, v15
	s_delay_alu instid0(VALU_DEP_2) | instskip(NEXT) | instid1(VALU_DEP_2)
	v_fma_f32 v23, v26, v20, -v37
	v_dual_add_f32 v26, v36, v25 :: v_dual_fmac_f32 v21, v27, v20
	v_mul_f32_e32 v27, v42, v15
	v_mul_f32_e32 v15, v28, v15
	s_delay_alu instid0(VALU_DEP_4)
	v_add_f32_e32 v20, v22, v23
	ds_load_2addr_b64 v[22:25], v9 offset0:224 offset1:240
	v_fma_f32 v32, v28, v14, -v32
	v_dual_fmac_f32 v27, v43, v14 :: v_dual_mul_f32 v36, v42, v17
	v_fmac_f32_e32 v15, v29, v14
	s_waitcnt lgkmcnt(0)
	s_delay_alu instid0(VALU_DEP_3) | instskip(NEXT) | instid1(VALU_DEP_3)
	v_add_f32_e32 v14, v26, v32
	v_dual_add_f32 v27, v34, v27 :: v_dual_fmac_f32 v36, v43, v16
	s_delay_alu instid0(VALU_DEP_3)
	v_dual_mul_f32 v34, v29, v17 :: v_dual_add_f32 v15, v19, v15
	s_barrier
	buffer_gl0_inv
	v_mul_f32_e32 v26, v45, v23
	v_add_f32_e32 v21, v33, v21
	v_mul_f32_e32 v33, v43, v17
	v_mul_f32_e32 v17, v28, v17
	;; [unrolled: 1-line block ×3, first 2 shown]
	s_delay_alu instid0(VALU_DEP_3) | instskip(NEXT) | instid1(VALU_DEP_3)
	v_fma_f32 v33, v42, v16, -v33
	v_fmac_f32_e32 v17, v29, v16
	s_delay_alu instid0(VALU_DEP_3) | instskip(NEXT) | instid1(VALU_DEP_3)
	v_fmac_f32_e32 v19, v45, v24
	v_add_f32_e32 v33, v35, v33
	v_add_f32_e32 v35, v18, v36
	v_fma_f32 v18, v28, v16, -v34
	v_fma_f32 v16, v44, v22, -v26
	v_mul_f32_e32 v28, v44, v23
	v_dual_add_f32 v26, v21, v17 :: v_dual_mul_f32 v17, v30, v23
	s_delay_alu instid0(VALU_DEP_4) | instskip(NEXT) | instid1(VALU_DEP_4)
	v_dual_add_f32 v29, v20, v18 :: v_dual_mul_f32 v18, v45, v25
	v_add_f32_e32 v20, v5, v16
	v_mul_f32_e32 v16, v31, v23
	v_mul_f32_e32 v23, v31, v25
	;; [unrolled: 1-line block ×3, first 2 shown]
	v_fma_f32 v5, v44, v24, -v18
	v_fmac_f32_e32 v28, v45, v22
	v_fmac_f32_e32 v17, v31, v22
	v_add_f32_e32 v19, v35, v19
	s_delay_alu instid0(VALU_DEP_4)
	v_dual_fmac_f32 v25, v31, v24 :: v_dual_add_f32 v18, v33, v5
	v_fma_f32 v5, v30, v22, -v16
	v_fma_f32 v22, v30, v24, -v23
	v_add_f32_e32 v21, v27, v28
	v_add_f32_e32 v17, v15, v17
	;; [unrolled: 1-line block ×5, first 2 shown]
	s_cbranch_scc1 .LBB376_11
.LBB376_3:                              ; =>This Inner Loop Header: Depth=1
	v_add_nc_u32_e32 v5, s14, v11
	s_delay_alu instid0(VALU_DEP_1) | instskip(SKIP_1) | instid1(SALU_CYCLE_1)
	v_cmp_le_i32_e32 vcc_lo, s21, v5
	s_or_b32 s4, s3, vcc_lo
	s_and_saveexec_b32 s5, s4
	s_delay_alu instid0(SALU_CYCLE_1)
	s_xor_b32 s4, exec_lo, s5
	s_cbranch_execz .LBB376_5
; %bb.4:                                ;   in Loop: Header=BB376_3 Depth=1
	v_mov_b32_e32 v5, v4
	ds_store_b64 v12, v[4:5]
.LBB376_5:                              ;   in Loop: Header=BB376_3 Depth=1
	s_and_not1_saveexec_b32 s4, s4
	s_cbranch_execz .LBB376_7
; %bb.6:                                ;   in Loop: Header=BB376_3 Depth=1
	global_load_b64 v[22:23], v[0:1], off
	s_waitcnt vmcnt(0)
	ds_store_b64 v12, v[22:23]
.LBB376_7:                              ;   in Loop: Header=BB376_3 Depth=1
	s_or_b32 exec_lo, exec_lo, s4
	v_add_nc_u32_e32 v5, s14, v8
	s_delay_alu instid0(VALU_DEP_1) | instskip(SKIP_1) | instid1(SALU_CYCLE_1)
	v_cmp_le_i32_e32 vcc_lo, s21, v5
	s_or_b32 s4, vcc_lo, s2
	s_and_saveexec_b32 s5, s4
	s_delay_alu instid0(SALU_CYCLE_1)
	s_xor_b32 s4, exec_lo, s5
	s_cbranch_execz .LBB376_9
; %bb.8:                                ;   in Loop: Header=BB376_3 Depth=1
	v_mov_b32_e32 v5, v4
	ds_store_b64 v13, v[4:5]
.LBB376_9:                              ;   in Loop: Header=BB376_3 Depth=1
	s_and_not1_saveexec_b32 s4, s4
	s_cbranch_execz .LBB376_2
; %bb.10:                               ;   in Loop: Header=BB376_3 Depth=1
	global_load_b64 v[22:23], v[2:3], off
	s_waitcnt vmcnt(0)
	ds_store_b64 v13, v[22:23]
	s_branch .LBB376_2
.LBB376_11:
	s_clause 0x1
	s_load_b32 s2, s[0:1], 0x50
	s_load_b64 s[4:5], s[0:1], 0x58
	v_add_nc_u32_e32 v5, s13, v7
	v_add_nc_u32_e32 v0, s12, v6
	s_delay_alu instid0(VALU_DEP_1)
	v_cmp_le_i32_e64 s0, v5, v0
	v_cmp_gt_i32_e32 vcc_lo, s20, v0
	s_waitcnt lgkmcnt(0)
	v_mad_i64_i32 v[1:2], null, v5, s2, 0
	s_mul_i32 s1, s15, s5
	s_mul_hi_u32 s3, s15, s4
	s_mul_i32 s4, s15, s4
	s_add_i32 s5, s3, s1
	s_delay_alu instid0(SALU_CYCLE_1) | instskip(NEXT) | instid1(VALU_DEP_1)
	s_lshl_b64 s[4:5], s[4:5], 3
	v_lshlrev_b64 v[1:2], 3, v[1:2]
	s_add_u32 s3, s22, s4
	s_addc_u32 s4, s23, s5
	s_and_b32 s0, s0, vcc_lo
	s_delay_alu instid0(VALU_DEP_1) | instskip(NEXT) | instid1(VALU_DEP_1)
	v_add_co_u32 v4, s1, s3, v1
	v_add_co_ci_u32_e64 v6, s1, s4, v2, s1
	s_and_saveexec_b32 s1, s0
	s_cbranch_execz .LBB376_14
; %bb.12:
	v_ashrrev_i32_e32 v1, 31, v0
	s_delay_alu instid0(VALU_DEP_1) | instskip(NEXT) | instid1(VALU_DEP_1)
	v_lshlrev_b64 v[1:2], 3, v[0:1]
	v_add_co_u32 v1, s0, v4, v1
	s_delay_alu instid0(VALU_DEP_1)
	v_add_co_ci_u32_e64 v2, s0, v6, v2, s0
	v_cmp_eq_u32_e64 s0, v5, v0
	global_load_b64 v[7:8], v[1:2], off
	v_mul_f32_e32 v3, s9, v21
	s_waitcnt vmcnt(0)
	v_dual_mul_f32 v9, s8, v21 :: v_dual_mul_f32 v10, s7, v8
	v_mul_f32_e32 v8, s6, v8
	s_delay_alu instid0(VALU_DEP_3) | instskip(NEXT) | instid1(VALU_DEP_3)
	v_fma_f32 v3, v20, s8, -v3
	v_fmac_f32_e32 v9, s9, v20
	s_delay_alu instid0(VALU_DEP_4) | instskip(NEXT) | instid1(VALU_DEP_1)
	v_fma_f32 v10, v7, s6, -v10
	v_dual_fmac_f32 v8, s7, v7 :: v_dual_add_f32 v7, v3, v10
	s_delay_alu instid0(VALU_DEP_1)
	v_add_f32_e32 v8, v9, v8
	global_store_b64 v[1:2], v[7:8], off
	s_and_b32 exec_lo, exec_lo, s0
	s_cbranch_execz .LBB376_14
; %bb.13:
	v_mov_b32_e32 v3, 0
	global_store_b32 v[1:2], v3, off offset:4
.LBB376_14:
	s_or_b32 exec_lo, exec_lo, s1
	v_add_nc_u32_e32 v2, 16, v0
	s_delay_alu instid0(VALU_DEP_1) | instskip(SKIP_1) | instid1(VALU_DEP_1)
	v_cmp_le_i32_e64 s1, v5, v2
	v_cmp_gt_i32_e64 s0, s20, v2
	s_and_b32 s1, s1, s0
	s_delay_alu instid0(SALU_CYCLE_1)
	s_and_saveexec_b32 s5, s1
	s_cbranch_execz .LBB376_17
; %bb.15:
	v_ashrrev_i32_e32 v3, 31, v2
	s_delay_alu instid0(VALU_DEP_1) | instskip(NEXT) | instid1(VALU_DEP_1)
	v_lshlrev_b64 v[7:8], 3, v[2:3]
	v_add_co_u32 v3, s1, v4, v7
	s_delay_alu instid0(VALU_DEP_1) | instskip(SKIP_4) | instid1(VALU_DEP_1)
	v_add_co_ci_u32_e64 v4, s1, v6, v8, s1
	v_cmp_eq_u32_e64 s1, v5, v2
	global_load_b64 v[6:7], v[3:4], off
	s_waitcnt vmcnt(0)
	v_mul_f32_e32 v9, s7, v7
	v_fma_f32 v9, v6, s6, -v9
	v_mul_f32_e32 v7, s6, v7
	s_delay_alu instid0(VALU_DEP_1) | instskip(NEXT) | instid1(VALU_DEP_1)
	v_dual_mul_f32 v8, s8, v19 :: v_dual_fmac_f32 v7, s7, v6
	v_dual_mul_f32 v1, s9, v19 :: v_dual_fmac_f32 v8, s9, v18
	s_delay_alu instid0(VALU_DEP_1) | instskip(NEXT) | instid1(VALU_DEP_1)
	v_fma_f32 v1, v18, s8, -v1
	v_dual_add_f32 v7, v8, v7 :: v_dual_add_f32 v6, v1, v9
	global_store_b64 v[3:4], v[6:7], off
	s_and_b32 exec_lo, exec_lo, s1
	s_cbranch_execz .LBB376_17
; %bb.16:
	v_mov_b32_e32 v1, 0
	global_store_b32 v[3:4], v1, off offset:4
.LBB376_17:
	s_or_b32 exec_lo, exec_lo, s5
	v_add_nc_u32_e32 v8, 16, v5
	s_delay_alu instid0(VALU_DEP_1) | instskip(SKIP_1) | instid1(VALU_DEP_2)
	v_mad_i64_i32 v[3:4], null, v8, s2, 0
	v_cmp_le_i32_e64 s1, v8, v0
	v_lshlrev_b64 v[3:4], 3, v[3:4]
	s_delay_alu instid0(VALU_DEP_1) | instskip(NEXT) | instid1(VALU_DEP_1)
	v_add_co_u32 v6, s2, s3, v3
	v_add_co_ci_u32_e64 v7, s2, s4, v4, s2
	s_delay_alu instid0(VALU_DEP_4) | instskip(NEXT) | instid1(SALU_CYCLE_1)
	s_and_b32 s2, s1, vcc_lo
	s_and_saveexec_b32 s1, s2
	s_cbranch_execz .LBB376_20
; %bb.18:
	v_ashrrev_i32_e32 v1, 31, v0
	s_delay_alu instid0(VALU_DEP_1) | instskip(NEXT) | instid1(VALU_DEP_1)
	v_lshlrev_b64 v[3:4], 3, v[0:1]
	v_add_co_u32 v3, vcc_lo, v6, v3
	s_delay_alu instid0(VALU_DEP_2)
	v_add_co_ci_u32_e32 v4, vcc_lo, v7, v4, vcc_lo
	v_cmp_eq_u32_e32 vcc_lo, v8, v0
	global_load_b64 v[9:10], v[3:4], off
	v_mul_f32_e32 v1, s9, v17
	s_waitcnt vmcnt(0)
	v_dual_mul_f32 v11, s8, v17 :: v_dual_mul_f32 v12, s7, v10
	v_mul_f32_e32 v10, s6, v10
	s_delay_alu instid0(VALU_DEP_3) | instskip(NEXT) | instid1(VALU_DEP_3)
	v_fma_f32 v1, v16, s8, -v1
	v_fmac_f32_e32 v11, s9, v16
	s_delay_alu instid0(VALU_DEP_4) | instskip(NEXT) | instid1(VALU_DEP_1)
	v_fma_f32 v12, v9, s6, -v12
	v_dual_fmac_f32 v10, s7, v9 :: v_dual_add_f32 v9, v1, v12
	s_delay_alu instid0(VALU_DEP_1)
	v_add_f32_e32 v10, v11, v10
	global_store_b64 v[3:4], v[9:10], off
	s_and_b32 exec_lo, exec_lo, vcc_lo
	s_cbranch_execz .LBB376_20
; %bb.19:
	v_mov_b32_e32 v1, 0
	global_store_b32 v[3:4], v1, off offset:4
.LBB376_20:
	s_or_b32 exec_lo, exec_lo, s1
	v_cmp_le_i32_e32 vcc_lo, v8, v2
	s_and_b32 s0, vcc_lo, s0
	s_delay_alu instid0(SALU_CYCLE_1)
	s_and_saveexec_b32 s1, s0
	s_cbranch_execz .LBB376_23
; %bb.21:
	v_ashrrev_i32_e32 v3, 31, v2
	s_delay_alu instid0(VALU_DEP_1) | instskip(NEXT) | instid1(VALU_DEP_1)
	v_lshlrev_b64 v[1:2], 3, v[2:3]
	v_add_co_u32 v1, vcc_lo, v6, v1
	s_delay_alu instid0(VALU_DEP_2) | instskip(SKIP_4) | instid1(VALU_DEP_1)
	v_add_co_ci_u32_e32 v2, vcc_lo, v7, v2, vcc_lo
	v_cmp_eq_u32_e32 vcc_lo, v5, v0
	global_load_b64 v[3:4], v[1:2], off
	s_waitcnt vmcnt(0)
	v_dual_mul_f32 v7, s8, v15 :: v_dual_mul_f32 v8, s7, v4
	v_dual_mul_f32 v6, s9, v15 :: v_dual_fmac_f32 v7, s9, v14
	v_mul_f32_e32 v4, s6, v4
	s_delay_alu instid0(VALU_DEP_3) | instskip(NEXT) | instid1(VALU_DEP_3)
	v_fma_f32 v8, v3, s6, -v8
	v_fma_f32 v6, v14, s8, -v6
	s_delay_alu instid0(VALU_DEP_1) | instskip(NEXT) | instid1(VALU_DEP_1)
	v_dual_fmac_f32 v4, s7, v3 :: v_dual_add_f32 v3, v6, v8
	v_add_f32_e32 v4, v7, v4
	global_store_b64 v[1:2], v[3:4], off
	s_and_b32 exec_lo, exec_lo, vcc_lo
	s_cbranch_execz .LBB376_23
; %bb.22:
	v_mov_b32_e32 v0, 0
	global_store_b32 v[1:2], v0, off offset:4
.LBB376_23:
	s_nop 0
	s_sendmsg sendmsg(MSG_DEALLOC_VGPRS)
	s_endpgm
	.section	.rodata,"a",@progbits
	.p2align	6, 0x0
	.amdhsa_kernel _ZL34rocblas_syrkx_herkx_general_kernelIi19rocblas_complex_numIfELi16ELi32ELi8ELb0ELb1ELc84ELc76EKS1_S1_EviT_T0_PT8_S3_lS6_S3_lS4_PT9_S3_li
		.amdhsa_group_segment_fixed_size 4096
		.amdhsa_private_segment_fixed_size 0
		.amdhsa_kernarg_size 100
		.amdhsa_user_sgpr_count 13
		.amdhsa_user_sgpr_dispatch_ptr 0
		.amdhsa_user_sgpr_queue_ptr 0
		.amdhsa_user_sgpr_kernarg_segment_ptr 1
		.amdhsa_user_sgpr_dispatch_id 0
		.amdhsa_user_sgpr_private_segment_size 0
		.amdhsa_wavefront_size32 1
		.amdhsa_uses_dynamic_stack 0
		.amdhsa_enable_private_segment 0
		.amdhsa_system_sgpr_workgroup_id_x 1
		.amdhsa_system_sgpr_workgroup_id_y 1
		.amdhsa_system_sgpr_workgroup_id_z 1
		.amdhsa_system_sgpr_workgroup_info 0
		.amdhsa_system_vgpr_workitem_id 1
		.amdhsa_next_free_vgpr 59
		.amdhsa_next_free_sgpr 25
		.amdhsa_reserve_vcc 1
		.amdhsa_float_round_mode_32 0
		.amdhsa_float_round_mode_16_64 0
		.amdhsa_float_denorm_mode_32 3
		.amdhsa_float_denorm_mode_16_64 3
		.amdhsa_dx10_clamp 1
		.amdhsa_ieee_mode 1
		.amdhsa_fp16_overflow 0
		.amdhsa_workgroup_processor_mode 1
		.amdhsa_memory_ordered 1
		.amdhsa_forward_progress 0
		.amdhsa_shared_vgpr_count 0
		.amdhsa_exception_fp_ieee_invalid_op 0
		.amdhsa_exception_fp_denorm_src 0
		.amdhsa_exception_fp_ieee_div_zero 0
		.amdhsa_exception_fp_ieee_overflow 0
		.amdhsa_exception_fp_ieee_underflow 0
		.amdhsa_exception_fp_ieee_inexact 0
		.amdhsa_exception_int_div_zero 0
	.end_amdhsa_kernel
	.section	.text._ZL34rocblas_syrkx_herkx_general_kernelIi19rocblas_complex_numIfELi16ELi32ELi8ELb0ELb1ELc84ELc76EKS1_S1_EviT_T0_PT8_S3_lS6_S3_lS4_PT9_S3_li,"axG",@progbits,_ZL34rocblas_syrkx_herkx_general_kernelIi19rocblas_complex_numIfELi16ELi32ELi8ELb0ELb1ELc84ELc76EKS1_S1_EviT_T0_PT8_S3_lS6_S3_lS4_PT9_S3_li,comdat
.Lfunc_end376:
	.size	_ZL34rocblas_syrkx_herkx_general_kernelIi19rocblas_complex_numIfELi16ELi32ELi8ELb0ELb1ELc84ELc76EKS1_S1_EviT_T0_PT8_S3_lS6_S3_lS4_PT9_S3_li, .Lfunc_end376-_ZL34rocblas_syrkx_herkx_general_kernelIi19rocblas_complex_numIfELi16ELi32ELi8ELb0ELb1ELc84ELc76EKS1_S1_EviT_T0_PT8_S3_lS6_S3_lS4_PT9_S3_li
                                        ; -- End function
	.section	.AMDGPU.csdata,"",@progbits
; Kernel info:
; codeLenInByte = 2740
; NumSgprs: 27
; NumVgprs: 59
; ScratchSize: 0
; MemoryBound: 1
; FloatMode: 240
; IeeeMode: 1
; LDSByteSize: 4096 bytes/workgroup (compile time only)
; SGPRBlocks: 3
; VGPRBlocks: 7
; NumSGPRsForWavesPerEU: 27
; NumVGPRsForWavesPerEU: 59
; Occupancy: 16
; WaveLimiterHint : 0
; COMPUTE_PGM_RSRC2:SCRATCH_EN: 0
; COMPUTE_PGM_RSRC2:USER_SGPR: 13
; COMPUTE_PGM_RSRC2:TRAP_HANDLER: 0
; COMPUTE_PGM_RSRC2:TGID_X_EN: 1
; COMPUTE_PGM_RSRC2:TGID_Y_EN: 1
; COMPUTE_PGM_RSRC2:TGID_Z_EN: 1
; COMPUTE_PGM_RSRC2:TIDIG_COMP_CNT: 1
	.section	.text._ZL34rocblas_syrkx_herkx_general_kernelIi19rocblas_complex_numIfELi16ELi32ELi8ELb0ELb1ELc67ELc76EKS1_S1_EviT_T0_PT8_S3_lS6_S3_lS4_PT9_S3_li,"axG",@progbits,_ZL34rocblas_syrkx_herkx_general_kernelIi19rocblas_complex_numIfELi16ELi32ELi8ELb0ELb1ELc67ELc76EKS1_S1_EviT_T0_PT8_S3_lS6_S3_lS4_PT9_S3_li,comdat
	.globl	_ZL34rocblas_syrkx_herkx_general_kernelIi19rocblas_complex_numIfELi16ELi32ELi8ELb0ELb1ELc67ELc76EKS1_S1_EviT_T0_PT8_S3_lS6_S3_lS4_PT9_S3_li ; -- Begin function _ZL34rocblas_syrkx_herkx_general_kernelIi19rocblas_complex_numIfELi16ELi32ELi8ELb0ELb1ELc67ELc76EKS1_S1_EviT_T0_PT8_S3_lS6_S3_lS4_PT9_S3_li
	.p2align	8
	.type	_ZL34rocblas_syrkx_herkx_general_kernelIi19rocblas_complex_numIfELi16ELi32ELi8ELb0ELb1ELc67ELc76EKS1_S1_EviT_T0_PT8_S3_lS6_S3_lS4_PT9_S3_li,@function
_ZL34rocblas_syrkx_herkx_general_kernelIi19rocblas_complex_numIfELi16ELi32ELi8ELb0ELb1ELc67ELc76EKS1_S1_EviT_T0_PT8_S3_lS6_S3_lS4_PT9_S3_li: ; @_ZL34rocblas_syrkx_herkx_general_kernelIi19rocblas_complex_numIfELi16ELi32ELi8ELb0ELb1ELc67ELc76EKS1_S1_EviT_T0_PT8_S3_lS6_S3_lS4_PT9_S3_li
; %bb.0:
	s_clause 0x3
	s_load_b64 s[20:21], s[0:1], 0x0
	s_load_b128 s[8:11], s[0:1], 0x8
	s_load_b128 s[4:7], s[0:1], 0x38
	s_load_b64 s[22:23], s[0:1], 0x48
	v_dual_mov_b32 v21, 0 :: v_dual_and_b32 v6, 0x3ff, v0
	v_bfe_u32 v7, v0, 10, 10
	v_dual_mov_b32 v22, 0 :: v_dual_mov_b32 v19, 0
	v_dual_mov_b32 v20, 0 :: v_dual_mov_b32 v17, 0
	;; [unrolled: 1-line block ×3, first 2 shown]
	v_mov_b32_e32 v16, 0
	s_lshl_b32 s12, s13, 5
	s_lshl_b32 s13, s14, 5
	s_mov_b32 s14, 0
	s_waitcnt lgkmcnt(0)
	s_cmp_lt_i32 s21, 1
	s_cbranch_scc1 .LBB377_11
; %bb.1:
	s_load_b32 s2, s[0:1], 0x18
	v_lshl_add_u32 v0, v7, 4, v6
	s_clause 0x1
	s_load_b128 s[16:19], s[0:1], 0x20
	s_load_b32 s3, s[0:1], 0x30
	v_and_b32_e32 v8, 7, v6
	v_lshlrev_b32_e32 v9, 3, v6
	v_dual_mov_b32 v17, 0 :: v_dual_and_b32 v2, 31, v0
	v_lshrrev_b32_e32 v1, 3, v0
	s_delay_alu instid0(VALU_DEP_4) | instskip(SKIP_1) | instid1(VALU_DEP_4)
	v_dual_mov_b32 v19, 0 :: v_dual_lshlrev_b32 v4, 3, v8
	v_lshrrev_b32_e32 v11, 5, v0
	v_dual_mov_b32 v21, 0 :: v_dual_add_nc_u32 v12, s12, v2
	s_delay_alu instid0(VALU_DEP_4) | instskip(NEXT) | instid1(VALU_DEP_4)
	v_add_nc_u32_e32 v5, s13, v1
	v_lshl_or_b32 v13, v1, 6, v4
	v_or_b32_e32 v3, s12, v2
	v_lshlrev_b32_e32 v2, 3, v2
	v_lshlrev_b32_e32 v14, 3, v11
	v_lshl_add_u32 v10, v7, 6, 0x800
	v_dual_mov_b32 v16, 0 :: v_dual_add_nc_u32 v13, 0x800, v13
	s_waitcnt lgkmcnt(0)
	v_mad_i64_i32 v[0:1], null, s2, v12, 0
	s_mul_i32 s17, s17, s15
	s_mul_hi_u32 s24, s16, s15
	v_cmp_gt_i32_e32 vcc_lo, s20, v3
	v_lshl_or_b32 v12, v11, 8, v2
	v_mad_i64_i32 v[2:3], null, s3, v5, 0
	s_delay_alu instid0(VALU_DEP_4)
	v_lshlrev_b64 v[0:1], 3, v[0:1]
	s_mul_i32 s16, s16, s15
	s_add_i32 s17, s24, s17
	v_cmp_gt_i32_e64 s2, s20, v5
	s_lshl_b64 s[16:17], s[16:17], 3
	v_mov_b32_e32 v18, 0
	v_add_co_u32 v5, s3, v0, s16
	s_delay_alu instid0(VALU_DEP_1)
	v_add_co_ci_u32_e64 v15, s3, s17, v1, s3
	s_mul_i32 s3, s5, s15
	s_mul_hi_u32 s5, s4, s15
	v_lshlrev_b64 v[0:1], 3, v[2:3]
	s_add_i32 s5, s5, s3
	s_mul_i32 s4, s4, s15
	v_add_co_u32 v2, s3, v5, v14
	s_lshl_b64 s[4:5], s[4:5], 3
	v_add_co_ci_u32_e64 v3, s3, 0, v15, s3
	v_add_co_u32 v0, s3, v0, s4
	s_delay_alu instid0(VALU_DEP_1) | instskip(SKIP_1) | instid1(VALU_DEP_1)
	v_add_co_ci_u32_e64 v1, s3, s5, v1, s3
	v_add_co_u32 v2, s3, v2, s10
	v_add_co_ci_u32_e64 v3, s3, s11, v3, s3
	s_delay_alu instid0(VALU_DEP_4) | instskip(NEXT) | instid1(VALU_DEP_1)
	v_add_co_u32 v4, s3, v0, v4
	v_add_co_ci_u32_e64 v5, s3, 0, v1, s3
	s_delay_alu instid0(VALU_DEP_4) | instskip(NEXT) | instid1(VALU_DEP_1)
	;; [unrolled: 3-line block ×3, first 2 shown]
	v_add_co_u32 v2, s3, s18, v4
	v_add_co_ci_u32_e64 v3, s3, s19, v5, s3
	v_mov_b32_e32 v4, 0
	v_dual_mov_b32 v14, 0 :: v_dual_mov_b32 v15, 0
	v_mov_b32_e32 v20, 0
	v_mov_b32_e32 v22, 0
	s_xor_b32 s3, vcc_lo, -1
	s_xor_b32 s2, s2, -1
	s_branch .LBB377_3
.LBB377_2:                              ;   in Loop: Header=BB377_3 Depth=1
	s_or_b32 exec_lo, exec_lo, s4
	s_waitcnt lgkmcnt(0)
	s_barrier
	buffer_gl0_inv
	ds_load_2addr_b64 v[23:26], v9 offset1:16
	ds_load_b128 v[27:30], v10
	ds_load_b128 v[31:34], v10 offset:1024
	ds_load_b128 v[35:38], v10 offset:16
	;; [unrolled: 1-line block ×4, first 2 shown]
	ds_load_2addr_b64 v[47:50], v9 offset0:32 offset1:48
	ds_load_b128 v[51:54], v10 offset:1040
	v_add_co_u32 v0, vcc_lo, v0, 64
	v_add_co_ci_u32_e32 v1, vcc_lo, 0, v1, vcc_lo
	v_add_co_u32 v2, vcc_lo, v2, 64
	v_add_co_ci_u32_e32 v3, vcc_lo, 0, v3, vcc_lo
	s_add_i32 s14, s14, 8
	s_delay_alu instid0(SALU_CYCLE_1)
	s_cmp_ge_i32 s14, s21
	s_waitcnt lgkmcnt(6)
	v_mul_f32_e32 v5, v28, v24
	v_dual_mul_f32 v55, v27, v24 :: v_dual_mul_f32 v56, v28, v26
	s_waitcnt lgkmcnt(5)
	v_dual_mul_f32 v57, v27, v26 :: v_dual_mul_f32 v58, v32, v24
	v_dual_mul_f32 v24, v31, v24 :: v_dual_mul_f32 v59, v32, v26
	v_mul_f32_e32 v26, v31, v26
	v_fma_f32 v5, v27, v23, -v5
	v_fmac_f32_e32 v55, v28, v23
	v_fma_f32 v27, v27, v25, -v56
	v_fmac_f32_e32 v57, v28, v25
	v_fma_f32 v28, v31, v23, -v58
	v_dual_fmac_f32 v24, v32, v23 :: v_dual_add_f32 v5, v21, v5
	v_fma_f32 v23, v31, v25, -v59
	v_fmac_f32_e32 v26, v32, v25
	s_delay_alu instid0(VALU_DEP_4)
	v_dual_add_f32 v28, v17, v28 :: v_dual_add_f32 v21, v22, v55
	v_dual_add_f32 v22, v19, v27 :: v_dual_add_f32 v27, v20, v57
	v_add_f32_e32 v24, v18, v24
	ds_load_2addr_b64 v[17:20], v9 offset0:64 offset1:80
	s_waitcnt lgkmcnt(2)
	v_dual_mul_f32 v31, v30, v48 :: v_dual_add_f32 v16, v16, v26
	v_dual_add_f32 v15, v15, v23 :: v_dual_mul_f32 v26, v29, v50
	v_mul_f32_e32 v23, v29, v48
	s_delay_alu instid0(VALU_DEP_3) | instskip(SKIP_1) | instid1(VALU_DEP_4)
	v_fma_f32 v25, v29, v47, -v31
	v_mul_f32_e32 v31, v30, v50
	v_fmac_f32_e32 v26, v30, v49
	s_delay_alu instid0(VALU_DEP_4) | instskip(NEXT) | instid1(VALU_DEP_2)
	v_fmac_f32_e32 v23, v30, v47
	v_dual_add_f32 v5, v5, v25 :: v_dual_add_f32 v26, v27, v26
	v_mul_f32_e32 v27, v33, v50
	s_waitcnt lgkmcnt(0)
	s_delay_alu instid0(VALU_DEP_1) | instskip(NEXT) | instid1(VALU_DEP_1)
	v_dual_fmac_f32 v27, v34, v49 :: v_dual_mul_f32 v30, v35, v18
	v_add_f32_e32 v27, v16, v27
	s_delay_alu instid0(VALU_DEP_2) | instskip(SKIP_4) | instid1(VALU_DEP_3)
	v_fmac_f32_e32 v30, v36, v17
	v_fma_f32 v25, v29, v49, -v31
	v_dual_add_f32 v31, v21, v23 :: v_dual_mul_f32 v16, v35, v20
	v_mul_f32_e32 v29, v34, v48
	v_mul_f32_e32 v23, v34, v50
	v_dual_add_f32 v25, v22, v25 :: v_dual_add_f32 v30, v31, v30
	s_delay_alu instid0(VALU_DEP_4) | instskip(NEXT) | instid1(VALU_DEP_4)
	v_fmac_f32_e32 v16, v36, v19
	v_fma_f32 v22, v33, v47, -v29
	v_mul_f32_e32 v21, v33, v48
	v_mul_f32_e32 v31, v52, v18
	s_delay_alu instid0(VALU_DEP_3) | instskip(SKIP_1) | instid1(VALU_DEP_3)
	v_add_f32_e32 v28, v28, v22
	v_fma_f32 v22, v33, v49, -v23
	v_fma_f32 v31, v51, v17, -v31
	s_delay_alu instid0(VALU_DEP_2) | instskip(SKIP_2) | instid1(VALU_DEP_2)
	v_add_f32_e32 v15, v15, v22
	v_mul_f32_e32 v23, v36, v18
	v_dual_mul_f32 v18, v51, v18 :: v_dual_fmac_f32 v21, v34, v47
	v_fma_f32 v32, v35, v17, -v23
	s_delay_alu instid0(VALU_DEP_2) | instskip(NEXT) | instid1(VALU_DEP_3)
	v_fmac_f32_e32 v18, v52, v17
	v_add_f32_e32 v29, v24, v21
	ds_load_2addr_b64 v[21:24], v9 offset0:96 offset1:112
	v_mul_f32_e32 v33, v36, v20
	v_add_f32_e32 v5, v5, v32
	v_add_f32_e32 v31, v28, v31
	s_delay_alu instid0(VALU_DEP_3) | instskip(NEXT) | instid1(VALU_DEP_1)
	v_fma_f32 v32, v35, v19, -v33
	v_add_f32_e32 v25, v25, v32
	v_mul_f32_e32 v32, v52, v20
	v_mul_f32_e32 v20, v51, v20
	s_delay_alu instid0(VALU_DEP_1) | instskip(SKIP_2) | instid1(VALU_DEP_2)
	v_fmac_f32_e32 v20, v52, v19
	s_waitcnt lgkmcnt(0)
	v_mul_f32_e32 v28, v38, v24
	v_add_f32_e32 v34, v27, v20
	v_mul_f32_e32 v20, v37, v24
	s_delay_alu instid0(VALU_DEP_3)
	v_fma_f32 v27, v37, v23, -v28
	v_add_f32_e32 v33, v26, v16
	v_fma_f32 v16, v51, v19, -v32
	v_mul_f32_e32 v26, v37, v22
	v_add_f32_e32 v29, v29, v18
	v_mul_f32_e32 v19, v38, v22
	v_fmac_f32_e32 v20, v38, v23
	v_add_f32_e32 v32, v15, v16
	ds_load_2addr_b64 v[15:18], v9 offset0:128 offset1:144
	v_fmac_f32_e32 v26, v38, v21
	s_delay_alu instid0(VALU_DEP_1) | instskip(SKIP_3) | instid1(VALU_DEP_2)
	v_add_f32_e32 v35, v30, v26
	v_mul_f32_e32 v30, v54, v24
	v_mul_f32_e32 v24, v53, v24
	v_fma_f32 v19, v37, v21, -v19
	v_fmac_f32_e32 v24, v54, v23
	s_delay_alu instid0(VALU_DEP_1) | instskip(SKIP_2) | instid1(VALU_DEP_1)
	v_dual_add_f32 v5, v5, v19 :: v_dual_add_f32 v24, v34, v24
	s_waitcnt lgkmcnt(0)
	v_mul_f32_e32 v34, v39, v18
	v_dual_mul_f32 v19, v54, v22 :: v_dual_fmac_f32 v34, v40, v17
	s_delay_alu instid0(VALU_DEP_1) | instskip(NEXT) | instid1(VALU_DEP_1)
	v_fma_f32 v19, v53, v21, -v19
	v_dual_mul_f32 v22, v53, v22 :: v_dual_add_f32 v37, v31, v19
	s_delay_alu instid0(VALU_DEP_1)
	v_fmac_f32_e32 v22, v54, v21
	v_add_f32_e32 v36, v25, v27
	ds_load_b128 v[25:28], v10 offset:1056
	v_add_f32_e32 v33, v33, v20
	v_fma_f32 v20, v53, v23, -v30
	v_dual_mul_f32 v19, v40, v16 :: v_dual_add_f32 v38, v29, v22
	v_dual_mul_f32 v47, v39, v16 :: v_dual_mul_f32 v30, v40, v18
	s_delay_alu instid0(VALU_DEP_3) | instskip(NEXT) | instid1(VALU_DEP_3)
	v_add_f32_e32 v23, v32, v20
	v_fma_f32 v29, v39, v15, -v19
	ds_load_2addr_b64 v[19:22], v9 offset0:160 offset1:176
	v_fmac_f32_e32 v47, v40, v15
	v_fma_f32 v39, v39, v17, -v30
	v_add_f32_e32 v5, v5, v29
	ds_load_b128 v[29:32], v10 offset:1072
	v_add_f32_e32 v36, v36, v39
	s_waitcnt lgkmcnt(2)
	v_mul_f32_e32 v48, v26, v16
	v_mul_f32_e32 v16, v25, v16
	v_dual_mul_f32 v40, v26, v18 :: v_dual_add_f32 v35, v35, v47
	v_add_f32_e32 v33, v33, v34
	s_delay_alu instid0(VALU_DEP_4) | instskip(NEXT) | instid1(VALU_DEP_4)
	v_fma_f32 v39, v25, v15, -v48
	v_fmac_f32_e32 v16, v26, v15
	v_mul_f32_e32 v34, v25, v18
	v_fma_f32 v15, v25, v17, -v40
	s_waitcnt lgkmcnt(1)
	v_dual_mul_f32 v18, v42, v20 :: v_dual_add_f32 v37, v37, v39
	v_mul_f32_e32 v39, v42, v22
	v_fmac_f32_e32 v34, v26, v17
	v_add_f32_e32 v25, v38, v16
	v_add_f32_e32 v23, v23, v15
	v_fma_f32 v38, v41, v19, -v18
	v_mul_f32_e32 v26, v41, v20
	ds_load_2addr_b64 v[15:18], v9 offset0:192 offset1:208
	v_add_f32_e32 v5, v5, v38
	v_add_f32_e32 v34, v24, v34
	v_mul_f32_e32 v24, v41, v22
	v_fma_f32 v38, v41, v21, -v39
	s_delay_alu instid0(VALU_DEP_2) | instskip(SKIP_1) | instid1(VALU_DEP_3)
	v_fmac_f32_e32 v24, v42, v21
	v_fmac_f32_e32 v26, v42, v19
	v_add_f32_e32 v36, v36, v38
	s_delay_alu instid0(VALU_DEP_2) | instskip(NEXT) | instid1(VALU_DEP_1)
	v_dual_add_f32 v35, v35, v26 :: v_dual_mul_f32 v26, v28, v20
	v_fma_f32 v26, v27, v19, -v26
	v_mul_f32_e32 v20, v27, v20
	s_delay_alu instid0(VALU_DEP_1) | instskip(SKIP_2) | instid1(VALU_DEP_1)
	v_dual_fmac_f32 v20, v28, v19 :: v_dual_add_f32 v19, v33, v24
	s_waitcnt lgkmcnt(0)
	v_mul_f32_e32 v33, v44, v16
	v_fma_f32 v33, v43, v15, -v33
	v_mul_f32_e32 v38, v28, v22
	s_delay_alu instid0(VALU_DEP_2) | instskip(NEXT) | instid1(VALU_DEP_2)
	v_dual_mul_f32 v22, v27, v22 :: v_dual_add_f32 v5, v5, v33
	v_fma_f32 v24, v27, v21, -v38
	v_add_f32_e32 v27, v37, v26
	v_mul_f32_e32 v37, v43, v18
	v_mul_f32_e32 v33, v30, v16
	s_delay_alu instid0(VALU_DEP_2)
	v_dual_add_f32 v20, v25, v20 :: v_dual_fmac_f32 v37, v44, v17
	v_dual_fmac_f32 v22, v28, v21 :: v_dual_add_f32 v21, v23, v24
	ds_load_2addr_b64 v[23:26], v9 offset0:224 offset1:240
	v_mul_f32_e32 v28, v43, v16
	v_mul_f32_e32 v16, v29, v16
	v_fma_f32 v33, v29, v15, -v33
	s_waitcnt lgkmcnt(0)
	s_barrier
	v_fmac_f32_e32 v28, v44, v15
	s_delay_alu instid0(VALU_DEP_2)
	v_dual_fmac_f32 v16, v30, v15 :: v_dual_add_f32 v15, v27, v33
	buffer_gl0_inv
	v_dual_add_f32 v28, v35, v28 :: v_dual_mul_f32 v35, v30, v18
	v_mul_f32_e32 v27, v46, v24
	v_add_f32_e32 v22, v34, v22
	v_mul_f32_e32 v34, v44, v18
	s_delay_alu instid0(VALU_DEP_1) | instskip(NEXT) | instid1(VALU_DEP_1)
	v_fma_f32 v34, v43, v17, -v34
	v_add_f32_e32 v34, v36, v34
	v_add_f32_e32 v36, v19, v37
	v_mul_f32_e32 v18, v29, v18
	v_fma_f32 v19, v29, v17, -v35
	s_delay_alu instid0(VALU_DEP_2) | instskip(NEXT) | instid1(VALU_DEP_2)
	v_dual_mul_f32 v29, v45, v24 :: v_dual_fmac_f32 v18, v30, v17
	v_add_f32_e32 v30, v21, v19
	v_fma_f32 v17, v45, v23, -v27
	v_mul_f32_e32 v19, v46, v26
	s_delay_alu instid0(VALU_DEP_4) | instskip(SKIP_1) | instid1(VALU_DEP_4)
	v_fmac_f32_e32 v29, v46, v23
	v_dual_add_f32 v27, v22, v18 :: v_dual_mul_f32 v18, v31, v24
	v_add_f32_e32 v21, v5, v17
	s_delay_alu instid0(VALU_DEP_4)
	v_fma_f32 v5, v45, v25, -v19
	v_mul_f32_e32 v17, v32, v24
	v_mul_f32_e32 v24, v32, v26
	v_fmac_f32_e32 v18, v32, v23
	v_add_f32_e32 v22, v28, v29
	v_add_f32_e32 v19, v34, v5
	v_fma_f32 v5, v31, v23, -v17
	v_fma_f32 v23, v31, v25, -v24
	v_add_f32_e32 v16, v20, v16
	v_mul_f32_e32 v20, v45, v26
	v_mul_f32_e32 v26, v31, v26
	v_add_f32_e32 v17, v15, v5
	s_delay_alu instid0(VALU_DEP_4) | instskip(NEXT) | instid1(VALU_DEP_4)
	v_dual_add_f32 v15, v30, v23 :: v_dual_add_f32 v18, v16, v18
	v_fmac_f32_e32 v20, v46, v25
	s_delay_alu instid0(VALU_DEP_4) | instskip(NEXT) | instid1(VALU_DEP_2)
	v_fmac_f32_e32 v26, v32, v25
	v_add_f32_e32 v20, v36, v20
	s_delay_alu instid0(VALU_DEP_2)
	v_add_f32_e32 v16, v27, v26
	s_cbranch_scc1 .LBB377_11
.LBB377_3:                              ; =>This Inner Loop Header: Depth=1
	v_add_nc_u32_e32 v5, s14, v11
                                        ; implicit-def: $sgpr5
	s_delay_alu instid0(VALU_DEP_1) | instskip(SKIP_1) | instid1(SALU_CYCLE_1)
	v_cmp_le_i32_e32 vcc_lo, s21, v5
	s_or_b32 s4, s3, vcc_lo
	s_and_saveexec_b32 s10, s4
	s_delay_alu instid0(SALU_CYCLE_1)
	s_xor_b32 s4, exec_lo, s10
	s_cbranch_execz .LBB377_5
; %bb.4:                                ;   in Loop: Header=BB377_3 Depth=1
	s_mov_b32 s5, 0
	ds_store_b32 v12, v14
.LBB377_5:                              ;   in Loop: Header=BB377_3 Depth=1
	s_or_saveexec_b32 s4, s4
	v_mov_b32_e32 v5, s5
	s_xor_b32 exec_lo, exec_lo, s4
	s_cbranch_execz .LBB377_7
; %bb.6:                                ;   in Loop: Header=BB377_3 Depth=1
	global_load_b64 v[23:24], v[0:1], off offset:-4
	s_waitcnt vmcnt(0)
	v_xor_b32_e32 v5, 0x80000000, v24
	ds_store_b32 v12, v23
.LBB377_7:                              ;   in Loop: Header=BB377_3 Depth=1
	s_or_b32 exec_lo, exec_lo, s4
	v_add_nc_u32_e32 v23, s14, v8
	ds_store_b32 v12, v5 offset:4
	v_cmp_le_i32_e32 vcc_lo, s21, v23
	s_or_b32 s4, vcc_lo, s2
	s_delay_alu instid0(SALU_CYCLE_1) | instskip(NEXT) | instid1(SALU_CYCLE_1)
	s_and_saveexec_b32 s5, s4
	s_xor_b32 s4, exec_lo, s5
	s_cbranch_execz .LBB377_9
; %bb.8:                                ;   in Loop: Header=BB377_3 Depth=1
	v_mov_b32_e32 v5, v4
	ds_store_b64 v13, v[4:5]
.LBB377_9:                              ;   in Loop: Header=BB377_3 Depth=1
	s_and_not1_saveexec_b32 s4, s4
	s_cbranch_execz .LBB377_2
; %bb.10:                               ;   in Loop: Header=BB377_3 Depth=1
	global_load_b64 v[23:24], v[2:3], off
	s_waitcnt vmcnt(0)
	ds_store_b64 v13, v[23:24]
	s_branch .LBB377_2
.LBB377_11:
	s_clause 0x1
	s_load_b32 s2, s[0:1], 0x50
	s_load_b64 s[4:5], s[0:1], 0x58
	v_add_nc_u32_e32 v5, s13, v7
	v_add_nc_u32_e32 v0, s12, v6
	s_delay_alu instid0(VALU_DEP_1)
	v_cmp_le_i32_e64 s0, v5, v0
	v_cmp_gt_i32_e32 vcc_lo, s20, v0
	s_waitcnt lgkmcnt(0)
	v_mad_i64_i32 v[1:2], null, v5, s2, 0
	s_mul_i32 s1, s15, s5
	s_mul_hi_u32 s3, s15, s4
	s_mul_i32 s4, s15, s4
	s_add_i32 s5, s3, s1
	s_delay_alu instid0(SALU_CYCLE_1) | instskip(NEXT) | instid1(VALU_DEP_1)
	s_lshl_b64 s[4:5], s[4:5], 3
	v_lshlrev_b64 v[1:2], 3, v[1:2]
	s_add_u32 s3, s22, s4
	s_addc_u32 s4, s23, s5
	s_and_b32 s0, s0, vcc_lo
	s_delay_alu instid0(VALU_DEP_1) | instskip(NEXT) | instid1(VALU_DEP_1)
	v_add_co_u32 v4, s1, s3, v1
	v_add_co_ci_u32_e64 v6, s1, s4, v2, s1
	s_and_saveexec_b32 s1, s0
	s_cbranch_execz .LBB377_14
; %bb.12:
	v_ashrrev_i32_e32 v1, 31, v0
	s_delay_alu instid0(VALU_DEP_1) | instskip(NEXT) | instid1(VALU_DEP_1)
	v_lshlrev_b64 v[1:2], 3, v[0:1]
	v_add_co_u32 v1, s0, v4, v1
	s_delay_alu instid0(VALU_DEP_1)
	v_add_co_ci_u32_e64 v2, s0, v6, v2, s0
	v_cmp_eq_u32_e64 s0, v5, v0
	global_load_b64 v[7:8], v[1:2], off
	v_mul_f32_e32 v3, s9, v22
	s_waitcnt vmcnt(0)
	v_dual_mul_f32 v9, s8, v22 :: v_dual_mul_f32 v10, s7, v8
	v_mul_f32_e32 v8, s6, v8
	s_delay_alu instid0(VALU_DEP_3) | instskip(NEXT) | instid1(VALU_DEP_3)
	v_fma_f32 v3, v21, s8, -v3
	v_fmac_f32_e32 v9, s9, v21
	s_delay_alu instid0(VALU_DEP_4) | instskip(NEXT) | instid1(VALU_DEP_1)
	v_fma_f32 v10, v7, s6, -v10
	v_dual_fmac_f32 v8, s7, v7 :: v_dual_add_f32 v7, v3, v10
	s_delay_alu instid0(VALU_DEP_1)
	v_add_f32_e32 v8, v9, v8
	global_store_b64 v[1:2], v[7:8], off
	s_and_b32 exec_lo, exec_lo, s0
	s_cbranch_execz .LBB377_14
; %bb.13:
	v_mov_b32_e32 v3, 0
	global_store_b32 v[1:2], v3, off offset:4
.LBB377_14:
	s_or_b32 exec_lo, exec_lo, s1
	v_add_nc_u32_e32 v2, 16, v0
	s_delay_alu instid0(VALU_DEP_1) | instskip(SKIP_1) | instid1(VALU_DEP_1)
	v_cmp_le_i32_e64 s1, v5, v2
	v_cmp_gt_i32_e64 s0, s20, v2
	s_and_b32 s1, s1, s0
	s_delay_alu instid0(SALU_CYCLE_1)
	s_and_saveexec_b32 s5, s1
	s_cbranch_execz .LBB377_17
; %bb.15:
	v_ashrrev_i32_e32 v3, 31, v2
	s_delay_alu instid0(VALU_DEP_1) | instskip(NEXT) | instid1(VALU_DEP_1)
	v_lshlrev_b64 v[7:8], 3, v[2:3]
	v_add_co_u32 v3, s1, v4, v7
	s_delay_alu instid0(VALU_DEP_1) | instskip(SKIP_4) | instid1(VALU_DEP_1)
	v_add_co_ci_u32_e64 v4, s1, v6, v8, s1
	v_cmp_eq_u32_e64 s1, v5, v2
	global_load_b64 v[6:7], v[3:4], off
	s_waitcnt vmcnt(0)
	v_dual_mul_f32 v8, s8, v20 :: v_dual_mul_f32 v9, s7, v7
	v_dual_mul_f32 v1, s9, v20 :: v_dual_fmac_f32 v8, s9, v19
	s_delay_alu instid0(VALU_DEP_2) | instskip(NEXT) | instid1(VALU_DEP_2)
	v_fma_f32 v9, v6, s6, -v9
	v_fma_f32 v1, v19, s8, -v1
	v_mul_f32_e32 v7, s6, v7
	s_delay_alu instid0(VALU_DEP_1) | instskip(NEXT) | instid1(VALU_DEP_1)
	v_dual_fmac_f32 v7, s7, v6 :: v_dual_add_f32 v6, v1, v9
	v_add_f32_e32 v7, v8, v7
	global_store_b64 v[3:4], v[6:7], off
	s_and_b32 exec_lo, exec_lo, s1
	s_cbranch_execz .LBB377_17
; %bb.16:
	v_mov_b32_e32 v1, 0
	global_store_b32 v[3:4], v1, off offset:4
.LBB377_17:
	s_or_b32 exec_lo, exec_lo, s5
	v_add_nc_u32_e32 v8, 16, v5
	s_delay_alu instid0(VALU_DEP_1) | instskip(SKIP_1) | instid1(VALU_DEP_2)
	v_mad_i64_i32 v[3:4], null, v8, s2, 0
	v_cmp_le_i32_e64 s1, v8, v0
	v_lshlrev_b64 v[3:4], 3, v[3:4]
	s_delay_alu instid0(VALU_DEP_1) | instskip(NEXT) | instid1(VALU_DEP_1)
	v_add_co_u32 v6, s2, s3, v3
	v_add_co_ci_u32_e64 v7, s2, s4, v4, s2
	s_delay_alu instid0(VALU_DEP_4) | instskip(NEXT) | instid1(SALU_CYCLE_1)
	s_and_b32 s2, s1, vcc_lo
	s_and_saveexec_b32 s1, s2
	s_cbranch_execz .LBB377_20
; %bb.18:
	v_ashrrev_i32_e32 v1, 31, v0
	v_mul_f32_e32 v11, s8, v18
	s_delay_alu instid0(VALU_DEP_2) | instskip(NEXT) | instid1(VALU_DEP_2)
	v_lshlrev_b64 v[3:4], 3, v[0:1]
	v_fmac_f32_e32 v11, s9, v17
	s_delay_alu instid0(VALU_DEP_2) | instskip(NEXT) | instid1(VALU_DEP_3)
	v_add_co_u32 v3, vcc_lo, v6, v3
	v_add_co_ci_u32_e32 v4, vcc_lo, v7, v4, vcc_lo
	v_cmp_eq_u32_e32 vcc_lo, v8, v0
	global_load_b64 v[9:10], v[3:4], off
	s_waitcnt vmcnt(0)
	v_mul_f32_e32 v12, s7, v10
	s_delay_alu instid0(VALU_DEP_1) | instskip(SKIP_1) | instid1(VALU_DEP_1)
	v_fma_f32 v12, v9, s6, -v12
	v_mul_f32_e32 v10, s6, v10
	v_dual_mul_f32 v1, s9, v18 :: v_dual_fmac_f32 v10, s7, v9
	s_delay_alu instid0(VALU_DEP_1) | instskip(NEXT) | instid1(VALU_DEP_1)
	v_fma_f32 v1, v17, s8, -v1
	v_dual_add_f32 v10, v11, v10 :: v_dual_add_f32 v9, v1, v12
	global_store_b64 v[3:4], v[9:10], off
	s_and_b32 exec_lo, exec_lo, vcc_lo
	s_cbranch_execz .LBB377_20
; %bb.19:
	v_mov_b32_e32 v1, 0
	global_store_b32 v[3:4], v1, off offset:4
.LBB377_20:
	s_or_b32 exec_lo, exec_lo, s1
	v_cmp_le_i32_e32 vcc_lo, v8, v2
	s_and_b32 s0, vcc_lo, s0
	s_delay_alu instid0(SALU_CYCLE_1)
	s_and_saveexec_b32 s1, s0
	s_cbranch_execz .LBB377_23
; %bb.21:
	v_ashrrev_i32_e32 v3, 31, v2
	s_delay_alu instid0(VALU_DEP_1) | instskip(NEXT) | instid1(VALU_DEP_1)
	v_lshlrev_b64 v[1:2], 3, v[2:3]
	v_add_co_u32 v1, vcc_lo, v6, v1
	s_delay_alu instid0(VALU_DEP_2)
	v_add_co_ci_u32_e32 v2, vcc_lo, v7, v2, vcc_lo
	v_cmp_eq_u32_e32 vcc_lo, v5, v0
	global_load_b64 v[3:4], v[1:2], off
	s_waitcnt vmcnt(0)
	v_mul_f32_e32 v8, s7, v4
	v_mul_f32_e32 v4, s6, v4
	;; [unrolled: 1-line block ×3, first 2 shown]
	s_delay_alu instid0(VALU_DEP_3) | instskip(NEXT) | instid1(VALU_DEP_3)
	v_fma_f32 v8, v3, s6, -v8
	v_fmac_f32_e32 v4, s7, v3
	s_delay_alu instid0(VALU_DEP_3) | instskip(NEXT) | instid1(VALU_DEP_1)
	v_dual_mul_f32 v6, s9, v16 :: v_dual_fmac_f32 v7, s9, v15
	v_fma_f32 v6, v15, s8, -v6
	s_delay_alu instid0(VALU_DEP_2) | instskip(NEXT) | instid1(VALU_DEP_2)
	v_add_f32_e32 v4, v7, v4
	v_add_f32_e32 v3, v6, v8
	global_store_b64 v[1:2], v[3:4], off
	s_and_b32 exec_lo, exec_lo, vcc_lo
	s_cbranch_execz .LBB377_23
; %bb.22:
	v_mov_b32_e32 v0, 0
	global_store_b32 v[1:2], v0, off offset:4
.LBB377_23:
	s_nop 0
	s_sendmsg sendmsg(MSG_DEALLOC_VGPRS)
	s_endpgm
	.section	.rodata,"a",@progbits
	.p2align	6, 0x0
	.amdhsa_kernel _ZL34rocblas_syrkx_herkx_general_kernelIi19rocblas_complex_numIfELi16ELi32ELi8ELb0ELb1ELc67ELc76EKS1_S1_EviT_T0_PT8_S3_lS6_S3_lS4_PT9_S3_li
		.amdhsa_group_segment_fixed_size 4096
		.amdhsa_private_segment_fixed_size 0
		.amdhsa_kernarg_size 100
		.amdhsa_user_sgpr_count 13
		.amdhsa_user_sgpr_dispatch_ptr 0
		.amdhsa_user_sgpr_queue_ptr 0
		.amdhsa_user_sgpr_kernarg_segment_ptr 1
		.amdhsa_user_sgpr_dispatch_id 0
		.amdhsa_user_sgpr_private_segment_size 0
		.amdhsa_wavefront_size32 1
		.amdhsa_uses_dynamic_stack 0
		.amdhsa_enable_private_segment 0
		.amdhsa_system_sgpr_workgroup_id_x 1
		.amdhsa_system_sgpr_workgroup_id_y 1
		.amdhsa_system_sgpr_workgroup_id_z 1
		.amdhsa_system_sgpr_workgroup_info 0
		.amdhsa_system_vgpr_workitem_id 1
		.amdhsa_next_free_vgpr 60
		.amdhsa_next_free_sgpr 25
		.amdhsa_reserve_vcc 1
		.amdhsa_float_round_mode_32 0
		.amdhsa_float_round_mode_16_64 0
		.amdhsa_float_denorm_mode_32 3
		.amdhsa_float_denorm_mode_16_64 3
		.amdhsa_dx10_clamp 1
		.amdhsa_ieee_mode 1
		.amdhsa_fp16_overflow 0
		.amdhsa_workgroup_processor_mode 1
		.amdhsa_memory_ordered 1
		.amdhsa_forward_progress 0
		.amdhsa_shared_vgpr_count 0
		.amdhsa_exception_fp_ieee_invalid_op 0
		.amdhsa_exception_fp_denorm_src 0
		.amdhsa_exception_fp_ieee_div_zero 0
		.amdhsa_exception_fp_ieee_overflow 0
		.amdhsa_exception_fp_ieee_underflow 0
		.amdhsa_exception_fp_ieee_inexact 0
		.amdhsa_exception_int_div_zero 0
	.end_amdhsa_kernel
	.section	.text._ZL34rocblas_syrkx_herkx_general_kernelIi19rocblas_complex_numIfELi16ELi32ELi8ELb0ELb1ELc67ELc76EKS1_S1_EviT_T0_PT8_S3_lS6_S3_lS4_PT9_S3_li,"axG",@progbits,_ZL34rocblas_syrkx_herkx_general_kernelIi19rocblas_complex_numIfELi16ELi32ELi8ELb0ELb1ELc67ELc76EKS1_S1_EviT_T0_PT8_S3_lS6_S3_lS4_PT9_S3_li,comdat
.Lfunc_end377:
	.size	_ZL34rocblas_syrkx_herkx_general_kernelIi19rocblas_complex_numIfELi16ELi32ELi8ELb0ELb1ELc67ELc76EKS1_S1_EviT_T0_PT8_S3_lS6_S3_lS4_PT9_S3_li, .Lfunc_end377-_ZL34rocblas_syrkx_herkx_general_kernelIi19rocblas_complex_numIfELi16ELi32ELi8ELb0ELb1ELc67ELc76EKS1_S1_EviT_T0_PT8_S3_lS6_S3_lS4_PT9_S3_li
                                        ; -- End function
	.section	.AMDGPU.csdata,"",@progbits
; Kernel info:
; codeLenInByte = 2772
; NumSgprs: 27
; NumVgprs: 60
; ScratchSize: 0
; MemoryBound: 1
; FloatMode: 240
; IeeeMode: 1
; LDSByteSize: 4096 bytes/workgroup (compile time only)
; SGPRBlocks: 3
; VGPRBlocks: 7
; NumSGPRsForWavesPerEU: 27
; NumVGPRsForWavesPerEU: 60
; Occupancy: 16
; WaveLimiterHint : 0
; COMPUTE_PGM_RSRC2:SCRATCH_EN: 0
; COMPUTE_PGM_RSRC2:USER_SGPR: 13
; COMPUTE_PGM_RSRC2:TRAP_HANDLER: 0
; COMPUTE_PGM_RSRC2:TGID_X_EN: 1
; COMPUTE_PGM_RSRC2:TGID_Y_EN: 1
; COMPUTE_PGM_RSRC2:TGID_Z_EN: 1
; COMPUTE_PGM_RSRC2:TIDIG_COMP_CNT: 1
	.section	.text._ZL34rocblas_syrkx_herkx_general_kernelIi19rocblas_complex_numIfELi16ELi32ELi8ELb0ELb1ELc78ELc76EKS1_S1_EviT_T0_PT8_S3_lS6_S3_lS4_PT9_S3_li,"axG",@progbits,_ZL34rocblas_syrkx_herkx_general_kernelIi19rocblas_complex_numIfELi16ELi32ELi8ELb0ELb1ELc78ELc76EKS1_S1_EviT_T0_PT8_S3_lS6_S3_lS4_PT9_S3_li,comdat
	.globl	_ZL34rocblas_syrkx_herkx_general_kernelIi19rocblas_complex_numIfELi16ELi32ELi8ELb0ELb1ELc78ELc76EKS1_S1_EviT_T0_PT8_S3_lS6_S3_lS4_PT9_S3_li ; -- Begin function _ZL34rocblas_syrkx_herkx_general_kernelIi19rocblas_complex_numIfELi16ELi32ELi8ELb0ELb1ELc78ELc76EKS1_S1_EviT_T0_PT8_S3_lS6_S3_lS4_PT9_S3_li
	.p2align	8
	.type	_ZL34rocblas_syrkx_herkx_general_kernelIi19rocblas_complex_numIfELi16ELi32ELi8ELb0ELb1ELc78ELc76EKS1_S1_EviT_T0_PT8_S3_lS6_S3_lS4_PT9_S3_li,@function
_ZL34rocblas_syrkx_herkx_general_kernelIi19rocblas_complex_numIfELi16ELi32ELi8ELb0ELb1ELc78ELc76EKS1_S1_EviT_T0_PT8_S3_lS6_S3_lS4_PT9_S3_li: ; @_ZL34rocblas_syrkx_herkx_general_kernelIi19rocblas_complex_numIfELi16ELi32ELi8ELb0ELb1ELc78ELc76EKS1_S1_EviT_T0_PT8_S3_lS6_S3_lS4_PT9_S3_li
; %bb.0:
	s_clause 0x3
	s_load_b64 s[20:21], s[0:1], 0x0
	s_load_b128 s[8:11], s[0:1], 0x8
	s_load_b128 s[4:7], s[0:1], 0x38
	s_load_b64 s[22:23], s[0:1], 0x48
	v_dual_mov_b32 v21, 0 :: v_dual_and_b32 v6, 0x3ff, v0
	v_bfe_u32 v7, v0, 10, 10
	v_dual_mov_b32 v22, 0 :: v_dual_mov_b32 v19, 0
	v_dual_mov_b32 v20, 0 :: v_dual_mov_b32 v17, 0
	;; [unrolled: 1-line block ×3, first 2 shown]
	v_mov_b32_e32 v16, 0
	s_lshl_b32 s26, s13, 5
	s_lshl_b32 s14, s14, 5
	s_mov_b32 s27, 0
	s_waitcnt lgkmcnt(0)
	s_cmp_lt_i32 s21, 1
	s_cbranch_scc1 .LBB378_11
; %bb.1:
	s_load_b32 s24, s[0:1], 0x18
	v_lshl_add_u32 v0, v7, 4, v6
	s_clause 0x1
	s_load_b128 s[16:19], s[0:1], 0x20
	s_load_b32 s12, s[0:1], 0x30
	v_and_b32_e32 v8, 7, v6
	v_lshlrev_b32_e32 v9, 3, v6
	v_lshl_add_u32 v10, v7, 6, 0x800
	v_and_b32_e32 v1, 31, v0
	v_lshrrev_b32_e32 v2, 3, v0
	v_lshlrev_b32_e32 v3, 3, v8
	v_lshrrev_b32_e32 v11, 5, v0
	v_mov_b32_e32 v18, 0
	v_or_b32_e32 v4, s26, v1
	v_lshlrev_b32_e32 v5, 3, v1
	v_lshl_or_b32 v13, v2, 6, v3
	v_add_nc_u32_e32 v0, s14, v2
	v_mov_b32_e32 v20, 0
	v_cmp_gt_i32_e32 vcc_lo, s20, v4
	v_lshl_or_b32 v12, v11, 8, v5
	v_dual_mov_b32 v22, 0 :: v_dual_add_nc_u32 v13, 0x800, v13
	v_mov_b32_e32 v21, 0
	s_waitcnt lgkmcnt(0)
	v_mad_i64_i32 v[3:4], null, v11, s24, 0
	s_mul_i32 s3, s17, s15
	s_mul_hi_u32 s17, s16, s15
	v_mad_i64_i32 v[14:15], null, s12, v8, 0
	s_mul_i32 s16, s16, s15
	s_add_i32 s17, s17, s3
	s_delay_alu instid0(VALU_DEP_2) | instskip(SKIP_4) | instid1(VALU_DEP_2)
	v_lshlrev_b64 v[3:4], 3, v[3:4]
	s_lshl_b64 s[16:17], s[16:17], 3
	s_ashr_i32 s25, s24, 31
	s_ashr_i32 s13, s12, 31
	v_mov_b32_e32 v19, 0
	v_add_co_u32 v16, s3, v3, s16
	s_delay_alu instid0(VALU_DEP_1)
	v_add_co_ci_u32_e64 v17, s3, s17, v4, s3
	v_lshlrev_b64 v[4:5], 3, v[14:15]
	v_mov_b32_e32 v14, 0
	v_add_nc_u32_e32 v2, s26, v1
	s_mul_i32 s3, s5, s15
	s_mul_hi_u32 s5, s4, s15
	s_mul_i32 s4, s4, s15
	s_add_i32 s5, s5, s3
	v_ashrrev_i32_e32 v3, 31, v2
	s_lshl_b64 s[4:5], s[4:5], 3
	v_mov_b32_e32 v15, 0
	v_add_co_u32 v4, s3, s4, v4
	s_delay_alu instid0(VALU_DEP_3) | instskip(SKIP_2) | instid1(VALU_DEP_2)
	v_lshlrev_b64 v[2:3], 3, v[2:3]
	v_add_co_ci_u32_e64 v5, s3, s5, v5, s3
	s_lshl_b64 s[4:5], s[24:25], 6
	v_add_co_u32 v2, s3, v16, v2
	s_delay_alu instid0(VALU_DEP_1) | instskip(SKIP_4) | instid1(VALU_DEP_3)
	v_add_co_ci_u32_e64 v3, s3, v17, v3, s3
	v_mov_b32_e32 v17, 0
	v_ashrrev_i32_e32 v1, 31, v0
	v_cmp_gt_i32_e64 s2, s20, v0
	v_mov_b32_e32 v16, 0
	v_lshlrev_b64 v[0:1], 3, v[0:1]
	s_delay_alu instid0(VALU_DEP_3) | instskip(NEXT) | instid1(VALU_DEP_1)
	s_xor_b32 s2, s2, -1
	v_add_co_u32 v4, s3, v4, v0
	s_delay_alu instid0(VALU_DEP_1) | instskip(SKIP_1) | instid1(VALU_DEP_1)
	v_add_co_ci_u32_e64 v5, s3, v5, v1, s3
	v_add_co_u32 v0, s3, s10, v2
	v_add_co_ci_u32_e64 v1, s3, s11, v3, s3
	s_delay_alu instid0(VALU_DEP_4) | instskip(NEXT) | instid1(VALU_DEP_1)
	v_add_co_u32 v2, s3, v4, s18
	v_add_co_ci_u32_e64 v3, s3, s19, v5, s3
	v_mov_b32_e32 v4, 0
	s_delay_alu instid0(VALU_DEP_3) | instskip(NEXT) | instid1(VALU_DEP_1)
	v_add_co_u32 v2, s3, v2, 4
	v_add_co_ci_u32_e64 v3, s3, 0, v3, s3
	s_lshl_b64 s[10:11], s[12:13], 6
	s_xor_b32 s3, vcc_lo, -1
	s_branch .LBB378_3
.LBB378_2:                              ;   in Loop: Header=BB378_3 Depth=1
	s_or_b32 exec_lo, exec_lo, s12
	ds_store_b32 v13, v5 offset:4
	s_waitcnt lgkmcnt(0)
	s_barrier
	buffer_gl0_inv
	ds_load_2addr_b64 v[23:26], v9 offset1:16
	ds_load_b128 v[27:30], v10
	ds_load_b128 v[31:34], v10 offset:1024
	ds_load_b128 v[35:38], v10 offset:16
	;; [unrolled: 1-line block ×4, first 2 shown]
	ds_load_2addr_b64 v[47:50], v9 offset0:32 offset1:48
	ds_load_b128 v[51:54], v10 offset:1040
	v_add_co_u32 v0, vcc_lo, v0, s4
	v_add_co_ci_u32_e32 v1, vcc_lo, s5, v1, vcc_lo
	v_add_co_u32 v2, vcc_lo, v2, s10
	v_add_co_ci_u32_e32 v3, vcc_lo, s11, v3, vcc_lo
	s_add_i32 s27, s27, 8
	s_delay_alu instid0(SALU_CYCLE_1)
	s_cmp_ge_i32 s27, s21
	s_waitcnt lgkmcnt(6)
	v_mul_f32_e32 v5, v28, v24
	v_dual_mul_f32 v55, v27, v24 :: v_dual_mul_f32 v56, v28, v26
	s_waitcnt lgkmcnt(5)
	v_dual_mul_f32 v57, v27, v26 :: v_dual_mul_f32 v58, v32, v24
	v_dual_mul_f32 v24, v31, v24 :: v_dual_mul_f32 v59, v32, v26
	v_mul_f32_e32 v26, v31, v26
	v_fma_f32 v5, v27, v23, -v5
	v_fmac_f32_e32 v55, v28, v23
	v_fma_f32 v27, v27, v25, -v56
	v_fmac_f32_e32 v57, v28, v25
	v_fma_f32 v28, v31, v23, -v58
	v_dual_fmac_f32 v24, v32, v23 :: v_dual_add_f32 v5, v21, v5
	v_fma_f32 v23, v31, v25, -v59
	v_fmac_f32_e32 v26, v32, v25
	s_delay_alu instid0(VALU_DEP_4)
	v_dual_add_f32 v28, v17, v28 :: v_dual_add_f32 v21, v22, v55
	v_dual_add_f32 v22, v19, v27 :: v_dual_add_f32 v27, v20, v57
	v_add_f32_e32 v24, v18, v24
	ds_load_2addr_b64 v[17:20], v9 offset0:64 offset1:80
	s_waitcnt lgkmcnt(2)
	v_dual_mul_f32 v31, v30, v48 :: v_dual_add_f32 v16, v16, v26
	v_dual_add_f32 v15, v15, v23 :: v_dual_mul_f32 v26, v29, v50
	v_mul_f32_e32 v23, v29, v48
	s_delay_alu instid0(VALU_DEP_3) | instskip(SKIP_1) | instid1(VALU_DEP_4)
	v_fma_f32 v25, v29, v47, -v31
	v_mul_f32_e32 v31, v30, v50
	v_fmac_f32_e32 v26, v30, v49
	s_delay_alu instid0(VALU_DEP_4) | instskip(NEXT) | instid1(VALU_DEP_2)
	v_fmac_f32_e32 v23, v30, v47
	v_dual_add_f32 v5, v5, v25 :: v_dual_add_f32 v26, v27, v26
	v_mul_f32_e32 v27, v33, v50
	s_waitcnt lgkmcnt(0)
	s_delay_alu instid0(VALU_DEP_1) | instskip(NEXT) | instid1(VALU_DEP_1)
	v_dual_fmac_f32 v27, v34, v49 :: v_dual_mul_f32 v30, v35, v18
	v_add_f32_e32 v27, v16, v27
	s_delay_alu instid0(VALU_DEP_2) | instskip(SKIP_4) | instid1(VALU_DEP_3)
	v_fmac_f32_e32 v30, v36, v17
	v_fma_f32 v25, v29, v49, -v31
	v_dual_add_f32 v31, v21, v23 :: v_dual_mul_f32 v16, v35, v20
	v_mul_f32_e32 v29, v34, v48
	v_mul_f32_e32 v23, v34, v50
	v_dual_add_f32 v25, v22, v25 :: v_dual_add_f32 v30, v31, v30
	s_delay_alu instid0(VALU_DEP_4) | instskip(NEXT) | instid1(VALU_DEP_4)
	v_fmac_f32_e32 v16, v36, v19
	v_fma_f32 v22, v33, v47, -v29
	v_mul_f32_e32 v21, v33, v48
	v_mul_f32_e32 v31, v52, v18
	s_delay_alu instid0(VALU_DEP_3) | instskip(SKIP_1) | instid1(VALU_DEP_3)
	v_add_f32_e32 v28, v28, v22
	v_fma_f32 v22, v33, v49, -v23
	v_fma_f32 v31, v51, v17, -v31
	s_delay_alu instid0(VALU_DEP_2) | instskip(SKIP_2) | instid1(VALU_DEP_2)
	v_add_f32_e32 v15, v15, v22
	v_mul_f32_e32 v23, v36, v18
	v_dual_mul_f32 v18, v51, v18 :: v_dual_fmac_f32 v21, v34, v47
	v_fma_f32 v32, v35, v17, -v23
	s_delay_alu instid0(VALU_DEP_2) | instskip(NEXT) | instid1(VALU_DEP_3)
	v_fmac_f32_e32 v18, v52, v17
	v_add_f32_e32 v29, v24, v21
	ds_load_2addr_b64 v[21:24], v9 offset0:96 offset1:112
	v_mul_f32_e32 v33, v36, v20
	v_add_f32_e32 v5, v5, v32
	v_add_f32_e32 v31, v28, v31
	s_delay_alu instid0(VALU_DEP_3) | instskip(NEXT) | instid1(VALU_DEP_1)
	v_fma_f32 v32, v35, v19, -v33
	v_add_f32_e32 v25, v25, v32
	v_mul_f32_e32 v32, v52, v20
	v_mul_f32_e32 v20, v51, v20
	s_delay_alu instid0(VALU_DEP_1) | instskip(SKIP_2) | instid1(VALU_DEP_2)
	v_fmac_f32_e32 v20, v52, v19
	s_waitcnt lgkmcnt(0)
	v_mul_f32_e32 v28, v38, v24
	v_add_f32_e32 v34, v27, v20
	v_mul_f32_e32 v20, v37, v24
	s_delay_alu instid0(VALU_DEP_3)
	v_fma_f32 v27, v37, v23, -v28
	v_add_f32_e32 v33, v26, v16
	v_fma_f32 v16, v51, v19, -v32
	v_mul_f32_e32 v26, v37, v22
	v_add_f32_e32 v29, v29, v18
	v_mul_f32_e32 v19, v38, v22
	v_fmac_f32_e32 v20, v38, v23
	v_add_f32_e32 v32, v15, v16
	ds_load_2addr_b64 v[15:18], v9 offset0:128 offset1:144
	v_fmac_f32_e32 v26, v38, v21
	s_delay_alu instid0(VALU_DEP_1) | instskip(SKIP_3) | instid1(VALU_DEP_2)
	v_add_f32_e32 v35, v30, v26
	v_mul_f32_e32 v30, v54, v24
	v_mul_f32_e32 v24, v53, v24
	v_fma_f32 v19, v37, v21, -v19
	v_fmac_f32_e32 v24, v54, v23
	s_delay_alu instid0(VALU_DEP_1) | instskip(SKIP_2) | instid1(VALU_DEP_1)
	v_dual_add_f32 v5, v5, v19 :: v_dual_add_f32 v24, v34, v24
	s_waitcnt lgkmcnt(0)
	v_mul_f32_e32 v34, v39, v18
	v_dual_mul_f32 v19, v54, v22 :: v_dual_fmac_f32 v34, v40, v17
	s_delay_alu instid0(VALU_DEP_1) | instskip(NEXT) | instid1(VALU_DEP_1)
	v_fma_f32 v19, v53, v21, -v19
	v_dual_mul_f32 v22, v53, v22 :: v_dual_add_f32 v37, v31, v19
	s_delay_alu instid0(VALU_DEP_1)
	v_fmac_f32_e32 v22, v54, v21
	v_add_f32_e32 v36, v25, v27
	ds_load_b128 v[25:28], v10 offset:1056
	v_add_f32_e32 v33, v33, v20
	v_fma_f32 v20, v53, v23, -v30
	v_dual_mul_f32 v19, v40, v16 :: v_dual_add_f32 v38, v29, v22
	v_dual_mul_f32 v47, v39, v16 :: v_dual_mul_f32 v30, v40, v18
	s_delay_alu instid0(VALU_DEP_3) | instskip(NEXT) | instid1(VALU_DEP_3)
	v_add_f32_e32 v23, v32, v20
	v_fma_f32 v29, v39, v15, -v19
	ds_load_2addr_b64 v[19:22], v9 offset0:160 offset1:176
	v_fmac_f32_e32 v47, v40, v15
	v_fma_f32 v39, v39, v17, -v30
	v_add_f32_e32 v5, v5, v29
	ds_load_b128 v[29:32], v10 offset:1072
	v_add_f32_e32 v36, v36, v39
	s_waitcnt lgkmcnt(2)
	v_mul_f32_e32 v48, v26, v16
	v_mul_f32_e32 v16, v25, v16
	v_dual_mul_f32 v40, v26, v18 :: v_dual_add_f32 v35, v35, v47
	v_add_f32_e32 v33, v33, v34
	s_delay_alu instid0(VALU_DEP_4) | instskip(NEXT) | instid1(VALU_DEP_4)
	v_fma_f32 v39, v25, v15, -v48
	v_fmac_f32_e32 v16, v26, v15
	v_mul_f32_e32 v34, v25, v18
	v_fma_f32 v15, v25, v17, -v40
	s_waitcnt lgkmcnt(1)
	v_dual_mul_f32 v18, v42, v20 :: v_dual_add_f32 v37, v37, v39
	v_mul_f32_e32 v39, v42, v22
	v_fmac_f32_e32 v34, v26, v17
	v_add_f32_e32 v25, v38, v16
	v_add_f32_e32 v23, v23, v15
	v_fma_f32 v38, v41, v19, -v18
	v_mul_f32_e32 v26, v41, v20
	ds_load_2addr_b64 v[15:18], v9 offset0:192 offset1:208
	v_add_f32_e32 v5, v5, v38
	v_add_f32_e32 v34, v24, v34
	v_mul_f32_e32 v24, v41, v22
	v_fma_f32 v38, v41, v21, -v39
	s_delay_alu instid0(VALU_DEP_2) | instskip(SKIP_1) | instid1(VALU_DEP_3)
	v_fmac_f32_e32 v24, v42, v21
	v_fmac_f32_e32 v26, v42, v19
	v_add_f32_e32 v36, v36, v38
	s_delay_alu instid0(VALU_DEP_2) | instskip(NEXT) | instid1(VALU_DEP_1)
	v_dual_add_f32 v35, v35, v26 :: v_dual_mul_f32 v26, v28, v20
	v_fma_f32 v26, v27, v19, -v26
	v_mul_f32_e32 v20, v27, v20
	s_delay_alu instid0(VALU_DEP_1) | instskip(SKIP_2) | instid1(VALU_DEP_1)
	v_dual_fmac_f32 v20, v28, v19 :: v_dual_add_f32 v19, v33, v24
	s_waitcnt lgkmcnt(0)
	v_mul_f32_e32 v33, v44, v16
	v_fma_f32 v33, v43, v15, -v33
	v_mul_f32_e32 v38, v28, v22
	s_delay_alu instid0(VALU_DEP_2) | instskip(NEXT) | instid1(VALU_DEP_2)
	v_dual_mul_f32 v22, v27, v22 :: v_dual_add_f32 v5, v5, v33
	v_fma_f32 v24, v27, v21, -v38
	v_add_f32_e32 v27, v37, v26
	v_mul_f32_e32 v37, v43, v18
	v_mul_f32_e32 v33, v30, v16
	s_delay_alu instid0(VALU_DEP_2)
	v_dual_add_f32 v20, v25, v20 :: v_dual_fmac_f32 v37, v44, v17
	v_dual_fmac_f32 v22, v28, v21 :: v_dual_add_f32 v21, v23, v24
	ds_load_2addr_b64 v[23:26], v9 offset0:224 offset1:240
	v_mul_f32_e32 v28, v43, v16
	v_mul_f32_e32 v16, v29, v16
	v_fma_f32 v33, v29, v15, -v33
	s_waitcnt lgkmcnt(0)
	s_barrier
	v_fmac_f32_e32 v28, v44, v15
	s_delay_alu instid0(VALU_DEP_2)
	v_dual_fmac_f32 v16, v30, v15 :: v_dual_add_f32 v15, v27, v33
	buffer_gl0_inv
	v_dual_add_f32 v28, v35, v28 :: v_dual_mul_f32 v35, v30, v18
	v_mul_f32_e32 v27, v46, v24
	v_add_f32_e32 v22, v34, v22
	v_mul_f32_e32 v34, v44, v18
	s_delay_alu instid0(VALU_DEP_1) | instskip(NEXT) | instid1(VALU_DEP_1)
	v_fma_f32 v34, v43, v17, -v34
	v_add_f32_e32 v34, v36, v34
	v_add_f32_e32 v36, v19, v37
	v_mul_f32_e32 v18, v29, v18
	v_fma_f32 v19, v29, v17, -v35
	s_delay_alu instid0(VALU_DEP_2) | instskip(NEXT) | instid1(VALU_DEP_2)
	v_dual_mul_f32 v29, v45, v24 :: v_dual_fmac_f32 v18, v30, v17
	v_add_f32_e32 v30, v21, v19
	v_fma_f32 v17, v45, v23, -v27
	v_mul_f32_e32 v19, v46, v26
	s_delay_alu instid0(VALU_DEP_4) | instskip(SKIP_1) | instid1(VALU_DEP_4)
	v_fmac_f32_e32 v29, v46, v23
	v_dual_add_f32 v27, v22, v18 :: v_dual_mul_f32 v18, v31, v24
	v_add_f32_e32 v21, v5, v17
	s_delay_alu instid0(VALU_DEP_4)
	v_fma_f32 v5, v45, v25, -v19
	v_mul_f32_e32 v17, v32, v24
	v_mul_f32_e32 v24, v32, v26
	v_fmac_f32_e32 v18, v32, v23
	v_add_f32_e32 v22, v28, v29
	v_add_f32_e32 v19, v34, v5
	v_fma_f32 v5, v31, v23, -v17
	v_fma_f32 v23, v31, v25, -v24
	v_add_f32_e32 v16, v20, v16
	v_mul_f32_e32 v20, v45, v26
	v_mul_f32_e32 v26, v31, v26
	v_add_f32_e32 v17, v15, v5
	s_delay_alu instid0(VALU_DEP_4) | instskip(NEXT) | instid1(VALU_DEP_4)
	v_dual_add_f32 v15, v30, v23 :: v_dual_add_f32 v18, v16, v18
	v_fmac_f32_e32 v20, v46, v25
	s_delay_alu instid0(VALU_DEP_4) | instskip(NEXT) | instid1(VALU_DEP_2)
	v_fmac_f32_e32 v26, v32, v25
	v_add_f32_e32 v20, v36, v20
	s_delay_alu instid0(VALU_DEP_2)
	v_add_f32_e32 v16, v27, v26
	s_cbranch_scc1 .LBB378_11
.LBB378_3:                              ; =>This Inner Loop Header: Depth=1
	v_add_nc_u32_e32 v5, s27, v11
	s_delay_alu instid0(VALU_DEP_1) | instskip(SKIP_1) | instid1(SALU_CYCLE_1)
	v_cmp_le_i32_e32 vcc_lo, s21, v5
	s_or_b32 s12, s3, vcc_lo
	s_and_saveexec_b32 s13, s12
	s_delay_alu instid0(SALU_CYCLE_1)
	s_xor_b32 s12, exec_lo, s13
	s_cbranch_execz .LBB378_5
; %bb.4:                                ;   in Loop: Header=BB378_3 Depth=1
	v_mov_b32_e32 v5, v4
	ds_store_b64 v12, v[4:5]
.LBB378_5:                              ;   in Loop: Header=BB378_3 Depth=1
	s_and_not1_saveexec_b32 s12, s12
	s_cbranch_execz .LBB378_7
; %bb.6:                                ;   in Loop: Header=BB378_3 Depth=1
	global_load_b64 v[23:24], v[0:1], off
	s_waitcnt vmcnt(0)
	ds_store_b64 v12, v[23:24]
.LBB378_7:                              ;   in Loop: Header=BB378_3 Depth=1
	s_or_b32 exec_lo, exec_lo, s12
	v_add_nc_u32_e32 v5, s27, v8
                                        ; implicit-def: $sgpr13
	s_delay_alu instid0(VALU_DEP_1) | instskip(SKIP_1) | instid1(SALU_CYCLE_1)
	v_cmp_le_i32_e32 vcc_lo, s21, v5
	s_or_b32 s12, vcc_lo, s2
	s_and_saveexec_b32 s16, s12
	s_delay_alu instid0(SALU_CYCLE_1)
	s_xor_b32 s12, exec_lo, s16
	s_cbranch_execz .LBB378_9
; %bb.8:                                ;   in Loop: Header=BB378_3 Depth=1
	s_mov_b32 s13, 0
	ds_store_b32 v13, v14
.LBB378_9:                              ;   in Loop: Header=BB378_3 Depth=1
	s_or_saveexec_b32 s12, s12
	v_mov_b32_e32 v5, s13
	s_xor_b32 exec_lo, exec_lo, s12
	s_cbranch_execz .LBB378_2
; %bb.10:                               ;   in Loop: Header=BB378_3 Depth=1
	global_load_b64 v[23:24], v[2:3], off offset:-4
	s_waitcnt vmcnt(0)
	v_xor_b32_e32 v5, 0x80000000, v24
	ds_store_b32 v13, v23
	s_branch .LBB378_2
.LBB378_11:
	s_clause 0x1
	s_load_b32 s2, s[0:1], 0x50
	s_load_b64 s[4:5], s[0:1], 0x58
	v_add_nc_u32_e32 v5, s14, v7
	v_add_nc_u32_e32 v0, s26, v6
	s_delay_alu instid0(VALU_DEP_1)
	v_cmp_le_i32_e64 s0, v5, v0
	v_cmp_gt_i32_e32 vcc_lo, s20, v0
	s_waitcnt lgkmcnt(0)
	v_mad_i64_i32 v[1:2], null, v5, s2, 0
	s_mul_i32 s1, s15, s5
	s_mul_hi_u32 s3, s15, s4
	s_mul_i32 s4, s15, s4
	s_add_i32 s5, s3, s1
	s_delay_alu instid0(SALU_CYCLE_1) | instskip(NEXT) | instid1(VALU_DEP_1)
	s_lshl_b64 s[4:5], s[4:5], 3
	v_lshlrev_b64 v[1:2], 3, v[1:2]
	s_add_u32 s3, s22, s4
	s_addc_u32 s4, s23, s5
	s_and_b32 s0, s0, vcc_lo
	s_delay_alu instid0(VALU_DEP_1) | instskip(NEXT) | instid1(VALU_DEP_1)
	v_add_co_u32 v4, s1, s3, v1
	v_add_co_ci_u32_e64 v6, s1, s4, v2, s1
	s_and_saveexec_b32 s1, s0
	s_cbranch_execz .LBB378_14
; %bb.12:
	v_ashrrev_i32_e32 v1, 31, v0
	s_delay_alu instid0(VALU_DEP_1) | instskip(NEXT) | instid1(VALU_DEP_1)
	v_lshlrev_b64 v[1:2], 3, v[0:1]
	v_add_co_u32 v1, s0, v4, v1
	s_delay_alu instid0(VALU_DEP_1)
	v_add_co_ci_u32_e64 v2, s0, v6, v2, s0
	v_cmp_eq_u32_e64 s0, v5, v0
	global_load_b64 v[7:8], v[1:2], off
	v_mul_f32_e32 v3, s9, v22
	s_waitcnt vmcnt(0)
	v_dual_mul_f32 v9, s8, v22 :: v_dual_mul_f32 v10, s7, v8
	v_mul_f32_e32 v8, s6, v8
	s_delay_alu instid0(VALU_DEP_3) | instskip(NEXT) | instid1(VALU_DEP_3)
	v_fma_f32 v3, v21, s8, -v3
	v_fmac_f32_e32 v9, s9, v21
	s_delay_alu instid0(VALU_DEP_4) | instskip(NEXT) | instid1(VALU_DEP_1)
	v_fma_f32 v10, v7, s6, -v10
	v_dual_fmac_f32 v8, s7, v7 :: v_dual_add_f32 v7, v3, v10
	s_delay_alu instid0(VALU_DEP_1)
	v_add_f32_e32 v8, v9, v8
	global_store_b64 v[1:2], v[7:8], off
	s_and_b32 exec_lo, exec_lo, s0
	s_cbranch_execz .LBB378_14
; %bb.13:
	v_mov_b32_e32 v3, 0
	global_store_b32 v[1:2], v3, off offset:4
.LBB378_14:
	s_or_b32 exec_lo, exec_lo, s1
	v_add_nc_u32_e32 v2, 16, v0
	s_delay_alu instid0(VALU_DEP_1) | instskip(SKIP_1) | instid1(VALU_DEP_1)
	v_cmp_le_i32_e64 s1, v5, v2
	v_cmp_gt_i32_e64 s0, s20, v2
	s_and_b32 s1, s1, s0
	s_delay_alu instid0(SALU_CYCLE_1)
	s_and_saveexec_b32 s5, s1
	s_cbranch_execz .LBB378_17
; %bb.15:
	v_ashrrev_i32_e32 v3, 31, v2
	s_delay_alu instid0(VALU_DEP_1) | instskip(NEXT) | instid1(VALU_DEP_1)
	v_lshlrev_b64 v[7:8], 3, v[2:3]
	v_add_co_u32 v3, s1, v4, v7
	s_delay_alu instid0(VALU_DEP_1) | instskip(SKIP_4) | instid1(VALU_DEP_1)
	v_add_co_ci_u32_e64 v4, s1, v6, v8, s1
	v_cmp_eq_u32_e64 s1, v5, v2
	global_load_b64 v[6:7], v[3:4], off
	s_waitcnt vmcnt(0)
	v_dual_mul_f32 v8, s8, v20 :: v_dual_mul_f32 v9, s7, v7
	v_dual_mul_f32 v1, s9, v20 :: v_dual_fmac_f32 v8, s9, v19
	s_delay_alu instid0(VALU_DEP_2) | instskip(NEXT) | instid1(VALU_DEP_2)
	v_fma_f32 v9, v6, s6, -v9
	v_fma_f32 v1, v19, s8, -v1
	v_mul_f32_e32 v7, s6, v7
	s_delay_alu instid0(VALU_DEP_1) | instskip(NEXT) | instid1(VALU_DEP_1)
	v_dual_fmac_f32 v7, s7, v6 :: v_dual_add_f32 v6, v1, v9
	v_add_f32_e32 v7, v8, v7
	global_store_b64 v[3:4], v[6:7], off
	s_and_b32 exec_lo, exec_lo, s1
	s_cbranch_execz .LBB378_17
; %bb.16:
	v_mov_b32_e32 v1, 0
	global_store_b32 v[3:4], v1, off offset:4
.LBB378_17:
	s_or_b32 exec_lo, exec_lo, s5
	v_add_nc_u32_e32 v8, 16, v5
	s_delay_alu instid0(VALU_DEP_1) | instskip(SKIP_1) | instid1(VALU_DEP_2)
	v_mad_i64_i32 v[3:4], null, v8, s2, 0
	v_cmp_le_i32_e64 s1, v8, v0
	v_lshlrev_b64 v[3:4], 3, v[3:4]
	s_delay_alu instid0(VALU_DEP_1) | instskip(NEXT) | instid1(VALU_DEP_1)
	v_add_co_u32 v6, s2, s3, v3
	v_add_co_ci_u32_e64 v7, s2, s4, v4, s2
	s_delay_alu instid0(VALU_DEP_4) | instskip(NEXT) | instid1(SALU_CYCLE_1)
	s_and_b32 s2, s1, vcc_lo
	s_and_saveexec_b32 s1, s2
	s_cbranch_execz .LBB378_20
; %bb.18:
	v_ashrrev_i32_e32 v1, 31, v0
	v_mul_f32_e32 v11, s8, v18
	s_delay_alu instid0(VALU_DEP_2) | instskip(NEXT) | instid1(VALU_DEP_2)
	v_lshlrev_b64 v[3:4], 3, v[0:1]
	v_fmac_f32_e32 v11, s9, v17
	s_delay_alu instid0(VALU_DEP_2) | instskip(NEXT) | instid1(VALU_DEP_3)
	v_add_co_u32 v3, vcc_lo, v6, v3
	v_add_co_ci_u32_e32 v4, vcc_lo, v7, v4, vcc_lo
	v_cmp_eq_u32_e32 vcc_lo, v8, v0
	global_load_b64 v[9:10], v[3:4], off
	s_waitcnt vmcnt(0)
	v_mul_f32_e32 v12, s7, v10
	s_delay_alu instid0(VALU_DEP_1) | instskip(SKIP_1) | instid1(VALU_DEP_1)
	v_fma_f32 v12, v9, s6, -v12
	v_mul_f32_e32 v10, s6, v10
	v_dual_mul_f32 v1, s9, v18 :: v_dual_fmac_f32 v10, s7, v9
	s_delay_alu instid0(VALU_DEP_1) | instskip(NEXT) | instid1(VALU_DEP_1)
	v_fma_f32 v1, v17, s8, -v1
	v_dual_add_f32 v10, v11, v10 :: v_dual_add_f32 v9, v1, v12
	global_store_b64 v[3:4], v[9:10], off
	s_and_b32 exec_lo, exec_lo, vcc_lo
	s_cbranch_execz .LBB378_20
; %bb.19:
	v_mov_b32_e32 v1, 0
	global_store_b32 v[3:4], v1, off offset:4
.LBB378_20:
	s_or_b32 exec_lo, exec_lo, s1
	v_cmp_le_i32_e32 vcc_lo, v8, v2
	s_and_b32 s0, vcc_lo, s0
	s_delay_alu instid0(SALU_CYCLE_1)
	s_and_saveexec_b32 s1, s0
	s_cbranch_execz .LBB378_23
; %bb.21:
	v_ashrrev_i32_e32 v3, 31, v2
	s_delay_alu instid0(VALU_DEP_1) | instskip(NEXT) | instid1(VALU_DEP_1)
	v_lshlrev_b64 v[1:2], 3, v[2:3]
	v_add_co_u32 v1, vcc_lo, v6, v1
	s_delay_alu instid0(VALU_DEP_2)
	v_add_co_ci_u32_e32 v2, vcc_lo, v7, v2, vcc_lo
	v_cmp_eq_u32_e32 vcc_lo, v5, v0
	global_load_b64 v[3:4], v[1:2], off
	s_waitcnt vmcnt(0)
	v_mul_f32_e32 v8, s7, v4
	v_mul_f32_e32 v4, s6, v4
	;; [unrolled: 1-line block ×3, first 2 shown]
	s_delay_alu instid0(VALU_DEP_3) | instskip(NEXT) | instid1(VALU_DEP_3)
	v_fma_f32 v8, v3, s6, -v8
	v_fmac_f32_e32 v4, s7, v3
	s_delay_alu instid0(VALU_DEP_3) | instskip(NEXT) | instid1(VALU_DEP_1)
	v_dual_mul_f32 v6, s9, v16 :: v_dual_fmac_f32 v7, s9, v15
	v_fma_f32 v6, v15, s8, -v6
	s_delay_alu instid0(VALU_DEP_2) | instskip(NEXT) | instid1(VALU_DEP_2)
	v_add_f32_e32 v4, v7, v4
	v_add_f32_e32 v3, v6, v8
	global_store_b64 v[1:2], v[3:4], off
	s_and_b32 exec_lo, exec_lo, vcc_lo
	s_cbranch_execz .LBB378_23
; %bb.22:
	v_mov_b32_e32 v0, 0
	global_store_b32 v[1:2], v0, off offset:4
.LBB378_23:
	s_nop 0
	s_sendmsg sendmsg(MSG_DEALLOC_VGPRS)
	s_endpgm
	.section	.rodata,"a",@progbits
	.p2align	6, 0x0
	.amdhsa_kernel _ZL34rocblas_syrkx_herkx_general_kernelIi19rocblas_complex_numIfELi16ELi32ELi8ELb0ELb1ELc78ELc76EKS1_S1_EviT_T0_PT8_S3_lS6_S3_lS4_PT9_S3_li
		.amdhsa_group_segment_fixed_size 4096
		.amdhsa_private_segment_fixed_size 0
		.amdhsa_kernarg_size 100
		.amdhsa_user_sgpr_count 13
		.amdhsa_user_sgpr_dispatch_ptr 0
		.amdhsa_user_sgpr_queue_ptr 0
		.amdhsa_user_sgpr_kernarg_segment_ptr 1
		.amdhsa_user_sgpr_dispatch_id 0
		.amdhsa_user_sgpr_private_segment_size 0
		.amdhsa_wavefront_size32 1
		.amdhsa_uses_dynamic_stack 0
		.amdhsa_enable_private_segment 0
		.amdhsa_system_sgpr_workgroup_id_x 1
		.amdhsa_system_sgpr_workgroup_id_y 1
		.amdhsa_system_sgpr_workgroup_id_z 1
		.amdhsa_system_sgpr_workgroup_info 0
		.amdhsa_system_vgpr_workitem_id 1
		.amdhsa_next_free_vgpr 60
		.amdhsa_next_free_sgpr 28
		.amdhsa_reserve_vcc 1
		.amdhsa_float_round_mode_32 0
		.amdhsa_float_round_mode_16_64 0
		.amdhsa_float_denorm_mode_32 3
		.amdhsa_float_denorm_mode_16_64 3
		.amdhsa_dx10_clamp 1
		.amdhsa_ieee_mode 1
		.amdhsa_fp16_overflow 0
		.amdhsa_workgroup_processor_mode 1
		.amdhsa_memory_ordered 1
		.amdhsa_forward_progress 0
		.amdhsa_shared_vgpr_count 0
		.amdhsa_exception_fp_ieee_invalid_op 0
		.amdhsa_exception_fp_denorm_src 0
		.amdhsa_exception_fp_ieee_div_zero 0
		.amdhsa_exception_fp_ieee_overflow 0
		.amdhsa_exception_fp_ieee_underflow 0
		.amdhsa_exception_fp_ieee_inexact 0
		.amdhsa_exception_int_div_zero 0
	.end_amdhsa_kernel
	.section	.text._ZL34rocblas_syrkx_herkx_general_kernelIi19rocblas_complex_numIfELi16ELi32ELi8ELb0ELb1ELc78ELc76EKS1_S1_EviT_T0_PT8_S3_lS6_S3_lS4_PT9_S3_li,"axG",@progbits,_ZL34rocblas_syrkx_herkx_general_kernelIi19rocblas_complex_numIfELi16ELi32ELi8ELb0ELb1ELc78ELc76EKS1_S1_EviT_T0_PT8_S3_lS6_S3_lS4_PT9_S3_li,comdat
.Lfunc_end378:
	.size	_ZL34rocblas_syrkx_herkx_general_kernelIi19rocblas_complex_numIfELi16ELi32ELi8ELb0ELb1ELc78ELc76EKS1_S1_EviT_T0_PT8_S3_lS6_S3_lS4_PT9_S3_li, .Lfunc_end378-_ZL34rocblas_syrkx_herkx_general_kernelIi19rocblas_complex_numIfELi16ELi32ELi8ELb0ELb1ELc78ELc76EKS1_S1_EviT_T0_PT8_S3_lS6_S3_lS4_PT9_S3_li
                                        ; -- End function
	.section	.AMDGPU.csdata,"",@progbits
; Kernel info:
; codeLenInByte = 2812
; NumSgprs: 30
; NumVgprs: 60
; ScratchSize: 0
; MemoryBound: 1
; FloatMode: 240
; IeeeMode: 1
; LDSByteSize: 4096 bytes/workgroup (compile time only)
; SGPRBlocks: 3
; VGPRBlocks: 7
; NumSGPRsForWavesPerEU: 30
; NumVGPRsForWavesPerEU: 60
; Occupancy: 16
; WaveLimiterHint : 0
; COMPUTE_PGM_RSRC2:SCRATCH_EN: 0
; COMPUTE_PGM_RSRC2:USER_SGPR: 13
; COMPUTE_PGM_RSRC2:TRAP_HANDLER: 0
; COMPUTE_PGM_RSRC2:TGID_X_EN: 1
; COMPUTE_PGM_RSRC2:TGID_Y_EN: 1
; COMPUTE_PGM_RSRC2:TGID_Z_EN: 1
; COMPUTE_PGM_RSRC2:TIDIG_COMP_CNT: 1
	.section	.text._ZL34rocblas_syrkx_herkx_general_kernelIi19rocblas_complex_numIfELi16ELi32ELi8ELb0ELb1ELc84ELc85EKS1_S1_EviT_T0_PT8_S3_lS6_S3_lS4_PT9_S3_li,"axG",@progbits,_ZL34rocblas_syrkx_herkx_general_kernelIi19rocblas_complex_numIfELi16ELi32ELi8ELb0ELb1ELc84ELc85EKS1_S1_EviT_T0_PT8_S3_lS6_S3_lS4_PT9_S3_li,comdat
	.globl	_ZL34rocblas_syrkx_herkx_general_kernelIi19rocblas_complex_numIfELi16ELi32ELi8ELb0ELb1ELc84ELc85EKS1_S1_EviT_T0_PT8_S3_lS6_S3_lS4_PT9_S3_li ; -- Begin function _ZL34rocblas_syrkx_herkx_general_kernelIi19rocblas_complex_numIfELi16ELi32ELi8ELb0ELb1ELc84ELc85EKS1_S1_EviT_T0_PT8_S3_lS6_S3_lS4_PT9_S3_li
	.p2align	8
	.type	_ZL34rocblas_syrkx_herkx_general_kernelIi19rocblas_complex_numIfELi16ELi32ELi8ELb0ELb1ELc84ELc85EKS1_S1_EviT_T0_PT8_S3_lS6_S3_lS4_PT9_S3_li,@function
_ZL34rocblas_syrkx_herkx_general_kernelIi19rocblas_complex_numIfELi16ELi32ELi8ELb0ELb1ELc84ELc85EKS1_S1_EviT_T0_PT8_S3_lS6_S3_lS4_PT9_S3_li: ; @_ZL34rocblas_syrkx_herkx_general_kernelIi19rocblas_complex_numIfELi16ELi32ELi8ELb0ELb1ELc84ELc85EKS1_S1_EviT_T0_PT8_S3_lS6_S3_lS4_PT9_S3_li
; %bb.0:
	s_clause 0x3
	s_load_b64 s[20:21], s[0:1], 0x0
	s_load_b128 s[8:11], s[0:1], 0x8
	s_load_b128 s[4:7], s[0:1], 0x38
	s_load_b64 s[22:23], s[0:1], 0x48
	v_dual_mov_b32 v21, 0 :: v_dual_and_b32 v6, 0x3ff, v0
	v_bfe_u32 v7, v0, 10, 10
	v_dual_mov_b32 v20, 0 :: v_dual_mov_b32 v19, 0
	v_dual_mov_b32 v18, 0 :: v_dual_mov_b32 v17, 0
	;; [unrolled: 1-line block ×3, first 2 shown]
	v_mov_b32_e32 v14, 0
	s_lshl_b32 s12, s13, 5
	s_lshl_b32 s13, s14, 5
	s_mov_b32 s14, 0
	s_waitcnt lgkmcnt(0)
	s_cmp_lt_i32 s21, 1
	s_cbranch_scc1 .LBB379_11
; %bb.1:
	s_load_b32 s2, s[0:1], 0x18
	v_lshl_add_u32 v0, v7, 4, v6
	s_clause 0x1
	s_load_b128 s[16:19], s[0:1], 0x20
	s_load_b32 s3, s[0:1], 0x30
	v_dual_mov_b32 v15, 0 :: v_dual_and_b32 v8, 7, v6
	v_mov_b32_e32 v17, 0
	v_and_b32_e32 v1, 31, v0
	v_lshrrev_b32_e32 v2, 3, v0
	v_lshrrev_b32_e32 v11, 5, v0
	v_lshlrev_b32_e32 v4, 3, v8
	s_delay_alu instid0(VALU_DEP_4) | instskip(SKIP_4) | instid1(VALU_DEP_4)
	v_dual_mov_b32 v16, 0 :: v_dual_add_nc_u32 v3, s12, v1
	v_or_b32_e32 v12, s12, v1
	v_dual_mov_b32 v20, 0 :: v_dual_lshlrev_b32 v13, 3, v1
	v_dual_mov_b32 v18, 0 :: v_dual_add_nc_u32 v5, s13, v2
	v_lshl_or_b32 v14, v2, 6, v4
	v_cmp_gt_i32_e32 vcc_lo, s20, v12
	s_delay_alu instid0(VALU_DEP_4)
	v_lshl_or_b32 v12, v11, 8, v13
	s_waitcnt lgkmcnt(0)
	v_mad_i64_i32 v[0:1], null, s2, v3, 0
	s_mul_i32 s17, s17, s15
	s_mul_hi_u32 s24, s16, s15
	v_mad_i64_i32 v[2:3], null, s3, v5, 0
	s_mul_i32 s16, s16, s15
	s_add_i32 s17, s24, s17
	s_delay_alu instid0(VALU_DEP_2)
	v_lshlrev_b64 v[0:1], 3, v[0:1]
	s_lshl_b64 s[16:17], s[16:17], 3
	v_cmp_gt_i32_e64 s2, s20, v5
	v_add_nc_u32_e32 v13, 0x800, v14
	s_mul_i32 s5, s5, s15
	v_lshlrev_b32_e32 v9, 3, v6
	v_add_co_u32 v5, s3, v0, s16
	s_delay_alu instid0(VALU_DEP_1)
	v_add_co_ci_u32_e64 v14, s3, s17, v1, s3
	s_mul_hi_u32 s3, s4, s15
	v_lshlrev_b64 v[0:1], 3, v[2:3]
	s_add_i32 s5, s3, s5
	s_mul_i32 s4, s4, s15
	v_dual_mov_b32 v19, 0 :: v_dual_lshlrev_b32 v2, 3, v11
	s_lshl_b64 s[4:5], s[4:5], 3
	v_lshl_add_u32 v10, v7, 6, 0x800
	v_add_co_u32 v0, s3, v0, s4
	s_delay_alu instid0(VALU_DEP_1) | instskip(SKIP_1) | instid1(VALU_DEP_1)
	v_add_co_ci_u32_e64 v1, s3, s5, v1, s3
	v_add_co_u32 v2, s3, v5, v2
	v_add_co_ci_u32_e64 v3, s3, 0, v14, s3
	s_delay_alu instid0(VALU_DEP_4) | instskip(NEXT) | instid1(VALU_DEP_1)
	v_add_co_u32 v4, s3, v0, v4
	v_add_co_ci_u32_e64 v5, s3, 0, v1, s3
	s_delay_alu instid0(VALU_DEP_4) | instskip(NEXT) | instid1(VALU_DEP_1)
	;; [unrolled: 3-line block ×3, first 2 shown]
	v_add_co_u32 v2, s3, s18, v4
	v_add_co_ci_u32_e64 v3, s3, s19, v5, s3
	v_mov_b32_e32 v4, 0
	v_dual_mov_b32 v14, 0 :: v_dual_mov_b32 v21, 0
	s_xor_b32 s3, vcc_lo, -1
	s_xor_b32 s2, s2, -1
	s_branch .LBB379_3
.LBB379_2:                              ;   in Loop: Header=BB379_3 Depth=1
	s_or_b32 exec_lo, exec_lo, s4
	s_waitcnt lgkmcnt(0)
	s_barrier
	buffer_gl0_inv
	ds_load_2addr_b64 v[22:25], v9 offset1:16
	ds_load_b128 v[26:29], v10
	ds_load_b128 v[30:33], v10 offset:1024
	ds_load_b128 v[34:37], v10 offset:16
	;; [unrolled: 1-line block ×4, first 2 shown]
	ds_load_2addr_b64 v[46:49], v9 offset0:32 offset1:48
	ds_load_b128 v[50:53], v10 offset:1040
	v_add_co_u32 v0, vcc_lo, v0, 64
	v_add_co_ci_u32_e32 v1, vcc_lo, 0, v1, vcc_lo
	v_add_co_u32 v2, vcc_lo, v2, 64
	v_add_co_ci_u32_e32 v3, vcc_lo, 0, v3, vcc_lo
	s_add_i32 s14, s14, 8
	s_delay_alu instid0(SALU_CYCLE_1)
	s_cmp_ge_i32 s14, s21
	s_waitcnt lgkmcnt(6)
	v_dual_mul_f32 v5, v27, v23 :: v_dual_mul_f32 v56, v26, v25
	v_dual_mul_f32 v54, v26, v23 :: v_dual_mul_f32 v55, v27, v25
	s_waitcnt lgkmcnt(5)
	v_mul_f32_e32 v58, v31, v25
	s_delay_alu instid0(VALU_DEP_3) | instskip(SKIP_3) | instid1(VALU_DEP_4)
	v_fma_f32 v5, v26, v22, -v5
	v_dual_mul_f32 v25, v30, v25 :: v_dual_fmac_f32 v56, v27, v24
	v_fmac_f32_e32 v54, v27, v22
	v_fma_f32 v26, v26, v24, -v55
	v_add_f32_e32 v5, v20, v5
	v_mul_f32_e32 v57, v31, v23
	s_delay_alu instid0(VALU_DEP_4) | instskip(SKIP_2) | instid1(VALU_DEP_4)
	v_dual_mul_f32 v23, v30, v23 :: v_dual_add_f32 v20, v21, v54
	v_fmac_f32_e32 v25, v31, v24
	v_dual_add_f32 v21, v18, v26 :: v_dual_add_f32 v26, v19, v56
	v_fma_f32 v27, v30, v22, -v57
	s_delay_alu instid0(VALU_DEP_4) | instskip(SKIP_3) | instid1(VALU_DEP_2)
	v_fmac_f32_e32 v23, v31, v22
	v_fma_f32 v22, v30, v24, -v58
	s_waitcnt lgkmcnt(1)
	v_mul_f32_e32 v30, v29, v47
	v_dual_add_f32 v27, v16, v27 :: v_dual_add_f32 v14, v14, v22
	v_dual_mul_f32 v22, v28, v47 :: v_dual_add_f32 v15, v15, v25
	v_mul_f32_e32 v25, v28, v49
	s_delay_alu instid0(VALU_DEP_4) | instskip(NEXT) | instid1(VALU_DEP_3)
	v_fma_f32 v24, v28, v46, -v30
	v_fmac_f32_e32 v22, v29, v46
	v_add_f32_e32 v23, v17, v23
	ds_load_2addr_b64 v[16:19], v9 offset0:64 offset1:80
	v_mul_f32_e32 v30, v29, v49
	v_fmac_f32_e32 v25, v29, v48
	v_add_f32_e32 v5, v5, v24
	s_delay_alu instid0(VALU_DEP_2) | instskip(SKIP_1) | instid1(VALU_DEP_1)
	v_add_f32_e32 v25, v26, v25
	v_mul_f32_e32 v26, v32, v49
	v_fmac_f32_e32 v26, v33, v48
	s_waitcnt lgkmcnt(0)
	s_delay_alu instid0(VALU_DEP_1) | instskip(SKIP_1) | instid1(VALU_DEP_2)
	v_dual_add_f32 v26, v15, v26 :: v_dual_mul_f32 v29, v34, v17
	v_mul_f32_e32 v15, v34, v19
	v_fmac_f32_e32 v29, v35, v16
	v_fma_f32 v24, v28, v48, -v30
	v_mul_f32_e32 v28, v33, v47
	v_add_f32_e32 v30, v20, v22
	v_mul_f32_e32 v20, v32, v47
	v_mul_f32_e32 v22, v33, v49
	v_add_f32_e32 v24, v21, v24
	v_fma_f32 v21, v32, v46, -v28
	s_delay_alu instid0(VALU_DEP_4) | instskip(SKIP_1) | instid1(VALU_DEP_3)
	v_dual_add_f32 v29, v30, v29 :: v_dual_fmac_f32 v20, v33, v46
	v_fmac_f32_e32 v15, v35, v18
	v_add_f32_e32 v27, v27, v21
	v_fma_f32 v21, v32, v48, -v22
	v_mul_f32_e32 v22, v35, v17
	v_mul_f32_e32 v32, v35, v19
	v_add_f32_e32 v28, v23, v20
	s_delay_alu instid0(VALU_DEP_4) | instskip(NEXT) | instid1(VALU_DEP_4)
	v_add_f32_e32 v14, v14, v21
	v_fma_f32 v31, v34, v16, -v22
	ds_load_2addr_b64 v[20:23], v9 offset0:96 offset1:112
	v_add_f32_e32 v5, v5, v31
	v_fma_f32 v31, v34, v18, -v32
	s_delay_alu instid0(VALU_DEP_1) | instskip(SKIP_3) | instid1(VALU_DEP_3)
	v_add_f32_e32 v24, v24, v31
	v_mul_f32_e32 v31, v51, v19
	v_mul_f32_e32 v19, v50, v19
	v_add_f32_e32 v32, v25, v15
	v_fma_f32 v15, v50, v18, -v31
	s_delay_alu instid0(VALU_DEP_3)
	v_fmac_f32_e32 v19, v51, v18
	v_mul_f32_e32 v30, v51, v17
	v_mul_f32_e32 v17, v50, v17
	s_waitcnt lgkmcnt(0)
	v_dual_mul_f32 v18, v37, v21 :: v_dual_add_f32 v31, v14, v15
	v_add_f32_e32 v33, v26, v19
	v_fma_f32 v30, v50, v16, -v30
	v_fmac_f32_e32 v17, v51, v16
	s_delay_alu instid0(VALU_DEP_4) | instskip(SKIP_1) | instid1(VALU_DEP_4)
	v_fma_f32 v18, v36, v20, -v18
	v_mul_f32_e32 v25, v36, v21
	v_dual_mul_f32 v19, v36, v23 :: v_dual_add_f32 v30, v27, v30
	s_delay_alu instid0(VALU_DEP_4) | instskip(SKIP_4) | instid1(VALU_DEP_2)
	v_add_f32_e32 v28, v28, v17
	ds_load_2addr_b64 v[14:17], v9 offset0:128 offset1:144
	v_add_f32_e32 v5, v5, v18
	v_mul_f32_e32 v18, v53, v21
	v_fmac_f32_e32 v19, v37, v22
	v_fma_f32 v18, v52, v20, -v18
	v_mul_f32_e32 v27, v37, v23
	s_delay_alu instid0(VALU_DEP_1) | instskip(NEXT) | instid1(VALU_DEP_3)
	v_fma_f32 v26, v36, v22, -v27
	v_add_f32_e32 v36, v30, v18
	s_waitcnt lgkmcnt(0)
	s_delay_alu instid0(VALU_DEP_2) | instskip(SKIP_2) | instid1(VALU_DEP_3)
	v_dual_add_f32 v35, v24, v26 :: v_dual_mul_f32 v46, v38, v15
	v_dual_fmac_f32 v25, v37, v20 :: v_dual_add_f32 v32, v32, v19
	v_mul_f32_e32 v18, v39, v15
	v_fmac_f32_e32 v46, v39, v14
	s_delay_alu instid0(VALU_DEP_3)
	v_add_f32_e32 v34, v29, v25
	v_mul_f32_e32 v29, v53, v23
	v_mul_f32_e32 v23, v52, v23
	ds_load_b128 v[24:27], v10 offset:1056
	v_add_f32_e32 v34, v34, v46
	v_fma_f32 v19, v52, v22, -v29
	v_mul_f32_e32 v21, v52, v21
	v_fmac_f32_e32 v23, v53, v22
	v_mul_f32_e32 v29, v39, v17
	s_delay_alu instid0(VALU_DEP_3) | instskip(NEXT) | instid1(VALU_DEP_3)
	v_dual_add_f32 v22, v31, v19 :: v_dual_fmac_f32 v21, v53, v20
	v_add_f32_e32 v23, v33, v23
	s_delay_alu instid0(VALU_DEP_2) | instskip(SKIP_4) | instid1(VALU_DEP_2)
	v_add_f32_e32 v37, v28, v21
	v_fma_f32 v28, v38, v14, -v18
	ds_load_2addr_b64 v[18:21], v9 offset0:160 offset1:176
	v_mul_f32_e32 v33, v38, v17
	v_fma_f32 v38, v38, v16, -v29
	v_fmac_f32_e32 v33, v39, v16
	s_delay_alu instid0(VALU_DEP_1)
	v_dual_add_f32 v35, v35, v38 :: v_dual_add_f32 v32, v32, v33
	v_add_f32_e32 v5, v5, v28
	ds_load_b128 v[28:31], v10 offset:1072
	s_waitcnt lgkmcnt(2)
	v_mul_f32_e32 v47, v25, v15
	v_mul_f32_e32 v15, v24, v15
	;; [unrolled: 1-line block ×4, first 2 shown]
	s_delay_alu instid0(VALU_DEP_4) | instskip(NEXT) | instid1(VALU_DEP_4)
	v_fma_f32 v38, v24, v14, -v47
	v_fmac_f32_e32 v15, v25, v14
	s_delay_alu instid0(VALU_DEP_4)
	v_fma_f32 v14, v24, v16, -v39
	s_waitcnt lgkmcnt(1)
	v_mul_f32_e32 v17, v41, v19
	v_dual_fmac_f32 v33, v25, v16 :: v_dual_add_f32 v36, v36, v38
	v_add_f32_e32 v24, v37, v15
	v_add_f32_e32 v22, v22, v14
	s_delay_alu instid0(VALU_DEP_4) | instskip(SKIP_2) | instid1(VALU_DEP_1)
	v_fma_f32 v37, v40, v18, -v17
	ds_load_2addr_b64 v[14:17], v9 offset0:192 offset1:208
	v_dual_mul_f32 v25, v40, v19 :: v_dual_mul_f32 v38, v41, v21
	v_fmac_f32_e32 v25, v41, v18
	s_delay_alu instid0(VALU_DEP_1) | instskip(SKIP_4) | instid1(VALU_DEP_3)
	v_add_f32_e32 v34, v34, v25
	v_add_f32_e32 v33, v23, v33
	v_mul_f32_e32 v23, v40, v21
	v_mul_f32_e32 v25, v27, v19
	v_mul_f32_e32 v19, v26, v19
	v_fmac_f32_e32 v23, v41, v20
	s_delay_alu instid0(VALU_DEP_3) | instskip(NEXT) | instid1(VALU_DEP_2)
	v_fma_f32 v25, v26, v18, -v25
	v_dual_fmac_f32 v19, v27, v18 :: v_dual_add_f32 v18, v32, v23
	s_waitcnt lgkmcnt(0)
	v_dual_mul_f32 v32, v43, v15 :: v_dual_add_f32 v5, v5, v37
	v_fma_f32 v37, v40, v20, -v38
	s_delay_alu instid0(VALU_DEP_3) | instskip(NEXT) | instid1(VALU_DEP_3)
	v_add_f32_e32 v19, v24, v19
	v_fma_f32 v32, v42, v14, -v32
	s_delay_alu instid0(VALU_DEP_1) | instskip(NEXT) | instid1(VALU_DEP_4)
	v_add_f32_e32 v5, v5, v32
	v_add_f32_e32 v35, v35, v37
	v_mul_f32_e32 v37, v27, v21
	v_dual_mul_f32 v21, v26, v21 :: v_dual_mul_f32 v32, v29, v15
	s_delay_alu instid0(VALU_DEP_2) | instskip(NEXT) | instid1(VALU_DEP_2)
	v_fma_f32 v23, v26, v20, -v37
	v_dual_add_f32 v26, v36, v25 :: v_dual_fmac_f32 v21, v27, v20
	v_mul_f32_e32 v27, v42, v15
	v_mul_f32_e32 v15, v28, v15
	s_delay_alu instid0(VALU_DEP_4)
	v_add_f32_e32 v20, v22, v23
	ds_load_2addr_b64 v[22:25], v9 offset0:224 offset1:240
	v_fma_f32 v32, v28, v14, -v32
	v_dual_fmac_f32 v27, v43, v14 :: v_dual_mul_f32 v36, v42, v17
	v_fmac_f32_e32 v15, v29, v14
	s_waitcnt lgkmcnt(0)
	s_delay_alu instid0(VALU_DEP_3) | instskip(NEXT) | instid1(VALU_DEP_3)
	v_add_f32_e32 v14, v26, v32
	v_dual_add_f32 v27, v34, v27 :: v_dual_fmac_f32 v36, v43, v16
	s_delay_alu instid0(VALU_DEP_3)
	v_dual_mul_f32 v34, v29, v17 :: v_dual_add_f32 v15, v19, v15
	s_barrier
	buffer_gl0_inv
	v_mul_f32_e32 v26, v45, v23
	v_add_f32_e32 v21, v33, v21
	v_mul_f32_e32 v33, v43, v17
	v_mul_f32_e32 v17, v28, v17
	;; [unrolled: 1-line block ×3, first 2 shown]
	s_delay_alu instid0(VALU_DEP_3) | instskip(NEXT) | instid1(VALU_DEP_3)
	v_fma_f32 v33, v42, v16, -v33
	v_fmac_f32_e32 v17, v29, v16
	s_delay_alu instid0(VALU_DEP_3) | instskip(NEXT) | instid1(VALU_DEP_3)
	v_fmac_f32_e32 v19, v45, v24
	v_add_f32_e32 v33, v35, v33
	v_add_f32_e32 v35, v18, v36
	v_fma_f32 v18, v28, v16, -v34
	v_fma_f32 v16, v44, v22, -v26
	v_mul_f32_e32 v28, v44, v23
	v_dual_add_f32 v26, v21, v17 :: v_dual_mul_f32 v17, v30, v23
	s_delay_alu instid0(VALU_DEP_4) | instskip(NEXT) | instid1(VALU_DEP_4)
	v_dual_add_f32 v29, v20, v18 :: v_dual_mul_f32 v18, v45, v25
	v_add_f32_e32 v20, v5, v16
	v_mul_f32_e32 v16, v31, v23
	v_mul_f32_e32 v23, v31, v25
	;; [unrolled: 1-line block ×3, first 2 shown]
	v_fma_f32 v5, v44, v24, -v18
	v_fmac_f32_e32 v28, v45, v22
	v_fmac_f32_e32 v17, v31, v22
	v_add_f32_e32 v19, v35, v19
	s_delay_alu instid0(VALU_DEP_4)
	v_dual_fmac_f32 v25, v31, v24 :: v_dual_add_f32 v18, v33, v5
	v_fma_f32 v5, v30, v22, -v16
	v_fma_f32 v22, v30, v24, -v23
	v_add_f32_e32 v21, v27, v28
	v_add_f32_e32 v17, v15, v17
	;; [unrolled: 1-line block ×5, first 2 shown]
	s_cbranch_scc1 .LBB379_11
.LBB379_3:                              ; =>This Inner Loop Header: Depth=1
	v_add_nc_u32_e32 v5, s14, v11
	s_delay_alu instid0(VALU_DEP_1) | instskip(SKIP_1) | instid1(SALU_CYCLE_1)
	v_cmp_le_i32_e32 vcc_lo, s21, v5
	s_or_b32 s4, s3, vcc_lo
	s_and_saveexec_b32 s5, s4
	s_delay_alu instid0(SALU_CYCLE_1)
	s_xor_b32 s4, exec_lo, s5
	s_cbranch_execz .LBB379_5
; %bb.4:                                ;   in Loop: Header=BB379_3 Depth=1
	v_mov_b32_e32 v5, v4
	ds_store_b64 v12, v[4:5]
.LBB379_5:                              ;   in Loop: Header=BB379_3 Depth=1
	s_and_not1_saveexec_b32 s4, s4
	s_cbranch_execz .LBB379_7
; %bb.6:                                ;   in Loop: Header=BB379_3 Depth=1
	global_load_b64 v[22:23], v[0:1], off
	s_waitcnt vmcnt(0)
	ds_store_b64 v12, v[22:23]
.LBB379_7:                              ;   in Loop: Header=BB379_3 Depth=1
	s_or_b32 exec_lo, exec_lo, s4
	v_add_nc_u32_e32 v5, s14, v8
	s_delay_alu instid0(VALU_DEP_1) | instskip(SKIP_1) | instid1(SALU_CYCLE_1)
	v_cmp_le_i32_e32 vcc_lo, s21, v5
	s_or_b32 s4, vcc_lo, s2
	s_and_saveexec_b32 s5, s4
	s_delay_alu instid0(SALU_CYCLE_1)
	s_xor_b32 s4, exec_lo, s5
	s_cbranch_execz .LBB379_9
; %bb.8:                                ;   in Loop: Header=BB379_3 Depth=1
	v_mov_b32_e32 v5, v4
	ds_store_b64 v13, v[4:5]
.LBB379_9:                              ;   in Loop: Header=BB379_3 Depth=1
	s_and_not1_saveexec_b32 s4, s4
	s_cbranch_execz .LBB379_2
; %bb.10:                               ;   in Loop: Header=BB379_3 Depth=1
	global_load_b64 v[22:23], v[2:3], off
	s_waitcnt vmcnt(0)
	ds_store_b64 v13, v[22:23]
	s_branch .LBB379_2
.LBB379_11:
	s_clause 0x1
	s_load_b32 s2, s[0:1], 0x50
	s_load_b64 s[0:1], s[0:1], 0x58
	v_add_nc_u32_e32 v5, s13, v7
	v_add_nc_u32_e32 v0, s12, v6
	s_delay_alu instid0(VALU_DEP_2)
	v_cmp_gt_i32_e32 vcc_lo, s20, v5
	s_waitcnt lgkmcnt(0)
	v_mad_i64_i32 v[1:2], null, v5, s2, 0
	s_mul_i32 s1, s15, s1
	s_mul_hi_u32 s3, s15, s0
	s_mul_i32 s0, s15, s0
	s_add_i32 s1, s3, s1
	s_delay_alu instid0(SALU_CYCLE_1) | instskip(NEXT) | instid1(VALU_DEP_1)
	s_lshl_b64 s[4:5], s[0:1], 3
	v_lshlrev_b64 v[1:2], 3, v[1:2]
	s_add_u32 s3, s22, s4
	v_cmp_le_i32_e64 s0, v0, v5
	s_addc_u32 s4, s23, s5
	s_delay_alu instid0(VALU_DEP_2) | instskip(NEXT) | instid1(VALU_DEP_1)
	v_add_co_u32 v4, s1, s3, v1
	v_add_co_ci_u32_e64 v6, s1, s4, v2, s1
	s_delay_alu instid0(VALU_DEP_3) | instskip(NEXT) | instid1(SALU_CYCLE_1)
	s_and_b32 s0, vcc_lo, s0
	s_and_saveexec_b32 s1, s0
	s_cbranch_execz .LBB379_14
; %bb.12:
	v_ashrrev_i32_e32 v1, 31, v0
	s_delay_alu instid0(VALU_DEP_1) | instskip(NEXT) | instid1(VALU_DEP_1)
	v_lshlrev_b64 v[1:2], 3, v[0:1]
	v_add_co_u32 v1, s0, v4, v1
	s_delay_alu instid0(VALU_DEP_1)
	v_add_co_ci_u32_e64 v2, s0, v6, v2, s0
	v_cmp_eq_u32_e64 s0, v5, v0
	global_load_b64 v[7:8], v[1:2], off
	v_mul_f32_e32 v3, s9, v21
	s_waitcnt vmcnt(0)
	v_dual_mul_f32 v9, s8, v21 :: v_dual_mul_f32 v10, s7, v8
	v_mul_f32_e32 v8, s6, v8
	s_delay_alu instid0(VALU_DEP_3) | instskip(NEXT) | instid1(VALU_DEP_3)
	v_fma_f32 v3, v20, s8, -v3
	v_fmac_f32_e32 v9, s9, v20
	s_delay_alu instid0(VALU_DEP_4) | instskip(NEXT) | instid1(VALU_DEP_1)
	v_fma_f32 v10, v7, s6, -v10
	v_dual_fmac_f32 v8, s7, v7 :: v_dual_add_f32 v7, v3, v10
	s_delay_alu instid0(VALU_DEP_1)
	v_add_f32_e32 v8, v9, v8
	global_store_b64 v[1:2], v[7:8], off
	s_and_b32 exec_lo, exec_lo, s0
	s_cbranch_execz .LBB379_14
; %bb.13:
	v_mov_b32_e32 v3, 0
	global_store_b32 v[1:2], v3, off offset:4
.LBB379_14:
	s_or_b32 exec_lo, exec_lo, s1
	v_add_nc_u32_e32 v2, 16, v0
	s_delay_alu instid0(VALU_DEP_1) | instskip(NEXT) | instid1(VALU_DEP_1)
	v_cmp_le_i32_e64 s0, v2, v5
	s_and_b32 s1, vcc_lo, s0
	s_delay_alu instid0(SALU_CYCLE_1)
	s_and_saveexec_b32 s0, s1
	s_cbranch_execz .LBB379_17
; %bb.15:
	v_ashrrev_i32_e32 v3, 31, v2
	s_delay_alu instid0(VALU_DEP_1) | instskip(NEXT) | instid1(VALU_DEP_1)
	v_lshlrev_b64 v[7:8], 3, v[2:3]
	v_add_co_u32 v3, vcc_lo, v4, v7
	s_delay_alu instid0(VALU_DEP_2) | instskip(SKIP_4) | instid1(VALU_DEP_1)
	v_add_co_ci_u32_e32 v4, vcc_lo, v6, v8, vcc_lo
	v_cmp_eq_u32_e32 vcc_lo, v5, v2
	global_load_b64 v[6:7], v[3:4], off
	s_waitcnt vmcnt(0)
	v_mul_f32_e32 v9, s7, v7
	v_fma_f32 v9, v6, s6, -v9
	v_mul_f32_e32 v7, s6, v7
	s_delay_alu instid0(VALU_DEP_1) | instskip(NEXT) | instid1(VALU_DEP_1)
	v_dual_mul_f32 v8, s8, v19 :: v_dual_fmac_f32 v7, s7, v6
	v_dual_mul_f32 v1, s9, v19 :: v_dual_fmac_f32 v8, s9, v18
	s_delay_alu instid0(VALU_DEP_1) | instskip(NEXT) | instid1(VALU_DEP_1)
	v_fma_f32 v1, v18, s8, -v1
	v_dual_add_f32 v7, v8, v7 :: v_dual_add_f32 v6, v1, v9
	global_store_b64 v[3:4], v[6:7], off
	s_and_b32 exec_lo, exec_lo, vcc_lo
	s_cbranch_execz .LBB379_17
; %bb.16:
	v_mov_b32_e32 v1, 0
	global_store_b32 v[3:4], v1, off offset:4
.LBB379_17:
	s_or_b32 exec_lo, exec_lo, s0
	v_add_nc_u32_e32 v8, 16, v5
	s_delay_alu instid0(VALU_DEP_1) | instskip(SKIP_2) | instid1(VALU_DEP_1)
	v_mad_i64_i32 v[3:4], null, v8, s2, 0
	v_cmp_gt_i32_e32 vcc_lo, s20, v8
	v_cmp_le_i32_e64 s0, v0, v8
	s_and_b32 s0, vcc_lo, s0
	s_delay_alu instid0(VALU_DEP_3) | instskip(NEXT) | instid1(VALU_DEP_1)
	v_lshlrev_b64 v[3:4], 3, v[3:4]
	v_add_co_u32 v6, s1, s3, v3
	s_delay_alu instid0(VALU_DEP_1)
	v_add_co_ci_u32_e64 v7, s1, s4, v4, s1
	s_and_saveexec_b32 s1, s0
	s_cbranch_execz .LBB379_20
; %bb.18:
	v_ashrrev_i32_e32 v1, 31, v0
	s_delay_alu instid0(VALU_DEP_1) | instskip(NEXT) | instid1(VALU_DEP_1)
	v_lshlrev_b64 v[3:4], 3, v[0:1]
	v_add_co_u32 v3, s0, v6, v3
	s_delay_alu instid0(VALU_DEP_1)
	v_add_co_ci_u32_e64 v4, s0, v7, v4, s0
	v_cmp_eq_u32_e64 s0, v8, v0
	global_load_b64 v[9:10], v[3:4], off
	v_mul_f32_e32 v1, s9, v17
	s_waitcnt vmcnt(0)
	v_dual_mul_f32 v11, s8, v17 :: v_dual_mul_f32 v12, s7, v10
	v_mul_f32_e32 v10, s6, v10
	s_delay_alu instid0(VALU_DEP_3) | instskip(NEXT) | instid1(VALU_DEP_3)
	v_fma_f32 v1, v16, s8, -v1
	v_fmac_f32_e32 v11, s9, v16
	s_delay_alu instid0(VALU_DEP_4) | instskip(NEXT) | instid1(VALU_DEP_1)
	v_fma_f32 v12, v9, s6, -v12
	v_dual_fmac_f32 v10, s7, v9 :: v_dual_add_f32 v9, v1, v12
	s_delay_alu instid0(VALU_DEP_1)
	v_add_f32_e32 v10, v11, v10
	global_store_b64 v[3:4], v[9:10], off
	s_and_b32 exec_lo, exec_lo, s0
	s_cbranch_execz .LBB379_20
; %bb.19:
	v_mov_b32_e32 v1, 0
	global_store_b32 v[3:4], v1, off offset:4
.LBB379_20:
	s_or_b32 exec_lo, exec_lo, s1
	v_cmp_le_i32_e64 s0, v2, v8
	s_delay_alu instid0(VALU_DEP_1) | instskip(NEXT) | instid1(SALU_CYCLE_1)
	s_and_b32 s0, vcc_lo, s0
	s_and_saveexec_b32 s1, s0
	s_cbranch_execz .LBB379_23
; %bb.21:
	v_ashrrev_i32_e32 v3, 31, v2
	s_delay_alu instid0(VALU_DEP_1) | instskip(NEXT) | instid1(VALU_DEP_1)
	v_lshlrev_b64 v[1:2], 3, v[2:3]
	v_add_co_u32 v1, vcc_lo, v6, v1
	s_delay_alu instid0(VALU_DEP_2) | instskip(SKIP_4) | instid1(VALU_DEP_1)
	v_add_co_ci_u32_e32 v2, vcc_lo, v7, v2, vcc_lo
	v_cmp_eq_u32_e32 vcc_lo, v5, v0
	global_load_b64 v[3:4], v[1:2], off
	s_waitcnt vmcnt(0)
	v_dual_mul_f32 v7, s8, v15 :: v_dual_mul_f32 v8, s7, v4
	v_dual_mul_f32 v6, s9, v15 :: v_dual_fmac_f32 v7, s9, v14
	v_mul_f32_e32 v4, s6, v4
	s_delay_alu instid0(VALU_DEP_3) | instskip(NEXT) | instid1(VALU_DEP_3)
	v_fma_f32 v8, v3, s6, -v8
	v_fma_f32 v6, v14, s8, -v6
	s_delay_alu instid0(VALU_DEP_1) | instskip(NEXT) | instid1(VALU_DEP_1)
	v_dual_fmac_f32 v4, s7, v3 :: v_dual_add_f32 v3, v6, v8
	v_add_f32_e32 v4, v7, v4
	global_store_b64 v[1:2], v[3:4], off
	s_and_b32 exec_lo, exec_lo, vcc_lo
	s_cbranch_execz .LBB379_23
; %bb.22:
	v_mov_b32_e32 v0, 0
	global_store_b32 v[1:2], v0, off offset:4
.LBB379_23:
	s_nop 0
	s_sendmsg sendmsg(MSG_DEALLOC_VGPRS)
	s_endpgm
	.section	.rodata,"a",@progbits
	.p2align	6, 0x0
	.amdhsa_kernel _ZL34rocblas_syrkx_herkx_general_kernelIi19rocblas_complex_numIfELi16ELi32ELi8ELb0ELb1ELc84ELc85EKS1_S1_EviT_T0_PT8_S3_lS6_S3_lS4_PT9_S3_li
		.amdhsa_group_segment_fixed_size 4096
		.amdhsa_private_segment_fixed_size 0
		.amdhsa_kernarg_size 100
		.amdhsa_user_sgpr_count 13
		.amdhsa_user_sgpr_dispatch_ptr 0
		.amdhsa_user_sgpr_queue_ptr 0
		.amdhsa_user_sgpr_kernarg_segment_ptr 1
		.amdhsa_user_sgpr_dispatch_id 0
		.amdhsa_user_sgpr_private_segment_size 0
		.amdhsa_wavefront_size32 1
		.amdhsa_uses_dynamic_stack 0
		.amdhsa_enable_private_segment 0
		.amdhsa_system_sgpr_workgroup_id_x 1
		.amdhsa_system_sgpr_workgroup_id_y 1
		.amdhsa_system_sgpr_workgroup_id_z 1
		.amdhsa_system_sgpr_workgroup_info 0
		.amdhsa_system_vgpr_workitem_id 1
		.amdhsa_next_free_vgpr 59
		.amdhsa_next_free_sgpr 25
		.amdhsa_reserve_vcc 1
		.amdhsa_float_round_mode_32 0
		.amdhsa_float_round_mode_16_64 0
		.amdhsa_float_denorm_mode_32 3
		.amdhsa_float_denorm_mode_16_64 3
		.amdhsa_dx10_clamp 1
		.amdhsa_ieee_mode 1
		.amdhsa_fp16_overflow 0
		.amdhsa_workgroup_processor_mode 1
		.amdhsa_memory_ordered 1
		.amdhsa_forward_progress 0
		.amdhsa_shared_vgpr_count 0
		.amdhsa_exception_fp_ieee_invalid_op 0
		.amdhsa_exception_fp_denorm_src 0
		.amdhsa_exception_fp_ieee_div_zero 0
		.amdhsa_exception_fp_ieee_overflow 0
		.amdhsa_exception_fp_ieee_underflow 0
		.amdhsa_exception_fp_ieee_inexact 0
		.amdhsa_exception_int_div_zero 0
	.end_amdhsa_kernel
	.section	.text._ZL34rocblas_syrkx_herkx_general_kernelIi19rocblas_complex_numIfELi16ELi32ELi8ELb0ELb1ELc84ELc85EKS1_S1_EviT_T0_PT8_S3_lS6_S3_lS4_PT9_S3_li,"axG",@progbits,_ZL34rocblas_syrkx_herkx_general_kernelIi19rocblas_complex_numIfELi16ELi32ELi8ELb0ELb1ELc84ELc85EKS1_S1_EviT_T0_PT8_S3_lS6_S3_lS4_PT9_S3_li,comdat
.Lfunc_end379:
	.size	_ZL34rocblas_syrkx_herkx_general_kernelIi19rocblas_complex_numIfELi16ELi32ELi8ELb0ELb1ELc84ELc85EKS1_S1_EviT_T0_PT8_S3_lS6_S3_lS4_PT9_S3_li, .Lfunc_end379-_ZL34rocblas_syrkx_herkx_general_kernelIi19rocblas_complex_numIfELi16ELi32ELi8ELb0ELb1ELc84ELc85EKS1_S1_EviT_T0_PT8_S3_lS6_S3_lS4_PT9_S3_li
                                        ; -- End function
	.section	.AMDGPU.csdata,"",@progbits
; Kernel info:
; codeLenInByte = 2744
; NumSgprs: 27
; NumVgprs: 59
; ScratchSize: 0
; MemoryBound: 1
; FloatMode: 240
; IeeeMode: 1
; LDSByteSize: 4096 bytes/workgroup (compile time only)
; SGPRBlocks: 3
; VGPRBlocks: 7
; NumSGPRsForWavesPerEU: 27
; NumVGPRsForWavesPerEU: 59
; Occupancy: 16
; WaveLimiterHint : 0
; COMPUTE_PGM_RSRC2:SCRATCH_EN: 0
; COMPUTE_PGM_RSRC2:USER_SGPR: 13
; COMPUTE_PGM_RSRC2:TRAP_HANDLER: 0
; COMPUTE_PGM_RSRC2:TGID_X_EN: 1
; COMPUTE_PGM_RSRC2:TGID_Y_EN: 1
; COMPUTE_PGM_RSRC2:TGID_Z_EN: 1
; COMPUTE_PGM_RSRC2:TIDIG_COMP_CNT: 1
	.section	.text._ZL34rocblas_syrkx_herkx_general_kernelIi19rocblas_complex_numIfELi16ELi32ELi8ELb0ELb1ELc67ELc85EKS1_S1_EviT_T0_PT8_S3_lS6_S3_lS4_PT9_S3_li,"axG",@progbits,_ZL34rocblas_syrkx_herkx_general_kernelIi19rocblas_complex_numIfELi16ELi32ELi8ELb0ELb1ELc67ELc85EKS1_S1_EviT_T0_PT8_S3_lS6_S3_lS4_PT9_S3_li,comdat
	.globl	_ZL34rocblas_syrkx_herkx_general_kernelIi19rocblas_complex_numIfELi16ELi32ELi8ELb0ELb1ELc67ELc85EKS1_S1_EviT_T0_PT8_S3_lS6_S3_lS4_PT9_S3_li ; -- Begin function _ZL34rocblas_syrkx_herkx_general_kernelIi19rocblas_complex_numIfELi16ELi32ELi8ELb0ELb1ELc67ELc85EKS1_S1_EviT_T0_PT8_S3_lS6_S3_lS4_PT9_S3_li
	.p2align	8
	.type	_ZL34rocblas_syrkx_herkx_general_kernelIi19rocblas_complex_numIfELi16ELi32ELi8ELb0ELb1ELc67ELc85EKS1_S1_EviT_T0_PT8_S3_lS6_S3_lS4_PT9_S3_li,@function
_ZL34rocblas_syrkx_herkx_general_kernelIi19rocblas_complex_numIfELi16ELi32ELi8ELb0ELb1ELc67ELc85EKS1_S1_EviT_T0_PT8_S3_lS6_S3_lS4_PT9_S3_li: ; @_ZL34rocblas_syrkx_herkx_general_kernelIi19rocblas_complex_numIfELi16ELi32ELi8ELb0ELb1ELc67ELc85EKS1_S1_EviT_T0_PT8_S3_lS6_S3_lS4_PT9_S3_li
; %bb.0:
	s_clause 0x3
	s_load_b64 s[20:21], s[0:1], 0x0
	s_load_b128 s[8:11], s[0:1], 0x8
	s_load_b128 s[4:7], s[0:1], 0x38
	s_load_b64 s[22:23], s[0:1], 0x48
	v_dual_mov_b32 v21, 0 :: v_dual_and_b32 v6, 0x3ff, v0
	v_bfe_u32 v7, v0, 10, 10
	v_dual_mov_b32 v22, 0 :: v_dual_mov_b32 v19, 0
	v_dual_mov_b32 v20, 0 :: v_dual_mov_b32 v17, 0
	;; [unrolled: 1-line block ×3, first 2 shown]
	v_mov_b32_e32 v16, 0
	s_lshl_b32 s12, s13, 5
	s_lshl_b32 s13, s14, 5
	s_mov_b32 s14, 0
	s_waitcnt lgkmcnt(0)
	s_cmp_lt_i32 s21, 1
	s_cbranch_scc1 .LBB380_11
; %bb.1:
	s_load_b32 s2, s[0:1], 0x18
	v_lshl_add_u32 v0, v7, 4, v6
	s_clause 0x1
	s_load_b128 s[16:19], s[0:1], 0x20
	s_load_b32 s3, s[0:1], 0x30
	v_and_b32_e32 v8, 7, v6
	v_lshlrev_b32_e32 v9, 3, v6
	v_dual_mov_b32 v17, 0 :: v_dual_and_b32 v2, 31, v0
	v_lshrrev_b32_e32 v1, 3, v0
	s_delay_alu instid0(VALU_DEP_4) | instskip(SKIP_1) | instid1(VALU_DEP_4)
	v_dual_mov_b32 v19, 0 :: v_dual_lshlrev_b32 v4, 3, v8
	v_lshrrev_b32_e32 v11, 5, v0
	v_dual_mov_b32 v21, 0 :: v_dual_add_nc_u32 v12, s12, v2
	s_delay_alu instid0(VALU_DEP_4) | instskip(NEXT) | instid1(VALU_DEP_4)
	v_add_nc_u32_e32 v5, s13, v1
	v_lshl_or_b32 v13, v1, 6, v4
	v_or_b32_e32 v3, s12, v2
	v_lshlrev_b32_e32 v2, 3, v2
	v_lshlrev_b32_e32 v14, 3, v11
	v_lshl_add_u32 v10, v7, 6, 0x800
	v_dual_mov_b32 v16, 0 :: v_dual_add_nc_u32 v13, 0x800, v13
	s_waitcnt lgkmcnt(0)
	v_mad_i64_i32 v[0:1], null, s2, v12, 0
	s_mul_i32 s17, s17, s15
	s_mul_hi_u32 s24, s16, s15
	v_cmp_gt_i32_e32 vcc_lo, s20, v3
	v_lshl_or_b32 v12, v11, 8, v2
	v_mad_i64_i32 v[2:3], null, s3, v5, 0
	s_delay_alu instid0(VALU_DEP_4)
	v_lshlrev_b64 v[0:1], 3, v[0:1]
	s_mul_i32 s16, s16, s15
	s_add_i32 s17, s24, s17
	v_cmp_gt_i32_e64 s2, s20, v5
	s_lshl_b64 s[16:17], s[16:17], 3
	v_mov_b32_e32 v18, 0
	v_add_co_u32 v5, s3, v0, s16
	s_delay_alu instid0(VALU_DEP_1)
	v_add_co_ci_u32_e64 v15, s3, s17, v1, s3
	s_mul_i32 s3, s5, s15
	s_mul_hi_u32 s5, s4, s15
	v_lshlrev_b64 v[0:1], 3, v[2:3]
	s_add_i32 s5, s5, s3
	s_mul_i32 s4, s4, s15
	v_add_co_u32 v2, s3, v5, v14
	s_lshl_b64 s[4:5], s[4:5], 3
	v_add_co_ci_u32_e64 v3, s3, 0, v15, s3
	v_add_co_u32 v0, s3, v0, s4
	s_delay_alu instid0(VALU_DEP_1) | instskip(SKIP_1) | instid1(VALU_DEP_1)
	v_add_co_ci_u32_e64 v1, s3, s5, v1, s3
	v_add_co_u32 v2, s3, v2, s10
	v_add_co_ci_u32_e64 v3, s3, s11, v3, s3
	s_delay_alu instid0(VALU_DEP_4) | instskip(NEXT) | instid1(VALU_DEP_1)
	v_add_co_u32 v4, s3, v0, v4
	v_add_co_ci_u32_e64 v5, s3, 0, v1, s3
	s_delay_alu instid0(VALU_DEP_4) | instskip(NEXT) | instid1(VALU_DEP_1)
	;; [unrolled: 3-line block ×3, first 2 shown]
	v_add_co_u32 v2, s3, s18, v4
	v_add_co_ci_u32_e64 v3, s3, s19, v5, s3
	v_mov_b32_e32 v4, 0
	v_dual_mov_b32 v14, 0 :: v_dual_mov_b32 v15, 0
	v_mov_b32_e32 v20, 0
	v_mov_b32_e32 v22, 0
	s_xor_b32 s3, vcc_lo, -1
	s_xor_b32 s2, s2, -1
	s_branch .LBB380_3
.LBB380_2:                              ;   in Loop: Header=BB380_3 Depth=1
	s_or_b32 exec_lo, exec_lo, s4
	s_waitcnt lgkmcnt(0)
	s_barrier
	buffer_gl0_inv
	ds_load_2addr_b64 v[23:26], v9 offset1:16
	ds_load_b128 v[27:30], v10
	ds_load_b128 v[31:34], v10 offset:1024
	ds_load_b128 v[35:38], v10 offset:16
	;; [unrolled: 1-line block ×4, first 2 shown]
	ds_load_2addr_b64 v[47:50], v9 offset0:32 offset1:48
	ds_load_b128 v[51:54], v10 offset:1040
	v_add_co_u32 v0, vcc_lo, v0, 64
	v_add_co_ci_u32_e32 v1, vcc_lo, 0, v1, vcc_lo
	v_add_co_u32 v2, vcc_lo, v2, 64
	v_add_co_ci_u32_e32 v3, vcc_lo, 0, v3, vcc_lo
	s_add_i32 s14, s14, 8
	s_delay_alu instid0(SALU_CYCLE_1)
	s_cmp_ge_i32 s14, s21
	s_waitcnt lgkmcnt(6)
	v_mul_f32_e32 v5, v28, v24
	v_dual_mul_f32 v55, v27, v24 :: v_dual_mul_f32 v56, v28, v26
	s_waitcnt lgkmcnt(5)
	v_dual_mul_f32 v57, v27, v26 :: v_dual_mul_f32 v58, v32, v24
	v_dual_mul_f32 v24, v31, v24 :: v_dual_mul_f32 v59, v32, v26
	v_mul_f32_e32 v26, v31, v26
	v_fma_f32 v5, v27, v23, -v5
	v_fmac_f32_e32 v55, v28, v23
	v_fma_f32 v27, v27, v25, -v56
	v_fmac_f32_e32 v57, v28, v25
	v_fma_f32 v28, v31, v23, -v58
	v_dual_fmac_f32 v24, v32, v23 :: v_dual_add_f32 v5, v21, v5
	v_fma_f32 v23, v31, v25, -v59
	v_fmac_f32_e32 v26, v32, v25
	s_delay_alu instid0(VALU_DEP_4)
	v_dual_add_f32 v28, v17, v28 :: v_dual_add_f32 v21, v22, v55
	v_dual_add_f32 v22, v19, v27 :: v_dual_add_f32 v27, v20, v57
	v_add_f32_e32 v24, v18, v24
	ds_load_2addr_b64 v[17:20], v9 offset0:64 offset1:80
	s_waitcnt lgkmcnt(2)
	v_dual_mul_f32 v31, v30, v48 :: v_dual_add_f32 v16, v16, v26
	v_dual_add_f32 v15, v15, v23 :: v_dual_mul_f32 v26, v29, v50
	v_mul_f32_e32 v23, v29, v48
	s_delay_alu instid0(VALU_DEP_3) | instskip(SKIP_1) | instid1(VALU_DEP_4)
	v_fma_f32 v25, v29, v47, -v31
	v_mul_f32_e32 v31, v30, v50
	v_fmac_f32_e32 v26, v30, v49
	s_delay_alu instid0(VALU_DEP_4) | instskip(NEXT) | instid1(VALU_DEP_2)
	v_fmac_f32_e32 v23, v30, v47
	v_dual_add_f32 v5, v5, v25 :: v_dual_add_f32 v26, v27, v26
	v_mul_f32_e32 v27, v33, v50
	s_waitcnt lgkmcnt(0)
	s_delay_alu instid0(VALU_DEP_1) | instskip(NEXT) | instid1(VALU_DEP_1)
	v_dual_fmac_f32 v27, v34, v49 :: v_dual_mul_f32 v30, v35, v18
	v_add_f32_e32 v27, v16, v27
	s_delay_alu instid0(VALU_DEP_2) | instskip(SKIP_4) | instid1(VALU_DEP_3)
	v_fmac_f32_e32 v30, v36, v17
	v_fma_f32 v25, v29, v49, -v31
	v_dual_add_f32 v31, v21, v23 :: v_dual_mul_f32 v16, v35, v20
	v_mul_f32_e32 v29, v34, v48
	v_mul_f32_e32 v23, v34, v50
	v_dual_add_f32 v25, v22, v25 :: v_dual_add_f32 v30, v31, v30
	s_delay_alu instid0(VALU_DEP_4) | instskip(NEXT) | instid1(VALU_DEP_4)
	v_fmac_f32_e32 v16, v36, v19
	v_fma_f32 v22, v33, v47, -v29
	v_mul_f32_e32 v21, v33, v48
	v_mul_f32_e32 v31, v52, v18
	s_delay_alu instid0(VALU_DEP_3) | instskip(SKIP_1) | instid1(VALU_DEP_3)
	v_add_f32_e32 v28, v28, v22
	v_fma_f32 v22, v33, v49, -v23
	v_fma_f32 v31, v51, v17, -v31
	s_delay_alu instid0(VALU_DEP_2) | instskip(SKIP_2) | instid1(VALU_DEP_2)
	v_add_f32_e32 v15, v15, v22
	v_mul_f32_e32 v23, v36, v18
	v_dual_mul_f32 v18, v51, v18 :: v_dual_fmac_f32 v21, v34, v47
	v_fma_f32 v32, v35, v17, -v23
	s_delay_alu instid0(VALU_DEP_2) | instskip(NEXT) | instid1(VALU_DEP_3)
	v_fmac_f32_e32 v18, v52, v17
	v_add_f32_e32 v29, v24, v21
	ds_load_2addr_b64 v[21:24], v9 offset0:96 offset1:112
	v_mul_f32_e32 v33, v36, v20
	v_add_f32_e32 v5, v5, v32
	v_add_f32_e32 v31, v28, v31
	s_delay_alu instid0(VALU_DEP_3) | instskip(NEXT) | instid1(VALU_DEP_1)
	v_fma_f32 v32, v35, v19, -v33
	v_add_f32_e32 v25, v25, v32
	v_mul_f32_e32 v32, v52, v20
	v_mul_f32_e32 v20, v51, v20
	s_delay_alu instid0(VALU_DEP_1) | instskip(SKIP_2) | instid1(VALU_DEP_2)
	v_fmac_f32_e32 v20, v52, v19
	s_waitcnt lgkmcnt(0)
	v_mul_f32_e32 v28, v38, v24
	v_add_f32_e32 v34, v27, v20
	v_mul_f32_e32 v20, v37, v24
	s_delay_alu instid0(VALU_DEP_3)
	v_fma_f32 v27, v37, v23, -v28
	v_add_f32_e32 v33, v26, v16
	v_fma_f32 v16, v51, v19, -v32
	v_mul_f32_e32 v26, v37, v22
	v_add_f32_e32 v29, v29, v18
	v_mul_f32_e32 v19, v38, v22
	v_fmac_f32_e32 v20, v38, v23
	v_add_f32_e32 v32, v15, v16
	ds_load_2addr_b64 v[15:18], v9 offset0:128 offset1:144
	v_fmac_f32_e32 v26, v38, v21
	s_delay_alu instid0(VALU_DEP_1) | instskip(SKIP_3) | instid1(VALU_DEP_2)
	v_add_f32_e32 v35, v30, v26
	v_mul_f32_e32 v30, v54, v24
	v_mul_f32_e32 v24, v53, v24
	v_fma_f32 v19, v37, v21, -v19
	v_fmac_f32_e32 v24, v54, v23
	s_delay_alu instid0(VALU_DEP_1) | instskip(SKIP_2) | instid1(VALU_DEP_1)
	v_dual_add_f32 v5, v5, v19 :: v_dual_add_f32 v24, v34, v24
	s_waitcnt lgkmcnt(0)
	v_mul_f32_e32 v34, v39, v18
	v_dual_mul_f32 v19, v54, v22 :: v_dual_fmac_f32 v34, v40, v17
	s_delay_alu instid0(VALU_DEP_1) | instskip(NEXT) | instid1(VALU_DEP_1)
	v_fma_f32 v19, v53, v21, -v19
	v_dual_mul_f32 v22, v53, v22 :: v_dual_add_f32 v37, v31, v19
	s_delay_alu instid0(VALU_DEP_1)
	v_fmac_f32_e32 v22, v54, v21
	v_add_f32_e32 v36, v25, v27
	ds_load_b128 v[25:28], v10 offset:1056
	v_add_f32_e32 v33, v33, v20
	v_fma_f32 v20, v53, v23, -v30
	v_dual_mul_f32 v19, v40, v16 :: v_dual_add_f32 v38, v29, v22
	v_dual_mul_f32 v47, v39, v16 :: v_dual_mul_f32 v30, v40, v18
	s_delay_alu instid0(VALU_DEP_3) | instskip(NEXT) | instid1(VALU_DEP_3)
	v_add_f32_e32 v23, v32, v20
	v_fma_f32 v29, v39, v15, -v19
	ds_load_2addr_b64 v[19:22], v9 offset0:160 offset1:176
	v_fmac_f32_e32 v47, v40, v15
	v_fma_f32 v39, v39, v17, -v30
	v_add_f32_e32 v5, v5, v29
	ds_load_b128 v[29:32], v10 offset:1072
	v_add_f32_e32 v36, v36, v39
	s_waitcnt lgkmcnt(2)
	v_mul_f32_e32 v48, v26, v16
	v_mul_f32_e32 v16, v25, v16
	v_dual_mul_f32 v40, v26, v18 :: v_dual_add_f32 v35, v35, v47
	v_add_f32_e32 v33, v33, v34
	s_delay_alu instid0(VALU_DEP_4) | instskip(NEXT) | instid1(VALU_DEP_4)
	v_fma_f32 v39, v25, v15, -v48
	v_fmac_f32_e32 v16, v26, v15
	v_mul_f32_e32 v34, v25, v18
	v_fma_f32 v15, v25, v17, -v40
	s_waitcnt lgkmcnt(1)
	v_dual_mul_f32 v18, v42, v20 :: v_dual_add_f32 v37, v37, v39
	v_mul_f32_e32 v39, v42, v22
	v_fmac_f32_e32 v34, v26, v17
	v_add_f32_e32 v25, v38, v16
	v_add_f32_e32 v23, v23, v15
	v_fma_f32 v38, v41, v19, -v18
	v_mul_f32_e32 v26, v41, v20
	ds_load_2addr_b64 v[15:18], v9 offset0:192 offset1:208
	v_add_f32_e32 v5, v5, v38
	v_add_f32_e32 v34, v24, v34
	v_mul_f32_e32 v24, v41, v22
	v_fma_f32 v38, v41, v21, -v39
	s_delay_alu instid0(VALU_DEP_2) | instskip(SKIP_1) | instid1(VALU_DEP_3)
	v_fmac_f32_e32 v24, v42, v21
	v_fmac_f32_e32 v26, v42, v19
	v_add_f32_e32 v36, v36, v38
	s_delay_alu instid0(VALU_DEP_2) | instskip(NEXT) | instid1(VALU_DEP_1)
	v_dual_add_f32 v35, v35, v26 :: v_dual_mul_f32 v26, v28, v20
	v_fma_f32 v26, v27, v19, -v26
	v_mul_f32_e32 v20, v27, v20
	s_delay_alu instid0(VALU_DEP_1) | instskip(SKIP_2) | instid1(VALU_DEP_1)
	v_dual_fmac_f32 v20, v28, v19 :: v_dual_add_f32 v19, v33, v24
	s_waitcnt lgkmcnt(0)
	v_mul_f32_e32 v33, v44, v16
	v_fma_f32 v33, v43, v15, -v33
	v_mul_f32_e32 v38, v28, v22
	s_delay_alu instid0(VALU_DEP_2) | instskip(NEXT) | instid1(VALU_DEP_2)
	v_dual_mul_f32 v22, v27, v22 :: v_dual_add_f32 v5, v5, v33
	v_fma_f32 v24, v27, v21, -v38
	v_add_f32_e32 v27, v37, v26
	v_mul_f32_e32 v37, v43, v18
	v_mul_f32_e32 v33, v30, v16
	s_delay_alu instid0(VALU_DEP_2)
	v_dual_add_f32 v20, v25, v20 :: v_dual_fmac_f32 v37, v44, v17
	v_dual_fmac_f32 v22, v28, v21 :: v_dual_add_f32 v21, v23, v24
	ds_load_2addr_b64 v[23:26], v9 offset0:224 offset1:240
	v_mul_f32_e32 v28, v43, v16
	v_mul_f32_e32 v16, v29, v16
	v_fma_f32 v33, v29, v15, -v33
	s_waitcnt lgkmcnt(0)
	s_barrier
	v_fmac_f32_e32 v28, v44, v15
	s_delay_alu instid0(VALU_DEP_2)
	v_dual_fmac_f32 v16, v30, v15 :: v_dual_add_f32 v15, v27, v33
	buffer_gl0_inv
	v_dual_add_f32 v28, v35, v28 :: v_dual_mul_f32 v35, v30, v18
	v_mul_f32_e32 v27, v46, v24
	v_add_f32_e32 v22, v34, v22
	v_mul_f32_e32 v34, v44, v18
	s_delay_alu instid0(VALU_DEP_1) | instskip(NEXT) | instid1(VALU_DEP_1)
	v_fma_f32 v34, v43, v17, -v34
	v_add_f32_e32 v34, v36, v34
	v_add_f32_e32 v36, v19, v37
	v_mul_f32_e32 v18, v29, v18
	v_fma_f32 v19, v29, v17, -v35
	s_delay_alu instid0(VALU_DEP_2) | instskip(NEXT) | instid1(VALU_DEP_2)
	v_dual_mul_f32 v29, v45, v24 :: v_dual_fmac_f32 v18, v30, v17
	v_add_f32_e32 v30, v21, v19
	v_fma_f32 v17, v45, v23, -v27
	v_mul_f32_e32 v19, v46, v26
	s_delay_alu instid0(VALU_DEP_4) | instskip(SKIP_1) | instid1(VALU_DEP_4)
	v_fmac_f32_e32 v29, v46, v23
	v_dual_add_f32 v27, v22, v18 :: v_dual_mul_f32 v18, v31, v24
	v_add_f32_e32 v21, v5, v17
	s_delay_alu instid0(VALU_DEP_4)
	v_fma_f32 v5, v45, v25, -v19
	v_mul_f32_e32 v17, v32, v24
	v_mul_f32_e32 v24, v32, v26
	v_fmac_f32_e32 v18, v32, v23
	v_add_f32_e32 v22, v28, v29
	v_add_f32_e32 v19, v34, v5
	v_fma_f32 v5, v31, v23, -v17
	v_fma_f32 v23, v31, v25, -v24
	v_add_f32_e32 v16, v20, v16
	v_mul_f32_e32 v20, v45, v26
	v_mul_f32_e32 v26, v31, v26
	v_add_f32_e32 v17, v15, v5
	s_delay_alu instid0(VALU_DEP_4) | instskip(NEXT) | instid1(VALU_DEP_4)
	v_dual_add_f32 v15, v30, v23 :: v_dual_add_f32 v18, v16, v18
	v_fmac_f32_e32 v20, v46, v25
	s_delay_alu instid0(VALU_DEP_4) | instskip(NEXT) | instid1(VALU_DEP_2)
	v_fmac_f32_e32 v26, v32, v25
	v_add_f32_e32 v20, v36, v20
	s_delay_alu instid0(VALU_DEP_2)
	v_add_f32_e32 v16, v27, v26
	s_cbranch_scc1 .LBB380_11
.LBB380_3:                              ; =>This Inner Loop Header: Depth=1
	v_add_nc_u32_e32 v5, s14, v11
                                        ; implicit-def: $sgpr5
	s_delay_alu instid0(VALU_DEP_1) | instskip(SKIP_1) | instid1(SALU_CYCLE_1)
	v_cmp_le_i32_e32 vcc_lo, s21, v5
	s_or_b32 s4, s3, vcc_lo
	s_and_saveexec_b32 s10, s4
	s_delay_alu instid0(SALU_CYCLE_1)
	s_xor_b32 s4, exec_lo, s10
	s_cbranch_execz .LBB380_5
; %bb.4:                                ;   in Loop: Header=BB380_3 Depth=1
	s_mov_b32 s5, 0
	ds_store_b32 v12, v14
.LBB380_5:                              ;   in Loop: Header=BB380_3 Depth=1
	s_or_saveexec_b32 s4, s4
	v_mov_b32_e32 v5, s5
	s_xor_b32 exec_lo, exec_lo, s4
	s_cbranch_execz .LBB380_7
; %bb.6:                                ;   in Loop: Header=BB380_3 Depth=1
	global_load_b64 v[23:24], v[0:1], off offset:-4
	s_waitcnt vmcnt(0)
	v_xor_b32_e32 v5, 0x80000000, v24
	ds_store_b32 v12, v23
.LBB380_7:                              ;   in Loop: Header=BB380_3 Depth=1
	s_or_b32 exec_lo, exec_lo, s4
	v_add_nc_u32_e32 v23, s14, v8
	ds_store_b32 v12, v5 offset:4
	v_cmp_le_i32_e32 vcc_lo, s21, v23
	s_or_b32 s4, vcc_lo, s2
	s_delay_alu instid0(SALU_CYCLE_1) | instskip(NEXT) | instid1(SALU_CYCLE_1)
	s_and_saveexec_b32 s5, s4
	s_xor_b32 s4, exec_lo, s5
	s_cbranch_execz .LBB380_9
; %bb.8:                                ;   in Loop: Header=BB380_3 Depth=1
	v_mov_b32_e32 v5, v4
	ds_store_b64 v13, v[4:5]
.LBB380_9:                              ;   in Loop: Header=BB380_3 Depth=1
	s_and_not1_saveexec_b32 s4, s4
	s_cbranch_execz .LBB380_2
; %bb.10:                               ;   in Loop: Header=BB380_3 Depth=1
	global_load_b64 v[23:24], v[2:3], off
	s_waitcnt vmcnt(0)
	ds_store_b64 v13, v[23:24]
	s_branch .LBB380_2
.LBB380_11:
	s_clause 0x1
	s_load_b32 s2, s[0:1], 0x50
	s_load_b64 s[0:1], s[0:1], 0x58
	v_add_nc_u32_e32 v5, s13, v7
	v_add_nc_u32_e32 v0, s12, v6
	s_delay_alu instid0(VALU_DEP_2)
	v_cmp_gt_i32_e32 vcc_lo, s20, v5
	s_waitcnt lgkmcnt(0)
	v_mad_i64_i32 v[1:2], null, v5, s2, 0
	s_mul_i32 s1, s15, s1
	s_mul_hi_u32 s3, s15, s0
	s_mul_i32 s0, s15, s0
	s_add_i32 s1, s3, s1
	s_delay_alu instid0(SALU_CYCLE_1) | instskip(NEXT) | instid1(VALU_DEP_1)
	s_lshl_b64 s[4:5], s[0:1], 3
	v_lshlrev_b64 v[1:2], 3, v[1:2]
	s_add_u32 s3, s22, s4
	v_cmp_le_i32_e64 s0, v0, v5
	s_addc_u32 s4, s23, s5
	s_delay_alu instid0(VALU_DEP_2) | instskip(NEXT) | instid1(VALU_DEP_1)
	v_add_co_u32 v4, s1, s3, v1
	v_add_co_ci_u32_e64 v6, s1, s4, v2, s1
	s_delay_alu instid0(VALU_DEP_3) | instskip(NEXT) | instid1(SALU_CYCLE_1)
	s_and_b32 s0, vcc_lo, s0
	s_and_saveexec_b32 s1, s0
	s_cbranch_execz .LBB380_14
; %bb.12:
	v_ashrrev_i32_e32 v1, 31, v0
	s_delay_alu instid0(VALU_DEP_1) | instskip(NEXT) | instid1(VALU_DEP_1)
	v_lshlrev_b64 v[1:2], 3, v[0:1]
	v_add_co_u32 v1, s0, v4, v1
	s_delay_alu instid0(VALU_DEP_1)
	v_add_co_ci_u32_e64 v2, s0, v6, v2, s0
	v_cmp_eq_u32_e64 s0, v5, v0
	global_load_b64 v[7:8], v[1:2], off
	v_mul_f32_e32 v3, s9, v22
	s_waitcnt vmcnt(0)
	v_dual_mul_f32 v9, s8, v22 :: v_dual_mul_f32 v10, s7, v8
	v_mul_f32_e32 v8, s6, v8
	s_delay_alu instid0(VALU_DEP_3) | instskip(NEXT) | instid1(VALU_DEP_3)
	v_fma_f32 v3, v21, s8, -v3
	v_fmac_f32_e32 v9, s9, v21
	s_delay_alu instid0(VALU_DEP_4) | instskip(NEXT) | instid1(VALU_DEP_1)
	v_fma_f32 v10, v7, s6, -v10
	v_dual_fmac_f32 v8, s7, v7 :: v_dual_add_f32 v7, v3, v10
	s_delay_alu instid0(VALU_DEP_1)
	v_add_f32_e32 v8, v9, v8
	global_store_b64 v[1:2], v[7:8], off
	s_and_b32 exec_lo, exec_lo, s0
	s_cbranch_execz .LBB380_14
; %bb.13:
	v_mov_b32_e32 v3, 0
	global_store_b32 v[1:2], v3, off offset:4
.LBB380_14:
	s_or_b32 exec_lo, exec_lo, s1
	v_add_nc_u32_e32 v2, 16, v0
	s_delay_alu instid0(VALU_DEP_1) | instskip(NEXT) | instid1(VALU_DEP_1)
	v_cmp_le_i32_e64 s0, v2, v5
	s_and_b32 s1, vcc_lo, s0
	s_delay_alu instid0(SALU_CYCLE_1)
	s_and_saveexec_b32 s0, s1
	s_cbranch_execz .LBB380_17
; %bb.15:
	v_ashrrev_i32_e32 v3, 31, v2
	s_delay_alu instid0(VALU_DEP_1) | instskip(NEXT) | instid1(VALU_DEP_1)
	v_lshlrev_b64 v[7:8], 3, v[2:3]
	v_add_co_u32 v3, vcc_lo, v4, v7
	s_delay_alu instid0(VALU_DEP_2) | instskip(SKIP_4) | instid1(VALU_DEP_1)
	v_add_co_ci_u32_e32 v4, vcc_lo, v6, v8, vcc_lo
	v_cmp_eq_u32_e32 vcc_lo, v5, v2
	global_load_b64 v[6:7], v[3:4], off
	s_waitcnt vmcnt(0)
	v_dual_mul_f32 v8, s8, v20 :: v_dual_mul_f32 v9, s7, v7
	v_dual_mul_f32 v1, s9, v20 :: v_dual_fmac_f32 v8, s9, v19
	s_delay_alu instid0(VALU_DEP_2) | instskip(NEXT) | instid1(VALU_DEP_2)
	v_fma_f32 v9, v6, s6, -v9
	v_fma_f32 v1, v19, s8, -v1
	v_mul_f32_e32 v7, s6, v7
	s_delay_alu instid0(VALU_DEP_1) | instskip(NEXT) | instid1(VALU_DEP_1)
	v_dual_fmac_f32 v7, s7, v6 :: v_dual_add_f32 v6, v1, v9
	v_add_f32_e32 v7, v8, v7
	global_store_b64 v[3:4], v[6:7], off
	s_and_b32 exec_lo, exec_lo, vcc_lo
	s_cbranch_execz .LBB380_17
; %bb.16:
	v_mov_b32_e32 v1, 0
	global_store_b32 v[3:4], v1, off offset:4
.LBB380_17:
	s_or_b32 exec_lo, exec_lo, s0
	v_add_nc_u32_e32 v8, 16, v5
	s_delay_alu instid0(VALU_DEP_1) | instskip(SKIP_2) | instid1(VALU_DEP_1)
	v_mad_i64_i32 v[3:4], null, v8, s2, 0
	v_cmp_gt_i32_e32 vcc_lo, s20, v8
	v_cmp_le_i32_e64 s0, v0, v8
	s_and_b32 s0, vcc_lo, s0
	s_delay_alu instid0(VALU_DEP_3) | instskip(NEXT) | instid1(VALU_DEP_1)
	v_lshlrev_b64 v[3:4], 3, v[3:4]
	v_add_co_u32 v6, s1, s3, v3
	s_delay_alu instid0(VALU_DEP_1)
	v_add_co_ci_u32_e64 v7, s1, s4, v4, s1
	s_and_saveexec_b32 s1, s0
	s_cbranch_execz .LBB380_20
; %bb.18:
	v_ashrrev_i32_e32 v1, 31, v0
	v_mul_f32_e32 v11, s8, v18
	s_delay_alu instid0(VALU_DEP_2) | instskip(NEXT) | instid1(VALU_DEP_2)
	v_lshlrev_b64 v[3:4], 3, v[0:1]
	v_fmac_f32_e32 v11, s9, v17
	s_delay_alu instid0(VALU_DEP_2) | instskip(NEXT) | instid1(VALU_DEP_1)
	v_add_co_u32 v3, s0, v6, v3
	v_add_co_ci_u32_e64 v4, s0, v7, v4, s0
	v_cmp_eq_u32_e64 s0, v8, v0
	global_load_b64 v[9:10], v[3:4], off
	s_waitcnt vmcnt(0)
	v_mul_f32_e32 v12, s7, v10
	s_delay_alu instid0(VALU_DEP_1) | instskip(SKIP_1) | instid1(VALU_DEP_1)
	v_fma_f32 v12, v9, s6, -v12
	v_mul_f32_e32 v10, s6, v10
	v_dual_mul_f32 v1, s9, v18 :: v_dual_fmac_f32 v10, s7, v9
	s_delay_alu instid0(VALU_DEP_1) | instskip(NEXT) | instid1(VALU_DEP_1)
	v_fma_f32 v1, v17, s8, -v1
	v_dual_add_f32 v10, v11, v10 :: v_dual_add_f32 v9, v1, v12
	global_store_b64 v[3:4], v[9:10], off
	s_and_b32 exec_lo, exec_lo, s0
	s_cbranch_execz .LBB380_20
; %bb.19:
	v_mov_b32_e32 v1, 0
	global_store_b32 v[3:4], v1, off offset:4
.LBB380_20:
	s_or_b32 exec_lo, exec_lo, s1
	v_cmp_le_i32_e64 s0, v2, v8
	s_delay_alu instid0(VALU_DEP_1) | instskip(NEXT) | instid1(SALU_CYCLE_1)
	s_and_b32 s0, vcc_lo, s0
	s_and_saveexec_b32 s1, s0
	s_cbranch_execz .LBB380_23
; %bb.21:
	v_ashrrev_i32_e32 v3, 31, v2
	s_delay_alu instid0(VALU_DEP_1) | instskip(NEXT) | instid1(VALU_DEP_1)
	v_lshlrev_b64 v[1:2], 3, v[2:3]
	v_add_co_u32 v1, vcc_lo, v6, v1
	s_delay_alu instid0(VALU_DEP_2)
	v_add_co_ci_u32_e32 v2, vcc_lo, v7, v2, vcc_lo
	v_cmp_eq_u32_e32 vcc_lo, v5, v0
	global_load_b64 v[3:4], v[1:2], off
	s_waitcnt vmcnt(0)
	v_mul_f32_e32 v8, s7, v4
	v_mul_f32_e32 v4, s6, v4
	;; [unrolled: 1-line block ×3, first 2 shown]
	s_delay_alu instid0(VALU_DEP_3) | instskip(NEXT) | instid1(VALU_DEP_3)
	v_fma_f32 v8, v3, s6, -v8
	v_fmac_f32_e32 v4, s7, v3
	s_delay_alu instid0(VALU_DEP_3) | instskip(NEXT) | instid1(VALU_DEP_1)
	v_dual_mul_f32 v6, s9, v16 :: v_dual_fmac_f32 v7, s9, v15
	v_fma_f32 v6, v15, s8, -v6
	s_delay_alu instid0(VALU_DEP_2) | instskip(NEXT) | instid1(VALU_DEP_2)
	v_add_f32_e32 v4, v7, v4
	v_add_f32_e32 v3, v6, v8
	global_store_b64 v[1:2], v[3:4], off
	s_and_b32 exec_lo, exec_lo, vcc_lo
	s_cbranch_execz .LBB380_23
; %bb.22:
	v_mov_b32_e32 v0, 0
	global_store_b32 v[1:2], v0, off offset:4
.LBB380_23:
	s_nop 0
	s_sendmsg sendmsg(MSG_DEALLOC_VGPRS)
	s_endpgm
	.section	.rodata,"a",@progbits
	.p2align	6, 0x0
	.amdhsa_kernel _ZL34rocblas_syrkx_herkx_general_kernelIi19rocblas_complex_numIfELi16ELi32ELi8ELb0ELb1ELc67ELc85EKS1_S1_EviT_T0_PT8_S3_lS6_S3_lS4_PT9_S3_li
		.amdhsa_group_segment_fixed_size 4096
		.amdhsa_private_segment_fixed_size 0
		.amdhsa_kernarg_size 100
		.amdhsa_user_sgpr_count 13
		.amdhsa_user_sgpr_dispatch_ptr 0
		.amdhsa_user_sgpr_queue_ptr 0
		.amdhsa_user_sgpr_kernarg_segment_ptr 1
		.amdhsa_user_sgpr_dispatch_id 0
		.amdhsa_user_sgpr_private_segment_size 0
		.amdhsa_wavefront_size32 1
		.amdhsa_uses_dynamic_stack 0
		.amdhsa_enable_private_segment 0
		.amdhsa_system_sgpr_workgroup_id_x 1
		.amdhsa_system_sgpr_workgroup_id_y 1
		.amdhsa_system_sgpr_workgroup_id_z 1
		.amdhsa_system_sgpr_workgroup_info 0
		.amdhsa_system_vgpr_workitem_id 1
		.amdhsa_next_free_vgpr 60
		.amdhsa_next_free_sgpr 25
		.amdhsa_reserve_vcc 1
		.amdhsa_float_round_mode_32 0
		.amdhsa_float_round_mode_16_64 0
		.amdhsa_float_denorm_mode_32 3
		.amdhsa_float_denorm_mode_16_64 3
		.amdhsa_dx10_clamp 1
		.amdhsa_ieee_mode 1
		.amdhsa_fp16_overflow 0
		.amdhsa_workgroup_processor_mode 1
		.amdhsa_memory_ordered 1
		.amdhsa_forward_progress 0
		.amdhsa_shared_vgpr_count 0
		.amdhsa_exception_fp_ieee_invalid_op 0
		.amdhsa_exception_fp_denorm_src 0
		.amdhsa_exception_fp_ieee_div_zero 0
		.amdhsa_exception_fp_ieee_overflow 0
		.amdhsa_exception_fp_ieee_underflow 0
		.amdhsa_exception_fp_ieee_inexact 0
		.amdhsa_exception_int_div_zero 0
	.end_amdhsa_kernel
	.section	.text._ZL34rocblas_syrkx_herkx_general_kernelIi19rocblas_complex_numIfELi16ELi32ELi8ELb0ELb1ELc67ELc85EKS1_S1_EviT_T0_PT8_S3_lS6_S3_lS4_PT9_S3_li,"axG",@progbits,_ZL34rocblas_syrkx_herkx_general_kernelIi19rocblas_complex_numIfELi16ELi32ELi8ELb0ELb1ELc67ELc85EKS1_S1_EviT_T0_PT8_S3_lS6_S3_lS4_PT9_S3_li,comdat
.Lfunc_end380:
	.size	_ZL34rocblas_syrkx_herkx_general_kernelIi19rocblas_complex_numIfELi16ELi32ELi8ELb0ELb1ELc67ELc85EKS1_S1_EviT_T0_PT8_S3_lS6_S3_lS4_PT9_S3_li, .Lfunc_end380-_ZL34rocblas_syrkx_herkx_general_kernelIi19rocblas_complex_numIfELi16ELi32ELi8ELb0ELb1ELc67ELc85EKS1_S1_EviT_T0_PT8_S3_lS6_S3_lS4_PT9_S3_li
                                        ; -- End function
	.section	.AMDGPU.csdata,"",@progbits
; Kernel info:
; codeLenInByte = 2776
; NumSgprs: 27
; NumVgprs: 60
; ScratchSize: 0
; MemoryBound: 1
; FloatMode: 240
; IeeeMode: 1
; LDSByteSize: 4096 bytes/workgroup (compile time only)
; SGPRBlocks: 3
; VGPRBlocks: 7
; NumSGPRsForWavesPerEU: 27
; NumVGPRsForWavesPerEU: 60
; Occupancy: 16
; WaveLimiterHint : 0
; COMPUTE_PGM_RSRC2:SCRATCH_EN: 0
; COMPUTE_PGM_RSRC2:USER_SGPR: 13
; COMPUTE_PGM_RSRC2:TRAP_HANDLER: 0
; COMPUTE_PGM_RSRC2:TGID_X_EN: 1
; COMPUTE_PGM_RSRC2:TGID_Y_EN: 1
; COMPUTE_PGM_RSRC2:TGID_Z_EN: 1
; COMPUTE_PGM_RSRC2:TIDIG_COMP_CNT: 1
	.section	.text._ZL34rocblas_syrkx_herkx_general_kernelIi19rocblas_complex_numIfELi16ELi32ELi8ELb0ELb1ELc78ELc85EKS1_S1_EviT_T0_PT8_S3_lS6_S3_lS4_PT9_S3_li,"axG",@progbits,_ZL34rocblas_syrkx_herkx_general_kernelIi19rocblas_complex_numIfELi16ELi32ELi8ELb0ELb1ELc78ELc85EKS1_S1_EviT_T0_PT8_S3_lS6_S3_lS4_PT9_S3_li,comdat
	.globl	_ZL34rocblas_syrkx_herkx_general_kernelIi19rocblas_complex_numIfELi16ELi32ELi8ELb0ELb1ELc78ELc85EKS1_S1_EviT_T0_PT8_S3_lS6_S3_lS4_PT9_S3_li ; -- Begin function _ZL34rocblas_syrkx_herkx_general_kernelIi19rocblas_complex_numIfELi16ELi32ELi8ELb0ELb1ELc78ELc85EKS1_S1_EviT_T0_PT8_S3_lS6_S3_lS4_PT9_S3_li
	.p2align	8
	.type	_ZL34rocblas_syrkx_herkx_general_kernelIi19rocblas_complex_numIfELi16ELi32ELi8ELb0ELb1ELc78ELc85EKS1_S1_EviT_T0_PT8_S3_lS6_S3_lS4_PT9_S3_li,@function
_ZL34rocblas_syrkx_herkx_general_kernelIi19rocblas_complex_numIfELi16ELi32ELi8ELb0ELb1ELc78ELc85EKS1_S1_EviT_T0_PT8_S3_lS6_S3_lS4_PT9_S3_li: ; @_ZL34rocblas_syrkx_herkx_general_kernelIi19rocblas_complex_numIfELi16ELi32ELi8ELb0ELb1ELc78ELc85EKS1_S1_EviT_T0_PT8_S3_lS6_S3_lS4_PT9_S3_li
; %bb.0:
	s_clause 0x3
	s_load_b64 s[20:21], s[0:1], 0x0
	s_load_b128 s[8:11], s[0:1], 0x8
	s_load_b128 s[4:7], s[0:1], 0x38
	s_load_b64 s[22:23], s[0:1], 0x48
	v_dual_mov_b32 v21, 0 :: v_dual_and_b32 v6, 0x3ff, v0
	v_bfe_u32 v7, v0, 10, 10
	v_dual_mov_b32 v22, 0 :: v_dual_mov_b32 v19, 0
	v_dual_mov_b32 v20, 0 :: v_dual_mov_b32 v17, 0
	;; [unrolled: 1-line block ×3, first 2 shown]
	v_mov_b32_e32 v16, 0
	s_lshl_b32 s26, s13, 5
	s_lshl_b32 s14, s14, 5
	s_mov_b32 s27, 0
	s_waitcnt lgkmcnt(0)
	s_cmp_lt_i32 s21, 1
	s_cbranch_scc1 .LBB381_11
; %bb.1:
	s_load_b32 s24, s[0:1], 0x18
	v_lshl_add_u32 v0, v7, 4, v6
	s_clause 0x1
	s_load_b128 s[16:19], s[0:1], 0x20
	s_load_b32 s12, s[0:1], 0x30
	v_and_b32_e32 v8, 7, v6
	v_lshlrev_b32_e32 v9, 3, v6
	v_lshl_add_u32 v10, v7, 6, 0x800
	v_and_b32_e32 v1, 31, v0
	v_lshrrev_b32_e32 v2, 3, v0
	v_lshlrev_b32_e32 v3, 3, v8
	v_lshrrev_b32_e32 v11, 5, v0
	v_mov_b32_e32 v18, 0
	v_or_b32_e32 v4, s26, v1
	v_lshlrev_b32_e32 v5, 3, v1
	v_lshl_or_b32 v13, v2, 6, v3
	v_add_nc_u32_e32 v0, s14, v2
	v_mov_b32_e32 v20, 0
	v_cmp_gt_i32_e32 vcc_lo, s20, v4
	v_lshl_or_b32 v12, v11, 8, v5
	v_dual_mov_b32 v22, 0 :: v_dual_add_nc_u32 v13, 0x800, v13
	v_mov_b32_e32 v21, 0
	s_waitcnt lgkmcnt(0)
	v_mad_i64_i32 v[3:4], null, v11, s24, 0
	s_mul_i32 s3, s17, s15
	s_mul_hi_u32 s17, s16, s15
	v_mad_i64_i32 v[14:15], null, s12, v8, 0
	s_mul_i32 s16, s16, s15
	s_add_i32 s17, s17, s3
	s_delay_alu instid0(VALU_DEP_2) | instskip(SKIP_4) | instid1(VALU_DEP_2)
	v_lshlrev_b64 v[3:4], 3, v[3:4]
	s_lshl_b64 s[16:17], s[16:17], 3
	s_ashr_i32 s25, s24, 31
	s_ashr_i32 s13, s12, 31
	v_mov_b32_e32 v19, 0
	v_add_co_u32 v16, s3, v3, s16
	s_delay_alu instid0(VALU_DEP_1)
	v_add_co_ci_u32_e64 v17, s3, s17, v4, s3
	v_lshlrev_b64 v[4:5], 3, v[14:15]
	v_mov_b32_e32 v14, 0
	v_add_nc_u32_e32 v2, s26, v1
	s_mul_i32 s3, s5, s15
	s_mul_hi_u32 s5, s4, s15
	s_mul_i32 s4, s4, s15
	s_add_i32 s5, s5, s3
	v_ashrrev_i32_e32 v3, 31, v2
	s_lshl_b64 s[4:5], s[4:5], 3
	v_mov_b32_e32 v15, 0
	v_add_co_u32 v4, s3, s4, v4
	s_delay_alu instid0(VALU_DEP_3) | instskip(SKIP_2) | instid1(VALU_DEP_2)
	v_lshlrev_b64 v[2:3], 3, v[2:3]
	v_add_co_ci_u32_e64 v5, s3, s5, v5, s3
	s_lshl_b64 s[4:5], s[24:25], 6
	v_add_co_u32 v2, s3, v16, v2
	s_delay_alu instid0(VALU_DEP_1) | instskip(SKIP_4) | instid1(VALU_DEP_3)
	v_add_co_ci_u32_e64 v3, s3, v17, v3, s3
	v_mov_b32_e32 v17, 0
	v_ashrrev_i32_e32 v1, 31, v0
	v_cmp_gt_i32_e64 s2, s20, v0
	v_mov_b32_e32 v16, 0
	v_lshlrev_b64 v[0:1], 3, v[0:1]
	s_delay_alu instid0(VALU_DEP_3) | instskip(NEXT) | instid1(VALU_DEP_1)
	s_xor_b32 s2, s2, -1
	v_add_co_u32 v4, s3, v4, v0
	s_delay_alu instid0(VALU_DEP_1) | instskip(SKIP_1) | instid1(VALU_DEP_1)
	v_add_co_ci_u32_e64 v5, s3, v5, v1, s3
	v_add_co_u32 v0, s3, s10, v2
	v_add_co_ci_u32_e64 v1, s3, s11, v3, s3
	s_delay_alu instid0(VALU_DEP_4) | instskip(NEXT) | instid1(VALU_DEP_1)
	v_add_co_u32 v2, s3, v4, s18
	v_add_co_ci_u32_e64 v3, s3, s19, v5, s3
	v_mov_b32_e32 v4, 0
	s_delay_alu instid0(VALU_DEP_3) | instskip(NEXT) | instid1(VALU_DEP_1)
	v_add_co_u32 v2, s3, v2, 4
	v_add_co_ci_u32_e64 v3, s3, 0, v3, s3
	s_lshl_b64 s[10:11], s[12:13], 6
	s_xor_b32 s3, vcc_lo, -1
	s_branch .LBB381_3
.LBB381_2:                              ;   in Loop: Header=BB381_3 Depth=1
	s_or_b32 exec_lo, exec_lo, s12
	ds_store_b32 v13, v5 offset:4
	s_waitcnt lgkmcnt(0)
	s_barrier
	buffer_gl0_inv
	ds_load_2addr_b64 v[23:26], v9 offset1:16
	ds_load_b128 v[27:30], v10
	ds_load_b128 v[31:34], v10 offset:1024
	ds_load_b128 v[35:38], v10 offset:16
	ds_load_b128 v[39:42], v10 offset:32
	ds_load_b128 v[43:46], v10 offset:48
	ds_load_2addr_b64 v[47:50], v9 offset0:32 offset1:48
	ds_load_b128 v[51:54], v10 offset:1040
	v_add_co_u32 v0, vcc_lo, v0, s4
	v_add_co_ci_u32_e32 v1, vcc_lo, s5, v1, vcc_lo
	v_add_co_u32 v2, vcc_lo, v2, s10
	v_add_co_ci_u32_e32 v3, vcc_lo, s11, v3, vcc_lo
	s_add_i32 s27, s27, 8
	s_delay_alu instid0(SALU_CYCLE_1)
	s_cmp_ge_i32 s27, s21
	s_waitcnt lgkmcnt(6)
	v_mul_f32_e32 v5, v28, v24
	v_dual_mul_f32 v55, v27, v24 :: v_dual_mul_f32 v56, v28, v26
	s_waitcnt lgkmcnt(5)
	v_dual_mul_f32 v57, v27, v26 :: v_dual_mul_f32 v58, v32, v24
	v_dual_mul_f32 v24, v31, v24 :: v_dual_mul_f32 v59, v32, v26
	v_mul_f32_e32 v26, v31, v26
	v_fma_f32 v5, v27, v23, -v5
	v_fmac_f32_e32 v55, v28, v23
	v_fma_f32 v27, v27, v25, -v56
	v_fmac_f32_e32 v57, v28, v25
	v_fma_f32 v28, v31, v23, -v58
	v_dual_fmac_f32 v24, v32, v23 :: v_dual_add_f32 v5, v21, v5
	v_fma_f32 v23, v31, v25, -v59
	v_fmac_f32_e32 v26, v32, v25
	s_delay_alu instid0(VALU_DEP_4)
	v_dual_add_f32 v28, v17, v28 :: v_dual_add_f32 v21, v22, v55
	v_dual_add_f32 v22, v19, v27 :: v_dual_add_f32 v27, v20, v57
	v_add_f32_e32 v24, v18, v24
	ds_load_2addr_b64 v[17:20], v9 offset0:64 offset1:80
	s_waitcnt lgkmcnt(2)
	v_dual_mul_f32 v31, v30, v48 :: v_dual_add_f32 v16, v16, v26
	v_dual_add_f32 v15, v15, v23 :: v_dual_mul_f32 v26, v29, v50
	v_mul_f32_e32 v23, v29, v48
	s_delay_alu instid0(VALU_DEP_3) | instskip(SKIP_1) | instid1(VALU_DEP_4)
	v_fma_f32 v25, v29, v47, -v31
	v_mul_f32_e32 v31, v30, v50
	v_fmac_f32_e32 v26, v30, v49
	s_delay_alu instid0(VALU_DEP_4) | instskip(NEXT) | instid1(VALU_DEP_2)
	v_fmac_f32_e32 v23, v30, v47
	v_dual_add_f32 v5, v5, v25 :: v_dual_add_f32 v26, v27, v26
	v_mul_f32_e32 v27, v33, v50
	s_waitcnt lgkmcnt(0)
	s_delay_alu instid0(VALU_DEP_1) | instskip(NEXT) | instid1(VALU_DEP_1)
	v_dual_fmac_f32 v27, v34, v49 :: v_dual_mul_f32 v30, v35, v18
	v_add_f32_e32 v27, v16, v27
	s_delay_alu instid0(VALU_DEP_2) | instskip(SKIP_4) | instid1(VALU_DEP_3)
	v_fmac_f32_e32 v30, v36, v17
	v_fma_f32 v25, v29, v49, -v31
	v_dual_add_f32 v31, v21, v23 :: v_dual_mul_f32 v16, v35, v20
	v_mul_f32_e32 v29, v34, v48
	v_mul_f32_e32 v23, v34, v50
	v_dual_add_f32 v25, v22, v25 :: v_dual_add_f32 v30, v31, v30
	s_delay_alu instid0(VALU_DEP_4) | instskip(NEXT) | instid1(VALU_DEP_4)
	v_fmac_f32_e32 v16, v36, v19
	v_fma_f32 v22, v33, v47, -v29
	v_mul_f32_e32 v21, v33, v48
	v_mul_f32_e32 v31, v52, v18
	s_delay_alu instid0(VALU_DEP_3) | instskip(SKIP_1) | instid1(VALU_DEP_3)
	v_add_f32_e32 v28, v28, v22
	v_fma_f32 v22, v33, v49, -v23
	v_fma_f32 v31, v51, v17, -v31
	s_delay_alu instid0(VALU_DEP_2) | instskip(SKIP_2) | instid1(VALU_DEP_2)
	v_add_f32_e32 v15, v15, v22
	v_mul_f32_e32 v23, v36, v18
	v_dual_mul_f32 v18, v51, v18 :: v_dual_fmac_f32 v21, v34, v47
	v_fma_f32 v32, v35, v17, -v23
	s_delay_alu instid0(VALU_DEP_2) | instskip(NEXT) | instid1(VALU_DEP_3)
	v_fmac_f32_e32 v18, v52, v17
	v_add_f32_e32 v29, v24, v21
	ds_load_2addr_b64 v[21:24], v9 offset0:96 offset1:112
	v_mul_f32_e32 v33, v36, v20
	v_add_f32_e32 v5, v5, v32
	v_add_f32_e32 v31, v28, v31
	s_delay_alu instid0(VALU_DEP_3) | instskip(NEXT) | instid1(VALU_DEP_1)
	v_fma_f32 v32, v35, v19, -v33
	v_add_f32_e32 v25, v25, v32
	v_mul_f32_e32 v32, v52, v20
	v_mul_f32_e32 v20, v51, v20
	s_delay_alu instid0(VALU_DEP_1) | instskip(SKIP_2) | instid1(VALU_DEP_2)
	v_fmac_f32_e32 v20, v52, v19
	s_waitcnt lgkmcnt(0)
	v_mul_f32_e32 v28, v38, v24
	v_add_f32_e32 v34, v27, v20
	v_mul_f32_e32 v20, v37, v24
	s_delay_alu instid0(VALU_DEP_3)
	v_fma_f32 v27, v37, v23, -v28
	v_add_f32_e32 v33, v26, v16
	v_fma_f32 v16, v51, v19, -v32
	v_mul_f32_e32 v26, v37, v22
	v_add_f32_e32 v29, v29, v18
	v_mul_f32_e32 v19, v38, v22
	v_fmac_f32_e32 v20, v38, v23
	v_add_f32_e32 v32, v15, v16
	ds_load_2addr_b64 v[15:18], v9 offset0:128 offset1:144
	v_fmac_f32_e32 v26, v38, v21
	s_delay_alu instid0(VALU_DEP_1) | instskip(SKIP_3) | instid1(VALU_DEP_2)
	v_add_f32_e32 v35, v30, v26
	v_mul_f32_e32 v30, v54, v24
	v_mul_f32_e32 v24, v53, v24
	v_fma_f32 v19, v37, v21, -v19
	v_fmac_f32_e32 v24, v54, v23
	s_delay_alu instid0(VALU_DEP_1) | instskip(SKIP_2) | instid1(VALU_DEP_1)
	v_dual_add_f32 v5, v5, v19 :: v_dual_add_f32 v24, v34, v24
	s_waitcnt lgkmcnt(0)
	v_mul_f32_e32 v34, v39, v18
	v_dual_mul_f32 v19, v54, v22 :: v_dual_fmac_f32 v34, v40, v17
	s_delay_alu instid0(VALU_DEP_1) | instskip(NEXT) | instid1(VALU_DEP_1)
	v_fma_f32 v19, v53, v21, -v19
	v_dual_mul_f32 v22, v53, v22 :: v_dual_add_f32 v37, v31, v19
	s_delay_alu instid0(VALU_DEP_1)
	v_fmac_f32_e32 v22, v54, v21
	v_add_f32_e32 v36, v25, v27
	ds_load_b128 v[25:28], v10 offset:1056
	v_add_f32_e32 v33, v33, v20
	v_fma_f32 v20, v53, v23, -v30
	v_dual_mul_f32 v19, v40, v16 :: v_dual_add_f32 v38, v29, v22
	v_dual_mul_f32 v47, v39, v16 :: v_dual_mul_f32 v30, v40, v18
	s_delay_alu instid0(VALU_DEP_3) | instskip(NEXT) | instid1(VALU_DEP_3)
	v_add_f32_e32 v23, v32, v20
	v_fma_f32 v29, v39, v15, -v19
	ds_load_2addr_b64 v[19:22], v9 offset0:160 offset1:176
	v_fmac_f32_e32 v47, v40, v15
	v_fma_f32 v39, v39, v17, -v30
	v_add_f32_e32 v5, v5, v29
	ds_load_b128 v[29:32], v10 offset:1072
	v_add_f32_e32 v36, v36, v39
	s_waitcnt lgkmcnt(2)
	v_mul_f32_e32 v48, v26, v16
	v_mul_f32_e32 v16, v25, v16
	v_dual_mul_f32 v40, v26, v18 :: v_dual_add_f32 v35, v35, v47
	v_add_f32_e32 v33, v33, v34
	s_delay_alu instid0(VALU_DEP_4) | instskip(NEXT) | instid1(VALU_DEP_4)
	v_fma_f32 v39, v25, v15, -v48
	v_fmac_f32_e32 v16, v26, v15
	v_mul_f32_e32 v34, v25, v18
	v_fma_f32 v15, v25, v17, -v40
	s_waitcnt lgkmcnt(1)
	v_dual_mul_f32 v18, v42, v20 :: v_dual_add_f32 v37, v37, v39
	v_mul_f32_e32 v39, v42, v22
	v_fmac_f32_e32 v34, v26, v17
	v_add_f32_e32 v25, v38, v16
	v_add_f32_e32 v23, v23, v15
	v_fma_f32 v38, v41, v19, -v18
	v_mul_f32_e32 v26, v41, v20
	ds_load_2addr_b64 v[15:18], v9 offset0:192 offset1:208
	v_add_f32_e32 v5, v5, v38
	v_add_f32_e32 v34, v24, v34
	v_mul_f32_e32 v24, v41, v22
	v_fma_f32 v38, v41, v21, -v39
	s_delay_alu instid0(VALU_DEP_2) | instskip(SKIP_1) | instid1(VALU_DEP_3)
	v_fmac_f32_e32 v24, v42, v21
	v_fmac_f32_e32 v26, v42, v19
	v_add_f32_e32 v36, v36, v38
	s_delay_alu instid0(VALU_DEP_2) | instskip(NEXT) | instid1(VALU_DEP_1)
	v_dual_add_f32 v35, v35, v26 :: v_dual_mul_f32 v26, v28, v20
	v_fma_f32 v26, v27, v19, -v26
	v_mul_f32_e32 v20, v27, v20
	s_delay_alu instid0(VALU_DEP_1) | instskip(SKIP_2) | instid1(VALU_DEP_1)
	v_dual_fmac_f32 v20, v28, v19 :: v_dual_add_f32 v19, v33, v24
	s_waitcnt lgkmcnt(0)
	v_mul_f32_e32 v33, v44, v16
	v_fma_f32 v33, v43, v15, -v33
	v_mul_f32_e32 v38, v28, v22
	s_delay_alu instid0(VALU_DEP_2) | instskip(NEXT) | instid1(VALU_DEP_2)
	v_dual_mul_f32 v22, v27, v22 :: v_dual_add_f32 v5, v5, v33
	v_fma_f32 v24, v27, v21, -v38
	v_add_f32_e32 v27, v37, v26
	v_mul_f32_e32 v37, v43, v18
	v_mul_f32_e32 v33, v30, v16
	s_delay_alu instid0(VALU_DEP_2)
	v_dual_add_f32 v20, v25, v20 :: v_dual_fmac_f32 v37, v44, v17
	v_dual_fmac_f32 v22, v28, v21 :: v_dual_add_f32 v21, v23, v24
	ds_load_2addr_b64 v[23:26], v9 offset0:224 offset1:240
	v_mul_f32_e32 v28, v43, v16
	v_mul_f32_e32 v16, v29, v16
	v_fma_f32 v33, v29, v15, -v33
	s_waitcnt lgkmcnt(0)
	s_barrier
	v_fmac_f32_e32 v28, v44, v15
	s_delay_alu instid0(VALU_DEP_2)
	v_dual_fmac_f32 v16, v30, v15 :: v_dual_add_f32 v15, v27, v33
	buffer_gl0_inv
	v_dual_add_f32 v28, v35, v28 :: v_dual_mul_f32 v35, v30, v18
	v_mul_f32_e32 v27, v46, v24
	v_add_f32_e32 v22, v34, v22
	v_mul_f32_e32 v34, v44, v18
	s_delay_alu instid0(VALU_DEP_1) | instskip(NEXT) | instid1(VALU_DEP_1)
	v_fma_f32 v34, v43, v17, -v34
	v_add_f32_e32 v34, v36, v34
	v_add_f32_e32 v36, v19, v37
	v_mul_f32_e32 v18, v29, v18
	v_fma_f32 v19, v29, v17, -v35
	s_delay_alu instid0(VALU_DEP_2) | instskip(NEXT) | instid1(VALU_DEP_2)
	v_dual_mul_f32 v29, v45, v24 :: v_dual_fmac_f32 v18, v30, v17
	v_add_f32_e32 v30, v21, v19
	v_fma_f32 v17, v45, v23, -v27
	v_mul_f32_e32 v19, v46, v26
	s_delay_alu instid0(VALU_DEP_4) | instskip(SKIP_1) | instid1(VALU_DEP_4)
	v_fmac_f32_e32 v29, v46, v23
	v_dual_add_f32 v27, v22, v18 :: v_dual_mul_f32 v18, v31, v24
	v_add_f32_e32 v21, v5, v17
	s_delay_alu instid0(VALU_DEP_4)
	v_fma_f32 v5, v45, v25, -v19
	v_mul_f32_e32 v17, v32, v24
	v_mul_f32_e32 v24, v32, v26
	v_fmac_f32_e32 v18, v32, v23
	v_add_f32_e32 v22, v28, v29
	v_add_f32_e32 v19, v34, v5
	v_fma_f32 v5, v31, v23, -v17
	v_fma_f32 v23, v31, v25, -v24
	v_add_f32_e32 v16, v20, v16
	v_mul_f32_e32 v20, v45, v26
	v_mul_f32_e32 v26, v31, v26
	v_add_f32_e32 v17, v15, v5
	s_delay_alu instid0(VALU_DEP_4) | instskip(NEXT) | instid1(VALU_DEP_4)
	v_dual_add_f32 v15, v30, v23 :: v_dual_add_f32 v18, v16, v18
	v_fmac_f32_e32 v20, v46, v25
	s_delay_alu instid0(VALU_DEP_4) | instskip(NEXT) | instid1(VALU_DEP_2)
	v_fmac_f32_e32 v26, v32, v25
	v_add_f32_e32 v20, v36, v20
	s_delay_alu instid0(VALU_DEP_2)
	v_add_f32_e32 v16, v27, v26
	s_cbranch_scc1 .LBB381_11
.LBB381_3:                              ; =>This Inner Loop Header: Depth=1
	v_add_nc_u32_e32 v5, s27, v11
	s_delay_alu instid0(VALU_DEP_1) | instskip(SKIP_1) | instid1(SALU_CYCLE_1)
	v_cmp_le_i32_e32 vcc_lo, s21, v5
	s_or_b32 s12, s3, vcc_lo
	s_and_saveexec_b32 s13, s12
	s_delay_alu instid0(SALU_CYCLE_1)
	s_xor_b32 s12, exec_lo, s13
	s_cbranch_execz .LBB381_5
; %bb.4:                                ;   in Loop: Header=BB381_3 Depth=1
	v_mov_b32_e32 v5, v4
	ds_store_b64 v12, v[4:5]
.LBB381_5:                              ;   in Loop: Header=BB381_3 Depth=1
	s_and_not1_saveexec_b32 s12, s12
	s_cbranch_execz .LBB381_7
; %bb.6:                                ;   in Loop: Header=BB381_3 Depth=1
	global_load_b64 v[23:24], v[0:1], off
	s_waitcnt vmcnt(0)
	ds_store_b64 v12, v[23:24]
.LBB381_7:                              ;   in Loop: Header=BB381_3 Depth=1
	s_or_b32 exec_lo, exec_lo, s12
	v_add_nc_u32_e32 v5, s27, v8
                                        ; implicit-def: $sgpr13
	s_delay_alu instid0(VALU_DEP_1) | instskip(SKIP_1) | instid1(SALU_CYCLE_1)
	v_cmp_le_i32_e32 vcc_lo, s21, v5
	s_or_b32 s12, vcc_lo, s2
	s_and_saveexec_b32 s16, s12
	s_delay_alu instid0(SALU_CYCLE_1)
	s_xor_b32 s12, exec_lo, s16
	s_cbranch_execz .LBB381_9
; %bb.8:                                ;   in Loop: Header=BB381_3 Depth=1
	s_mov_b32 s13, 0
	ds_store_b32 v13, v14
.LBB381_9:                              ;   in Loop: Header=BB381_3 Depth=1
	s_or_saveexec_b32 s12, s12
	v_mov_b32_e32 v5, s13
	s_xor_b32 exec_lo, exec_lo, s12
	s_cbranch_execz .LBB381_2
; %bb.10:                               ;   in Loop: Header=BB381_3 Depth=1
	global_load_b64 v[23:24], v[2:3], off offset:-4
	s_waitcnt vmcnt(0)
	v_xor_b32_e32 v5, 0x80000000, v24
	ds_store_b32 v13, v23
	s_branch .LBB381_2
.LBB381_11:
	s_clause 0x1
	s_load_b32 s2, s[0:1], 0x50
	s_load_b64 s[0:1], s[0:1], 0x58
	v_add_nc_u32_e32 v5, s14, v7
	v_add_nc_u32_e32 v0, s26, v6
	s_delay_alu instid0(VALU_DEP_2)
	v_cmp_gt_i32_e32 vcc_lo, s20, v5
	s_waitcnt lgkmcnt(0)
	v_mad_i64_i32 v[1:2], null, v5, s2, 0
	s_mul_i32 s1, s15, s1
	s_mul_hi_u32 s3, s15, s0
	s_mul_i32 s0, s15, s0
	s_add_i32 s1, s3, s1
	s_delay_alu instid0(SALU_CYCLE_1) | instskip(NEXT) | instid1(VALU_DEP_1)
	s_lshl_b64 s[4:5], s[0:1], 3
	v_lshlrev_b64 v[1:2], 3, v[1:2]
	s_add_u32 s3, s22, s4
	v_cmp_le_i32_e64 s0, v0, v5
	s_addc_u32 s4, s23, s5
	s_delay_alu instid0(VALU_DEP_2) | instskip(NEXT) | instid1(VALU_DEP_1)
	v_add_co_u32 v4, s1, s3, v1
	v_add_co_ci_u32_e64 v6, s1, s4, v2, s1
	s_delay_alu instid0(VALU_DEP_3) | instskip(NEXT) | instid1(SALU_CYCLE_1)
	s_and_b32 s0, vcc_lo, s0
	s_and_saveexec_b32 s1, s0
	s_cbranch_execz .LBB381_14
; %bb.12:
	v_ashrrev_i32_e32 v1, 31, v0
	s_delay_alu instid0(VALU_DEP_1) | instskip(NEXT) | instid1(VALU_DEP_1)
	v_lshlrev_b64 v[1:2], 3, v[0:1]
	v_add_co_u32 v1, s0, v4, v1
	s_delay_alu instid0(VALU_DEP_1)
	v_add_co_ci_u32_e64 v2, s0, v6, v2, s0
	v_cmp_eq_u32_e64 s0, v5, v0
	global_load_b64 v[7:8], v[1:2], off
	v_mul_f32_e32 v3, s9, v22
	s_waitcnt vmcnt(0)
	v_dual_mul_f32 v9, s8, v22 :: v_dual_mul_f32 v10, s7, v8
	v_mul_f32_e32 v8, s6, v8
	s_delay_alu instid0(VALU_DEP_3) | instskip(NEXT) | instid1(VALU_DEP_3)
	v_fma_f32 v3, v21, s8, -v3
	v_fmac_f32_e32 v9, s9, v21
	s_delay_alu instid0(VALU_DEP_4) | instskip(NEXT) | instid1(VALU_DEP_1)
	v_fma_f32 v10, v7, s6, -v10
	v_dual_fmac_f32 v8, s7, v7 :: v_dual_add_f32 v7, v3, v10
	s_delay_alu instid0(VALU_DEP_1)
	v_add_f32_e32 v8, v9, v8
	global_store_b64 v[1:2], v[7:8], off
	s_and_b32 exec_lo, exec_lo, s0
	s_cbranch_execz .LBB381_14
; %bb.13:
	v_mov_b32_e32 v3, 0
	global_store_b32 v[1:2], v3, off offset:4
.LBB381_14:
	s_or_b32 exec_lo, exec_lo, s1
	v_add_nc_u32_e32 v2, 16, v0
	s_delay_alu instid0(VALU_DEP_1) | instskip(NEXT) | instid1(VALU_DEP_1)
	v_cmp_le_i32_e64 s0, v2, v5
	s_and_b32 s1, vcc_lo, s0
	s_delay_alu instid0(SALU_CYCLE_1)
	s_and_saveexec_b32 s0, s1
	s_cbranch_execz .LBB381_17
; %bb.15:
	v_ashrrev_i32_e32 v3, 31, v2
	s_delay_alu instid0(VALU_DEP_1) | instskip(NEXT) | instid1(VALU_DEP_1)
	v_lshlrev_b64 v[7:8], 3, v[2:3]
	v_add_co_u32 v3, vcc_lo, v4, v7
	s_delay_alu instid0(VALU_DEP_2) | instskip(SKIP_4) | instid1(VALU_DEP_1)
	v_add_co_ci_u32_e32 v4, vcc_lo, v6, v8, vcc_lo
	v_cmp_eq_u32_e32 vcc_lo, v5, v2
	global_load_b64 v[6:7], v[3:4], off
	s_waitcnt vmcnt(0)
	v_dual_mul_f32 v8, s8, v20 :: v_dual_mul_f32 v9, s7, v7
	v_dual_mul_f32 v1, s9, v20 :: v_dual_fmac_f32 v8, s9, v19
	s_delay_alu instid0(VALU_DEP_2) | instskip(NEXT) | instid1(VALU_DEP_2)
	v_fma_f32 v9, v6, s6, -v9
	v_fma_f32 v1, v19, s8, -v1
	v_mul_f32_e32 v7, s6, v7
	s_delay_alu instid0(VALU_DEP_1) | instskip(NEXT) | instid1(VALU_DEP_1)
	v_dual_fmac_f32 v7, s7, v6 :: v_dual_add_f32 v6, v1, v9
	v_add_f32_e32 v7, v8, v7
	global_store_b64 v[3:4], v[6:7], off
	s_and_b32 exec_lo, exec_lo, vcc_lo
	s_cbranch_execz .LBB381_17
; %bb.16:
	v_mov_b32_e32 v1, 0
	global_store_b32 v[3:4], v1, off offset:4
.LBB381_17:
	s_or_b32 exec_lo, exec_lo, s0
	v_add_nc_u32_e32 v8, 16, v5
	s_delay_alu instid0(VALU_DEP_1) | instskip(SKIP_2) | instid1(VALU_DEP_1)
	v_mad_i64_i32 v[3:4], null, v8, s2, 0
	v_cmp_gt_i32_e32 vcc_lo, s20, v8
	v_cmp_le_i32_e64 s0, v0, v8
	s_and_b32 s0, vcc_lo, s0
	s_delay_alu instid0(VALU_DEP_3) | instskip(NEXT) | instid1(VALU_DEP_1)
	v_lshlrev_b64 v[3:4], 3, v[3:4]
	v_add_co_u32 v6, s1, s3, v3
	s_delay_alu instid0(VALU_DEP_1)
	v_add_co_ci_u32_e64 v7, s1, s4, v4, s1
	s_and_saveexec_b32 s1, s0
	s_cbranch_execz .LBB381_20
; %bb.18:
	v_ashrrev_i32_e32 v1, 31, v0
	v_mul_f32_e32 v11, s8, v18
	s_delay_alu instid0(VALU_DEP_2) | instskip(NEXT) | instid1(VALU_DEP_2)
	v_lshlrev_b64 v[3:4], 3, v[0:1]
	v_fmac_f32_e32 v11, s9, v17
	s_delay_alu instid0(VALU_DEP_2) | instskip(NEXT) | instid1(VALU_DEP_1)
	v_add_co_u32 v3, s0, v6, v3
	v_add_co_ci_u32_e64 v4, s0, v7, v4, s0
	v_cmp_eq_u32_e64 s0, v8, v0
	global_load_b64 v[9:10], v[3:4], off
	s_waitcnt vmcnt(0)
	v_mul_f32_e32 v12, s7, v10
	s_delay_alu instid0(VALU_DEP_1) | instskip(SKIP_1) | instid1(VALU_DEP_1)
	v_fma_f32 v12, v9, s6, -v12
	v_mul_f32_e32 v10, s6, v10
	v_dual_mul_f32 v1, s9, v18 :: v_dual_fmac_f32 v10, s7, v9
	s_delay_alu instid0(VALU_DEP_1) | instskip(NEXT) | instid1(VALU_DEP_1)
	v_fma_f32 v1, v17, s8, -v1
	v_dual_add_f32 v10, v11, v10 :: v_dual_add_f32 v9, v1, v12
	global_store_b64 v[3:4], v[9:10], off
	s_and_b32 exec_lo, exec_lo, s0
	s_cbranch_execz .LBB381_20
; %bb.19:
	v_mov_b32_e32 v1, 0
	global_store_b32 v[3:4], v1, off offset:4
.LBB381_20:
	s_or_b32 exec_lo, exec_lo, s1
	v_cmp_le_i32_e64 s0, v2, v8
	s_delay_alu instid0(VALU_DEP_1) | instskip(NEXT) | instid1(SALU_CYCLE_1)
	s_and_b32 s0, vcc_lo, s0
	s_and_saveexec_b32 s1, s0
	s_cbranch_execz .LBB381_23
; %bb.21:
	v_ashrrev_i32_e32 v3, 31, v2
	s_delay_alu instid0(VALU_DEP_1) | instskip(NEXT) | instid1(VALU_DEP_1)
	v_lshlrev_b64 v[1:2], 3, v[2:3]
	v_add_co_u32 v1, vcc_lo, v6, v1
	s_delay_alu instid0(VALU_DEP_2)
	v_add_co_ci_u32_e32 v2, vcc_lo, v7, v2, vcc_lo
	v_cmp_eq_u32_e32 vcc_lo, v5, v0
	global_load_b64 v[3:4], v[1:2], off
	s_waitcnt vmcnt(0)
	v_mul_f32_e32 v8, s7, v4
	v_mul_f32_e32 v4, s6, v4
	;; [unrolled: 1-line block ×3, first 2 shown]
	s_delay_alu instid0(VALU_DEP_3) | instskip(NEXT) | instid1(VALU_DEP_3)
	v_fma_f32 v8, v3, s6, -v8
	v_fmac_f32_e32 v4, s7, v3
	s_delay_alu instid0(VALU_DEP_3) | instskip(NEXT) | instid1(VALU_DEP_1)
	v_dual_mul_f32 v6, s9, v16 :: v_dual_fmac_f32 v7, s9, v15
	v_fma_f32 v6, v15, s8, -v6
	s_delay_alu instid0(VALU_DEP_2) | instskip(NEXT) | instid1(VALU_DEP_2)
	v_add_f32_e32 v4, v7, v4
	v_add_f32_e32 v3, v6, v8
	global_store_b64 v[1:2], v[3:4], off
	s_and_b32 exec_lo, exec_lo, vcc_lo
	s_cbranch_execz .LBB381_23
; %bb.22:
	v_mov_b32_e32 v0, 0
	global_store_b32 v[1:2], v0, off offset:4
.LBB381_23:
	s_nop 0
	s_sendmsg sendmsg(MSG_DEALLOC_VGPRS)
	s_endpgm
	.section	.rodata,"a",@progbits
	.p2align	6, 0x0
	.amdhsa_kernel _ZL34rocblas_syrkx_herkx_general_kernelIi19rocblas_complex_numIfELi16ELi32ELi8ELb0ELb1ELc78ELc85EKS1_S1_EviT_T0_PT8_S3_lS6_S3_lS4_PT9_S3_li
		.amdhsa_group_segment_fixed_size 4096
		.amdhsa_private_segment_fixed_size 0
		.amdhsa_kernarg_size 100
		.amdhsa_user_sgpr_count 13
		.amdhsa_user_sgpr_dispatch_ptr 0
		.amdhsa_user_sgpr_queue_ptr 0
		.amdhsa_user_sgpr_kernarg_segment_ptr 1
		.amdhsa_user_sgpr_dispatch_id 0
		.amdhsa_user_sgpr_private_segment_size 0
		.amdhsa_wavefront_size32 1
		.amdhsa_uses_dynamic_stack 0
		.amdhsa_enable_private_segment 0
		.amdhsa_system_sgpr_workgroup_id_x 1
		.amdhsa_system_sgpr_workgroup_id_y 1
		.amdhsa_system_sgpr_workgroup_id_z 1
		.amdhsa_system_sgpr_workgroup_info 0
		.amdhsa_system_vgpr_workitem_id 1
		.amdhsa_next_free_vgpr 60
		.amdhsa_next_free_sgpr 28
		.amdhsa_reserve_vcc 1
		.amdhsa_float_round_mode_32 0
		.amdhsa_float_round_mode_16_64 0
		.amdhsa_float_denorm_mode_32 3
		.amdhsa_float_denorm_mode_16_64 3
		.amdhsa_dx10_clamp 1
		.amdhsa_ieee_mode 1
		.amdhsa_fp16_overflow 0
		.amdhsa_workgroup_processor_mode 1
		.amdhsa_memory_ordered 1
		.amdhsa_forward_progress 0
		.amdhsa_shared_vgpr_count 0
		.amdhsa_exception_fp_ieee_invalid_op 0
		.amdhsa_exception_fp_denorm_src 0
		.amdhsa_exception_fp_ieee_div_zero 0
		.amdhsa_exception_fp_ieee_overflow 0
		.amdhsa_exception_fp_ieee_underflow 0
		.amdhsa_exception_fp_ieee_inexact 0
		.amdhsa_exception_int_div_zero 0
	.end_amdhsa_kernel
	.section	.text._ZL34rocblas_syrkx_herkx_general_kernelIi19rocblas_complex_numIfELi16ELi32ELi8ELb0ELb1ELc78ELc85EKS1_S1_EviT_T0_PT8_S3_lS6_S3_lS4_PT9_S3_li,"axG",@progbits,_ZL34rocblas_syrkx_herkx_general_kernelIi19rocblas_complex_numIfELi16ELi32ELi8ELb0ELb1ELc78ELc85EKS1_S1_EviT_T0_PT8_S3_lS6_S3_lS4_PT9_S3_li,comdat
.Lfunc_end381:
	.size	_ZL34rocblas_syrkx_herkx_general_kernelIi19rocblas_complex_numIfELi16ELi32ELi8ELb0ELb1ELc78ELc85EKS1_S1_EviT_T0_PT8_S3_lS6_S3_lS4_PT9_S3_li, .Lfunc_end381-_ZL34rocblas_syrkx_herkx_general_kernelIi19rocblas_complex_numIfELi16ELi32ELi8ELb0ELb1ELc78ELc85EKS1_S1_EviT_T0_PT8_S3_lS6_S3_lS4_PT9_S3_li
                                        ; -- End function
	.section	.AMDGPU.csdata,"",@progbits
; Kernel info:
; codeLenInByte = 2816
; NumSgprs: 30
; NumVgprs: 60
; ScratchSize: 0
; MemoryBound: 1
; FloatMode: 240
; IeeeMode: 1
; LDSByteSize: 4096 bytes/workgroup (compile time only)
; SGPRBlocks: 3
; VGPRBlocks: 7
; NumSGPRsForWavesPerEU: 30
; NumVGPRsForWavesPerEU: 60
; Occupancy: 16
; WaveLimiterHint : 0
; COMPUTE_PGM_RSRC2:SCRATCH_EN: 0
; COMPUTE_PGM_RSRC2:USER_SGPR: 13
; COMPUTE_PGM_RSRC2:TRAP_HANDLER: 0
; COMPUTE_PGM_RSRC2:TGID_X_EN: 1
; COMPUTE_PGM_RSRC2:TGID_Y_EN: 1
; COMPUTE_PGM_RSRC2:TGID_Z_EN: 1
; COMPUTE_PGM_RSRC2:TIDIG_COMP_CNT: 1
	.section	.text._ZL26rocblas_syr2k_scale_kernelIiLi128ELi8ELb1E19rocblas_complex_numIfES1_PS1_EvbiT_T3_T4_T5_S3_li,"axG",@progbits,_ZL26rocblas_syr2k_scale_kernelIiLi128ELi8ELb1E19rocblas_complex_numIfES1_PS1_EvbiT_T3_T4_T5_S3_li,comdat
	.globl	_ZL26rocblas_syr2k_scale_kernelIiLi128ELi8ELb1E19rocblas_complex_numIfES1_PS1_EvbiT_T3_T4_T5_S3_li ; -- Begin function _ZL26rocblas_syr2k_scale_kernelIiLi128ELi8ELb1E19rocblas_complex_numIfES1_PS1_EvbiT_T3_T4_T5_S3_li
	.p2align	8
	.type	_ZL26rocblas_syr2k_scale_kernelIiLi128ELi8ELb1E19rocblas_complex_numIfES1_PS1_EvbiT_T3_T4_T5_S3_li,@function
_ZL26rocblas_syr2k_scale_kernelIiLi128ELi8ELb1E19rocblas_complex_numIfES1_PS1_EvbiT_T3_T4_T5_S3_li: ; @_ZL26rocblas_syr2k_scale_kernelIiLi128ELi8ELb1E19rocblas_complex_numIfES1_PS1_EvbiT_T3_T4_T5_S3_li
; %bb.0:
	s_load_b256 s[4:11], s[0:1], 0x0
	s_waitcnt lgkmcnt(0)
	v_cmp_eq_f32_e64 s2, s9, 1.0
	v_cmp_eq_f32_e64 s3, s10, 0
	s_delay_alu instid0(VALU_DEP_1)
	s_and_b32 s3, s2, s3
	s_mov_b32 s2, 0
	s_and_not1_b32 vcc_lo, exec_lo, s3
	s_mov_b32 s3, -1
	s_cbranch_vccnz .LBB382_4
; %bb.1:
	s_cmp_lg_u32 s6, 0
	s_cbranch_scc0 .LBB382_3
; %bb.2:
	v_cmp_neq_f32_e64 s2, s7, 0
	v_cmp_neq_f32_e64 s3, s8, 0
	s_delay_alu instid0(VALU_DEP_1)
	s_or_b32 s2, s2, s3
.LBB382_3:
	s_delay_alu instid0(SALU_CYCLE_1)
	s_mov_b32 s3, s2
.LBB382_4:
	s_delay_alu instid0(SALU_CYCLE_1)
	s_and_b32 vcc_lo, exec_lo, s3
	s_cbranch_vccz .LBB382_9
; %bb.5:
	s_load_b32 s2, s[0:1], 0x4c
	v_and_b32_e32 v2, 0x3ff, v0
	v_bfe_u32 v4, v0, 10, 10
	s_bitcmp1_b32 s4, 0
	s_cselect_b32 vcc_lo, -1, 0
	s_waitcnt lgkmcnt(0)
	s_lshr_b32 s3, s2, 16
	s_and_b32 s2, s2, 0xffff
	s_delay_alu instid0(SALU_CYCLE_1) | instskip(SKIP_1) | instid1(VALU_DEP_1)
	v_mad_u64_u32 v[0:1], null, s13, s2, v[2:3]
	v_mad_u64_u32 v[2:3], null, s14, s3, v[4:5]
	v_dual_cndmask_b32 v1, v2, v0 :: v_dual_cndmask_b32 v4, v0, v2
	v_max_u32_e32 v3, v0, v2
	s_delay_alu instid0(VALU_DEP_2) | instskip(NEXT) | instid1(VALU_DEP_2)
	v_cmp_le_i32_e64 s2, v1, v4
	v_cmp_gt_u32_e32 vcc_lo, s5, v3
	s_delay_alu instid0(VALU_DEP_2) | instskip(NEXT) | instid1(SALU_CYCLE_1)
	s_and_b32 s2, vcc_lo, s2
	s_and_saveexec_b32 s3, s2
	s_cbranch_execz .LBB382_9
; %bb.6:
	s_clause 0x2
	s_load_b32 s4, s[0:1], 0x28
	s_load_b64 s[2:3], s[0:1], 0x30
	s_load_b64 s[0:1], s[0:1], 0x20
	s_waitcnt lgkmcnt(0)
	v_mad_u64_u32 v[3:4], null, v2, s4, 0
	s_ashr_i32 s4, s4, 31
	s_mul_i32 s3, s15, s3
	s_delay_alu instid0(VALU_DEP_1) | instskip(NEXT) | instid1(VALU_DEP_1)
	v_mov_b32_e32 v1, v4
	v_mad_u64_u32 v[4:5], null, v2, s4, v[1:2]
	s_mul_hi_u32 s4, s15, s2
	v_mov_b32_e32 v1, 0
	s_mul_i32 s2, s15, s2
	s_add_i32 s3, s4, s3
	s_delay_alu instid0(SALU_CYCLE_1) | instskip(NEXT) | instid1(VALU_DEP_2)
	s_lshl_b64 s[2:3], s[2:3], 3
	v_lshlrev_b64 v[3:4], 3, v[3:4]
	s_add_u32 s0, s0, s2
	v_lshlrev_b64 v[5:6], 3, v[0:1]
	s_addc_u32 s1, s1, s3
	s_or_b32 s2, s9, s10
	s_delay_alu instid0(SALU_CYCLE_1) | instskip(SKIP_3) | instid1(VALU_DEP_2)
	s_bitset0_b32 s2, 31
	v_add_co_u32 v3, vcc_lo, s0, v3
	v_add_co_ci_u32_e32 v4, vcc_lo, s1, v4, vcc_lo
	s_cmp_eq_u32 s2, 0
	v_add_co_u32 v3, vcc_lo, v3, v5
	s_delay_alu instid0(VALU_DEP_2)
	v_add_co_ci_u32_e32 v4, vcc_lo, v4, v6, vcc_lo
	v_mov_b32_e32 v5, v1
	s_cbranch_scc1 .LBB382_8
; %bb.7:
	global_load_b64 v[6:7], v[3:4], off
	s_waitcnt vmcnt(0)
	v_mul_f32_e32 v1, s10, v7
	v_mul_f32_e32 v5, s9, v7
	s_delay_alu instid0(VALU_DEP_2) | instskip(NEXT) | instid1(VALU_DEP_2)
	v_fma_f32 v1, v6, s9, -v1
	v_fmac_f32_e32 v5, s10, v6
.LBB382_8:
	v_cmp_ne_u32_e32 vcc_lo, v0, v2
	s_delay_alu instid0(VALU_DEP_2)
	v_cndmask_b32_e32 v2, 0, v5, vcc_lo
	global_store_b64 v[3:4], v[1:2], off
.LBB382_9:
	s_nop 0
	s_sendmsg sendmsg(MSG_DEALLOC_VGPRS)
	s_endpgm
	.section	.rodata,"a",@progbits
	.p2align	6, 0x0
	.amdhsa_kernel _ZL26rocblas_syr2k_scale_kernelIiLi128ELi8ELb1E19rocblas_complex_numIfES1_PS1_EvbiT_T3_T4_T5_S3_li
		.amdhsa_group_segment_fixed_size 0
		.amdhsa_private_segment_fixed_size 0
		.amdhsa_kernarg_size 320
		.amdhsa_user_sgpr_count 13
		.amdhsa_user_sgpr_dispatch_ptr 0
		.amdhsa_user_sgpr_queue_ptr 0
		.amdhsa_user_sgpr_kernarg_segment_ptr 1
		.amdhsa_user_sgpr_dispatch_id 0
		.amdhsa_user_sgpr_private_segment_size 0
		.amdhsa_wavefront_size32 1
		.amdhsa_uses_dynamic_stack 0
		.amdhsa_enable_private_segment 0
		.amdhsa_system_sgpr_workgroup_id_x 1
		.amdhsa_system_sgpr_workgroup_id_y 1
		.amdhsa_system_sgpr_workgroup_id_z 1
		.amdhsa_system_sgpr_workgroup_info 0
		.amdhsa_system_vgpr_workitem_id 1
		.amdhsa_next_free_vgpr 8
		.amdhsa_next_free_sgpr 16
		.amdhsa_reserve_vcc 1
		.amdhsa_float_round_mode_32 0
		.amdhsa_float_round_mode_16_64 0
		.amdhsa_float_denorm_mode_32 3
		.amdhsa_float_denorm_mode_16_64 3
		.amdhsa_dx10_clamp 1
		.amdhsa_ieee_mode 1
		.amdhsa_fp16_overflow 0
		.amdhsa_workgroup_processor_mode 1
		.amdhsa_memory_ordered 1
		.amdhsa_forward_progress 0
		.amdhsa_shared_vgpr_count 0
		.amdhsa_exception_fp_ieee_invalid_op 0
		.amdhsa_exception_fp_denorm_src 0
		.amdhsa_exception_fp_ieee_div_zero 0
		.amdhsa_exception_fp_ieee_overflow 0
		.amdhsa_exception_fp_ieee_underflow 0
		.amdhsa_exception_fp_ieee_inexact 0
		.amdhsa_exception_int_div_zero 0
	.end_amdhsa_kernel
	.section	.text._ZL26rocblas_syr2k_scale_kernelIiLi128ELi8ELb1E19rocblas_complex_numIfES1_PS1_EvbiT_T3_T4_T5_S3_li,"axG",@progbits,_ZL26rocblas_syr2k_scale_kernelIiLi128ELi8ELb1E19rocblas_complex_numIfES1_PS1_EvbiT_T3_T4_T5_S3_li,comdat
.Lfunc_end382:
	.size	_ZL26rocblas_syr2k_scale_kernelIiLi128ELi8ELb1E19rocblas_complex_numIfES1_PS1_EvbiT_T3_T4_T5_S3_li, .Lfunc_end382-_ZL26rocblas_syr2k_scale_kernelIiLi128ELi8ELb1E19rocblas_complex_numIfES1_PS1_EvbiT_T3_T4_T5_S3_li
                                        ; -- End function
	.section	.AMDGPU.csdata,"",@progbits
; Kernel info:
; codeLenInByte = 448
; NumSgprs: 18
; NumVgprs: 8
; ScratchSize: 0
; MemoryBound: 0
; FloatMode: 240
; IeeeMode: 1
; LDSByteSize: 0 bytes/workgroup (compile time only)
; SGPRBlocks: 2
; VGPRBlocks: 0
; NumSGPRsForWavesPerEU: 18
; NumVGPRsForWavesPerEU: 8
; Occupancy: 16
; WaveLimiterHint : 0
; COMPUTE_PGM_RSRC2:SCRATCH_EN: 0
; COMPUTE_PGM_RSRC2:USER_SGPR: 13
; COMPUTE_PGM_RSRC2:TRAP_HANDLER: 0
; COMPUTE_PGM_RSRC2:TGID_X_EN: 1
; COMPUTE_PGM_RSRC2:TGID_Y_EN: 1
; COMPUTE_PGM_RSRC2:TGID_Z_EN: 1
; COMPUTE_PGM_RSRC2:TIDIG_COMP_CNT: 1
	.section	.text._ZL26rocblas_syr2k_her2k_kernelIiLb0ELb1ELb0ELi32EPK19rocblas_complex_numIfES3_PS1_EvbiT_T4_T5_S5_lS7_S5_lT6_S5_li,"axG",@progbits,_ZL26rocblas_syr2k_her2k_kernelIiLb0ELb1ELb0ELi32EPK19rocblas_complex_numIfES3_PS1_EvbiT_T4_T5_S5_lS7_S5_lT6_S5_li,comdat
	.globl	_ZL26rocblas_syr2k_her2k_kernelIiLb0ELb1ELb0ELi32EPK19rocblas_complex_numIfES3_PS1_EvbiT_T4_T5_S5_lS7_S5_lT6_S5_li ; -- Begin function _ZL26rocblas_syr2k_her2k_kernelIiLb0ELb1ELb0ELi32EPK19rocblas_complex_numIfES3_PS1_EvbiT_T4_T5_S5_lS7_S5_lT6_S5_li
	.p2align	8
	.type	_ZL26rocblas_syr2k_her2k_kernelIiLb0ELb1ELb0ELi32EPK19rocblas_complex_numIfES3_PS1_EvbiT_T4_T5_S5_lS7_S5_lT6_S5_li,@function
_ZL26rocblas_syr2k_her2k_kernelIiLb0ELb1ELb0ELi32EPK19rocblas_complex_numIfES3_PS1_EvbiT_T4_T5_S5_lS7_S5_lT6_S5_li: ; @_ZL26rocblas_syr2k_her2k_kernelIiLb0ELb1ELb0ELi32EPK19rocblas_complex_numIfES3_PS1_EvbiT_T4_T5_S5_lS7_S5_lT6_S5_li
; %bb.0:
	s_load_b128 s[8:11], s[0:1], 0x10
	s_waitcnt lgkmcnt(0)
	s_load_b64 s[8:9], s[8:9], 0x0
	s_waitcnt lgkmcnt(0)
	v_cmp_eq_f32_e64 s2, s8, 0
	v_cmp_eq_f32_e64 s3, s9, 0
	s_delay_alu instid0(VALU_DEP_1) | instskip(NEXT) | instid1(SALU_CYCLE_1)
	s_and_b32 s2, s2, s3
	s_and_b32 vcc_lo, exec_lo, s2
	s_cbranch_vccnz .LBB383_13
; %bb.1:
	s_load_b128 s[4:7], s[0:1], 0x0
	s_waitcnt lgkmcnt(0)
	s_lshl_b32 s7, s14, 5
	s_and_b32 s2, 1, s4
	s_lshl_b32 s4, s13, 5
	s_cmp_eq_u32 s2, 1
	s_cselect_b32 s2, -1, 0
	s_delay_alu instid0(SALU_CYCLE_1) | instskip(SKIP_2) | instid1(SALU_CYCLE_1)
	s_and_b32 s3, s2, exec_lo
	s_cselect_b32 s3, s4, s7
	s_cselect_b32 s12, s7, s4
	s_cmp_gt_i32 s3, s12
	s_cbranch_scc1 .LBB383_13
; %bb.2:
	s_clause 0x2
	s_load_b64 s[12:13], s[0:1], 0x58
	s_load_b128 s[20:23], s[0:1], 0x40
	s_load_b32 s3, s[0:1], 0x50
	v_and_b32_e32 v9, 0x3ff, v0
	v_bfe_u32 v10, v0, 10, 10
	s_delay_alu instid0(VALU_DEP_2) | instskip(NEXT) | instid1(VALU_DEP_2)
	v_add_nc_u32_e32 v0, s4, v9
	v_add_nc_u32_e32 v2, s7, v10
	s_delay_alu instid0(VALU_DEP_2)
	v_cmp_gt_i32_e32 vcc_lo, s5, v0
	v_ashrrev_i32_e32 v1, 31, v0
	s_waitcnt lgkmcnt(0)
	s_mul_i32 s4, s15, s13
	s_mul_hi_u32 s13, s15, s12
	s_mul_i32 s12, s15, s12
	s_add_i32 s13, s13, s4
	s_delay_alu instid0(SALU_CYCLE_1) | instskip(NEXT) | instid1(SALU_CYCLE_1)
	s_lshl_b64 s[12:13], s[12:13], 3
	s_add_u32 s4, s22, s12
	s_addc_u32 s7, s23, s13
	s_cmp_lt_i32 s6, 1
	s_cbranch_scc1 .LBB383_11
; %bb.3:
	s_clause 0x2
	s_load_b128 s[16:19], s[0:1], 0x28
	s_load_b32 s12, s[0:1], 0x20
	s_load_b32 s13, s[0:1], 0x38
	v_cndmask_b32_e64 v8, v0, v2, s2
	v_cndmask_b32_e64 v19, v2, v0, s2
	v_lshlrev_b64 v[4:5], 3, v[0:1]
	v_ashrrev_i32_e32 v3, 31, v2
	v_mad_i64_i32 v[6:7], null, s3, v2, 0
	s_mul_i32 s1, s15, s21
	s_mul_hi_u32 s21, s15, s20
	s_mul_i32 s14, s15, s20
	v_lshlrev_b64 v[16:17], 3, v[2:3]
	v_lshlrev_b32_e32 v13, 3, v10
	v_lshlrev_b32_e32 v11, 8, v9
	s_delay_alu instid0(VALU_DEP_4) | instskip(SKIP_1) | instid1(VALU_DEP_3)
	v_lshlrev_b64 v[6:7], 3, v[6:7]
	v_cmp_gt_i32_e64 s0, s5, v2
	v_add_nc_u32_e32 v12, v11, v13
	s_waitcnt lgkmcnt(0)
	s_mul_i32 s2, s15, s17
	s_mul_hi_u32 s17, s15, s16
	s_mul_i32 s16, s15, s16
	s_add_i32 s17, s17, s2
	v_or_b32_e32 v13, 0x2000, v13
	s_lshl_b64 s[16:17], s[16:17], 3
	s_delay_alu instid0(SALU_CYCLE_1)
	s_add_u32 s2, s10, s16
	s_addc_u32 s16, s11, s17
	s_add_i32 s15, s21, s1
	v_add_co_u32 v14, s1, s2, v4
	s_lshl_b64 s[10:11], s[14:15], 3
	v_add_co_ci_u32_e64 v15, s1, s16, v5, s1
	s_add_u32 s1, s18, s10
	s_addc_u32 s2, s19, s11
	v_add_co_u32 v16, s1, s1, v16
	s_delay_alu instid0(VALU_DEP_1) | instskip(SKIP_1) | instid1(VALU_DEP_1)
	v_add_co_ci_u32_e64 v17, s1, s2, v17, s1
	v_add_co_u32 v3, s1, s4, v6
	v_add_co_ci_u32_e64 v6, s1, s7, v7, s1
	v_cmp_le_i32_e64 s1, v19, v8
	s_delay_alu instid0(VALU_DEP_3) | instskip(SKIP_1) | instid1(VALU_DEP_4)
	v_add_co_u32 v3, s2, v3, v4
	v_add_nc_u32_e32 v18, v13, v11
	v_add_co_ci_u32_e64 v4, s2, v6, v5, s2
	v_add_nc_u32_e32 v19, 0x800, v13
	v_add_nc_u32_e32 v20, 0x1000, v13
	;; [unrolled: 1-line block ×3, first 2 shown]
	s_and_b32 s10, s0, vcc_lo
	s_mov_b32 s2, 0
	s_and_b32 s10, s10, s1
	s_branch .LBB383_5
.LBB383_4:                              ;   in Loop: Header=BB383_5 Depth=1
	s_or_b32 exec_lo, exec_lo, s1
	s_add_i32 s2, s2, 32
	s_waitcnt_vscnt null, 0x0
	s_cmp_ge_i32 s2, s6
	s_barrier
	buffer_gl0_inv
	s_cbranch_scc1 .LBB383_11
.LBB383_5:                              ; =>This Inner Loop Header: Depth=1
	v_dual_mov_b32 v5, 0 :: v_dual_add_nc_u32 v6, s2, v10
	v_dual_mov_b32 v7, 0 :: v_dual_mov_b32 v8, 0
	s_delay_alu instid0(VALU_DEP_2) | instskip(NEXT) | instid1(VALU_DEP_1)
	v_cmp_gt_i32_e64 s1, s6, v6
	s_and_b32 s1, vcc_lo, s1
	s_delay_alu instid0(SALU_CYCLE_1)
	s_and_saveexec_b32 s11, s1
	s_cbranch_execz .LBB383_7
; %bb.6:                                ;   in Loop: Header=BB383_5 Depth=1
	v_mad_i64_i32 v[7:8], null, v6, s12, 0
	s_delay_alu instid0(VALU_DEP_1) | instskip(NEXT) | instid1(VALU_DEP_1)
	v_lshlrev_b64 v[6:7], 3, v[7:8]
	v_add_co_u32 v6, s1, v14, v6
	s_delay_alu instid0(VALU_DEP_1)
	v_add_co_ci_u32_e64 v7, s1, v15, v7, s1
	global_load_b64 v[7:8], v[6:7], off
.LBB383_7:                              ;   in Loop: Header=BB383_5 Depth=1
	s_or_b32 exec_lo, exec_lo, s11
	v_add_nc_u32_e32 v22, s2, v9
	v_mov_b32_e32 v6, 0
	s_waitcnt vmcnt(0)
	ds_store_b64 v12, v[7:8]
	v_cmp_gt_i32_e64 s1, s6, v22
	s_delay_alu instid0(VALU_DEP_1) | instskip(NEXT) | instid1(SALU_CYCLE_1)
	s_and_b32 s1, s0, s1
	s_and_saveexec_b32 s11, s1
	s_cbranch_execz .LBB383_9
; %bb.8:                                ;   in Loop: Header=BB383_5 Depth=1
	v_mad_i64_i32 v[5:6], null, v22, s13, 0
	s_delay_alu instid0(VALU_DEP_1) | instskip(NEXT) | instid1(VALU_DEP_1)
	v_lshlrev_b64 v[5:6], 3, v[5:6]
	v_add_co_u32 v5, s1, v16, v5
	s_delay_alu instid0(VALU_DEP_1)
	v_add_co_ci_u32_e64 v6, s1, v17, v6, s1
	global_load_b64 v[5:6], v[5:6], off
	s_waitcnt vmcnt(0)
	v_xor_b32_e32 v6, 0x80000000, v6
.LBB383_9:                              ;   in Loop: Header=BB383_5 Depth=1
	s_or_b32 exec_lo, exec_lo, s11
	ds_store_b64 v18, v[5:6]
	s_waitcnt lgkmcnt(0)
	s_barrier
	buffer_gl0_inv
	s_and_saveexec_b32 s1, s10
	s_cbranch_execz .LBB383_4
; %bb.10:                               ;   in Loop: Header=BB383_5 Depth=1
	ds_load_b128 v[5:8], v11
	ds_load_b128 v[22:25], v11 offset:16
	ds_load_b128 v[26:29], v11 offset:32
	;; [unrolled: 1-line block ×3, first 2 shown]
	ds_load_2addr_b64 v[34:37], v13 offset1:32
	s_waitcnt lgkmcnt(0)
	v_mul_f32_e32 v38, v35, v6
	v_mul_f32_e32 v6, v34, v6
	s_delay_alu instid0(VALU_DEP_2) | instskip(NEXT) | instid1(VALU_DEP_2)
	v_fma_f32 v38, v34, v5, -v38
	v_fmac_f32_e32 v6, v35, v5
	v_mul_f32_e32 v34, v37, v8
	s_delay_alu instid0(VALU_DEP_3) | instskip(NEXT) | instid1(VALU_DEP_3)
	v_dual_mul_f32 v8, v36, v8 :: v_dual_add_f32 v5, 0, v38
	v_add_f32_e32 v6, 0, v6
	s_delay_alu instid0(VALU_DEP_3) | instskip(NEXT) | instid1(VALU_DEP_3)
	v_fma_f32 v34, v36, v7, -v34
	v_fmac_f32_e32 v8, v37, v7
	s_delay_alu instid0(VALU_DEP_1) | instskip(SKIP_3) | instid1(VALU_DEP_1)
	v_dual_add_f32 v34, v5, v34 :: v_dual_add_f32 v35, v6, v8
	ds_load_2addr_b64 v[5:8], v13 offset0:64 offset1:96
	s_waitcnt lgkmcnt(0)
	v_mul_f32_e32 v36, v6, v23
	v_fma_f32 v36, v5, v22, -v36
	v_mul_f32_e32 v5, v5, v23
	s_delay_alu instid0(VALU_DEP_1) | instskip(NEXT) | instid1(VALU_DEP_1)
	v_dual_fmac_f32 v5, v6, v22 :: v_dual_mul_f32 v22, v8, v25
	v_add_f32_e32 v5, v35, v5
	s_delay_alu instid0(VALU_DEP_2) | instskip(SKIP_1) | instid1(VALU_DEP_1)
	v_fma_f32 v22, v7, v24, -v22
	v_mul_f32_e32 v7, v7, v25
	v_fmac_f32_e32 v7, v8, v24
	s_delay_alu instid0(VALU_DEP_1) | instskip(NEXT) | instid1(VALU_DEP_1)
	v_dual_add_f32 v6, v34, v36 :: v_dual_add_f32 v23, v5, v7
	v_add_f32_e32 v22, v6, v22
	ds_load_2addr_b64 v[5:8], v13 offset0:128 offset1:160
	s_waitcnt lgkmcnt(0)
	v_mul_f32_e32 v24, v6, v27
	s_delay_alu instid0(VALU_DEP_1) | instskip(SKIP_1) | instid1(VALU_DEP_1)
	v_fma_f32 v24, v5, v26, -v24
	v_mul_f32_e32 v5, v5, v27
	v_fmac_f32_e32 v5, v6, v26
	s_delay_alu instid0(VALU_DEP_1) | instskip(SKIP_1) | instid1(VALU_DEP_1)
	v_dual_add_f32 v5, v23, v5 :: v_dual_add_f32 v6, v22, v24
	v_mul_f32_e32 v22, v8, v29
	v_fma_f32 v22, v7, v28, -v22
	v_mul_f32_e32 v7, v7, v29
	s_delay_alu instid0(VALU_DEP_1) | instskip(NEXT) | instid1(VALU_DEP_1)
	v_fmac_f32_e32 v7, v8, v28
	v_dual_add_f32 v23, v5, v7 :: v_dual_add_f32 v22, v6, v22
	ds_load_2addr_b64 v[5:8], v13 offset0:192 offset1:224
	s_waitcnt lgkmcnt(0)
	v_mul_f32_e32 v24, v6, v31
	s_delay_alu instid0(VALU_DEP_1) | instskip(SKIP_1) | instid1(VALU_DEP_1)
	v_fma_f32 v24, v5, v30, -v24
	v_mul_f32_e32 v5, v5, v31
	v_fmac_f32_e32 v5, v6, v30
	s_delay_alu instid0(VALU_DEP_1) | instskip(SKIP_1) | instid1(VALU_DEP_1)
	v_dual_add_f32 v5, v23, v5 :: v_dual_add_f32 v6, v22, v24
	v_mul_f32_e32 v22, v8, v33
	v_fma_f32 v22, v7, v32, -v22
	v_mul_f32_e32 v7, v7, v33
	s_delay_alu instid0(VALU_DEP_1) | instskip(NEXT) | instid1(VALU_DEP_1)
	v_fmac_f32_e32 v7, v8, v32
	v_dual_add_f32 v27, v5, v7 :: v_dual_add_f32 v26, v6, v22
	ds_load_b128 v[5:8], v11 offset:64
	ds_load_2addr_b64 v[22:25], v19 offset1:32
	s_waitcnt lgkmcnt(0)
	v_mul_f32_e32 v28, v23, v6
	v_mul_f32_e32 v6, v22, v6
	s_delay_alu instid0(VALU_DEP_2) | instskip(SKIP_1) | instid1(VALU_DEP_3)
	v_fma_f32 v28, v22, v5, -v28
	v_mul_f32_e32 v22, v25, v8
	v_fmac_f32_e32 v6, v23, v5
	v_mul_f32_e32 v8, v24, v8
	s_delay_alu instid0(VALU_DEP_4) | instskip(NEXT) | instid1(VALU_DEP_4)
	v_add_f32_e32 v5, v26, v28
	v_fma_f32 v22, v24, v7, -v22
	s_delay_alu instid0(VALU_DEP_3) | instskip(NEXT) | instid1(VALU_DEP_2)
	v_fmac_f32_e32 v8, v25, v7
	v_add_f32_e32 v26, v5, v22
	v_add_f32_e32 v6, v27, v6
	s_delay_alu instid0(VALU_DEP_1)
	v_add_f32_e32 v27, v6, v8
	ds_load_b128 v[5:8], v11 offset:80
	ds_load_2addr_b64 v[22:25], v19 offset0:64 offset1:96
	s_waitcnt lgkmcnt(0)
	v_mul_f32_e32 v28, v23, v6
	v_mul_f32_e32 v6, v22, v6
	s_delay_alu instid0(VALU_DEP_2) | instskip(NEXT) | instid1(VALU_DEP_2)
	v_fma_f32 v28, v22, v5, -v28
	v_fmac_f32_e32 v6, v23, v5
	v_mul_f32_e32 v22, v25, v8
	v_mul_f32_e32 v8, v24, v8
	s_delay_alu instid0(VALU_DEP_3) | instskip(NEXT) | instid1(VALU_DEP_3)
	v_add_f32_e32 v6, v27, v6
	v_fma_f32 v22, v24, v7, -v22
	s_delay_alu instid0(VALU_DEP_3) | instskip(NEXT) | instid1(VALU_DEP_1)
	v_fmac_f32_e32 v8, v25, v7
	v_add_f32_e32 v27, v6, v8
	v_add_f32_e32 v5, v26, v28
	s_delay_alu instid0(VALU_DEP_1)
	v_add_f32_e32 v26, v5, v22
	ds_load_b128 v[5:8], v11 offset:96
	ds_load_2addr_b64 v[22:25], v19 offset0:128 offset1:160
	s_waitcnt lgkmcnt(0)
	v_mul_f32_e32 v28, v23, v6
	v_mul_f32_e32 v6, v22, v6
	s_delay_alu instid0(VALU_DEP_2) | instskip(NEXT) | instid1(VALU_DEP_2)
	v_fma_f32 v28, v22, v5, -v28
	v_fmac_f32_e32 v6, v23, v5
	v_mul_f32_e32 v22, v25, v8
	v_mul_f32_e32 v8, v24, v8
	s_delay_alu instid0(VALU_DEP_3) | instskip(NEXT) | instid1(VALU_DEP_3)
	v_dual_add_f32 v5, v26, v28 :: v_dual_add_f32 v6, v27, v6
	v_fma_f32 v22, v24, v7, -v22
	s_delay_alu instid0(VALU_DEP_3) | instskip(NEXT) | instid1(VALU_DEP_1)
	v_fmac_f32_e32 v8, v25, v7
	v_dual_add_f32 v26, v5, v22 :: v_dual_add_f32 v27, v6, v8
	ds_load_b128 v[5:8], v11 offset:112
	ds_load_2addr_b64 v[22:25], v19 offset0:192 offset1:224
	s_waitcnt lgkmcnt(0)
	v_mul_f32_e32 v28, v23, v6
	v_mul_f32_e32 v6, v22, v6
	s_delay_alu instid0(VALU_DEP_2) | instskip(NEXT) | instid1(VALU_DEP_2)
	v_fma_f32 v28, v22, v5, -v28
	v_fmac_f32_e32 v6, v23, v5
	v_mul_f32_e32 v22, v25, v8
	v_mul_f32_e32 v8, v24, v8
	s_delay_alu instid0(VALU_DEP_3) | instskip(NEXT) | instid1(VALU_DEP_3)
	v_dual_add_f32 v5, v26, v28 :: v_dual_add_f32 v6, v27, v6
	v_fma_f32 v22, v24, v7, -v22
	s_delay_alu instid0(VALU_DEP_3) | instskip(NEXT) | instid1(VALU_DEP_1)
	v_fmac_f32_e32 v8, v25, v7
	v_dual_add_f32 v26, v5, v22 :: v_dual_add_f32 v27, v6, v8
	ds_load_b128 v[5:8], v11 offset:128
	ds_load_2addr_b64 v[22:25], v20 offset1:32
	s_waitcnt lgkmcnt(0)
	v_mul_f32_e32 v28, v23, v6
	v_mul_f32_e32 v6, v22, v6
	s_delay_alu instid0(VALU_DEP_2) | instskip(NEXT) | instid1(VALU_DEP_2)
	v_fma_f32 v28, v22, v5, -v28
	v_fmac_f32_e32 v6, v23, v5
	v_mul_f32_e32 v22, v25, v8
	v_mul_f32_e32 v8, v24, v8
	s_delay_alu instid0(VALU_DEP_3) | instskip(NEXT) | instid1(VALU_DEP_3)
	v_dual_add_f32 v5, v26, v28 :: v_dual_add_f32 v6, v27, v6
	v_fma_f32 v22, v24, v7, -v22
	s_delay_alu instid0(VALU_DEP_3) | instskip(NEXT) | instid1(VALU_DEP_1)
	v_fmac_f32_e32 v8, v25, v7
	v_dual_add_f32 v26, v5, v22 :: v_dual_add_f32 v27, v6, v8
	ds_load_b128 v[5:8], v11 offset:144
	ds_load_2addr_b64 v[22:25], v20 offset0:64 offset1:96
	s_waitcnt lgkmcnt(0)
	v_mul_f32_e32 v28, v23, v6
	v_mul_f32_e32 v6, v22, v6
	s_delay_alu instid0(VALU_DEP_2) | instskip(NEXT) | instid1(VALU_DEP_2)
	v_fma_f32 v28, v22, v5, -v28
	v_fmac_f32_e32 v6, v23, v5
	v_mul_f32_e32 v22, v25, v8
	v_mul_f32_e32 v8, v24, v8
	s_delay_alu instid0(VALU_DEP_3) | instskip(NEXT) | instid1(VALU_DEP_3)
	v_dual_add_f32 v5, v26, v28 :: v_dual_add_f32 v6, v27, v6
	v_fma_f32 v22, v24, v7, -v22
	s_delay_alu instid0(VALU_DEP_3) | instskip(NEXT) | instid1(VALU_DEP_1)
	v_fmac_f32_e32 v8, v25, v7
	v_dual_add_f32 v26, v5, v22 :: v_dual_add_f32 v27, v6, v8
	ds_load_b128 v[5:8], v11 offset:160
	ds_load_2addr_b64 v[22:25], v20 offset0:128 offset1:160
	;; [unrolled: 16-line block ×3, first 2 shown]
	s_waitcnt lgkmcnt(0)
	v_mul_f32_e32 v28, v23, v6
	v_mul_f32_e32 v6, v22, v6
	s_delay_alu instid0(VALU_DEP_2) | instskip(NEXT) | instid1(VALU_DEP_2)
	v_fma_f32 v28, v22, v5, -v28
	v_fmac_f32_e32 v6, v23, v5
	v_mul_f32_e32 v22, v25, v8
	v_mul_f32_e32 v8, v24, v8
	s_delay_alu instid0(VALU_DEP_3) | instskip(NEXT) | instid1(VALU_DEP_3)
	v_dual_add_f32 v5, v26, v28 :: v_dual_add_f32 v6, v27, v6
	v_fma_f32 v22, v24, v7, -v22
	s_delay_alu instid0(VALU_DEP_3) | instskip(NEXT) | instid1(VALU_DEP_1)
	v_fmac_f32_e32 v8, v25, v7
	v_dual_add_f32 v26, v5, v22 :: v_dual_add_f32 v27, v6, v8
	ds_load_b128 v[5:8], v11 offset:192
	ds_load_2addr_b64 v[22:25], v21 offset1:32
	s_waitcnt lgkmcnt(0)
	v_mul_f32_e32 v28, v23, v6
	v_mul_f32_e32 v6, v22, v6
	s_delay_alu instid0(VALU_DEP_2) | instskip(NEXT) | instid1(VALU_DEP_2)
	v_fma_f32 v28, v22, v5, -v28
	v_fmac_f32_e32 v6, v23, v5
	v_mul_f32_e32 v22, v25, v8
	v_mul_f32_e32 v8, v24, v8
	s_delay_alu instid0(VALU_DEP_3) | instskip(NEXT) | instid1(VALU_DEP_3)
	v_dual_add_f32 v5, v26, v28 :: v_dual_add_f32 v6, v27, v6
	v_fma_f32 v22, v24, v7, -v22
	s_delay_alu instid0(VALU_DEP_3) | instskip(NEXT) | instid1(VALU_DEP_1)
	v_fmac_f32_e32 v8, v25, v7
	v_dual_add_f32 v26, v5, v22 :: v_dual_add_f32 v27, v6, v8
	ds_load_b128 v[5:8], v11 offset:208
	ds_load_2addr_b64 v[22:25], v21 offset0:64 offset1:96
	s_waitcnt lgkmcnt(0)
	v_mul_f32_e32 v28, v23, v6
	v_mul_f32_e32 v6, v22, v6
	s_delay_alu instid0(VALU_DEP_2) | instskip(NEXT) | instid1(VALU_DEP_2)
	v_fma_f32 v28, v22, v5, -v28
	v_fmac_f32_e32 v6, v23, v5
	v_mul_f32_e32 v22, v25, v8
	v_mul_f32_e32 v8, v24, v8
	s_delay_alu instid0(VALU_DEP_3) | instskip(NEXT) | instid1(VALU_DEP_3)
	v_dual_add_f32 v5, v26, v28 :: v_dual_add_f32 v6, v27, v6
	v_fma_f32 v22, v24, v7, -v22
	s_delay_alu instid0(VALU_DEP_3) | instskip(NEXT) | instid1(VALU_DEP_1)
	v_fmac_f32_e32 v8, v25, v7
	v_dual_add_f32 v26, v5, v22 :: v_dual_add_f32 v27, v6, v8
	ds_load_b128 v[5:8], v11 offset:224
	ds_load_2addr_b64 v[22:25], v21 offset0:128 offset1:160
	;; [unrolled: 16-line block ×3, first 2 shown]
	s_waitcnt lgkmcnt(0)
	v_mul_f32_e32 v28, v23, v6
	v_mul_f32_e32 v6, v22, v6
	s_delay_alu instid0(VALU_DEP_2) | instskip(NEXT) | instid1(VALU_DEP_2)
	v_fma_f32 v28, v22, v5, -v28
	v_fmac_f32_e32 v6, v23, v5
	v_mul_f32_e32 v22, v25, v8
	v_mul_f32_e32 v8, v24, v8
	s_delay_alu instid0(VALU_DEP_3) | instskip(NEXT) | instid1(VALU_DEP_3)
	v_dual_add_f32 v5, v26, v28 :: v_dual_add_f32 v6, v27, v6
	v_fma_f32 v22, v24, v7, -v22
	s_delay_alu instid0(VALU_DEP_3) | instskip(NEXT) | instid1(VALU_DEP_1)
	v_fmac_f32_e32 v8, v25, v7
	v_dual_add_f32 v7, v5, v22 :: v_dual_add_f32 v6, v6, v8
	s_delay_alu instid0(VALU_DEP_1) | instskip(SKIP_1) | instid1(VALU_DEP_2)
	v_mul_f32_e32 v5, s9, v6
	v_mul_f32_e32 v6, s8, v6
	v_fma_f32 v5, s8, v7, -v5
	s_delay_alu instid0(VALU_DEP_2)
	v_fmac_f32_e32 v6, s9, v7
	global_load_b64 v[7:8], v[3:4], off
	s_waitcnt vmcnt(0)
	v_dual_add_f32 v5, v7, v5 :: v_dual_add_f32 v6, v8, v6
	global_store_b64 v[3:4], v[5:6], off
	s_branch .LBB383_4
.LBB383_11:
	v_cmp_eq_u32_e32 vcc_lo, v0, v2
	v_cmp_gt_i32_e64 s0, s5, v0
	s_delay_alu instid0(VALU_DEP_1) | instskip(NEXT) | instid1(SALU_CYCLE_1)
	s_and_b32 s0, vcc_lo, s0
	s_and_saveexec_b32 s1, s0
	s_cbranch_execz .LBB383_13
; %bb.12:
	v_mad_i64_i32 v[2:3], null, s3, v0, 0
	v_lshlrev_b64 v[0:1], 3, v[0:1]
	s_delay_alu instid0(VALU_DEP_2) | instskip(NEXT) | instid1(VALU_DEP_1)
	v_lshlrev_b64 v[2:3], 3, v[2:3]
	v_add_co_u32 v2, vcc_lo, s4, v2
	s_delay_alu instid0(VALU_DEP_2) | instskip(NEXT) | instid1(VALU_DEP_2)
	v_add_co_ci_u32_e32 v3, vcc_lo, s7, v3, vcc_lo
	v_add_co_u32 v0, vcc_lo, v2, v0
	s_delay_alu instid0(VALU_DEP_2)
	v_add_co_ci_u32_e32 v1, vcc_lo, v3, v1, vcc_lo
	v_mov_b32_e32 v2, 0
	global_store_b32 v[0:1], v2, off offset:4
.LBB383_13:
	s_nop 0
	s_sendmsg sendmsg(MSG_DEALLOC_VGPRS)
	s_endpgm
	.section	.rodata,"a",@progbits
	.p2align	6, 0x0
	.amdhsa_kernel _ZL26rocblas_syr2k_her2k_kernelIiLb0ELb1ELb0ELi32EPK19rocblas_complex_numIfES3_PS1_EvbiT_T4_T5_S5_lS7_S5_lT6_S5_li
		.amdhsa_group_segment_fixed_size 16384
		.amdhsa_private_segment_fixed_size 0
		.amdhsa_kernarg_size 100
		.amdhsa_user_sgpr_count 13
		.amdhsa_user_sgpr_dispatch_ptr 0
		.amdhsa_user_sgpr_queue_ptr 0
		.amdhsa_user_sgpr_kernarg_segment_ptr 1
		.amdhsa_user_sgpr_dispatch_id 0
		.amdhsa_user_sgpr_private_segment_size 0
		.amdhsa_wavefront_size32 1
		.amdhsa_uses_dynamic_stack 0
		.amdhsa_enable_private_segment 0
		.amdhsa_system_sgpr_workgroup_id_x 1
		.amdhsa_system_sgpr_workgroup_id_y 1
		.amdhsa_system_sgpr_workgroup_id_z 1
		.amdhsa_system_sgpr_workgroup_info 0
		.amdhsa_system_vgpr_workitem_id 1
		.amdhsa_next_free_vgpr 39
		.amdhsa_next_free_sgpr 24
		.amdhsa_reserve_vcc 1
		.amdhsa_float_round_mode_32 0
		.amdhsa_float_round_mode_16_64 0
		.amdhsa_float_denorm_mode_32 3
		.amdhsa_float_denorm_mode_16_64 3
		.amdhsa_dx10_clamp 1
		.amdhsa_ieee_mode 1
		.amdhsa_fp16_overflow 0
		.amdhsa_workgroup_processor_mode 1
		.amdhsa_memory_ordered 1
		.amdhsa_forward_progress 0
		.amdhsa_shared_vgpr_count 0
		.amdhsa_exception_fp_ieee_invalid_op 0
		.amdhsa_exception_fp_denorm_src 0
		.amdhsa_exception_fp_ieee_div_zero 0
		.amdhsa_exception_fp_ieee_overflow 0
		.amdhsa_exception_fp_ieee_underflow 0
		.amdhsa_exception_fp_ieee_inexact 0
		.amdhsa_exception_int_div_zero 0
	.end_amdhsa_kernel
	.section	.text._ZL26rocblas_syr2k_her2k_kernelIiLb0ELb1ELb0ELi32EPK19rocblas_complex_numIfES3_PS1_EvbiT_T4_T5_S5_lS7_S5_lT6_S5_li,"axG",@progbits,_ZL26rocblas_syr2k_her2k_kernelIiLb0ELb1ELb0ELi32EPK19rocblas_complex_numIfES3_PS1_EvbiT_T4_T5_S5_lS7_S5_lT6_S5_li,comdat
.Lfunc_end383:
	.size	_ZL26rocblas_syr2k_her2k_kernelIiLb0ELb1ELb0ELi32EPK19rocblas_complex_numIfES3_PS1_EvbiT_T4_T5_S5_lS7_S5_lT6_S5_li, .Lfunc_end383-_ZL26rocblas_syr2k_her2k_kernelIiLb0ELb1ELb0ELi32EPK19rocblas_complex_numIfES3_PS1_EvbiT_T4_T5_S5_lS7_S5_lT6_S5_li
                                        ; -- End function
	.section	.AMDGPU.csdata,"",@progbits
; Kernel info:
; codeLenInByte = 2384
; NumSgprs: 26
; NumVgprs: 39
; ScratchSize: 0
; MemoryBound: 0
; FloatMode: 240
; IeeeMode: 1
; LDSByteSize: 16384 bytes/workgroup (compile time only)
; SGPRBlocks: 3
; VGPRBlocks: 4
; NumSGPRsForWavesPerEU: 26
; NumVGPRsForWavesPerEU: 39
; Occupancy: 16
; WaveLimiterHint : 0
; COMPUTE_PGM_RSRC2:SCRATCH_EN: 0
; COMPUTE_PGM_RSRC2:USER_SGPR: 13
; COMPUTE_PGM_RSRC2:TRAP_HANDLER: 0
; COMPUTE_PGM_RSRC2:TGID_X_EN: 1
; COMPUTE_PGM_RSRC2:TGID_Y_EN: 1
; COMPUTE_PGM_RSRC2:TGID_Z_EN: 1
; COMPUTE_PGM_RSRC2:TIDIG_COMP_CNT: 1
	.section	.text._ZL26rocblas_syr2k_her2k_kernelIiLb0ELb1ELb1ELi32EPK19rocblas_complex_numIfES3_PS1_EvbiT_T4_T5_S5_lS7_S5_lT6_S5_li,"axG",@progbits,_ZL26rocblas_syr2k_her2k_kernelIiLb0ELb1ELb1ELi32EPK19rocblas_complex_numIfES3_PS1_EvbiT_T4_T5_S5_lS7_S5_lT6_S5_li,comdat
	.globl	_ZL26rocblas_syr2k_her2k_kernelIiLb0ELb1ELb1ELi32EPK19rocblas_complex_numIfES3_PS1_EvbiT_T4_T5_S5_lS7_S5_lT6_S5_li ; -- Begin function _ZL26rocblas_syr2k_her2k_kernelIiLb0ELb1ELb1ELi32EPK19rocblas_complex_numIfES3_PS1_EvbiT_T4_T5_S5_lS7_S5_lT6_S5_li
	.p2align	8
	.type	_ZL26rocblas_syr2k_her2k_kernelIiLb0ELb1ELb1ELi32EPK19rocblas_complex_numIfES3_PS1_EvbiT_T4_T5_S5_lS7_S5_lT6_S5_li,@function
_ZL26rocblas_syr2k_her2k_kernelIiLb0ELb1ELb1ELi32EPK19rocblas_complex_numIfES3_PS1_EvbiT_T4_T5_S5_lS7_S5_lT6_S5_li: ; @_ZL26rocblas_syr2k_her2k_kernelIiLb0ELb1ELb1ELi32EPK19rocblas_complex_numIfES3_PS1_EvbiT_T4_T5_S5_lS7_S5_lT6_S5_li
; %bb.0:
	s_load_b128 s[8:11], s[0:1], 0x10
	s_waitcnt lgkmcnt(0)
	s_load_b64 s[8:9], s[8:9], 0x0
	s_waitcnt lgkmcnt(0)
	v_cmp_eq_f32_e64 s2, s8, 0
	v_cmp_eq_f32_e64 s3, s9, 0
	s_delay_alu instid0(VALU_DEP_1) | instskip(NEXT) | instid1(SALU_CYCLE_1)
	s_and_b32 s2, s2, s3
	s_and_b32 vcc_lo, exec_lo, s2
	s_cbranch_vccnz .LBB384_13
; %bb.1:
	s_load_b128 s[4:7], s[0:1], 0x0
	s_waitcnt lgkmcnt(0)
	s_lshl_b32 s7, s14, 5
	s_and_b32 s2, 1, s4
	s_lshl_b32 s4, s13, 5
	s_cmp_eq_u32 s2, 1
	s_cselect_b32 s2, -1, 0
	s_delay_alu instid0(SALU_CYCLE_1) | instskip(SKIP_2) | instid1(SALU_CYCLE_1)
	s_and_b32 s3, s2, exec_lo
	s_cselect_b32 s3, s4, s7
	s_cselect_b32 s12, s7, s4
	s_cmp_gt_i32 s3, s12
	s_cbranch_scc1 .LBB384_13
; %bb.2:
	s_clause 0x2
	s_load_b64 s[12:13], s[0:1], 0x58
	s_load_b128 s[20:23], s[0:1], 0x40
	s_load_b32 s3, s[0:1], 0x50
	v_and_b32_e32 v10, 0x3ff, v0
	v_bfe_u32 v11, v0, 10, 10
	s_delay_alu instid0(VALU_DEP_2) | instskip(NEXT) | instid1(VALU_DEP_2)
	v_add_nc_u32_e32 v0, s4, v10
	v_add_nc_u32_e32 v12, s7, v11
	s_delay_alu instid0(VALU_DEP_2)
	v_cmp_gt_i32_e32 vcc_lo, s5, v0
	v_ashrrev_i32_e32 v1, 31, v0
	s_waitcnt lgkmcnt(0)
	s_mul_i32 s4, s15, s13
	s_mul_hi_u32 s13, s15, s12
	s_mul_i32 s12, s15, s12
	s_add_i32 s13, s13, s4
	s_delay_alu instid0(SALU_CYCLE_1) | instskip(NEXT) | instid1(SALU_CYCLE_1)
	s_lshl_b64 s[12:13], s[12:13], 3
	s_add_u32 s4, s22, s12
	s_addc_u32 s7, s23, s13
	s_cmp_lt_i32 s6, 1
	s_cbranch_scc1 .LBB384_11
; %bb.3:
	s_clause 0x2
	s_load_b128 s[16:19], s[0:1], 0x28
	s_load_b32 s13, s[0:1], 0x20
	s_load_b32 s1, s[0:1], 0x38
	v_cndmask_b32_e64 v8, v0, v12, s2
	v_cndmask_b32_e64 v9, v12, v0, s2
	s_mul_i32 s21, s15, s21
	s_mul_hi_u32 s22, s15, s20
	s_mul_i32 s12, s15, s20
	v_mad_i64_i32 v[2:3], null, s3, v12, 0
	v_lshlrev_b32_e32 v17, 3, v11
	v_lshlrev_b32_e32 v13, 8, v10
	v_cmp_gt_i32_e64 s0, s5, v12
	s_delay_alu instid0(VALU_DEP_4) | instskip(NEXT) | instid1(VALU_DEP_3)
	v_lshlrev_b64 v[2:3], 3, v[2:3]
	v_add_nc_u32_e32 v14, v13, v17
	v_or_b32_e32 v17, 0x2000, v17
	s_waitcnt lgkmcnt(0)
	s_mul_i32 s2, s15, s17
	v_mad_i64_i32 v[4:5], null, s13, v0, 0
	v_mad_i64_i32 v[6:7], null, s1, v12, 0
	s_mul_hi_u32 s17, s15, s16
	s_mul_i32 s14, s15, s16
	s_add_i32 s15, s17, s2
	v_add_nc_u32_e32 v20, v17, v13
	s_lshl_b64 s[14:15], s[14:15], 3
	s_delay_alu instid0(VALU_DEP_3)
	v_lshlrev_b64 v[4:5], 3, v[4:5]
	s_add_u32 s1, s10, s14
	s_addc_u32 s2, s11, s15
	s_add_i32 s13, s22, s21
	v_lshlrev_b64 v[6:7], 3, v[6:7]
	s_lshl_b64 s[10:11], s[12:13], 3
	v_add_co_u32 v15, s1, s1, v4
	s_add_u32 s10, s18, s10
	v_add_co_ci_u32_e64 v16, s1, s2, v5, s1
	s_addc_u32 s11, s19, s11
	v_add_co_u32 v18, s1, s10, v6
	s_delay_alu instid0(VALU_DEP_1) | instskip(SKIP_2) | instid1(VALU_DEP_1)
	v_add_co_ci_u32_e64 v19, s1, s11, v7, s1
	v_lshlrev_b64 v[4:5], 3, v[0:1]
	v_add_co_u32 v2, s1, s4, v2
	v_add_co_ci_u32_e64 v3, s1, s7, v3, s1
	v_cmp_le_i32_e64 s1, v9, v8
	s_delay_alu instid0(VALU_DEP_3) | instskip(NEXT) | instid1(VALU_DEP_1)
	v_add_co_u32 v2, s2, v2, v4
	v_add_co_ci_u32_e64 v3, s2, v3, v5, s2
	v_add_nc_u32_e32 v21, 0x800, v17
	v_add_nc_u32_e32 v22, 0x1000, v17
	v_add_nc_u32_e32 v23, 0x1800, v17
	s_and_b32 s10, s0, vcc_lo
	s_mov_b32 s2, 0
	s_and_b32 s10, s10, s1
	s_branch .LBB384_5
.LBB384_4:                              ;   in Loop: Header=BB384_5 Depth=1
	s_or_b32 exec_lo, exec_lo, s1
	s_add_i32 s2, s2, 32
	s_waitcnt_vscnt null, 0x0
	s_cmp_ge_i32 s2, s6
	s_barrier
	buffer_gl0_inv
	s_cbranch_scc1 .LBB384_11
.LBB384_5:                              ; =>This Inner Loop Header: Depth=1
	v_dual_mov_b32 v4, 0 :: v_dual_add_nc_u32 v5, s2, v11
	v_dual_mov_b32 v6, 0 :: v_dual_mov_b32 v7, 0
	s_delay_alu instid0(VALU_DEP_2) | instskip(NEXT) | instid1(VALU_DEP_1)
	v_cmp_gt_i32_e64 s1, s6, v5
	s_and_b32 s1, vcc_lo, s1
	s_delay_alu instid0(SALU_CYCLE_1)
	s_and_saveexec_b32 s11, s1
	s_cbranch_execz .LBB384_7
; %bb.6:                                ;   in Loop: Header=BB384_5 Depth=1
	v_ashrrev_i32_e32 v6, 31, v5
	s_delay_alu instid0(VALU_DEP_1) | instskip(NEXT) | instid1(VALU_DEP_1)
	v_lshlrev_b64 v[5:6], 3, v[5:6]
	v_add_co_u32 v5, s1, v15, v5
	s_delay_alu instid0(VALU_DEP_1)
	v_add_co_ci_u32_e64 v6, s1, v16, v6, s1
	global_load_b64 v[6:7], v[5:6], off
	s_waitcnt vmcnt(0)
	v_xor_b32_e32 v7, 0x80000000, v7
.LBB384_7:                              ;   in Loop: Header=BB384_5 Depth=1
	s_or_b32 exec_lo, exec_lo, s11
	v_dual_mov_b32 v5, 0 :: v_dual_add_nc_u32 v8, s2, v10
	ds_store_b64 v14, v[6:7]
	v_cmp_gt_i32_e64 s1, s6, v8
	s_delay_alu instid0(VALU_DEP_1) | instskip(NEXT) | instid1(SALU_CYCLE_1)
	s_and_b32 s1, s0, s1
	s_and_saveexec_b32 s11, s1
	s_cbranch_execz .LBB384_9
; %bb.8:                                ;   in Loop: Header=BB384_5 Depth=1
	v_ashrrev_i32_e32 v9, 31, v8
	s_delay_alu instid0(VALU_DEP_1) | instskip(NEXT) | instid1(VALU_DEP_1)
	v_lshlrev_b64 v[4:5], 3, v[8:9]
	v_add_co_u32 v4, s1, v18, v4
	s_delay_alu instid0(VALU_DEP_1)
	v_add_co_ci_u32_e64 v5, s1, v19, v5, s1
	global_load_b64 v[4:5], v[4:5], off
.LBB384_9:                              ;   in Loop: Header=BB384_5 Depth=1
	s_or_b32 exec_lo, exec_lo, s11
	s_waitcnt vmcnt(0)
	ds_store_b64 v20, v[4:5]
	s_waitcnt lgkmcnt(0)
	s_barrier
	buffer_gl0_inv
	s_and_saveexec_b32 s1, s10
	s_cbranch_execz .LBB384_4
; %bb.10:                               ;   in Loop: Header=BB384_5 Depth=1
	ds_load_b128 v[4:7], v13
	ds_load_b128 v[24:27], v13 offset:16
	ds_load_b128 v[28:31], v13 offset:32
	ds_load_b128 v[32:35], v13 offset:48
	ds_load_2addr_b64 v[36:39], v17 offset1:32
	s_waitcnt lgkmcnt(0)
	v_mul_f32_e32 v8, v37, v5
	s_delay_alu instid0(VALU_DEP_1) | instskip(SKIP_1) | instid1(VALU_DEP_1)
	v_fma_f32 v8, v36, v4, -v8
	v_mul_f32_e32 v5, v36, v5
	v_fmac_f32_e32 v5, v37, v4
	s_delay_alu instid0(VALU_DEP_3) | instskip(SKIP_2) | instid1(VALU_DEP_2)
	v_add_f32_e32 v4, 0, v8
	v_mul_f32_e32 v8, v39, v7
	v_mul_f32_e32 v7, v38, v7
	v_fma_f32 v8, v38, v6, -v8
	v_add_f32_e32 v5, 0, v5
	s_delay_alu instid0(VALU_DEP_2) | instskip(NEXT) | instid1(VALU_DEP_1)
	v_dual_fmac_f32 v7, v39, v6 :: v_dual_add_f32 v8, v4, v8
	v_add_f32_e32 v9, v5, v7
	ds_load_2addr_b64 v[4:7], v17 offset0:64 offset1:96
	s_waitcnt lgkmcnt(0)
	v_mul_f32_e32 v36, v5, v25
	s_delay_alu instid0(VALU_DEP_1) | instskip(SKIP_1) | instid1(VALU_DEP_1)
	v_fma_f32 v36, v4, v24, -v36
	v_mul_f32_e32 v4, v4, v25
	v_fmac_f32_e32 v4, v5, v24
	s_delay_alu instid0(VALU_DEP_3) | instskip(NEXT) | instid1(VALU_DEP_2)
	v_dual_add_f32 v5, v8, v36 :: v_dual_mul_f32 v8, v7, v27
	v_add_f32_e32 v4, v9, v4
	s_delay_alu instid0(VALU_DEP_2) | instskip(NEXT) | instid1(VALU_DEP_1)
	v_fma_f32 v8, v6, v26, -v8
	v_add_f32_e32 v8, v5, v8
	v_mul_f32_e32 v6, v6, v27
	s_delay_alu instid0(VALU_DEP_1) | instskip(NEXT) | instid1(VALU_DEP_1)
	v_fmac_f32_e32 v6, v7, v26
	v_add_f32_e32 v9, v4, v6
	ds_load_2addr_b64 v[4:7], v17 offset0:128 offset1:160
	s_waitcnt lgkmcnt(0)
	v_mul_f32_e32 v24, v5, v29
	s_delay_alu instid0(VALU_DEP_1) | instskip(SKIP_1) | instid1(VALU_DEP_1)
	v_fma_f32 v24, v4, v28, -v24
	v_mul_f32_e32 v4, v4, v29
	v_fmac_f32_e32 v4, v5, v28
	s_delay_alu instid0(VALU_DEP_3) | instskip(NEXT) | instid1(VALU_DEP_2)
	v_dual_add_f32 v5, v8, v24 :: v_dual_mul_f32 v8, v7, v31
	v_add_f32_e32 v4, v9, v4
	s_delay_alu instid0(VALU_DEP_2) | instskip(SKIP_1) | instid1(VALU_DEP_2)
	v_fma_f32 v8, v6, v30, -v8
	v_mul_f32_e32 v6, v6, v31
	v_add_f32_e32 v8, v5, v8
	s_delay_alu instid0(VALU_DEP_2) | instskip(NEXT) | instid1(VALU_DEP_1)
	v_fmac_f32_e32 v6, v7, v30
	v_add_f32_e32 v9, v4, v6
	ds_load_2addr_b64 v[4:7], v17 offset0:192 offset1:224
	s_waitcnt lgkmcnt(0)
	v_mul_f32_e32 v24, v5, v33
	s_delay_alu instid0(VALU_DEP_1) | instskip(SKIP_1) | instid1(VALU_DEP_1)
	v_fma_f32 v24, v4, v32, -v24
	v_mul_f32_e32 v4, v4, v33
	v_fmac_f32_e32 v4, v5, v32
	s_delay_alu instid0(VALU_DEP_3) | instskip(NEXT) | instid1(VALU_DEP_2)
	v_dual_add_f32 v5, v8, v24 :: v_dual_mul_f32 v8, v7, v35
	v_add_f32_e32 v4, v9, v4
	s_delay_alu instid0(VALU_DEP_2) | instskip(SKIP_1) | instid1(VALU_DEP_2)
	v_fma_f32 v8, v6, v34, -v8
	v_mul_f32_e32 v6, v6, v35
	v_add_f32_e32 v8, v5, v8
	s_delay_alu instid0(VALU_DEP_2) | instskip(NEXT) | instid1(VALU_DEP_1)
	v_fmac_f32_e32 v6, v7, v34
	v_add_f32_e32 v9, v4, v6
	ds_load_b128 v[4:7], v13 offset:64
	ds_load_2addr_b64 v[24:27], v21 offset1:32
	s_waitcnt lgkmcnt(0)
	v_mul_f32_e32 v28, v25, v5
	v_mul_f32_e32 v5, v24, v5
	s_delay_alu instid0(VALU_DEP_2) | instskip(NEXT) | instid1(VALU_DEP_2)
	v_fma_f32 v28, v24, v4, -v28
	v_fmac_f32_e32 v5, v25, v4
	s_delay_alu instid0(VALU_DEP_2) | instskip(SKIP_2) | instid1(VALU_DEP_4)
	v_add_f32_e32 v4, v8, v28
	v_mul_f32_e32 v8, v27, v7
	v_mul_f32_e32 v7, v26, v7
	v_add_f32_e32 v5, v9, v5
	s_delay_alu instid0(VALU_DEP_3) | instskip(NEXT) | instid1(VALU_DEP_1)
	v_fma_f32 v8, v26, v6, -v8
	v_dual_fmac_f32 v7, v27, v6 :: v_dual_add_f32 v8, v4, v8
	s_delay_alu instid0(VALU_DEP_1)
	v_add_f32_e32 v9, v5, v7
	ds_load_b128 v[4:7], v13 offset:80
	ds_load_2addr_b64 v[24:27], v21 offset0:64 offset1:96
	s_waitcnt lgkmcnt(0)
	v_mul_f32_e32 v28, v25, v5
	v_mul_f32_e32 v5, v24, v5
	s_delay_alu instid0(VALU_DEP_2) | instskip(NEXT) | instid1(VALU_DEP_2)
	v_fma_f32 v28, v24, v4, -v28
	v_fmac_f32_e32 v5, v25, v4
	s_delay_alu instid0(VALU_DEP_2) | instskip(SKIP_2) | instid1(VALU_DEP_4)
	v_add_f32_e32 v4, v8, v28
	v_mul_f32_e32 v8, v27, v7
	v_mul_f32_e32 v7, v26, v7
	v_add_f32_e32 v5, v9, v5
	s_delay_alu instid0(VALU_DEP_3) | instskip(NEXT) | instid1(VALU_DEP_1)
	v_fma_f32 v8, v26, v6, -v8
	v_dual_fmac_f32 v7, v27, v6 :: v_dual_add_f32 v8, v4, v8
	s_delay_alu instid0(VALU_DEP_1)
	v_add_f32_e32 v9, v5, v7
	ds_load_b128 v[4:7], v13 offset:96
	ds_load_2addr_b64 v[24:27], v21 offset0:128 offset1:160
	;; [unrolled: 18-line block ×3, first 2 shown]
	s_waitcnt lgkmcnt(0)
	v_mul_f32_e32 v28, v25, v5
	v_mul_f32_e32 v5, v24, v5
	s_delay_alu instid0(VALU_DEP_2) | instskip(NEXT) | instid1(VALU_DEP_2)
	v_fma_f32 v28, v24, v4, -v28
	v_fmac_f32_e32 v5, v25, v4
	s_delay_alu instid0(VALU_DEP_2) | instskip(SKIP_2) | instid1(VALU_DEP_4)
	v_add_f32_e32 v4, v8, v28
	v_mul_f32_e32 v8, v27, v7
	v_mul_f32_e32 v7, v26, v7
	v_add_f32_e32 v5, v9, v5
	s_delay_alu instid0(VALU_DEP_3) | instskip(NEXT) | instid1(VALU_DEP_1)
	v_fma_f32 v8, v26, v6, -v8
	v_dual_fmac_f32 v7, v27, v6 :: v_dual_add_f32 v8, v4, v8
	s_delay_alu instid0(VALU_DEP_1)
	v_add_f32_e32 v9, v5, v7
	ds_load_b128 v[4:7], v13 offset:128
	ds_load_2addr_b64 v[24:27], v22 offset1:32
	s_waitcnt lgkmcnt(0)
	v_mul_f32_e32 v28, v25, v5
	v_mul_f32_e32 v5, v24, v5
	s_delay_alu instid0(VALU_DEP_2) | instskip(NEXT) | instid1(VALU_DEP_2)
	v_fma_f32 v28, v24, v4, -v28
	v_fmac_f32_e32 v5, v25, v4
	s_delay_alu instid0(VALU_DEP_2) | instskip(SKIP_2) | instid1(VALU_DEP_4)
	v_add_f32_e32 v4, v8, v28
	v_mul_f32_e32 v8, v27, v7
	v_mul_f32_e32 v7, v26, v7
	v_add_f32_e32 v5, v9, v5
	s_delay_alu instid0(VALU_DEP_3) | instskip(NEXT) | instid1(VALU_DEP_1)
	v_fma_f32 v8, v26, v6, -v8
	v_dual_fmac_f32 v7, v27, v6 :: v_dual_add_f32 v8, v4, v8
	s_delay_alu instid0(VALU_DEP_1)
	v_add_f32_e32 v9, v5, v7
	ds_load_b128 v[4:7], v13 offset:144
	ds_load_2addr_b64 v[24:27], v22 offset0:64 offset1:96
	s_waitcnt lgkmcnt(0)
	v_mul_f32_e32 v28, v25, v5
	v_mul_f32_e32 v5, v24, v5
	s_delay_alu instid0(VALU_DEP_2) | instskip(NEXT) | instid1(VALU_DEP_2)
	v_fma_f32 v28, v24, v4, -v28
	v_fmac_f32_e32 v5, v25, v4
	s_delay_alu instid0(VALU_DEP_2) | instskip(SKIP_2) | instid1(VALU_DEP_4)
	v_add_f32_e32 v4, v8, v28
	v_mul_f32_e32 v8, v27, v7
	v_mul_f32_e32 v7, v26, v7
	v_add_f32_e32 v5, v9, v5
	s_delay_alu instid0(VALU_DEP_3) | instskip(NEXT) | instid1(VALU_DEP_1)
	v_fma_f32 v8, v26, v6, -v8
	v_dual_fmac_f32 v7, v27, v6 :: v_dual_add_f32 v8, v4, v8
	s_delay_alu instid0(VALU_DEP_1)
	v_add_f32_e32 v9, v5, v7
	ds_load_b128 v[4:7], v13 offset:160
	ds_load_2addr_b64 v[24:27], v22 offset0:128 offset1:160
	;; [unrolled: 18-line block ×3, first 2 shown]
	s_waitcnt lgkmcnt(0)
	v_mul_f32_e32 v28, v25, v5
	v_mul_f32_e32 v5, v24, v5
	s_delay_alu instid0(VALU_DEP_2) | instskip(NEXT) | instid1(VALU_DEP_2)
	v_fma_f32 v28, v24, v4, -v28
	v_fmac_f32_e32 v5, v25, v4
	s_delay_alu instid0(VALU_DEP_1) | instskip(SKIP_2) | instid1(VALU_DEP_2)
	v_dual_add_f32 v5, v9, v5 :: v_dual_add_f32 v4, v8, v28
	v_mul_f32_e32 v8, v27, v7
	v_mul_f32_e32 v7, v26, v7
	v_fma_f32 v8, v26, v6, -v8
	s_delay_alu instid0(VALU_DEP_2) | instskip(NEXT) | instid1(VALU_DEP_1)
	v_fmac_f32_e32 v7, v27, v6
	v_dual_add_f32 v9, v5, v7 :: v_dual_add_f32 v8, v4, v8
	ds_load_b128 v[4:7], v13 offset:192
	ds_load_2addr_b64 v[24:27], v23 offset1:32
	s_waitcnt lgkmcnt(0)
	v_mul_f32_e32 v28, v25, v5
	v_mul_f32_e32 v5, v24, v5
	s_delay_alu instid0(VALU_DEP_2) | instskip(NEXT) | instid1(VALU_DEP_2)
	v_fma_f32 v28, v24, v4, -v28
	v_fmac_f32_e32 v5, v25, v4
	s_delay_alu instid0(VALU_DEP_1) | instskip(SKIP_2) | instid1(VALU_DEP_2)
	v_dual_add_f32 v5, v9, v5 :: v_dual_add_f32 v4, v8, v28
	v_mul_f32_e32 v8, v27, v7
	v_mul_f32_e32 v7, v26, v7
	v_fma_f32 v8, v26, v6, -v8
	s_delay_alu instid0(VALU_DEP_2) | instskip(NEXT) | instid1(VALU_DEP_1)
	v_fmac_f32_e32 v7, v27, v6
	v_dual_add_f32 v9, v5, v7 :: v_dual_add_f32 v8, v4, v8
	ds_load_b128 v[4:7], v13 offset:208
	ds_load_2addr_b64 v[24:27], v23 offset0:64 offset1:96
	s_waitcnt lgkmcnt(0)
	v_mul_f32_e32 v28, v25, v5
	v_mul_f32_e32 v5, v24, v5
	s_delay_alu instid0(VALU_DEP_2) | instskip(NEXT) | instid1(VALU_DEP_2)
	v_fma_f32 v28, v24, v4, -v28
	v_fmac_f32_e32 v5, v25, v4
	s_delay_alu instid0(VALU_DEP_1) | instskip(SKIP_2) | instid1(VALU_DEP_2)
	v_dual_add_f32 v5, v9, v5 :: v_dual_add_f32 v4, v8, v28
	v_mul_f32_e32 v8, v27, v7
	v_mul_f32_e32 v7, v26, v7
	v_fma_f32 v8, v26, v6, -v8
	s_delay_alu instid0(VALU_DEP_1) | instskip(NEXT) | instid1(VALU_DEP_1)
	v_dual_fmac_f32 v7, v27, v6 :: v_dual_add_f32 v8, v4, v8
	v_add_f32_e32 v9, v5, v7
	ds_load_b128 v[4:7], v13 offset:224
	ds_load_2addr_b64 v[24:27], v23 offset0:128 offset1:160
	s_waitcnt lgkmcnt(0)
	v_mul_f32_e32 v28, v25, v5
	v_mul_f32_e32 v5, v24, v5
	s_delay_alu instid0(VALU_DEP_2) | instskip(NEXT) | instid1(VALU_DEP_2)
	v_fma_f32 v28, v24, v4, -v28
	v_fmac_f32_e32 v5, v25, v4
	s_delay_alu instid0(VALU_DEP_1) | instskip(SKIP_2) | instid1(VALU_DEP_2)
	v_dual_add_f32 v4, v8, v28 :: v_dual_add_f32 v5, v9, v5
	v_mul_f32_e32 v8, v27, v7
	v_mul_f32_e32 v7, v26, v7
	v_fma_f32 v8, v26, v6, -v8
	s_delay_alu instid0(VALU_DEP_1) | instskip(NEXT) | instid1(VALU_DEP_1)
	v_dual_fmac_f32 v7, v27, v6 :: v_dual_add_f32 v8, v4, v8
	v_add_f32_e32 v9, v5, v7
	ds_load_b128 v[4:7], v13 offset:240
	ds_load_2addr_b64 v[24:27], v23 offset0:192 offset1:224
	s_waitcnt lgkmcnt(0)
	v_mul_f32_e32 v28, v25, v5
	v_mul_f32_e32 v5, v24, v5
	s_delay_alu instid0(VALU_DEP_2) | instskip(NEXT) | instid1(VALU_DEP_2)
	v_fma_f32 v28, v24, v4, -v28
	v_fmac_f32_e32 v5, v25, v4
	s_delay_alu instid0(VALU_DEP_2) | instskip(SKIP_2) | instid1(VALU_DEP_2)
	v_add_f32_e32 v4, v8, v28
	v_mul_f32_e32 v8, v27, v7
	v_mul_f32_e32 v7, v26, v7
	v_fma_f32 v8, v26, v6, -v8
	v_add_f32_e32 v5, v9, v5
	s_delay_alu instid0(VALU_DEP_2) | instskip(NEXT) | instid1(VALU_DEP_1)
	v_dual_fmac_f32 v7, v27, v6 :: v_dual_add_f32 v6, v4, v8
	v_add_f32_e32 v5, v5, v7
	s_delay_alu instid0(VALU_DEP_1) | instskip(SKIP_1) | instid1(VALU_DEP_2)
	v_mul_f32_e32 v4, s9, v5
	v_mul_f32_e32 v5, s8, v5
	v_fma_f32 v4, s8, v6, -v4
	s_delay_alu instid0(VALU_DEP_2)
	v_fmac_f32_e32 v5, s9, v6
	global_load_b64 v[6:7], v[2:3], off
	s_waitcnt vmcnt(0)
	v_dual_add_f32 v4, v6, v4 :: v_dual_add_f32 v5, v7, v5
	global_store_b64 v[2:3], v[4:5], off
	s_branch .LBB384_4
.LBB384_11:
	v_cmp_eq_u32_e32 vcc_lo, v0, v12
	v_cmp_gt_i32_e64 s0, s5, v0
	s_delay_alu instid0(VALU_DEP_1) | instskip(NEXT) | instid1(SALU_CYCLE_1)
	s_and_b32 s0, vcc_lo, s0
	s_and_saveexec_b32 s1, s0
	s_cbranch_execz .LBB384_13
; %bb.12:
	v_mad_i64_i32 v[2:3], null, s3, v0, 0
	v_lshlrev_b64 v[0:1], 3, v[0:1]
	s_delay_alu instid0(VALU_DEP_2) | instskip(NEXT) | instid1(VALU_DEP_1)
	v_lshlrev_b64 v[2:3], 3, v[2:3]
	v_add_co_u32 v2, vcc_lo, s4, v2
	s_delay_alu instid0(VALU_DEP_2) | instskip(NEXT) | instid1(VALU_DEP_2)
	v_add_co_ci_u32_e32 v3, vcc_lo, s7, v3, vcc_lo
	v_add_co_u32 v0, vcc_lo, v2, v0
	s_delay_alu instid0(VALU_DEP_2)
	v_add_co_ci_u32_e32 v1, vcc_lo, v3, v1, vcc_lo
	v_mov_b32_e32 v2, 0
	global_store_b32 v[0:1], v2, off offset:4
.LBB384_13:
	s_nop 0
	s_sendmsg sendmsg(MSG_DEALLOC_VGPRS)
	s_endpgm
	.section	.rodata,"a",@progbits
	.p2align	6, 0x0
	.amdhsa_kernel _ZL26rocblas_syr2k_her2k_kernelIiLb0ELb1ELb1ELi32EPK19rocblas_complex_numIfES3_PS1_EvbiT_T4_T5_S5_lS7_S5_lT6_S5_li
		.amdhsa_group_segment_fixed_size 16384
		.amdhsa_private_segment_fixed_size 0
		.amdhsa_kernarg_size 100
		.amdhsa_user_sgpr_count 13
		.amdhsa_user_sgpr_dispatch_ptr 0
		.amdhsa_user_sgpr_queue_ptr 0
		.amdhsa_user_sgpr_kernarg_segment_ptr 1
		.amdhsa_user_sgpr_dispatch_id 0
		.amdhsa_user_sgpr_private_segment_size 0
		.amdhsa_wavefront_size32 1
		.amdhsa_uses_dynamic_stack 0
		.amdhsa_enable_private_segment 0
		.amdhsa_system_sgpr_workgroup_id_x 1
		.amdhsa_system_sgpr_workgroup_id_y 1
		.amdhsa_system_sgpr_workgroup_id_z 1
		.amdhsa_system_sgpr_workgroup_info 0
		.amdhsa_system_vgpr_workitem_id 1
		.amdhsa_next_free_vgpr 40
		.amdhsa_next_free_sgpr 24
		.amdhsa_reserve_vcc 1
		.amdhsa_float_round_mode_32 0
		.amdhsa_float_round_mode_16_64 0
		.amdhsa_float_denorm_mode_32 3
		.amdhsa_float_denorm_mode_16_64 3
		.amdhsa_dx10_clamp 1
		.amdhsa_ieee_mode 1
		.amdhsa_fp16_overflow 0
		.amdhsa_workgroup_processor_mode 1
		.amdhsa_memory_ordered 1
		.amdhsa_forward_progress 0
		.amdhsa_shared_vgpr_count 0
		.amdhsa_exception_fp_ieee_invalid_op 0
		.amdhsa_exception_fp_denorm_src 0
		.amdhsa_exception_fp_ieee_div_zero 0
		.amdhsa_exception_fp_ieee_overflow 0
		.amdhsa_exception_fp_ieee_underflow 0
		.amdhsa_exception_fp_ieee_inexact 0
		.amdhsa_exception_int_div_zero 0
	.end_amdhsa_kernel
	.section	.text._ZL26rocblas_syr2k_her2k_kernelIiLb0ELb1ELb1ELi32EPK19rocblas_complex_numIfES3_PS1_EvbiT_T4_T5_S5_lS7_S5_lT6_S5_li,"axG",@progbits,_ZL26rocblas_syr2k_her2k_kernelIiLb0ELb1ELb1ELi32EPK19rocblas_complex_numIfES3_PS1_EvbiT_T4_T5_S5_lS7_S5_lT6_S5_li,comdat
.Lfunc_end384:
	.size	_ZL26rocblas_syr2k_her2k_kernelIiLb0ELb1ELb1ELi32EPK19rocblas_complex_numIfES3_PS1_EvbiT_T4_T5_S5_lS7_S5_lT6_S5_li, .Lfunc_end384-_ZL26rocblas_syr2k_her2k_kernelIiLb0ELb1ELb1ELi32EPK19rocblas_complex_numIfES3_PS1_EvbiT_T4_T5_S5_lS7_S5_lT6_S5_li
                                        ; -- End function
	.section	.AMDGPU.csdata,"",@progbits
; Kernel info:
; codeLenInByte = 2424
; NumSgprs: 26
; NumVgprs: 40
; ScratchSize: 0
; MemoryBound: 0
; FloatMode: 240
; IeeeMode: 1
; LDSByteSize: 16384 bytes/workgroup (compile time only)
; SGPRBlocks: 3
; VGPRBlocks: 4
; NumSGPRsForWavesPerEU: 26
; NumVGPRsForWavesPerEU: 40
; Occupancy: 16
; WaveLimiterHint : 0
; COMPUTE_PGM_RSRC2:SCRATCH_EN: 0
; COMPUTE_PGM_RSRC2:USER_SGPR: 13
; COMPUTE_PGM_RSRC2:TRAP_HANDLER: 0
; COMPUTE_PGM_RSRC2:TGID_X_EN: 1
; COMPUTE_PGM_RSRC2:TGID_Y_EN: 1
; COMPUTE_PGM_RSRC2:TGID_Z_EN: 1
; COMPUTE_PGM_RSRC2:TIDIG_COMP_CNT: 1
	.section	.text._ZL26rocblas_syr2k_her2k_kernelIiLb0ELb1ELb0ELi32E19rocblas_complex_numIdEPKS1_PS1_EvbiT_T4_T5_S5_lS7_S5_lT6_S5_li,"axG",@progbits,_ZL26rocblas_syr2k_her2k_kernelIiLb0ELb1ELb0ELi32E19rocblas_complex_numIdEPKS1_PS1_EvbiT_T4_T5_S5_lS7_S5_lT6_S5_li,comdat
	.globl	_ZL26rocblas_syr2k_her2k_kernelIiLb0ELb1ELb0ELi32E19rocblas_complex_numIdEPKS1_PS1_EvbiT_T4_T5_S5_lS7_S5_lT6_S5_li ; -- Begin function _ZL26rocblas_syr2k_her2k_kernelIiLb0ELb1ELb0ELi32E19rocblas_complex_numIdEPKS1_PS1_EvbiT_T4_T5_S5_lS7_S5_lT6_S5_li
	.p2align	8
	.type	_ZL26rocblas_syr2k_her2k_kernelIiLb0ELb1ELb0ELi32E19rocblas_complex_numIdEPKS1_PS1_EvbiT_T4_T5_S5_lS7_S5_lT6_S5_li,@function
_ZL26rocblas_syr2k_her2k_kernelIiLb0ELb1ELb0ELi32E19rocblas_complex_numIdEPKS1_PS1_EvbiT_T4_T5_S5_lS7_S5_lT6_S5_li: ; @_ZL26rocblas_syr2k_her2k_kernelIiLb0ELb1ELb0ELi32E19rocblas_complex_numIdEPKS1_PS1_EvbiT_T4_T5_S5_lS7_S5_lT6_S5_li
; %bb.0:
	s_load_b128 s[4:7], s[0:1], 0x10
	s_waitcnt lgkmcnt(0)
	v_cmp_eq_f64_e64 s2, s[4:5], 0
	v_cmp_eq_f64_e64 s3, s[6:7], 0
	s_delay_alu instid0(VALU_DEP_1) | instskip(NEXT) | instid1(SALU_CYCLE_1)
	s_and_b32 s2, s2, s3
	s_and_b32 vcc_lo, exec_lo, s2
	s_cbranch_vccnz .LBB385_13
; %bb.1:
	s_load_b128 s[8:11], s[0:1], 0x0
	s_waitcnt lgkmcnt(0)
	s_lshl_b32 s11, s14, 5
	s_and_b32 s2, 1, s8
	s_lshl_b32 s8, s13, 5
	s_cmp_eq_u32 s2, 1
	s_cselect_b32 s2, -1, 0
	s_delay_alu instid0(SALU_CYCLE_1) | instskip(SKIP_2) | instid1(SALU_CYCLE_1)
	s_and_b32 s3, s2, exec_lo
	s_cselect_b32 s3, s8, s11
	s_cselect_b32 s12, s11, s8
	s_cmp_gt_i32 s3, s12
	s_cbranch_scc1 .LBB385_13
; %bb.2:
	s_clause 0x2
	s_load_b64 s[12:13], s[0:1], 0x60
	s_load_b128 s[20:23], s[0:1], 0x48
	s_load_b32 s3, s[0:1], 0x58
	v_and_b32_e32 v13, 0x3ff, v0
	v_bfe_u32 v14, v0, 10, 10
	s_delay_alu instid0(VALU_DEP_2) | instskip(NEXT) | instid1(VALU_DEP_2)
	v_add_nc_u32_e32 v8, s8, v13
	v_add_nc_u32_e32 v10, s11, v14
	s_delay_alu instid0(VALU_DEP_2)
	v_cmp_gt_i32_e32 vcc_lo, s9, v8
	v_ashrrev_i32_e32 v9, 31, v8
	s_waitcnt lgkmcnt(0)
	s_mul_i32 s8, s15, s13
	s_mul_hi_u32 s13, s15, s12
	s_mul_i32 s12, s15, s12
	s_add_i32 s13, s13, s8
	s_delay_alu instid0(SALU_CYCLE_1) | instskip(NEXT) | instid1(SALU_CYCLE_1)
	s_lshl_b64 s[12:13], s[12:13], 4
	s_add_u32 s8, s22, s12
	s_addc_u32 s11, s23, s13
	s_cmp_lt_i32 s10, 1
	s_cbranch_scc1 .LBB385_11
; %bb.3:
	s_clause 0x3
	s_load_b128 s[16:19], s[0:1], 0x30
	s_load_b64 s[22:23], s[0:1], 0x20
	s_load_b32 s12, s[0:1], 0x28
	s_load_b32 s13, s[0:1], 0x40
	v_cndmask_b32_e64 v6, v8, v10, s2
	v_cndmask_b32_e64 v7, v10, v8, s2
	v_lshlrev_b64 v[0:1], 4, v[8:9]
	v_ashrrev_i32_e32 v11, 31, v10
	v_mad_i64_i32 v[2:3], null, s3, v10, 0
	s_mul_i32 s1, s15, s21
	s_mul_hi_u32 s21, s15, s20
	s_mul_i32 s14, s15, s20
	v_lshlrev_b64 v[4:5], 4, v[10:11]
	v_lshlrev_b32_e32 v12, 4, v14
	v_lshlrev_b32_e32 v15, 9, v13
	s_delay_alu instid0(VALU_DEP_4) | instskip(SKIP_1) | instid1(VALU_DEP_4)
	v_lshlrev_b64 v[2:3], 4, v[2:3]
	v_cmp_gt_i32_e64 s0, s9, v10
	v_or_b32_e32 v19, 0x4000, v12
	s_waitcnt lgkmcnt(0)
	s_mul_i32 s2, s15, s17
	s_mul_hi_u32 s17, s15, s16
	s_mul_i32 s16, s15, s16
	s_add_i32 s17, s17, s2
	v_add_nc_u32_e32 v16, v15, v12
	s_lshl_b64 s[16:17], s[16:17], 4
	v_add_nc_u32_e32 v22, v19, v15
	s_add_u32 s2, s22, s16
	s_addc_u32 s16, s23, s17
	s_add_i32 s15, s21, s1
	v_add_co_u32 v17, s1, s2, v0
	s_lshl_b64 s[14:15], s[14:15], 4
	v_add_co_ci_u32_e64 v18, s1, s16, v1, s1
	s_add_u32 s1, s18, s14
	s_addc_u32 s2, s19, s15
	v_add_co_u32 v20, s1, s1, v4
	s_delay_alu instid0(VALU_DEP_1) | instskip(SKIP_1) | instid1(VALU_DEP_1)
	v_add_co_ci_u32_e64 v21, s1, s2, v5, s1
	v_add_co_u32 v2, s1, s8, v2
	v_add_co_ci_u32_e64 v3, s1, s11, v3, s1
	v_cmp_le_i32_e64 s1, v7, v6
	s_delay_alu instid0(VALU_DEP_3) | instskip(NEXT) | instid1(VALU_DEP_1)
	v_add_co_u32 v11, s2, v2, v0
	v_add_co_ci_u32_e64 v12, s2, v3, v1, s2
	s_and_b32 s14, s0, vcc_lo
	s_mov_b32 s2, 0
	s_and_b32 s14, s14, s1
	s_branch .LBB385_5
.LBB385_4:                              ;   in Loop: Header=BB385_5 Depth=1
	s_or_b32 exec_lo, exec_lo, s1
	s_add_i32 s2, s2, 32
	s_waitcnt_vscnt null, 0x0
	s_cmp_ge_i32 s2, s10
	s_barrier
	buffer_gl0_inv
	s_cbranch_scc1 .LBB385_11
.LBB385_5:                              ; =>This Inner Loop Header: Depth=1
	v_add_nc_u32_e32 v2, s2, v14
	v_mov_b32_e32 v0, 0
	v_mov_b32_e32 v1, 0
	s_delay_alu instid0(VALU_DEP_3) | instskip(NEXT) | instid1(VALU_DEP_2)
	v_cmp_gt_i32_e64 s1, s10, v2
	v_dual_mov_b32 v5, v1 :: v_dual_mov_b32 v4, v0
	v_dual_mov_b32 v7, v1 :: v_dual_mov_b32 v6, v0
	s_delay_alu instid0(VALU_DEP_3) | instskip(NEXT) | instid1(SALU_CYCLE_1)
	s_and_b32 s1, vcc_lo, s1
	s_and_saveexec_b32 s15, s1
	s_cbranch_execz .LBB385_7
; %bb.6:                                ;   in Loop: Header=BB385_5 Depth=1
	v_mad_i64_i32 v[3:4], null, v2, s12, 0
	s_delay_alu instid0(VALU_DEP_1) | instskip(NEXT) | instid1(VALU_DEP_1)
	v_lshlrev_b64 v[2:3], 4, v[3:4]
	v_add_co_u32 v2, s1, v17, v2
	s_delay_alu instid0(VALU_DEP_1)
	v_add_co_ci_u32_e64 v3, s1, v18, v3, s1
	global_load_b128 v[4:7], v[2:3], off
.LBB385_7:                              ;   in Loop: Header=BB385_5 Depth=1
	s_or_b32 exec_lo, exec_lo, s15
	v_add_nc_u32_e32 v23, s2, v13
	v_dual_mov_b32 v3, v1 :: v_dual_mov_b32 v2, v0
	s_waitcnt vmcnt(0)
	ds_store_b128 v16, v[4:7]
	v_cmp_gt_i32_e64 s1, s10, v23
	s_delay_alu instid0(VALU_DEP_1) | instskip(NEXT) | instid1(SALU_CYCLE_1)
	s_and_b32 s1, s0, s1
	s_and_saveexec_b32 s15, s1
	s_cbranch_execz .LBB385_9
; %bb.8:                                ;   in Loop: Header=BB385_5 Depth=1
	v_mad_i64_i32 v[0:1], null, v23, s13, 0
	s_delay_alu instid0(VALU_DEP_1) | instskip(NEXT) | instid1(VALU_DEP_1)
	v_lshlrev_b64 v[0:1], 4, v[0:1]
	v_add_co_u32 v0, s1, v20, v0
	s_delay_alu instid0(VALU_DEP_1)
	v_add_co_ci_u32_e64 v1, s1, v21, v1, s1
	global_load_b128 v[0:3], v[0:1], off
	s_waitcnt vmcnt(0)
	v_xor_b32_e32 v3, 0x80000000, v3
.LBB385_9:                              ;   in Loop: Header=BB385_5 Depth=1
	s_or_b32 exec_lo, exec_lo, s15
	ds_store_b128 v22, v[0:3]
	s_waitcnt lgkmcnt(0)
	s_barrier
	buffer_gl0_inv
	s_and_saveexec_b32 s1, s14
	s_cbranch_execz .LBB385_4
; %bb.10:                               ;   in Loop: Header=BB385_5 Depth=1
	ds_load_b128 v[0:3], v19
	ds_load_b128 v[4:7], v15
	ds_load_b128 v[23:26], v15 offset:16
	ds_load_b128 v[27:30], v19 offset:512
	s_waitcnt lgkmcnt(2)
	v_mul_f64 v[31:32], v[0:1], v[6:7]
	v_mul_f64 v[6:7], v[2:3], v[6:7]
	s_waitcnt lgkmcnt(0)
	v_mul_f64 v[47:48], v[27:28], v[25:26]
	v_mul_f64 v[25:26], v[29:30], v[25:26]
	s_delay_alu instid0(VALU_DEP_4)
	v_fma_f64 v[2:3], v[2:3], v[4:5], v[31:32]
	ds_load_b128 v[31:34], v19 offset:1024
	ds_load_b128 v[35:38], v15 offset:32
	;; [unrolled: 1-line block ×4, first 2 shown]
	v_fma_f64 v[0:1], v[0:1], v[4:5], -v[6:7]
	v_fma_f64 v[4:5], v[29:30], v[23:24], v[47:48]
	v_fma_f64 v[51:52], v[27:28], v[23:24], -v[25:26]
	s_waitcnt lgkmcnt(2)
	v_mul_f64 v[49:50], v[31:32], v[37:38]
	v_mul_f64 v[37:38], v[33:34], v[37:38]
	s_waitcnt lgkmcnt(0)
	v_mul_f64 v[47:48], v[43:44], v[41:42]
	v_mul_f64 v[41:42], v[45:46], v[41:42]
	v_add_f64 v[2:3], v[2:3], 0
	v_fma_f64 v[33:34], v[33:34], v[35:36], v[49:50]
	v_add_f64 v[49:50], v[0:1], 0
	v_fma_f64 v[31:32], v[31:32], v[35:36], -v[37:38]
	v_fma_f64 v[35:36], v[45:46], v[39:40], v[47:48]
	v_add_f64 v[53:54], v[2:3], v[4:5]
	ds_load_b128 v[0:3], v15 offset:64
	ds_load_b128 v[4:7], v19 offset:2048
	ds_load_b128 v[23:26], v19 offset:2560
	ds_load_b128 v[27:30], v15 offset:80
	s_waitcnt lgkmcnt(2)
	v_mul_f64 v[55:56], v[4:5], v[2:3]
	v_add_f64 v[37:38], v[49:50], v[51:52]
	v_mul_f64 v[2:3], v[6:7], v[2:3]
	s_waitcnt lgkmcnt(0)
	v_mul_f64 v[47:48], v[23:24], v[29:30]
	v_fma_f64 v[49:50], v[43:44], v[39:40], -v[41:42]
	v_mul_f64 v[29:30], v[25:26], v[29:30]
	v_add_f64 v[33:34], v[53:54], v[33:34]
	v_fma_f64 v[6:7], v[6:7], v[0:1], v[55:56]
	v_add_f64 v[51:52], v[37:38], v[31:32]
	v_fma_f64 v[0:1], v[4:5], v[0:1], -v[2:3]
	v_fma_f64 v[2:3], v[25:26], v[27:28], v[47:48]
	v_add_f64 v[53:54], v[33:34], v[35:36]
	ds_load_b128 v[31:34], v15 offset:96
	ds_load_b128 v[35:38], v19 offset:3072
	ds_load_b128 v[39:42], v19 offset:3584
	ds_load_b128 v[43:46], v15 offset:112
	s_waitcnt lgkmcnt(2)
	v_mul_f64 v[55:56], v[35:36], v[33:34]
	v_add_f64 v[4:5], v[51:52], v[49:50]
	v_mul_f64 v[33:34], v[37:38], v[33:34]
	s_waitcnt lgkmcnt(0)
	v_mul_f64 v[47:48], v[39:40], v[45:46]
	v_fma_f64 v[49:50], v[23:24], v[27:28], -v[29:30]
	;; [unrolled: 18-line block ×11, first 2 shown]
	v_mul_f64 v[29:30], v[25:26], v[29:30]
	v_add_f64 v[37:38], v[53:54], v[37:38]
	v_fma_f64 v[6:7], v[6:7], v[0:1], v[55:56]
	v_add_f64 v[51:52], v[35:36], v[31:32]
	v_fma_f64 v[0:1], v[4:5], v[0:1], -v[2:3]
	v_fma_f64 v[2:3], v[25:26], v[27:28], v[47:48]
	v_add_f64 v[53:54], v[37:38], v[33:34]
	ds_load_b128 v[31:34], v15 offset:416
	ds_load_b128 v[35:38], v19 offset:13312
	ds_load_b128 v[39:42], v19 offset:13824
	ds_load_b128 v[43:46], v15 offset:432
	s_waitcnt lgkmcnt(2)
	v_mul_f64 v[55:56], v[35:36], v[33:34]
	v_add_f64 v[4:5], v[51:52], v[49:50]
	v_mul_f64 v[33:34], v[37:38], v[33:34]
	s_waitcnt lgkmcnt(0)
	v_mul_f64 v[51:52], v[39:40], v[45:46]
	v_mul_f64 v[45:46], v[41:42], v[45:46]
	v_add_f64 v[6:7], v[53:54], v[6:7]
	v_fma_f64 v[53:54], v[23:24], v[27:28], -v[29:30]
	v_fma_f64 v[37:38], v[37:38], v[31:32], v[55:56]
	v_add_f64 v[55:56], v[4:5], v[0:1]
	v_fma_f64 v[31:32], v[35:36], v[31:32], -v[33:34]
	v_fma_f64 v[33:34], v[41:42], v[43:44], v[51:52]
	v_add_f64 v[57:58], v[6:7], v[2:3]
	ds_load_b128 v[0:3], v15 offset:448
	ds_load_b128 v[4:7], v19 offset:14336
	global_load_b128 v[23:26], v[11:12], off
	ds_load_b128 v[27:30], v19 offset:14848
	ds_load_b128 v[47:50], v15 offset:464
	v_add_f64 v[35:36], v[55:56], v[53:54]
	s_waitcnt lgkmcnt(2)
	v_mul_f64 v[59:60], v[4:5], v[2:3]
	v_mul_f64 v[2:3], v[6:7], v[2:3]
	s_waitcnt lgkmcnt(0)
	v_mul_f64 v[51:52], v[27:28], v[49:50]
	v_fma_f64 v[53:54], v[39:40], v[43:44], -v[45:46]
	v_mul_f64 v[49:50], v[29:30], v[49:50]
	v_add_f64 v[37:38], v[57:58], v[37:38]
	v_add_f64 v[55:56], v[35:36], v[31:32]
	v_fma_f64 v[6:7], v[6:7], v[0:1], v[59:60]
	v_fma_f64 v[0:1], v[4:5], v[0:1], -v[2:3]
	v_fma_f64 v[2:3], v[29:30], v[47:48], v[51:52]
	v_fma_f64 v[27:28], v[27:28], v[47:48], -v[49:50]
	v_add_f64 v[57:58], v[37:38], v[33:34]
	ds_load_b128 v[31:34], v15 offset:480
	ds_load_b128 v[35:38], v19 offset:15360
	;; [unrolled: 1-line block ×4, first 2 shown]
	s_waitcnt lgkmcnt(2)
	v_mul_f64 v[59:60], v[35:36], v[33:34]
	v_add_f64 v[4:5], v[55:56], v[53:54]
	v_mul_f64 v[29:30], v[37:38], v[33:34]
	s_waitcnt lgkmcnt(0)
	v_mul_f64 v[33:34], v[39:40], v[45:46]
	v_add_f64 v[6:7], v[57:58], v[6:7]
	v_fma_f64 v[37:38], v[37:38], v[31:32], v[59:60]
	v_add_f64 v[0:1], v[4:5], v[0:1]
	v_mul_f64 v[4:5], v[41:42], v[45:46]
	s_delay_alu instid0(VALU_DEP_4)
	v_add_f64 v[2:3], v[6:7], v[2:3]
	v_fma_f64 v[6:7], v[35:36], v[31:32], -v[29:30]
	v_fma_f64 v[29:30], v[41:42], v[43:44], v[33:34]
	v_add_f64 v[0:1], v[0:1], v[27:28]
	v_fma_f64 v[4:5], v[39:40], v[43:44], -v[4:5]
	v_add_f64 v[2:3], v[2:3], v[37:38]
	s_delay_alu instid0(VALU_DEP_3) | instskip(NEXT) | instid1(VALU_DEP_2)
	v_add_f64 v[0:1], v[0:1], v[6:7]
	v_add_f64 v[2:3], v[2:3], v[29:30]
	s_delay_alu instid0(VALU_DEP_2) | instskip(NEXT) | instid1(VALU_DEP_2)
	v_add_f64 v[0:1], v[0:1], v[4:5]
	v_mul_f64 v[4:5], s[6:7], v[2:3]
	v_mul_f64 v[2:3], s[4:5], v[2:3]
	s_delay_alu instid0(VALU_DEP_2) | instskip(NEXT) | instid1(VALU_DEP_2)
	v_fma_f64 v[4:5], s[4:5], v[0:1], -v[4:5]
	v_fma_f64 v[2:3], s[6:7], v[0:1], v[2:3]
	s_waitcnt vmcnt(0)
	s_delay_alu instid0(VALU_DEP_2) | instskip(NEXT) | instid1(VALU_DEP_2)
	v_add_f64 v[0:1], v[23:24], v[4:5]
	v_add_f64 v[2:3], v[25:26], v[2:3]
	global_store_b128 v[11:12], v[0:3], off
	s_branch .LBB385_4
.LBB385_11:
	v_cmp_eq_u32_e32 vcc_lo, v8, v10
	v_cmp_gt_i32_e64 s0, s9, v8
	s_delay_alu instid0(VALU_DEP_1) | instskip(NEXT) | instid1(SALU_CYCLE_1)
	s_and_b32 s0, vcc_lo, s0
	s_and_saveexec_b32 s1, s0
	s_cbranch_execz .LBB385_13
; %bb.12:
	v_mad_i64_i32 v[0:1], null, s3, v8, 0
	v_lshlrev_b64 v[2:3], 4, v[8:9]
	s_delay_alu instid0(VALU_DEP_2) | instskip(NEXT) | instid1(VALU_DEP_1)
	v_lshlrev_b64 v[0:1], 4, v[0:1]
	v_add_co_u32 v4, vcc_lo, s8, v0
	s_delay_alu instid0(VALU_DEP_2) | instskip(SKIP_1) | instid1(VALU_DEP_3)
	v_add_co_ci_u32_e32 v1, vcc_lo, s11, v1, vcc_lo
	v_mov_b32_e32 v0, 0
	v_add_co_u32 v2, vcc_lo, v4, v2
	s_delay_alu instid0(VALU_DEP_3) | instskip(NEXT) | instid1(VALU_DEP_3)
	v_add_co_ci_u32_e32 v3, vcc_lo, v1, v3, vcc_lo
	v_mov_b32_e32 v1, v0
	global_store_b64 v[2:3], v[0:1], off offset:8
.LBB385_13:
	s_nop 0
	s_sendmsg sendmsg(MSG_DEALLOC_VGPRS)
	s_endpgm
	.section	.rodata,"a",@progbits
	.p2align	6, 0x0
	.amdhsa_kernel _ZL26rocblas_syr2k_her2k_kernelIiLb0ELb1ELb0ELi32E19rocblas_complex_numIdEPKS1_PS1_EvbiT_T4_T5_S5_lS7_S5_lT6_S5_li
		.amdhsa_group_segment_fixed_size 32768
		.amdhsa_private_segment_fixed_size 0
		.amdhsa_kernarg_size 108
		.amdhsa_user_sgpr_count 13
		.amdhsa_user_sgpr_dispatch_ptr 0
		.amdhsa_user_sgpr_queue_ptr 0
		.amdhsa_user_sgpr_kernarg_segment_ptr 1
		.amdhsa_user_sgpr_dispatch_id 0
		.amdhsa_user_sgpr_private_segment_size 0
		.amdhsa_wavefront_size32 1
		.amdhsa_uses_dynamic_stack 0
		.amdhsa_enable_private_segment 0
		.amdhsa_system_sgpr_workgroup_id_x 1
		.amdhsa_system_sgpr_workgroup_id_y 1
		.amdhsa_system_sgpr_workgroup_id_z 1
		.amdhsa_system_sgpr_workgroup_info 0
		.amdhsa_system_vgpr_workitem_id 1
		.amdhsa_next_free_vgpr 61
		.amdhsa_next_free_sgpr 24
		.amdhsa_reserve_vcc 1
		.amdhsa_float_round_mode_32 0
		.amdhsa_float_round_mode_16_64 0
		.amdhsa_float_denorm_mode_32 3
		.amdhsa_float_denorm_mode_16_64 3
		.amdhsa_dx10_clamp 1
		.amdhsa_ieee_mode 1
		.amdhsa_fp16_overflow 0
		.amdhsa_workgroup_processor_mode 1
		.amdhsa_memory_ordered 1
		.amdhsa_forward_progress 0
		.amdhsa_shared_vgpr_count 0
		.amdhsa_exception_fp_ieee_invalid_op 0
		.amdhsa_exception_fp_denorm_src 0
		.amdhsa_exception_fp_ieee_div_zero 0
		.amdhsa_exception_fp_ieee_overflow 0
		.amdhsa_exception_fp_ieee_underflow 0
		.amdhsa_exception_fp_ieee_inexact 0
		.amdhsa_exception_int_div_zero 0
	.end_amdhsa_kernel
	.section	.text._ZL26rocblas_syr2k_her2k_kernelIiLb0ELb1ELb0ELi32E19rocblas_complex_numIdEPKS1_PS1_EvbiT_T4_T5_S5_lS7_S5_lT6_S5_li,"axG",@progbits,_ZL26rocblas_syr2k_her2k_kernelIiLb0ELb1ELb0ELi32E19rocblas_complex_numIdEPKS1_PS1_EvbiT_T4_T5_S5_lS7_S5_lT6_S5_li,comdat
.Lfunc_end385:
	.size	_ZL26rocblas_syr2k_her2k_kernelIiLb0ELb1ELb0ELi32E19rocblas_complex_numIdEPKS1_PS1_EvbiT_T4_T5_S5_lS7_S5_lT6_S5_li, .Lfunc_end385-_ZL26rocblas_syr2k_her2k_kernelIiLb0ELb1ELb0ELi32E19rocblas_complex_numIdEPKS1_PS1_EvbiT_T4_T5_S5_lS7_S5_lT6_S5_li
                                        ; -- End function
	.section	.AMDGPU.csdata,"",@progbits
; Kernel info:
; codeLenInByte = 3164
; NumSgprs: 26
; NumVgprs: 61
; ScratchSize: 0
; MemoryBound: 1
; FloatMode: 240
; IeeeMode: 1
; LDSByteSize: 32768 bytes/workgroup (compile time only)
; SGPRBlocks: 3
; VGPRBlocks: 7
; NumSGPRsForWavesPerEU: 26
; NumVGPRsForWavesPerEU: 61
; Occupancy: 16
; WaveLimiterHint : 0
; COMPUTE_PGM_RSRC2:SCRATCH_EN: 0
; COMPUTE_PGM_RSRC2:USER_SGPR: 13
; COMPUTE_PGM_RSRC2:TRAP_HANDLER: 0
; COMPUTE_PGM_RSRC2:TGID_X_EN: 1
; COMPUTE_PGM_RSRC2:TGID_Y_EN: 1
; COMPUTE_PGM_RSRC2:TGID_Z_EN: 1
; COMPUTE_PGM_RSRC2:TIDIG_COMP_CNT: 1
	.section	.text._ZL26rocblas_syr2k_her2k_kernelIiLb0ELb1ELb1ELi32E19rocblas_complex_numIdEPKS1_PS1_EvbiT_T4_T5_S5_lS7_S5_lT6_S5_li,"axG",@progbits,_ZL26rocblas_syr2k_her2k_kernelIiLb0ELb1ELb1ELi32E19rocblas_complex_numIdEPKS1_PS1_EvbiT_T4_T5_S5_lS7_S5_lT6_S5_li,comdat
	.globl	_ZL26rocblas_syr2k_her2k_kernelIiLb0ELb1ELb1ELi32E19rocblas_complex_numIdEPKS1_PS1_EvbiT_T4_T5_S5_lS7_S5_lT6_S5_li ; -- Begin function _ZL26rocblas_syr2k_her2k_kernelIiLb0ELb1ELb1ELi32E19rocblas_complex_numIdEPKS1_PS1_EvbiT_T4_T5_S5_lS7_S5_lT6_S5_li
	.p2align	8
	.type	_ZL26rocblas_syr2k_her2k_kernelIiLb0ELb1ELb1ELi32E19rocblas_complex_numIdEPKS1_PS1_EvbiT_T4_T5_S5_lS7_S5_lT6_S5_li,@function
_ZL26rocblas_syr2k_her2k_kernelIiLb0ELb1ELb1ELi32E19rocblas_complex_numIdEPKS1_PS1_EvbiT_T4_T5_S5_lS7_S5_lT6_S5_li: ; @_ZL26rocblas_syr2k_her2k_kernelIiLb0ELb1ELb1ELi32E19rocblas_complex_numIdEPKS1_PS1_EvbiT_T4_T5_S5_lS7_S5_lT6_S5_li
; %bb.0:
	s_load_b128 s[4:7], s[0:1], 0x10
	s_waitcnt lgkmcnt(0)
	v_cmp_eq_f64_e64 s2, s[4:5], 0
	v_cmp_eq_f64_e64 s3, s[6:7], 0
	s_delay_alu instid0(VALU_DEP_1) | instskip(NEXT) | instid1(SALU_CYCLE_1)
	s_and_b32 s2, s2, s3
	s_and_b32 vcc_lo, exec_lo, s2
	s_cbranch_vccnz .LBB386_13
; %bb.1:
	s_load_b128 s[8:11], s[0:1], 0x0
	s_waitcnt lgkmcnt(0)
	s_lshl_b32 s11, s14, 5
	s_and_b32 s2, 1, s8
	s_lshl_b32 s8, s13, 5
	s_cmp_eq_u32 s2, 1
	s_cselect_b32 s2, -1, 0
	s_delay_alu instid0(SALU_CYCLE_1) | instskip(SKIP_2) | instid1(SALU_CYCLE_1)
	s_and_b32 s3, s2, exec_lo
	s_cselect_b32 s3, s8, s11
	s_cselect_b32 s12, s11, s8
	s_cmp_gt_i32 s3, s12
	s_cbranch_scc1 .LBB386_13
; %bb.2:
	s_clause 0x2
	s_load_b64 s[12:13], s[0:1], 0x60
	s_load_b128 s[20:23], s[0:1], 0x48
	s_load_b32 s3, s[0:1], 0x58
	v_and_b32_e32 v14, 0x3ff, v0
	v_bfe_u32 v15, v0, 10, 10
	s_delay_alu instid0(VALU_DEP_2) | instskip(NEXT) | instid1(VALU_DEP_2)
	v_add_nc_u32_e32 v8, s8, v14
	v_add_nc_u32_e32 v16, s11, v15
	s_delay_alu instid0(VALU_DEP_2)
	v_cmp_gt_i32_e32 vcc_lo, s9, v8
	v_ashrrev_i32_e32 v9, 31, v8
	s_waitcnt lgkmcnt(0)
	s_mul_i32 s8, s15, s13
	s_mul_hi_u32 s13, s15, s12
	s_mul_i32 s12, s15, s12
	s_add_i32 s13, s13, s8
	s_delay_alu instid0(SALU_CYCLE_1) | instskip(NEXT) | instid1(SALU_CYCLE_1)
	s_lshl_b64 s[12:13], s[12:13], 4
	s_add_u32 s8, s22, s12
	s_addc_u32 s11, s23, s13
	s_cmp_lt_i32 s10, 1
	s_cbranch_scc1 .LBB386_11
; %bb.3:
	s_clause 0x3
	s_load_b128 s[16:19], s[0:1], 0x30
	s_load_b32 s13, s[0:1], 0x28
	s_load_b32 s22, s[0:1], 0x40
	s_load_b64 s[0:1], s[0:1], 0x20
	v_cndmask_b32_e64 v6, v8, v16, s2
	v_cndmask_b32_e64 v7, v16, v8, s2
	s_mul_i32 s21, s15, s21
	s_mul_hi_u32 s23, s15, s20
	s_mul_i32 s12, s15, s20
	v_mad_i64_i32 v[0:1], null, s3, v16, 0
	v_lshlrev_b32_e32 v10, 4, v15
	v_lshlrev_b32_e32 v17, 9, v14
	s_delay_alu instid0(VALU_DEP_2) | instskip(NEXT) | instid1(VALU_DEP_4)
	v_or_b32_e32 v21, 0x4000, v10
	v_lshlrev_b64 v[0:1], 4, v[0:1]
	s_delay_alu instid0(VALU_DEP_3)
	v_add_nc_u32_e32 v18, v17, v10
	s_waitcnt lgkmcnt(0)
	s_mul_i32 s2, s15, s17
	v_mad_i64_i32 v[2:3], null, s13, v8, 0
	v_mad_i64_i32 v[4:5], null, s22, v16, 0
	s_mul_hi_u32 s17, s15, s16
	s_mul_i32 s14, s15, s16
	s_add_i32 s15, s17, s2
	v_add_nc_u32_e32 v24, v21, v17
	s_lshl_b64 s[14:15], s[14:15], 4
	s_delay_alu instid0(VALU_DEP_3)
	v_lshlrev_b64 v[2:3], 4, v[2:3]
	s_add_u32 s2, s0, s14
	s_addc_u32 s14, s1, s15
	s_add_i32 s13, s23, s21
	v_lshlrev_b64 v[4:5], 4, v[4:5]
	s_lshl_b64 s[0:1], s[12:13], 4
	s_delay_alu instid0(SALU_CYCLE_1) | instskip(SKIP_2) | instid1(VALU_DEP_2)
	s_add_u32 s12, s18, s0
	s_addc_u32 s13, s19, s1
	v_add_co_u32 v19, s0, s2, v2
	v_add_co_u32 v22, s1, s12, v4
	v_add_co_ci_u32_e64 v20, s0, s14, v3, s0
	v_add_co_ci_u32_e64 v23, s1, s13, v5, s1
	v_lshlrev_b64 v[2:3], 4, v[8:9]
	v_add_co_u32 v0, s1, s8, v0
	s_delay_alu instid0(VALU_DEP_1) | instskip(SKIP_2) | instid1(VALU_DEP_4)
	v_add_co_ci_u32_e64 v1, s1, s11, v1, s1
	v_cmp_gt_i32_e64 s0, s9, v16
	v_cmp_le_i32_e64 s1, v7, v6
	v_add_co_u32 v10, s2, v0, v2
	s_delay_alu instid0(VALU_DEP_1) | instskip(NEXT) | instid1(VALU_DEP_4)
	v_add_co_ci_u32_e64 v11, s2, v1, v3, s2
	s_and_b32 s12, s0, vcc_lo
	s_mov_b32 s2, 0
	s_and_b32 s12, s12, s1
	s_branch .LBB386_5
.LBB386_4:                              ;   in Loop: Header=BB386_5 Depth=1
	s_or_b32 exec_lo, exec_lo, s1
	s_add_i32 s2, s2, 32
	s_waitcnt_vscnt null, 0x0
	s_cmp_ge_i32 s2, s10
	s_barrier
	buffer_gl0_inv
	s_cbranch_scc1 .LBB386_11
.LBB386_5:                              ; =>This Inner Loop Header: Depth=1
	v_add_nc_u32_e32 v2, s2, v15
	v_mov_b32_e32 v0, 0
	v_mov_b32_e32 v1, 0
	s_delay_alu instid0(VALU_DEP_3) | instskip(NEXT) | instid1(VALU_DEP_2)
	v_cmp_gt_i32_e64 s1, s10, v2
	v_dual_mov_b32 v5, v1 :: v_dual_mov_b32 v4, v0
	v_dual_mov_b32 v7, v1 :: v_dual_mov_b32 v6, v0
	s_delay_alu instid0(VALU_DEP_3) | instskip(NEXT) | instid1(SALU_CYCLE_1)
	s_and_b32 s1, vcc_lo, s1
	s_and_saveexec_b32 s13, s1
	s_cbranch_execz .LBB386_7
; %bb.6:                                ;   in Loop: Header=BB386_5 Depth=1
	v_ashrrev_i32_e32 v3, 31, v2
	s_delay_alu instid0(VALU_DEP_1) | instskip(NEXT) | instid1(VALU_DEP_1)
	v_lshlrev_b64 v[2:3], 4, v[2:3]
	v_add_co_u32 v2, s1, v19, v2
	s_delay_alu instid0(VALU_DEP_1)
	v_add_co_ci_u32_e64 v3, s1, v20, v3, s1
	global_load_b128 v[4:7], v[2:3], off
	s_waitcnt vmcnt(0)
	v_xor_b32_e32 v7, 0x80000000, v7
.LBB386_7:                              ;   in Loop: Header=BB386_5 Depth=1
	s_or_b32 exec_lo, exec_lo, s13
	v_dual_mov_b32 v3, v1 :: v_dual_add_nc_u32 v12, s2, v14
	v_mov_b32_e32 v2, v0
	ds_store_b128 v18, v[4:7]
	v_cmp_gt_i32_e64 s1, s10, v12
	s_delay_alu instid0(VALU_DEP_1) | instskip(NEXT) | instid1(SALU_CYCLE_1)
	s_and_b32 s1, s0, s1
	s_and_saveexec_b32 s13, s1
	s_cbranch_execz .LBB386_9
; %bb.8:                                ;   in Loop: Header=BB386_5 Depth=1
	v_ashrrev_i32_e32 v13, 31, v12
	s_delay_alu instid0(VALU_DEP_1) | instskip(NEXT) | instid1(VALU_DEP_1)
	v_lshlrev_b64 v[0:1], 4, v[12:13]
	v_add_co_u32 v0, s1, v22, v0
	s_delay_alu instid0(VALU_DEP_1)
	v_add_co_ci_u32_e64 v1, s1, v23, v1, s1
	global_load_b128 v[0:3], v[0:1], off
.LBB386_9:                              ;   in Loop: Header=BB386_5 Depth=1
	s_or_b32 exec_lo, exec_lo, s13
	s_waitcnt vmcnt(0)
	ds_store_b128 v24, v[0:3]
	s_waitcnt lgkmcnt(0)
	s_barrier
	buffer_gl0_inv
	s_and_saveexec_b32 s1, s12
	s_cbranch_execz .LBB386_4
; %bb.10:                               ;   in Loop: Header=BB386_5 Depth=1
	ds_load_b128 v[0:3], v21
	ds_load_b128 v[4:7], v17
	ds_load_b128 v[25:28], v17 offset:16
	ds_load_b128 v[29:32], v21 offset:512
	ds_load_b128 v[33:36], v21 offset:1024
	ds_load_b128 v[37:40], v17 offset:32
	ds_load_b128 v[41:44], v17 offset:48
	ds_load_b128 v[45:48], v21 offset:1536
	s_waitcnt lgkmcnt(6)
	v_mul_f64 v[12:13], v[0:1], v[6:7]
	v_mul_f64 v[6:7], v[2:3], v[6:7]
	s_waitcnt lgkmcnt(4)
	v_mul_f64 v[49:50], v[29:30], v[27:28]
	s_delay_alu instid0(VALU_DEP_3)
	v_fma_f64 v[2:3], v[2:3], v[4:5], v[12:13]
	v_mul_f64 v[12:13], v[31:32], v[27:28]
	s_waitcnt lgkmcnt(2)
	v_mul_f64 v[27:28], v[33:34], v[39:40]
	v_fma_f64 v[0:1], v[0:1], v[4:5], -v[6:7]
	v_fma_f64 v[4:5], v[31:32], v[25:26], v[49:50]
	v_mul_f64 v[39:40], v[35:36], v[39:40]
	s_waitcnt lgkmcnt(0)
	v_mul_f64 v[49:50], v[45:46], v[43:44]
	v_mul_f64 v[43:44], v[47:48], v[43:44]
	v_add_f64 v[2:3], v[2:3], 0
	v_fma_f64 v[12:13], v[29:30], v[25:26], -v[12:13]
	v_fma_f64 v[35:36], v[35:36], v[37:38], v[27:28]
	v_add_f64 v[51:52], v[0:1], 0
	v_fma_f64 v[33:34], v[33:34], v[37:38], -v[39:40]
	v_fma_f64 v[37:38], v[47:48], v[41:42], v[49:50]
	v_add_f64 v[53:54], v[2:3], v[4:5]
	ds_load_b128 v[0:3], v17 offset:64
	ds_load_b128 v[4:7], v21 offset:2048
	ds_load_b128 v[25:28], v21 offset:2560
	ds_load_b128 v[29:32], v17 offset:80
	v_add_f64 v[12:13], v[51:52], v[12:13]
	v_fma_f64 v[51:52], v[45:46], v[41:42], -v[43:44]
	s_waitcnt lgkmcnt(2)
	v_mul_f64 v[55:56], v[4:5], v[2:3]
	v_mul_f64 v[2:3], v[6:7], v[2:3]
	s_waitcnt lgkmcnt(0)
	v_mul_f64 v[49:50], v[25:26], v[31:32]
	v_mul_f64 v[31:32], v[27:28], v[31:32]
	v_add_f64 v[35:36], v[53:54], v[35:36]
	v_add_f64 v[12:13], v[12:13], v[33:34]
	v_fma_f64 v[6:7], v[6:7], v[0:1], v[55:56]
	v_fma_f64 v[0:1], v[4:5], v[0:1], -v[2:3]
	v_fma_f64 v[2:3], v[27:28], v[29:30], v[49:50]
	v_fma_f64 v[49:50], v[25:26], v[29:30], -v[31:32]
	v_add_f64 v[53:54], v[35:36], v[37:38]
	ds_load_b128 v[33:36], v17 offset:96
	ds_load_b128 v[37:40], v21 offset:3072
	ds_load_b128 v[41:44], v21 offset:3584
	ds_load_b128 v[45:48], v17 offset:112
	v_add_f64 v[4:5], v[12:13], v[51:52]
	s_waitcnt lgkmcnt(2)
	v_mul_f64 v[55:56], v[37:38], v[35:36]
	v_mul_f64 v[12:13], v[39:40], v[35:36]
	s_waitcnt lgkmcnt(0)
	v_mul_f64 v[35:36], v[41:42], v[47:48]
	v_mul_f64 v[47:48], v[43:44], v[47:48]
	v_add_f64 v[6:7], v[53:54], v[6:7]
	v_add_f64 v[51:52], v[4:5], v[0:1]
	v_fma_f64 v[39:40], v[39:40], v[33:34], v[55:56]
	v_fma_f64 v[12:13], v[37:38], v[33:34], -v[12:13]
	v_fma_f64 v[33:34], v[43:44], v[45:46], v[35:36]
	v_add_f64 v[53:54], v[6:7], v[2:3]
	ds_load_b128 v[0:3], v17 offset:128
	ds_load_b128 v[4:7], v21 offset:4096
	ds_load_b128 v[25:28], v21 offset:4608
	ds_load_b128 v[29:32], v17 offset:144
	v_add_f64 v[35:36], v[51:52], v[49:50]
	v_fma_f64 v[51:52], v[41:42], v[45:46], -v[47:48]
	s_waitcnt lgkmcnt(2)
	v_mul_f64 v[55:56], v[4:5], v[2:3]
	v_mul_f64 v[2:3], v[6:7], v[2:3]
	s_waitcnt lgkmcnt(0)
	v_mul_f64 v[49:50], v[25:26], v[31:32]
	v_mul_f64 v[31:32], v[27:28], v[31:32]
	v_add_f64 v[37:38], v[53:54], v[39:40]
	v_add_f64 v[12:13], v[35:36], v[12:13]
	v_fma_f64 v[6:7], v[6:7], v[0:1], v[55:56]
	v_fma_f64 v[0:1], v[4:5], v[0:1], -v[2:3]
	v_fma_f64 v[2:3], v[27:28], v[29:30], v[49:50]
	v_fma_f64 v[49:50], v[25:26], v[29:30], -v[31:32]
	v_add_f64 v[53:54], v[37:38], v[33:34]
	ds_load_b128 v[33:36], v17 offset:160
	ds_load_b128 v[37:40], v21 offset:5120
	ds_load_b128 v[41:44], v21 offset:5632
	ds_load_b128 v[45:48], v17 offset:176
	v_add_f64 v[4:5], v[12:13], v[51:52]
	s_waitcnt lgkmcnt(2)
	v_mul_f64 v[55:56], v[37:38], v[35:36]
	v_mul_f64 v[12:13], v[39:40], v[35:36]
	s_waitcnt lgkmcnt(0)
	v_mul_f64 v[35:36], v[41:42], v[47:48]
	v_mul_f64 v[47:48], v[43:44], v[47:48]
	v_add_f64 v[6:7], v[53:54], v[6:7]
	v_add_f64 v[51:52], v[4:5], v[0:1]
	v_fma_f64 v[39:40], v[39:40], v[33:34], v[55:56]
	;; [unrolled: 36-line block ×5, first 2 shown]
	v_fma_f64 v[12:13], v[37:38], v[33:34], -v[12:13]
	v_fma_f64 v[33:34], v[43:44], v[45:46], v[35:36]
	v_add_f64 v[53:54], v[6:7], v[2:3]
	ds_load_b128 v[0:3], v17 offset:384
	ds_load_b128 v[4:7], v21 offset:12288
	;; [unrolled: 1-line block ×4, first 2 shown]
	v_add_f64 v[35:36], v[51:52], v[49:50]
	v_fma_f64 v[51:52], v[41:42], v[45:46], -v[47:48]
	s_waitcnt lgkmcnt(2)
	v_mul_f64 v[55:56], v[4:5], v[2:3]
	v_mul_f64 v[2:3], v[6:7], v[2:3]
	s_waitcnt lgkmcnt(0)
	v_mul_f64 v[49:50], v[25:26], v[31:32]
	v_mul_f64 v[31:32], v[27:28], v[31:32]
	v_add_f64 v[37:38], v[53:54], v[39:40]
	v_add_f64 v[12:13], v[35:36], v[12:13]
	v_fma_f64 v[6:7], v[6:7], v[0:1], v[55:56]
	v_fma_f64 v[0:1], v[4:5], v[0:1], -v[2:3]
	v_fma_f64 v[2:3], v[27:28], v[29:30], v[49:50]
	v_add_f64 v[53:54], v[37:38], v[33:34]
	ds_load_b128 v[33:36], v17 offset:416
	ds_load_b128 v[37:40], v21 offset:13312
	;; [unrolled: 1-line block ×4, first 2 shown]
	v_add_f64 v[4:5], v[12:13], v[51:52]
	s_waitcnt lgkmcnt(2)
	v_mul_f64 v[55:56], v[37:38], v[35:36]
	v_mul_f64 v[12:13], v[39:40], v[35:36]
	s_waitcnt lgkmcnt(0)
	v_mul_f64 v[35:36], v[41:42], v[47:48]
	v_mul_f64 v[47:48], v[43:44], v[47:48]
	v_add_f64 v[6:7], v[53:54], v[6:7]
	v_fma_f64 v[53:54], v[25:26], v[29:30], -v[31:32]
	v_fma_f64 v[39:40], v[39:40], v[33:34], v[55:56]
	v_add_f64 v[55:56], v[4:5], v[0:1]
	v_fma_f64 v[12:13], v[37:38], v[33:34], -v[12:13]
	v_fma_f64 v[33:34], v[43:44], v[45:46], v[35:36]
	v_add_f64 v[57:58], v[6:7], v[2:3]
	ds_load_b128 v[0:3], v17 offset:448
	ds_load_b128 v[4:7], v21 offset:14336
	global_load_b128 v[25:28], v[10:11], off
	ds_load_b128 v[29:32], v21 offset:14848
	ds_load_b128 v[49:52], v17 offset:464
	v_add_f64 v[35:36], v[55:56], v[53:54]
	s_waitcnt lgkmcnt(2)
	v_mul_f64 v[59:60], v[4:5], v[2:3]
	v_mul_f64 v[2:3], v[6:7], v[2:3]
	s_waitcnt lgkmcnt(0)
	v_mul_f64 v[53:54], v[29:30], v[51:52]
	v_fma_f64 v[55:56], v[41:42], v[45:46], -v[47:48]
	v_mul_f64 v[51:52], v[31:32], v[51:52]
	v_add_f64 v[37:38], v[57:58], v[39:40]
	v_add_f64 v[12:13], v[35:36], v[12:13]
	v_fma_f64 v[6:7], v[6:7], v[0:1], v[59:60]
	v_fma_f64 v[0:1], v[4:5], v[0:1], -v[2:3]
	v_fma_f64 v[2:3], v[31:32], v[49:50], v[53:54]
	v_fma_f64 v[29:30], v[29:30], v[49:50], -v[51:52]
	v_add_f64 v[57:58], v[37:38], v[33:34]
	ds_load_b128 v[33:36], v17 offset:480
	ds_load_b128 v[37:40], v21 offset:15360
	;; [unrolled: 1-line block ×4, first 2 shown]
	s_waitcnt lgkmcnt(2)
	v_mul_f64 v[59:60], v[37:38], v[35:36]
	v_add_f64 v[4:5], v[12:13], v[55:56]
	v_mul_f64 v[12:13], v[39:40], v[35:36]
	s_waitcnt lgkmcnt(0)
	v_mul_f64 v[31:32], v[41:42], v[47:48]
	v_add_f64 v[6:7], v[57:58], v[6:7]
	v_fma_f64 v[35:36], v[39:40], v[33:34], v[59:60]
	v_add_f64 v[0:1], v[4:5], v[0:1]
	v_mul_f64 v[4:5], v[43:44], v[47:48]
	s_delay_alu instid0(VALU_DEP_4)
	v_add_f64 v[2:3], v[6:7], v[2:3]
	v_fma_f64 v[6:7], v[37:38], v[33:34], -v[12:13]
	v_fma_f64 v[12:13], v[43:44], v[45:46], v[31:32]
	v_add_f64 v[0:1], v[0:1], v[29:30]
	v_fma_f64 v[4:5], v[41:42], v[45:46], -v[4:5]
	v_add_f64 v[2:3], v[2:3], v[35:36]
	s_delay_alu instid0(VALU_DEP_3) | instskip(NEXT) | instid1(VALU_DEP_2)
	v_add_f64 v[0:1], v[0:1], v[6:7]
	v_add_f64 v[2:3], v[2:3], v[12:13]
	s_delay_alu instid0(VALU_DEP_2) | instskip(NEXT) | instid1(VALU_DEP_2)
	v_add_f64 v[0:1], v[0:1], v[4:5]
	v_mul_f64 v[4:5], s[6:7], v[2:3]
	v_mul_f64 v[2:3], s[4:5], v[2:3]
	s_delay_alu instid0(VALU_DEP_2) | instskip(NEXT) | instid1(VALU_DEP_2)
	v_fma_f64 v[4:5], s[4:5], v[0:1], -v[4:5]
	v_fma_f64 v[2:3], s[6:7], v[0:1], v[2:3]
	s_waitcnt vmcnt(0)
	s_delay_alu instid0(VALU_DEP_2) | instskip(NEXT) | instid1(VALU_DEP_2)
	v_add_f64 v[0:1], v[25:26], v[4:5]
	v_add_f64 v[2:3], v[27:28], v[2:3]
	global_store_b128 v[10:11], v[0:3], off
	s_branch .LBB386_4
.LBB386_11:
	v_cmp_eq_u32_e32 vcc_lo, v8, v16
	v_cmp_gt_i32_e64 s0, s9, v8
	s_delay_alu instid0(VALU_DEP_1) | instskip(NEXT) | instid1(SALU_CYCLE_1)
	s_and_b32 s0, vcc_lo, s0
	s_and_saveexec_b32 s1, s0
	s_cbranch_execz .LBB386_13
; %bb.12:
	v_mad_i64_i32 v[0:1], null, s3, v8, 0
	v_lshlrev_b64 v[2:3], 4, v[8:9]
	s_delay_alu instid0(VALU_DEP_2) | instskip(NEXT) | instid1(VALU_DEP_1)
	v_lshlrev_b64 v[0:1], 4, v[0:1]
	v_add_co_u32 v4, vcc_lo, s8, v0
	s_delay_alu instid0(VALU_DEP_2) | instskip(SKIP_1) | instid1(VALU_DEP_3)
	v_add_co_ci_u32_e32 v1, vcc_lo, s11, v1, vcc_lo
	v_mov_b32_e32 v0, 0
	v_add_co_u32 v2, vcc_lo, v4, v2
	s_delay_alu instid0(VALU_DEP_3) | instskip(NEXT) | instid1(VALU_DEP_3)
	v_add_co_ci_u32_e32 v3, vcc_lo, v1, v3, vcc_lo
	v_mov_b32_e32 v1, v0
	global_store_b64 v[2:3], v[0:1], off offset:8
.LBB386_13:
	s_nop 0
	s_sendmsg sendmsg(MSG_DEALLOC_VGPRS)
	s_endpgm
	.section	.rodata,"a",@progbits
	.p2align	6, 0x0
	.amdhsa_kernel _ZL26rocblas_syr2k_her2k_kernelIiLb0ELb1ELb1ELi32E19rocblas_complex_numIdEPKS1_PS1_EvbiT_T4_T5_S5_lS7_S5_lT6_S5_li
		.amdhsa_group_segment_fixed_size 32768
		.amdhsa_private_segment_fixed_size 0
		.amdhsa_kernarg_size 108
		.amdhsa_user_sgpr_count 13
		.amdhsa_user_sgpr_dispatch_ptr 0
		.amdhsa_user_sgpr_queue_ptr 0
		.amdhsa_user_sgpr_kernarg_segment_ptr 1
		.amdhsa_user_sgpr_dispatch_id 0
		.amdhsa_user_sgpr_private_segment_size 0
		.amdhsa_wavefront_size32 1
		.amdhsa_uses_dynamic_stack 0
		.amdhsa_enable_private_segment 0
		.amdhsa_system_sgpr_workgroup_id_x 1
		.amdhsa_system_sgpr_workgroup_id_y 1
		.amdhsa_system_sgpr_workgroup_id_z 1
		.amdhsa_system_sgpr_workgroup_info 0
		.amdhsa_system_vgpr_workitem_id 1
		.amdhsa_next_free_vgpr 61
		.amdhsa_next_free_sgpr 24
		.amdhsa_reserve_vcc 1
		.amdhsa_float_round_mode_32 0
		.amdhsa_float_round_mode_16_64 0
		.amdhsa_float_denorm_mode_32 3
		.amdhsa_float_denorm_mode_16_64 3
		.amdhsa_dx10_clamp 1
		.amdhsa_ieee_mode 1
		.amdhsa_fp16_overflow 0
		.amdhsa_workgroup_processor_mode 1
		.amdhsa_memory_ordered 1
		.amdhsa_forward_progress 0
		.amdhsa_shared_vgpr_count 0
		.amdhsa_exception_fp_ieee_invalid_op 0
		.amdhsa_exception_fp_denorm_src 0
		.amdhsa_exception_fp_ieee_div_zero 0
		.amdhsa_exception_fp_ieee_overflow 0
		.amdhsa_exception_fp_ieee_underflow 0
		.amdhsa_exception_fp_ieee_inexact 0
		.amdhsa_exception_int_div_zero 0
	.end_amdhsa_kernel
	.section	.text._ZL26rocblas_syr2k_her2k_kernelIiLb0ELb1ELb1ELi32E19rocblas_complex_numIdEPKS1_PS1_EvbiT_T4_T5_S5_lS7_S5_lT6_S5_li,"axG",@progbits,_ZL26rocblas_syr2k_her2k_kernelIiLb0ELb1ELb1ELi32E19rocblas_complex_numIdEPKS1_PS1_EvbiT_T4_T5_S5_lS7_S5_lT6_S5_li,comdat
.Lfunc_end386:
	.size	_ZL26rocblas_syr2k_her2k_kernelIiLb0ELb1ELb1ELi32E19rocblas_complex_numIdEPKS1_PS1_EvbiT_T4_T5_S5_lS7_S5_lT6_S5_li, .Lfunc_end386-_ZL26rocblas_syr2k_her2k_kernelIiLb0ELb1ELb1ELi32E19rocblas_complex_numIdEPKS1_PS1_EvbiT_T4_T5_S5_lS7_S5_lT6_S5_li
                                        ; -- End function
	.section	.AMDGPU.csdata,"",@progbits
; Kernel info:
; codeLenInByte = 3188
; NumSgprs: 26
; NumVgprs: 61
; ScratchSize: 0
; MemoryBound: 1
; FloatMode: 240
; IeeeMode: 1
; LDSByteSize: 32768 bytes/workgroup (compile time only)
; SGPRBlocks: 3
; VGPRBlocks: 7
; NumSGPRsForWavesPerEU: 26
; NumVGPRsForWavesPerEU: 61
; Occupancy: 16
; WaveLimiterHint : 0
; COMPUTE_PGM_RSRC2:SCRATCH_EN: 0
; COMPUTE_PGM_RSRC2:USER_SGPR: 13
; COMPUTE_PGM_RSRC2:TRAP_HANDLER: 0
; COMPUTE_PGM_RSRC2:TGID_X_EN: 1
; COMPUTE_PGM_RSRC2:TGID_Y_EN: 1
; COMPUTE_PGM_RSRC2:TGID_Z_EN: 1
; COMPUTE_PGM_RSRC2:TIDIG_COMP_CNT: 1
	.section	.text._ZL37rocblas_syrkx_herkx_restricted_kernelIi19rocblas_complex_numIdELi16ELi32ELi8ELi1ELi1ELb1ELc84ELc76EKS1_S1_EviT_PT9_S3_lS5_S3_lPT10_S3_li,"axG",@progbits,_ZL37rocblas_syrkx_herkx_restricted_kernelIi19rocblas_complex_numIdELi16ELi32ELi8ELi1ELi1ELb1ELc84ELc76EKS1_S1_EviT_PT9_S3_lS5_S3_lPT10_S3_li,comdat
	.globl	_ZL37rocblas_syrkx_herkx_restricted_kernelIi19rocblas_complex_numIdELi16ELi32ELi8ELi1ELi1ELb1ELc84ELc76EKS1_S1_EviT_PT9_S3_lS5_S3_lPT10_S3_li ; -- Begin function _ZL37rocblas_syrkx_herkx_restricted_kernelIi19rocblas_complex_numIdELi16ELi32ELi8ELi1ELi1ELb1ELc84ELc76EKS1_S1_EviT_PT9_S3_lS5_S3_lPT10_S3_li
	.p2align	8
	.type	_ZL37rocblas_syrkx_herkx_restricted_kernelIi19rocblas_complex_numIdELi16ELi32ELi8ELi1ELi1ELb1ELc84ELc76EKS1_S1_EviT_PT9_S3_lS5_S3_lPT10_S3_li,@function
_ZL37rocblas_syrkx_herkx_restricted_kernelIi19rocblas_complex_numIdELi16ELi32ELi8ELi1ELi1ELb1ELc84ELc76EKS1_S1_EviT_PT9_S3_lS5_S3_lPT10_S3_li: ; @_ZL37rocblas_syrkx_herkx_restricted_kernelIi19rocblas_complex_numIdELi16ELi32ELi8ELi1ELi1ELb1ELc84ELc76EKS1_S1_EviT_PT9_S3_lS5_S3_lPT10_S3_li
; %bb.0:
	s_clause 0x1
	s_load_b64 s[2:3], s[0:1], 0x0
	s_load_b128 s[4:7], s[0:1], 0x30
	v_mov_b32_e32 v16, 0
	v_dual_mov_b32 v17, 0 :: v_dual_and_b32 v20, 0x3ff, v0
	v_bfe_u32 v21, v0, 10, 10
	s_delay_alu instid0(VALU_DEP_3) | instskip(NEXT) | instid1(VALU_DEP_3)
	v_mov_b32_e32 v4, v16
	v_dual_mov_b32 v6, v16 :: v_dual_mov_b32 v7, v17
	v_dual_mov_b32 v19, v17 :: v_dual_mov_b32 v18, v16
	;; [unrolled: 1-line block ×6, first 2 shown]
	v_mov_b32_e32 v9, v17
	s_lshl_b32 s12, s13, 5
	s_lshl_b32 s13, s14, 5
	s_waitcnt lgkmcnt(0)
	s_cmp_lt_i32 s3, 1
	s_mov_b32 s14, 0
	s_cbranch_scc1 .LBB387_3
; %bb.1:
	s_clause 0x3
	s_load_b32 s18, s[0:1], 0x10
	s_load_b128 s[8:11], s[0:1], 0x18
	s_load_b64 s[16:17], s[0:1], 0x8
	s_load_b32 s19, s[0:1], 0x28
	v_lshl_add_u32 v2, v21, 4, v20
	v_dual_mov_b32 v1, 0 :: v_dual_and_b32 v0, 7, v20
	v_lshlrev_b32_e32 v22, 4, v20
	s_mul_i32 s5, s5, s15
	s_delay_alu instid0(VALU_DEP_3)
	v_lshrrev_b32_e32 v4, 3, v2
	v_and_b32_e32 v5, 31, v2
	v_lshlrev_b32_e32 v3, 4, v0
	v_lshrrev_b32_e32 v2, 5, v2
	v_lshl_add_u32 v25, v21, 7, 0x1000
	v_add_nc_u32_e32 v9, s13, v4
	v_add_nc_u32_e32 v8, s12, v5
	v_lshl_or_b32 v7, v4, 7, v3
	v_dual_mov_b32 v3, v1 :: v_dual_lshlrev_b32 v6, 4, v5
	s_waitcnt lgkmcnt(0)
	s_delay_alu instid0(VALU_DEP_1) | instskip(NEXT) | instid1(VALU_DEP_2)
	v_mad_i64_i32 v[4:5], null, s18, v8, v[2:3]
	v_lshl_or_b32 v23, v2, 9, v6
	s_mul_i32 s9, s9, s15
	s_mul_hi_u32 s18, s8, s15
	v_mad_i64_i32 v[2:3], null, s19, v9, v[0:1]
	s_mul_i32 s8, s8, s15
	s_add_i32 s9, s18, s9
	s_delay_alu instid0(VALU_DEP_3)
	v_lshlrev_b64 v[0:1], 4, v[4:5]
	s_lshl_b64 s[8:9], s[8:9], 4
	v_mov_b32_e32 v8, 0
	v_mov_b32_e32 v9, 0
	s_add_u32 s8, s16, s8
	s_mul_hi_u32 s16, s4, s15
	s_addc_u32 s9, s17, s9
	s_add_i32 s5, s16, s5
	s_mul_i32 s4, s4, s15
	v_lshlrev_b64 v[2:3], 4, v[2:3]
	s_lshl_b64 s[4:5], s[4:5], 4
	v_add_co_u32 v0, vcc_lo, s8, v0
	s_add_u32 s4, s10, s4
	v_add_co_ci_u32_e32 v1, vcc_lo, s9, v1, vcc_lo
	s_addc_u32 s5, s11, s5
	v_add_co_u32 v2, vcc_lo, s4, v2
	v_add_co_ci_u32_e32 v3, vcc_lo, s5, v3, vcc_lo
	v_add_co_u32 v0, vcc_lo, v0, 8
	v_add_co_ci_u32_e32 v1, vcc_lo, 0, v1, vcc_lo
	s_delay_alu instid0(VALU_DEP_4)
	v_add_co_u32 v2, vcc_lo, v2, 8
	v_dual_mov_b32 v11, v9 :: v_dual_add_nc_u32 v24, 0x1000, v7
	v_add_co_ci_u32_e32 v3, vcc_lo, 0, v3, vcc_lo
	v_dual_mov_b32 v10, v8 :: v_dual_mov_b32 v15, v9
	v_dual_mov_b32 v14, v8 :: v_dual_mov_b32 v13, v9
	v_mov_b32_e32 v12, v8
	v_dual_mov_b32 v6, v8 :: v_dual_mov_b32 v7, v9
	v_dual_mov_b32 v4, v8 :: v_dual_mov_b32 v5, v9
	;; [unrolled: 1-line block ×4, first 2 shown]
.LBB387_2:                              ; =>This Inner Loop Header: Depth=1
	global_load_b128 v[26:29], v[0:1], off offset:-8
	v_add_co_u32 v0, vcc_lo, 0x80, v0
	v_add_co_ci_u32_e32 v1, vcc_lo, 0, v1, vcc_lo
	s_add_i32 s14, s14, 8
	s_delay_alu instid0(SALU_CYCLE_1)
	s_cmp_ge_i32 s14, s3
	s_waitcnt vmcnt(0)
	ds_store_b128 v23, v[26:29]
	global_load_b128 v[26:29], v[2:3], off offset:-8
	v_add_co_u32 v2, vcc_lo, 0x80, v2
	v_add_co_ci_u32_e32 v3, vcc_lo, 0, v3, vcc_lo
	s_waitcnt vmcnt(0)
	ds_store_b128 v24, v[26:29]
	s_waitcnt lgkmcnt(0)
	s_barrier
	buffer_gl0_inv
	ds_load_b128 v[26:29], v25
	ds_load_b128 v[30:33], v25 offset:16
	ds_load_b128 v[34:37], v25 offset:32
	;; [unrolled: 1-line block ×3, first 2 shown]
	ds_load_b128 v[42:45], v22
	s_waitcnt lgkmcnt(0)
	v_mul_f64 v[46:47], v[28:29], v[44:45]
	v_mul_f64 v[48:49], v[26:27], v[44:45]
	s_delay_alu instid0(VALU_DEP_2) | instskip(NEXT) | instid1(VALU_DEP_2)
	v_fma_f64 v[46:47], v[26:27], v[42:43], -v[46:47]
	v_fma_f64 v[48:49], v[28:29], v[42:43], v[48:49]
	s_delay_alu instid0(VALU_DEP_2) | instskip(NEXT) | instid1(VALU_DEP_2)
	v_add_f64 v[46:47], v[16:17], v[46:47]
	v_add_f64 v[48:49], v[18:19], v[48:49]
	ds_load_b128 v[16:19], v22 offset:256
	s_waitcnt lgkmcnt(0)
	v_mul_f64 v[50:51], v[28:29], v[18:19]
	s_delay_alu instid0(VALU_DEP_1) | instskip(SKIP_1) | instid1(VALU_DEP_1)
	v_fma_f64 v[50:51], v[26:27], v[16:17], -v[50:51]
	v_mul_f64 v[26:27], v[26:27], v[18:19]
	v_fma_f64 v[26:27], v[28:29], v[16:17], v[26:27]
	s_delay_alu instid0(VALU_DEP_3) | instskip(NEXT) | instid1(VALU_DEP_2)
	v_add_f64 v[28:29], v[4:5], v[50:51]
	v_add_f64 v[26:27], v[6:7], v[26:27]
	ds_load_b128 v[4:7], v25 offset:2048
	s_waitcnt lgkmcnt(0)
	v_mul_f64 v[50:51], v[6:7], v[44:45]
	v_mul_f64 v[44:45], v[4:5], v[44:45]
	s_delay_alu instid0(VALU_DEP_2) | instskip(NEXT) | instid1(VALU_DEP_2)
	v_fma_f64 v[50:51], v[4:5], v[42:43], -v[50:51]
	v_fma_f64 v[42:43], v[6:7], v[42:43], v[44:45]
	s_delay_alu instid0(VALU_DEP_2) | instskip(SKIP_1) | instid1(VALU_DEP_3)
	v_add_f64 v[44:45], v[12:13], v[50:51]
	v_mul_f64 v[12:13], v[6:7], v[18:19]
	v_add_f64 v[42:43], v[14:15], v[42:43]
	s_delay_alu instid0(VALU_DEP_2) | instskip(SKIP_1) | instid1(VALU_DEP_1)
	v_fma_f64 v[12:13], v[4:5], v[16:17], -v[12:13]
	v_mul_f64 v[4:5], v[4:5], v[18:19]
	v_fma_f64 v[4:5], v[6:7], v[16:17], v[4:5]
	s_delay_alu instid0(VALU_DEP_3) | instskip(NEXT) | instid1(VALU_DEP_2)
	v_add_f64 v[16:17], v[10:11], v[12:13]
	v_add_f64 v[18:19], v[8:9], v[4:5]
	ds_load_b128 v[4:7], v22 offset:512
	s_waitcnt lgkmcnt(0)
	v_mul_f64 v[8:9], v[32:33], v[6:7]
	v_mul_f64 v[10:11], v[30:31], v[6:7]
	s_delay_alu instid0(VALU_DEP_2) | instskip(NEXT) | instid1(VALU_DEP_2)
	v_fma_f64 v[8:9], v[30:31], v[4:5], -v[8:9]
	v_fma_f64 v[10:11], v[32:33], v[4:5], v[10:11]
	s_delay_alu instid0(VALU_DEP_2) | instskip(NEXT) | instid1(VALU_DEP_2)
	v_add_f64 v[46:47], v[46:47], v[8:9]
	v_add_f64 v[48:49], v[48:49], v[10:11]
	ds_load_b128 v[8:11], v22 offset:768
	s_waitcnt lgkmcnt(0)
	v_mul_f64 v[12:13], v[32:33], v[10:11]
	v_mul_f64 v[14:15], v[30:31], v[10:11]
	s_delay_alu instid0(VALU_DEP_2) | instskip(NEXT) | instid1(VALU_DEP_2)
	v_fma_f64 v[12:13], v[30:31], v[8:9], -v[12:13]
	v_fma_f64 v[14:15], v[32:33], v[8:9], v[14:15]
	s_delay_alu instid0(VALU_DEP_2) | instskip(NEXT) | instid1(VALU_DEP_2)
	v_add_f64 v[28:29], v[28:29], v[12:13]
	v_add_f64 v[26:27], v[26:27], v[14:15]
	ds_load_b128 v[12:15], v25 offset:2064
	s_waitcnt lgkmcnt(0)
	v_mul_f64 v[30:31], v[14:15], v[6:7]
	v_mul_f64 v[6:7], v[12:13], v[6:7]
	s_delay_alu instid0(VALU_DEP_2) | instskip(NEXT) | instid1(VALU_DEP_2)
	v_fma_f64 v[30:31], v[12:13], v[4:5], -v[30:31]
	v_fma_f64 v[4:5], v[14:15], v[4:5], v[6:7]
	v_mul_f64 v[6:7], v[12:13], v[10:11]
	s_delay_alu instid0(VALU_DEP_3) | instskip(NEXT) | instid1(VALU_DEP_3)
	v_add_f64 v[30:31], v[44:45], v[30:31]
	v_add_f64 v[32:33], v[42:43], v[4:5]
	v_mul_f64 v[4:5], v[14:15], v[10:11]
	s_delay_alu instid0(VALU_DEP_4) | instskip(NEXT) | instid1(VALU_DEP_2)
	v_fma_f64 v[6:7], v[14:15], v[8:9], v[6:7]
	v_fma_f64 v[4:5], v[12:13], v[8:9], -v[4:5]
	s_delay_alu instid0(VALU_DEP_2) | instskip(NEXT) | instid1(VALU_DEP_2)
	v_add_f64 v[18:19], v[18:19], v[6:7]
	v_add_f64 v[16:17], v[16:17], v[4:5]
	ds_load_b128 v[4:7], v22 offset:1024
	s_waitcnt lgkmcnt(0)
	v_mul_f64 v[8:9], v[36:37], v[6:7]
	v_mul_f64 v[10:11], v[34:35], v[6:7]
	s_delay_alu instid0(VALU_DEP_2) | instskip(NEXT) | instid1(VALU_DEP_2)
	v_fma_f64 v[8:9], v[34:35], v[4:5], -v[8:9]
	v_fma_f64 v[10:11], v[36:37], v[4:5], v[10:11]
	s_delay_alu instid0(VALU_DEP_2) | instskip(NEXT) | instid1(VALU_DEP_2)
	v_add_f64 v[42:43], v[46:47], v[8:9]
	v_add_f64 v[44:45], v[48:49], v[10:11]
	ds_load_b128 v[8:11], v22 offset:1280
	s_waitcnt lgkmcnt(0)
	v_mul_f64 v[12:13], v[36:37], v[10:11]
	v_mul_f64 v[14:15], v[34:35], v[10:11]
	s_delay_alu instid0(VALU_DEP_2) | instskip(NEXT) | instid1(VALU_DEP_2)
	v_fma_f64 v[12:13], v[34:35], v[8:9], -v[12:13]
	v_fma_f64 v[14:15], v[36:37], v[8:9], v[14:15]
	s_delay_alu instid0(VALU_DEP_2) | instskip(NEXT) | instid1(VALU_DEP_2)
	v_add_f64 v[28:29], v[28:29], v[12:13]
	v_add_f64 v[26:27], v[26:27], v[14:15]
	ds_load_b128 v[12:15], v25 offset:2080
	s_waitcnt lgkmcnt(0)
	v_mul_f64 v[34:35], v[14:15], v[6:7]
	v_mul_f64 v[6:7], v[12:13], v[6:7]
	s_delay_alu instid0(VALU_DEP_2) | instskip(NEXT) | instid1(VALU_DEP_2)
	v_fma_f64 v[34:35], v[12:13], v[4:5], -v[34:35]
	v_fma_f64 v[4:5], v[14:15], v[4:5], v[6:7]
	v_mul_f64 v[6:7], v[12:13], v[10:11]
	s_delay_alu instid0(VALU_DEP_3) | instskip(NEXT) | instid1(VALU_DEP_3)
	v_add_f64 v[30:31], v[30:31], v[34:35]
	v_add_f64 v[32:33], v[32:33], v[4:5]
	v_mul_f64 v[4:5], v[14:15], v[10:11]
	s_delay_alu instid0(VALU_DEP_4) | instskip(NEXT) | instid1(VALU_DEP_2)
	v_fma_f64 v[6:7], v[14:15], v[8:9], v[6:7]
	v_fma_f64 v[4:5], v[12:13], v[8:9], -v[4:5]
	s_delay_alu instid0(VALU_DEP_2) | instskip(NEXT) | instid1(VALU_DEP_2)
	;; [unrolled: 38-line block ×3, first 2 shown]
	v_add_f64 v[18:19], v[18:19], v[6:7]
	v_add_f64 v[16:17], v[16:17], v[4:5]
	ds_load_b128 v[4:7], v25 offset:64
	ds_load_b128 v[8:11], v22 offset:2048
	s_waitcnt lgkmcnt(0)
	v_mul_f64 v[12:13], v[6:7], v[10:11]
	v_mul_f64 v[14:15], v[4:5], v[10:11]
	s_delay_alu instid0(VALU_DEP_2) | instskip(NEXT) | instid1(VALU_DEP_2)
	v_fma_f64 v[12:13], v[4:5], v[8:9], -v[12:13]
	v_fma_f64 v[14:15], v[6:7], v[8:9], v[14:15]
	s_delay_alu instid0(VALU_DEP_2) | instskip(NEXT) | instid1(VALU_DEP_2)
	v_add_f64 v[34:35], v[34:35], v[12:13]
	v_add_f64 v[36:37], v[36:37], v[14:15]
	ds_load_b128 v[12:15], v22 offset:2304
	s_waitcnt lgkmcnt(0)
	v_mul_f64 v[38:39], v[6:7], v[14:15]
	s_delay_alu instid0(VALU_DEP_1) | instskip(SKIP_1) | instid1(VALU_DEP_2)
	v_fma_f64 v[38:39], v[4:5], v[12:13], -v[38:39]
	v_mul_f64 v[4:5], v[4:5], v[14:15]
	v_add_f64 v[28:29], v[28:29], v[38:39]
	s_delay_alu instid0(VALU_DEP_2) | instskip(NEXT) | instid1(VALU_DEP_1)
	v_fma_f64 v[4:5], v[6:7], v[12:13], v[4:5]
	v_add_f64 v[26:27], v[26:27], v[4:5]
	ds_load_b128 v[4:7], v25 offset:2112
	s_waitcnt lgkmcnt(0)
	v_mul_f64 v[38:39], v[6:7], v[10:11]
	v_mul_f64 v[10:11], v[4:5], v[10:11]
	s_delay_alu instid0(VALU_DEP_2) | instskip(NEXT) | instid1(VALU_DEP_2)
	v_fma_f64 v[38:39], v[4:5], v[8:9], -v[38:39]
	v_fma_f64 v[8:9], v[6:7], v[8:9], v[10:11]
	s_delay_alu instid0(VALU_DEP_2) | instskip(NEXT) | instid1(VALU_DEP_2)
	v_add_f64 v[30:31], v[30:31], v[38:39]
	v_add_f64 v[32:33], v[32:33], v[8:9]
	v_mul_f64 v[8:9], v[6:7], v[14:15]
	s_delay_alu instid0(VALU_DEP_1) | instskip(SKIP_1) | instid1(VALU_DEP_2)
	v_fma_f64 v[8:9], v[4:5], v[12:13], -v[8:9]
	v_mul_f64 v[4:5], v[4:5], v[14:15]
	v_add_f64 v[16:17], v[16:17], v[8:9]
	s_delay_alu instid0(VALU_DEP_2) | instskip(NEXT) | instid1(VALU_DEP_1)
	v_fma_f64 v[4:5], v[6:7], v[12:13], v[4:5]
	v_add_f64 v[18:19], v[18:19], v[4:5]
	ds_load_b128 v[4:7], v25 offset:80
	ds_load_b128 v[8:11], v22 offset:2560
	s_waitcnt lgkmcnt(0)
	v_mul_f64 v[12:13], v[6:7], v[10:11]
	v_mul_f64 v[14:15], v[4:5], v[10:11]
	s_delay_alu instid0(VALU_DEP_2) | instskip(NEXT) | instid1(VALU_DEP_2)
	v_fma_f64 v[12:13], v[4:5], v[8:9], -v[12:13]
	v_fma_f64 v[14:15], v[6:7], v[8:9], v[14:15]
	s_delay_alu instid0(VALU_DEP_2) | instskip(NEXT) | instid1(VALU_DEP_2)
	v_add_f64 v[34:35], v[34:35], v[12:13]
	v_add_f64 v[36:37], v[36:37], v[14:15]
	ds_load_b128 v[12:15], v22 offset:2816
	s_waitcnt lgkmcnt(0)
	v_mul_f64 v[38:39], v[6:7], v[14:15]
	s_delay_alu instid0(VALU_DEP_1) | instskip(SKIP_1) | instid1(VALU_DEP_2)
	v_fma_f64 v[38:39], v[4:5], v[12:13], -v[38:39]
	v_mul_f64 v[4:5], v[4:5], v[14:15]
	v_add_f64 v[28:29], v[28:29], v[38:39]
	s_delay_alu instid0(VALU_DEP_2) | instskip(NEXT) | instid1(VALU_DEP_1)
	v_fma_f64 v[4:5], v[6:7], v[12:13], v[4:5]
	v_add_f64 v[26:27], v[26:27], v[4:5]
	ds_load_b128 v[4:7], v25 offset:2128
	s_waitcnt lgkmcnt(0)
	v_mul_f64 v[38:39], v[6:7], v[10:11]
	v_mul_f64 v[10:11], v[4:5], v[10:11]
	s_delay_alu instid0(VALU_DEP_2) | instskip(NEXT) | instid1(VALU_DEP_2)
	v_fma_f64 v[38:39], v[4:5], v[8:9], -v[38:39]
	v_fma_f64 v[8:9], v[6:7], v[8:9], v[10:11]
	s_delay_alu instid0(VALU_DEP_2) | instskip(NEXT) | instid1(VALU_DEP_2)
	v_add_f64 v[30:31], v[30:31], v[38:39]
	v_add_f64 v[32:33], v[32:33], v[8:9]
	v_mul_f64 v[8:9], v[6:7], v[14:15]
	s_delay_alu instid0(VALU_DEP_1) | instskip(SKIP_1) | instid1(VALU_DEP_2)
	v_fma_f64 v[8:9], v[4:5], v[12:13], -v[8:9]
	v_mul_f64 v[4:5], v[4:5], v[14:15]
	v_add_f64 v[16:17], v[16:17], v[8:9]
	s_delay_alu instid0(VALU_DEP_2) | instskip(NEXT) | instid1(VALU_DEP_1)
	v_fma_f64 v[4:5], v[6:7], v[12:13], v[4:5]
	;; [unrolled: 39-line block ×3, first 2 shown]
	v_add_f64 v[48:49], v[18:19], v[4:5]
	ds_load_b128 v[4:7], v25 offset:112
	ds_load_b128 v[8:11], v22 offset:3584
	;; [unrolled: 1-line block ×4, first 2 shown]
	s_waitcnt lgkmcnt(0)
	s_barrier
	buffer_gl0_inv
	v_mul_f64 v[12:13], v[6:7], v[10:11]
	v_mul_f64 v[14:15], v[4:5], v[10:11]
	s_delay_alu instid0(VALU_DEP_2) | instskip(NEXT) | instid1(VALU_DEP_2)
	v_fma_f64 v[12:13], v[4:5], v[8:9], -v[12:13]
	v_fma_f64 v[14:15], v[6:7], v[8:9], v[14:15]
	s_delay_alu instid0(VALU_DEP_2) | instskip(SKIP_1) | instid1(VALU_DEP_3)
	v_add_f64 v[16:17], v[34:35], v[12:13]
	v_mul_f64 v[12:13], v[6:7], v[28:29]
	v_add_f64 v[18:19], v[36:37], v[14:15]
	s_delay_alu instid0(VALU_DEP_2) | instskip(SKIP_1) | instid1(VALU_DEP_1)
	v_fma_f64 v[12:13], v[4:5], v[26:27], -v[12:13]
	v_mul_f64 v[4:5], v[4:5], v[28:29]
	v_fma_f64 v[6:7], v[6:7], v[26:27], v[4:5]
	s_delay_alu instid0(VALU_DEP_3) | instskip(SKIP_2) | instid1(VALU_DEP_4)
	v_add_f64 v[4:5], v[38:39], v[12:13]
	v_mul_f64 v[12:13], v[32:33], v[10:11]
	v_mul_f64 v[10:11], v[30:31], v[10:11]
	v_add_f64 v[6:7], v[40:41], v[6:7]
	s_delay_alu instid0(VALU_DEP_3) | instskip(NEXT) | instid1(VALU_DEP_3)
	v_fma_f64 v[12:13], v[30:31], v[8:9], -v[12:13]
	v_fma_f64 v[8:9], v[32:33], v[8:9], v[10:11]
	v_mul_f64 v[10:11], v[30:31], v[28:29]
	s_delay_alu instid0(VALU_DEP_3) | instskip(NEXT) | instid1(VALU_DEP_3)
	v_add_f64 v[12:13], v[42:43], v[12:13]
	v_add_f64 v[14:15], v[44:45], v[8:9]
	v_mul_f64 v[8:9], v[32:33], v[28:29]
	s_delay_alu instid0(VALU_DEP_1) | instskip(SKIP_1) | instid1(VALU_DEP_2)
	v_fma_f64 v[8:9], v[30:31], v[26:27], -v[8:9]
	v_fma_f64 v[26:27], v[32:33], v[26:27], v[10:11]
	v_add_f64 v[10:11], v[46:47], v[8:9]
	s_delay_alu instid0(VALU_DEP_2)
	v_add_f64 v[8:9], v[48:49], v[26:27]
	s_cbranch_scc0 .LBB387_2
.LBB387_3:
	s_clause 0x1
	s_load_b32 s3, s[0:1], 0x40
	s_load_b64 s[4:5], s[0:1], 0x48
	v_add_nc_u32_e32 v21, s13, v21
	v_add_nc_u32_e32 v0, s12, v20
	s_delay_alu instid0(VALU_DEP_1)
	v_cmp_le_i32_e64 s0, v21, v0
	v_cmp_gt_i32_e32 vcc_lo, s2, v0
	s_waitcnt lgkmcnt(0)
	v_mad_i64_i32 v[1:2], null, v21, s3, 0
	s_mul_i32 s1, s15, s5
	s_mul_hi_u32 s5, s15, s4
	s_mul_i32 s4, s15, s4
	s_add_i32 s5, s5, s1
	s_delay_alu instid0(SALU_CYCLE_1) | instskip(NEXT) | instid1(VALU_DEP_1)
	s_lshl_b64 s[4:5], s[4:5], 4
	v_lshlrev_b64 v[1:2], 4, v[1:2]
	s_add_u32 s4, s6, s4
	s_addc_u32 s5, s7, s5
	s_and_b32 s0, s0, vcc_lo
	s_delay_alu instid0(VALU_DEP_1) | instskip(NEXT) | instid1(VALU_DEP_1)
	v_add_co_u32 v20, s1, s4, v1
	v_add_co_ci_u32_e64 v22, s1, s5, v2, s1
	s_and_saveexec_b32 s1, s0
	s_cbranch_execz .LBB387_5
; %bb.4:
	v_ashrrev_i32_e32 v1, 31, v0
	s_delay_alu instid0(VALU_DEP_1) | instskip(NEXT) | instid1(VALU_DEP_1)
	v_lshlrev_b64 v[1:2], 4, v[0:1]
	v_add_co_u32 v1, s0, v20, v1
	s_delay_alu instid0(VALU_DEP_1)
	v_add_co_ci_u32_e64 v2, s0, v22, v2, s0
	v_cmp_ne_u32_e64 s0, v21, v0
	global_load_b128 v[23:26], v[1:2], off
	s_waitcnt vmcnt(0)
	v_add_f64 v[18:19], v[18:19], v[25:26]
	v_add_f64 v[16:17], v[16:17], v[23:24]
	s_delay_alu instid0(VALU_DEP_2) | instskip(NEXT) | instid1(VALU_DEP_3)
	v_cndmask_b32_e64 v19, 0, v19, s0
	v_cndmask_b32_e64 v18, 0, v18, s0
	global_store_b128 v[1:2], v[16:19], off
.LBB387_5:
	s_or_b32 exec_lo, exec_lo, s1
	v_add_nc_u32_e32 v2, 16, v0
	s_delay_alu instid0(VALU_DEP_1) | instskip(SKIP_1) | instid1(VALU_DEP_1)
	v_cmp_le_i32_e64 s1, v21, v2
	v_cmp_gt_i32_e64 s0, s2, v2
	s_and_b32 s1, s1, s0
	s_delay_alu instid0(SALU_CYCLE_1)
	s_and_saveexec_b32 s2, s1
	s_cbranch_execz .LBB387_7
; %bb.6:
	v_ashrrev_i32_e32 v3, 31, v2
	s_delay_alu instid0(VALU_DEP_1) | instskip(NEXT) | instid1(VALU_DEP_1)
	v_lshlrev_b64 v[16:17], 4, v[2:3]
	v_add_co_u32 v23, s1, v20, v16
	s_delay_alu instid0(VALU_DEP_1)
	v_add_co_ci_u32_e64 v24, s1, v22, v17, s1
	v_cmp_ne_u32_e64 s1, v21, v2
	global_load_b128 v[16:19], v[23:24], off
	s_waitcnt vmcnt(0)
	v_add_f64 v[18:19], v[6:7], v[18:19]
	v_add_f64 v[3:4], v[4:5], v[16:17]
	s_delay_alu instid0(VALU_DEP_2) | instskip(NEXT) | instid1(VALU_DEP_3)
	v_cndmask_b32_e64 v6, 0, v19, s1
	v_cndmask_b32_e64 v5, 0, v18, s1
	global_store_b128 v[23:24], v[3:6], off
.LBB387_7:
	s_or_b32 exec_lo, exec_lo, s2
	v_add_nc_u32_e32 v3, 16, v21
	s_delay_alu instid0(VALU_DEP_1) | instskip(SKIP_1) | instid1(VALU_DEP_2)
	v_mad_i64_i32 v[4:5], null, v3, s3, 0
	v_cmp_le_i32_e64 s1, v3, v0
	v_lshlrev_b64 v[4:5], 4, v[4:5]
	s_delay_alu instid0(VALU_DEP_1) | instskip(NEXT) | instid1(VALU_DEP_1)
	v_add_co_u32 v4, s2, s4, v4
	v_add_co_ci_u32_e64 v5, s2, s5, v5, s2
	s_delay_alu instid0(VALU_DEP_4) | instskip(NEXT) | instid1(SALU_CYCLE_1)
	s_and_b32 s2, s1, vcc_lo
	s_and_saveexec_b32 s1, s2
	s_cbranch_execz .LBB387_9
; %bb.8:
	v_ashrrev_i32_e32 v1, 31, v0
	s_delay_alu instid0(VALU_DEP_1) | instskip(NEXT) | instid1(VALU_DEP_1)
	v_lshlrev_b64 v[6:7], 4, v[0:1]
	v_add_co_u32 v6, vcc_lo, v4, v6
	s_delay_alu instid0(VALU_DEP_2)
	v_add_co_ci_u32_e32 v7, vcc_lo, v5, v7, vcc_lo
	v_cmp_ne_u32_e32 vcc_lo, v3, v0
	global_load_b128 v[16:19], v[6:7], off
	s_waitcnt vmcnt(0)
	v_add_f64 v[14:15], v[14:15], v[18:19]
	v_add_f64 v[12:13], v[12:13], v[16:17]
	s_delay_alu instid0(VALU_DEP_2)
	v_dual_cndmask_b32 v15, 0, v15 :: v_dual_cndmask_b32 v14, 0, v14
	global_store_b128 v[6:7], v[12:15], off
.LBB387_9:
	s_or_b32 exec_lo, exec_lo, s1
	v_cmp_le_i32_e32 vcc_lo, v3, v2
	s_and_b32 s0, vcc_lo, s0
	s_delay_alu instid0(SALU_CYCLE_1)
	s_and_saveexec_b32 s1, s0
	s_cbranch_execz .LBB387_11
; %bb.10:
	v_ashrrev_i32_e32 v3, 31, v2
	s_delay_alu instid0(VALU_DEP_1) | instskip(NEXT) | instid1(VALU_DEP_1)
	v_lshlrev_b64 v[1:2], 4, v[2:3]
	v_add_co_u32 v6, vcc_lo, v4, v1
	s_delay_alu instid0(VALU_DEP_2)
	v_add_co_ci_u32_e32 v7, vcc_lo, v5, v2, vcc_lo
	v_cmp_ne_u32_e32 vcc_lo, v21, v0
	global_load_b128 v[1:4], v[6:7], off
	s_waitcnt vmcnt(0)
	v_add_f64 v[3:4], v[8:9], v[3:4]
	v_add_f64 v[1:2], v[10:11], v[1:2]
	s_delay_alu instid0(VALU_DEP_2)
	v_dual_cndmask_b32 v4, 0, v4 :: v_dual_cndmask_b32 v3, 0, v3
	global_store_b128 v[6:7], v[1:4], off
.LBB387_11:
	s_nop 0
	s_sendmsg sendmsg(MSG_DEALLOC_VGPRS)
	s_endpgm
	.section	.rodata,"a",@progbits
	.p2align	6, 0x0
	.amdhsa_kernel _ZL37rocblas_syrkx_herkx_restricted_kernelIi19rocblas_complex_numIdELi16ELi32ELi8ELi1ELi1ELb1ELc84ELc76EKS1_S1_EviT_PT9_S3_lS5_S3_lPT10_S3_li
		.amdhsa_group_segment_fixed_size 8192
		.amdhsa_private_segment_fixed_size 0
		.amdhsa_kernarg_size 84
		.amdhsa_user_sgpr_count 13
		.amdhsa_user_sgpr_dispatch_ptr 0
		.amdhsa_user_sgpr_queue_ptr 0
		.amdhsa_user_sgpr_kernarg_segment_ptr 1
		.amdhsa_user_sgpr_dispatch_id 0
		.amdhsa_user_sgpr_private_segment_size 0
		.amdhsa_wavefront_size32 1
		.amdhsa_uses_dynamic_stack 0
		.amdhsa_enable_private_segment 0
		.amdhsa_system_sgpr_workgroup_id_x 1
		.amdhsa_system_sgpr_workgroup_id_y 1
		.amdhsa_system_sgpr_workgroup_id_z 1
		.amdhsa_system_sgpr_workgroup_info 0
		.amdhsa_system_vgpr_workitem_id 1
		.amdhsa_next_free_vgpr 52
		.amdhsa_next_free_sgpr 20
		.amdhsa_reserve_vcc 1
		.amdhsa_float_round_mode_32 0
		.amdhsa_float_round_mode_16_64 0
		.amdhsa_float_denorm_mode_32 3
		.amdhsa_float_denorm_mode_16_64 3
		.amdhsa_dx10_clamp 1
		.amdhsa_ieee_mode 1
		.amdhsa_fp16_overflow 0
		.amdhsa_workgroup_processor_mode 1
		.amdhsa_memory_ordered 1
		.amdhsa_forward_progress 0
		.amdhsa_shared_vgpr_count 0
		.amdhsa_exception_fp_ieee_invalid_op 0
		.amdhsa_exception_fp_denorm_src 0
		.amdhsa_exception_fp_ieee_div_zero 0
		.amdhsa_exception_fp_ieee_overflow 0
		.amdhsa_exception_fp_ieee_underflow 0
		.amdhsa_exception_fp_ieee_inexact 0
		.amdhsa_exception_int_div_zero 0
	.end_amdhsa_kernel
	.section	.text._ZL37rocblas_syrkx_herkx_restricted_kernelIi19rocblas_complex_numIdELi16ELi32ELi8ELi1ELi1ELb1ELc84ELc76EKS1_S1_EviT_PT9_S3_lS5_S3_lPT10_S3_li,"axG",@progbits,_ZL37rocblas_syrkx_herkx_restricted_kernelIi19rocblas_complex_numIdELi16ELi32ELi8ELi1ELi1ELb1ELc84ELc76EKS1_S1_EviT_PT9_S3_lS5_S3_lPT10_S3_li,comdat
.Lfunc_end387:
	.size	_ZL37rocblas_syrkx_herkx_restricted_kernelIi19rocblas_complex_numIdELi16ELi32ELi8ELi1ELi1ELb1ELc84ELc76EKS1_S1_EviT_PT9_S3_lS5_S3_lPT10_S3_li, .Lfunc_end387-_ZL37rocblas_syrkx_herkx_restricted_kernelIi19rocblas_complex_numIdELi16ELi32ELi8ELi1ELi1ELb1ELc84ELc76EKS1_S1_EviT_PT9_S3_lS5_S3_lPT10_S3_li
                                        ; -- End function
	.section	.AMDGPU.csdata,"",@progbits
; Kernel info:
; codeLenInByte = 3372
; NumSgprs: 22
; NumVgprs: 52
; ScratchSize: 0
; MemoryBound: 0
; FloatMode: 240
; IeeeMode: 1
; LDSByteSize: 8192 bytes/workgroup (compile time only)
; SGPRBlocks: 2
; VGPRBlocks: 6
; NumSGPRsForWavesPerEU: 22
; NumVGPRsForWavesPerEU: 52
; Occupancy: 16
; WaveLimiterHint : 0
; COMPUTE_PGM_RSRC2:SCRATCH_EN: 0
; COMPUTE_PGM_RSRC2:USER_SGPR: 13
; COMPUTE_PGM_RSRC2:TRAP_HANDLER: 0
; COMPUTE_PGM_RSRC2:TGID_X_EN: 1
; COMPUTE_PGM_RSRC2:TGID_Y_EN: 1
; COMPUTE_PGM_RSRC2:TGID_Z_EN: 1
; COMPUTE_PGM_RSRC2:TIDIG_COMP_CNT: 1
	.section	.text._ZL37rocblas_syrkx_herkx_restricted_kernelIi19rocblas_complex_numIdELi16ELi32ELi8ELi1ELi1ELb1ELc67ELc76EKS1_S1_EviT_PT9_S3_lS5_S3_lPT10_S3_li,"axG",@progbits,_ZL37rocblas_syrkx_herkx_restricted_kernelIi19rocblas_complex_numIdELi16ELi32ELi8ELi1ELi1ELb1ELc67ELc76EKS1_S1_EviT_PT9_S3_lS5_S3_lPT10_S3_li,comdat
	.globl	_ZL37rocblas_syrkx_herkx_restricted_kernelIi19rocblas_complex_numIdELi16ELi32ELi8ELi1ELi1ELb1ELc67ELc76EKS1_S1_EviT_PT9_S3_lS5_S3_lPT10_S3_li ; -- Begin function _ZL37rocblas_syrkx_herkx_restricted_kernelIi19rocblas_complex_numIdELi16ELi32ELi8ELi1ELi1ELb1ELc67ELc76EKS1_S1_EviT_PT9_S3_lS5_S3_lPT10_S3_li
	.p2align	8
	.type	_ZL37rocblas_syrkx_herkx_restricted_kernelIi19rocblas_complex_numIdELi16ELi32ELi8ELi1ELi1ELb1ELc67ELc76EKS1_S1_EviT_PT9_S3_lS5_S3_lPT10_S3_li,@function
_ZL37rocblas_syrkx_herkx_restricted_kernelIi19rocblas_complex_numIdELi16ELi32ELi8ELi1ELi1ELb1ELc67ELc76EKS1_S1_EviT_PT9_S3_lS5_S3_lPT10_S3_li: ; @_ZL37rocblas_syrkx_herkx_restricted_kernelIi19rocblas_complex_numIdELi16ELi32ELi8ELi1ELi1ELb1ELc67ELc76EKS1_S1_EviT_PT9_S3_lS5_S3_lPT10_S3_li
; %bb.0:
	s_clause 0x1
	s_load_b64 s[2:3], s[0:1], 0x0
	s_load_b128 s[4:7], s[0:1], 0x30
	v_mov_b32_e32 v16, 0
	v_dual_mov_b32 v17, 0 :: v_dual_and_b32 v20, 0x3ff, v0
	v_bfe_u32 v21, v0, 10, 10
	s_delay_alu instid0(VALU_DEP_3) | instskip(NEXT) | instid1(VALU_DEP_3)
	v_mov_b32_e32 v4, v16
	v_dual_mov_b32 v6, v16 :: v_dual_mov_b32 v7, v17
	v_dual_mov_b32 v19, v17 :: v_dual_mov_b32 v18, v16
	;; [unrolled: 1-line block ×6, first 2 shown]
	v_mov_b32_e32 v9, v17
	s_lshl_b32 s12, s13, 5
	s_lshl_b32 s13, s14, 5
	s_waitcnt lgkmcnt(0)
	s_cmp_lt_i32 s3, 1
	s_mov_b32 s14, 0
	s_cbranch_scc1 .LBB388_3
; %bb.1:
	s_clause 0x3
	s_load_b32 s18, s[0:1], 0x10
	s_load_b128 s[8:11], s[0:1], 0x18
	s_load_b64 s[16:17], s[0:1], 0x8
	s_load_b32 s19, s[0:1], 0x28
	v_lshl_add_u32 v2, v21, 4, v20
	v_dual_mov_b32 v1, 0 :: v_dual_and_b32 v0, 7, v20
	v_lshlrev_b32_e32 v22, 4, v20
	s_mul_i32 s5, s5, s15
	s_delay_alu instid0(VALU_DEP_3)
	v_lshrrev_b32_e32 v4, 3, v2
	v_and_b32_e32 v5, 31, v2
	v_lshlrev_b32_e32 v3, 4, v0
	v_lshrrev_b32_e32 v2, 5, v2
	v_lshl_add_u32 v25, v21, 7, 0x1000
	v_add_nc_u32_e32 v9, s13, v4
	v_add_nc_u32_e32 v8, s12, v5
	v_lshl_or_b32 v7, v4, 7, v3
	v_dual_mov_b32 v3, v1 :: v_dual_lshlrev_b32 v6, 4, v5
	s_waitcnt lgkmcnt(0)
	s_delay_alu instid0(VALU_DEP_1) | instskip(NEXT) | instid1(VALU_DEP_2)
	v_mad_i64_i32 v[4:5], null, s18, v8, v[2:3]
	v_lshl_or_b32 v23, v2, 9, v6
	s_mul_i32 s9, s9, s15
	s_mul_hi_u32 s18, s8, s15
	v_mad_i64_i32 v[2:3], null, s19, v9, v[0:1]
	s_mul_i32 s8, s8, s15
	s_add_i32 s9, s18, s9
	s_delay_alu instid0(VALU_DEP_3)
	v_lshlrev_b64 v[0:1], 4, v[4:5]
	s_lshl_b64 s[8:9], s[8:9], 4
	v_mov_b32_e32 v8, 0
	v_mov_b32_e32 v9, 0
	s_add_u32 s8, s16, s8
	s_mul_hi_u32 s16, s4, s15
	s_addc_u32 s9, s17, s9
	s_add_i32 s5, s16, s5
	s_mul_i32 s4, s4, s15
	v_lshlrev_b64 v[2:3], 4, v[2:3]
	s_lshl_b64 s[4:5], s[4:5], 4
	v_add_co_u32 v0, vcc_lo, s8, v0
	s_add_u32 s4, s10, s4
	v_add_co_ci_u32_e32 v1, vcc_lo, s9, v1, vcc_lo
	s_addc_u32 s5, s11, s5
	v_add_co_u32 v2, vcc_lo, s4, v2
	v_add_co_ci_u32_e32 v3, vcc_lo, s5, v3, vcc_lo
	v_add_co_u32 v0, vcc_lo, v0, 8
	v_add_co_ci_u32_e32 v1, vcc_lo, 0, v1, vcc_lo
	s_delay_alu instid0(VALU_DEP_4)
	v_add_co_u32 v2, vcc_lo, v2, 8
	v_dual_mov_b32 v11, v9 :: v_dual_add_nc_u32 v24, 0x1000, v7
	v_add_co_ci_u32_e32 v3, vcc_lo, 0, v3, vcc_lo
	v_dual_mov_b32 v10, v8 :: v_dual_mov_b32 v15, v9
	v_dual_mov_b32 v14, v8 :: v_dual_mov_b32 v13, v9
	v_mov_b32_e32 v12, v8
	v_dual_mov_b32 v6, v8 :: v_dual_mov_b32 v7, v9
	v_dual_mov_b32 v4, v8 :: v_dual_mov_b32 v5, v9
	;; [unrolled: 1-line block ×4, first 2 shown]
.LBB388_2:                              ; =>This Inner Loop Header: Depth=1
	global_load_b128 v[26:29], v[0:1], off offset:-8
	v_add_co_u32 v0, vcc_lo, 0x80, v0
	v_add_co_ci_u32_e32 v1, vcc_lo, 0, v1, vcc_lo
	s_add_i32 s14, s14, 8
	s_delay_alu instid0(SALU_CYCLE_1)
	s_cmp_ge_i32 s14, s3
	s_waitcnt vmcnt(0)
	v_xor_b32_e32 v29, 0x80000000, v29
	ds_store_b128 v23, v[26:29]
	global_load_b128 v[26:29], v[2:3], off offset:-8
	v_add_co_u32 v2, vcc_lo, 0x80, v2
	v_add_co_ci_u32_e32 v3, vcc_lo, 0, v3, vcc_lo
	s_waitcnt vmcnt(0)
	ds_store_b128 v24, v[26:29]
	s_waitcnt lgkmcnt(0)
	s_barrier
	buffer_gl0_inv
	ds_load_b128 v[26:29], v25
	ds_load_b128 v[30:33], v25 offset:16
	ds_load_b128 v[34:37], v25 offset:32
	ds_load_b128 v[38:41], v25 offset:48
	ds_load_b128 v[42:45], v22
	s_waitcnt lgkmcnt(0)
	v_mul_f64 v[46:47], v[28:29], v[44:45]
	v_mul_f64 v[48:49], v[26:27], v[44:45]
	s_delay_alu instid0(VALU_DEP_2) | instskip(NEXT) | instid1(VALU_DEP_2)
	v_fma_f64 v[46:47], v[26:27], v[42:43], -v[46:47]
	v_fma_f64 v[48:49], v[28:29], v[42:43], v[48:49]
	s_delay_alu instid0(VALU_DEP_2) | instskip(NEXT) | instid1(VALU_DEP_2)
	v_add_f64 v[46:47], v[16:17], v[46:47]
	v_add_f64 v[48:49], v[18:19], v[48:49]
	ds_load_b128 v[16:19], v22 offset:256
	s_waitcnt lgkmcnt(0)
	v_mul_f64 v[50:51], v[28:29], v[18:19]
	s_delay_alu instid0(VALU_DEP_1) | instskip(SKIP_1) | instid1(VALU_DEP_1)
	v_fma_f64 v[50:51], v[26:27], v[16:17], -v[50:51]
	v_mul_f64 v[26:27], v[26:27], v[18:19]
	v_fma_f64 v[26:27], v[28:29], v[16:17], v[26:27]
	s_delay_alu instid0(VALU_DEP_3) | instskip(NEXT) | instid1(VALU_DEP_2)
	v_add_f64 v[28:29], v[4:5], v[50:51]
	v_add_f64 v[26:27], v[6:7], v[26:27]
	ds_load_b128 v[4:7], v25 offset:2048
	s_waitcnt lgkmcnt(0)
	v_mul_f64 v[50:51], v[6:7], v[44:45]
	v_mul_f64 v[44:45], v[4:5], v[44:45]
	s_delay_alu instid0(VALU_DEP_2) | instskip(NEXT) | instid1(VALU_DEP_2)
	v_fma_f64 v[50:51], v[4:5], v[42:43], -v[50:51]
	v_fma_f64 v[42:43], v[6:7], v[42:43], v[44:45]
	s_delay_alu instid0(VALU_DEP_2) | instskip(SKIP_1) | instid1(VALU_DEP_3)
	v_add_f64 v[44:45], v[12:13], v[50:51]
	v_mul_f64 v[12:13], v[6:7], v[18:19]
	v_add_f64 v[42:43], v[14:15], v[42:43]
	s_delay_alu instid0(VALU_DEP_2) | instskip(SKIP_1) | instid1(VALU_DEP_1)
	v_fma_f64 v[12:13], v[4:5], v[16:17], -v[12:13]
	v_mul_f64 v[4:5], v[4:5], v[18:19]
	v_fma_f64 v[4:5], v[6:7], v[16:17], v[4:5]
	s_delay_alu instid0(VALU_DEP_3) | instskip(NEXT) | instid1(VALU_DEP_2)
	v_add_f64 v[16:17], v[10:11], v[12:13]
	v_add_f64 v[18:19], v[8:9], v[4:5]
	ds_load_b128 v[4:7], v22 offset:512
	s_waitcnt lgkmcnt(0)
	v_mul_f64 v[8:9], v[32:33], v[6:7]
	v_mul_f64 v[10:11], v[30:31], v[6:7]
	s_delay_alu instid0(VALU_DEP_2) | instskip(NEXT) | instid1(VALU_DEP_2)
	v_fma_f64 v[8:9], v[30:31], v[4:5], -v[8:9]
	v_fma_f64 v[10:11], v[32:33], v[4:5], v[10:11]
	s_delay_alu instid0(VALU_DEP_2) | instskip(NEXT) | instid1(VALU_DEP_2)
	v_add_f64 v[46:47], v[46:47], v[8:9]
	v_add_f64 v[48:49], v[48:49], v[10:11]
	ds_load_b128 v[8:11], v22 offset:768
	s_waitcnt lgkmcnt(0)
	v_mul_f64 v[12:13], v[32:33], v[10:11]
	v_mul_f64 v[14:15], v[30:31], v[10:11]
	s_delay_alu instid0(VALU_DEP_2) | instskip(NEXT) | instid1(VALU_DEP_2)
	v_fma_f64 v[12:13], v[30:31], v[8:9], -v[12:13]
	v_fma_f64 v[14:15], v[32:33], v[8:9], v[14:15]
	s_delay_alu instid0(VALU_DEP_2) | instskip(NEXT) | instid1(VALU_DEP_2)
	v_add_f64 v[28:29], v[28:29], v[12:13]
	v_add_f64 v[26:27], v[26:27], v[14:15]
	ds_load_b128 v[12:15], v25 offset:2064
	s_waitcnt lgkmcnt(0)
	v_mul_f64 v[30:31], v[14:15], v[6:7]
	v_mul_f64 v[6:7], v[12:13], v[6:7]
	s_delay_alu instid0(VALU_DEP_2) | instskip(NEXT) | instid1(VALU_DEP_2)
	v_fma_f64 v[30:31], v[12:13], v[4:5], -v[30:31]
	v_fma_f64 v[4:5], v[14:15], v[4:5], v[6:7]
	v_mul_f64 v[6:7], v[12:13], v[10:11]
	s_delay_alu instid0(VALU_DEP_3) | instskip(NEXT) | instid1(VALU_DEP_3)
	v_add_f64 v[30:31], v[44:45], v[30:31]
	v_add_f64 v[32:33], v[42:43], v[4:5]
	v_mul_f64 v[4:5], v[14:15], v[10:11]
	s_delay_alu instid0(VALU_DEP_4) | instskip(NEXT) | instid1(VALU_DEP_2)
	v_fma_f64 v[6:7], v[14:15], v[8:9], v[6:7]
	v_fma_f64 v[4:5], v[12:13], v[8:9], -v[4:5]
	s_delay_alu instid0(VALU_DEP_2) | instskip(NEXT) | instid1(VALU_DEP_2)
	v_add_f64 v[18:19], v[18:19], v[6:7]
	v_add_f64 v[16:17], v[16:17], v[4:5]
	ds_load_b128 v[4:7], v22 offset:1024
	s_waitcnt lgkmcnt(0)
	v_mul_f64 v[8:9], v[36:37], v[6:7]
	v_mul_f64 v[10:11], v[34:35], v[6:7]
	s_delay_alu instid0(VALU_DEP_2) | instskip(NEXT) | instid1(VALU_DEP_2)
	v_fma_f64 v[8:9], v[34:35], v[4:5], -v[8:9]
	v_fma_f64 v[10:11], v[36:37], v[4:5], v[10:11]
	s_delay_alu instid0(VALU_DEP_2) | instskip(NEXT) | instid1(VALU_DEP_2)
	v_add_f64 v[42:43], v[46:47], v[8:9]
	v_add_f64 v[44:45], v[48:49], v[10:11]
	ds_load_b128 v[8:11], v22 offset:1280
	s_waitcnt lgkmcnt(0)
	v_mul_f64 v[12:13], v[36:37], v[10:11]
	v_mul_f64 v[14:15], v[34:35], v[10:11]
	s_delay_alu instid0(VALU_DEP_2) | instskip(NEXT) | instid1(VALU_DEP_2)
	v_fma_f64 v[12:13], v[34:35], v[8:9], -v[12:13]
	v_fma_f64 v[14:15], v[36:37], v[8:9], v[14:15]
	s_delay_alu instid0(VALU_DEP_2) | instskip(NEXT) | instid1(VALU_DEP_2)
	v_add_f64 v[28:29], v[28:29], v[12:13]
	v_add_f64 v[26:27], v[26:27], v[14:15]
	ds_load_b128 v[12:15], v25 offset:2080
	s_waitcnt lgkmcnt(0)
	v_mul_f64 v[34:35], v[14:15], v[6:7]
	v_mul_f64 v[6:7], v[12:13], v[6:7]
	s_delay_alu instid0(VALU_DEP_2) | instskip(NEXT) | instid1(VALU_DEP_2)
	v_fma_f64 v[34:35], v[12:13], v[4:5], -v[34:35]
	v_fma_f64 v[4:5], v[14:15], v[4:5], v[6:7]
	v_mul_f64 v[6:7], v[12:13], v[10:11]
	s_delay_alu instid0(VALU_DEP_3) | instskip(NEXT) | instid1(VALU_DEP_3)
	v_add_f64 v[30:31], v[30:31], v[34:35]
	v_add_f64 v[32:33], v[32:33], v[4:5]
	v_mul_f64 v[4:5], v[14:15], v[10:11]
	s_delay_alu instid0(VALU_DEP_4) | instskip(NEXT) | instid1(VALU_DEP_2)
	v_fma_f64 v[6:7], v[14:15], v[8:9], v[6:7]
	v_fma_f64 v[4:5], v[12:13], v[8:9], -v[4:5]
	s_delay_alu instid0(VALU_DEP_2) | instskip(NEXT) | instid1(VALU_DEP_2)
	;; [unrolled: 38-line block ×3, first 2 shown]
	v_add_f64 v[18:19], v[18:19], v[6:7]
	v_add_f64 v[16:17], v[16:17], v[4:5]
	ds_load_b128 v[4:7], v25 offset:64
	ds_load_b128 v[8:11], v22 offset:2048
	s_waitcnt lgkmcnt(0)
	v_mul_f64 v[12:13], v[6:7], v[10:11]
	v_mul_f64 v[14:15], v[4:5], v[10:11]
	s_delay_alu instid0(VALU_DEP_2) | instskip(NEXT) | instid1(VALU_DEP_2)
	v_fma_f64 v[12:13], v[4:5], v[8:9], -v[12:13]
	v_fma_f64 v[14:15], v[6:7], v[8:9], v[14:15]
	s_delay_alu instid0(VALU_DEP_2) | instskip(NEXT) | instid1(VALU_DEP_2)
	v_add_f64 v[34:35], v[34:35], v[12:13]
	v_add_f64 v[36:37], v[36:37], v[14:15]
	ds_load_b128 v[12:15], v22 offset:2304
	s_waitcnt lgkmcnt(0)
	v_mul_f64 v[38:39], v[6:7], v[14:15]
	s_delay_alu instid0(VALU_DEP_1) | instskip(SKIP_1) | instid1(VALU_DEP_2)
	v_fma_f64 v[38:39], v[4:5], v[12:13], -v[38:39]
	v_mul_f64 v[4:5], v[4:5], v[14:15]
	v_add_f64 v[28:29], v[28:29], v[38:39]
	s_delay_alu instid0(VALU_DEP_2) | instskip(NEXT) | instid1(VALU_DEP_1)
	v_fma_f64 v[4:5], v[6:7], v[12:13], v[4:5]
	v_add_f64 v[26:27], v[26:27], v[4:5]
	ds_load_b128 v[4:7], v25 offset:2112
	s_waitcnt lgkmcnt(0)
	v_mul_f64 v[38:39], v[6:7], v[10:11]
	v_mul_f64 v[10:11], v[4:5], v[10:11]
	s_delay_alu instid0(VALU_DEP_2) | instskip(NEXT) | instid1(VALU_DEP_2)
	v_fma_f64 v[38:39], v[4:5], v[8:9], -v[38:39]
	v_fma_f64 v[8:9], v[6:7], v[8:9], v[10:11]
	s_delay_alu instid0(VALU_DEP_2) | instskip(NEXT) | instid1(VALU_DEP_2)
	v_add_f64 v[30:31], v[30:31], v[38:39]
	v_add_f64 v[32:33], v[32:33], v[8:9]
	v_mul_f64 v[8:9], v[6:7], v[14:15]
	s_delay_alu instid0(VALU_DEP_1) | instskip(SKIP_1) | instid1(VALU_DEP_2)
	v_fma_f64 v[8:9], v[4:5], v[12:13], -v[8:9]
	v_mul_f64 v[4:5], v[4:5], v[14:15]
	v_add_f64 v[16:17], v[16:17], v[8:9]
	s_delay_alu instid0(VALU_DEP_2) | instskip(NEXT) | instid1(VALU_DEP_1)
	v_fma_f64 v[4:5], v[6:7], v[12:13], v[4:5]
	v_add_f64 v[18:19], v[18:19], v[4:5]
	ds_load_b128 v[4:7], v25 offset:80
	ds_load_b128 v[8:11], v22 offset:2560
	s_waitcnt lgkmcnt(0)
	v_mul_f64 v[12:13], v[6:7], v[10:11]
	v_mul_f64 v[14:15], v[4:5], v[10:11]
	s_delay_alu instid0(VALU_DEP_2) | instskip(NEXT) | instid1(VALU_DEP_2)
	v_fma_f64 v[12:13], v[4:5], v[8:9], -v[12:13]
	v_fma_f64 v[14:15], v[6:7], v[8:9], v[14:15]
	s_delay_alu instid0(VALU_DEP_2) | instskip(NEXT) | instid1(VALU_DEP_2)
	v_add_f64 v[34:35], v[34:35], v[12:13]
	v_add_f64 v[36:37], v[36:37], v[14:15]
	ds_load_b128 v[12:15], v22 offset:2816
	s_waitcnt lgkmcnt(0)
	v_mul_f64 v[38:39], v[6:7], v[14:15]
	s_delay_alu instid0(VALU_DEP_1) | instskip(SKIP_1) | instid1(VALU_DEP_2)
	v_fma_f64 v[38:39], v[4:5], v[12:13], -v[38:39]
	v_mul_f64 v[4:5], v[4:5], v[14:15]
	v_add_f64 v[28:29], v[28:29], v[38:39]
	s_delay_alu instid0(VALU_DEP_2) | instskip(NEXT) | instid1(VALU_DEP_1)
	v_fma_f64 v[4:5], v[6:7], v[12:13], v[4:5]
	v_add_f64 v[26:27], v[26:27], v[4:5]
	ds_load_b128 v[4:7], v25 offset:2128
	s_waitcnt lgkmcnt(0)
	v_mul_f64 v[38:39], v[6:7], v[10:11]
	v_mul_f64 v[10:11], v[4:5], v[10:11]
	s_delay_alu instid0(VALU_DEP_2) | instskip(NEXT) | instid1(VALU_DEP_2)
	v_fma_f64 v[38:39], v[4:5], v[8:9], -v[38:39]
	v_fma_f64 v[8:9], v[6:7], v[8:9], v[10:11]
	s_delay_alu instid0(VALU_DEP_2) | instskip(NEXT) | instid1(VALU_DEP_2)
	v_add_f64 v[30:31], v[30:31], v[38:39]
	v_add_f64 v[32:33], v[32:33], v[8:9]
	v_mul_f64 v[8:9], v[6:7], v[14:15]
	s_delay_alu instid0(VALU_DEP_1) | instskip(SKIP_1) | instid1(VALU_DEP_2)
	v_fma_f64 v[8:9], v[4:5], v[12:13], -v[8:9]
	v_mul_f64 v[4:5], v[4:5], v[14:15]
	v_add_f64 v[16:17], v[16:17], v[8:9]
	s_delay_alu instid0(VALU_DEP_2) | instskip(NEXT) | instid1(VALU_DEP_1)
	v_fma_f64 v[4:5], v[6:7], v[12:13], v[4:5]
	;; [unrolled: 39-line block ×3, first 2 shown]
	v_add_f64 v[48:49], v[18:19], v[4:5]
	ds_load_b128 v[4:7], v25 offset:112
	ds_load_b128 v[8:11], v22 offset:3584
	;; [unrolled: 1-line block ×4, first 2 shown]
	s_waitcnt lgkmcnt(0)
	s_barrier
	buffer_gl0_inv
	v_mul_f64 v[12:13], v[6:7], v[10:11]
	v_mul_f64 v[14:15], v[4:5], v[10:11]
	s_delay_alu instid0(VALU_DEP_2) | instskip(NEXT) | instid1(VALU_DEP_2)
	v_fma_f64 v[12:13], v[4:5], v[8:9], -v[12:13]
	v_fma_f64 v[14:15], v[6:7], v[8:9], v[14:15]
	s_delay_alu instid0(VALU_DEP_2) | instskip(SKIP_1) | instid1(VALU_DEP_3)
	v_add_f64 v[16:17], v[34:35], v[12:13]
	v_mul_f64 v[12:13], v[6:7], v[28:29]
	v_add_f64 v[18:19], v[36:37], v[14:15]
	s_delay_alu instid0(VALU_DEP_2) | instskip(SKIP_1) | instid1(VALU_DEP_1)
	v_fma_f64 v[12:13], v[4:5], v[26:27], -v[12:13]
	v_mul_f64 v[4:5], v[4:5], v[28:29]
	v_fma_f64 v[6:7], v[6:7], v[26:27], v[4:5]
	s_delay_alu instid0(VALU_DEP_3) | instskip(SKIP_2) | instid1(VALU_DEP_4)
	v_add_f64 v[4:5], v[38:39], v[12:13]
	v_mul_f64 v[12:13], v[32:33], v[10:11]
	v_mul_f64 v[10:11], v[30:31], v[10:11]
	v_add_f64 v[6:7], v[40:41], v[6:7]
	s_delay_alu instid0(VALU_DEP_3) | instskip(NEXT) | instid1(VALU_DEP_3)
	v_fma_f64 v[12:13], v[30:31], v[8:9], -v[12:13]
	v_fma_f64 v[8:9], v[32:33], v[8:9], v[10:11]
	v_mul_f64 v[10:11], v[30:31], v[28:29]
	s_delay_alu instid0(VALU_DEP_3) | instskip(NEXT) | instid1(VALU_DEP_3)
	v_add_f64 v[12:13], v[42:43], v[12:13]
	v_add_f64 v[14:15], v[44:45], v[8:9]
	v_mul_f64 v[8:9], v[32:33], v[28:29]
	s_delay_alu instid0(VALU_DEP_1) | instskip(SKIP_1) | instid1(VALU_DEP_2)
	v_fma_f64 v[8:9], v[30:31], v[26:27], -v[8:9]
	v_fma_f64 v[26:27], v[32:33], v[26:27], v[10:11]
	v_add_f64 v[10:11], v[46:47], v[8:9]
	s_delay_alu instid0(VALU_DEP_2)
	v_add_f64 v[8:9], v[48:49], v[26:27]
	s_cbranch_scc0 .LBB388_2
.LBB388_3:
	s_clause 0x1
	s_load_b32 s3, s[0:1], 0x40
	s_load_b64 s[4:5], s[0:1], 0x48
	v_add_nc_u32_e32 v21, s13, v21
	v_add_nc_u32_e32 v0, s12, v20
	s_delay_alu instid0(VALU_DEP_1)
	v_cmp_le_i32_e64 s0, v21, v0
	v_cmp_gt_i32_e32 vcc_lo, s2, v0
	s_waitcnt lgkmcnt(0)
	v_mad_i64_i32 v[1:2], null, v21, s3, 0
	s_mul_i32 s1, s15, s5
	s_mul_hi_u32 s5, s15, s4
	s_mul_i32 s4, s15, s4
	s_add_i32 s5, s5, s1
	s_delay_alu instid0(SALU_CYCLE_1) | instskip(NEXT) | instid1(VALU_DEP_1)
	s_lshl_b64 s[4:5], s[4:5], 4
	v_lshlrev_b64 v[1:2], 4, v[1:2]
	s_add_u32 s4, s6, s4
	s_addc_u32 s5, s7, s5
	s_and_b32 s0, s0, vcc_lo
	s_delay_alu instid0(VALU_DEP_1) | instskip(NEXT) | instid1(VALU_DEP_1)
	v_add_co_u32 v20, s1, s4, v1
	v_add_co_ci_u32_e64 v22, s1, s5, v2, s1
	s_and_saveexec_b32 s1, s0
	s_cbranch_execz .LBB388_5
; %bb.4:
	v_ashrrev_i32_e32 v1, 31, v0
	s_delay_alu instid0(VALU_DEP_1) | instskip(NEXT) | instid1(VALU_DEP_1)
	v_lshlrev_b64 v[1:2], 4, v[0:1]
	v_add_co_u32 v1, s0, v20, v1
	s_delay_alu instid0(VALU_DEP_1)
	v_add_co_ci_u32_e64 v2, s0, v22, v2, s0
	v_cmp_ne_u32_e64 s0, v21, v0
	global_load_b128 v[23:26], v[1:2], off
	s_waitcnt vmcnt(0)
	v_add_f64 v[18:19], v[18:19], v[25:26]
	v_add_f64 v[16:17], v[16:17], v[23:24]
	s_delay_alu instid0(VALU_DEP_2) | instskip(NEXT) | instid1(VALU_DEP_3)
	v_cndmask_b32_e64 v19, 0, v19, s0
	v_cndmask_b32_e64 v18, 0, v18, s0
	global_store_b128 v[1:2], v[16:19], off
.LBB388_5:
	s_or_b32 exec_lo, exec_lo, s1
	v_add_nc_u32_e32 v2, 16, v0
	s_delay_alu instid0(VALU_DEP_1) | instskip(SKIP_1) | instid1(VALU_DEP_1)
	v_cmp_le_i32_e64 s1, v21, v2
	v_cmp_gt_i32_e64 s0, s2, v2
	s_and_b32 s1, s1, s0
	s_delay_alu instid0(SALU_CYCLE_1)
	s_and_saveexec_b32 s2, s1
	s_cbranch_execz .LBB388_7
; %bb.6:
	v_ashrrev_i32_e32 v3, 31, v2
	s_delay_alu instid0(VALU_DEP_1) | instskip(NEXT) | instid1(VALU_DEP_1)
	v_lshlrev_b64 v[16:17], 4, v[2:3]
	v_add_co_u32 v23, s1, v20, v16
	s_delay_alu instid0(VALU_DEP_1)
	v_add_co_ci_u32_e64 v24, s1, v22, v17, s1
	v_cmp_ne_u32_e64 s1, v21, v2
	global_load_b128 v[16:19], v[23:24], off
	s_waitcnt vmcnt(0)
	v_add_f64 v[18:19], v[6:7], v[18:19]
	v_add_f64 v[3:4], v[4:5], v[16:17]
	s_delay_alu instid0(VALU_DEP_2) | instskip(NEXT) | instid1(VALU_DEP_3)
	v_cndmask_b32_e64 v6, 0, v19, s1
	v_cndmask_b32_e64 v5, 0, v18, s1
	global_store_b128 v[23:24], v[3:6], off
.LBB388_7:
	s_or_b32 exec_lo, exec_lo, s2
	v_add_nc_u32_e32 v3, 16, v21
	s_delay_alu instid0(VALU_DEP_1) | instskip(SKIP_1) | instid1(VALU_DEP_2)
	v_mad_i64_i32 v[4:5], null, v3, s3, 0
	v_cmp_le_i32_e64 s1, v3, v0
	v_lshlrev_b64 v[4:5], 4, v[4:5]
	s_delay_alu instid0(VALU_DEP_1) | instskip(NEXT) | instid1(VALU_DEP_1)
	v_add_co_u32 v4, s2, s4, v4
	v_add_co_ci_u32_e64 v5, s2, s5, v5, s2
	s_delay_alu instid0(VALU_DEP_4) | instskip(NEXT) | instid1(SALU_CYCLE_1)
	s_and_b32 s2, s1, vcc_lo
	s_and_saveexec_b32 s1, s2
	s_cbranch_execz .LBB388_9
; %bb.8:
	v_ashrrev_i32_e32 v1, 31, v0
	s_delay_alu instid0(VALU_DEP_1) | instskip(NEXT) | instid1(VALU_DEP_1)
	v_lshlrev_b64 v[6:7], 4, v[0:1]
	v_add_co_u32 v6, vcc_lo, v4, v6
	s_delay_alu instid0(VALU_DEP_2)
	v_add_co_ci_u32_e32 v7, vcc_lo, v5, v7, vcc_lo
	v_cmp_ne_u32_e32 vcc_lo, v3, v0
	global_load_b128 v[16:19], v[6:7], off
	s_waitcnt vmcnt(0)
	v_add_f64 v[14:15], v[14:15], v[18:19]
	v_add_f64 v[12:13], v[12:13], v[16:17]
	s_delay_alu instid0(VALU_DEP_2)
	v_dual_cndmask_b32 v15, 0, v15 :: v_dual_cndmask_b32 v14, 0, v14
	global_store_b128 v[6:7], v[12:15], off
.LBB388_9:
	s_or_b32 exec_lo, exec_lo, s1
	v_cmp_le_i32_e32 vcc_lo, v3, v2
	s_and_b32 s0, vcc_lo, s0
	s_delay_alu instid0(SALU_CYCLE_1)
	s_and_saveexec_b32 s1, s0
	s_cbranch_execz .LBB388_11
; %bb.10:
	v_ashrrev_i32_e32 v3, 31, v2
	s_delay_alu instid0(VALU_DEP_1) | instskip(NEXT) | instid1(VALU_DEP_1)
	v_lshlrev_b64 v[1:2], 4, v[2:3]
	v_add_co_u32 v6, vcc_lo, v4, v1
	s_delay_alu instid0(VALU_DEP_2)
	v_add_co_ci_u32_e32 v7, vcc_lo, v5, v2, vcc_lo
	v_cmp_ne_u32_e32 vcc_lo, v21, v0
	global_load_b128 v[1:4], v[6:7], off
	s_waitcnt vmcnt(0)
	v_add_f64 v[3:4], v[8:9], v[3:4]
	v_add_f64 v[1:2], v[10:11], v[1:2]
	s_delay_alu instid0(VALU_DEP_2)
	v_dual_cndmask_b32 v4, 0, v4 :: v_dual_cndmask_b32 v3, 0, v3
	global_store_b128 v[6:7], v[1:4], off
.LBB388_11:
	s_nop 0
	s_sendmsg sendmsg(MSG_DEALLOC_VGPRS)
	s_endpgm
	.section	.rodata,"a",@progbits
	.p2align	6, 0x0
	.amdhsa_kernel _ZL37rocblas_syrkx_herkx_restricted_kernelIi19rocblas_complex_numIdELi16ELi32ELi8ELi1ELi1ELb1ELc67ELc76EKS1_S1_EviT_PT9_S3_lS5_S3_lPT10_S3_li
		.amdhsa_group_segment_fixed_size 8192
		.amdhsa_private_segment_fixed_size 0
		.amdhsa_kernarg_size 84
		.amdhsa_user_sgpr_count 13
		.amdhsa_user_sgpr_dispatch_ptr 0
		.amdhsa_user_sgpr_queue_ptr 0
		.amdhsa_user_sgpr_kernarg_segment_ptr 1
		.amdhsa_user_sgpr_dispatch_id 0
		.amdhsa_user_sgpr_private_segment_size 0
		.amdhsa_wavefront_size32 1
		.amdhsa_uses_dynamic_stack 0
		.amdhsa_enable_private_segment 0
		.amdhsa_system_sgpr_workgroup_id_x 1
		.amdhsa_system_sgpr_workgroup_id_y 1
		.amdhsa_system_sgpr_workgroup_id_z 1
		.amdhsa_system_sgpr_workgroup_info 0
		.amdhsa_system_vgpr_workitem_id 1
		.amdhsa_next_free_vgpr 52
		.amdhsa_next_free_sgpr 20
		.amdhsa_reserve_vcc 1
		.amdhsa_float_round_mode_32 0
		.amdhsa_float_round_mode_16_64 0
		.amdhsa_float_denorm_mode_32 3
		.amdhsa_float_denorm_mode_16_64 3
		.amdhsa_dx10_clamp 1
		.amdhsa_ieee_mode 1
		.amdhsa_fp16_overflow 0
		.amdhsa_workgroup_processor_mode 1
		.amdhsa_memory_ordered 1
		.amdhsa_forward_progress 0
		.amdhsa_shared_vgpr_count 0
		.amdhsa_exception_fp_ieee_invalid_op 0
		.amdhsa_exception_fp_denorm_src 0
		.amdhsa_exception_fp_ieee_div_zero 0
		.amdhsa_exception_fp_ieee_overflow 0
		.amdhsa_exception_fp_ieee_underflow 0
		.amdhsa_exception_fp_ieee_inexact 0
		.amdhsa_exception_int_div_zero 0
	.end_amdhsa_kernel
	.section	.text._ZL37rocblas_syrkx_herkx_restricted_kernelIi19rocblas_complex_numIdELi16ELi32ELi8ELi1ELi1ELb1ELc67ELc76EKS1_S1_EviT_PT9_S3_lS5_S3_lPT10_S3_li,"axG",@progbits,_ZL37rocblas_syrkx_herkx_restricted_kernelIi19rocblas_complex_numIdELi16ELi32ELi8ELi1ELi1ELb1ELc67ELc76EKS1_S1_EviT_PT9_S3_lS5_S3_lPT10_S3_li,comdat
.Lfunc_end388:
	.size	_ZL37rocblas_syrkx_herkx_restricted_kernelIi19rocblas_complex_numIdELi16ELi32ELi8ELi1ELi1ELb1ELc67ELc76EKS1_S1_EviT_PT9_S3_lS5_S3_lPT10_S3_li, .Lfunc_end388-_ZL37rocblas_syrkx_herkx_restricted_kernelIi19rocblas_complex_numIdELi16ELi32ELi8ELi1ELi1ELb1ELc67ELc76EKS1_S1_EviT_PT9_S3_lS5_S3_lPT10_S3_li
                                        ; -- End function
	.section	.AMDGPU.csdata,"",@progbits
; Kernel info:
; codeLenInByte = 3380
; NumSgprs: 22
; NumVgprs: 52
; ScratchSize: 0
; MemoryBound: 0
; FloatMode: 240
; IeeeMode: 1
; LDSByteSize: 8192 bytes/workgroup (compile time only)
; SGPRBlocks: 2
; VGPRBlocks: 6
; NumSGPRsForWavesPerEU: 22
; NumVGPRsForWavesPerEU: 52
; Occupancy: 16
; WaveLimiterHint : 0
; COMPUTE_PGM_RSRC2:SCRATCH_EN: 0
; COMPUTE_PGM_RSRC2:USER_SGPR: 13
; COMPUTE_PGM_RSRC2:TRAP_HANDLER: 0
; COMPUTE_PGM_RSRC2:TGID_X_EN: 1
; COMPUTE_PGM_RSRC2:TGID_Y_EN: 1
; COMPUTE_PGM_RSRC2:TGID_Z_EN: 1
; COMPUTE_PGM_RSRC2:TIDIG_COMP_CNT: 1
	.section	.text._ZL37rocblas_syrkx_herkx_restricted_kernelIi19rocblas_complex_numIdELi16ELi32ELi8ELi1ELi1ELb1ELc78ELc76EKS1_S1_EviT_PT9_S3_lS5_S3_lPT10_S3_li,"axG",@progbits,_ZL37rocblas_syrkx_herkx_restricted_kernelIi19rocblas_complex_numIdELi16ELi32ELi8ELi1ELi1ELb1ELc78ELc76EKS1_S1_EviT_PT9_S3_lS5_S3_lPT10_S3_li,comdat
	.globl	_ZL37rocblas_syrkx_herkx_restricted_kernelIi19rocblas_complex_numIdELi16ELi32ELi8ELi1ELi1ELb1ELc78ELc76EKS1_S1_EviT_PT9_S3_lS5_S3_lPT10_S3_li ; -- Begin function _ZL37rocblas_syrkx_herkx_restricted_kernelIi19rocblas_complex_numIdELi16ELi32ELi8ELi1ELi1ELb1ELc78ELc76EKS1_S1_EviT_PT9_S3_lS5_S3_lPT10_S3_li
	.p2align	8
	.type	_ZL37rocblas_syrkx_herkx_restricted_kernelIi19rocblas_complex_numIdELi16ELi32ELi8ELi1ELi1ELb1ELc78ELc76EKS1_S1_EviT_PT9_S3_lS5_S3_lPT10_S3_li,@function
_ZL37rocblas_syrkx_herkx_restricted_kernelIi19rocblas_complex_numIdELi16ELi32ELi8ELi1ELi1ELb1ELc78ELc76EKS1_S1_EviT_PT9_S3_lS5_S3_lPT10_S3_li: ; @_ZL37rocblas_syrkx_herkx_restricted_kernelIi19rocblas_complex_numIdELi16ELi32ELi8ELi1ELi1ELb1ELc78ELc76EKS1_S1_EviT_PT9_S3_lS5_S3_lPT10_S3_li
; %bb.0:
	s_clause 0x1
	s_load_b64 s[2:3], s[0:1], 0x0
	s_load_b128 s[4:7], s[0:1], 0x30
	v_mov_b32_e32 v16, 0
	v_dual_mov_b32 v17, 0 :: v_dual_and_b32 v20, 0x3ff, v0
	v_bfe_u32 v21, v0, 10, 10
	s_delay_alu instid0(VALU_DEP_3) | instskip(NEXT) | instid1(VALU_DEP_3)
	v_mov_b32_e32 v4, v16
	v_dual_mov_b32 v6, v16 :: v_dual_mov_b32 v7, v17
	v_dual_mov_b32 v19, v17 :: v_dual_mov_b32 v18, v16
	;; [unrolled: 1-line block ×6, first 2 shown]
	v_mov_b32_e32 v9, v17
	s_lshl_b32 s12, s13, 5
	s_lshl_b32 s13, s14, 5
	s_waitcnt lgkmcnt(0)
	s_cmp_lt_i32 s3, 1
	s_mov_b32 s14, 0
	s_cbranch_scc1 .LBB389_3
; %bb.1:
	v_lshl_add_u32 v0, v21, 4, v20
	v_and_b32_e32 v6, 7, v20
	s_clause 0x3
	s_load_b32 s16, s[0:1], 0x10
	s_load_b32 s18, s[0:1], 0x28
	s_load_b128 s[8:11], s[0:1], 0x18
	s_load_b64 s[20:21], s[0:1], 0x8
	v_lshrrev_b32_e32 v1, 3, v0
	v_lshlrev_b32_e32 v3, 4, v6
	v_lshrrev_b32_e32 v7, 5, v0
	s_mul_i32 s5, s5, s15
	v_lshl_add_u32 v25, v21, 7, 0x1000
	s_delay_alu instid0(VALU_DEP_3) | instskip(NEXT) | instid1(VALU_DEP_1)
	v_lshl_or_b32 v8, v1, 7, v3
	v_dual_mov_b32 v8, 0 :: v_dual_add_nc_u32 v23, 0x1000, v8
	v_dual_mov_b32 v9, 0 :: v_dual_and_b32 v2, 31, v0
	v_add_nc_u32_e32 v0, s13, v1
	s_waitcnt lgkmcnt(0)
	s_ashr_i32 s17, s16, 31
	s_ashr_i32 s19, s18, 31
	v_mov_b32_e32 v15, v9
	v_dual_mov_b32 v11, v9 :: v_dual_lshlrev_b32 v4, 4, v2
	v_dual_mov_b32 v13, v9 :: v_dual_add_nc_u32 v2, s12, v2
	v_ashrrev_i32_e32 v1, 31, v0
	s_mul_i32 s9, s9, s15
	s_delay_alu instid0(VALU_DEP_3)
	v_lshl_or_b32 v22, v7, 9, v4
	s_mul_hi_u32 s22, s8, s15
	v_ashrrev_i32_e32 v3, 31, v2
	v_mad_i64_i32 v[4:5], null, s18, v6, v[0:1]
	s_add_i32 s9, s22, s9
	s_mul_i32 s8, s8, s15
	s_delay_alu instid0(VALU_DEP_2)
	v_mad_i64_i32 v[0:1], null, s16, v7, v[2:3]
	s_lshl_b64 s[8:9], s[8:9], 4
	v_dual_mov_b32 v14, v8 :: v_dual_mov_b32 v19, v9
	s_add_u32 s8, s20, s8
	s_addc_u32 s9, s21, s9
	s_mul_hi_u32 s20, s4, s15
	s_delay_alu instid0(VALU_DEP_2) | instskip(SKIP_4) | instid1(VALU_DEP_3)
	v_lshlrev_b64 v[0:1], 4, v[0:1]
	s_add_i32 s5, s20, s5
	s_mul_i32 s4, s4, s15
	v_dual_mov_b32 v12, v8 :: v_dual_mov_b32 v17, v9
	v_mov_b32_e32 v6, v8
	v_add_co_u32 v2, vcc_lo, s8, v0
	v_add_co_ci_u32_e32 v3, vcc_lo, s9, v1, vcc_lo
	v_lshlrev_b64 v[0:1], 4, v[4:5]
	s_lshl_b64 s[8:9], s[4:5], 4
	s_lshl_b64 s[4:5], s[16:17], 7
	s_add_u32 s8, s10, s8
	s_addc_u32 s9, s11, s9
	v_lshlrev_b32_e32 v24, 4, v20
	v_add_co_u32 v4, vcc_lo, s8, v0
	v_add_co_ci_u32_e32 v5, vcc_lo, s9, v1, vcc_lo
	v_add_co_u32 v0, vcc_lo, v2, 8
	v_add_co_ci_u32_e32 v1, vcc_lo, 0, v3, vcc_lo
	s_delay_alu instid0(VALU_DEP_4) | instskip(NEXT) | instid1(VALU_DEP_4)
	v_add_co_u32 v2, vcc_lo, v4, 8
	v_add_co_ci_u32_e32 v3, vcc_lo, 0, v5, vcc_lo
	v_dual_mov_b32 v4, v8 :: v_dual_mov_b32 v5, v9
	v_dual_mov_b32 v10, v8 :: v_dual_mov_b32 v7, v9
	v_mov_b32_e32 v18, v8
	v_mov_b32_e32 v16, v8
	s_lshl_b64 s[8:9], s[18:19], 7
.LBB389_2:                              ; =>This Inner Loop Header: Depth=1
	global_load_b128 v[26:29], v[0:1], off offset:-8
	v_add_co_u32 v0, vcc_lo, v0, s4
	v_add_co_ci_u32_e32 v1, vcc_lo, s5, v1, vcc_lo
	s_add_i32 s14, s14, 8
	s_delay_alu instid0(SALU_CYCLE_1)
	s_cmp_ge_i32 s14, s3
	s_waitcnt vmcnt(0)
	ds_store_b128 v22, v[26:29]
	global_load_b128 v[26:29], v[2:3], off offset:-8
	v_add_co_u32 v2, vcc_lo, v2, s8
	v_add_co_ci_u32_e32 v3, vcc_lo, s9, v3, vcc_lo
	s_waitcnt vmcnt(0)
	v_xor_b32_e32 v29, 0x80000000, v29
	ds_store_b128 v23, v[26:29]
	s_waitcnt lgkmcnt(0)
	s_barrier
	buffer_gl0_inv
	ds_load_b128 v[26:29], v25
	ds_load_b128 v[30:33], v25 offset:16
	ds_load_b128 v[34:37], v25 offset:32
	;; [unrolled: 1-line block ×3, first 2 shown]
	ds_load_b128 v[42:45], v24
	s_waitcnt lgkmcnt(0)
	v_mul_f64 v[46:47], v[28:29], v[44:45]
	v_mul_f64 v[48:49], v[26:27], v[44:45]
	s_delay_alu instid0(VALU_DEP_2) | instskip(NEXT) | instid1(VALU_DEP_2)
	v_fma_f64 v[46:47], v[26:27], v[42:43], -v[46:47]
	v_fma_f64 v[48:49], v[28:29], v[42:43], v[48:49]
	s_delay_alu instid0(VALU_DEP_2) | instskip(NEXT) | instid1(VALU_DEP_2)
	v_add_f64 v[46:47], v[16:17], v[46:47]
	v_add_f64 v[48:49], v[18:19], v[48:49]
	ds_load_b128 v[16:19], v24 offset:256
	s_waitcnt lgkmcnt(0)
	v_mul_f64 v[50:51], v[28:29], v[18:19]
	s_delay_alu instid0(VALU_DEP_1) | instskip(SKIP_1) | instid1(VALU_DEP_1)
	v_fma_f64 v[50:51], v[26:27], v[16:17], -v[50:51]
	v_mul_f64 v[26:27], v[26:27], v[18:19]
	v_fma_f64 v[26:27], v[28:29], v[16:17], v[26:27]
	s_delay_alu instid0(VALU_DEP_3) | instskip(NEXT) | instid1(VALU_DEP_2)
	v_add_f64 v[28:29], v[4:5], v[50:51]
	v_add_f64 v[26:27], v[6:7], v[26:27]
	ds_load_b128 v[4:7], v25 offset:2048
	s_waitcnt lgkmcnt(0)
	v_mul_f64 v[50:51], v[6:7], v[44:45]
	v_mul_f64 v[44:45], v[4:5], v[44:45]
	s_delay_alu instid0(VALU_DEP_2) | instskip(NEXT) | instid1(VALU_DEP_2)
	v_fma_f64 v[50:51], v[4:5], v[42:43], -v[50:51]
	v_fma_f64 v[42:43], v[6:7], v[42:43], v[44:45]
	s_delay_alu instid0(VALU_DEP_2) | instskip(SKIP_1) | instid1(VALU_DEP_3)
	v_add_f64 v[44:45], v[12:13], v[50:51]
	v_mul_f64 v[12:13], v[6:7], v[18:19]
	v_add_f64 v[42:43], v[14:15], v[42:43]
	s_delay_alu instid0(VALU_DEP_2) | instskip(SKIP_1) | instid1(VALU_DEP_1)
	v_fma_f64 v[12:13], v[4:5], v[16:17], -v[12:13]
	v_mul_f64 v[4:5], v[4:5], v[18:19]
	v_fma_f64 v[4:5], v[6:7], v[16:17], v[4:5]
	s_delay_alu instid0(VALU_DEP_3) | instskip(NEXT) | instid1(VALU_DEP_2)
	v_add_f64 v[16:17], v[10:11], v[12:13]
	v_add_f64 v[18:19], v[8:9], v[4:5]
	ds_load_b128 v[4:7], v24 offset:512
	s_waitcnt lgkmcnt(0)
	v_mul_f64 v[8:9], v[32:33], v[6:7]
	v_mul_f64 v[10:11], v[30:31], v[6:7]
	s_delay_alu instid0(VALU_DEP_2) | instskip(NEXT) | instid1(VALU_DEP_2)
	v_fma_f64 v[8:9], v[30:31], v[4:5], -v[8:9]
	v_fma_f64 v[10:11], v[32:33], v[4:5], v[10:11]
	s_delay_alu instid0(VALU_DEP_2) | instskip(NEXT) | instid1(VALU_DEP_2)
	v_add_f64 v[46:47], v[46:47], v[8:9]
	v_add_f64 v[48:49], v[48:49], v[10:11]
	ds_load_b128 v[8:11], v24 offset:768
	s_waitcnt lgkmcnt(0)
	v_mul_f64 v[12:13], v[32:33], v[10:11]
	v_mul_f64 v[14:15], v[30:31], v[10:11]
	s_delay_alu instid0(VALU_DEP_2) | instskip(NEXT) | instid1(VALU_DEP_2)
	v_fma_f64 v[12:13], v[30:31], v[8:9], -v[12:13]
	v_fma_f64 v[14:15], v[32:33], v[8:9], v[14:15]
	s_delay_alu instid0(VALU_DEP_2) | instskip(NEXT) | instid1(VALU_DEP_2)
	v_add_f64 v[28:29], v[28:29], v[12:13]
	v_add_f64 v[26:27], v[26:27], v[14:15]
	ds_load_b128 v[12:15], v25 offset:2064
	s_waitcnt lgkmcnt(0)
	v_mul_f64 v[30:31], v[14:15], v[6:7]
	v_mul_f64 v[6:7], v[12:13], v[6:7]
	s_delay_alu instid0(VALU_DEP_2) | instskip(NEXT) | instid1(VALU_DEP_2)
	v_fma_f64 v[30:31], v[12:13], v[4:5], -v[30:31]
	v_fma_f64 v[4:5], v[14:15], v[4:5], v[6:7]
	v_mul_f64 v[6:7], v[12:13], v[10:11]
	s_delay_alu instid0(VALU_DEP_3) | instskip(NEXT) | instid1(VALU_DEP_3)
	v_add_f64 v[30:31], v[44:45], v[30:31]
	v_add_f64 v[32:33], v[42:43], v[4:5]
	v_mul_f64 v[4:5], v[14:15], v[10:11]
	s_delay_alu instid0(VALU_DEP_4) | instskip(NEXT) | instid1(VALU_DEP_2)
	v_fma_f64 v[6:7], v[14:15], v[8:9], v[6:7]
	v_fma_f64 v[4:5], v[12:13], v[8:9], -v[4:5]
	s_delay_alu instid0(VALU_DEP_2) | instskip(NEXT) | instid1(VALU_DEP_2)
	v_add_f64 v[18:19], v[18:19], v[6:7]
	v_add_f64 v[16:17], v[16:17], v[4:5]
	ds_load_b128 v[4:7], v24 offset:1024
	s_waitcnt lgkmcnt(0)
	v_mul_f64 v[8:9], v[36:37], v[6:7]
	v_mul_f64 v[10:11], v[34:35], v[6:7]
	s_delay_alu instid0(VALU_DEP_2) | instskip(NEXT) | instid1(VALU_DEP_2)
	v_fma_f64 v[8:9], v[34:35], v[4:5], -v[8:9]
	v_fma_f64 v[10:11], v[36:37], v[4:5], v[10:11]
	s_delay_alu instid0(VALU_DEP_2) | instskip(NEXT) | instid1(VALU_DEP_2)
	v_add_f64 v[42:43], v[46:47], v[8:9]
	v_add_f64 v[44:45], v[48:49], v[10:11]
	ds_load_b128 v[8:11], v24 offset:1280
	s_waitcnt lgkmcnt(0)
	v_mul_f64 v[12:13], v[36:37], v[10:11]
	v_mul_f64 v[14:15], v[34:35], v[10:11]
	s_delay_alu instid0(VALU_DEP_2) | instskip(NEXT) | instid1(VALU_DEP_2)
	v_fma_f64 v[12:13], v[34:35], v[8:9], -v[12:13]
	v_fma_f64 v[14:15], v[36:37], v[8:9], v[14:15]
	s_delay_alu instid0(VALU_DEP_2) | instskip(NEXT) | instid1(VALU_DEP_2)
	v_add_f64 v[28:29], v[28:29], v[12:13]
	v_add_f64 v[26:27], v[26:27], v[14:15]
	ds_load_b128 v[12:15], v25 offset:2080
	s_waitcnt lgkmcnt(0)
	v_mul_f64 v[34:35], v[14:15], v[6:7]
	v_mul_f64 v[6:7], v[12:13], v[6:7]
	s_delay_alu instid0(VALU_DEP_2) | instskip(NEXT) | instid1(VALU_DEP_2)
	v_fma_f64 v[34:35], v[12:13], v[4:5], -v[34:35]
	v_fma_f64 v[4:5], v[14:15], v[4:5], v[6:7]
	v_mul_f64 v[6:7], v[12:13], v[10:11]
	s_delay_alu instid0(VALU_DEP_3) | instskip(NEXT) | instid1(VALU_DEP_3)
	v_add_f64 v[30:31], v[30:31], v[34:35]
	v_add_f64 v[32:33], v[32:33], v[4:5]
	v_mul_f64 v[4:5], v[14:15], v[10:11]
	s_delay_alu instid0(VALU_DEP_4) | instskip(NEXT) | instid1(VALU_DEP_2)
	v_fma_f64 v[6:7], v[14:15], v[8:9], v[6:7]
	v_fma_f64 v[4:5], v[12:13], v[8:9], -v[4:5]
	s_delay_alu instid0(VALU_DEP_2) | instskip(NEXT) | instid1(VALU_DEP_2)
	;; [unrolled: 38-line block ×3, first 2 shown]
	v_add_f64 v[18:19], v[18:19], v[6:7]
	v_add_f64 v[16:17], v[16:17], v[4:5]
	ds_load_b128 v[4:7], v25 offset:64
	ds_load_b128 v[8:11], v24 offset:2048
	s_waitcnt lgkmcnt(0)
	v_mul_f64 v[12:13], v[6:7], v[10:11]
	v_mul_f64 v[14:15], v[4:5], v[10:11]
	s_delay_alu instid0(VALU_DEP_2) | instskip(NEXT) | instid1(VALU_DEP_2)
	v_fma_f64 v[12:13], v[4:5], v[8:9], -v[12:13]
	v_fma_f64 v[14:15], v[6:7], v[8:9], v[14:15]
	s_delay_alu instid0(VALU_DEP_2) | instskip(NEXT) | instid1(VALU_DEP_2)
	v_add_f64 v[34:35], v[34:35], v[12:13]
	v_add_f64 v[36:37], v[36:37], v[14:15]
	ds_load_b128 v[12:15], v24 offset:2304
	s_waitcnt lgkmcnt(0)
	v_mul_f64 v[38:39], v[6:7], v[14:15]
	s_delay_alu instid0(VALU_DEP_1) | instskip(SKIP_1) | instid1(VALU_DEP_2)
	v_fma_f64 v[38:39], v[4:5], v[12:13], -v[38:39]
	v_mul_f64 v[4:5], v[4:5], v[14:15]
	v_add_f64 v[28:29], v[28:29], v[38:39]
	s_delay_alu instid0(VALU_DEP_2) | instskip(NEXT) | instid1(VALU_DEP_1)
	v_fma_f64 v[4:5], v[6:7], v[12:13], v[4:5]
	v_add_f64 v[26:27], v[26:27], v[4:5]
	ds_load_b128 v[4:7], v25 offset:2112
	s_waitcnt lgkmcnt(0)
	v_mul_f64 v[38:39], v[6:7], v[10:11]
	v_mul_f64 v[10:11], v[4:5], v[10:11]
	s_delay_alu instid0(VALU_DEP_2) | instskip(NEXT) | instid1(VALU_DEP_2)
	v_fma_f64 v[38:39], v[4:5], v[8:9], -v[38:39]
	v_fma_f64 v[8:9], v[6:7], v[8:9], v[10:11]
	s_delay_alu instid0(VALU_DEP_2) | instskip(NEXT) | instid1(VALU_DEP_2)
	v_add_f64 v[30:31], v[30:31], v[38:39]
	v_add_f64 v[32:33], v[32:33], v[8:9]
	v_mul_f64 v[8:9], v[6:7], v[14:15]
	s_delay_alu instid0(VALU_DEP_1) | instskip(SKIP_1) | instid1(VALU_DEP_2)
	v_fma_f64 v[8:9], v[4:5], v[12:13], -v[8:9]
	v_mul_f64 v[4:5], v[4:5], v[14:15]
	v_add_f64 v[16:17], v[16:17], v[8:9]
	s_delay_alu instid0(VALU_DEP_2) | instskip(NEXT) | instid1(VALU_DEP_1)
	v_fma_f64 v[4:5], v[6:7], v[12:13], v[4:5]
	v_add_f64 v[18:19], v[18:19], v[4:5]
	ds_load_b128 v[4:7], v25 offset:80
	ds_load_b128 v[8:11], v24 offset:2560
	s_waitcnt lgkmcnt(0)
	v_mul_f64 v[12:13], v[6:7], v[10:11]
	v_mul_f64 v[14:15], v[4:5], v[10:11]
	s_delay_alu instid0(VALU_DEP_2) | instskip(NEXT) | instid1(VALU_DEP_2)
	v_fma_f64 v[12:13], v[4:5], v[8:9], -v[12:13]
	v_fma_f64 v[14:15], v[6:7], v[8:9], v[14:15]
	s_delay_alu instid0(VALU_DEP_2) | instskip(NEXT) | instid1(VALU_DEP_2)
	v_add_f64 v[34:35], v[34:35], v[12:13]
	v_add_f64 v[36:37], v[36:37], v[14:15]
	ds_load_b128 v[12:15], v24 offset:2816
	s_waitcnt lgkmcnt(0)
	v_mul_f64 v[38:39], v[6:7], v[14:15]
	s_delay_alu instid0(VALU_DEP_1) | instskip(SKIP_1) | instid1(VALU_DEP_2)
	v_fma_f64 v[38:39], v[4:5], v[12:13], -v[38:39]
	v_mul_f64 v[4:5], v[4:5], v[14:15]
	v_add_f64 v[28:29], v[28:29], v[38:39]
	s_delay_alu instid0(VALU_DEP_2) | instskip(NEXT) | instid1(VALU_DEP_1)
	v_fma_f64 v[4:5], v[6:7], v[12:13], v[4:5]
	v_add_f64 v[26:27], v[26:27], v[4:5]
	ds_load_b128 v[4:7], v25 offset:2128
	s_waitcnt lgkmcnt(0)
	v_mul_f64 v[38:39], v[6:7], v[10:11]
	v_mul_f64 v[10:11], v[4:5], v[10:11]
	s_delay_alu instid0(VALU_DEP_2) | instskip(NEXT) | instid1(VALU_DEP_2)
	v_fma_f64 v[38:39], v[4:5], v[8:9], -v[38:39]
	v_fma_f64 v[8:9], v[6:7], v[8:9], v[10:11]
	s_delay_alu instid0(VALU_DEP_2) | instskip(NEXT) | instid1(VALU_DEP_2)
	v_add_f64 v[30:31], v[30:31], v[38:39]
	v_add_f64 v[32:33], v[32:33], v[8:9]
	v_mul_f64 v[8:9], v[6:7], v[14:15]
	s_delay_alu instid0(VALU_DEP_1) | instskip(SKIP_1) | instid1(VALU_DEP_2)
	v_fma_f64 v[8:9], v[4:5], v[12:13], -v[8:9]
	v_mul_f64 v[4:5], v[4:5], v[14:15]
	v_add_f64 v[16:17], v[16:17], v[8:9]
	s_delay_alu instid0(VALU_DEP_2) | instskip(NEXT) | instid1(VALU_DEP_1)
	v_fma_f64 v[4:5], v[6:7], v[12:13], v[4:5]
	;; [unrolled: 39-line block ×3, first 2 shown]
	v_add_f64 v[48:49], v[18:19], v[4:5]
	ds_load_b128 v[4:7], v25 offset:112
	ds_load_b128 v[8:11], v24 offset:3584
	;; [unrolled: 1-line block ×4, first 2 shown]
	s_waitcnt lgkmcnt(0)
	s_barrier
	buffer_gl0_inv
	v_mul_f64 v[12:13], v[6:7], v[10:11]
	v_mul_f64 v[14:15], v[4:5], v[10:11]
	s_delay_alu instid0(VALU_DEP_2) | instskip(NEXT) | instid1(VALU_DEP_2)
	v_fma_f64 v[12:13], v[4:5], v[8:9], -v[12:13]
	v_fma_f64 v[14:15], v[6:7], v[8:9], v[14:15]
	s_delay_alu instid0(VALU_DEP_2) | instskip(SKIP_1) | instid1(VALU_DEP_3)
	v_add_f64 v[16:17], v[34:35], v[12:13]
	v_mul_f64 v[12:13], v[6:7], v[28:29]
	v_add_f64 v[18:19], v[36:37], v[14:15]
	s_delay_alu instid0(VALU_DEP_2) | instskip(SKIP_1) | instid1(VALU_DEP_1)
	v_fma_f64 v[12:13], v[4:5], v[26:27], -v[12:13]
	v_mul_f64 v[4:5], v[4:5], v[28:29]
	v_fma_f64 v[6:7], v[6:7], v[26:27], v[4:5]
	s_delay_alu instid0(VALU_DEP_3) | instskip(SKIP_2) | instid1(VALU_DEP_4)
	v_add_f64 v[4:5], v[38:39], v[12:13]
	v_mul_f64 v[12:13], v[32:33], v[10:11]
	v_mul_f64 v[10:11], v[30:31], v[10:11]
	v_add_f64 v[6:7], v[40:41], v[6:7]
	s_delay_alu instid0(VALU_DEP_3) | instskip(NEXT) | instid1(VALU_DEP_3)
	v_fma_f64 v[12:13], v[30:31], v[8:9], -v[12:13]
	v_fma_f64 v[8:9], v[32:33], v[8:9], v[10:11]
	v_mul_f64 v[10:11], v[30:31], v[28:29]
	s_delay_alu instid0(VALU_DEP_3) | instskip(NEXT) | instid1(VALU_DEP_3)
	v_add_f64 v[12:13], v[42:43], v[12:13]
	v_add_f64 v[14:15], v[44:45], v[8:9]
	v_mul_f64 v[8:9], v[32:33], v[28:29]
	s_delay_alu instid0(VALU_DEP_1) | instskip(SKIP_1) | instid1(VALU_DEP_2)
	v_fma_f64 v[8:9], v[30:31], v[26:27], -v[8:9]
	v_fma_f64 v[26:27], v[32:33], v[26:27], v[10:11]
	v_add_f64 v[10:11], v[46:47], v[8:9]
	s_delay_alu instid0(VALU_DEP_2)
	v_add_f64 v[8:9], v[48:49], v[26:27]
	s_cbranch_scc0 .LBB389_2
.LBB389_3:
	s_clause 0x1
	s_load_b32 s3, s[0:1], 0x40
	s_load_b64 s[4:5], s[0:1], 0x48
	v_add_nc_u32_e32 v21, s13, v21
	v_add_nc_u32_e32 v0, s12, v20
	s_delay_alu instid0(VALU_DEP_1)
	v_cmp_le_i32_e64 s0, v21, v0
	v_cmp_gt_i32_e32 vcc_lo, s2, v0
	s_waitcnt lgkmcnt(0)
	v_mad_i64_i32 v[1:2], null, v21, s3, 0
	s_mul_i32 s1, s15, s5
	s_mul_hi_u32 s5, s15, s4
	s_mul_i32 s4, s15, s4
	s_add_i32 s5, s5, s1
	s_delay_alu instid0(SALU_CYCLE_1) | instskip(NEXT) | instid1(VALU_DEP_1)
	s_lshl_b64 s[4:5], s[4:5], 4
	v_lshlrev_b64 v[1:2], 4, v[1:2]
	s_add_u32 s4, s6, s4
	s_addc_u32 s5, s7, s5
	s_and_b32 s0, s0, vcc_lo
	s_delay_alu instid0(VALU_DEP_1) | instskip(NEXT) | instid1(VALU_DEP_1)
	v_add_co_u32 v20, s1, s4, v1
	v_add_co_ci_u32_e64 v22, s1, s5, v2, s1
	s_and_saveexec_b32 s1, s0
	s_cbranch_execz .LBB389_5
; %bb.4:
	v_ashrrev_i32_e32 v1, 31, v0
	s_delay_alu instid0(VALU_DEP_1) | instskip(NEXT) | instid1(VALU_DEP_1)
	v_lshlrev_b64 v[1:2], 4, v[0:1]
	v_add_co_u32 v1, s0, v20, v1
	s_delay_alu instid0(VALU_DEP_1)
	v_add_co_ci_u32_e64 v2, s0, v22, v2, s0
	v_cmp_ne_u32_e64 s0, v21, v0
	global_load_b128 v[23:26], v[1:2], off
	s_waitcnt vmcnt(0)
	v_add_f64 v[18:19], v[18:19], v[25:26]
	v_add_f64 v[16:17], v[16:17], v[23:24]
	s_delay_alu instid0(VALU_DEP_2) | instskip(NEXT) | instid1(VALU_DEP_3)
	v_cndmask_b32_e64 v19, 0, v19, s0
	v_cndmask_b32_e64 v18, 0, v18, s0
	global_store_b128 v[1:2], v[16:19], off
.LBB389_5:
	s_or_b32 exec_lo, exec_lo, s1
	v_add_nc_u32_e32 v2, 16, v0
	s_delay_alu instid0(VALU_DEP_1) | instskip(SKIP_1) | instid1(VALU_DEP_1)
	v_cmp_le_i32_e64 s1, v21, v2
	v_cmp_gt_i32_e64 s0, s2, v2
	s_and_b32 s1, s1, s0
	s_delay_alu instid0(SALU_CYCLE_1)
	s_and_saveexec_b32 s2, s1
	s_cbranch_execz .LBB389_7
; %bb.6:
	v_ashrrev_i32_e32 v3, 31, v2
	s_delay_alu instid0(VALU_DEP_1) | instskip(NEXT) | instid1(VALU_DEP_1)
	v_lshlrev_b64 v[16:17], 4, v[2:3]
	v_add_co_u32 v23, s1, v20, v16
	s_delay_alu instid0(VALU_DEP_1)
	v_add_co_ci_u32_e64 v24, s1, v22, v17, s1
	v_cmp_ne_u32_e64 s1, v21, v2
	global_load_b128 v[16:19], v[23:24], off
	s_waitcnt vmcnt(0)
	v_add_f64 v[18:19], v[6:7], v[18:19]
	v_add_f64 v[3:4], v[4:5], v[16:17]
	s_delay_alu instid0(VALU_DEP_2) | instskip(NEXT) | instid1(VALU_DEP_3)
	v_cndmask_b32_e64 v6, 0, v19, s1
	v_cndmask_b32_e64 v5, 0, v18, s1
	global_store_b128 v[23:24], v[3:6], off
.LBB389_7:
	s_or_b32 exec_lo, exec_lo, s2
	v_add_nc_u32_e32 v3, 16, v21
	s_delay_alu instid0(VALU_DEP_1) | instskip(SKIP_1) | instid1(VALU_DEP_2)
	v_mad_i64_i32 v[4:5], null, v3, s3, 0
	v_cmp_le_i32_e64 s1, v3, v0
	v_lshlrev_b64 v[4:5], 4, v[4:5]
	s_delay_alu instid0(VALU_DEP_1) | instskip(NEXT) | instid1(VALU_DEP_1)
	v_add_co_u32 v4, s2, s4, v4
	v_add_co_ci_u32_e64 v5, s2, s5, v5, s2
	s_delay_alu instid0(VALU_DEP_4) | instskip(NEXT) | instid1(SALU_CYCLE_1)
	s_and_b32 s2, s1, vcc_lo
	s_and_saveexec_b32 s1, s2
	s_cbranch_execz .LBB389_9
; %bb.8:
	v_ashrrev_i32_e32 v1, 31, v0
	s_delay_alu instid0(VALU_DEP_1) | instskip(NEXT) | instid1(VALU_DEP_1)
	v_lshlrev_b64 v[6:7], 4, v[0:1]
	v_add_co_u32 v6, vcc_lo, v4, v6
	s_delay_alu instid0(VALU_DEP_2)
	v_add_co_ci_u32_e32 v7, vcc_lo, v5, v7, vcc_lo
	v_cmp_ne_u32_e32 vcc_lo, v3, v0
	global_load_b128 v[16:19], v[6:7], off
	s_waitcnt vmcnt(0)
	v_add_f64 v[14:15], v[14:15], v[18:19]
	v_add_f64 v[12:13], v[12:13], v[16:17]
	s_delay_alu instid0(VALU_DEP_2)
	v_dual_cndmask_b32 v15, 0, v15 :: v_dual_cndmask_b32 v14, 0, v14
	global_store_b128 v[6:7], v[12:15], off
.LBB389_9:
	s_or_b32 exec_lo, exec_lo, s1
	v_cmp_le_i32_e32 vcc_lo, v3, v2
	s_and_b32 s0, vcc_lo, s0
	s_delay_alu instid0(SALU_CYCLE_1)
	s_and_saveexec_b32 s1, s0
	s_cbranch_execz .LBB389_11
; %bb.10:
	v_ashrrev_i32_e32 v3, 31, v2
	s_delay_alu instid0(VALU_DEP_1) | instskip(NEXT) | instid1(VALU_DEP_1)
	v_lshlrev_b64 v[1:2], 4, v[2:3]
	v_add_co_u32 v6, vcc_lo, v4, v1
	s_delay_alu instid0(VALU_DEP_2)
	v_add_co_ci_u32_e32 v7, vcc_lo, v5, v2, vcc_lo
	v_cmp_ne_u32_e32 vcc_lo, v21, v0
	global_load_b128 v[1:4], v[6:7], off
	s_waitcnt vmcnt(0)
	v_add_f64 v[3:4], v[8:9], v[3:4]
	v_add_f64 v[1:2], v[10:11], v[1:2]
	s_delay_alu instid0(VALU_DEP_2)
	v_dual_cndmask_b32 v4, 0, v4 :: v_dual_cndmask_b32 v3, 0, v3
	global_store_b128 v[6:7], v[1:4], off
.LBB389_11:
	s_nop 0
	s_sendmsg sendmsg(MSG_DEALLOC_VGPRS)
	s_endpgm
	.section	.rodata,"a",@progbits
	.p2align	6, 0x0
	.amdhsa_kernel _ZL37rocblas_syrkx_herkx_restricted_kernelIi19rocblas_complex_numIdELi16ELi32ELi8ELi1ELi1ELb1ELc78ELc76EKS1_S1_EviT_PT9_S3_lS5_S3_lPT10_S3_li
		.amdhsa_group_segment_fixed_size 8192
		.amdhsa_private_segment_fixed_size 0
		.amdhsa_kernarg_size 84
		.amdhsa_user_sgpr_count 13
		.amdhsa_user_sgpr_dispatch_ptr 0
		.amdhsa_user_sgpr_queue_ptr 0
		.amdhsa_user_sgpr_kernarg_segment_ptr 1
		.amdhsa_user_sgpr_dispatch_id 0
		.amdhsa_user_sgpr_private_segment_size 0
		.amdhsa_wavefront_size32 1
		.amdhsa_uses_dynamic_stack 0
		.amdhsa_enable_private_segment 0
		.amdhsa_system_sgpr_workgroup_id_x 1
		.amdhsa_system_sgpr_workgroup_id_y 1
		.amdhsa_system_sgpr_workgroup_id_z 1
		.amdhsa_system_sgpr_workgroup_info 0
		.amdhsa_system_vgpr_workitem_id 1
		.amdhsa_next_free_vgpr 52
		.amdhsa_next_free_sgpr 23
		.amdhsa_reserve_vcc 1
		.amdhsa_float_round_mode_32 0
		.amdhsa_float_round_mode_16_64 0
		.amdhsa_float_denorm_mode_32 3
		.amdhsa_float_denorm_mode_16_64 3
		.amdhsa_dx10_clamp 1
		.amdhsa_ieee_mode 1
		.amdhsa_fp16_overflow 0
		.amdhsa_workgroup_processor_mode 1
		.amdhsa_memory_ordered 1
		.amdhsa_forward_progress 0
		.amdhsa_shared_vgpr_count 0
		.amdhsa_exception_fp_ieee_invalid_op 0
		.amdhsa_exception_fp_denorm_src 0
		.amdhsa_exception_fp_ieee_div_zero 0
		.amdhsa_exception_fp_ieee_overflow 0
		.amdhsa_exception_fp_ieee_underflow 0
		.amdhsa_exception_fp_ieee_inexact 0
		.amdhsa_exception_int_div_zero 0
	.end_amdhsa_kernel
	.section	.text._ZL37rocblas_syrkx_herkx_restricted_kernelIi19rocblas_complex_numIdELi16ELi32ELi8ELi1ELi1ELb1ELc78ELc76EKS1_S1_EviT_PT9_S3_lS5_S3_lPT10_S3_li,"axG",@progbits,_ZL37rocblas_syrkx_herkx_restricted_kernelIi19rocblas_complex_numIdELi16ELi32ELi8ELi1ELi1ELb1ELc78ELc76EKS1_S1_EviT_PT9_S3_lS5_S3_lPT10_S3_li,comdat
.Lfunc_end389:
	.size	_ZL37rocblas_syrkx_herkx_restricted_kernelIi19rocblas_complex_numIdELi16ELi32ELi8ELi1ELi1ELb1ELc78ELc76EKS1_S1_EviT_PT9_S3_lS5_S3_lPT10_S3_li, .Lfunc_end389-_ZL37rocblas_syrkx_herkx_restricted_kernelIi19rocblas_complex_numIdELi16ELi32ELi8ELi1ELi1ELb1ELc78ELc76EKS1_S1_EviT_PT9_S3_lS5_S3_lPT10_S3_li
                                        ; -- End function
	.section	.AMDGPU.csdata,"",@progbits
; Kernel info:
; codeLenInByte = 3392
; NumSgprs: 25
; NumVgprs: 52
; ScratchSize: 0
; MemoryBound: 0
; FloatMode: 240
; IeeeMode: 1
; LDSByteSize: 8192 bytes/workgroup (compile time only)
; SGPRBlocks: 3
; VGPRBlocks: 6
; NumSGPRsForWavesPerEU: 25
; NumVGPRsForWavesPerEU: 52
; Occupancy: 16
; WaveLimiterHint : 0
; COMPUTE_PGM_RSRC2:SCRATCH_EN: 0
; COMPUTE_PGM_RSRC2:USER_SGPR: 13
; COMPUTE_PGM_RSRC2:TRAP_HANDLER: 0
; COMPUTE_PGM_RSRC2:TGID_X_EN: 1
; COMPUTE_PGM_RSRC2:TGID_Y_EN: 1
; COMPUTE_PGM_RSRC2:TGID_Z_EN: 1
; COMPUTE_PGM_RSRC2:TIDIG_COMP_CNT: 1
	.section	.text._ZL37rocblas_syrkx_herkx_restricted_kernelIi19rocblas_complex_numIdELi16ELi32ELi8ELi1ELi1ELb1ELc84ELc85EKS1_S1_EviT_PT9_S3_lS5_S3_lPT10_S3_li,"axG",@progbits,_ZL37rocblas_syrkx_herkx_restricted_kernelIi19rocblas_complex_numIdELi16ELi32ELi8ELi1ELi1ELb1ELc84ELc85EKS1_S1_EviT_PT9_S3_lS5_S3_lPT10_S3_li,comdat
	.globl	_ZL37rocblas_syrkx_herkx_restricted_kernelIi19rocblas_complex_numIdELi16ELi32ELi8ELi1ELi1ELb1ELc84ELc85EKS1_S1_EviT_PT9_S3_lS5_S3_lPT10_S3_li ; -- Begin function _ZL37rocblas_syrkx_herkx_restricted_kernelIi19rocblas_complex_numIdELi16ELi32ELi8ELi1ELi1ELb1ELc84ELc85EKS1_S1_EviT_PT9_S3_lS5_S3_lPT10_S3_li
	.p2align	8
	.type	_ZL37rocblas_syrkx_herkx_restricted_kernelIi19rocblas_complex_numIdELi16ELi32ELi8ELi1ELi1ELb1ELc84ELc85EKS1_S1_EviT_PT9_S3_lS5_S3_lPT10_S3_li,@function
_ZL37rocblas_syrkx_herkx_restricted_kernelIi19rocblas_complex_numIdELi16ELi32ELi8ELi1ELi1ELb1ELc84ELc85EKS1_S1_EviT_PT9_S3_lS5_S3_lPT10_S3_li: ; @_ZL37rocblas_syrkx_herkx_restricted_kernelIi19rocblas_complex_numIdELi16ELi32ELi8ELi1ELi1ELb1ELc84ELc85EKS1_S1_EviT_PT9_S3_lS5_S3_lPT10_S3_li
; %bb.0:
	s_clause 0x1
	s_load_b64 s[2:3], s[0:1], 0x0
	s_load_b128 s[4:7], s[0:1], 0x30
	v_mov_b32_e32 v16, 0
	v_dual_mov_b32 v17, 0 :: v_dual_and_b32 v20, 0x3ff, v0
	v_bfe_u32 v21, v0, 10, 10
	s_delay_alu instid0(VALU_DEP_3) | instskip(NEXT) | instid1(VALU_DEP_3)
	v_mov_b32_e32 v4, v16
	v_dual_mov_b32 v6, v16 :: v_dual_mov_b32 v7, v17
	v_dual_mov_b32 v19, v17 :: v_dual_mov_b32 v18, v16
	;; [unrolled: 1-line block ×6, first 2 shown]
	v_mov_b32_e32 v9, v17
	s_lshl_b32 s12, s13, 5
	s_lshl_b32 s13, s14, 5
	s_waitcnt lgkmcnt(0)
	s_cmp_lt_i32 s3, 1
	s_mov_b32 s14, 0
	s_cbranch_scc1 .LBB390_3
; %bb.1:
	s_clause 0x3
	s_load_b32 s18, s[0:1], 0x10
	s_load_b128 s[8:11], s[0:1], 0x18
	s_load_b64 s[16:17], s[0:1], 0x8
	s_load_b32 s19, s[0:1], 0x28
	v_lshl_add_u32 v2, v21, 4, v20
	v_dual_mov_b32 v1, 0 :: v_dual_and_b32 v0, 7, v20
	v_lshlrev_b32_e32 v22, 4, v20
	s_mul_i32 s5, s5, s15
	s_delay_alu instid0(VALU_DEP_3)
	v_lshrrev_b32_e32 v4, 3, v2
	v_and_b32_e32 v5, 31, v2
	v_lshlrev_b32_e32 v3, 4, v0
	v_lshrrev_b32_e32 v2, 5, v2
	v_lshl_add_u32 v25, v21, 7, 0x1000
	v_add_nc_u32_e32 v9, s13, v4
	v_add_nc_u32_e32 v8, s12, v5
	v_lshl_or_b32 v7, v4, 7, v3
	v_dual_mov_b32 v3, v1 :: v_dual_lshlrev_b32 v6, 4, v5
	s_waitcnt lgkmcnt(0)
	s_delay_alu instid0(VALU_DEP_1) | instskip(NEXT) | instid1(VALU_DEP_2)
	v_mad_i64_i32 v[4:5], null, s18, v8, v[2:3]
	v_lshl_or_b32 v23, v2, 9, v6
	s_mul_i32 s9, s9, s15
	s_mul_hi_u32 s18, s8, s15
	v_mad_i64_i32 v[2:3], null, s19, v9, v[0:1]
	s_mul_i32 s8, s8, s15
	s_add_i32 s9, s18, s9
	s_delay_alu instid0(VALU_DEP_3)
	v_lshlrev_b64 v[0:1], 4, v[4:5]
	s_lshl_b64 s[8:9], s[8:9], 4
	v_mov_b32_e32 v8, 0
	v_mov_b32_e32 v9, 0
	s_add_u32 s8, s16, s8
	s_mul_hi_u32 s16, s4, s15
	s_addc_u32 s9, s17, s9
	s_add_i32 s5, s16, s5
	s_mul_i32 s4, s4, s15
	v_lshlrev_b64 v[2:3], 4, v[2:3]
	s_lshl_b64 s[4:5], s[4:5], 4
	v_add_co_u32 v0, vcc_lo, s8, v0
	s_add_u32 s4, s10, s4
	v_add_co_ci_u32_e32 v1, vcc_lo, s9, v1, vcc_lo
	s_addc_u32 s5, s11, s5
	v_add_co_u32 v2, vcc_lo, s4, v2
	v_add_co_ci_u32_e32 v3, vcc_lo, s5, v3, vcc_lo
	v_add_co_u32 v0, vcc_lo, v0, 8
	v_add_co_ci_u32_e32 v1, vcc_lo, 0, v1, vcc_lo
	s_delay_alu instid0(VALU_DEP_4)
	v_add_co_u32 v2, vcc_lo, v2, 8
	v_dual_mov_b32 v11, v9 :: v_dual_add_nc_u32 v24, 0x1000, v7
	v_add_co_ci_u32_e32 v3, vcc_lo, 0, v3, vcc_lo
	v_dual_mov_b32 v10, v8 :: v_dual_mov_b32 v15, v9
	v_dual_mov_b32 v14, v8 :: v_dual_mov_b32 v13, v9
	v_mov_b32_e32 v12, v8
	v_dual_mov_b32 v6, v8 :: v_dual_mov_b32 v7, v9
	v_dual_mov_b32 v4, v8 :: v_dual_mov_b32 v5, v9
	;; [unrolled: 1-line block ×4, first 2 shown]
.LBB390_2:                              ; =>This Inner Loop Header: Depth=1
	global_load_b128 v[26:29], v[0:1], off offset:-8
	v_add_co_u32 v0, vcc_lo, 0x80, v0
	v_add_co_ci_u32_e32 v1, vcc_lo, 0, v1, vcc_lo
	s_add_i32 s14, s14, 8
	s_delay_alu instid0(SALU_CYCLE_1)
	s_cmp_ge_i32 s14, s3
	s_waitcnt vmcnt(0)
	ds_store_b128 v23, v[26:29]
	global_load_b128 v[26:29], v[2:3], off offset:-8
	v_add_co_u32 v2, vcc_lo, 0x80, v2
	v_add_co_ci_u32_e32 v3, vcc_lo, 0, v3, vcc_lo
	s_waitcnt vmcnt(0)
	ds_store_b128 v24, v[26:29]
	s_waitcnt lgkmcnt(0)
	s_barrier
	buffer_gl0_inv
	ds_load_b128 v[26:29], v25
	ds_load_b128 v[30:33], v25 offset:16
	ds_load_b128 v[34:37], v25 offset:32
	ds_load_b128 v[38:41], v25 offset:48
	ds_load_b128 v[42:45], v22
	s_waitcnt lgkmcnt(0)
	v_mul_f64 v[46:47], v[28:29], v[44:45]
	v_mul_f64 v[48:49], v[26:27], v[44:45]
	s_delay_alu instid0(VALU_DEP_2) | instskip(NEXT) | instid1(VALU_DEP_2)
	v_fma_f64 v[46:47], v[26:27], v[42:43], -v[46:47]
	v_fma_f64 v[48:49], v[28:29], v[42:43], v[48:49]
	s_delay_alu instid0(VALU_DEP_2) | instskip(NEXT) | instid1(VALU_DEP_2)
	v_add_f64 v[46:47], v[16:17], v[46:47]
	v_add_f64 v[48:49], v[18:19], v[48:49]
	ds_load_b128 v[16:19], v22 offset:256
	s_waitcnt lgkmcnt(0)
	v_mul_f64 v[50:51], v[28:29], v[18:19]
	s_delay_alu instid0(VALU_DEP_1) | instskip(SKIP_1) | instid1(VALU_DEP_1)
	v_fma_f64 v[50:51], v[26:27], v[16:17], -v[50:51]
	v_mul_f64 v[26:27], v[26:27], v[18:19]
	v_fma_f64 v[26:27], v[28:29], v[16:17], v[26:27]
	s_delay_alu instid0(VALU_DEP_3) | instskip(NEXT) | instid1(VALU_DEP_2)
	v_add_f64 v[28:29], v[4:5], v[50:51]
	v_add_f64 v[26:27], v[6:7], v[26:27]
	ds_load_b128 v[4:7], v25 offset:2048
	s_waitcnt lgkmcnt(0)
	v_mul_f64 v[50:51], v[6:7], v[44:45]
	v_mul_f64 v[44:45], v[4:5], v[44:45]
	s_delay_alu instid0(VALU_DEP_2) | instskip(NEXT) | instid1(VALU_DEP_2)
	v_fma_f64 v[50:51], v[4:5], v[42:43], -v[50:51]
	v_fma_f64 v[42:43], v[6:7], v[42:43], v[44:45]
	s_delay_alu instid0(VALU_DEP_2) | instskip(SKIP_1) | instid1(VALU_DEP_3)
	v_add_f64 v[44:45], v[12:13], v[50:51]
	v_mul_f64 v[12:13], v[6:7], v[18:19]
	v_add_f64 v[42:43], v[14:15], v[42:43]
	s_delay_alu instid0(VALU_DEP_2) | instskip(SKIP_1) | instid1(VALU_DEP_1)
	v_fma_f64 v[12:13], v[4:5], v[16:17], -v[12:13]
	v_mul_f64 v[4:5], v[4:5], v[18:19]
	v_fma_f64 v[4:5], v[6:7], v[16:17], v[4:5]
	s_delay_alu instid0(VALU_DEP_3) | instskip(NEXT) | instid1(VALU_DEP_2)
	v_add_f64 v[16:17], v[10:11], v[12:13]
	v_add_f64 v[18:19], v[8:9], v[4:5]
	ds_load_b128 v[4:7], v22 offset:512
	s_waitcnt lgkmcnt(0)
	v_mul_f64 v[8:9], v[32:33], v[6:7]
	v_mul_f64 v[10:11], v[30:31], v[6:7]
	s_delay_alu instid0(VALU_DEP_2) | instskip(NEXT) | instid1(VALU_DEP_2)
	v_fma_f64 v[8:9], v[30:31], v[4:5], -v[8:9]
	v_fma_f64 v[10:11], v[32:33], v[4:5], v[10:11]
	s_delay_alu instid0(VALU_DEP_2) | instskip(NEXT) | instid1(VALU_DEP_2)
	v_add_f64 v[46:47], v[46:47], v[8:9]
	v_add_f64 v[48:49], v[48:49], v[10:11]
	ds_load_b128 v[8:11], v22 offset:768
	s_waitcnt lgkmcnt(0)
	v_mul_f64 v[12:13], v[32:33], v[10:11]
	v_mul_f64 v[14:15], v[30:31], v[10:11]
	s_delay_alu instid0(VALU_DEP_2) | instskip(NEXT) | instid1(VALU_DEP_2)
	v_fma_f64 v[12:13], v[30:31], v[8:9], -v[12:13]
	v_fma_f64 v[14:15], v[32:33], v[8:9], v[14:15]
	s_delay_alu instid0(VALU_DEP_2) | instskip(NEXT) | instid1(VALU_DEP_2)
	v_add_f64 v[28:29], v[28:29], v[12:13]
	v_add_f64 v[26:27], v[26:27], v[14:15]
	ds_load_b128 v[12:15], v25 offset:2064
	s_waitcnt lgkmcnt(0)
	v_mul_f64 v[30:31], v[14:15], v[6:7]
	v_mul_f64 v[6:7], v[12:13], v[6:7]
	s_delay_alu instid0(VALU_DEP_2) | instskip(NEXT) | instid1(VALU_DEP_2)
	v_fma_f64 v[30:31], v[12:13], v[4:5], -v[30:31]
	v_fma_f64 v[4:5], v[14:15], v[4:5], v[6:7]
	v_mul_f64 v[6:7], v[12:13], v[10:11]
	s_delay_alu instid0(VALU_DEP_3) | instskip(NEXT) | instid1(VALU_DEP_3)
	v_add_f64 v[30:31], v[44:45], v[30:31]
	v_add_f64 v[32:33], v[42:43], v[4:5]
	v_mul_f64 v[4:5], v[14:15], v[10:11]
	s_delay_alu instid0(VALU_DEP_4) | instskip(NEXT) | instid1(VALU_DEP_2)
	v_fma_f64 v[6:7], v[14:15], v[8:9], v[6:7]
	v_fma_f64 v[4:5], v[12:13], v[8:9], -v[4:5]
	s_delay_alu instid0(VALU_DEP_2) | instskip(NEXT) | instid1(VALU_DEP_2)
	v_add_f64 v[18:19], v[18:19], v[6:7]
	v_add_f64 v[16:17], v[16:17], v[4:5]
	ds_load_b128 v[4:7], v22 offset:1024
	s_waitcnt lgkmcnt(0)
	v_mul_f64 v[8:9], v[36:37], v[6:7]
	v_mul_f64 v[10:11], v[34:35], v[6:7]
	s_delay_alu instid0(VALU_DEP_2) | instskip(NEXT) | instid1(VALU_DEP_2)
	v_fma_f64 v[8:9], v[34:35], v[4:5], -v[8:9]
	v_fma_f64 v[10:11], v[36:37], v[4:5], v[10:11]
	s_delay_alu instid0(VALU_DEP_2) | instskip(NEXT) | instid1(VALU_DEP_2)
	v_add_f64 v[42:43], v[46:47], v[8:9]
	v_add_f64 v[44:45], v[48:49], v[10:11]
	ds_load_b128 v[8:11], v22 offset:1280
	s_waitcnt lgkmcnt(0)
	v_mul_f64 v[12:13], v[36:37], v[10:11]
	v_mul_f64 v[14:15], v[34:35], v[10:11]
	s_delay_alu instid0(VALU_DEP_2) | instskip(NEXT) | instid1(VALU_DEP_2)
	v_fma_f64 v[12:13], v[34:35], v[8:9], -v[12:13]
	v_fma_f64 v[14:15], v[36:37], v[8:9], v[14:15]
	s_delay_alu instid0(VALU_DEP_2) | instskip(NEXT) | instid1(VALU_DEP_2)
	v_add_f64 v[28:29], v[28:29], v[12:13]
	v_add_f64 v[26:27], v[26:27], v[14:15]
	ds_load_b128 v[12:15], v25 offset:2080
	s_waitcnt lgkmcnt(0)
	v_mul_f64 v[34:35], v[14:15], v[6:7]
	v_mul_f64 v[6:7], v[12:13], v[6:7]
	s_delay_alu instid0(VALU_DEP_2) | instskip(NEXT) | instid1(VALU_DEP_2)
	v_fma_f64 v[34:35], v[12:13], v[4:5], -v[34:35]
	v_fma_f64 v[4:5], v[14:15], v[4:5], v[6:7]
	v_mul_f64 v[6:7], v[12:13], v[10:11]
	s_delay_alu instid0(VALU_DEP_3) | instskip(NEXT) | instid1(VALU_DEP_3)
	v_add_f64 v[30:31], v[30:31], v[34:35]
	v_add_f64 v[32:33], v[32:33], v[4:5]
	v_mul_f64 v[4:5], v[14:15], v[10:11]
	s_delay_alu instid0(VALU_DEP_4) | instskip(NEXT) | instid1(VALU_DEP_2)
	v_fma_f64 v[6:7], v[14:15], v[8:9], v[6:7]
	v_fma_f64 v[4:5], v[12:13], v[8:9], -v[4:5]
	s_delay_alu instid0(VALU_DEP_2) | instskip(NEXT) | instid1(VALU_DEP_2)
	;; [unrolled: 38-line block ×3, first 2 shown]
	v_add_f64 v[18:19], v[18:19], v[6:7]
	v_add_f64 v[16:17], v[16:17], v[4:5]
	ds_load_b128 v[4:7], v25 offset:64
	ds_load_b128 v[8:11], v22 offset:2048
	s_waitcnt lgkmcnt(0)
	v_mul_f64 v[12:13], v[6:7], v[10:11]
	v_mul_f64 v[14:15], v[4:5], v[10:11]
	s_delay_alu instid0(VALU_DEP_2) | instskip(NEXT) | instid1(VALU_DEP_2)
	v_fma_f64 v[12:13], v[4:5], v[8:9], -v[12:13]
	v_fma_f64 v[14:15], v[6:7], v[8:9], v[14:15]
	s_delay_alu instid0(VALU_DEP_2) | instskip(NEXT) | instid1(VALU_DEP_2)
	v_add_f64 v[34:35], v[34:35], v[12:13]
	v_add_f64 v[36:37], v[36:37], v[14:15]
	ds_load_b128 v[12:15], v22 offset:2304
	s_waitcnt lgkmcnt(0)
	v_mul_f64 v[38:39], v[6:7], v[14:15]
	s_delay_alu instid0(VALU_DEP_1) | instskip(SKIP_1) | instid1(VALU_DEP_2)
	v_fma_f64 v[38:39], v[4:5], v[12:13], -v[38:39]
	v_mul_f64 v[4:5], v[4:5], v[14:15]
	v_add_f64 v[28:29], v[28:29], v[38:39]
	s_delay_alu instid0(VALU_DEP_2) | instskip(NEXT) | instid1(VALU_DEP_1)
	v_fma_f64 v[4:5], v[6:7], v[12:13], v[4:5]
	v_add_f64 v[26:27], v[26:27], v[4:5]
	ds_load_b128 v[4:7], v25 offset:2112
	s_waitcnt lgkmcnt(0)
	v_mul_f64 v[38:39], v[6:7], v[10:11]
	v_mul_f64 v[10:11], v[4:5], v[10:11]
	s_delay_alu instid0(VALU_DEP_2) | instskip(NEXT) | instid1(VALU_DEP_2)
	v_fma_f64 v[38:39], v[4:5], v[8:9], -v[38:39]
	v_fma_f64 v[8:9], v[6:7], v[8:9], v[10:11]
	s_delay_alu instid0(VALU_DEP_2) | instskip(NEXT) | instid1(VALU_DEP_2)
	v_add_f64 v[30:31], v[30:31], v[38:39]
	v_add_f64 v[32:33], v[32:33], v[8:9]
	v_mul_f64 v[8:9], v[6:7], v[14:15]
	s_delay_alu instid0(VALU_DEP_1) | instskip(SKIP_1) | instid1(VALU_DEP_2)
	v_fma_f64 v[8:9], v[4:5], v[12:13], -v[8:9]
	v_mul_f64 v[4:5], v[4:5], v[14:15]
	v_add_f64 v[16:17], v[16:17], v[8:9]
	s_delay_alu instid0(VALU_DEP_2) | instskip(NEXT) | instid1(VALU_DEP_1)
	v_fma_f64 v[4:5], v[6:7], v[12:13], v[4:5]
	v_add_f64 v[18:19], v[18:19], v[4:5]
	ds_load_b128 v[4:7], v25 offset:80
	ds_load_b128 v[8:11], v22 offset:2560
	s_waitcnt lgkmcnt(0)
	v_mul_f64 v[12:13], v[6:7], v[10:11]
	v_mul_f64 v[14:15], v[4:5], v[10:11]
	s_delay_alu instid0(VALU_DEP_2) | instskip(NEXT) | instid1(VALU_DEP_2)
	v_fma_f64 v[12:13], v[4:5], v[8:9], -v[12:13]
	v_fma_f64 v[14:15], v[6:7], v[8:9], v[14:15]
	s_delay_alu instid0(VALU_DEP_2) | instskip(NEXT) | instid1(VALU_DEP_2)
	v_add_f64 v[34:35], v[34:35], v[12:13]
	v_add_f64 v[36:37], v[36:37], v[14:15]
	ds_load_b128 v[12:15], v22 offset:2816
	s_waitcnt lgkmcnt(0)
	v_mul_f64 v[38:39], v[6:7], v[14:15]
	s_delay_alu instid0(VALU_DEP_1) | instskip(SKIP_1) | instid1(VALU_DEP_2)
	v_fma_f64 v[38:39], v[4:5], v[12:13], -v[38:39]
	v_mul_f64 v[4:5], v[4:5], v[14:15]
	v_add_f64 v[28:29], v[28:29], v[38:39]
	s_delay_alu instid0(VALU_DEP_2) | instskip(NEXT) | instid1(VALU_DEP_1)
	v_fma_f64 v[4:5], v[6:7], v[12:13], v[4:5]
	v_add_f64 v[26:27], v[26:27], v[4:5]
	ds_load_b128 v[4:7], v25 offset:2128
	s_waitcnt lgkmcnt(0)
	v_mul_f64 v[38:39], v[6:7], v[10:11]
	v_mul_f64 v[10:11], v[4:5], v[10:11]
	s_delay_alu instid0(VALU_DEP_2) | instskip(NEXT) | instid1(VALU_DEP_2)
	v_fma_f64 v[38:39], v[4:5], v[8:9], -v[38:39]
	v_fma_f64 v[8:9], v[6:7], v[8:9], v[10:11]
	s_delay_alu instid0(VALU_DEP_2) | instskip(NEXT) | instid1(VALU_DEP_2)
	v_add_f64 v[30:31], v[30:31], v[38:39]
	v_add_f64 v[32:33], v[32:33], v[8:9]
	v_mul_f64 v[8:9], v[6:7], v[14:15]
	s_delay_alu instid0(VALU_DEP_1) | instskip(SKIP_1) | instid1(VALU_DEP_2)
	v_fma_f64 v[8:9], v[4:5], v[12:13], -v[8:9]
	v_mul_f64 v[4:5], v[4:5], v[14:15]
	v_add_f64 v[16:17], v[16:17], v[8:9]
	s_delay_alu instid0(VALU_DEP_2) | instskip(NEXT) | instid1(VALU_DEP_1)
	v_fma_f64 v[4:5], v[6:7], v[12:13], v[4:5]
	;; [unrolled: 39-line block ×3, first 2 shown]
	v_add_f64 v[48:49], v[18:19], v[4:5]
	ds_load_b128 v[4:7], v25 offset:112
	ds_load_b128 v[8:11], v22 offset:3584
	;; [unrolled: 1-line block ×4, first 2 shown]
	s_waitcnt lgkmcnt(0)
	s_barrier
	buffer_gl0_inv
	v_mul_f64 v[12:13], v[6:7], v[10:11]
	v_mul_f64 v[14:15], v[4:5], v[10:11]
	s_delay_alu instid0(VALU_DEP_2) | instskip(NEXT) | instid1(VALU_DEP_2)
	v_fma_f64 v[12:13], v[4:5], v[8:9], -v[12:13]
	v_fma_f64 v[14:15], v[6:7], v[8:9], v[14:15]
	s_delay_alu instid0(VALU_DEP_2) | instskip(SKIP_1) | instid1(VALU_DEP_3)
	v_add_f64 v[16:17], v[34:35], v[12:13]
	v_mul_f64 v[12:13], v[6:7], v[28:29]
	v_add_f64 v[18:19], v[36:37], v[14:15]
	s_delay_alu instid0(VALU_DEP_2) | instskip(SKIP_1) | instid1(VALU_DEP_1)
	v_fma_f64 v[12:13], v[4:5], v[26:27], -v[12:13]
	v_mul_f64 v[4:5], v[4:5], v[28:29]
	v_fma_f64 v[6:7], v[6:7], v[26:27], v[4:5]
	s_delay_alu instid0(VALU_DEP_3) | instskip(SKIP_2) | instid1(VALU_DEP_4)
	v_add_f64 v[4:5], v[38:39], v[12:13]
	v_mul_f64 v[12:13], v[32:33], v[10:11]
	v_mul_f64 v[10:11], v[30:31], v[10:11]
	v_add_f64 v[6:7], v[40:41], v[6:7]
	s_delay_alu instid0(VALU_DEP_3) | instskip(NEXT) | instid1(VALU_DEP_3)
	v_fma_f64 v[12:13], v[30:31], v[8:9], -v[12:13]
	v_fma_f64 v[8:9], v[32:33], v[8:9], v[10:11]
	v_mul_f64 v[10:11], v[30:31], v[28:29]
	s_delay_alu instid0(VALU_DEP_3) | instskip(NEXT) | instid1(VALU_DEP_3)
	v_add_f64 v[12:13], v[42:43], v[12:13]
	v_add_f64 v[14:15], v[44:45], v[8:9]
	v_mul_f64 v[8:9], v[32:33], v[28:29]
	s_delay_alu instid0(VALU_DEP_1) | instskip(SKIP_1) | instid1(VALU_DEP_2)
	v_fma_f64 v[8:9], v[30:31], v[26:27], -v[8:9]
	v_fma_f64 v[26:27], v[32:33], v[26:27], v[10:11]
	v_add_f64 v[10:11], v[46:47], v[8:9]
	s_delay_alu instid0(VALU_DEP_2)
	v_add_f64 v[8:9], v[48:49], v[26:27]
	s_cbranch_scc0 .LBB390_2
.LBB390_3:
	s_clause 0x1
	s_load_b32 s3, s[0:1], 0x40
	s_load_b64 s[0:1], s[0:1], 0x48
	v_add_nc_u32_e32 v21, s13, v21
	v_add_nc_u32_e32 v0, s12, v20
	s_delay_alu instid0(VALU_DEP_2)
	v_cmp_gt_i32_e32 vcc_lo, s2, v21
	s_waitcnt lgkmcnt(0)
	v_mad_i64_i32 v[1:2], null, v21, s3, 0
	s_mul_i32 s1, s15, s1
	s_mul_hi_u32 s4, s15, s0
	s_mul_i32 s0, s15, s0
	s_add_i32 s1, s4, s1
	s_delay_alu instid0(SALU_CYCLE_1) | instskip(NEXT) | instid1(VALU_DEP_1)
	s_lshl_b64 s[4:5], s[0:1], 4
	v_lshlrev_b64 v[1:2], 4, v[1:2]
	s_add_u32 s4, s6, s4
	v_cmp_le_i32_e64 s0, v0, v21
	s_addc_u32 s5, s7, s5
	s_delay_alu instid0(VALU_DEP_2) | instskip(NEXT) | instid1(VALU_DEP_1)
	v_add_co_u32 v20, s1, s4, v1
	v_add_co_ci_u32_e64 v22, s1, s5, v2, s1
	s_delay_alu instid0(VALU_DEP_3) | instskip(NEXT) | instid1(SALU_CYCLE_1)
	s_and_b32 s0, vcc_lo, s0
	s_and_saveexec_b32 s1, s0
	s_cbranch_execz .LBB390_5
; %bb.4:
	v_ashrrev_i32_e32 v1, 31, v0
	s_delay_alu instid0(VALU_DEP_1) | instskip(NEXT) | instid1(VALU_DEP_1)
	v_lshlrev_b64 v[1:2], 4, v[0:1]
	v_add_co_u32 v1, s0, v20, v1
	s_delay_alu instid0(VALU_DEP_1)
	v_add_co_ci_u32_e64 v2, s0, v22, v2, s0
	v_cmp_ne_u32_e64 s0, v21, v0
	global_load_b128 v[23:26], v[1:2], off
	s_waitcnt vmcnt(0)
	v_add_f64 v[18:19], v[18:19], v[25:26]
	v_add_f64 v[16:17], v[16:17], v[23:24]
	s_delay_alu instid0(VALU_DEP_2) | instskip(NEXT) | instid1(VALU_DEP_3)
	v_cndmask_b32_e64 v19, 0, v19, s0
	v_cndmask_b32_e64 v18, 0, v18, s0
	global_store_b128 v[1:2], v[16:19], off
.LBB390_5:
	s_or_b32 exec_lo, exec_lo, s1
	v_add_nc_u32_e32 v2, 16, v0
	s_delay_alu instid0(VALU_DEP_1) | instskip(NEXT) | instid1(VALU_DEP_1)
	v_cmp_le_i32_e64 s0, v2, v21
	s_and_b32 s1, vcc_lo, s0
	s_delay_alu instid0(SALU_CYCLE_1)
	s_and_saveexec_b32 s0, s1
	s_cbranch_execz .LBB390_7
; %bb.6:
	v_ashrrev_i32_e32 v3, 31, v2
	s_delay_alu instid0(VALU_DEP_1) | instskip(NEXT) | instid1(VALU_DEP_1)
	v_lshlrev_b64 v[16:17], 4, v[2:3]
	v_add_co_u32 v23, vcc_lo, v20, v16
	s_delay_alu instid0(VALU_DEP_2)
	v_add_co_ci_u32_e32 v24, vcc_lo, v22, v17, vcc_lo
	v_cmp_ne_u32_e32 vcc_lo, v21, v2
	global_load_b128 v[16:19], v[23:24], off
	s_waitcnt vmcnt(0)
	v_add_f64 v[18:19], v[6:7], v[18:19]
	v_add_f64 v[3:4], v[4:5], v[16:17]
	s_delay_alu instid0(VALU_DEP_2)
	v_dual_cndmask_b32 v6, 0, v19 :: v_dual_cndmask_b32 v5, 0, v18
	global_store_b128 v[23:24], v[3:6], off
.LBB390_7:
	s_or_b32 exec_lo, exec_lo, s0
	v_add_nc_u32_e32 v3, 16, v21
	s_delay_alu instid0(VALU_DEP_1) | instskip(SKIP_2) | instid1(VALU_DEP_1)
	v_mad_i64_i32 v[4:5], null, v3, s3, 0
	v_cmp_gt_i32_e32 vcc_lo, s2, v3
	v_cmp_le_i32_e64 s0, v0, v3
	s_and_b32 s0, vcc_lo, s0
	s_delay_alu instid0(VALU_DEP_3) | instskip(NEXT) | instid1(VALU_DEP_1)
	v_lshlrev_b64 v[4:5], 4, v[4:5]
	v_add_co_u32 v4, s1, s4, v4
	s_delay_alu instid0(VALU_DEP_1)
	v_add_co_ci_u32_e64 v5, s1, s5, v5, s1
	s_and_saveexec_b32 s1, s0
	s_cbranch_execz .LBB390_9
; %bb.8:
	v_ashrrev_i32_e32 v1, 31, v0
	s_delay_alu instid0(VALU_DEP_1) | instskip(NEXT) | instid1(VALU_DEP_1)
	v_lshlrev_b64 v[6:7], 4, v[0:1]
	v_add_co_u32 v6, s0, v4, v6
	s_delay_alu instid0(VALU_DEP_1)
	v_add_co_ci_u32_e64 v7, s0, v5, v7, s0
	v_cmp_ne_u32_e64 s0, v3, v0
	global_load_b128 v[16:19], v[6:7], off
	s_waitcnt vmcnt(0)
	v_add_f64 v[14:15], v[14:15], v[18:19]
	v_add_f64 v[12:13], v[12:13], v[16:17]
	s_delay_alu instid0(VALU_DEP_2) | instskip(NEXT) | instid1(VALU_DEP_3)
	v_cndmask_b32_e64 v15, 0, v15, s0
	v_cndmask_b32_e64 v14, 0, v14, s0
	global_store_b128 v[6:7], v[12:15], off
.LBB390_9:
	s_or_b32 exec_lo, exec_lo, s1
	v_cmp_le_i32_e64 s0, v2, v3
	s_delay_alu instid0(VALU_DEP_1) | instskip(NEXT) | instid1(SALU_CYCLE_1)
	s_and_b32 s0, vcc_lo, s0
	s_and_saveexec_b32 s1, s0
	s_cbranch_execz .LBB390_11
; %bb.10:
	v_ashrrev_i32_e32 v3, 31, v2
	s_delay_alu instid0(VALU_DEP_1) | instskip(NEXT) | instid1(VALU_DEP_1)
	v_lshlrev_b64 v[1:2], 4, v[2:3]
	v_add_co_u32 v6, vcc_lo, v4, v1
	s_delay_alu instid0(VALU_DEP_2)
	v_add_co_ci_u32_e32 v7, vcc_lo, v5, v2, vcc_lo
	v_cmp_ne_u32_e32 vcc_lo, v21, v0
	global_load_b128 v[1:4], v[6:7], off
	s_waitcnt vmcnt(0)
	v_add_f64 v[3:4], v[8:9], v[3:4]
	v_add_f64 v[1:2], v[10:11], v[1:2]
	s_delay_alu instid0(VALU_DEP_2)
	v_dual_cndmask_b32 v4, 0, v4 :: v_dual_cndmask_b32 v3, 0, v3
	global_store_b128 v[6:7], v[1:4], off
.LBB390_11:
	s_nop 0
	s_sendmsg sendmsg(MSG_DEALLOC_VGPRS)
	s_endpgm
	.section	.rodata,"a",@progbits
	.p2align	6, 0x0
	.amdhsa_kernel _ZL37rocblas_syrkx_herkx_restricted_kernelIi19rocblas_complex_numIdELi16ELi32ELi8ELi1ELi1ELb1ELc84ELc85EKS1_S1_EviT_PT9_S3_lS5_S3_lPT10_S3_li
		.amdhsa_group_segment_fixed_size 8192
		.amdhsa_private_segment_fixed_size 0
		.amdhsa_kernarg_size 84
		.amdhsa_user_sgpr_count 13
		.amdhsa_user_sgpr_dispatch_ptr 0
		.amdhsa_user_sgpr_queue_ptr 0
		.amdhsa_user_sgpr_kernarg_segment_ptr 1
		.amdhsa_user_sgpr_dispatch_id 0
		.amdhsa_user_sgpr_private_segment_size 0
		.amdhsa_wavefront_size32 1
		.amdhsa_uses_dynamic_stack 0
		.amdhsa_enable_private_segment 0
		.amdhsa_system_sgpr_workgroup_id_x 1
		.amdhsa_system_sgpr_workgroup_id_y 1
		.amdhsa_system_sgpr_workgroup_id_z 1
		.amdhsa_system_sgpr_workgroup_info 0
		.amdhsa_system_vgpr_workitem_id 1
		.amdhsa_next_free_vgpr 52
		.amdhsa_next_free_sgpr 20
		.amdhsa_reserve_vcc 1
		.amdhsa_float_round_mode_32 0
		.amdhsa_float_round_mode_16_64 0
		.amdhsa_float_denorm_mode_32 3
		.amdhsa_float_denorm_mode_16_64 3
		.amdhsa_dx10_clamp 1
		.amdhsa_ieee_mode 1
		.amdhsa_fp16_overflow 0
		.amdhsa_workgroup_processor_mode 1
		.amdhsa_memory_ordered 1
		.amdhsa_forward_progress 0
		.amdhsa_shared_vgpr_count 0
		.amdhsa_exception_fp_ieee_invalid_op 0
		.amdhsa_exception_fp_denorm_src 0
		.amdhsa_exception_fp_ieee_div_zero 0
		.amdhsa_exception_fp_ieee_overflow 0
		.amdhsa_exception_fp_ieee_underflow 0
		.amdhsa_exception_fp_ieee_inexact 0
		.amdhsa_exception_int_div_zero 0
	.end_amdhsa_kernel
	.section	.text._ZL37rocblas_syrkx_herkx_restricted_kernelIi19rocblas_complex_numIdELi16ELi32ELi8ELi1ELi1ELb1ELc84ELc85EKS1_S1_EviT_PT9_S3_lS5_S3_lPT10_S3_li,"axG",@progbits,_ZL37rocblas_syrkx_herkx_restricted_kernelIi19rocblas_complex_numIdELi16ELi32ELi8ELi1ELi1ELb1ELc84ELc85EKS1_S1_EviT_PT9_S3_lS5_S3_lPT10_S3_li,comdat
.Lfunc_end390:
	.size	_ZL37rocblas_syrkx_herkx_restricted_kernelIi19rocblas_complex_numIdELi16ELi32ELi8ELi1ELi1ELb1ELc84ELc85EKS1_S1_EviT_PT9_S3_lS5_S3_lPT10_S3_li, .Lfunc_end390-_ZL37rocblas_syrkx_herkx_restricted_kernelIi19rocblas_complex_numIdELi16ELi32ELi8ELi1ELi1ELb1ELc84ELc85EKS1_S1_EviT_PT9_S3_lS5_S3_lPT10_S3_li
                                        ; -- End function
	.section	.AMDGPU.csdata,"",@progbits
; Kernel info:
; codeLenInByte = 3376
; NumSgprs: 22
; NumVgprs: 52
; ScratchSize: 0
; MemoryBound: 0
; FloatMode: 240
; IeeeMode: 1
; LDSByteSize: 8192 bytes/workgroup (compile time only)
; SGPRBlocks: 2
; VGPRBlocks: 6
; NumSGPRsForWavesPerEU: 22
; NumVGPRsForWavesPerEU: 52
; Occupancy: 16
; WaveLimiterHint : 0
; COMPUTE_PGM_RSRC2:SCRATCH_EN: 0
; COMPUTE_PGM_RSRC2:USER_SGPR: 13
; COMPUTE_PGM_RSRC2:TRAP_HANDLER: 0
; COMPUTE_PGM_RSRC2:TGID_X_EN: 1
; COMPUTE_PGM_RSRC2:TGID_Y_EN: 1
; COMPUTE_PGM_RSRC2:TGID_Z_EN: 1
; COMPUTE_PGM_RSRC2:TIDIG_COMP_CNT: 1
	.section	.text._ZL37rocblas_syrkx_herkx_restricted_kernelIi19rocblas_complex_numIdELi16ELi32ELi8ELi1ELi1ELb1ELc67ELc85EKS1_S1_EviT_PT9_S3_lS5_S3_lPT10_S3_li,"axG",@progbits,_ZL37rocblas_syrkx_herkx_restricted_kernelIi19rocblas_complex_numIdELi16ELi32ELi8ELi1ELi1ELb1ELc67ELc85EKS1_S1_EviT_PT9_S3_lS5_S3_lPT10_S3_li,comdat
	.globl	_ZL37rocblas_syrkx_herkx_restricted_kernelIi19rocblas_complex_numIdELi16ELi32ELi8ELi1ELi1ELb1ELc67ELc85EKS1_S1_EviT_PT9_S3_lS5_S3_lPT10_S3_li ; -- Begin function _ZL37rocblas_syrkx_herkx_restricted_kernelIi19rocblas_complex_numIdELi16ELi32ELi8ELi1ELi1ELb1ELc67ELc85EKS1_S1_EviT_PT9_S3_lS5_S3_lPT10_S3_li
	.p2align	8
	.type	_ZL37rocblas_syrkx_herkx_restricted_kernelIi19rocblas_complex_numIdELi16ELi32ELi8ELi1ELi1ELb1ELc67ELc85EKS1_S1_EviT_PT9_S3_lS5_S3_lPT10_S3_li,@function
_ZL37rocblas_syrkx_herkx_restricted_kernelIi19rocblas_complex_numIdELi16ELi32ELi8ELi1ELi1ELb1ELc67ELc85EKS1_S1_EviT_PT9_S3_lS5_S3_lPT10_S3_li: ; @_ZL37rocblas_syrkx_herkx_restricted_kernelIi19rocblas_complex_numIdELi16ELi32ELi8ELi1ELi1ELb1ELc67ELc85EKS1_S1_EviT_PT9_S3_lS5_S3_lPT10_S3_li
; %bb.0:
	s_clause 0x1
	s_load_b64 s[2:3], s[0:1], 0x0
	s_load_b128 s[4:7], s[0:1], 0x30
	v_mov_b32_e32 v16, 0
	v_dual_mov_b32 v17, 0 :: v_dual_and_b32 v20, 0x3ff, v0
	v_bfe_u32 v21, v0, 10, 10
	s_delay_alu instid0(VALU_DEP_3) | instskip(NEXT) | instid1(VALU_DEP_3)
	v_mov_b32_e32 v4, v16
	v_dual_mov_b32 v6, v16 :: v_dual_mov_b32 v7, v17
	v_dual_mov_b32 v19, v17 :: v_dual_mov_b32 v18, v16
	;; [unrolled: 1-line block ×6, first 2 shown]
	v_mov_b32_e32 v9, v17
	s_lshl_b32 s12, s13, 5
	s_lshl_b32 s13, s14, 5
	s_waitcnt lgkmcnt(0)
	s_cmp_lt_i32 s3, 1
	s_mov_b32 s14, 0
	s_cbranch_scc1 .LBB391_3
; %bb.1:
	s_clause 0x3
	s_load_b32 s18, s[0:1], 0x10
	s_load_b128 s[8:11], s[0:1], 0x18
	s_load_b64 s[16:17], s[0:1], 0x8
	s_load_b32 s19, s[0:1], 0x28
	v_lshl_add_u32 v2, v21, 4, v20
	v_dual_mov_b32 v1, 0 :: v_dual_and_b32 v0, 7, v20
	v_lshlrev_b32_e32 v22, 4, v20
	s_mul_i32 s5, s5, s15
	s_delay_alu instid0(VALU_DEP_3)
	v_lshrrev_b32_e32 v4, 3, v2
	v_and_b32_e32 v5, 31, v2
	v_lshlrev_b32_e32 v3, 4, v0
	v_lshrrev_b32_e32 v2, 5, v2
	v_lshl_add_u32 v25, v21, 7, 0x1000
	v_add_nc_u32_e32 v9, s13, v4
	v_add_nc_u32_e32 v8, s12, v5
	v_lshl_or_b32 v7, v4, 7, v3
	v_dual_mov_b32 v3, v1 :: v_dual_lshlrev_b32 v6, 4, v5
	s_waitcnt lgkmcnt(0)
	s_delay_alu instid0(VALU_DEP_1) | instskip(NEXT) | instid1(VALU_DEP_2)
	v_mad_i64_i32 v[4:5], null, s18, v8, v[2:3]
	v_lshl_or_b32 v23, v2, 9, v6
	s_mul_i32 s9, s9, s15
	s_mul_hi_u32 s18, s8, s15
	v_mad_i64_i32 v[2:3], null, s19, v9, v[0:1]
	s_mul_i32 s8, s8, s15
	s_add_i32 s9, s18, s9
	s_delay_alu instid0(VALU_DEP_3)
	v_lshlrev_b64 v[0:1], 4, v[4:5]
	s_lshl_b64 s[8:9], s[8:9], 4
	v_mov_b32_e32 v8, 0
	v_mov_b32_e32 v9, 0
	s_add_u32 s8, s16, s8
	s_mul_hi_u32 s16, s4, s15
	s_addc_u32 s9, s17, s9
	s_add_i32 s5, s16, s5
	s_mul_i32 s4, s4, s15
	v_lshlrev_b64 v[2:3], 4, v[2:3]
	s_lshl_b64 s[4:5], s[4:5], 4
	v_add_co_u32 v0, vcc_lo, s8, v0
	s_add_u32 s4, s10, s4
	v_add_co_ci_u32_e32 v1, vcc_lo, s9, v1, vcc_lo
	s_addc_u32 s5, s11, s5
	v_add_co_u32 v2, vcc_lo, s4, v2
	v_add_co_ci_u32_e32 v3, vcc_lo, s5, v3, vcc_lo
	v_add_co_u32 v0, vcc_lo, v0, 8
	v_add_co_ci_u32_e32 v1, vcc_lo, 0, v1, vcc_lo
	s_delay_alu instid0(VALU_DEP_4)
	v_add_co_u32 v2, vcc_lo, v2, 8
	v_dual_mov_b32 v11, v9 :: v_dual_add_nc_u32 v24, 0x1000, v7
	v_add_co_ci_u32_e32 v3, vcc_lo, 0, v3, vcc_lo
	v_dual_mov_b32 v10, v8 :: v_dual_mov_b32 v15, v9
	v_dual_mov_b32 v14, v8 :: v_dual_mov_b32 v13, v9
	v_mov_b32_e32 v12, v8
	v_dual_mov_b32 v6, v8 :: v_dual_mov_b32 v7, v9
	v_dual_mov_b32 v4, v8 :: v_dual_mov_b32 v5, v9
	;; [unrolled: 1-line block ×4, first 2 shown]
.LBB391_2:                              ; =>This Inner Loop Header: Depth=1
	global_load_b128 v[26:29], v[0:1], off offset:-8
	v_add_co_u32 v0, vcc_lo, 0x80, v0
	v_add_co_ci_u32_e32 v1, vcc_lo, 0, v1, vcc_lo
	s_add_i32 s14, s14, 8
	s_delay_alu instid0(SALU_CYCLE_1)
	s_cmp_ge_i32 s14, s3
	s_waitcnt vmcnt(0)
	v_xor_b32_e32 v29, 0x80000000, v29
	ds_store_b128 v23, v[26:29]
	global_load_b128 v[26:29], v[2:3], off offset:-8
	v_add_co_u32 v2, vcc_lo, 0x80, v2
	v_add_co_ci_u32_e32 v3, vcc_lo, 0, v3, vcc_lo
	s_waitcnt vmcnt(0)
	ds_store_b128 v24, v[26:29]
	s_waitcnt lgkmcnt(0)
	s_barrier
	buffer_gl0_inv
	ds_load_b128 v[26:29], v25
	ds_load_b128 v[30:33], v25 offset:16
	ds_load_b128 v[34:37], v25 offset:32
	;; [unrolled: 1-line block ×3, first 2 shown]
	ds_load_b128 v[42:45], v22
	s_waitcnt lgkmcnt(0)
	v_mul_f64 v[46:47], v[28:29], v[44:45]
	v_mul_f64 v[48:49], v[26:27], v[44:45]
	s_delay_alu instid0(VALU_DEP_2) | instskip(NEXT) | instid1(VALU_DEP_2)
	v_fma_f64 v[46:47], v[26:27], v[42:43], -v[46:47]
	v_fma_f64 v[48:49], v[28:29], v[42:43], v[48:49]
	s_delay_alu instid0(VALU_DEP_2) | instskip(NEXT) | instid1(VALU_DEP_2)
	v_add_f64 v[46:47], v[16:17], v[46:47]
	v_add_f64 v[48:49], v[18:19], v[48:49]
	ds_load_b128 v[16:19], v22 offset:256
	s_waitcnt lgkmcnt(0)
	v_mul_f64 v[50:51], v[28:29], v[18:19]
	s_delay_alu instid0(VALU_DEP_1) | instskip(SKIP_1) | instid1(VALU_DEP_1)
	v_fma_f64 v[50:51], v[26:27], v[16:17], -v[50:51]
	v_mul_f64 v[26:27], v[26:27], v[18:19]
	v_fma_f64 v[26:27], v[28:29], v[16:17], v[26:27]
	s_delay_alu instid0(VALU_DEP_3) | instskip(NEXT) | instid1(VALU_DEP_2)
	v_add_f64 v[28:29], v[4:5], v[50:51]
	v_add_f64 v[26:27], v[6:7], v[26:27]
	ds_load_b128 v[4:7], v25 offset:2048
	s_waitcnt lgkmcnt(0)
	v_mul_f64 v[50:51], v[6:7], v[44:45]
	v_mul_f64 v[44:45], v[4:5], v[44:45]
	s_delay_alu instid0(VALU_DEP_2) | instskip(NEXT) | instid1(VALU_DEP_2)
	v_fma_f64 v[50:51], v[4:5], v[42:43], -v[50:51]
	v_fma_f64 v[42:43], v[6:7], v[42:43], v[44:45]
	s_delay_alu instid0(VALU_DEP_2) | instskip(SKIP_1) | instid1(VALU_DEP_3)
	v_add_f64 v[44:45], v[12:13], v[50:51]
	v_mul_f64 v[12:13], v[6:7], v[18:19]
	v_add_f64 v[42:43], v[14:15], v[42:43]
	s_delay_alu instid0(VALU_DEP_2) | instskip(SKIP_1) | instid1(VALU_DEP_1)
	v_fma_f64 v[12:13], v[4:5], v[16:17], -v[12:13]
	v_mul_f64 v[4:5], v[4:5], v[18:19]
	v_fma_f64 v[4:5], v[6:7], v[16:17], v[4:5]
	s_delay_alu instid0(VALU_DEP_3) | instskip(NEXT) | instid1(VALU_DEP_2)
	v_add_f64 v[16:17], v[10:11], v[12:13]
	v_add_f64 v[18:19], v[8:9], v[4:5]
	ds_load_b128 v[4:7], v22 offset:512
	s_waitcnt lgkmcnt(0)
	v_mul_f64 v[8:9], v[32:33], v[6:7]
	v_mul_f64 v[10:11], v[30:31], v[6:7]
	s_delay_alu instid0(VALU_DEP_2) | instskip(NEXT) | instid1(VALU_DEP_2)
	v_fma_f64 v[8:9], v[30:31], v[4:5], -v[8:9]
	v_fma_f64 v[10:11], v[32:33], v[4:5], v[10:11]
	s_delay_alu instid0(VALU_DEP_2) | instskip(NEXT) | instid1(VALU_DEP_2)
	v_add_f64 v[46:47], v[46:47], v[8:9]
	v_add_f64 v[48:49], v[48:49], v[10:11]
	ds_load_b128 v[8:11], v22 offset:768
	s_waitcnt lgkmcnt(0)
	v_mul_f64 v[12:13], v[32:33], v[10:11]
	v_mul_f64 v[14:15], v[30:31], v[10:11]
	s_delay_alu instid0(VALU_DEP_2) | instskip(NEXT) | instid1(VALU_DEP_2)
	v_fma_f64 v[12:13], v[30:31], v[8:9], -v[12:13]
	v_fma_f64 v[14:15], v[32:33], v[8:9], v[14:15]
	s_delay_alu instid0(VALU_DEP_2) | instskip(NEXT) | instid1(VALU_DEP_2)
	v_add_f64 v[28:29], v[28:29], v[12:13]
	v_add_f64 v[26:27], v[26:27], v[14:15]
	ds_load_b128 v[12:15], v25 offset:2064
	s_waitcnt lgkmcnt(0)
	v_mul_f64 v[30:31], v[14:15], v[6:7]
	v_mul_f64 v[6:7], v[12:13], v[6:7]
	s_delay_alu instid0(VALU_DEP_2) | instskip(NEXT) | instid1(VALU_DEP_2)
	v_fma_f64 v[30:31], v[12:13], v[4:5], -v[30:31]
	v_fma_f64 v[4:5], v[14:15], v[4:5], v[6:7]
	v_mul_f64 v[6:7], v[12:13], v[10:11]
	s_delay_alu instid0(VALU_DEP_3) | instskip(NEXT) | instid1(VALU_DEP_3)
	v_add_f64 v[30:31], v[44:45], v[30:31]
	v_add_f64 v[32:33], v[42:43], v[4:5]
	v_mul_f64 v[4:5], v[14:15], v[10:11]
	s_delay_alu instid0(VALU_DEP_4) | instskip(NEXT) | instid1(VALU_DEP_2)
	v_fma_f64 v[6:7], v[14:15], v[8:9], v[6:7]
	v_fma_f64 v[4:5], v[12:13], v[8:9], -v[4:5]
	s_delay_alu instid0(VALU_DEP_2) | instskip(NEXT) | instid1(VALU_DEP_2)
	v_add_f64 v[18:19], v[18:19], v[6:7]
	v_add_f64 v[16:17], v[16:17], v[4:5]
	ds_load_b128 v[4:7], v22 offset:1024
	s_waitcnt lgkmcnt(0)
	v_mul_f64 v[8:9], v[36:37], v[6:7]
	v_mul_f64 v[10:11], v[34:35], v[6:7]
	s_delay_alu instid0(VALU_DEP_2) | instskip(NEXT) | instid1(VALU_DEP_2)
	v_fma_f64 v[8:9], v[34:35], v[4:5], -v[8:9]
	v_fma_f64 v[10:11], v[36:37], v[4:5], v[10:11]
	s_delay_alu instid0(VALU_DEP_2) | instskip(NEXT) | instid1(VALU_DEP_2)
	v_add_f64 v[42:43], v[46:47], v[8:9]
	v_add_f64 v[44:45], v[48:49], v[10:11]
	ds_load_b128 v[8:11], v22 offset:1280
	s_waitcnt lgkmcnt(0)
	v_mul_f64 v[12:13], v[36:37], v[10:11]
	v_mul_f64 v[14:15], v[34:35], v[10:11]
	s_delay_alu instid0(VALU_DEP_2) | instskip(NEXT) | instid1(VALU_DEP_2)
	v_fma_f64 v[12:13], v[34:35], v[8:9], -v[12:13]
	v_fma_f64 v[14:15], v[36:37], v[8:9], v[14:15]
	s_delay_alu instid0(VALU_DEP_2) | instskip(NEXT) | instid1(VALU_DEP_2)
	v_add_f64 v[28:29], v[28:29], v[12:13]
	v_add_f64 v[26:27], v[26:27], v[14:15]
	ds_load_b128 v[12:15], v25 offset:2080
	s_waitcnt lgkmcnt(0)
	v_mul_f64 v[34:35], v[14:15], v[6:7]
	v_mul_f64 v[6:7], v[12:13], v[6:7]
	s_delay_alu instid0(VALU_DEP_2) | instskip(NEXT) | instid1(VALU_DEP_2)
	v_fma_f64 v[34:35], v[12:13], v[4:5], -v[34:35]
	v_fma_f64 v[4:5], v[14:15], v[4:5], v[6:7]
	v_mul_f64 v[6:7], v[12:13], v[10:11]
	s_delay_alu instid0(VALU_DEP_3) | instskip(NEXT) | instid1(VALU_DEP_3)
	v_add_f64 v[30:31], v[30:31], v[34:35]
	v_add_f64 v[32:33], v[32:33], v[4:5]
	v_mul_f64 v[4:5], v[14:15], v[10:11]
	s_delay_alu instid0(VALU_DEP_4) | instskip(NEXT) | instid1(VALU_DEP_2)
	v_fma_f64 v[6:7], v[14:15], v[8:9], v[6:7]
	v_fma_f64 v[4:5], v[12:13], v[8:9], -v[4:5]
	s_delay_alu instid0(VALU_DEP_2) | instskip(NEXT) | instid1(VALU_DEP_2)
	;; [unrolled: 38-line block ×3, first 2 shown]
	v_add_f64 v[18:19], v[18:19], v[6:7]
	v_add_f64 v[16:17], v[16:17], v[4:5]
	ds_load_b128 v[4:7], v25 offset:64
	ds_load_b128 v[8:11], v22 offset:2048
	s_waitcnt lgkmcnt(0)
	v_mul_f64 v[12:13], v[6:7], v[10:11]
	v_mul_f64 v[14:15], v[4:5], v[10:11]
	s_delay_alu instid0(VALU_DEP_2) | instskip(NEXT) | instid1(VALU_DEP_2)
	v_fma_f64 v[12:13], v[4:5], v[8:9], -v[12:13]
	v_fma_f64 v[14:15], v[6:7], v[8:9], v[14:15]
	s_delay_alu instid0(VALU_DEP_2) | instskip(NEXT) | instid1(VALU_DEP_2)
	v_add_f64 v[34:35], v[34:35], v[12:13]
	v_add_f64 v[36:37], v[36:37], v[14:15]
	ds_load_b128 v[12:15], v22 offset:2304
	s_waitcnt lgkmcnt(0)
	v_mul_f64 v[38:39], v[6:7], v[14:15]
	s_delay_alu instid0(VALU_DEP_1) | instskip(SKIP_1) | instid1(VALU_DEP_2)
	v_fma_f64 v[38:39], v[4:5], v[12:13], -v[38:39]
	v_mul_f64 v[4:5], v[4:5], v[14:15]
	v_add_f64 v[28:29], v[28:29], v[38:39]
	s_delay_alu instid0(VALU_DEP_2) | instskip(NEXT) | instid1(VALU_DEP_1)
	v_fma_f64 v[4:5], v[6:7], v[12:13], v[4:5]
	v_add_f64 v[26:27], v[26:27], v[4:5]
	ds_load_b128 v[4:7], v25 offset:2112
	s_waitcnt lgkmcnt(0)
	v_mul_f64 v[38:39], v[6:7], v[10:11]
	v_mul_f64 v[10:11], v[4:5], v[10:11]
	s_delay_alu instid0(VALU_DEP_2) | instskip(NEXT) | instid1(VALU_DEP_2)
	v_fma_f64 v[38:39], v[4:5], v[8:9], -v[38:39]
	v_fma_f64 v[8:9], v[6:7], v[8:9], v[10:11]
	s_delay_alu instid0(VALU_DEP_2) | instskip(NEXT) | instid1(VALU_DEP_2)
	v_add_f64 v[30:31], v[30:31], v[38:39]
	v_add_f64 v[32:33], v[32:33], v[8:9]
	v_mul_f64 v[8:9], v[6:7], v[14:15]
	s_delay_alu instid0(VALU_DEP_1) | instskip(SKIP_1) | instid1(VALU_DEP_2)
	v_fma_f64 v[8:9], v[4:5], v[12:13], -v[8:9]
	v_mul_f64 v[4:5], v[4:5], v[14:15]
	v_add_f64 v[16:17], v[16:17], v[8:9]
	s_delay_alu instid0(VALU_DEP_2) | instskip(NEXT) | instid1(VALU_DEP_1)
	v_fma_f64 v[4:5], v[6:7], v[12:13], v[4:5]
	v_add_f64 v[18:19], v[18:19], v[4:5]
	ds_load_b128 v[4:7], v25 offset:80
	ds_load_b128 v[8:11], v22 offset:2560
	s_waitcnt lgkmcnt(0)
	v_mul_f64 v[12:13], v[6:7], v[10:11]
	v_mul_f64 v[14:15], v[4:5], v[10:11]
	s_delay_alu instid0(VALU_DEP_2) | instskip(NEXT) | instid1(VALU_DEP_2)
	v_fma_f64 v[12:13], v[4:5], v[8:9], -v[12:13]
	v_fma_f64 v[14:15], v[6:7], v[8:9], v[14:15]
	s_delay_alu instid0(VALU_DEP_2) | instskip(NEXT) | instid1(VALU_DEP_2)
	v_add_f64 v[34:35], v[34:35], v[12:13]
	v_add_f64 v[36:37], v[36:37], v[14:15]
	ds_load_b128 v[12:15], v22 offset:2816
	s_waitcnt lgkmcnt(0)
	v_mul_f64 v[38:39], v[6:7], v[14:15]
	s_delay_alu instid0(VALU_DEP_1) | instskip(SKIP_1) | instid1(VALU_DEP_2)
	v_fma_f64 v[38:39], v[4:5], v[12:13], -v[38:39]
	v_mul_f64 v[4:5], v[4:5], v[14:15]
	v_add_f64 v[28:29], v[28:29], v[38:39]
	s_delay_alu instid0(VALU_DEP_2) | instskip(NEXT) | instid1(VALU_DEP_1)
	v_fma_f64 v[4:5], v[6:7], v[12:13], v[4:5]
	v_add_f64 v[26:27], v[26:27], v[4:5]
	ds_load_b128 v[4:7], v25 offset:2128
	s_waitcnt lgkmcnt(0)
	v_mul_f64 v[38:39], v[6:7], v[10:11]
	v_mul_f64 v[10:11], v[4:5], v[10:11]
	s_delay_alu instid0(VALU_DEP_2) | instskip(NEXT) | instid1(VALU_DEP_2)
	v_fma_f64 v[38:39], v[4:5], v[8:9], -v[38:39]
	v_fma_f64 v[8:9], v[6:7], v[8:9], v[10:11]
	s_delay_alu instid0(VALU_DEP_2) | instskip(NEXT) | instid1(VALU_DEP_2)
	v_add_f64 v[30:31], v[30:31], v[38:39]
	v_add_f64 v[32:33], v[32:33], v[8:9]
	v_mul_f64 v[8:9], v[6:7], v[14:15]
	s_delay_alu instid0(VALU_DEP_1) | instskip(SKIP_1) | instid1(VALU_DEP_2)
	v_fma_f64 v[8:9], v[4:5], v[12:13], -v[8:9]
	v_mul_f64 v[4:5], v[4:5], v[14:15]
	v_add_f64 v[16:17], v[16:17], v[8:9]
	s_delay_alu instid0(VALU_DEP_2) | instskip(NEXT) | instid1(VALU_DEP_1)
	v_fma_f64 v[4:5], v[6:7], v[12:13], v[4:5]
	;; [unrolled: 39-line block ×3, first 2 shown]
	v_add_f64 v[48:49], v[18:19], v[4:5]
	ds_load_b128 v[4:7], v25 offset:112
	ds_load_b128 v[8:11], v22 offset:3584
	;; [unrolled: 1-line block ×4, first 2 shown]
	s_waitcnt lgkmcnt(0)
	s_barrier
	buffer_gl0_inv
	v_mul_f64 v[12:13], v[6:7], v[10:11]
	v_mul_f64 v[14:15], v[4:5], v[10:11]
	s_delay_alu instid0(VALU_DEP_2) | instskip(NEXT) | instid1(VALU_DEP_2)
	v_fma_f64 v[12:13], v[4:5], v[8:9], -v[12:13]
	v_fma_f64 v[14:15], v[6:7], v[8:9], v[14:15]
	s_delay_alu instid0(VALU_DEP_2) | instskip(SKIP_1) | instid1(VALU_DEP_3)
	v_add_f64 v[16:17], v[34:35], v[12:13]
	v_mul_f64 v[12:13], v[6:7], v[28:29]
	v_add_f64 v[18:19], v[36:37], v[14:15]
	s_delay_alu instid0(VALU_DEP_2) | instskip(SKIP_1) | instid1(VALU_DEP_1)
	v_fma_f64 v[12:13], v[4:5], v[26:27], -v[12:13]
	v_mul_f64 v[4:5], v[4:5], v[28:29]
	v_fma_f64 v[6:7], v[6:7], v[26:27], v[4:5]
	s_delay_alu instid0(VALU_DEP_3) | instskip(SKIP_2) | instid1(VALU_DEP_4)
	v_add_f64 v[4:5], v[38:39], v[12:13]
	v_mul_f64 v[12:13], v[32:33], v[10:11]
	v_mul_f64 v[10:11], v[30:31], v[10:11]
	v_add_f64 v[6:7], v[40:41], v[6:7]
	s_delay_alu instid0(VALU_DEP_3) | instskip(NEXT) | instid1(VALU_DEP_3)
	v_fma_f64 v[12:13], v[30:31], v[8:9], -v[12:13]
	v_fma_f64 v[8:9], v[32:33], v[8:9], v[10:11]
	v_mul_f64 v[10:11], v[30:31], v[28:29]
	s_delay_alu instid0(VALU_DEP_3) | instskip(NEXT) | instid1(VALU_DEP_3)
	v_add_f64 v[12:13], v[42:43], v[12:13]
	v_add_f64 v[14:15], v[44:45], v[8:9]
	v_mul_f64 v[8:9], v[32:33], v[28:29]
	s_delay_alu instid0(VALU_DEP_1) | instskip(SKIP_1) | instid1(VALU_DEP_2)
	v_fma_f64 v[8:9], v[30:31], v[26:27], -v[8:9]
	v_fma_f64 v[26:27], v[32:33], v[26:27], v[10:11]
	v_add_f64 v[10:11], v[46:47], v[8:9]
	s_delay_alu instid0(VALU_DEP_2)
	v_add_f64 v[8:9], v[48:49], v[26:27]
	s_cbranch_scc0 .LBB391_2
.LBB391_3:
	s_clause 0x1
	s_load_b32 s3, s[0:1], 0x40
	s_load_b64 s[0:1], s[0:1], 0x48
	v_add_nc_u32_e32 v21, s13, v21
	v_add_nc_u32_e32 v0, s12, v20
	s_delay_alu instid0(VALU_DEP_2)
	v_cmp_gt_i32_e32 vcc_lo, s2, v21
	s_waitcnt lgkmcnt(0)
	v_mad_i64_i32 v[1:2], null, v21, s3, 0
	s_mul_i32 s1, s15, s1
	s_mul_hi_u32 s4, s15, s0
	s_mul_i32 s0, s15, s0
	s_add_i32 s1, s4, s1
	s_delay_alu instid0(SALU_CYCLE_1) | instskip(NEXT) | instid1(VALU_DEP_1)
	s_lshl_b64 s[4:5], s[0:1], 4
	v_lshlrev_b64 v[1:2], 4, v[1:2]
	s_add_u32 s4, s6, s4
	v_cmp_le_i32_e64 s0, v0, v21
	s_addc_u32 s5, s7, s5
	s_delay_alu instid0(VALU_DEP_2) | instskip(NEXT) | instid1(VALU_DEP_1)
	v_add_co_u32 v20, s1, s4, v1
	v_add_co_ci_u32_e64 v22, s1, s5, v2, s1
	s_delay_alu instid0(VALU_DEP_3) | instskip(NEXT) | instid1(SALU_CYCLE_1)
	s_and_b32 s0, vcc_lo, s0
	s_and_saveexec_b32 s1, s0
	s_cbranch_execz .LBB391_5
; %bb.4:
	v_ashrrev_i32_e32 v1, 31, v0
	s_delay_alu instid0(VALU_DEP_1) | instskip(NEXT) | instid1(VALU_DEP_1)
	v_lshlrev_b64 v[1:2], 4, v[0:1]
	v_add_co_u32 v1, s0, v20, v1
	s_delay_alu instid0(VALU_DEP_1)
	v_add_co_ci_u32_e64 v2, s0, v22, v2, s0
	v_cmp_ne_u32_e64 s0, v21, v0
	global_load_b128 v[23:26], v[1:2], off
	s_waitcnt vmcnt(0)
	v_add_f64 v[18:19], v[18:19], v[25:26]
	v_add_f64 v[16:17], v[16:17], v[23:24]
	s_delay_alu instid0(VALU_DEP_2) | instskip(NEXT) | instid1(VALU_DEP_3)
	v_cndmask_b32_e64 v19, 0, v19, s0
	v_cndmask_b32_e64 v18, 0, v18, s0
	global_store_b128 v[1:2], v[16:19], off
.LBB391_5:
	s_or_b32 exec_lo, exec_lo, s1
	v_add_nc_u32_e32 v2, 16, v0
	s_delay_alu instid0(VALU_DEP_1) | instskip(NEXT) | instid1(VALU_DEP_1)
	v_cmp_le_i32_e64 s0, v2, v21
	s_and_b32 s1, vcc_lo, s0
	s_delay_alu instid0(SALU_CYCLE_1)
	s_and_saveexec_b32 s0, s1
	s_cbranch_execz .LBB391_7
; %bb.6:
	v_ashrrev_i32_e32 v3, 31, v2
	s_delay_alu instid0(VALU_DEP_1) | instskip(NEXT) | instid1(VALU_DEP_1)
	v_lshlrev_b64 v[16:17], 4, v[2:3]
	v_add_co_u32 v23, vcc_lo, v20, v16
	s_delay_alu instid0(VALU_DEP_2)
	v_add_co_ci_u32_e32 v24, vcc_lo, v22, v17, vcc_lo
	v_cmp_ne_u32_e32 vcc_lo, v21, v2
	global_load_b128 v[16:19], v[23:24], off
	s_waitcnt vmcnt(0)
	v_add_f64 v[18:19], v[6:7], v[18:19]
	v_add_f64 v[3:4], v[4:5], v[16:17]
	s_delay_alu instid0(VALU_DEP_2)
	v_dual_cndmask_b32 v6, 0, v19 :: v_dual_cndmask_b32 v5, 0, v18
	global_store_b128 v[23:24], v[3:6], off
.LBB391_7:
	s_or_b32 exec_lo, exec_lo, s0
	v_add_nc_u32_e32 v3, 16, v21
	s_delay_alu instid0(VALU_DEP_1) | instskip(SKIP_2) | instid1(VALU_DEP_1)
	v_mad_i64_i32 v[4:5], null, v3, s3, 0
	v_cmp_gt_i32_e32 vcc_lo, s2, v3
	v_cmp_le_i32_e64 s0, v0, v3
	s_and_b32 s0, vcc_lo, s0
	s_delay_alu instid0(VALU_DEP_3) | instskip(NEXT) | instid1(VALU_DEP_1)
	v_lshlrev_b64 v[4:5], 4, v[4:5]
	v_add_co_u32 v4, s1, s4, v4
	s_delay_alu instid0(VALU_DEP_1)
	v_add_co_ci_u32_e64 v5, s1, s5, v5, s1
	s_and_saveexec_b32 s1, s0
	s_cbranch_execz .LBB391_9
; %bb.8:
	v_ashrrev_i32_e32 v1, 31, v0
	s_delay_alu instid0(VALU_DEP_1) | instskip(NEXT) | instid1(VALU_DEP_1)
	v_lshlrev_b64 v[6:7], 4, v[0:1]
	v_add_co_u32 v6, s0, v4, v6
	s_delay_alu instid0(VALU_DEP_1)
	v_add_co_ci_u32_e64 v7, s0, v5, v7, s0
	v_cmp_ne_u32_e64 s0, v3, v0
	global_load_b128 v[16:19], v[6:7], off
	s_waitcnt vmcnt(0)
	v_add_f64 v[14:15], v[14:15], v[18:19]
	v_add_f64 v[12:13], v[12:13], v[16:17]
	s_delay_alu instid0(VALU_DEP_2) | instskip(NEXT) | instid1(VALU_DEP_3)
	v_cndmask_b32_e64 v15, 0, v15, s0
	v_cndmask_b32_e64 v14, 0, v14, s0
	global_store_b128 v[6:7], v[12:15], off
.LBB391_9:
	s_or_b32 exec_lo, exec_lo, s1
	v_cmp_le_i32_e64 s0, v2, v3
	s_delay_alu instid0(VALU_DEP_1) | instskip(NEXT) | instid1(SALU_CYCLE_1)
	s_and_b32 s0, vcc_lo, s0
	s_and_saveexec_b32 s1, s0
	s_cbranch_execz .LBB391_11
; %bb.10:
	v_ashrrev_i32_e32 v3, 31, v2
	s_delay_alu instid0(VALU_DEP_1) | instskip(NEXT) | instid1(VALU_DEP_1)
	v_lshlrev_b64 v[1:2], 4, v[2:3]
	v_add_co_u32 v6, vcc_lo, v4, v1
	s_delay_alu instid0(VALU_DEP_2)
	v_add_co_ci_u32_e32 v7, vcc_lo, v5, v2, vcc_lo
	v_cmp_ne_u32_e32 vcc_lo, v21, v0
	global_load_b128 v[1:4], v[6:7], off
	s_waitcnt vmcnt(0)
	v_add_f64 v[3:4], v[8:9], v[3:4]
	v_add_f64 v[1:2], v[10:11], v[1:2]
	s_delay_alu instid0(VALU_DEP_2)
	v_dual_cndmask_b32 v4, 0, v4 :: v_dual_cndmask_b32 v3, 0, v3
	global_store_b128 v[6:7], v[1:4], off
.LBB391_11:
	s_nop 0
	s_sendmsg sendmsg(MSG_DEALLOC_VGPRS)
	s_endpgm
	.section	.rodata,"a",@progbits
	.p2align	6, 0x0
	.amdhsa_kernel _ZL37rocblas_syrkx_herkx_restricted_kernelIi19rocblas_complex_numIdELi16ELi32ELi8ELi1ELi1ELb1ELc67ELc85EKS1_S1_EviT_PT9_S3_lS5_S3_lPT10_S3_li
		.amdhsa_group_segment_fixed_size 8192
		.amdhsa_private_segment_fixed_size 0
		.amdhsa_kernarg_size 84
		.amdhsa_user_sgpr_count 13
		.amdhsa_user_sgpr_dispatch_ptr 0
		.amdhsa_user_sgpr_queue_ptr 0
		.amdhsa_user_sgpr_kernarg_segment_ptr 1
		.amdhsa_user_sgpr_dispatch_id 0
		.amdhsa_user_sgpr_private_segment_size 0
		.amdhsa_wavefront_size32 1
		.amdhsa_uses_dynamic_stack 0
		.amdhsa_enable_private_segment 0
		.amdhsa_system_sgpr_workgroup_id_x 1
		.amdhsa_system_sgpr_workgroup_id_y 1
		.amdhsa_system_sgpr_workgroup_id_z 1
		.amdhsa_system_sgpr_workgroup_info 0
		.amdhsa_system_vgpr_workitem_id 1
		.amdhsa_next_free_vgpr 52
		.amdhsa_next_free_sgpr 20
		.amdhsa_reserve_vcc 1
		.amdhsa_float_round_mode_32 0
		.amdhsa_float_round_mode_16_64 0
		.amdhsa_float_denorm_mode_32 3
		.amdhsa_float_denorm_mode_16_64 3
		.amdhsa_dx10_clamp 1
		.amdhsa_ieee_mode 1
		.amdhsa_fp16_overflow 0
		.amdhsa_workgroup_processor_mode 1
		.amdhsa_memory_ordered 1
		.amdhsa_forward_progress 0
		.amdhsa_shared_vgpr_count 0
		.amdhsa_exception_fp_ieee_invalid_op 0
		.amdhsa_exception_fp_denorm_src 0
		.amdhsa_exception_fp_ieee_div_zero 0
		.amdhsa_exception_fp_ieee_overflow 0
		.amdhsa_exception_fp_ieee_underflow 0
		.amdhsa_exception_fp_ieee_inexact 0
		.amdhsa_exception_int_div_zero 0
	.end_amdhsa_kernel
	.section	.text._ZL37rocblas_syrkx_herkx_restricted_kernelIi19rocblas_complex_numIdELi16ELi32ELi8ELi1ELi1ELb1ELc67ELc85EKS1_S1_EviT_PT9_S3_lS5_S3_lPT10_S3_li,"axG",@progbits,_ZL37rocblas_syrkx_herkx_restricted_kernelIi19rocblas_complex_numIdELi16ELi32ELi8ELi1ELi1ELb1ELc67ELc85EKS1_S1_EviT_PT9_S3_lS5_S3_lPT10_S3_li,comdat
.Lfunc_end391:
	.size	_ZL37rocblas_syrkx_herkx_restricted_kernelIi19rocblas_complex_numIdELi16ELi32ELi8ELi1ELi1ELb1ELc67ELc85EKS1_S1_EviT_PT9_S3_lS5_S3_lPT10_S3_li, .Lfunc_end391-_ZL37rocblas_syrkx_herkx_restricted_kernelIi19rocblas_complex_numIdELi16ELi32ELi8ELi1ELi1ELb1ELc67ELc85EKS1_S1_EviT_PT9_S3_lS5_S3_lPT10_S3_li
                                        ; -- End function
	.section	.AMDGPU.csdata,"",@progbits
; Kernel info:
; codeLenInByte = 3384
; NumSgprs: 22
; NumVgprs: 52
; ScratchSize: 0
; MemoryBound: 0
; FloatMode: 240
; IeeeMode: 1
; LDSByteSize: 8192 bytes/workgroup (compile time only)
; SGPRBlocks: 2
; VGPRBlocks: 6
; NumSGPRsForWavesPerEU: 22
; NumVGPRsForWavesPerEU: 52
; Occupancy: 16
; WaveLimiterHint : 0
; COMPUTE_PGM_RSRC2:SCRATCH_EN: 0
; COMPUTE_PGM_RSRC2:USER_SGPR: 13
; COMPUTE_PGM_RSRC2:TRAP_HANDLER: 0
; COMPUTE_PGM_RSRC2:TGID_X_EN: 1
; COMPUTE_PGM_RSRC2:TGID_Y_EN: 1
; COMPUTE_PGM_RSRC2:TGID_Z_EN: 1
; COMPUTE_PGM_RSRC2:TIDIG_COMP_CNT: 1
	.section	.text._ZL37rocblas_syrkx_herkx_restricted_kernelIi19rocblas_complex_numIdELi16ELi32ELi8ELi1ELi1ELb1ELc78ELc85EKS1_S1_EviT_PT9_S3_lS5_S3_lPT10_S3_li,"axG",@progbits,_ZL37rocblas_syrkx_herkx_restricted_kernelIi19rocblas_complex_numIdELi16ELi32ELi8ELi1ELi1ELb1ELc78ELc85EKS1_S1_EviT_PT9_S3_lS5_S3_lPT10_S3_li,comdat
	.globl	_ZL37rocblas_syrkx_herkx_restricted_kernelIi19rocblas_complex_numIdELi16ELi32ELi8ELi1ELi1ELb1ELc78ELc85EKS1_S1_EviT_PT9_S3_lS5_S3_lPT10_S3_li ; -- Begin function _ZL37rocblas_syrkx_herkx_restricted_kernelIi19rocblas_complex_numIdELi16ELi32ELi8ELi1ELi1ELb1ELc78ELc85EKS1_S1_EviT_PT9_S3_lS5_S3_lPT10_S3_li
	.p2align	8
	.type	_ZL37rocblas_syrkx_herkx_restricted_kernelIi19rocblas_complex_numIdELi16ELi32ELi8ELi1ELi1ELb1ELc78ELc85EKS1_S1_EviT_PT9_S3_lS5_S3_lPT10_S3_li,@function
_ZL37rocblas_syrkx_herkx_restricted_kernelIi19rocblas_complex_numIdELi16ELi32ELi8ELi1ELi1ELb1ELc78ELc85EKS1_S1_EviT_PT9_S3_lS5_S3_lPT10_S3_li: ; @_ZL37rocblas_syrkx_herkx_restricted_kernelIi19rocblas_complex_numIdELi16ELi32ELi8ELi1ELi1ELb1ELc78ELc85EKS1_S1_EviT_PT9_S3_lS5_S3_lPT10_S3_li
; %bb.0:
	s_clause 0x1
	s_load_b64 s[2:3], s[0:1], 0x0
	s_load_b128 s[4:7], s[0:1], 0x30
	v_mov_b32_e32 v16, 0
	v_dual_mov_b32 v17, 0 :: v_dual_and_b32 v20, 0x3ff, v0
	v_bfe_u32 v21, v0, 10, 10
	s_delay_alu instid0(VALU_DEP_3) | instskip(NEXT) | instid1(VALU_DEP_3)
	v_mov_b32_e32 v4, v16
	v_dual_mov_b32 v6, v16 :: v_dual_mov_b32 v7, v17
	v_dual_mov_b32 v19, v17 :: v_dual_mov_b32 v18, v16
	;; [unrolled: 1-line block ×6, first 2 shown]
	v_mov_b32_e32 v9, v17
	s_lshl_b32 s12, s13, 5
	s_lshl_b32 s13, s14, 5
	s_waitcnt lgkmcnt(0)
	s_cmp_lt_i32 s3, 1
	s_mov_b32 s14, 0
	s_cbranch_scc1 .LBB392_3
; %bb.1:
	v_lshl_add_u32 v0, v21, 4, v20
	v_and_b32_e32 v6, 7, v20
	s_clause 0x3
	s_load_b32 s16, s[0:1], 0x10
	s_load_b32 s18, s[0:1], 0x28
	s_load_b128 s[8:11], s[0:1], 0x18
	s_load_b64 s[20:21], s[0:1], 0x8
	v_lshrrev_b32_e32 v1, 3, v0
	v_lshlrev_b32_e32 v3, 4, v6
	v_lshrrev_b32_e32 v7, 5, v0
	s_mul_i32 s5, s5, s15
	v_lshl_add_u32 v25, v21, 7, 0x1000
	s_delay_alu instid0(VALU_DEP_3) | instskip(NEXT) | instid1(VALU_DEP_1)
	v_lshl_or_b32 v8, v1, 7, v3
	v_dual_mov_b32 v8, 0 :: v_dual_add_nc_u32 v23, 0x1000, v8
	v_dual_mov_b32 v9, 0 :: v_dual_and_b32 v2, 31, v0
	v_add_nc_u32_e32 v0, s13, v1
	s_waitcnt lgkmcnt(0)
	s_ashr_i32 s17, s16, 31
	s_ashr_i32 s19, s18, 31
	v_mov_b32_e32 v15, v9
	v_dual_mov_b32 v11, v9 :: v_dual_lshlrev_b32 v4, 4, v2
	v_dual_mov_b32 v13, v9 :: v_dual_add_nc_u32 v2, s12, v2
	v_ashrrev_i32_e32 v1, 31, v0
	s_mul_i32 s9, s9, s15
	s_delay_alu instid0(VALU_DEP_3)
	v_lshl_or_b32 v22, v7, 9, v4
	s_mul_hi_u32 s22, s8, s15
	v_ashrrev_i32_e32 v3, 31, v2
	v_mad_i64_i32 v[4:5], null, s18, v6, v[0:1]
	s_add_i32 s9, s22, s9
	s_mul_i32 s8, s8, s15
	s_delay_alu instid0(VALU_DEP_2)
	v_mad_i64_i32 v[0:1], null, s16, v7, v[2:3]
	s_lshl_b64 s[8:9], s[8:9], 4
	v_dual_mov_b32 v14, v8 :: v_dual_mov_b32 v19, v9
	s_add_u32 s8, s20, s8
	s_addc_u32 s9, s21, s9
	s_mul_hi_u32 s20, s4, s15
	s_delay_alu instid0(VALU_DEP_2) | instskip(SKIP_4) | instid1(VALU_DEP_3)
	v_lshlrev_b64 v[0:1], 4, v[0:1]
	s_add_i32 s5, s20, s5
	s_mul_i32 s4, s4, s15
	v_dual_mov_b32 v12, v8 :: v_dual_mov_b32 v17, v9
	v_mov_b32_e32 v6, v8
	v_add_co_u32 v2, vcc_lo, s8, v0
	v_add_co_ci_u32_e32 v3, vcc_lo, s9, v1, vcc_lo
	v_lshlrev_b64 v[0:1], 4, v[4:5]
	s_lshl_b64 s[8:9], s[4:5], 4
	s_lshl_b64 s[4:5], s[16:17], 7
	s_add_u32 s8, s10, s8
	s_addc_u32 s9, s11, s9
	v_lshlrev_b32_e32 v24, 4, v20
	v_add_co_u32 v4, vcc_lo, s8, v0
	v_add_co_ci_u32_e32 v5, vcc_lo, s9, v1, vcc_lo
	v_add_co_u32 v0, vcc_lo, v2, 8
	v_add_co_ci_u32_e32 v1, vcc_lo, 0, v3, vcc_lo
	s_delay_alu instid0(VALU_DEP_4) | instskip(NEXT) | instid1(VALU_DEP_4)
	v_add_co_u32 v2, vcc_lo, v4, 8
	v_add_co_ci_u32_e32 v3, vcc_lo, 0, v5, vcc_lo
	v_dual_mov_b32 v4, v8 :: v_dual_mov_b32 v5, v9
	v_dual_mov_b32 v10, v8 :: v_dual_mov_b32 v7, v9
	v_mov_b32_e32 v18, v8
	v_mov_b32_e32 v16, v8
	s_lshl_b64 s[8:9], s[18:19], 7
.LBB392_2:                              ; =>This Inner Loop Header: Depth=1
	global_load_b128 v[26:29], v[0:1], off offset:-8
	v_add_co_u32 v0, vcc_lo, v0, s4
	v_add_co_ci_u32_e32 v1, vcc_lo, s5, v1, vcc_lo
	s_add_i32 s14, s14, 8
	s_delay_alu instid0(SALU_CYCLE_1)
	s_cmp_ge_i32 s14, s3
	s_waitcnt vmcnt(0)
	ds_store_b128 v22, v[26:29]
	global_load_b128 v[26:29], v[2:3], off offset:-8
	v_add_co_u32 v2, vcc_lo, v2, s8
	v_add_co_ci_u32_e32 v3, vcc_lo, s9, v3, vcc_lo
	s_waitcnt vmcnt(0)
	v_xor_b32_e32 v29, 0x80000000, v29
	ds_store_b128 v23, v[26:29]
	s_waitcnt lgkmcnt(0)
	s_barrier
	buffer_gl0_inv
	ds_load_b128 v[26:29], v25
	ds_load_b128 v[30:33], v25 offset:16
	ds_load_b128 v[34:37], v25 offset:32
	;; [unrolled: 1-line block ×3, first 2 shown]
	ds_load_b128 v[42:45], v24
	s_waitcnt lgkmcnt(0)
	v_mul_f64 v[46:47], v[28:29], v[44:45]
	v_mul_f64 v[48:49], v[26:27], v[44:45]
	s_delay_alu instid0(VALU_DEP_2) | instskip(NEXT) | instid1(VALU_DEP_2)
	v_fma_f64 v[46:47], v[26:27], v[42:43], -v[46:47]
	v_fma_f64 v[48:49], v[28:29], v[42:43], v[48:49]
	s_delay_alu instid0(VALU_DEP_2) | instskip(NEXT) | instid1(VALU_DEP_2)
	v_add_f64 v[46:47], v[16:17], v[46:47]
	v_add_f64 v[48:49], v[18:19], v[48:49]
	ds_load_b128 v[16:19], v24 offset:256
	s_waitcnt lgkmcnt(0)
	v_mul_f64 v[50:51], v[28:29], v[18:19]
	s_delay_alu instid0(VALU_DEP_1) | instskip(SKIP_1) | instid1(VALU_DEP_1)
	v_fma_f64 v[50:51], v[26:27], v[16:17], -v[50:51]
	v_mul_f64 v[26:27], v[26:27], v[18:19]
	v_fma_f64 v[26:27], v[28:29], v[16:17], v[26:27]
	s_delay_alu instid0(VALU_DEP_3) | instskip(NEXT) | instid1(VALU_DEP_2)
	v_add_f64 v[28:29], v[4:5], v[50:51]
	v_add_f64 v[26:27], v[6:7], v[26:27]
	ds_load_b128 v[4:7], v25 offset:2048
	s_waitcnt lgkmcnt(0)
	v_mul_f64 v[50:51], v[6:7], v[44:45]
	v_mul_f64 v[44:45], v[4:5], v[44:45]
	s_delay_alu instid0(VALU_DEP_2) | instskip(NEXT) | instid1(VALU_DEP_2)
	v_fma_f64 v[50:51], v[4:5], v[42:43], -v[50:51]
	v_fma_f64 v[42:43], v[6:7], v[42:43], v[44:45]
	s_delay_alu instid0(VALU_DEP_2) | instskip(SKIP_1) | instid1(VALU_DEP_3)
	v_add_f64 v[44:45], v[12:13], v[50:51]
	v_mul_f64 v[12:13], v[6:7], v[18:19]
	v_add_f64 v[42:43], v[14:15], v[42:43]
	s_delay_alu instid0(VALU_DEP_2) | instskip(SKIP_1) | instid1(VALU_DEP_1)
	v_fma_f64 v[12:13], v[4:5], v[16:17], -v[12:13]
	v_mul_f64 v[4:5], v[4:5], v[18:19]
	v_fma_f64 v[4:5], v[6:7], v[16:17], v[4:5]
	s_delay_alu instid0(VALU_DEP_3) | instskip(NEXT) | instid1(VALU_DEP_2)
	v_add_f64 v[16:17], v[10:11], v[12:13]
	v_add_f64 v[18:19], v[8:9], v[4:5]
	ds_load_b128 v[4:7], v24 offset:512
	s_waitcnt lgkmcnt(0)
	v_mul_f64 v[8:9], v[32:33], v[6:7]
	v_mul_f64 v[10:11], v[30:31], v[6:7]
	s_delay_alu instid0(VALU_DEP_2) | instskip(NEXT) | instid1(VALU_DEP_2)
	v_fma_f64 v[8:9], v[30:31], v[4:5], -v[8:9]
	v_fma_f64 v[10:11], v[32:33], v[4:5], v[10:11]
	s_delay_alu instid0(VALU_DEP_2) | instskip(NEXT) | instid1(VALU_DEP_2)
	v_add_f64 v[46:47], v[46:47], v[8:9]
	v_add_f64 v[48:49], v[48:49], v[10:11]
	ds_load_b128 v[8:11], v24 offset:768
	s_waitcnt lgkmcnt(0)
	v_mul_f64 v[12:13], v[32:33], v[10:11]
	v_mul_f64 v[14:15], v[30:31], v[10:11]
	s_delay_alu instid0(VALU_DEP_2) | instskip(NEXT) | instid1(VALU_DEP_2)
	v_fma_f64 v[12:13], v[30:31], v[8:9], -v[12:13]
	v_fma_f64 v[14:15], v[32:33], v[8:9], v[14:15]
	s_delay_alu instid0(VALU_DEP_2) | instskip(NEXT) | instid1(VALU_DEP_2)
	v_add_f64 v[28:29], v[28:29], v[12:13]
	v_add_f64 v[26:27], v[26:27], v[14:15]
	ds_load_b128 v[12:15], v25 offset:2064
	s_waitcnt lgkmcnt(0)
	v_mul_f64 v[30:31], v[14:15], v[6:7]
	v_mul_f64 v[6:7], v[12:13], v[6:7]
	s_delay_alu instid0(VALU_DEP_2) | instskip(NEXT) | instid1(VALU_DEP_2)
	v_fma_f64 v[30:31], v[12:13], v[4:5], -v[30:31]
	v_fma_f64 v[4:5], v[14:15], v[4:5], v[6:7]
	v_mul_f64 v[6:7], v[12:13], v[10:11]
	s_delay_alu instid0(VALU_DEP_3) | instskip(NEXT) | instid1(VALU_DEP_3)
	v_add_f64 v[30:31], v[44:45], v[30:31]
	v_add_f64 v[32:33], v[42:43], v[4:5]
	v_mul_f64 v[4:5], v[14:15], v[10:11]
	s_delay_alu instid0(VALU_DEP_4) | instskip(NEXT) | instid1(VALU_DEP_2)
	v_fma_f64 v[6:7], v[14:15], v[8:9], v[6:7]
	v_fma_f64 v[4:5], v[12:13], v[8:9], -v[4:5]
	s_delay_alu instid0(VALU_DEP_2) | instskip(NEXT) | instid1(VALU_DEP_2)
	v_add_f64 v[18:19], v[18:19], v[6:7]
	v_add_f64 v[16:17], v[16:17], v[4:5]
	ds_load_b128 v[4:7], v24 offset:1024
	s_waitcnt lgkmcnt(0)
	v_mul_f64 v[8:9], v[36:37], v[6:7]
	v_mul_f64 v[10:11], v[34:35], v[6:7]
	s_delay_alu instid0(VALU_DEP_2) | instskip(NEXT) | instid1(VALU_DEP_2)
	v_fma_f64 v[8:9], v[34:35], v[4:5], -v[8:9]
	v_fma_f64 v[10:11], v[36:37], v[4:5], v[10:11]
	s_delay_alu instid0(VALU_DEP_2) | instskip(NEXT) | instid1(VALU_DEP_2)
	v_add_f64 v[42:43], v[46:47], v[8:9]
	v_add_f64 v[44:45], v[48:49], v[10:11]
	ds_load_b128 v[8:11], v24 offset:1280
	s_waitcnt lgkmcnt(0)
	v_mul_f64 v[12:13], v[36:37], v[10:11]
	v_mul_f64 v[14:15], v[34:35], v[10:11]
	s_delay_alu instid0(VALU_DEP_2) | instskip(NEXT) | instid1(VALU_DEP_2)
	v_fma_f64 v[12:13], v[34:35], v[8:9], -v[12:13]
	v_fma_f64 v[14:15], v[36:37], v[8:9], v[14:15]
	s_delay_alu instid0(VALU_DEP_2) | instskip(NEXT) | instid1(VALU_DEP_2)
	v_add_f64 v[28:29], v[28:29], v[12:13]
	v_add_f64 v[26:27], v[26:27], v[14:15]
	ds_load_b128 v[12:15], v25 offset:2080
	s_waitcnt lgkmcnt(0)
	v_mul_f64 v[34:35], v[14:15], v[6:7]
	v_mul_f64 v[6:7], v[12:13], v[6:7]
	s_delay_alu instid0(VALU_DEP_2) | instskip(NEXT) | instid1(VALU_DEP_2)
	v_fma_f64 v[34:35], v[12:13], v[4:5], -v[34:35]
	v_fma_f64 v[4:5], v[14:15], v[4:5], v[6:7]
	v_mul_f64 v[6:7], v[12:13], v[10:11]
	s_delay_alu instid0(VALU_DEP_3) | instskip(NEXT) | instid1(VALU_DEP_3)
	v_add_f64 v[30:31], v[30:31], v[34:35]
	v_add_f64 v[32:33], v[32:33], v[4:5]
	v_mul_f64 v[4:5], v[14:15], v[10:11]
	s_delay_alu instid0(VALU_DEP_4) | instskip(NEXT) | instid1(VALU_DEP_2)
	v_fma_f64 v[6:7], v[14:15], v[8:9], v[6:7]
	v_fma_f64 v[4:5], v[12:13], v[8:9], -v[4:5]
	s_delay_alu instid0(VALU_DEP_2) | instskip(NEXT) | instid1(VALU_DEP_2)
	;; [unrolled: 38-line block ×3, first 2 shown]
	v_add_f64 v[18:19], v[18:19], v[6:7]
	v_add_f64 v[16:17], v[16:17], v[4:5]
	ds_load_b128 v[4:7], v25 offset:64
	ds_load_b128 v[8:11], v24 offset:2048
	s_waitcnt lgkmcnt(0)
	v_mul_f64 v[12:13], v[6:7], v[10:11]
	v_mul_f64 v[14:15], v[4:5], v[10:11]
	s_delay_alu instid0(VALU_DEP_2) | instskip(NEXT) | instid1(VALU_DEP_2)
	v_fma_f64 v[12:13], v[4:5], v[8:9], -v[12:13]
	v_fma_f64 v[14:15], v[6:7], v[8:9], v[14:15]
	s_delay_alu instid0(VALU_DEP_2) | instskip(NEXT) | instid1(VALU_DEP_2)
	v_add_f64 v[34:35], v[34:35], v[12:13]
	v_add_f64 v[36:37], v[36:37], v[14:15]
	ds_load_b128 v[12:15], v24 offset:2304
	s_waitcnt lgkmcnt(0)
	v_mul_f64 v[38:39], v[6:7], v[14:15]
	s_delay_alu instid0(VALU_DEP_1) | instskip(SKIP_1) | instid1(VALU_DEP_2)
	v_fma_f64 v[38:39], v[4:5], v[12:13], -v[38:39]
	v_mul_f64 v[4:5], v[4:5], v[14:15]
	v_add_f64 v[28:29], v[28:29], v[38:39]
	s_delay_alu instid0(VALU_DEP_2) | instskip(NEXT) | instid1(VALU_DEP_1)
	v_fma_f64 v[4:5], v[6:7], v[12:13], v[4:5]
	v_add_f64 v[26:27], v[26:27], v[4:5]
	ds_load_b128 v[4:7], v25 offset:2112
	s_waitcnt lgkmcnt(0)
	v_mul_f64 v[38:39], v[6:7], v[10:11]
	v_mul_f64 v[10:11], v[4:5], v[10:11]
	s_delay_alu instid0(VALU_DEP_2) | instskip(NEXT) | instid1(VALU_DEP_2)
	v_fma_f64 v[38:39], v[4:5], v[8:9], -v[38:39]
	v_fma_f64 v[8:9], v[6:7], v[8:9], v[10:11]
	s_delay_alu instid0(VALU_DEP_2) | instskip(NEXT) | instid1(VALU_DEP_2)
	v_add_f64 v[30:31], v[30:31], v[38:39]
	v_add_f64 v[32:33], v[32:33], v[8:9]
	v_mul_f64 v[8:9], v[6:7], v[14:15]
	s_delay_alu instid0(VALU_DEP_1) | instskip(SKIP_1) | instid1(VALU_DEP_2)
	v_fma_f64 v[8:9], v[4:5], v[12:13], -v[8:9]
	v_mul_f64 v[4:5], v[4:5], v[14:15]
	v_add_f64 v[16:17], v[16:17], v[8:9]
	s_delay_alu instid0(VALU_DEP_2) | instskip(NEXT) | instid1(VALU_DEP_1)
	v_fma_f64 v[4:5], v[6:7], v[12:13], v[4:5]
	v_add_f64 v[18:19], v[18:19], v[4:5]
	ds_load_b128 v[4:7], v25 offset:80
	ds_load_b128 v[8:11], v24 offset:2560
	s_waitcnt lgkmcnt(0)
	v_mul_f64 v[12:13], v[6:7], v[10:11]
	v_mul_f64 v[14:15], v[4:5], v[10:11]
	s_delay_alu instid0(VALU_DEP_2) | instskip(NEXT) | instid1(VALU_DEP_2)
	v_fma_f64 v[12:13], v[4:5], v[8:9], -v[12:13]
	v_fma_f64 v[14:15], v[6:7], v[8:9], v[14:15]
	s_delay_alu instid0(VALU_DEP_2) | instskip(NEXT) | instid1(VALU_DEP_2)
	v_add_f64 v[34:35], v[34:35], v[12:13]
	v_add_f64 v[36:37], v[36:37], v[14:15]
	ds_load_b128 v[12:15], v24 offset:2816
	s_waitcnt lgkmcnt(0)
	v_mul_f64 v[38:39], v[6:7], v[14:15]
	s_delay_alu instid0(VALU_DEP_1) | instskip(SKIP_1) | instid1(VALU_DEP_2)
	v_fma_f64 v[38:39], v[4:5], v[12:13], -v[38:39]
	v_mul_f64 v[4:5], v[4:5], v[14:15]
	v_add_f64 v[28:29], v[28:29], v[38:39]
	s_delay_alu instid0(VALU_DEP_2) | instskip(NEXT) | instid1(VALU_DEP_1)
	v_fma_f64 v[4:5], v[6:7], v[12:13], v[4:5]
	v_add_f64 v[26:27], v[26:27], v[4:5]
	ds_load_b128 v[4:7], v25 offset:2128
	s_waitcnt lgkmcnt(0)
	v_mul_f64 v[38:39], v[6:7], v[10:11]
	v_mul_f64 v[10:11], v[4:5], v[10:11]
	s_delay_alu instid0(VALU_DEP_2) | instskip(NEXT) | instid1(VALU_DEP_2)
	v_fma_f64 v[38:39], v[4:5], v[8:9], -v[38:39]
	v_fma_f64 v[8:9], v[6:7], v[8:9], v[10:11]
	s_delay_alu instid0(VALU_DEP_2) | instskip(NEXT) | instid1(VALU_DEP_2)
	v_add_f64 v[30:31], v[30:31], v[38:39]
	v_add_f64 v[32:33], v[32:33], v[8:9]
	v_mul_f64 v[8:9], v[6:7], v[14:15]
	s_delay_alu instid0(VALU_DEP_1) | instskip(SKIP_1) | instid1(VALU_DEP_2)
	v_fma_f64 v[8:9], v[4:5], v[12:13], -v[8:9]
	v_mul_f64 v[4:5], v[4:5], v[14:15]
	v_add_f64 v[16:17], v[16:17], v[8:9]
	s_delay_alu instid0(VALU_DEP_2) | instskip(NEXT) | instid1(VALU_DEP_1)
	v_fma_f64 v[4:5], v[6:7], v[12:13], v[4:5]
	;; [unrolled: 39-line block ×3, first 2 shown]
	v_add_f64 v[48:49], v[18:19], v[4:5]
	ds_load_b128 v[4:7], v25 offset:112
	ds_load_b128 v[8:11], v24 offset:3584
	ds_load_b128 v[26:29], v24 offset:3840
	ds_load_b128 v[30:33], v25 offset:2160
	s_waitcnt lgkmcnt(0)
	s_barrier
	buffer_gl0_inv
	v_mul_f64 v[12:13], v[6:7], v[10:11]
	v_mul_f64 v[14:15], v[4:5], v[10:11]
	s_delay_alu instid0(VALU_DEP_2) | instskip(NEXT) | instid1(VALU_DEP_2)
	v_fma_f64 v[12:13], v[4:5], v[8:9], -v[12:13]
	v_fma_f64 v[14:15], v[6:7], v[8:9], v[14:15]
	s_delay_alu instid0(VALU_DEP_2) | instskip(SKIP_1) | instid1(VALU_DEP_3)
	v_add_f64 v[16:17], v[34:35], v[12:13]
	v_mul_f64 v[12:13], v[6:7], v[28:29]
	v_add_f64 v[18:19], v[36:37], v[14:15]
	s_delay_alu instid0(VALU_DEP_2) | instskip(SKIP_1) | instid1(VALU_DEP_1)
	v_fma_f64 v[12:13], v[4:5], v[26:27], -v[12:13]
	v_mul_f64 v[4:5], v[4:5], v[28:29]
	v_fma_f64 v[6:7], v[6:7], v[26:27], v[4:5]
	s_delay_alu instid0(VALU_DEP_3) | instskip(SKIP_2) | instid1(VALU_DEP_4)
	v_add_f64 v[4:5], v[38:39], v[12:13]
	v_mul_f64 v[12:13], v[32:33], v[10:11]
	v_mul_f64 v[10:11], v[30:31], v[10:11]
	v_add_f64 v[6:7], v[40:41], v[6:7]
	s_delay_alu instid0(VALU_DEP_3) | instskip(NEXT) | instid1(VALU_DEP_3)
	v_fma_f64 v[12:13], v[30:31], v[8:9], -v[12:13]
	v_fma_f64 v[8:9], v[32:33], v[8:9], v[10:11]
	v_mul_f64 v[10:11], v[30:31], v[28:29]
	s_delay_alu instid0(VALU_DEP_3) | instskip(NEXT) | instid1(VALU_DEP_3)
	v_add_f64 v[12:13], v[42:43], v[12:13]
	v_add_f64 v[14:15], v[44:45], v[8:9]
	v_mul_f64 v[8:9], v[32:33], v[28:29]
	s_delay_alu instid0(VALU_DEP_1) | instskip(SKIP_1) | instid1(VALU_DEP_2)
	v_fma_f64 v[8:9], v[30:31], v[26:27], -v[8:9]
	v_fma_f64 v[26:27], v[32:33], v[26:27], v[10:11]
	v_add_f64 v[10:11], v[46:47], v[8:9]
	s_delay_alu instid0(VALU_DEP_2)
	v_add_f64 v[8:9], v[48:49], v[26:27]
	s_cbranch_scc0 .LBB392_2
.LBB392_3:
	s_clause 0x1
	s_load_b32 s3, s[0:1], 0x40
	s_load_b64 s[0:1], s[0:1], 0x48
	v_add_nc_u32_e32 v21, s13, v21
	v_add_nc_u32_e32 v0, s12, v20
	s_delay_alu instid0(VALU_DEP_2)
	v_cmp_gt_i32_e32 vcc_lo, s2, v21
	s_waitcnt lgkmcnt(0)
	v_mad_i64_i32 v[1:2], null, v21, s3, 0
	s_mul_i32 s1, s15, s1
	s_mul_hi_u32 s4, s15, s0
	s_mul_i32 s0, s15, s0
	s_add_i32 s1, s4, s1
	s_delay_alu instid0(SALU_CYCLE_1) | instskip(NEXT) | instid1(VALU_DEP_1)
	s_lshl_b64 s[4:5], s[0:1], 4
	v_lshlrev_b64 v[1:2], 4, v[1:2]
	s_add_u32 s4, s6, s4
	v_cmp_le_i32_e64 s0, v0, v21
	s_addc_u32 s5, s7, s5
	s_delay_alu instid0(VALU_DEP_2) | instskip(NEXT) | instid1(VALU_DEP_1)
	v_add_co_u32 v20, s1, s4, v1
	v_add_co_ci_u32_e64 v22, s1, s5, v2, s1
	s_delay_alu instid0(VALU_DEP_3) | instskip(NEXT) | instid1(SALU_CYCLE_1)
	s_and_b32 s0, vcc_lo, s0
	s_and_saveexec_b32 s1, s0
	s_cbranch_execz .LBB392_5
; %bb.4:
	v_ashrrev_i32_e32 v1, 31, v0
	s_delay_alu instid0(VALU_DEP_1) | instskip(NEXT) | instid1(VALU_DEP_1)
	v_lshlrev_b64 v[1:2], 4, v[0:1]
	v_add_co_u32 v1, s0, v20, v1
	s_delay_alu instid0(VALU_DEP_1)
	v_add_co_ci_u32_e64 v2, s0, v22, v2, s0
	v_cmp_ne_u32_e64 s0, v21, v0
	global_load_b128 v[23:26], v[1:2], off
	s_waitcnt vmcnt(0)
	v_add_f64 v[18:19], v[18:19], v[25:26]
	v_add_f64 v[16:17], v[16:17], v[23:24]
	s_delay_alu instid0(VALU_DEP_2) | instskip(NEXT) | instid1(VALU_DEP_3)
	v_cndmask_b32_e64 v19, 0, v19, s0
	v_cndmask_b32_e64 v18, 0, v18, s0
	global_store_b128 v[1:2], v[16:19], off
.LBB392_5:
	s_or_b32 exec_lo, exec_lo, s1
	v_add_nc_u32_e32 v2, 16, v0
	s_delay_alu instid0(VALU_DEP_1) | instskip(NEXT) | instid1(VALU_DEP_1)
	v_cmp_le_i32_e64 s0, v2, v21
	s_and_b32 s1, vcc_lo, s0
	s_delay_alu instid0(SALU_CYCLE_1)
	s_and_saveexec_b32 s0, s1
	s_cbranch_execz .LBB392_7
; %bb.6:
	v_ashrrev_i32_e32 v3, 31, v2
	s_delay_alu instid0(VALU_DEP_1) | instskip(NEXT) | instid1(VALU_DEP_1)
	v_lshlrev_b64 v[16:17], 4, v[2:3]
	v_add_co_u32 v23, vcc_lo, v20, v16
	s_delay_alu instid0(VALU_DEP_2)
	v_add_co_ci_u32_e32 v24, vcc_lo, v22, v17, vcc_lo
	v_cmp_ne_u32_e32 vcc_lo, v21, v2
	global_load_b128 v[16:19], v[23:24], off
	s_waitcnt vmcnt(0)
	v_add_f64 v[18:19], v[6:7], v[18:19]
	v_add_f64 v[3:4], v[4:5], v[16:17]
	s_delay_alu instid0(VALU_DEP_2)
	v_dual_cndmask_b32 v6, 0, v19 :: v_dual_cndmask_b32 v5, 0, v18
	global_store_b128 v[23:24], v[3:6], off
.LBB392_7:
	s_or_b32 exec_lo, exec_lo, s0
	v_add_nc_u32_e32 v3, 16, v21
	s_delay_alu instid0(VALU_DEP_1) | instskip(SKIP_2) | instid1(VALU_DEP_1)
	v_mad_i64_i32 v[4:5], null, v3, s3, 0
	v_cmp_gt_i32_e32 vcc_lo, s2, v3
	v_cmp_le_i32_e64 s0, v0, v3
	s_and_b32 s0, vcc_lo, s0
	s_delay_alu instid0(VALU_DEP_3) | instskip(NEXT) | instid1(VALU_DEP_1)
	v_lshlrev_b64 v[4:5], 4, v[4:5]
	v_add_co_u32 v4, s1, s4, v4
	s_delay_alu instid0(VALU_DEP_1)
	v_add_co_ci_u32_e64 v5, s1, s5, v5, s1
	s_and_saveexec_b32 s1, s0
	s_cbranch_execz .LBB392_9
; %bb.8:
	v_ashrrev_i32_e32 v1, 31, v0
	s_delay_alu instid0(VALU_DEP_1) | instskip(NEXT) | instid1(VALU_DEP_1)
	v_lshlrev_b64 v[6:7], 4, v[0:1]
	v_add_co_u32 v6, s0, v4, v6
	s_delay_alu instid0(VALU_DEP_1)
	v_add_co_ci_u32_e64 v7, s0, v5, v7, s0
	v_cmp_ne_u32_e64 s0, v3, v0
	global_load_b128 v[16:19], v[6:7], off
	s_waitcnt vmcnt(0)
	v_add_f64 v[14:15], v[14:15], v[18:19]
	v_add_f64 v[12:13], v[12:13], v[16:17]
	s_delay_alu instid0(VALU_DEP_2) | instskip(NEXT) | instid1(VALU_DEP_3)
	v_cndmask_b32_e64 v15, 0, v15, s0
	v_cndmask_b32_e64 v14, 0, v14, s0
	global_store_b128 v[6:7], v[12:15], off
.LBB392_9:
	s_or_b32 exec_lo, exec_lo, s1
	v_cmp_le_i32_e64 s0, v2, v3
	s_delay_alu instid0(VALU_DEP_1) | instskip(NEXT) | instid1(SALU_CYCLE_1)
	s_and_b32 s0, vcc_lo, s0
	s_and_saveexec_b32 s1, s0
	s_cbranch_execz .LBB392_11
; %bb.10:
	v_ashrrev_i32_e32 v3, 31, v2
	s_delay_alu instid0(VALU_DEP_1) | instskip(NEXT) | instid1(VALU_DEP_1)
	v_lshlrev_b64 v[1:2], 4, v[2:3]
	v_add_co_u32 v6, vcc_lo, v4, v1
	s_delay_alu instid0(VALU_DEP_2)
	v_add_co_ci_u32_e32 v7, vcc_lo, v5, v2, vcc_lo
	v_cmp_ne_u32_e32 vcc_lo, v21, v0
	global_load_b128 v[1:4], v[6:7], off
	s_waitcnt vmcnt(0)
	v_add_f64 v[3:4], v[8:9], v[3:4]
	v_add_f64 v[1:2], v[10:11], v[1:2]
	s_delay_alu instid0(VALU_DEP_2)
	v_dual_cndmask_b32 v4, 0, v4 :: v_dual_cndmask_b32 v3, 0, v3
	global_store_b128 v[6:7], v[1:4], off
.LBB392_11:
	s_nop 0
	s_sendmsg sendmsg(MSG_DEALLOC_VGPRS)
	s_endpgm
	.section	.rodata,"a",@progbits
	.p2align	6, 0x0
	.amdhsa_kernel _ZL37rocblas_syrkx_herkx_restricted_kernelIi19rocblas_complex_numIdELi16ELi32ELi8ELi1ELi1ELb1ELc78ELc85EKS1_S1_EviT_PT9_S3_lS5_S3_lPT10_S3_li
		.amdhsa_group_segment_fixed_size 8192
		.amdhsa_private_segment_fixed_size 0
		.amdhsa_kernarg_size 84
		.amdhsa_user_sgpr_count 13
		.amdhsa_user_sgpr_dispatch_ptr 0
		.amdhsa_user_sgpr_queue_ptr 0
		.amdhsa_user_sgpr_kernarg_segment_ptr 1
		.amdhsa_user_sgpr_dispatch_id 0
		.amdhsa_user_sgpr_private_segment_size 0
		.amdhsa_wavefront_size32 1
		.amdhsa_uses_dynamic_stack 0
		.amdhsa_enable_private_segment 0
		.amdhsa_system_sgpr_workgroup_id_x 1
		.amdhsa_system_sgpr_workgroup_id_y 1
		.amdhsa_system_sgpr_workgroup_id_z 1
		.amdhsa_system_sgpr_workgroup_info 0
		.amdhsa_system_vgpr_workitem_id 1
		.amdhsa_next_free_vgpr 52
		.amdhsa_next_free_sgpr 23
		.amdhsa_reserve_vcc 1
		.amdhsa_float_round_mode_32 0
		.amdhsa_float_round_mode_16_64 0
		.amdhsa_float_denorm_mode_32 3
		.amdhsa_float_denorm_mode_16_64 3
		.amdhsa_dx10_clamp 1
		.amdhsa_ieee_mode 1
		.amdhsa_fp16_overflow 0
		.amdhsa_workgroup_processor_mode 1
		.amdhsa_memory_ordered 1
		.amdhsa_forward_progress 0
		.amdhsa_shared_vgpr_count 0
		.amdhsa_exception_fp_ieee_invalid_op 0
		.amdhsa_exception_fp_denorm_src 0
		.amdhsa_exception_fp_ieee_div_zero 0
		.amdhsa_exception_fp_ieee_overflow 0
		.amdhsa_exception_fp_ieee_underflow 0
		.amdhsa_exception_fp_ieee_inexact 0
		.amdhsa_exception_int_div_zero 0
	.end_amdhsa_kernel
	.section	.text._ZL37rocblas_syrkx_herkx_restricted_kernelIi19rocblas_complex_numIdELi16ELi32ELi8ELi1ELi1ELb1ELc78ELc85EKS1_S1_EviT_PT9_S3_lS5_S3_lPT10_S3_li,"axG",@progbits,_ZL37rocblas_syrkx_herkx_restricted_kernelIi19rocblas_complex_numIdELi16ELi32ELi8ELi1ELi1ELb1ELc78ELc85EKS1_S1_EviT_PT9_S3_lS5_S3_lPT10_S3_li,comdat
.Lfunc_end392:
	.size	_ZL37rocblas_syrkx_herkx_restricted_kernelIi19rocblas_complex_numIdELi16ELi32ELi8ELi1ELi1ELb1ELc78ELc85EKS1_S1_EviT_PT9_S3_lS5_S3_lPT10_S3_li, .Lfunc_end392-_ZL37rocblas_syrkx_herkx_restricted_kernelIi19rocblas_complex_numIdELi16ELi32ELi8ELi1ELi1ELb1ELc78ELc85EKS1_S1_EviT_PT9_S3_lS5_S3_lPT10_S3_li
                                        ; -- End function
	.section	.AMDGPU.csdata,"",@progbits
; Kernel info:
; codeLenInByte = 3396
; NumSgprs: 25
; NumVgprs: 52
; ScratchSize: 0
; MemoryBound: 0
; FloatMode: 240
; IeeeMode: 1
; LDSByteSize: 8192 bytes/workgroup (compile time only)
; SGPRBlocks: 3
; VGPRBlocks: 6
; NumSGPRsForWavesPerEU: 25
; NumVGPRsForWavesPerEU: 52
; Occupancy: 16
; WaveLimiterHint : 0
; COMPUTE_PGM_RSRC2:SCRATCH_EN: 0
; COMPUTE_PGM_RSRC2:USER_SGPR: 13
; COMPUTE_PGM_RSRC2:TRAP_HANDLER: 0
; COMPUTE_PGM_RSRC2:TGID_X_EN: 1
; COMPUTE_PGM_RSRC2:TGID_Y_EN: 1
; COMPUTE_PGM_RSRC2:TGID_Z_EN: 1
; COMPUTE_PGM_RSRC2:TIDIG_COMP_CNT: 1
	.section	.text._ZL37rocblas_syrkx_herkx_restricted_kernelIi19rocblas_complex_numIdELi16ELi32ELi8ELi1ELin1ELb1ELc84ELc76EKS1_S1_EviT_PT9_S3_lS5_S3_lPT10_S3_li,"axG",@progbits,_ZL37rocblas_syrkx_herkx_restricted_kernelIi19rocblas_complex_numIdELi16ELi32ELi8ELi1ELin1ELb1ELc84ELc76EKS1_S1_EviT_PT9_S3_lS5_S3_lPT10_S3_li,comdat
	.globl	_ZL37rocblas_syrkx_herkx_restricted_kernelIi19rocblas_complex_numIdELi16ELi32ELi8ELi1ELin1ELb1ELc84ELc76EKS1_S1_EviT_PT9_S3_lS5_S3_lPT10_S3_li ; -- Begin function _ZL37rocblas_syrkx_herkx_restricted_kernelIi19rocblas_complex_numIdELi16ELi32ELi8ELi1ELin1ELb1ELc84ELc76EKS1_S1_EviT_PT9_S3_lS5_S3_lPT10_S3_li
	.p2align	8
	.type	_ZL37rocblas_syrkx_herkx_restricted_kernelIi19rocblas_complex_numIdELi16ELi32ELi8ELi1ELin1ELb1ELc84ELc76EKS1_S1_EviT_PT9_S3_lS5_S3_lPT10_S3_li,@function
_ZL37rocblas_syrkx_herkx_restricted_kernelIi19rocblas_complex_numIdELi16ELi32ELi8ELi1ELin1ELb1ELc84ELc76EKS1_S1_EviT_PT9_S3_lS5_S3_lPT10_S3_li: ; @_ZL37rocblas_syrkx_herkx_restricted_kernelIi19rocblas_complex_numIdELi16ELi32ELi8ELi1ELin1ELb1ELc84ELc76EKS1_S1_EviT_PT9_S3_lS5_S3_lPT10_S3_li
; %bb.0:
	s_clause 0x1
	s_load_b64 s[2:3], s[0:1], 0x0
	s_load_b128 s[4:7], s[0:1], 0x30
	v_mov_b32_e32 v16, 0
	v_dual_mov_b32 v17, 0 :: v_dual_and_b32 v20, 0x3ff, v0
	v_bfe_u32 v21, v0, 10, 10
	s_delay_alu instid0(VALU_DEP_3) | instskip(NEXT) | instid1(VALU_DEP_3)
	v_mov_b32_e32 v4, v16
	v_dual_mov_b32 v6, v16 :: v_dual_mov_b32 v7, v17
	v_dual_mov_b32 v19, v17 :: v_dual_mov_b32 v18, v16
	;; [unrolled: 1-line block ×6, first 2 shown]
	v_mov_b32_e32 v9, v17
	s_lshl_b32 s12, s13, 5
	s_lshl_b32 s13, s14, 5
	s_waitcnt lgkmcnt(0)
	s_cmp_lt_i32 s3, 1
	s_mov_b32 s14, 0
	s_cbranch_scc1 .LBB393_3
; %bb.1:
	s_clause 0x3
	s_load_b32 s18, s[0:1], 0x10
	s_load_b128 s[8:11], s[0:1], 0x18
	s_load_b64 s[16:17], s[0:1], 0x8
	s_load_b32 s19, s[0:1], 0x28
	v_lshl_add_u32 v2, v21, 4, v20
	v_dual_mov_b32 v1, 0 :: v_dual_and_b32 v0, 7, v20
	v_lshlrev_b32_e32 v22, 4, v20
	s_mul_i32 s5, s5, s15
	s_delay_alu instid0(VALU_DEP_3)
	v_lshrrev_b32_e32 v4, 3, v2
	v_and_b32_e32 v5, 31, v2
	v_lshlrev_b32_e32 v3, 4, v0
	v_lshrrev_b32_e32 v2, 5, v2
	v_lshl_add_u32 v25, v21, 7, 0x1000
	v_add_nc_u32_e32 v9, s13, v4
	v_add_nc_u32_e32 v8, s12, v5
	v_lshl_or_b32 v7, v4, 7, v3
	v_dual_mov_b32 v3, v1 :: v_dual_lshlrev_b32 v6, 4, v5
	s_waitcnt lgkmcnt(0)
	s_delay_alu instid0(VALU_DEP_1) | instskip(NEXT) | instid1(VALU_DEP_2)
	v_mad_i64_i32 v[4:5], null, s18, v8, v[2:3]
	v_lshl_or_b32 v23, v2, 9, v6
	s_mul_i32 s9, s9, s15
	s_mul_hi_u32 s18, s8, s15
	v_mad_i64_i32 v[2:3], null, s19, v9, v[0:1]
	s_mul_i32 s8, s8, s15
	s_add_i32 s9, s18, s9
	s_delay_alu instid0(VALU_DEP_3)
	v_lshlrev_b64 v[0:1], 4, v[4:5]
	s_lshl_b64 s[8:9], s[8:9], 4
	v_mov_b32_e32 v8, 0
	v_mov_b32_e32 v9, 0
	s_add_u32 s8, s16, s8
	s_mul_hi_u32 s16, s4, s15
	s_addc_u32 s9, s17, s9
	s_add_i32 s5, s16, s5
	s_mul_i32 s4, s4, s15
	v_lshlrev_b64 v[2:3], 4, v[2:3]
	s_lshl_b64 s[4:5], s[4:5], 4
	v_add_co_u32 v0, vcc_lo, s8, v0
	s_add_u32 s4, s10, s4
	v_add_co_ci_u32_e32 v1, vcc_lo, s9, v1, vcc_lo
	s_addc_u32 s5, s11, s5
	v_add_co_u32 v2, vcc_lo, s4, v2
	v_add_co_ci_u32_e32 v3, vcc_lo, s5, v3, vcc_lo
	v_add_co_u32 v0, vcc_lo, v0, 8
	v_add_co_ci_u32_e32 v1, vcc_lo, 0, v1, vcc_lo
	s_delay_alu instid0(VALU_DEP_4)
	v_add_co_u32 v2, vcc_lo, v2, 8
	v_dual_mov_b32 v11, v9 :: v_dual_add_nc_u32 v24, 0x1000, v7
	v_add_co_ci_u32_e32 v3, vcc_lo, 0, v3, vcc_lo
	v_dual_mov_b32 v10, v8 :: v_dual_mov_b32 v15, v9
	v_dual_mov_b32 v14, v8 :: v_dual_mov_b32 v13, v9
	v_mov_b32_e32 v12, v8
	v_dual_mov_b32 v6, v8 :: v_dual_mov_b32 v7, v9
	v_dual_mov_b32 v4, v8 :: v_dual_mov_b32 v5, v9
	;; [unrolled: 1-line block ×4, first 2 shown]
.LBB393_2:                              ; =>This Inner Loop Header: Depth=1
	global_load_b128 v[26:29], v[0:1], off offset:-8
	v_add_co_u32 v0, vcc_lo, 0x80, v0
	v_add_co_ci_u32_e32 v1, vcc_lo, 0, v1, vcc_lo
	s_add_i32 s14, s14, 8
	s_delay_alu instid0(SALU_CYCLE_1)
	s_cmp_ge_i32 s14, s3
	s_waitcnt vmcnt(0)
	ds_store_b128 v23, v[26:29]
	global_load_b128 v[26:29], v[2:3], off offset:-8
	v_add_co_u32 v2, vcc_lo, 0x80, v2
	v_add_co_ci_u32_e32 v3, vcc_lo, 0, v3, vcc_lo
	s_waitcnt vmcnt(0)
	ds_store_b128 v24, v[26:29]
	s_waitcnt lgkmcnt(0)
	s_barrier
	buffer_gl0_inv
	ds_load_b128 v[26:29], v25
	ds_load_b128 v[30:33], v25 offset:16
	ds_load_b128 v[34:37], v25 offset:32
	;; [unrolled: 1-line block ×3, first 2 shown]
	ds_load_b128 v[42:45], v22
	s_waitcnt lgkmcnt(0)
	v_mul_f64 v[46:47], v[28:29], v[44:45]
	v_mul_f64 v[48:49], v[26:27], v[44:45]
	s_delay_alu instid0(VALU_DEP_2) | instskip(NEXT) | instid1(VALU_DEP_2)
	v_fma_f64 v[46:47], v[26:27], v[42:43], -v[46:47]
	v_fma_f64 v[48:49], v[28:29], v[42:43], v[48:49]
	s_delay_alu instid0(VALU_DEP_2) | instskip(NEXT) | instid1(VALU_DEP_2)
	v_add_f64 v[46:47], v[16:17], v[46:47]
	v_add_f64 v[48:49], v[18:19], v[48:49]
	ds_load_b128 v[16:19], v22 offset:256
	s_waitcnt lgkmcnt(0)
	v_mul_f64 v[50:51], v[28:29], v[18:19]
	s_delay_alu instid0(VALU_DEP_1) | instskip(SKIP_1) | instid1(VALU_DEP_1)
	v_fma_f64 v[50:51], v[26:27], v[16:17], -v[50:51]
	v_mul_f64 v[26:27], v[26:27], v[18:19]
	v_fma_f64 v[26:27], v[28:29], v[16:17], v[26:27]
	s_delay_alu instid0(VALU_DEP_3) | instskip(NEXT) | instid1(VALU_DEP_2)
	v_add_f64 v[28:29], v[4:5], v[50:51]
	v_add_f64 v[26:27], v[6:7], v[26:27]
	ds_load_b128 v[4:7], v25 offset:2048
	s_waitcnt lgkmcnt(0)
	v_mul_f64 v[50:51], v[6:7], v[44:45]
	v_mul_f64 v[44:45], v[4:5], v[44:45]
	s_delay_alu instid0(VALU_DEP_2) | instskip(NEXT) | instid1(VALU_DEP_2)
	v_fma_f64 v[50:51], v[4:5], v[42:43], -v[50:51]
	v_fma_f64 v[42:43], v[6:7], v[42:43], v[44:45]
	s_delay_alu instid0(VALU_DEP_2) | instskip(SKIP_1) | instid1(VALU_DEP_3)
	v_add_f64 v[44:45], v[12:13], v[50:51]
	v_mul_f64 v[12:13], v[6:7], v[18:19]
	v_add_f64 v[42:43], v[14:15], v[42:43]
	s_delay_alu instid0(VALU_DEP_2) | instskip(SKIP_1) | instid1(VALU_DEP_1)
	v_fma_f64 v[12:13], v[4:5], v[16:17], -v[12:13]
	v_mul_f64 v[4:5], v[4:5], v[18:19]
	v_fma_f64 v[4:5], v[6:7], v[16:17], v[4:5]
	s_delay_alu instid0(VALU_DEP_3) | instskip(NEXT) | instid1(VALU_DEP_2)
	v_add_f64 v[16:17], v[10:11], v[12:13]
	v_add_f64 v[18:19], v[8:9], v[4:5]
	ds_load_b128 v[4:7], v22 offset:512
	s_waitcnt lgkmcnt(0)
	v_mul_f64 v[8:9], v[32:33], v[6:7]
	v_mul_f64 v[10:11], v[30:31], v[6:7]
	s_delay_alu instid0(VALU_DEP_2) | instskip(NEXT) | instid1(VALU_DEP_2)
	v_fma_f64 v[8:9], v[30:31], v[4:5], -v[8:9]
	v_fma_f64 v[10:11], v[32:33], v[4:5], v[10:11]
	s_delay_alu instid0(VALU_DEP_2) | instskip(NEXT) | instid1(VALU_DEP_2)
	v_add_f64 v[46:47], v[46:47], v[8:9]
	v_add_f64 v[48:49], v[48:49], v[10:11]
	ds_load_b128 v[8:11], v22 offset:768
	s_waitcnt lgkmcnt(0)
	v_mul_f64 v[12:13], v[32:33], v[10:11]
	v_mul_f64 v[14:15], v[30:31], v[10:11]
	s_delay_alu instid0(VALU_DEP_2) | instskip(NEXT) | instid1(VALU_DEP_2)
	v_fma_f64 v[12:13], v[30:31], v[8:9], -v[12:13]
	v_fma_f64 v[14:15], v[32:33], v[8:9], v[14:15]
	s_delay_alu instid0(VALU_DEP_2) | instskip(NEXT) | instid1(VALU_DEP_2)
	v_add_f64 v[28:29], v[28:29], v[12:13]
	v_add_f64 v[26:27], v[26:27], v[14:15]
	ds_load_b128 v[12:15], v25 offset:2064
	s_waitcnt lgkmcnt(0)
	v_mul_f64 v[30:31], v[14:15], v[6:7]
	v_mul_f64 v[6:7], v[12:13], v[6:7]
	s_delay_alu instid0(VALU_DEP_2) | instskip(NEXT) | instid1(VALU_DEP_2)
	v_fma_f64 v[30:31], v[12:13], v[4:5], -v[30:31]
	v_fma_f64 v[4:5], v[14:15], v[4:5], v[6:7]
	v_mul_f64 v[6:7], v[12:13], v[10:11]
	s_delay_alu instid0(VALU_DEP_3) | instskip(NEXT) | instid1(VALU_DEP_3)
	v_add_f64 v[30:31], v[44:45], v[30:31]
	v_add_f64 v[32:33], v[42:43], v[4:5]
	v_mul_f64 v[4:5], v[14:15], v[10:11]
	s_delay_alu instid0(VALU_DEP_4) | instskip(NEXT) | instid1(VALU_DEP_2)
	v_fma_f64 v[6:7], v[14:15], v[8:9], v[6:7]
	v_fma_f64 v[4:5], v[12:13], v[8:9], -v[4:5]
	s_delay_alu instid0(VALU_DEP_2) | instskip(NEXT) | instid1(VALU_DEP_2)
	v_add_f64 v[18:19], v[18:19], v[6:7]
	v_add_f64 v[16:17], v[16:17], v[4:5]
	ds_load_b128 v[4:7], v22 offset:1024
	s_waitcnt lgkmcnt(0)
	v_mul_f64 v[8:9], v[36:37], v[6:7]
	v_mul_f64 v[10:11], v[34:35], v[6:7]
	s_delay_alu instid0(VALU_DEP_2) | instskip(NEXT) | instid1(VALU_DEP_2)
	v_fma_f64 v[8:9], v[34:35], v[4:5], -v[8:9]
	v_fma_f64 v[10:11], v[36:37], v[4:5], v[10:11]
	s_delay_alu instid0(VALU_DEP_2) | instskip(NEXT) | instid1(VALU_DEP_2)
	v_add_f64 v[42:43], v[46:47], v[8:9]
	v_add_f64 v[44:45], v[48:49], v[10:11]
	ds_load_b128 v[8:11], v22 offset:1280
	s_waitcnt lgkmcnt(0)
	v_mul_f64 v[12:13], v[36:37], v[10:11]
	v_mul_f64 v[14:15], v[34:35], v[10:11]
	s_delay_alu instid0(VALU_DEP_2) | instskip(NEXT) | instid1(VALU_DEP_2)
	v_fma_f64 v[12:13], v[34:35], v[8:9], -v[12:13]
	v_fma_f64 v[14:15], v[36:37], v[8:9], v[14:15]
	s_delay_alu instid0(VALU_DEP_2) | instskip(NEXT) | instid1(VALU_DEP_2)
	v_add_f64 v[28:29], v[28:29], v[12:13]
	v_add_f64 v[26:27], v[26:27], v[14:15]
	ds_load_b128 v[12:15], v25 offset:2080
	s_waitcnt lgkmcnt(0)
	v_mul_f64 v[34:35], v[14:15], v[6:7]
	v_mul_f64 v[6:7], v[12:13], v[6:7]
	s_delay_alu instid0(VALU_DEP_2) | instskip(NEXT) | instid1(VALU_DEP_2)
	v_fma_f64 v[34:35], v[12:13], v[4:5], -v[34:35]
	v_fma_f64 v[4:5], v[14:15], v[4:5], v[6:7]
	v_mul_f64 v[6:7], v[12:13], v[10:11]
	s_delay_alu instid0(VALU_DEP_3) | instskip(NEXT) | instid1(VALU_DEP_3)
	v_add_f64 v[30:31], v[30:31], v[34:35]
	v_add_f64 v[32:33], v[32:33], v[4:5]
	v_mul_f64 v[4:5], v[14:15], v[10:11]
	s_delay_alu instid0(VALU_DEP_4) | instskip(NEXT) | instid1(VALU_DEP_2)
	v_fma_f64 v[6:7], v[14:15], v[8:9], v[6:7]
	v_fma_f64 v[4:5], v[12:13], v[8:9], -v[4:5]
	s_delay_alu instid0(VALU_DEP_2) | instskip(NEXT) | instid1(VALU_DEP_2)
	;; [unrolled: 38-line block ×3, first 2 shown]
	v_add_f64 v[18:19], v[18:19], v[6:7]
	v_add_f64 v[16:17], v[16:17], v[4:5]
	ds_load_b128 v[4:7], v25 offset:64
	ds_load_b128 v[8:11], v22 offset:2048
	s_waitcnt lgkmcnt(0)
	v_mul_f64 v[12:13], v[6:7], v[10:11]
	v_mul_f64 v[14:15], v[4:5], v[10:11]
	s_delay_alu instid0(VALU_DEP_2) | instskip(NEXT) | instid1(VALU_DEP_2)
	v_fma_f64 v[12:13], v[4:5], v[8:9], -v[12:13]
	v_fma_f64 v[14:15], v[6:7], v[8:9], v[14:15]
	s_delay_alu instid0(VALU_DEP_2) | instskip(NEXT) | instid1(VALU_DEP_2)
	v_add_f64 v[34:35], v[34:35], v[12:13]
	v_add_f64 v[36:37], v[36:37], v[14:15]
	ds_load_b128 v[12:15], v22 offset:2304
	s_waitcnt lgkmcnt(0)
	v_mul_f64 v[38:39], v[6:7], v[14:15]
	s_delay_alu instid0(VALU_DEP_1) | instskip(SKIP_1) | instid1(VALU_DEP_2)
	v_fma_f64 v[38:39], v[4:5], v[12:13], -v[38:39]
	v_mul_f64 v[4:5], v[4:5], v[14:15]
	v_add_f64 v[28:29], v[28:29], v[38:39]
	s_delay_alu instid0(VALU_DEP_2) | instskip(NEXT) | instid1(VALU_DEP_1)
	v_fma_f64 v[4:5], v[6:7], v[12:13], v[4:5]
	v_add_f64 v[26:27], v[26:27], v[4:5]
	ds_load_b128 v[4:7], v25 offset:2112
	s_waitcnt lgkmcnt(0)
	v_mul_f64 v[38:39], v[6:7], v[10:11]
	v_mul_f64 v[10:11], v[4:5], v[10:11]
	s_delay_alu instid0(VALU_DEP_2) | instskip(NEXT) | instid1(VALU_DEP_2)
	v_fma_f64 v[38:39], v[4:5], v[8:9], -v[38:39]
	v_fma_f64 v[8:9], v[6:7], v[8:9], v[10:11]
	s_delay_alu instid0(VALU_DEP_2) | instskip(NEXT) | instid1(VALU_DEP_2)
	v_add_f64 v[30:31], v[30:31], v[38:39]
	v_add_f64 v[32:33], v[32:33], v[8:9]
	v_mul_f64 v[8:9], v[6:7], v[14:15]
	s_delay_alu instid0(VALU_DEP_1) | instskip(SKIP_1) | instid1(VALU_DEP_2)
	v_fma_f64 v[8:9], v[4:5], v[12:13], -v[8:9]
	v_mul_f64 v[4:5], v[4:5], v[14:15]
	v_add_f64 v[16:17], v[16:17], v[8:9]
	s_delay_alu instid0(VALU_DEP_2) | instskip(NEXT) | instid1(VALU_DEP_1)
	v_fma_f64 v[4:5], v[6:7], v[12:13], v[4:5]
	v_add_f64 v[18:19], v[18:19], v[4:5]
	ds_load_b128 v[4:7], v25 offset:80
	ds_load_b128 v[8:11], v22 offset:2560
	s_waitcnt lgkmcnt(0)
	v_mul_f64 v[12:13], v[6:7], v[10:11]
	v_mul_f64 v[14:15], v[4:5], v[10:11]
	s_delay_alu instid0(VALU_DEP_2) | instskip(NEXT) | instid1(VALU_DEP_2)
	v_fma_f64 v[12:13], v[4:5], v[8:9], -v[12:13]
	v_fma_f64 v[14:15], v[6:7], v[8:9], v[14:15]
	s_delay_alu instid0(VALU_DEP_2) | instskip(NEXT) | instid1(VALU_DEP_2)
	v_add_f64 v[34:35], v[34:35], v[12:13]
	v_add_f64 v[36:37], v[36:37], v[14:15]
	ds_load_b128 v[12:15], v22 offset:2816
	s_waitcnt lgkmcnt(0)
	v_mul_f64 v[38:39], v[6:7], v[14:15]
	s_delay_alu instid0(VALU_DEP_1) | instskip(SKIP_1) | instid1(VALU_DEP_2)
	v_fma_f64 v[38:39], v[4:5], v[12:13], -v[38:39]
	v_mul_f64 v[4:5], v[4:5], v[14:15]
	v_add_f64 v[28:29], v[28:29], v[38:39]
	s_delay_alu instid0(VALU_DEP_2) | instskip(NEXT) | instid1(VALU_DEP_1)
	v_fma_f64 v[4:5], v[6:7], v[12:13], v[4:5]
	v_add_f64 v[26:27], v[26:27], v[4:5]
	ds_load_b128 v[4:7], v25 offset:2128
	s_waitcnt lgkmcnt(0)
	v_mul_f64 v[38:39], v[6:7], v[10:11]
	v_mul_f64 v[10:11], v[4:5], v[10:11]
	s_delay_alu instid0(VALU_DEP_2) | instskip(NEXT) | instid1(VALU_DEP_2)
	v_fma_f64 v[38:39], v[4:5], v[8:9], -v[38:39]
	v_fma_f64 v[8:9], v[6:7], v[8:9], v[10:11]
	s_delay_alu instid0(VALU_DEP_2) | instskip(NEXT) | instid1(VALU_DEP_2)
	v_add_f64 v[30:31], v[30:31], v[38:39]
	v_add_f64 v[32:33], v[32:33], v[8:9]
	v_mul_f64 v[8:9], v[6:7], v[14:15]
	s_delay_alu instid0(VALU_DEP_1) | instskip(SKIP_1) | instid1(VALU_DEP_2)
	v_fma_f64 v[8:9], v[4:5], v[12:13], -v[8:9]
	v_mul_f64 v[4:5], v[4:5], v[14:15]
	v_add_f64 v[16:17], v[16:17], v[8:9]
	s_delay_alu instid0(VALU_DEP_2) | instskip(NEXT) | instid1(VALU_DEP_1)
	v_fma_f64 v[4:5], v[6:7], v[12:13], v[4:5]
	;; [unrolled: 39-line block ×3, first 2 shown]
	v_add_f64 v[48:49], v[18:19], v[4:5]
	ds_load_b128 v[4:7], v25 offset:112
	ds_load_b128 v[8:11], v22 offset:3584
	;; [unrolled: 1-line block ×4, first 2 shown]
	s_waitcnt lgkmcnt(0)
	s_barrier
	buffer_gl0_inv
	v_mul_f64 v[12:13], v[6:7], v[10:11]
	v_mul_f64 v[14:15], v[4:5], v[10:11]
	s_delay_alu instid0(VALU_DEP_2) | instskip(NEXT) | instid1(VALU_DEP_2)
	v_fma_f64 v[12:13], v[4:5], v[8:9], -v[12:13]
	v_fma_f64 v[14:15], v[6:7], v[8:9], v[14:15]
	s_delay_alu instid0(VALU_DEP_2) | instskip(SKIP_1) | instid1(VALU_DEP_3)
	v_add_f64 v[16:17], v[34:35], v[12:13]
	v_mul_f64 v[12:13], v[6:7], v[28:29]
	v_add_f64 v[18:19], v[36:37], v[14:15]
	s_delay_alu instid0(VALU_DEP_2) | instskip(SKIP_1) | instid1(VALU_DEP_1)
	v_fma_f64 v[12:13], v[4:5], v[26:27], -v[12:13]
	v_mul_f64 v[4:5], v[4:5], v[28:29]
	v_fma_f64 v[6:7], v[6:7], v[26:27], v[4:5]
	s_delay_alu instid0(VALU_DEP_3) | instskip(SKIP_2) | instid1(VALU_DEP_4)
	v_add_f64 v[4:5], v[38:39], v[12:13]
	v_mul_f64 v[12:13], v[32:33], v[10:11]
	v_mul_f64 v[10:11], v[30:31], v[10:11]
	v_add_f64 v[6:7], v[40:41], v[6:7]
	s_delay_alu instid0(VALU_DEP_3) | instskip(NEXT) | instid1(VALU_DEP_3)
	v_fma_f64 v[12:13], v[30:31], v[8:9], -v[12:13]
	v_fma_f64 v[8:9], v[32:33], v[8:9], v[10:11]
	v_mul_f64 v[10:11], v[30:31], v[28:29]
	s_delay_alu instid0(VALU_DEP_3) | instskip(NEXT) | instid1(VALU_DEP_3)
	v_add_f64 v[12:13], v[42:43], v[12:13]
	v_add_f64 v[14:15], v[44:45], v[8:9]
	v_mul_f64 v[8:9], v[32:33], v[28:29]
	s_delay_alu instid0(VALU_DEP_1) | instskip(SKIP_1) | instid1(VALU_DEP_2)
	v_fma_f64 v[8:9], v[30:31], v[26:27], -v[8:9]
	v_fma_f64 v[26:27], v[32:33], v[26:27], v[10:11]
	v_add_f64 v[10:11], v[46:47], v[8:9]
	s_delay_alu instid0(VALU_DEP_2)
	v_add_f64 v[8:9], v[48:49], v[26:27]
	s_cbranch_scc0 .LBB393_2
.LBB393_3:
	s_clause 0x1
	s_load_b32 s3, s[0:1], 0x40
	s_load_b64 s[4:5], s[0:1], 0x48
	v_add_nc_u32_e32 v21, s13, v21
	v_add_nc_u32_e32 v0, s12, v20
	s_delay_alu instid0(VALU_DEP_1)
	v_cmp_le_i32_e64 s0, v21, v0
	v_cmp_gt_i32_e32 vcc_lo, s2, v0
	s_waitcnt lgkmcnt(0)
	v_mad_i64_i32 v[1:2], null, v21, s3, 0
	s_mul_i32 s1, s15, s5
	s_mul_hi_u32 s5, s15, s4
	s_mul_i32 s4, s15, s4
	s_add_i32 s5, s5, s1
	s_delay_alu instid0(SALU_CYCLE_1) | instskip(NEXT) | instid1(VALU_DEP_1)
	s_lshl_b64 s[4:5], s[4:5], 4
	v_lshlrev_b64 v[1:2], 4, v[1:2]
	s_add_u32 s4, s6, s4
	s_addc_u32 s5, s7, s5
	s_and_b32 s0, s0, vcc_lo
	s_delay_alu instid0(VALU_DEP_1) | instskip(NEXT) | instid1(VALU_DEP_1)
	v_add_co_u32 v20, s1, s4, v1
	v_add_co_ci_u32_e64 v22, s1, s5, v2, s1
	s_and_saveexec_b32 s1, s0
	s_cbranch_execz .LBB393_5
; %bb.4:
	v_ashrrev_i32_e32 v1, 31, v0
	s_delay_alu instid0(VALU_DEP_1) | instskip(NEXT) | instid1(VALU_DEP_1)
	v_lshlrev_b64 v[1:2], 4, v[0:1]
	v_add_co_u32 v1, s0, v20, v1
	s_delay_alu instid0(VALU_DEP_1)
	v_add_co_ci_u32_e64 v2, s0, v22, v2, s0
	v_cmp_ne_u32_e64 s0, v21, v0
	global_load_b128 v[23:26], v[1:2], off
	s_waitcnt vmcnt(0)
	v_add_f64 v[18:19], v[18:19], -v[25:26]
	v_add_f64 v[16:17], v[16:17], -v[23:24]
	s_delay_alu instid0(VALU_DEP_2) | instskip(NEXT) | instid1(VALU_DEP_3)
	v_cndmask_b32_e64 v19, 0, v19, s0
	v_cndmask_b32_e64 v18, 0, v18, s0
	global_store_b128 v[1:2], v[16:19], off
.LBB393_5:
	s_or_b32 exec_lo, exec_lo, s1
	v_add_nc_u32_e32 v2, 16, v0
	s_delay_alu instid0(VALU_DEP_1) | instskip(SKIP_1) | instid1(VALU_DEP_1)
	v_cmp_le_i32_e64 s1, v21, v2
	v_cmp_gt_i32_e64 s0, s2, v2
	s_and_b32 s1, s1, s0
	s_delay_alu instid0(SALU_CYCLE_1)
	s_and_saveexec_b32 s2, s1
	s_cbranch_execz .LBB393_7
; %bb.6:
	v_ashrrev_i32_e32 v3, 31, v2
	s_delay_alu instid0(VALU_DEP_1) | instskip(NEXT) | instid1(VALU_DEP_1)
	v_lshlrev_b64 v[16:17], 4, v[2:3]
	v_add_co_u32 v23, s1, v20, v16
	s_delay_alu instid0(VALU_DEP_1)
	v_add_co_ci_u32_e64 v24, s1, v22, v17, s1
	v_cmp_ne_u32_e64 s1, v21, v2
	global_load_b128 v[16:19], v[23:24], off
	s_waitcnt vmcnt(0)
	v_add_f64 v[18:19], v[6:7], -v[18:19]
	v_add_f64 v[3:4], v[4:5], -v[16:17]
	s_delay_alu instid0(VALU_DEP_2) | instskip(NEXT) | instid1(VALU_DEP_3)
	v_cndmask_b32_e64 v6, 0, v19, s1
	v_cndmask_b32_e64 v5, 0, v18, s1
	global_store_b128 v[23:24], v[3:6], off
.LBB393_7:
	s_or_b32 exec_lo, exec_lo, s2
	v_add_nc_u32_e32 v3, 16, v21
	s_delay_alu instid0(VALU_DEP_1) | instskip(SKIP_1) | instid1(VALU_DEP_2)
	v_mad_i64_i32 v[4:5], null, v3, s3, 0
	v_cmp_le_i32_e64 s1, v3, v0
	v_lshlrev_b64 v[4:5], 4, v[4:5]
	s_delay_alu instid0(VALU_DEP_1) | instskip(NEXT) | instid1(VALU_DEP_1)
	v_add_co_u32 v4, s2, s4, v4
	v_add_co_ci_u32_e64 v5, s2, s5, v5, s2
	s_delay_alu instid0(VALU_DEP_4) | instskip(NEXT) | instid1(SALU_CYCLE_1)
	s_and_b32 s2, s1, vcc_lo
	s_and_saveexec_b32 s1, s2
	s_cbranch_execz .LBB393_9
; %bb.8:
	v_ashrrev_i32_e32 v1, 31, v0
	s_delay_alu instid0(VALU_DEP_1) | instskip(NEXT) | instid1(VALU_DEP_1)
	v_lshlrev_b64 v[6:7], 4, v[0:1]
	v_add_co_u32 v6, vcc_lo, v4, v6
	s_delay_alu instid0(VALU_DEP_2)
	v_add_co_ci_u32_e32 v7, vcc_lo, v5, v7, vcc_lo
	v_cmp_ne_u32_e32 vcc_lo, v3, v0
	global_load_b128 v[16:19], v[6:7], off
	s_waitcnt vmcnt(0)
	v_add_f64 v[14:15], v[14:15], -v[18:19]
	v_add_f64 v[12:13], v[12:13], -v[16:17]
	s_delay_alu instid0(VALU_DEP_2)
	v_dual_cndmask_b32 v15, 0, v15 :: v_dual_cndmask_b32 v14, 0, v14
	global_store_b128 v[6:7], v[12:15], off
.LBB393_9:
	s_or_b32 exec_lo, exec_lo, s1
	v_cmp_le_i32_e32 vcc_lo, v3, v2
	s_and_b32 s0, vcc_lo, s0
	s_delay_alu instid0(SALU_CYCLE_1)
	s_and_saveexec_b32 s1, s0
	s_cbranch_execz .LBB393_11
; %bb.10:
	v_ashrrev_i32_e32 v3, 31, v2
	s_delay_alu instid0(VALU_DEP_1) | instskip(NEXT) | instid1(VALU_DEP_1)
	v_lshlrev_b64 v[1:2], 4, v[2:3]
	v_add_co_u32 v6, vcc_lo, v4, v1
	s_delay_alu instid0(VALU_DEP_2)
	v_add_co_ci_u32_e32 v7, vcc_lo, v5, v2, vcc_lo
	v_cmp_ne_u32_e32 vcc_lo, v21, v0
	global_load_b128 v[1:4], v[6:7], off
	s_waitcnt vmcnt(0)
	v_add_f64 v[3:4], v[8:9], -v[3:4]
	v_add_f64 v[1:2], v[10:11], -v[1:2]
	s_delay_alu instid0(VALU_DEP_2)
	v_dual_cndmask_b32 v4, 0, v4 :: v_dual_cndmask_b32 v3, 0, v3
	global_store_b128 v[6:7], v[1:4], off
.LBB393_11:
	s_nop 0
	s_sendmsg sendmsg(MSG_DEALLOC_VGPRS)
	s_endpgm
	.section	.rodata,"a",@progbits
	.p2align	6, 0x0
	.amdhsa_kernel _ZL37rocblas_syrkx_herkx_restricted_kernelIi19rocblas_complex_numIdELi16ELi32ELi8ELi1ELin1ELb1ELc84ELc76EKS1_S1_EviT_PT9_S3_lS5_S3_lPT10_S3_li
		.amdhsa_group_segment_fixed_size 8192
		.amdhsa_private_segment_fixed_size 0
		.amdhsa_kernarg_size 84
		.amdhsa_user_sgpr_count 13
		.amdhsa_user_sgpr_dispatch_ptr 0
		.amdhsa_user_sgpr_queue_ptr 0
		.amdhsa_user_sgpr_kernarg_segment_ptr 1
		.amdhsa_user_sgpr_dispatch_id 0
		.amdhsa_user_sgpr_private_segment_size 0
		.amdhsa_wavefront_size32 1
		.amdhsa_uses_dynamic_stack 0
		.amdhsa_enable_private_segment 0
		.amdhsa_system_sgpr_workgroup_id_x 1
		.amdhsa_system_sgpr_workgroup_id_y 1
		.amdhsa_system_sgpr_workgroup_id_z 1
		.amdhsa_system_sgpr_workgroup_info 0
		.amdhsa_system_vgpr_workitem_id 1
		.amdhsa_next_free_vgpr 52
		.amdhsa_next_free_sgpr 20
		.amdhsa_reserve_vcc 1
		.amdhsa_float_round_mode_32 0
		.amdhsa_float_round_mode_16_64 0
		.amdhsa_float_denorm_mode_32 3
		.amdhsa_float_denorm_mode_16_64 3
		.amdhsa_dx10_clamp 1
		.amdhsa_ieee_mode 1
		.amdhsa_fp16_overflow 0
		.amdhsa_workgroup_processor_mode 1
		.amdhsa_memory_ordered 1
		.amdhsa_forward_progress 0
		.amdhsa_shared_vgpr_count 0
		.amdhsa_exception_fp_ieee_invalid_op 0
		.amdhsa_exception_fp_denorm_src 0
		.amdhsa_exception_fp_ieee_div_zero 0
		.amdhsa_exception_fp_ieee_overflow 0
		.amdhsa_exception_fp_ieee_underflow 0
		.amdhsa_exception_fp_ieee_inexact 0
		.amdhsa_exception_int_div_zero 0
	.end_amdhsa_kernel
	.section	.text._ZL37rocblas_syrkx_herkx_restricted_kernelIi19rocblas_complex_numIdELi16ELi32ELi8ELi1ELin1ELb1ELc84ELc76EKS1_S1_EviT_PT9_S3_lS5_S3_lPT10_S3_li,"axG",@progbits,_ZL37rocblas_syrkx_herkx_restricted_kernelIi19rocblas_complex_numIdELi16ELi32ELi8ELi1ELin1ELb1ELc84ELc76EKS1_S1_EviT_PT9_S3_lS5_S3_lPT10_S3_li,comdat
.Lfunc_end393:
	.size	_ZL37rocblas_syrkx_herkx_restricted_kernelIi19rocblas_complex_numIdELi16ELi32ELi8ELi1ELin1ELb1ELc84ELc76EKS1_S1_EviT_PT9_S3_lS5_S3_lPT10_S3_li, .Lfunc_end393-_ZL37rocblas_syrkx_herkx_restricted_kernelIi19rocblas_complex_numIdELi16ELi32ELi8ELi1ELin1ELb1ELc84ELc76EKS1_S1_EviT_PT9_S3_lS5_S3_lPT10_S3_li
                                        ; -- End function
	.section	.AMDGPU.csdata,"",@progbits
; Kernel info:
; codeLenInByte = 3372
; NumSgprs: 22
; NumVgprs: 52
; ScratchSize: 0
; MemoryBound: 0
; FloatMode: 240
; IeeeMode: 1
; LDSByteSize: 8192 bytes/workgroup (compile time only)
; SGPRBlocks: 2
; VGPRBlocks: 6
; NumSGPRsForWavesPerEU: 22
; NumVGPRsForWavesPerEU: 52
; Occupancy: 16
; WaveLimiterHint : 0
; COMPUTE_PGM_RSRC2:SCRATCH_EN: 0
; COMPUTE_PGM_RSRC2:USER_SGPR: 13
; COMPUTE_PGM_RSRC2:TRAP_HANDLER: 0
; COMPUTE_PGM_RSRC2:TGID_X_EN: 1
; COMPUTE_PGM_RSRC2:TGID_Y_EN: 1
; COMPUTE_PGM_RSRC2:TGID_Z_EN: 1
; COMPUTE_PGM_RSRC2:TIDIG_COMP_CNT: 1
	.section	.text._ZL37rocblas_syrkx_herkx_restricted_kernelIi19rocblas_complex_numIdELi16ELi32ELi8ELi1ELin1ELb1ELc67ELc76EKS1_S1_EviT_PT9_S3_lS5_S3_lPT10_S3_li,"axG",@progbits,_ZL37rocblas_syrkx_herkx_restricted_kernelIi19rocblas_complex_numIdELi16ELi32ELi8ELi1ELin1ELb1ELc67ELc76EKS1_S1_EviT_PT9_S3_lS5_S3_lPT10_S3_li,comdat
	.globl	_ZL37rocblas_syrkx_herkx_restricted_kernelIi19rocblas_complex_numIdELi16ELi32ELi8ELi1ELin1ELb1ELc67ELc76EKS1_S1_EviT_PT9_S3_lS5_S3_lPT10_S3_li ; -- Begin function _ZL37rocblas_syrkx_herkx_restricted_kernelIi19rocblas_complex_numIdELi16ELi32ELi8ELi1ELin1ELb1ELc67ELc76EKS1_S1_EviT_PT9_S3_lS5_S3_lPT10_S3_li
	.p2align	8
	.type	_ZL37rocblas_syrkx_herkx_restricted_kernelIi19rocblas_complex_numIdELi16ELi32ELi8ELi1ELin1ELb1ELc67ELc76EKS1_S1_EviT_PT9_S3_lS5_S3_lPT10_S3_li,@function
_ZL37rocblas_syrkx_herkx_restricted_kernelIi19rocblas_complex_numIdELi16ELi32ELi8ELi1ELin1ELb1ELc67ELc76EKS1_S1_EviT_PT9_S3_lS5_S3_lPT10_S3_li: ; @_ZL37rocblas_syrkx_herkx_restricted_kernelIi19rocblas_complex_numIdELi16ELi32ELi8ELi1ELin1ELb1ELc67ELc76EKS1_S1_EviT_PT9_S3_lS5_S3_lPT10_S3_li
; %bb.0:
	s_clause 0x1
	s_load_b64 s[2:3], s[0:1], 0x0
	s_load_b128 s[4:7], s[0:1], 0x30
	v_mov_b32_e32 v16, 0
	v_dual_mov_b32 v17, 0 :: v_dual_and_b32 v20, 0x3ff, v0
	v_bfe_u32 v21, v0, 10, 10
	s_delay_alu instid0(VALU_DEP_3) | instskip(NEXT) | instid1(VALU_DEP_3)
	v_mov_b32_e32 v4, v16
	v_dual_mov_b32 v6, v16 :: v_dual_mov_b32 v7, v17
	v_dual_mov_b32 v19, v17 :: v_dual_mov_b32 v18, v16
	;; [unrolled: 1-line block ×6, first 2 shown]
	v_mov_b32_e32 v9, v17
	s_lshl_b32 s12, s13, 5
	s_lshl_b32 s13, s14, 5
	s_waitcnt lgkmcnt(0)
	s_cmp_lt_i32 s3, 1
	s_mov_b32 s14, 0
	s_cbranch_scc1 .LBB394_3
; %bb.1:
	s_clause 0x3
	s_load_b32 s18, s[0:1], 0x10
	s_load_b128 s[8:11], s[0:1], 0x18
	s_load_b64 s[16:17], s[0:1], 0x8
	s_load_b32 s19, s[0:1], 0x28
	v_lshl_add_u32 v2, v21, 4, v20
	v_dual_mov_b32 v1, 0 :: v_dual_and_b32 v0, 7, v20
	v_lshlrev_b32_e32 v22, 4, v20
	s_mul_i32 s5, s5, s15
	s_delay_alu instid0(VALU_DEP_3)
	v_lshrrev_b32_e32 v4, 3, v2
	v_and_b32_e32 v5, 31, v2
	v_lshlrev_b32_e32 v3, 4, v0
	v_lshrrev_b32_e32 v2, 5, v2
	v_lshl_add_u32 v25, v21, 7, 0x1000
	v_add_nc_u32_e32 v9, s13, v4
	v_add_nc_u32_e32 v8, s12, v5
	v_lshl_or_b32 v7, v4, 7, v3
	v_dual_mov_b32 v3, v1 :: v_dual_lshlrev_b32 v6, 4, v5
	s_waitcnt lgkmcnt(0)
	s_delay_alu instid0(VALU_DEP_1) | instskip(NEXT) | instid1(VALU_DEP_2)
	v_mad_i64_i32 v[4:5], null, s18, v8, v[2:3]
	v_lshl_or_b32 v23, v2, 9, v6
	s_mul_i32 s9, s9, s15
	s_mul_hi_u32 s18, s8, s15
	v_mad_i64_i32 v[2:3], null, s19, v9, v[0:1]
	s_mul_i32 s8, s8, s15
	s_add_i32 s9, s18, s9
	s_delay_alu instid0(VALU_DEP_3)
	v_lshlrev_b64 v[0:1], 4, v[4:5]
	s_lshl_b64 s[8:9], s[8:9], 4
	v_mov_b32_e32 v8, 0
	v_mov_b32_e32 v9, 0
	s_add_u32 s8, s16, s8
	s_mul_hi_u32 s16, s4, s15
	s_addc_u32 s9, s17, s9
	s_add_i32 s5, s16, s5
	s_mul_i32 s4, s4, s15
	v_lshlrev_b64 v[2:3], 4, v[2:3]
	s_lshl_b64 s[4:5], s[4:5], 4
	v_add_co_u32 v0, vcc_lo, s8, v0
	s_add_u32 s4, s10, s4
	v_add_co_ci_u32_e32 v1, vcc_lo, s9, v1, vcc_lo
	s_addc_u32 s5, s11, s5
	v_add_co_u32 v2, vcc_lo, s4, v2
	v_add_co_ci_u32_e32 v3, vcc_lo, s5, v3, vcc_lo
	v_add_co_u32 v0, vcc_lo, v0, 8
	v_add_co_ci_u32_e32 v1, vcc_lo, 0, v1, vcc_lo
	s_delay_alu instid0(VALU_DEP_4)
	v_add_co_u32 v2, vcc_lo, v2, 8
	v_dual_mov_b32 v11, v9 :: v_dual_add_nc_u32 v24, 0x1000, v7
	v_add_co_ci_u32_e32 v3, vcc_lo, 0, v3, vcc_lo
	v_dual_mov_b32 v10, v8 :: v_dual_mov_b32 v15, v9
	v_dual_mov_b32 v14, v8 :: v_dual_mov_b32 v13, v9
	v_mov_b32_e32 v12, v8
	v_dual_mov_b32 v6, v8 :: v_dual_mov_b32 v7, v9
	v_dual_mov_b32 v4, v8 :: v_dual_mov_b32 v5, v9
	;; [unrolled: 1-line block ×4, first 2 shown]
.LBB394_2:                              ; =>This Inner Loop Header: Depth=1
	global_load_b128 v[26:29], v[0:1], off offset:-8
	v_add_co_u32 v0, vcc_lo, 0x80, v0
	v_add_co_ci_u32_e32 v1, vcc_lo, 0, v1, vcc_lo
	s_add_i32 s14, s14, 8
	s_delay_alu instid0(SALU_CYCLE_1)
	s_cmp_ge_i32 s14, s3
	s_waitcnt vmcnt(0)
	v_xor_b32_e32 v29, 0x80000000, v29
	ds_store_b128 v23, v[26:29]
	global_load_b128 v[26:29], v[2:3], off offset:-8
	v_add_co_u32 v2, vcc_lo, 0x80, v2
	v_add_co_ci_u32_e32 v3, vcc_lo, 0, v3, vcc_lo
	s_waitcnt vmcnt(0)
	ds_store_b128 v24, v[26:29]
	s_waitcnt lgkmcnt(0)
	s_barrier
	buffer_gl0_inv
	ds_load_b128 v[26:29], v25
	ds_load_b128 v[30:33], v25 offset:16
	ds_load_b128 v[34:37], v25 offset:32
	;; [unrolled: 1-line block ×3, first 2 shown]
	ds_load_b128 v[42:45], v22
	s_waitcnt lgkmcnt(0)
	v_mul_f64 v[46:47], v[28:29], v[44:45]
	v_mul_f64 v[48:49], v[26:27], v[44:45]
	s_delay_alu instid0(VALU_DEP_2) | instskip(NEXT) | instid1(VALU_DEP_2)
	v_fma_f64 v[46:47], v[26:27], v[42:43], -v[46:47]
	v_fma_f64 v[48:49], v[28:29], v[42:43], v[48:49]
	s_delay_alu instid0(VALU_DEP_2) | instskip(NEXT) | instid1(VALU_DEP_2)
	v_add_f64 v[46:47], v[16:17], v[46:47]
	v_add_f64 v[48:49], v[18:19], v[48:49]
	ds_load_b128 v[16:19], v22 offset:256
	s_waitcnt lgkmcnt(0)
	v_mul_f64 v[50:51], v[28:29], v[18:19]
	s_delay_alu instid0(VALU_DEP_1) | instskip(SKIP_1) | instid1(VALU_DEP_1)
	v_fma_f64 v[50:51], v[26:27], v[16:17], -v[50:51]
	v_mul_f64 v[26:27], v[26:27], v[18:19]
	v_fma_f64 v[26:27], v[28:29], v[16:17], v[26:27]
	s_delay_alu instid0(VALU_DEP_3) | instskip(NEXT) | instid1(VALU_DEP_2)
	v_add_f64 v[28:29], v[4:5], v[50:51]
	v_add_f64 v[26:27], v[6:7], v[26:27]
	ds_load_b128 v[4:7], v25 offset:2048
	s_waitcnt lgkmcnt(0)
	v_mul_f64 v[50:51], v[6:7], v[44:45]
	v_mul_f64 v[44:45], v[4:5], v[44:45]
	s_delay_alu instid0(VALU_DEP_2) | instskip(NEXT) | instid1(VALU_DEP_2)
	v_fma_f64 v[50:51], v[4:5], v[42:43], -v[50:51]
	v_fma_f64 v[42:43], v[6:7], v[42:43], v[44:45]
	s_delay_alu instid0(VALU_DEP_2) | instskip(SKIP_1) | instid1(VALU_DEP_3)
	v_add_f64 v[44:45], v[12:13], v[50:51]
	v_mul_f64 v[12:13], v[6:7], v[18:19]
	v_add_f64 v[42:43], v[14:15], v[42:43]
	s_delay_alu instid0(VALU_DEP_2) | instskip(SKIP_1) | instid1(VALU_DEP_1)
	v_fma_f64 v[12:13], v[4:5], v[16:17], -v[12:13]
	v_mul_f64 v[4:5], v[4:5], v[18:19]
	v_fma_f64 v[4:5], v[6:7], v[16:17], v[4:5]
	s_delay_alu instid0(VALU_DEP_3) | instskip(NEXT) | instid1(VALU_DEP_2)
	v_add_f64 v[16:17], v[10:11], v[12:13]
	v_add_f64 v[18:19], v[8:9], v[4:5]
	ds_load_b128 v[4:7], v22 offset:512
	s_waitcnt lgkmcnt(0)
	v_mul_f64 v[8:9], v[32:33], v[6:7]
	v_mul_f64 v[10:11], v[30:31], v[6:7]
	s_delay_alu instid0(VALU_DEP_2) | instskip(NEXT) | instid1(VALU_DEP_2)
	v_fma_f64 v[8:9], v[30:31], v[4:5], -v[8:9]
	v_fma_f64 v[10:11], v[32:33], v[4:5], v[10:11]
	s_delay_alu instid0(VALU_DEP_2) | instskip(NEXT) | instid1(VALU_DEP_2)
	v_add_f64 v[46:47], v[46:47], v[8:9]
	v_add_f64 v[48:49], v[48:49], v[10:11]
	ds_load_b128 v[8:11], v22 offset:768
	s_waitcnt lgkmcnt(0)
	v_mul_f64 v[12:13], v[32:33], v[10:11]
	v_mul_f64 v[14:15], v[30:31], v[10:11]
	s_delay_alu instid0(VALU_DEP_2) | instskip(NEXT) | instid1(VALU_DEP_2)
	v_fma_f64 v[12:13], v[30:31], v[8:9], -v[12:13]
	v_fma_f64 v[14:15], v[32:33], v[8:9], v[14:15]
	s_delay_alu instid0(VALU_DEP_2) | instskip(NEXT) | instid1(VALU_DEP_2)
	v_add_f64 v[28:29], v[28:29], v[12:13]
	v_add_f64 v[26:27], v[26:27], v[14:15]
	ds_load_b128 v[12:15], v25 offset:2064
	s_waitcnt lgkmcnt(0)
	v_mul_f64 v[30:31], v[14:15], v[6:7]
	v_mul_f64 v[6:7], v[12:13], v[6:7]
	s_delay_alu instid0(VALU_DEP_2) | instskip(NEXT) | instid1(VALU_DEP_2)
	v_fma_f64 v[30:31], v[12:13], v[4:5], -v[30:31]
	v_fma_f64 v[4:5], v[14:15], v[4:5], v[6:7]
	v_mul_f64 v[6:7], v[12:13], v[10:11]
	s_delay_alu instid0(VALU_DEP_3) | instskip(NEXT) | instid1(VALU_DEP_3)
	v_add_f64 v[30:31], v[44:45], v[30:31]
	v_add_f64 v[32:33], v[42:43], v[4:5]
	v_mul_f64 v[4:5], v[14:15], v[10:11]
	s_delay_alu instid0(VALU_DEP_4) | instskip(NEXT) | instid1(VALU_DEP_2)
	v_fma_f64 v[6:7], v[14:15], v[8:9], v[6:7]
	v_fma_f64 v[4:5], v[12:13], v[8:9], -v[4:5]
	s_delay_alu instid0(VALU_DEP_2) | instskip(NEXT) | instid1(VALU_DEP_2)
	v_add_f64 v[18:19], v[18:19], v[6:7]
	v_add_f64 v[16:17], v[16:17], v[4:5]
	ds_load_b128 v[4:7], v22 offset:1024
	s_waitcnt lgkmcnt(0)
	v_mul_f64 v[8:9], v[36:37], v[6:7]
	v_mul_f64 v[10:11], v[34:35], v[6:7]
	s_delay_alu instid0(VALU_DEP_2) | instskip(NEXT) | instid1(VALU_DEP_2)
	v_fma_f64 v[8:9], v[34:35], v[4:5], -v[8:9]
	v_fma_f64 v[10:11], v[36:37], v[4:5], v[10:11]
	s_delay_alu instid0(VALU_DEP_2) | instskip(NEXT) | instid1(VALU_DEP_2)
	v_add_f64 v[42:43], v[46:47], v[8:9]
	v_add_f64 v[44:45], v[48:49], v[10:11]
	ds_load_b128 v[8:11], v22 offset:1280
	s_waitcnt lgkmcnt(0)
	v_mul_f64 v[12:13], v[36:37], v[10:11]
	v_mul_f64 v[14:15], v[34:35], v[10:11]
	s_delay_alu instid0(VALU_DEP_2) | instskip(NEXT) | instid1(VALU_DEP_2)
	v_fma_f64 v[12:13], v[34:35], v[8:9], -v[12:13]
	v_fma_f64 v[14:15], v[36:37], v[8:9], v[14:15]
	s_delay_alu instid0(VALU_DEP_2) | instskip(NEXT) | instid1(VALU_DEP_2)
	v_add_f64 v[28:29], v[28:29], v[12:13]
	v_add_f64 v[26:27], v[26:27], v[14:15]
	ds_load_b128 v[12:15], v25 offset:2080
	s_waitcnt lgkmcnt(0)
	v_mul_f64 v[34:35], v[14:15], v[6:7]
	v_mul_f64 v[6:7], v[12:13], v[6:7]
	s_delay_alu instid0(VALU_DEP_2) | instskip(NEXT) | instid1(VALU_DEP_2)
	v_fma_f64 v[34:35], v[12:13], v[4:5], -v[34:35]
	v_fma_f64 v[4:5], v[14:15], v[4:5], v[6:7]
	v_mul_f64 v[6:7], v[12:13], v[10:11]
	s_delay_alu instid0(VALU_DEP_3) | instskip(NEXT) | instid1(VALU_DEP_3)
	v_add_f64 v[30:31], v[30:31], v[34:35]
	v_add_f64 v[32:33], v[32:33], v[4:5]
	v_mul_f64 v[4:5], v[14:15], v[10:11]
	s_delay_alu instid0(VALU_DEP_4) | instskip(NEXT) | instid1(VALU_DEP_2)
	v_fma_f64 v[6:7], v[14:15], v[8:9], v[6:7]
	v_fma_f64 v[4:5], v[12:13], v[8:9], -v[4:5]
	s_delay_alu instid0(VALU_DEP_2) | instskip(NEXT) | instid1(VALU_DEP_2)
	v_add_f64 v[18:19], v[18:19], v[6:7]
	v_add_f64 v[16:17], v[16:17], v[4:5]
	ds_load_b128 v[4:7], v22 offset:1536
	s_waitcnt lgkmcnt(0)
	v_mul_f64 v[8:9], v[40:41], v[6:7]
	v_mul_f64 v[10:11], v[38:39], v[6:7]
	s_delay_alu instid0(VALU_DEP_2) | instskip(NEXT) | instid1(VALU_DEP_2)
	v_fma_f64 v[8:9], v[38:39], v[4:5], -v[8:9]
	v_fma_f64 v[10:11], v[40:41], v[4:5], v[10:11]
	s_delay_alu instid0(VALU_DEP_2) | instskip(NEXT) | instid1(VALU_DEP_2)
	v_add_f64 v[34:35], v[42:43], v[8:9]
	v_add_f64 v[36:37], v[44:45], v[10:11]
	ds_load_b128 v[8:11], v22 offset:1792
	s_waitcnt lgkmcnt(0)
	v_mul_f64 v[12:13], v[40:41], v[10:11]
	v_mul_f64 v[14:15], v[38:39], v[10:11]
	s_delay_alu instid0(VALU_DEP_2) | instskip(NEXT) | instid1(VALU_DEP_2)
	v_fma_f64 v[12:13], v[38:39], v[8:9], -v[12:13]
	v_fma_f64 v[14:15], v[40:41], v[8:9], v[14:15]
	s_delay_alu instid0(VALU_DEP_2) | instskip(NEXT) | instid1(VALU_DEP_2)
	v_add_f64 v[28:29], v[28:29], v[12:13]
	v_add_f64 v[26:27], v[26:27], v[14:15]
	ds_load_b128 v[12:15], v25 offset:2096
	s_waitcnt lgkmcnt(0)
	v_mul_f64 v[38:39], v[14:15], v[6:7]
	v_mul_f64 v[6:7], v[12:13], v[6:7]
	s_delay_alu instid0(VALU_DEP_2) | instskip(NEXT) | instid1(VALU_DEP_2)
	v_fma_f64 v[38:39], v[12:13], v[4:5], -v[38:39]
	v_fma_f64 v[4:5], v[14:15], v[4:5], v[6:7]
	v_mul_f64 v[6:7], v[12:13], v[10:11]
	s_delay_alu instid0(VALU_DEP_3) | instskip(NEXT) | instid1(VALU_DEP_3)
	v_add_f64 v[30:31], v[30:31], v[38:39]
	v_add_f64 v[32:33], v[32:33], v[4:5]
	v_mul_f64 v[4:5], v[14:15], v[10:11]
	s_delay_alu instid0(VALU_DEP_4) | instskip(NEXT) | instid1(VALU_DEP_2)
	v_fma_f64 v[6:7], v[14:15], v[8:9], v[6:7]
	v_fma_f64 v[4:5], v[12:13], v[8:9], -v[4:5]
	s_delay_alu instid0(VALU_DEP_2) | instskip(NEXT) | instid1(VALU_DEP_2)
	v_add_f64 v[18:19], v[18:19], v[6:7]
	v_add_f64 v[16:17], v[16:17], v[4:5]
	ds_load_b128 v[4:7], v25 offset:64
	ds_load_b128 v[8:11], v22 offset:2048
	s_waitcnt lgkmcnt(0)
	v_mul_f64 v[12:13], v[6:7], v[10:11]
	v_mul_f64 v[14:15], v[4:5], v[10:11]
	s_delay_alu instid0(VALU_DEP_2) | instskip(NEXT) | instid1(VALU_DEP_2)
	v_fma_f64 v[12:13], v[4:5], v[8:9], -v[12:13]
	v_fma_f64 v[14:15], v[6:7], v[8:9], v[14:15]
	s_delay_alu instid0(VALU_DEP_2) | instskip(NEXT) | instid1(VALU_DEP_2)
	v_add_f64 v[34:35], v[34:35], v[12:13]
	v_add_f64 v[36:37], v[36:37], v[14:15]
	ds_load_b128 v[12:15], v22 offset:2304
	s_waitcnt lgkmcnt(0)
	v_mul_f64 v[38:39], v[6:7], v[14:15]
	s_delay_alu instid0(VALU_DEP_1) | instskip(SKIP_1) | instid1(VALU_DEP_2)
	v_fma_f64 v[38:39], v[4:5], v[12:13], -v[38:39]
	v_mul_f64 v[4:5], v[4:5], v[14:15]
	v_add_f64 v[28:29], v[28:29], v[38:39]
	s_delay_alu instid0(VALU_DEP_2) | instskip(NEXT) | instid1(VALU_DEP_1)
	v_fma_f64 v[4:5], v[6:7], v[12:13], v[4:5]
	v_add_f64 v[26:27], v[26:27], v[4:5]
	ds_load_b128 v[4:7], v25 offset:2112
	s_waitcnt lgkmcnt(0)
	v_mul_f64 v[38:39], v[6:7], v[10:11]
	v_mul_f64 v[10:11], v[4:5], v[10:11]
	s_delay_alu instid0(VALU_DEP_2) | instskip(NEXT) | instid1(VALU_DEP_2)
	v_fma_f64 v[38:39], v[4:5], v[8:9], -v[38:39]
	v_fma_f64 v[8:9], v[6:7], v[8:9], v[10:11]
	s_delay_alu instid0(VALU_DEP_2) | instskip(NEXT) | instid1(VALU_DEP_2)
	v_add_f64 v[30:31], v[30:31], v[38:39]
	v_add_f64 v[32:33], v[32:33], v[8:9]
	v_mul_f64 v[8:9], v[6:7], v[14:15]
	s_delay_alu instid0(VALU_DEP_1) | instskip(SKIP_1) | instid1(VALU_DEP_2)
	v_fma_f64 v[8:9], v[4:5], v[12:13], -v[8:9]
	v_mul_f64 v[4:5], v[4:5], v[14:15]
	v_add_f64 v[16:17], v[16:17], v[8:9]
	s_delay_alu instid0(VALU_DEP_2) | instskip(NEXT) | instid1(VALU_DEP_1)
	v_fma_f64 v[4:5], v[6:7], v[12:13], v[4:5]
	v_add_f64 v[18:19], v[18:19], v[4:5]
	ds_load_b128 v[4:7], v25 offset:80
	ds_load_b128 v[8:11], v22 offset:2560
	s_waitcnt lgkmcnt(0)
	v_mul_f64 v[12:13], v[6:7], v[10:11]
	v_mul_f64 v[14:15], v[4:5], v[10:11]
	s_delay_alu instid0(VALU_DEP_2) | instskip(NEXT) | instid1(VALU_DEP_2)
	v_fma_f64 v[12:13], v[4:5], v[8:9], -v[12:13]
	v_fma_f64 v[14:15], v[6:7], v[8:9], v[14:15]
	s_delay_alu instid0(VALU_DEP_2) | instskip(NEXT) | instid1(VALU_DEP_2)
	v_add_f64 v[34:35], v[34:35], v[12:13]
	v_add_f64 v[36:37], v[36:37], v[14:15]
	ds_load_b128 v[12:15], v22 offset:2816
	s_waitcnt lgkmcnt(0)
	v_mul_f64 v[38:39], v[6:7], v[14:15]
	s_delay_alu instid0(VALU_DEP_1) | instskip(SKIP_1) | instid1(VALU_DEP_2)
	v_fma_f64 v[38:39], v[4:5], v[12:13], -v[38:39]
	v_mul_f64 v[4:5], v[4:5], v[14:15]
	v_add_f64 v[28:29], v[28:29], v[38:39]
	s_delay_alu instid0(VALU_DEP_2) | instskip(NEXT) | instid1(VALU_DEP_1)
	v_fma_f64 v[4:5], v[6:7], v[12:13], v[4:5]
	v_add_f64 v[26:27], v[26:27], v[4:5]
	ds_load_b128 v[4:7], v25 offset:2128
	s_waitcnt lgkmcnt(0)
	v_mul_f64 v[38:39], v[6:7], v[10:11]
	v_mul_f64 v[10:11], v[4:5], v[10:11]
	s_delay_alu instid0(VALU_DEP_2) | instskip(NEXT) | instid1(VALU_DEP_2)
	v_fma_f64 v[38:39], v[4:5], v[8:9], -v[38:39]
	v_fma_f64 v[8:9], v[6:7], v[8:9], v[10:11]
	s_delay_alu instid0(VALU_DEP_2) | instskip(NEXT) | instid1(VALU_DEP_2)
	v_add_f64 v[30:31], v[30:31], v[38:39]
	v_add_f64 v[32:33], v[32:33], v[8:9]
	v_mul_f64 v[8:9], v[6:7], v[14:15]
	s_delay_alu instid0(VALU_DEP_1) | instskip(SKIP_1) | instid1(VALU_DEP_2)
	v_fma_f64 v[8:9], v[4:5], v[12:13], -v[8:9]
	v_mul_f64 v[4:5], v[4:5], v[14:15]
	v_add_f64 v[16:17], v[16:17], v[8:9]
	s_delay_alu instid0(VALU_DEP_2) | instskip(NEXT) | instid1(VALU_DEP_1)
	v_fma_f64 v[4:5], v[6:7], v[12:13], v[4:5]
	;; [unrolled: 39-line block ×3, first 2 shown]
	v_add_f64 v[48:49], v[18:19], v[4:5]
	ds_load_b128 v[4:7], v25 offset:112
	ds_load_b128 v[8:11], v22 offset:3584
	;; [unrolled: 1-line block ×4, first 2 shown]
	s_waitcnt lgkmcnt(0)
	s_barrier
	buffer_gl0_inv
	v_mul_f64 v[12:13], v[6:7], v[10:11]
	v_mul_f64 v[14:15], v[4:5], v[10:11]
	s_delay_alu instid0(VALU_DEP_2) | instskip(NEXT) | instid1(VALU_DEP_2)
	v_fma_f64 v[12:13], v[4:5], v[8:9], -v[12:13]
	v_fma_f64 v[14:15], v[6:7], v[8:9], v[14:15]
	s_delay_alu instid0(VALU_DEP_2) | instskip(SKIP_1) | instid1(VALU_DEP_3)
	v_add_f64 v[16:17], v[34:35], v[12:13]
	v_mul_f64 v[12:13], v[6:7], v[28:29]
	v_add_f64 v[18:19], v[36:37], v[14:15]
	s_delay_alu instid0(VALU_DEP_2) | instskip(SKIP_1) | instid1(VALU_DEP_1)
	v_fma_f64 v[12:13], v[4:5], v[26:27], -v[12:13]
	v_mul_f64 v[4:5], v[4:5], v[28:29]
	v_fma_f64 v[6:7], v[6:7], v[26:27], v[4:5]
	s_delay_alu instid0(VALU_DEP_3) | instskip(SKIP_2) | instid1(VALU_DEP_4)
	v_add_f64 v[4:5], v[38:39], v[12:13]
	v_mul_f64 v[12:13], v[32:33], v[10:11]
	v_mul_f64 v[10:11], v[30:31], v[10:11]
	v_add_f64 v[6:7], v[40:41], v[6:7]
	s_delay_alu instid0(VALU_DEP_3) | instskip(NEXT) | instid1(VALU_DEP_3)
	v_fma_f64 v[12:13], v[30:31], v[8:9], -v[12:13]
	v_fma_f64 v[8:9], v[32:33], v[8:9], v[10:11]
	v_mul_f64 v[10:11], v[30:31], v[28:29]
	s_delay_alu instid0(VALU_DEP_3) | instskip(NEXT) | instid1(VALU_DEP_3)
	v_add_f64 v[12:13], v[42:43], v[12:13]
	v_add_f64 v[14:15], v[44:45], v[8:9]
	v_mul_f64 v[8:9], v[32:33], v[28:29]
	s_delay_alu instid0(VALU_DEP_1) | instskip(SKIP_1) | instid1(VALU_DEP_2)
	v_fma_f64 v[8:9], v[30:31], v[26:27], -v[8:9]
	v_fma_f64 v[26:27], v[32:33], v[26:27], v[10:11]
	v_add_f64 v[10:11], v[46:47], v[8:9]
	s_delay_alu instid0(VALU_DEP_2)
	v_add_f64 v[8:9], v[48:49], v[26:27]
	s_cbranch_scc0 .LBB394_2
.LBB394_3:
	s_clause 0x1
	s_load_b32 s3, s[0:1], 0x40
	s_load_b64 s[4:5], s[0:1], 0x48
	v_add_nc_u32_e32 v21, s13, v21
	v_add_nc_u32_e32 v0, s12, v20
	s_delay_alu instid0(VALU_DEP_1)
	v_cmp_le_i32_e64 s0, v21, v0
	v_cmp_gt_i32_e32 vcc_lo, s2, v0
	s_waitcnt lgkmcnt(0)
	v_mad_i64_i32 v[1:2], null, v21, s3, 0
	s_mul_i32 s1, s15, s5
	s_mul_hi_u32 s5, s15, s4
	s_mul_i32 s4, s15, s4
	s_add_i32 s5, s5, s1
	s_delay_alu instid0(SALU_CYCLE_1) | instskip(NEXT) | instid1(VALU_DEP_1)
	s_lshl_b64 s[4:5], s[4:5], 4
	v_lshlrev_b64 v[1:2], 4, v[1:2]
	s_add_u32 s4, s6, s4
	s_addc_u32 s5, s7, s5
	s_and_b32 s0, s0, vcc_lo
	s_delay_alu instid0(VALU_DEP_1) | instskip(NEXT) | instid1(VALU_DEP_1)
	v_add_co_u32 v20, s1, s4, v1
	v_add_co_ci_u32_e64 v22, s1, s5, v2, s1
	s_and_saveexec_b32 s1, s0
	s_cbranch_execz .LBB394_5
; %bb.4:
	v_ashrrev_i32_e32 v1, 31, v0
	s_delay_alu instid0(VALU_DEP_1) | instskip(NEXT) | instid1(VALU_DEP_1)
	v_lshlrev_b64 v[1:2], 4, v[0:1]
	v_add_co_u32 v1, s0, v20, v1
	s_delay_alu instid0(VALU_DEP_1)
	v_add_co_ci_u32_e64 v2, s0, v22, v2, s0
	v_cmp_ne_u32_e64 s0, v21, v0
	global_load_b128 v[23:26], v[1:2], off
	s_waitcnt vmcnt(0)
	v_add_f64 v[18:19], v[18:19], -v[25:26]
	v_add_f64 v[16:17], v[16:17], -v[23:24]
	s_delay_alu instid0(VALU_DEP_2) | instskip(NEXT) | instid1(VALU_DEP_3)
	v_cndmask_b32_e64 v19, 0, v19, s0
	v_cndmask_b32_e64 v18, 0, v18, s0
	global_store_b128 v[1:2], v[16:19], off
.LBB394_5:
	s_or_b32 exec_lo, exec_lo, s1
	v_add_nc_u32_e32 v2, 16, v0
	s_delay_alu instid0(VALU_DEP_1) | instskip(SKIP_1) | instid1(VALU_DEP_1)
	v_cmp_le_i32_e64 s1, v21, v2
	v_cmp_gt_i32_e64 s0, s2, v2
	s_and_b32 s1, s1, s0
	s_delay_alu instid0(SALU_CYCLE_1)
	s_and_saveexec_b32 s2, s1
	s_cbranch_execz .LBB394_7
; %bb.6:
	v_ashrrev_i32_e32 v3, 31, v2
	s_delay_alu instid0(VALU_DEP_1) | instskip(NEXT) | instid1(VALU_DEP_1)
	v_lshlrev_b64 v[16:17], 4, v[2:3]
	v_add_co_u32 v23, s1, v20, v16
	s_delay_alu instid0(VALU_DEP_1)
	v_add_co_ci_u32_e64 v24, s1, v22, v17, s1
	v_cmp_ne_u32_e64 s1, v21, v2
	global_load_b128 v[16:19], v[23:24], off
	s_waitcnt vmcnt(0)
	v_add_f64 v[18:19], v[6:7], -v[18:19]
	v_add_f64 v[3:4], v[4:5], -v[16:17]
	s_delay_alu instid0(VALU_DEP_2) | instskip(NEXT) | instid1(VALU_DEP_3)
	v_cndmask_b32_e64 v6, 0, v19, s1
	v_cndmask_b32_e64 v5, 0, v18, s1
	global_store_b128 v[23:24], v[3:6], off
.LBB394_7:
	s_or_b32 exec_lo, exec_lo, s2
	v_add_nc_u32_e32 v3, 16, v21
	s_delay_alu instid0(VALU_DEP_1) | instskip(SKIP_1) | instid1(VALU_DEP_2)
	v_mad_i64_i32 v[4:5], null, v3, s3, 0
	v_cmp_le_i32_e64 s1, v3, v0
	v_lshlrev_b64 v[4:5], 4, v[4:5]
	s_delay_alu instid0(VALU_DEP_1) | instskip(NEXT) | instid1(VALU_DEP_1)
	v_add_co_u32 v4, s2, s4, v4
	v_add_co_ci_u32_e64 v5, s2, s5, v5, s2
	s_delay_alu instid0(VALU_DEP_4) | instskip(NEXT) | instid1(SALU_CYCLE_1)
	s_and_b32 s2, s1, vcc_lo
	s_and_saveexec_b32 s1, s2
	s_cbranch_execz .LBB394_9
; %bb.8:
	v_ashrrev_i32_e32 v1, 31, v0
	s_delay_alu instid0(VALU_DEP_1) | instskip(NEXT) | instid1(VALU_DEP_1)
	v_lshlrev_b64 v[6:7], 4, v[0:1]
	v_add_co_u32 v6, vcc_lo, v4, v6
	s_delay_alu instid0(VALU_DEP_2)
	v_add_co_ci_u32_e32 v7, vcc_lo, v5, v7, vcc_lo
	v_cmp_ne_u32_e32 vcc_lo, v3, v0
	global_load_b128 v[16:19], v[6:7], off
	s_waitcnt vmcnt(0)
	v_add_f64 v[14:15], v[14:15], -v[18:19]
	v_add_f64 v[12:13], v[12:13], -v[16:17]
	s_delay_alu instid0(VALU_DEP_2)
	v_dual_cndmask_b32 v15, 0, v15 :: v_dual_cndmask_b32 v14, 0, v14
	global_store_b128 v[6:7], v[12:15], off
.LBB394_9:
	s_or_b32 exec_lo, exec_lo, s1
	v_cmp_le_i32_e32 vcc_lo, v3, v2
	s_and_b32 s0, vcc_lo, s0
	s_delay_alu instid0(SALU_CYCLE_1)
	s_and_saveexec_b32 s1, s0
	s_cbranch_execz .LBB394_11
; %bb.10:
	v_ashrrev_i32_e32 v3, 31, v2
	s_delay_alu instid0(VALU_DEP_1) | instskip(NEXT) | instid1(VALU_DEP_1)
	v_lshlrev_b64 v[1:2], 4, v[2:3]
	v_add_co_u32 v6, vcc_lo, v4, v1
	s_delay_alu instid0(VALU_DEP_2)
	v_add_co_ci_u32_e32 v7, vcc_lo, v5, v2, vcc_lo
	v_cmp_ne_u32_e32 vcc_lo, v21, v0
	global_load_b128 v[1:4], v[6:7], off
	s_waitcnt vmcnt(0)
	v_add_f64 v[3:4], v[8:9], -v[3:4]
	v_add_f64 v[1:2], v[10:11], -v[1:2]
	s_delay_alu instid0(VALU_DEP_2)
	v_dual_cndmask_b32 v4, 0, v4 :: v_dual_cndmask_b32 v3, 0, v3
	global_store_b128 v[6:7], v[1:4], off
.LBB394_11:
	s_nop 0
	s_sendmsg sendmsg(MSG_DEALLOC_VGPRS)
	s_endpgm
	.section	.rodata,"a",@progbits
	.p2align	6, 0x0
	.amdhsa_kernel _ZL37rocblas_syrkx_herkx_restricted_kernelIi19rocblas_complex_numIdELi16ELi32ELi8ELi1ELin1ELb1ELc67ELc76EKS1_S1_EviT_PT9_S3_lS5_S3_lPT10_S3_li
		.amdhsa_group_segment_fixed_size 8192
		.amdhsa_private_segment_fixed_size 0
		.amdhsa_kernarg_size 84
		.amdhsa_user_sgpr_count 13
		.amdhsa_user_sgpr_dispatch_ptr 0
		.amdhsa_user_sgpr_queue_ptr 0
		.amdhsa_user_sgpr_kernarg_segment_ptr 1
		.amdhsa_user_sgpr_dispatch_id 0
		.amdhsa_user_sgpr_private_segment_size 0
		.amdhsa_wavefront_size32 1
		.amdhsa_uses_dynamic_stack 0
		.amdhsa_enable_private_segment 0
		.amdhsa_system_sgpr_workgroup_id_x 1
		.amdhsa_system_sgpr_workgroup_id_y 1
		.amdhsa_system_sgpr_workgroup_id_z 1
		.amdhsa_system_sgpr_workgroup_info 0
		.amdhsa_system_vgpr_workitem_id 1
		.amdhsa_next_free_vgpr 52
		.amdhsa_next_free_sgpr 20
		.amdhsa_reserve_vcc 1
		.amdhsa_float_round_mode_32 0
		.amdhsa_float_round_mode_16_64 0
		.amdhsa_float_denorm_mode_32 3
		.amdhsa_float_denorm_mode_16_64 3
		.amdhsa_dx10_clamp 1
		.amdhsa_ieee_mode 1
		.amdhsa_fp16_overflow 0
		.amdhsa_workgroup_processor_mode 1
		.amdhsa_memory_ordered 1
		.amdhsa_forward_progress 0
		.amdhsa_shared_vgpr_count 0
		.amdhsa_exception_fp_ieee_invalid_op 0
		.amdhsa_exception_fp_denorm_src 0
		.amdhsa_exception_fp_ieee_div_zero 0
		.amdhsa_exception_fp_ieee_overflow 0
		.amdhsa_exception_fp_ieee_underflow 0
		.amdhsa_exception_fp_ieee_inexact 0
		.amdhsa_exception_int_div_zero 0
	.end_amdhsa_kernel
	.section	.text._ZL37rocblas_syrkx_herkx_restricted_kernelIi19rocblas_complex_numIdELi16ELi32ELi8ELi1ELin1ELb1ELc67ELc76EKS1_S1_EviT_PT9_S3_lS5_S3_lPT10_S3_li,"axG",@progbits,_ZL37rocblas_syrkx_herkx_restricted_kernelIi19rocblas_complex_numIdELi16ELi32ELi8ELi1ELin1ELb1ELc67ELc76EKS1_S1_EviT_PT9_S3_lS5_S3_lPT10_S3_li,comdat
.Lfunc_end394:
	.size	_ZL37rocblas_syrkx_herkx_restricted_kernelIi19rocblas_complex_numIdELi16ELi32ELi8ELi1ELin1ELb1ELc67ELc76EKS1_S1_EviT_PT9_S3_lS5_S3_lPT10_S3_li, .Lfunc_end394-_ZL37rocblas_syrkx_herkx_restricted_kernelIi19rocblas_complex_numIdELi16ELi32ELi8ELi1ELin1ELb1ELc67ELc76EKS1_S1_EviT_PT9_S3_lS5_S3_lPT10_S3_li
                                        ; -- End function
	.section	.AMDGPU.csdata,"",@progbits
; Kernel info:
; codeLenInByte = 3380
; NumSgprs: 22
; NumVgprs: 52
; ScratchSize: 0
; MemoryBound: 0
; FloatMode: 240
; IeeeMode: 1
; LDSByteSize: 8192 bytes/workgroup (compile time only)
; SGPRBlocks: 2
; VGPRBlocks: 6
; NumSGPRsForWavesPerEU: 22
; NumVGPRsForWavesPerEU: 52
; Occupancy: 16
; WaveLimiterHint : 0
; COMPUTE_PGM_RSRC2:SCRATCH_EN: 0
; COMPUTE_PGM_RSRC2:USER_SGPR: 13
; COMPUTE_PGM_RSRC2:TRAP_HANDLER: 0
; COMPUTE_PGM_RSRC2:TGID_X_EN: 1
; COMPUTE_PGM_RSRC2:TGID_Y_EN: 1
; COMPUTE_PGM_RSRC2:TGID_Z_EN: 1
; COMPUTE_PGM_RSRC2:TIDIG_COMP_CNT: 1
	.section	.text._ZL37rocblas_syrkx_herkx_restricted_kernelIi19rocblas_complex_numIdELi16ELi32ELi8ELi1ELin1ELb1ELc78ELc76EKS1_S1_EviT_PT9_S3_lS5_S3_lPT10_S3_li,"axG",@progbits,_ZL37rocblas_syrkx_herkx_restricted_kernelIi19rocblas_complex_numIdELi16ELi32ELi8ELi1ELin1ELb1ELc78ELc76EKS1_S1_EviT_PT9_S3_lS5_S3_lPT10_S3_li,comdat
	.globl	_ZL37rocblas_syrkx_herkx_restricted_kernelIi19rocblas_complex_numIdELi16ELi32ELi8ELi1ELin1ELb1ELc78ELc76EKS1_S1_EviT_PT9_S3_lS5_S3_lPT10_S3_li ; -- Begin function _ZL37rocblas_syrkx_herkx_restricted_kernelIi19rocblas_complex_numIdELi16ELi32ELi8ELi1ELin1ELb1ELc78ELc76EKS1_S1_EviT_PT9_S3_lS5_S3_lPT10_S3_li
	.p2align	8
	.type	_ZL37rocblas_syrkx_herkx_restricted_kernelIi19rocblas_complex_numIdELi16ELi32ELi8ELi1ELin1ELb1ELc78ELc76EKS1_S1_EviT_PT9_S3_lS5_S3_lPT10_S3_li,@function
_ZL37rocblas_syrkx_herkx_restricted_kernelIi19rocblas_complex_numIdELi16ELi32ELi8ELi1ELin1ELb1ELc78ELc76EKS1_S1_EviT_PT9_S3_lS5_S3_lPT10_S3_li: ; @_ZL37rocblas_syrkx_herkx_restricted_kernelIi19rocblas_complex_numIdELi16ELi32ELi8ELi1ELin1ELb1ELc78ELc76EKS1_S1_EviT_PT9_S3_lS5_S3_lPT10_S3_li
; %bb.0:
	s_clause 0x1
	s_load_b64 s[2:3], s[0:1], 0x0
	s_load_b128 s[4:7], s[0:1], 0x30
	v_mov_b32_e32 v16, 0
	v_dual_mov_b32 v17, 0 :: v_dual_and_b32 v20, 0x3ff, v0
	v_bfe_u32 v21, v0, 10, 10
	s_delay_alu instid0(VALU_DEP_3) | instskip(NEXT) | instid1(VALU_DEP_3)
	v_mov_b32_e32 v4, v16
	v_dual_mov_b32 v6, v16 :: v_dual_mov_b32 v7, v17
	v_dual_mov_b32 v19, v17 :: v_dual_mov_b32 v18, v16
	;; [unrolled: 1-line block ×6, first 2 shown]
	v_mov_b32_e32 v9, v17
	s_lshl_b32 s12, s13, 5
	s_lshl_b32 s13, s14, 5
	s_waitcnt lgkmcnt(0)
	s_cmp_lt_i32 s3, 1
	s_mov_b32 s14, 0
	s_cbranch_scc1 .LBB395_3
; %bb.1:
	v_lshl_add_u32 v0, v21, 4, v20
	v_and_b32_e32 v6, 7, v20
	s_clause 0x3
	s_load_b32 s16, s[0:1], 0x10
	s_load_b32 s18, s[0:1], 0x28
	s_load_b128 s[8:11], s[0:1], 0x18
	s_load_b64 s[20:21], s[0:1], 0x8
	v_lshrrev_b32_e32 v1, 3, v0
	v_lshlrev_b32_e32 v3, 4, v6
	v_lshrrev_b32_e32 v7, 5, v0
	s_mul_i32 s5, s5, s15
	v_lshl_add_u32 v25, v21, 7, 0x1000
	s_delay_alu instid0(VALU_DEP_3) | instskip(NEXT) | instid1(VALU_DEP_1)
	v_lshl_or_b32 v8, v1, 7, v3
	v_dual_mov_b32 v8, 0 :: v_dual_add_nc_u32 v23, 0x1000, v8
	v_dual_mov_b32 v9, 0 :: v_dual_and_b32 v2, 31, v0
	v_add_nc_u32_e32 v0, s13, v1
	s_waitcnt lgkmcnt(0)
	s_ashr_i32 s17, s16, 31
	s_ashr_i32 s19, s18, 31
	v_mov_b32_e32 v15, v9
	v_dual_mov_b32 v11, v9 :: v_dual_lshlrev_b32 v4, 4, v2
	v_dual_mov_b32 v13, v9 :: v_dual_add_nc_u32 v2, s12, v2
	v_ashrrev_i32_e32 v1, 31, v0
	s_mul_i32 s9, s9, s15
	s_delay_alu instid0(VALU_DEP_3)
	v_lshl_or_b32 v22, v7, 9, v4
	s_mul_hi_u32 s22, s8, s15
	v_ashrrev_i32_e32 v3, 31, v2
	v_mad_i64_i32 v[4:5], null, s18, v6, v[0:1]
	s_add_i32 s9, s22, s9
	s_mul_i32 s8, s8, s15
	s_delay_alu instid0(VALU_DEP_2)
	v_mad_i64_i32 v[0:1], null, s16, v7, v[2:3]
	s_lshl_b64 s[8:9], s[8:9], 4
	v_dual_mov_b32 v14, v8 :: v_dual_mov_b32 v19, v9
	s_add_u32 s8, s20, s8
	s_addc_u32 s9, s21, s9
	s_mul_hi_u32 s20, s4, s15
	s_delay_alu instid0(VALU_DEP_2) | instskip(SKIP_4) | instid1(VALU_DEP_3)
	v_lshlrev_b64 v[0:1], 4, v[0:1]
	s_add_i32 s5, s20, s5
	s_mul_i32 s4, s4, s15
	v_dual_mov_b32 v12, v8 :: v_dual_mov_b32 v17, v9
	v_mov_b32_e32 v6, v8
	v_add_co_u32 v2, vcc_lo, s8, v0
	v_add_co_ci_u32_e32 v3, vcc_lo, s9, v1, vcc_lo
	v_lshlrev_b64 v[0:1], 4, v[4:5]
	s_lshl_b64 s[8:9], s[4:5], 4
	s_lshl_b64 s[4:5], s[16:17], 7
	s_add_u32 s8, s10, s8
	s_addc_u32 s9, s11, s9
	v_lshlrev_b32_e32 v24, 4, v20
	v_add_co_u32 v4, vcc_lo, s8, v0
	v_add_co_ci_u32_e32 v5, vcc_lo, s9, v1, vcc_lo
	v_add_co_u32 v0, vcc_lo, v2, 8
	v_add_co_ci_u32_e32 v1, vcc_lo, 0, v3, vcc_lo
	s_delay_alu instid0(VALU_DEP_4) | instskip(NEXT) | instid1(VALU_DEP_4)
	v_add_co_u32 v2, vcc_lo, v4, 8
	v_add_co_ci_u32_e32 v3, vcc_lo, 0, v5, vcc_lo
	v_dual_mov_b32 v4, v8 :: v_dual_mov_b32 v5, v9
	v_dual_mov_b32 v10, v8 :: v_dual_mov_b32 v7, v9
	v_mov_b32_e32 v18, v8
	v_mov_b32_e32 v16, v8
	s_lshl_b64 s[8:9], s[18:19], 7
.LBB395_2:                              ; =>This Inner Loop Header: Depth=1
	global_load_b128 v[26:29], v[0:1], off offset:-8
	v_add_co_u32 v0, vcc_lo, v0, s4
	v_add_co_ci_u32_e32 v1, vcc_lo, s5, v1, vcc_lo
	s_add_i32 s14, s14, 8
	s_delay_alu instid0(SALU_CYCLE_1)
	s_cmp_ge_i32 s14, s3
	s_waitcnt vmcnt(0)
	ds_store_b128 v22, v[26:29]
	global_load_b128 v[26:29], v[2:3], off offset:-8
	v_add_co_u32 v2, vcc_lo, v2, s8
	v_add_co_ci_u32_e32 v3, vcc_lo, s9, v3, vcc_lo
	s_waitcnt vmcnt(0)
	v_xor_b32_e32 v29, 0x80000000, v29
	ds_store_b128 v23, v[26:29]
	s_waitcnt lgkmcnt(0)
	s_barrier
	buffer_gl0_inv
	ds_load_b128 v[26:29], v25
	ds_load_b128 v[30:33], v25 offset:16
	ds_load_b128 v[34:37], v25 offset:32
	;; [unrolled: 1-line block ×3, first 2 shown]
	ds_load_b128 v[42:45], v24
	s_waitcnt lgkmcnt(0)
	v_mul_f64 v[46:47], v[28:29], v[44:45]
	v_mul_f64 v[48:49], v[26:27], v[44:45]
	s_delay_alu instid0(VALU_DEP_2) | instskip(NEXT) | instid1(VALU_DEP_2)
	v_fma_f64 v[46:47], v[26:27], v[42:43], -v[46:47]
	v_fma_f64 v[48:49], v[28:29], v[42:43], v[48:49]
	s_delay_alu instid0(VALU_DEP_2) | instskip(NEXT) | instid1(VALU_DEP_2)
	v_add_f64 v[46:47], v[16:17], v[46:47]
	v_add_f64 v[48:49], v[18:19], v[48:49]
	ds_load_b128 v[16:19], v24 offset:256
	s_waitcnt lgkmcnt(0)
	v_mul_f64 v[50:51], v[28:29], v[18:19]
	s_delay_alu instid0(VALU_DEP_1) | instskip(SKIP_1) | instid1(VALU_DEP_1)
	v_fma_f64 v[50:51], v[26:27], v[16:17], -v[50:51]
	v_mul_f64 v[26:27], v[26:27], v[18:19]
	v_fma_f64 v[26:27], v[28:29], v[16:17], v[26:27]
	s_delay_alu instid0(VALU_DEP_3) | instskip(NEXT) | instid1(VALU_DEP_2)
	v_add_f64 v[28:29], v[4:5], v[50:51]
	v_add_f64 v[26:27], v[6:7], v[26:27]
	ds_load_b128 v[4:7], v25 offset:2048
	s_waitcnt lgkmcnt(0)
	v_mul_f64 v[50:51], v[6:7], v[44:45]
	v_mul_f64 v[44:45], v[4:5], v[44:45]
	s_delay_alu instid0(VALU_DEP_2) | instskip(NEXT) | instid1(VALU_DEP_2)
	v_fma_f64 v[50:51], v[4:5], v[42:43], -v[50:51]
	v_fma_f64 v[42:43], v[6:7], v[42:43], v[44:45]
	s_delay_alu instid0(VALU_DEP_2) | instskip(SKIP_1) | instid1(VALU_DEP_3)
	v_add_f64 v[44:45], v[12:13], v[50:51]
	v_mul_f64 v[12:13], v[6:7], v[18:19]
	v_add_f64 v[42:43], v[14:15], v[42:43]
	s_delay_alu instid0(VALU_DEP_2) | instskip(SKIP_1) | instid1(VALU_DEP_1)
	v_fma_f64 v[12:13], v[4:5], v[16:17], -v[12:13]
	v_mul_f64 v[4:5], v[4:5], v[18:19]
	v_fma_f64 v[4:5], v[6:7], v[16:17], v[4:5]
	s_delay_alu instid0(VALU_DEP_3) | instskip(NEXT) | instid1(VALU_DEP_2)
	v_add_f64 v[16:17], v[10:11], v[12:13]
	v_add_f64 v[18:19], v[8:9], v[4:5]
	ds_load_b128 v[4:7], v24 offset:512
	s_waitcnt lgkmcnt(0)
	v_mul_f64 v[8:9], v[32:33], v[6:7]
	v_mul_f64 v[10:11], v[30:31], v[6:7]
	s_delay_alu instid0(VALU_DEP_2) | instskip(NEXT) | instid1(VALU_DEP_2)
	v_fma_f64 v[8:9], v[30:31], v[4:5], -v[8:9]
	v_fma_f64 v[10:11], v[32:33], v[4:5], v[10:11]
	s_delay_alu instid0(VALU_DEP_2) | instskip(NEXT) | instid1(VALU_DEP_2)
	v_add_f64 v[46:47], v[46:47], v[8:9]
	v_add_f64 v[48:49], v[48:49], v[10:11]
	ds_load_b128 v[8:11], v24 offset:768
	s_waitcnt lgkmcnt(0)
	v_mul_f64 v[12:13], v[32:33], v[10:11]
	v_mul_f64 v[14:15], v[30:31], v[10:11]
	s_delay_alu instid0(VALU_DEP_2) | instskip(NEXT) | instid1(VALU_DEP_2)
	v_fma_f64 v[12:13], v[30:31], v[8:9], -v[12:13]
	v_fma_f64 v[14:15], v[32:33], v[8:9], v[14:15]
	s_delay_alu instid0(VALU_DEP_2) | instskip(NEXT) | instid1(VALU_DEP_2)
	v_add_f64 v[28:29], v[28:29], v[12:13]
	v_add_f64 v[26:27], v[26:27], v[14:15]
	ds_load_b128 v[12:15], v25 offset:2064
	s_waitcnt lgkmcnt(0)
	v_mul_f64 v[30:31], v[14:15], v[6:7]
	v_mul_f64 v[6:7], v[12:13], v[6:7]
	s_delay_alu instid0(VALU_DEP_2) | instskip(NEXT) | instid1(VALU_DEP_2)
	v_fma_f64 v[30:31], v[12:13], v[4:5], -v[30:31]
	v_fma_f64 v[4:5], v[14:15], v[4:5], v[6:7]
	v_mul_f64 v[6:7], v[12:13], v[10:11]
	s_delay_alu instid0(VALU_DEP_3) | instskip(NEXT) | instid1(VALU_DEP_3)
	v_add_f64 v[30:31], v[44:45], v[30:31]
	v_add_f64 v[32:33], v[42:43], v[4:5]
	v_mul_f64 v[4:5], v[14:15], v[10:11]
	s_delay_alu instid0(VALU_DEP_4) | instskip(NEXT) | instid1(VALU_DEP_2)
	v_fma_f64 v[6:7], v[14:15], v[8:9], v[6:7]
	v_fma_f64 v[4:5], v[12:13], v[8:9], -v[4:5]
	s_delay_alu instid0(VALU_DEP_2) | instskip(NEXT) | instid1(VALU_DEP_2)
	v_add_f64 v[18:19], v[18:19], v[6:7]
	v_add_f64 v[16:17], v[16:17], v[4:5]
	ds_load_b128 v[4:7], v24 offset:1024
	s_waitcnt lgkmcnt(0)
	v_mul_f64 v[8:9], v[36:37], v[6:7]
	v_mul_f64 v[10:11], v[34:35], v[6:7]
	s_delay_alu instid0(VALU_DEP_2) | instskip(NEXT) | instid1(VALU_DEP_2)
	v_fma_f64 v[8:9], v[34:35], v[4:5], -v[8:9]
	v_fma_f64 v[10:11], v[36:37], v[4:5], v[10:11]
	s_delay_alu instid0(VALU_DEP_2) | instskip(NEXT) | instid1(VALU_DEP_2)
	v_add_f64 v[42:43], v[46:47], v[8:9]
	v_add_f64 v[44:45], v[48:49], v[10:11]
	ds_load_b128 v[8:11], v24 offset:1280
	s_waitcnt lgkmcnt(0)
	v_mul_f64 v[12:13], v[36:37], v[10:11]
	v_mul_f64 v[14:15], v[34:35], v[10:11]
	s_delay_alu instid0(VALU_DEP_2) | instskip(NEXT) | instid1(VALU_DEP_2)
	v_fma_f64 v[12:13], v[34:35], v[8:9], -v[12:13]
	v_fma_f64 v[14:15], v[36:37], v[8:9], v[14:15]
	s_delay_alu instid0(VALU_DEP_2) | instskip(NEXT) | instid1(VALU_DEP_2)
	v_add_f64 v[28:29], v[28:29], v[12:13]
	v_add_f64 v[26:27], v[26:27], v[14:15]
	ds_load_b128 v[12:15], v25 offset:2080
	s_waitcnt lgkmcnt(0)
	v_mul_f64 v[34:35], v[14:15], v[6:7]
	v_mul_f64 v[6:7], v[12:13], v[6:7]
	s_delay_alu instid0(VALU_DEP_2) | instskip(NEXT) | instid1(VALU_DEP_2)
	v_fma_f64 v[34:35], v[12:13], v[4:5], -v[34:35]
	v_fma_f64 v[4:5], v[14:15], v[4:5], v[6:7]
	v_mul_f64 v[6:7], v[12:13], v[10:11]
	s_delay_alu instid0(VALU_DEP_3) | instskip(NEXT) | instid1(VALU_DEP_3)
	v_add_f64 v[30:31], v[30:31], v[34:35]
	v_add_f64 v[32:33], v[32:33], v[4:5]
	v_mul_f64 v[4:5], v[14:15], v[10:11]
	s_delay_alu instid0(VALU_DEP_4) | instskip(NEXT) | instid1(VALU_DEP_2)
	v_fma_f64 v[6:7], v[14:15], v[8:9], v[6:7]
	v_fma_f64 v[4:5], v[12:13], v[8:9], -v[4:5]
	s_delay_alu instid0(VALU_DEP_2) | instskip(NEXT) | instid1(VALU_DEP_2)
	;; [unrolled: 38-line block ×3, first 2 shown]
	v_add_f64 v[18:19], v[18:19], v[6:7]
	v_add_f64 v[16:17], v[16:17], v[4:5]
	ds_load_b128 v[4:7], v25 offset:64
	ds_load_b128 v[8:11], v24 offset:2048
	s_waitcnt lgkmcnt(0)
	v_mul_f64 v[12:13], v[6:7], v[10:11]
	v_mul_f64 v[14:15], v[4:5], v[10:11]
	s_delay_alu instid0(VALU_DEP_2) | instskip(NEXT) | instid1(VALU_DEP_2)
	v_fma_f64 v[12:13], v[4:5], v[8:9], -v[12:13]
	v_fma_f64 v[14:15], v[6:7], v[8:9], v[14:15]
	s_delay_alu instid0(VALU_DEP_2) | instskip(NEXT) | instid1(VALU_DEP_2)
	v_add_f64 v[34:35], v[34:35], v[12:13]
	v_add_f64 v[36:37], v[36:37], v[14:15]
	ds_load_b128 v[12:15], v24 offset:2304
	s_waitcnt lgkmcnt(0)
	v_mul_f64 v[38:39], v[6:7], v[14:15]
	s_delay_alu instid0(VALU_DEP_1) | instskip(SKIP_1) | instid1(VALU_DEP_2)
	v_fma_f64 v[38:39], v[4:5], v[12:13], -v[38:39]
	v_mul_f64 v[4:5], v[4:5], v[14:15]
	v_add_f64 v[28:29], v[28:29], v[38:39]
	s_delay_alu instid0(VALU_DEP_2) | instskip(NEXT) | instid1(VALU_DEP_1)
	v_fma_f64 v[4:5], v[6:7], v[12:13], v[4:5]
	v_add_f64 v[26:27], v[26:27], v[4:5]
	ds_load_b128 v[4:7], v25 offset:2112
	s_waitcnt lgkmcnt(0)
	v_mul_f64 v[38:39], v[6:7], v[10:11]
	v_mul_f64 v[10:11], v[4:5], v[10:11]
	s_delay_alu instid0(VALU_DEP_2) | instskip(NEXT) | instid1(VALU_DEP_2)
	v_fma_f64 v[38:39], v[4:5], v[8:9], -v[38:39]
	v_fma_f64 v[8:9], v[6:7], v[8:9], v[10:11]
	s_delay_alu instid0(VALU_DEP_2) | instskip(NEXT) | instid1(VALU_DEP_2)
	v_add_f64 v[30:31], v[30:31], v[38:39]
	v_add_f64 v[32:33], v[32:33], v[8:9]
	v_mul_f64 v[8:9], v[6:7], v[14:15]
	s_delay_alu instid0(VALU_DEP_1) | instskip(SKIP_1) | instid1(VALU_DEP_2)
	v_fma_f64 v[8:9], v[4:5], v[12:13], -v[8:9]
	v_mul_f64 v[4:5], v[4:5], v[14:15]
	v_add_f64 v[16:17], v[16:17], v[8:9]
	s_delay_alu instid0(VALU_DEP_2) | instskip(NEXT) | instid1(VALU_DEP_1)
	v_fma_f64 v[4:5], v[6:7], v[12:13], v[4:5]
	v_add_f64 v[18:19], v[18:19], v[4:5]
	ds_load_b128 v[4:7], v25 offset:80
	ds_load_b128 v[8:11], v24 offset:2560
	s_waitcnt lgkmcnt(0)
	v_mul_f64 v[12:13], v[6:7], v[10:11]
	v_mul_f64 v[14:15], v[4:5], v[10:11]
	s_delay_alu instid0(VALU_DEP_2) | instskip(NEXT) | instid1(VALU_DEP_2)
	v_fma_f64 v[12:13], v[4:5], v[8:9], -v[12:13]
	v_fma_f64 v[14:15], v[6:7], v[8:9], v[14:15]
	s_delay_alu instid0(VALU_DEP_2) | instskip(NEXT) | instid1(VALU_DEP_2)
	v_add_f64 v[34:35], v[34:35], v[12:13]
	v_add_f64 v[36:37], v[36:37], v[14:15]
	ds_load_b128 v[12:15], v24 offset:2816
	s_waitcnt lgkmcnt(0)
	v_mul_f64 v[38:39], v[6:7], v[14:15]
	s_delay_alu instid0(VALU_DEP_1) | instskip(SKIP_1) | instid1(VALU_DEP_2)
	v_fma_f64 v[38:39], v[4:5], v[12:13], -v[38:39]
	v_mul_f64 v[4:5], v[4:5], v[14:15]
	v_add_f64 v[28:29], v[28:29], v[38:39]
	s_delay_alu instid0(VALU_DEP_2) | instskip(NEXT) | instid1(VALU_DEP_1)
	v_fma_f64 v[4:5], v[6:7], v[12:13], v[4:5]
	v_add_f64 v[26:27], v[26:27], v[4:5]
	ds_load_b128 v[4:7], v25 offset:2128
	s_waitcnt lgkmcnt(0)
	v_mul_f64 v[38:39], v[6:7], v[10:11]
	v_mul_f64 v[10:11], v[4:5], v[10:11]
	s_delay_alu instid0(VALU_DEP_2) | instskip(NEXT) | instid1(VALU_DEP_2)
	v_fma_f64 v[38:39], v[4:5], v[8:9], -v[38:39]
	v_fma_f64 v[8:9], v[6:7], v[8:9], v[10:11]
	s_delay_alu instid0(VALU_DEP_2) | instskip(NEXT) | instid1(VALU_DEP_2)
	v_add_f64 v[30:31], v[30:31], v[38:39]
	v_add_f64 v[32:33], v[32:33], v[8:9]
	v_mul_f64 v[8:9], v[6:7], v[14:15]
	s_delay_alu instid0(VALU_DEP_1) | instskip(SKIP_1) | instid1(VALU_DEP_2)
	v_fma_f64 v[8:9], v[4:5], v[12:13], -v[8:9]
	v_mul_f64 v[4:5], v[4:5], v[14:15]
	v_add_f64 v[16:17], v[16:17], v[8:9]
	s_delay_alu instid0(VALU_DEP_2) | instskip(NEXT) | instid1(VALU_DEP_1)
	v_fma_f64 v[4:5], v[6:7], v[12:13], v[4:5]
	;; [unrolled: 39-line block ×3, first 2 shown]
	v_add_f64 v[48:49], v[18:19], v[4:5]
	ds_load_b128 v[4:7], v25 offset:112
	ds_load_b128 v[8:11], v24 offset:3584
	;; [unrolled: 1-line block ×4, first 2 shown]
	s_waitcnt lgkmcnt(0)
	s_barrier
	buffer_gl0_inv
	v_mul_f64 v[12:13], v[6:7], v[10:11]
	v_mul_f64 v[14:15], v[4:5], v[10:11]
	s_delay_alu instid0(VALU_DEP_2) | instskip(NEXT) | instid1(VALU_DEP_2)
	v_fma_f64 v[12:13], v[4:5], v[8:9], -v[12:13]
	v_fma_f64 v[14:15], v[6:7], v[8:9], v[14:15]
	s_delay_alu instid0(VALU_DEP_2) | instskip(SKIP_1) | instid1(VALU_DEP_3)
	v_add_f64 v[16:17], v[34:35], v[12:13]
	v_mul_f64 v[12:13], v[6:7], v[28:29]
	v_add_f64 v[18:19], v[36:37], v[14:15]
	s_delay_alu instid0(VALU_DEP_2) | instskip(SKIP_1) | instid1(VALU_DEP_1)
	v_fma_f64 v[12:13], v[4:5], v[26:27], -v[12:13]
	v_mul_f64 v[4:5], v[4:5], v[28:29]
	v_fma_f64 v[6:7], v[6:7], v[26:27], v[4:5]
	s_delay_alu instid0(VALU_DEP_3) | instskip(SKIP_2) | instid1(VALU_DEP_4)
	v_add_f64 v[4:5], v[38:39], v[12:13]
	v_mul_f64 v[12:13], v[32:33], v[10:11]
	v_mul_f64 v[10:11], v[30:31], v[10:11]
	v_add_f64 v[6:7], v[40:41], v[6:7]
	s_delay_alu instid0(VALU_DEP_3) | instskip(NEXT) | instid1(VALU_DEP_3)
	v_fma_f64 v[12:13], v[30:31], v[8:9], -v[12:13]
	v_fma_f64 v[8:9], v[32:33], v[8:9], v[10:11]
	v_mul_f64 v[10:11], v[30:31], v[28:29]
	s_delay_alu instid0(VALU_DEP_3) | instskip(NEXT) | instid1(VALU_DEP_3)
	v_add_f64 v[12:13], v[42:43], v[12:13]
	v_add_f64 v[14:15], v[44:45], v[8:9]
	v_mul_f64 v[8:9], v[32:33], v[28:29]
	s_delay_alu instid0(VALU_DEP_1) | instskip(SKIP_1) | instid1(VALU_DEP_2)
	v_fma_f64 v[8:9], v[30:31], v[26:27], -v[8:9]
	v_fma_f64 v[26:27], v[32:33], v[26:27], v[10:11]
	v_add_f64 v[10:11], v[46:47], v[8:9]
	s_delay_alu instid0(VALU_DEP_2)
	v_add_f64 v[8:9], v[48:49], v[26:27]
	s_cbranch_scc0 .LBB395_2
.LBB395_3:
	s_clause 0x1
	s_load_b32 s3, s[0:1], 0x40
	s_load_b64 s[4:5], s[0:1], 0x48
	v_add_nc_u32_e32 v21, s13, v21
	v_add_nc_u32_e32 v0, s12, v20
	s_delay_alu instid0(VALU_DEP_1)
	v_cmp_le_i32_e64 s0, v21, v0
	v_cmp_gt_i32_e32 vcc_lo, s2, v0
	s_waitcnt lgkmcnt(0)
	v_mad_i64_i32 v[1:2], null, v21, s3, 0
	s_mul_i32 s1, s15, s5
	s_mul_hi_u32 s5, s15, s4
	s_mul_i32 s4, s15, s4
	s_add_i32 s5, s5, s1
	s_delay_alu instid0(SALU_CYCLE_1) | instskip(NEXT) | instid1(VALU_DEP_1)
	s_lshl_b64 s[4:5], s[4:5], 4
	v_lshlrev_b64 v[1:2], 4, v[1:2]
	s_add_u32 s4, s6, s4
	s_addc_u32 s5, s7, s5
	s_and_b32 s0, s0, vcc_lo
	s_delay_alu instid0(VALU_DEP_1) | instskip(NEXT) | instid1(VALU_DEP_1)
	v_add_co_u32 v20, s1, s4, v1
	v_add_co_ci_u32_e64 v22, s1, s5, v2, s1
	s_and_saveexec_b32 s1, s0
	s_cbranch_execz .LBB395_5
; %bb.4:
	v_ashrrev_i32_e32 v1, 31, v0
	s_delay_alu instid0(VALU_DEP_1) | instskip(NEXT) | instid1(VALU_DEP_1)
	v_lshlrev_b64 v[1:2], 4, v[0:1]
	v_add_co_u32 v1, s0, v20, v1
	s_delay_alu instid0(VALU_DEP_1)
	v_add_co_ci_u32_e64 v2, s0, v22, v2, s0
	v_cmp_ne_u32_e64 s0, v21, v0
	global_load_b128 v[23:26], v[1:2], off
	s_waitcnt vmcnt(0)
	v_add_f64 v[18:19], v[18:19], -v[25:26]
	v_add_f64 v[16:17], v[16:17], -v[23:24]
	s_delay_alu instid0(VALU_DEP_2) | instskip(NEXT) | instid1(VALU_DEP_3)
	v_cndmask_b32_e64 v19, 0, v19, s0
	v_cndmask_b32_e64 v18, 0, v18, s0
	global_store_b128 v[1:2], v[16:19], off
.LBB395_5:
	s_or_b32 exec_lo, exec_lo, s1
	v_add_nc_u32_e32 v2, 16, v0
	s_delay_alu instid0(VALU_DEP_1) | instskip(SKIP_1) | instid1(VALU_DEP_1)
	v_cmp_le_i32_e64 s1, v21, v2
	v_cmp_gt_i32_e64 s0, s2, v2
	s_and_b32 s1, s1, s0
	s_delay_alu instid0(SALU_CYCLE_1)
	s_and_saveexec_b32 s2, s1
	s_cbranch_execz .LBB395_7
; %bb.6:
	v_ashrrev_i32_e32 v3, 31, v2
	s_delay_alu instid0(VALU_DEP_1) | instskip(NEXT) | instid1(VALU_DEP_1)
	v_lshlrev_b64 v[16:17], 4, v[2:3]
	v_add_co_u32 v23, s1, v20, v16
	s_delay_alu instid0(VALU_DEP_1)
	v_add_co_ci_u32_e64 v24, s1, v22, v17, s1
	v_cmp_ne_u32_e64 s1, v21, v2
	global_load_b128 v[16:19], v[23:24], off
	s_waitcnt vmcnt(0)
	v_add_f64 v[18:19], v[6:7], -v[18:19]
	v_add_f64 v[3:4], v[4:5], -v[16:17]
	s_delay_alu instid0(VALU_DEP_2) | instskip(NEXT) | instid1(VALU_DEP_3)
	v_cndmask_b32_e64 v6, 0, v19, s1
	v_cndmask_b32_e64 v5, 0, v18, s1
	global_store_b128 v[23:24], v[3:6], off
.LBB395_7:
	s_or_b32 exec_lo, exec_lo, s2
	v_add_nc_u32_e32 v3, 16, v21
	s_delay_alu instid0(VALU_DEP_1) | instskip(SKIP_1) | instid1(VALU_DEP_2)
	v_mad_i64_i32 v[4:5], null, v3, s3, 0
	v_cmp_le_i32_e64 s1, v3, v0
	v_lshlrev_b64 v[4:5], 4, v[4:5]
	s_delay_alu instid0(VALU_DEP_1) | instskip(NEXT) | instid1(VALU_DEP_1)
	v_add_co_u32 v4, s2, s4, v4
	v_add_co_ci_u32_e64 v5, s2, s5, v5, s2
	s_delay_alu instid0(VALU_DEP_4) | instskip(NEXT) | instid1(SALU_CYCLE_1)
	s_and_b32 s2, s1, vcc_lo
	s_and_saveexec_b32 s1, s2
	s_cbranch_execz .LBB395_9
; %bb.8:
	v_ashrrev_i32_e32 v1, 31, v0
	s_delay_alu instid0(VALU_DEP_1) | instskip(NEXT) | instid1(VALU_DEP_1)
	v_lshlrev_b64 v[6:7], 4, v[0:1]
	v_add_co_u32 v6, vcc_lo, v4, v6
	s_delay_alu instid0(VALU_DEP_2)
	v_add_co_ci_u32_e32 v7, vcc_lo, v5, v7, vcc_lo
	v_cmp_ne_u32_e32 vcc_lo, v3, v0
	global_load_b128 v[16:19], v[6:7], off
	s_waitcnt vmcnt(0)
	v_add_f64 v[14:15], v[14:15], -v[18:19]
	v_add_f64 v[12:13], v[12:13], -v[16:17]
	s_delay_alu instid0(VALU_DEP_2)
	v_dual_cndmask_b32 v15, 0, v15 :: v_dual_cndmask_b32 v14, 0, v14
	global_store_b128 v[6:7], v[12:15], off
.LBB395_9:
	s_or_b32 exec_lo, exec_lo, s1
	v_cmp_le_i32_e32 vcc_lo, v3, v2
	s_and_b32 s0, vcc_lo, s0
	s_delay_alu instid0(SALU_CYCLE_1)
	s_and_saveexec_b32 s1, s0
	s_cbranch_execz .LBB395_11
; %bb.10:
	v_ashrrev_i32_e32 v3, 31, v2
	s_delay_alu instid0(VALU_DEP_1) | instskip(NEXT) | instid1(VALU_DEP_1)
	v_lshlrev_b64 v[1:2], 4, v[2:3]
	v_add_co_u32 v6, vcc_lo, v4, v1
	s_delay_alu instid0(VALU_DEP_2)
	v_add_co_ci_u32_e32 v7, vcc_lo, v5, v2, vcc_lo
	v_cmp_ne_u32_e32 vcc_lo, v21, v0
	global_load_b128 v[1:4], v[6:7], off
	s_waitcnt vmcnt(0)
	v_add_f64 v[3:4], v[8:9], -v[3:4]
	v_add_f64 v[1:2], v[10:11], -v[1:2]
	s_delay_alu instid0(VALU_DEP_2)
	v_dual_cndmask_b32 v4, 0, v4 :: v_dual_cndmask_b32 v3, 0, v3
	global_store_b128 v[6:7], v[1:4], off
.LBB395_11:
	s_nop 0
	s_sendmsg sendmsg(MSG_DEALLOC_VGPRS)
	s_endpgm
	.section	.rodata,"a",@progbits
	.p2align	6, 0x0
	.amdhsa_kernel _ZL37rocblas_syrkx_herkx_restricted_kernelIi19rocblas_complex_numIdELi16ELi32ELi8ELi1ELin1ELb1ELc78ELc76EKS1_S1_EviT_PT9_S3_lS5_S3_lPT10_S3_li
		.amdhsa_group_segment_fixed_size 8192
		.amdhsa_private_segment_fixed_size 0
		.amdhsa_kernarg_size 84
		.amdhsa_user_sgpr_count 13
		.amdhsa_user_sgpr_dispatch_ptr 0
		.amdhsa_user_sgpr_queue_ptr 0
		.amdhsa_user_sgpr_kernarg_segment_ptr 1
		.amdhsa_user_sgpr_dispatch_id 0
		.amdhsa_user_sgpr_private_segment_size 0
		.amdhsa_wavefront_size32 1
		.amdhsa_uses_dynamic_stack 0
		.amdhsa_enable_private_segment 0
		.amdhsa_system_sgpr_workgroup_id_x 1
		.amdhsa_system_sgpr_workgroup_id_y 1
		.amdhsa_system_sgpr_workgroup_id_z 1
		.amdhsa_system_sgpr_workgroup_info 0
		.amdhsa_system_vgpr_workitem_id 1
		.amdhsa_next_free_vgpr 52
		.amdhsa_next_free_sgpr 23
		.amdhsa_reserve_vcc 1
		.amdhsa_float_round_mode_32 0
		.amdhsa_float_round_mode_16_64 0
		.amdhsa_float_denorm_mode_32 3
		.amdhsa_float_denorm_mode_16_64 3
		.amdhsa_dx10_clamp 1
		.amdhsa_ieee_mode 1
		.amdhsa_fp16_overflow 0
		.amdhsa_workgroup_processor_mode 1
		.amdhsa_memory_ordered 1
		.amdhsa_forward_progress 0
		.amdhsa_shared_vgpr_count 0
		.amdhsa_exception_fp_ieee_invalid_op 0
		.amdhsa_exception_fp_denorm_src 0
		.amdhsa_exception_fp_ieee_div_zero 0
		.amdhsa_exception_fp_ieee_overflow 0
		.amdhsa_exception_fp_ieee_underflow 0
		.amdhsa_exception_fp_ieee_inexact 0
		.amdhsa_exception_int_div_zero 0
	.end_amdhsa_kernel
	.section	.text._ZL37rocblas_syrkx_herkx_restricted_kernelIi19rocblas_complex_numIdELi16ELi32ELi8ELi1ELin1ELb1ELc78ELc76EKS1_S1_EviT_PT9_S3_lS5_S3_lPT10_S3_li,"axG",@progbits,_ZL37rocblas_syrkx_herkx_restricted_kernelIi19rocblas_complex_numIdELi16ELi32ELi8ELi1ELin1ELb1ELc78ELc76EKS1_S1_EviT_PT9_S3_lS5_S3_lPT10_S3_li,comdat
.Lfunc_end395:
	.size	_ZL37rocblas_syrkx_herkx_restricted_kernelIi19rocblas_complex_numIdELi16ELi32ELi8ELi1ELin1ELb1ELc78ELc76EKS1_S1_EviT_PT9_S3_lS5_S3_lPT10_S3_li, .Lfunc_end395-_ZL37rocblas_syrkx_herkx_restricted_kernelIi19rocblas_complex_numIdELi16ELi32ELi8ELi1ELin1ELb1ELc78ELc76EKS1_S1_EviT_PT9_S3_lS5_S3_lPT10_S3_li
                                        ; -- End function
	.section	.AMDGPU.csdata,"",@progbits
; Kernel info:
; codeLenInByte = 3392
; NumSgprs: 25
; NumVgprs: 52
; ScratchSize: 0
; MemoryBound: 0
; FloatMode: 240
; IeeeMode: 1
; LDSByteSize: 8192 bytes/workgroup (compile time only)
; SGPRBlocks: 3
; VGPRBlocks: 6
; NumSGPRsForWavesPerEU: 25
; NumVGPRsForWavesPerEU: 52
; Occupancy: 16
; WaveLimiterHint : 0
; COMPUTE_PGM_RSRC2:SCRATCH_EN: 0
; COMPUTE_PGM_RSRC2:USER_SGPR: 13
; COMPUTE_PGM_RSRC2:TRAP_HANDLER: 0
; COMPUTE_PGM_RSRC2:TGID_X_EN: 1
; COMPUTE_PGM_RSRC2:TGID_Y_EN: 1
; COMPUTE_PGM_RSRC2:TGID_Z_EN: 1
; COMPUTE_PGM_RSRC2:TIDIG_COMP_CNT: 1
	.section	.text._ZL37rocblas_syrkx_herkx_restricted_kernelIi19rocblas_complex_numIdELi16ELi32ELi8ELi1ELin1ELb1ELc84ELc85EKS1_S1_EviT_PT9_S3_lS5_S3_lPT10_S3_li,"axG",@progbits,_ZL37rocblas_syrkx_herkx_restricted_kernelIi19rocblas_complex_numIdELi16ELi32ELi8ELi1ELin1ELb1ELc84ELc85EKS1_S1_EviT_PT9_S3_lS5_S3_lPT10_S3_li,comdat
	.globl	_ZL37rocblas_syrkx_herkx_restricted_kernelIi19rocblas_complex_numIdELi16ELi32ELi8ELi1ELin1ELb1ELc84ELc85EKS1_S1_EviT_PT9_S3_lS5_S3_lPT10_S3_li ; -- Begin function _ZL37rocblas_syrkx_herkx_restricted_kernelIi19rocblas_complex_numIdELi16ELi32ELi8ELi1ELin1ELb1ELc84ELc85EKS1_S1_EviT_PT9_S3_lS5_S3_lPT10_S3_li
	.p2align	8
	.type	_ZL37rocblas_syrkx_herkx_restricted_kernelIi19rocblas_complex_numIdELi16ELi32ELi8ELi1ELin1ELb1ELc84ELc85EKS1_S1_EviT_PT9_S3_lS5_S3_lPT10_S3_li,@function
_ZL37rocblas_syrkx_herkx_restricted_kernelIi19rocblas_complex_numIdELi16ELi32ELi8ELi1ELin1ELb1ELc84ELc85EKS1_S1_EviT_PT9_S3_lS5_S3_lPT10_S3_li: ; @_ZL37rocblas_syrkx_herkx_restricted_kernelIi19rocblas_complex_numIdELi16ELi32ELi8ELi1ELin1ELb1ELc84ELc85EKS1_S1_EviT_PT9_S3_lS5_S3_lPT10_S3_li
; %bb.0:
	s_clause 0x1
	s_load_b64 s[2:3], s[0:1], 0x0
	s_load_b128 s[4:7], s[0:1], 0x30
	v_mov_b32_e32 v16, 0
	v_dual_mov_b32 v17, 0 :: v_dual_and_b32 v20, 0x3ff, v0
	v_bfe_u32 v21, v0, 10, 10
	s_delay_alu instid0(VALU_DEP_3) | instskip(NEXT) | instid1(VALU_DEP_3)
	v_mov_b32_e32 v4, v16
	v_dual_mov_b32 v6, v16 :: v_dual_mov_b32 v7, v17
	v_dual_mov_b32 v19, v17 :: v_dual_mov_b32 v18, v16
	;; [unrolled: 1-line block ×6, first 2 shown]
	v_mov_b32_e32 v9, v17
	s_lshl_b32 s12, s13, 5
	s_lshl_b32 s13, s14, 5
	s_waitcnt lgkmcnt(0)
	s_cmp_lt_i32 s3, 1
	s_mov_b32 s14, 0
	s_cbranch_scc1 .LBB396_3
; %bb.1:
	s_clause 0x3
	s_load_b32 s18, s[0:1], 0x10
	s_load_b128 s[8:11], s[0:1], 0x18
	s_load_b64 s[16:17], s[0:1], 0x8
	s_load_b32 s19, s[0:1], 0x28
	v_lshl_add_u32 v2, v21, 4, v20
	v_dual_mov_b32 v1, 0 :: v_dual_and_b32 v0, 7, v20
	v_lshlrev_b32_e32 v22, 4, v20
	s_mul_i32 s5, s5, s15
	s_delay_alu instid0(VALU_DEP_3)
	v_lshrrev_b32_e32 v4, 3, v2
	v_and_b32_e32 v5, 31, v2
	v_lshlrev_b32_e32 v3, 4, v0
	v_lshrrev_b32_e32 v2, 5, v2
	v_lshl_add_u32 v25, v21, 7, 0x1000
	v_add_nc_u32_e32 v9, s13, v4
	v_add_nc_u32_e32 v8, s12, v5
	v_lshl_or_b32 v7, v4, 7, v3
	v_dual_mov_b32 v3, v1 :: v_dual_lshlrev_b32 v6, 4, v5
	s_waitcnt lgkmcnt(0)
	s_delay_alu instid0(VALU_DEP_1) | instskip(NEXT) | instid1(VALU_DEP_2)
	v_mad_i64_i32 v[4:5], null, s18, v8, v[2:3]
	v_lshl_or_b32 v23, v2, 9, v6
	s_mul_i32 s9, s9, s15
	s_mul_hi_u32 s18, s8, s15
	v_mad_i64_i32 v[2:3], null, s19, v9, v[0:1]
	s_mul_i32 s8, s8, s15
	s_add_i32 s9, s18, s9
	s_delay_alu instid0(VALU_DEP_3)
	v_lshlrev_b64 v[0:1], 4, v[4:5]
	s_lshl_b64 s[8:9], s[8:9], 4
	v_mov_b32_e32 v8, 0
	v_mov_b32_e32 v9, 0
	s_add_u32 s8, s16, s8
	s_mul_hi_u32 s16, s4, s15
	s_addc_u32 s9, s17, s9
	s_add_i32 s5, s16, s5
	s_mul_i32 s4, s4, s15
	v_lshlrev_b64 v[2:3], 4, v[2:3]
	s_lshl_b64 s[4:5], s[4:5], 4
	v_add_co_u32 v0, vcc_lo, s8, v0
	s_add_u32 s4, s10, s4
	v_add_co_ci_u32_e32 v1, vcc_lo, s9, v1, vcc_lo
	s_addc_u32 s5, s11, s5
	v_add_co_u32 v2, vcc_lo, s4, v2
	v_add_co_ci_u32_e32 v3, vcc_lo, s5, v3, vcc_lo
	v_add_co_u32 v0, vcc_lo, v0, 8
	v_add_co_ci_u32_e32 v1, vcc_lo, 0, v1, vcc_lo
	s_delay_alu instid0(VALU_DEP_4)
	v_add_co_u32 v2, vcc_lo, v2, 8
	v_dual_mov_b32 v11, v9 :: v_dual_add_nc_u32 v24, 0x1000, v7
	v_add_co_ci_u32_e32 v3, vcc_lo, 0, v3, vcc_lo
	v_dual_mov_b32 v10, v8 :: v_dual_mov_b32 v15, v9
	v_dual_mov_b32 v14, v8 :: v_dual_mov_b32 v13, v9
	v_mov_b32_e32 v12, v8
	v_dual_mov_b32 v6, v8 :: v_dual_mov_b32 v7, v9
	v_dual_mov_b32 v4, v8 :: v_dual_mov_b32 v5, v9
	;; [unrolled: 1-line block ×4, first 2 shown]
.LBB396_2:                              ; =>This Inner Loop Header: Depth=1
	global_load_b128 v[26:29], v[0:1], off offset:-8
	v_add_co_u32 v0, vcc_lo, 0x80, v0
	v_add_co_ci_u32_e32 v1, vcc_lo, 0, v1, vcc_lo
	s_add_i32 s14, s14, 8
	s_delay_alu instid0(SALU_CYCLE_1)
	s_cmp_ge_i32 s14, s3
	s_waitcnt vmcnt(0)
	ds_store_b128 v23, v[26:29]
	global_load_b128 v[26:29], v[2:3], off offset:-8
	v_add_co_u32 v2, vcc_lo, 0x80, v2
	v_add_co_ci_u32_e32 v3, vcc_lo, 0, v3, vcc_lo
	s_waitcnt vmcnt(0)
	ds_store_b128 v24, v[26:29]
	s_waitcnt lgkmcnt(0)
	s_barrier
	buffer_gl0_inv
	ds_load_b128 v[26:29], v25
	ds_load_b128 v[30:33], v25 offset:16
	ds_load_b128 v[34:37], v25 offset:32
	;; [unrolled: 1-line block ×3, first 2 shown]
	ds_load_b128 v[42:45], v22
	s_waitcnt lgkmcnt(0)
	v_mul_f64 v[46:47], v[28:29], v[44:45]
	v_mul_f64 v[48:49], v[26:27], v[44:45]
	s_delay_alu instid0(VALU_DEP_2) | instskip(NEXT) | instid1(VALU_DEP_2)
	v_fma_f64 v[46:47], v[26:27], v[42:43], -v[46:47]
	v_fma_f64 v[48:49], v[28:29], v[42:43], v[48:49]
	s_delay_alu instid0(VALU_DEP_2) | instskip(NEXT) | instid1(VALU_DEP_2)
	v_add_f64 v[46:47], v[16:17], v[46:47]
	v_add_f64 v[48:49], v[18:19], v[48:49]
	ds_load_b128 v[16:19], v22 offset:256
	s_waitcnt lgkmcnt(0)
	v_mul_f64 v[50:51], v[28:29], v[18:19]
	s_delay_alu instid0(VALU_DEP_1) | instskip(SKIP_1) | instid1(VALU_DEP_1)
	v_fma_f64 v[50:51], v[26:27], v[16:17], -v[50:51]
	v_mul_f64 v[26:27], v[26:27], v[18:19]
	v_fma_f64 v[26:27], v[28:29], v[16:17], v[26:27]
	s_delay_alu instid0(VALU_DEP_3) | instskip(NEXT) | instid1(VALU_DEP_2)
	v_add_f64 v[28:29], v[4:5], v[50:51]
	v_add_f64 v[26:27], v[6:7], v[26:27]
	ds_load_b128 v[4:7], v25 offset:2048
	s_waitcnt lgkmcnt(0)
	v_mul_f64 v[50:51], v[6:7], v[44:45]
	v_mul_f64 v[44:45], v[4:5], v[44:45]
	s_delay_alu instid0(VALU_DEP_2) | instskip(NEXT) | instid1(VALU_DEP_2)
	v_fma_f64 v[50:51], v[4:5], v[42:43], -v[50:51]
	v_fma_f64 v[42:43], v[6:7], v[42:43], v[44:45]
	s_delay_alu instid0(VALU_DEP_2) | instskip(SKIP_1) | instid1(VALU_DEP_3)
	v_add_f64 v[44:45], v[12:13], v[50:51]
	v_mul_f64 v[12:13], v[6:7], v[18:19]
	v_add_f64 v[42:43], v[14:15], v[42:43]
	s_delay_alu instid0(VALU_DEP_2) | instskip(SKIP_1) | instid1(VALU_DEP_1)
	v_fma_f64 v[12:13], v[4:5], v[16:17], -v[12:13]
	v_mul_f64 v[4:5], v[4:5], v[18:19]
	v_fma_f64 v[4:5], v[6:7], v[16:17], v[4:5]
	s_delay_alu instid0(VALU_DEP_3) | instskip(NEXT) | instid1(VALU_DEP_2)
	v_add_f64 v[16:17], v[10:11], v[12:13]
	v_add_f64 v[18:19], v[8:9], v[4:5]
	ds_load_b128 v[4:7], v22 offset:512
	s_waitcnt lgkmcnt(0)
	v_mul_f64 v[8:9], v[32:33], v[6:7]
	v_mul_f64 v[10:11], v[30:31], v[6:7]
	s_delay_alu instid0(VALU_DEP_2) | instskip(NEXT) | instid1(VALU_DEP_2)
	v_fma_f64 v[8:9], v[30:31], v[4:5], -v[8:9]
	v_fma_f64 v[10:11], v[32:33], v[4:5], v[10:11]
	s_delay_alu instid0(VALU_DEP_2) | instskip(NEXT) | instid1(VALU_DEP_2)
	v_add_f64 v[46:47], v[46:47], v[8:9]
	v_add_f64 v[48:49], v[48:49], v[10:11]
	ds_load_b128 v[8:11], v22 offset:768
	s_waitcnt lgkmcnt(0)
	v_mul_f64 v[12:13], v[32:33], v[10:11]
	v_mul_f64 v[14:15], v[30:31], v[10:11]
	s_delay_alu instid0(VALU_DEP_2) | instskip(NEXT) | instid1(VALU_DEP_2)
	v_fma_f64 v[12:13], v[30:31], v[8:9], -v[12:13]
	v_fma_f64 v[14:15], v[32:33], v[8:9], v[14:15]
	s_delay_alu instid0(VALU_DEP_2) | instskip(NEXT) | instid1(VALU_DEP_2)
	v_add_f64 v[28:29], v[28:29], v[12:13]
	v_add_f64 v[26:27], v[26:27], v[14:15]
	ds_load_b128 v[12:15], v25 offset:2064
	s_waitcnt lgkmcnt(0)
	v_mul_f64 v[30:31], v[14:15], v[6:7]
	v_mul_f64 v[6:7], v[12:13], v[6:7]
	s_delay_alu instid0(VALU_DEP_2) | instskip(NEXT) | instid1(VALU_DEP_2)
	v_fma_f64 v[30:31], v[12:13], v[4:5], -v[30:31]
	v_fma_f64 v[4:5], v[14:15], v[4:5], v[6:7]
	v_mul_f64 v[6:7], v[12:13], v[10:11]
	s_delay_alu instid0(VALU_DEP_3) | instskip(NEXT) | instid1(VALU_DEP_3)
	v_add_f64 v[30:31], v[44:45], v[30:31]
	v_add_f64 v[32:33], v[42:43], v[4:5]
	v_mul_f64 v[4:5], v[14:15], v[10:11]
	s_delay_alu instid0(VALU_DEP_4) | instskip(NEXT) | instid1(VALU_DEP_2)
	v_fma_f64 v[6:7], v[14:15], v[8:9], v[6:7]
	v_fma_f64 v[4:5], v[12:13], v[8:9], -v[4:5]
	s_delay_alu instid0(VALU_DEP_2) | instskip(NEXT) | instid1(VALU_DEP_2)
	v_add_f64 v[18:19], v[18:19], v[6:7]
	v_add_f64 v[16:17], v[16:17], v[4:5]
	ds_load_b128 v[4:7], v22 offset:1024
	s_waitcnt lgkmcnt(0)
	v_mul_f64 v[8:9], v[36:37], v[6:7]
	v_mul_f64 v[10:11], v[34:35], v[6:7]
	s_delay_alu instid0(VALU_DEP_2) | instskip(NEXT) | instid1(VALU_DEP_2)
	v_fma_f64 v[8:9], v[34:35], v[4:5], -v[8:9]
	v_fma_f64 v[10:11], v[36:37], v[4:5], v[10:11]
	s_delay_alu instid0(VALU_DEP_2) | instskip(NEXT) | instid1(VALU_DEP_2)
	v_add_f64 v[42:43], v[46:47], v[8:9]
	v_add_f64 v[44:45], v[48:49], v[10:11]
	ds_load_b128 v[8:11], v22 offset:1280
	s_waitcnt lgkmcnt(0)
	v_mul_f64 v[12:13], v[36:37], v[10:11]
	v_mul_f64 v[14:15], v[34:35], v[10:11]
	s_delay_alu instid0(VALU_DEP_2) | instskip(NEXT) | instid1(VALU_DEP_2)
	v_fma_f64 v[12:13], v[34:35], v[8:9], -v[12:13]
	v_fma_f64 v[14:15], v[36:37], v[8:9], v[14:15]
	s_delay_alu instid0(VALU_DEP_2) | instskip(NEXT) | instid1(VALU_DEP_2)
	v_add_f64 v[28:29], v[28:29], v[12:13]
	v_add_f64 v[26:27], v[26:27], v[14:15]
	ds_load_b128 v[12:15], v25 offset:2080
	s_waitcnt lgkmcnt(0)
	v_mul_f64 v[34:35], v[14:15], v[6:7]
	v_mul_f64 v[6:7], v[12:13], v[6:7]
	s_delay_alu instid0(VALU_DEP_2) | instskip(NEXT) | instid1(VALU_DEP_2)
	v_fma_f64 v[34:35], v[12:13], v[4:5], -v[34:35]
	v_fma_f64 v[4:5], v[14:15], v[4:5], v[6:7]
	v_mul_f64 v[6:7], v[12:13], v[10:11]
	s_delay_alu instid0(VALU_DEP_3) | instskip(NEXT) | instid1(VALU_DEP_3)
	v_add_f64 v[30:31], v[30:31], v[34:35]
	v_add_f64 v[32:33], v[32:33], v[4:5]
	v_mul_f64 v[4:5], v[14:15], v[10:11]
	s_delay_alu instid0(VALU_DEP_4) | instskip(NEXT) | instid1(VALU_DEP_2)
	v_fma_f64 v[6:7], v[14:15], v[8:9], v[6:7]
	v_fma_f64 v[4:5], v[12:13], v[8:9], -v[4:5]
	s_delay_alu instid0(VALU_DEP_2) | instskip(NEXT) | instid1(VALU_DEP_2)
	;; [unrolled: 38-line block ×3, first 2 shown]
	v_add_f64 v[18:19], v[18:19], v[6:7]
	v_add_f64 v[16:17], v[16:17], v[4:5]
	ds_load_b128 v[4:7], v25 offset:64
	ds_load_b128 v[8:11], v22 offset:2048
	s_waitcnt lgkmcnt(0)
	v_mul_f64 v[12:13], v[6:7], v[10:11]
	v_mul_f64 v[14:15], v[4:5], v[10:11]
	s_delay_alu instid0(VALU_DEP_2) | instskip(NEXT) | instid1(VALU_DEP_2)
	v_fma_f64 v[12:13], v[4:5], v[8:9], -v[12:13]
	v_fma_f64 v[14:15], v[6:7], v[8:9], v[14:15]
	s_delay_alu instid0(VALU_DEP_2) | instskip(NEXT) | instid1(VALU_DEP_2)
	v_add_f64 v[34:35], v[34:35], v[12:13]
	v_add_f64 v[36:37], v[36:37], v[14:15]
	ds_load_b128 v[12:15], v22 offset:2304
	s_waitcnt lgkmcnt(0)
	v_mul_f64 v[38:39], v[6:7], v[14:15]
	s_delay_alu instid0(VALU_DEP_1) | instskip(SKIP_1) | instid1(VALU_DEP_2)
	v_fma_f64 v[38:39], v[4:5], v[12:13], -v[38:39]
	v_mul_f64 v[4:5], v[4:5], v[14:15]
	v_add_f64 v[28:29], v[28:29], v[38:39]
	s_delay_alu instid0(VALU_DEP_2) | instskip(NEXT) | instid1(VALU_DEP_1)
	v_fma_f64 v[4:5], v[6:7], v[12:13], v[4:5]
	v_add_f64 v[26:27], v[26:27], v[4:5]
	ds_load_b128 v[4:7], v25 offset:2112
	s_waitcnt lgkmcnt(0)
	v_mul_f64 v[38:39], v[6:7], v[10:11]
	v_mul_f64 v[10:11], v[4:5], v[10:11]
	s_delay_alu instid0(VALU_DEP_2) | instskip(NEXT) | instid1(VALU_DEP_2)
	v_fma_f64 v[38:39], v[4:5], v[8:9], -v[38:39]
	v_fma_f64 v[8:9], v[6:7], v[8:9], v[10:11]
	s_delay_alu instid0(VALU_DEP_2) | instskip(NEXT) | instid1(VALU_DEP_2)
	v_add_f64 v[30:31], v[30:31], v[38:39]
	v_add_f64 v[32:33], v[32:33], v[8:9]
	v_mul_f64 v[8:9], v[6:7], v[14:15]
	s_delay_alu instid0(VALU_DEP_1) | instskip(SKIP_1) | instid1(VALU_DEP_2)
	v_fma_f64 v[8:9], v[4:5], v[12:13], -v[8:9]
	v_mul_f64 v[4:5], v[4:5], v[14:15]
	v_add_f64 v[16:17], v[16:17], v[8:9]
	s_delay_alu instid0(VALU_DEP_2) | instskip(NEXT) | instid1(VALU_DEP_1)
	v_fma_f64 v[4:5], v[6:7], v[12:13], v[4:5]
	v_add_f64 v[18:19], v[18:19], v[4:5]
	ds_load_b128 v[4:7], v25 offset:80
	ds_load_b128 v[8:11], v22 offset:2560
	s_waitcnt lgkmcnt(0)
	v_mul_f64 v[12:13], v[6:7], v[10:11]
	v_mul_f64 v[14:15], v[4:5], v[10:11]
	s_delay_alu instid0(VALU_DEP_2) | instskip(NEXT) | instid1(VALU_DEP_2)
	v_fma_f64 v[12:13], v[4:5], v[8:9], -v[12:13]
	v_fma_f64 v[14:15], v[6:7], v[8:9], v[14:15]
	s_delay_alu instid0(VALU_DEP_2) | instskip(NEXT) | instid1(VALU_DEP_2)
	v_add_f64 v[34:35], v[34:35], v[12:13]
	v_add_f64 v[36:37], v[36:37], v[14:15]
	ds_load_b128 v[12:15], v22 offset:2816
	s_waitcnt lgkmcnt(0)
	v_mul_f64 v[38:39], v[6:7], v[14:15]
	s_delay_alu instid0(VALU_DEP_1) | instskip(SKIP_1) | instid1(VALU_DEP_2)
	v_fma_f64 v[38:39], v[4:5], v[12:13], -v[38:39]
	v_mul_f64 v[4:5], v[4:5], v[14:15]
	v_add_f64 v[28:29], v[28:29], v[38:39]
	s_delay_alu instid0(VALU_DEP_2) | instskip(NEXT) | instid1(VALU_DEP_1)
	v_fma_f64 v[4:5], v[6:7], v[12:13], v[4:5]
	v_add_f64 v[26:27], v[26:27], v[4:5]
	ds_load_b128 v[4:7], v25 offset:2128
	s_waitcnt lgkmcnt(0)
	v_mul_f64 v[38:39], v[6:7], v[10:11]
	v_mul_f64 v[10:11], v[4:5], v[10:11]
	s_delay_alu instid0(VALU_DEP_2) | instskip(NEXT) | instid1(VALU_DEP_2)
	v_fma_f64 v[38:39], v[4:5], v[8:9], -v[38:39]
	v_fma_f64 v[8:9], v[6:7], v[8:9], v[10:11]
	s_delay_alu instid0(VALU_DEP_2) | instskip(NEXT) | instid1(VALU_DEP_2)
	v_add_f64 v[30:31], v[30:31], v[38:39]
	v_add_f64 v[32:33], v[32:33], v[8:9]
	v_mul_f64 v[8:9], v[6:7], v[14:15]
	s_delay_alu instid0(VALU_DEP_1) | instskip(SKIP_1) | instid1(VALU_DEP_2)
	v_fma_f64 v[8:9], v[4:5], v[12:13], -v[8:9]
	v_mul_f64 v[4:5], v[4:5], v[14:15]
	v_add_f64 v[16:17], v[16:17], v[8:9]
	s_delay_alu instid0(VALU_DEP_2) | instskip(NEXT) | instid1(VALU_DEP_1)
	v_fma_f64 v[4:5], v[6:7], v[12:13], v[4:5]
	;; [unrolled: 39-line block ×3, first 2 shown]
	v_add_f64 v[48:49], v[18:19], v[4:5]
	ds_load_b128 v[4:7], v25 offset:112
	ds_load_b128 v[8:11], v22 offset:3584
	;; [unrolled: 1-line block ×4, first 2 shown]
	s_waitcnt lgkmcnt(0)
	s_barrier
	buffer_gl0_inv
	v_mul_f64 v[12:13], v[6:7], v[10:11]
	v_mul_f64 v[14:15], v[4:5], v[10:11]
	s_delay_alu instid0(VALU_DEP_2) | instskip(NEXT) | instid1(VALU_DEP_2)
	v_fma_f64 v[12:13], v[4:5], v[8:9], -v[12:13]
	v_fma_f64 v[14:15], v[6:7], v[8:9], v[14:15]
	s_delay_alu instid0(VALU_DEP_2) | instskip(SKIP_1) | instid1(VALU_DEP_3)
	v_add_f64 v[16:17], v[34:35], v[12:13]
	v_mul_f64 v[12:13], v[6:7], v[28:29]
	v_add_f64 v[18:19], v[36:37], v[14:15]
	s_delay_alu instid0(VALU_DEP_2) | instskip(SKIP_1) | instid1(VALU_DEP_1)
	v_fma_f64 v[12:13], v[4:5], v[26:27], -v[12:13]
	v_mul_f64 v[4:5], v[4:5], v[28:29]
	v_fma_f64 v[6:7], v[6:7], v[26:27], v[4:5]
	s_delay_alu instid0(VALU_DEP_3) | instskip(SKIP_2) | instid1(VALU_DEP_4)
	v_add_f64 v[4:5], v[38:39], v[12:13]
	v_mul_f64 v[12:13], v[32:33], v[10:11]
	v_mul_f64 v[10:11], v[30:31], v[10:11]
	v_add_f64 v[6:7], v[40:41], v[6:7]
	s_delay_alu instid0(VALU_DEP_3) | instskip(NEXT) | instid1(VALU_DEP_3)
	v_fma_f64 v[12:13], v[30:31], v[8:9], -v[12:13]
	v_fma_f64 v[8:9], v[32:33], v[8:9], v[10:11]
	v_mul_f64 v[10:11], v[30:31], v[28:29]
	s_delay_alu instid0(VALU_DEP_3) | instskip(NEXT) | instid1(VALU_DEP_3)
	v_add_f64 v[12:13], v[42:43], v[12:13]
	v_add_f64 v[14:15], v[44:45], v[8:9]
	v_mul_f64 v[8:9], v[32:33], v[28:29]
	s_delay_alu instid0(VALU_DEP_1) | instskip(SKIP_1) | instid1(VALU_DEP_2)
	v_fma_f64 v[8:9], v[30:31], v[26:27], -v[8:9]
	v_fma_f64 v[26:27], v[32:33], v[26:27], v[10:11]
	v_add_f64 v[10:11], v[46:47], v[8:9]
	s_delay_alu instid0(VALU_DEP_2)
	v_add_f64 v[8:9], v[48:49], v[26:27]
	s_cbranch_scc0 .LBB396_2
.LBB396_3:
	s_clause 0x1
	s_load_b32 s3, s[0:1], 0x40
	s_load_b64 s[0:1], s[0:1], 0x48
	v_add_nc_u32_e32 v21, s13, v21
	v_add_nc_u32_e32 v0, s12, v20
	s_delay_alu instid0(VALU_DEP_2)
	v_cmp_gt_i32_e32 vcc_lo, s2, v21
	s_waitcnt lgkmcnt(0)
	v_mad_i64_i32 v[1:2], null, v21, s3, 0
	s_mul_i32 s1, s15, s1
	s_mul_hi_u32 s4, s15, s0
	s_mul_i32 s0, s15, s0
	s_add_i32 s1, s4, s1
	s_delay_alu instid0(SALU_CYCLE_1) | instskip(NEXT) | instid1(VALU_DEP_1)
	s_lshl_b64 s[4:5], s[0:1], 4
	v_lshlrev_b64 v[1:2], 4, v[1:2]
	s_add_u32 s4, s6, s4
	v_cmp_le_i32_e64 s0, v0, v21
	s_addc_u32 s5, s7, s5
	s_delay_alu instid0(VALU_DEP_2) | instskip(NEXT) | instid1(VALU_DEP_1)
	v_add_co_u32 v20, s1, s4, v1
	v_add_co_ci_u32_e64 v22, s1, s5, v2, s1
	s_delay_alu instid0(VALU_DEP_3) | instskip(NEXT) | instid1(SALU_CYCLE_1)
	s_and_b32 s0, vcc_lo, s0
	s_and_saveexec_b32 s1, s0
	s_cbranch_execz .LBB396_5
; %bb.4:
	v_ashrrev_i32_e32 v1, 31, v0
	s_delay_alu instid0(VALU_DEP_1) | instskip(NEXT) | instid1(VALU_DEP_1)
	v_lshlrev_b64 v[1:2], 4, v[0:1]
	v_add_co_u32 v1, s0, v20, v1
	s_delay_alu instid0(VALU_DEP_1)
	v_add_co_ci_u32_e64 v2, s0, v22, v2, s0
	v_cmp_ne_u32_e64 s0, v21, v0
	global_load_b128 v[23:26], v[1:2], off
	s_waitcnt vmcnt(0)
	v_add_f64 v[18:19], v[18:19], -v[25:26]
	v_add_f64 v[16:17], v[16:17], -v[23:24]
	s_delay_alu instid0(VALU_DEP_2) | instskip(NEXT) | instid1(VALU_DEP_3)
	v_cndmask_b32_e64 v19, 0, v19, s0
	v_cndmask_b32_e64 v18, 0, v18, s0
	global_store_b128 v[1:2], v[16:19], off
.LBB396_5:
	s_or_b32 exec_lo, exec_lo, s1
	v_add_nc_u32_e32 v2, 16, v0
	s_delay_alu instid0(VALU_DEP_1) | instskip(NEXT) | instid1(VALU_DEP_1)
	v_cmp_le_i32_e64 s0, v2, v21
	s_and_b32 s1, vcc_lo, s0
	s_delay_alu instid0(SALU_CYCLE_1)
	s_and_saveexec_b32 s0, s1
	s_cbranch_execz .LBB396_7
; %bb.6:
	v_ashrrev_i32_e32 v3, 31, v2
	s_delay_alu instid0(VALU_DEP_1) | instskip(NEXT) | instid1(VALU_DEP_1)
	v_lshlrev_b64 v[16:17], 4, v[2:3]
	v_add_co_u32 v23, vcc_lo, v20, v16
	s_delay_alu instid0(VALU_DEP_2)
	v_add_co_ci_u32_e32 v24, vcc_lo, v22, v17, vcc_lo
	v_cmp_ne_u32_e32 vcc_lo, v21, v2
	global_load_b128 v[16:19], v[23:24], off
	s_waitcnt vmcnt(0)
	v_add_f64 v[18:19], v[6:7], -v[18:19]
	v_add_f64 v[3:4], v[4:5], -v[16:17]
	s_delay_alu instid0(VALU_DEP_2)
	v_dual_cndmask_b32 v6, 0, v19 :: v_dual_cndmask_b32 v5, 0, v18
	global_store_b128 v[23:24], v[3:6], off
.LBB396_7:
	s_or_b32 exec_lo, exec_lo, s0
	v_add_nc_u32_e32 v3, 16, v21
	s_delay_alu instid0(VALU_DEP_1) | instskip(SKIP_2) | instid1(VALU_DEP_1)
	v_mad_i64_i32 v[4:5], null, v3, s3, 0
	v_cmp_gt_i32_e32 vcc_lo, s2, v3
	v_cmp_le_i32_e64 s0, v0, v3
	s_and_b32 s0, vcc_lo, s0
	s_delay_alu instid0(VALU_DEP_3) | instskip(NEXT) | instid1(VALU_DEP_1)
	v_lshlrev_b64 v[4:5], 4, v[4:5]
	v_add_co_u32 v4, s1, s4, v4
	s_delay_alu instid0(VALU_DEP_1)
	v_add_co_ci_u32_e64 v5, s1, s5, v5, s1
	s_and_saveexec_b32 s1, s0
	s_cbranch_execz .LBB396_9
; %bb.8:
	v_ashrrev_i32_e32 v1, 31, v0
	s_delay_alu instid0(VALU_DEP_1) | instskip(NEXT) | instid1(VALU_DEP_1)
	v_lshlrev_b64 v[6:7], 4, v[0:1]
	v_add_co_u32 v6, s0, v4, v6
	s_delay_alu instid0(VALU_DEP_1)
	v_add_co_ci_u32_e64 v7, s0, v5, v7, s0
	v_cmp_ne_u32_e64 s0, v3, v0
	global_load_b128 v[16:19], v[6:7], off
	s_waitcnt vmcnt(0)
	v_add_f64 v[14:15], v[14:15], -v[18:19]
	v_add_f64 v[12:13], v[12:13], -v[16:17]
	s_delay_alu instid0(VALU_DEP_2) | instskip(NEXT) | instid1(VALU_DEP_3)
	v_cndmask_b32_e64 v15, 0, v15, s0
	v_cndmask_b32_e64 v14, 0, v14, s0
	global_store_b128 v[6:7], v[12:15], off
.LBB396_9:
	s_or_b32 exec_lo, exec_lo, s1
	v_cmp_le_i32_e64 s0, v2, v3
	s_delay_alu instid0(VALU_DEP_1) | instskip(NEXT) | instid1(SALU_CYCLE_1)
	s_and_b32 s0, vcc_lo, s0
	s_and_saveexec_b32 s1, s0
	s_cbranch_execz .LBB396_11
; %bb.10:
	v_ashrrev_i32_e32 v3, 31, v2
	s_delay_alu instid0(VALU_DEP_1) | instskip(NEXT) | instid1(VALU_DEP_1)
	v_lshlrev_b64 v[1:2], 4, v[2:3]
	v_add_co_u32 v6, vcc_lo, v4, v1
	s_delay_alu instid0(VALU_DEP_2)
	v_add_co_ci_u32_e32 v7, vcc_lo, v5, v2, vcc_lo
	v_cmp_ne_u32_e32 vcc_lo, v21, v0
	global_load_b128 v[1:4], v[6:7], off
	s_waitcnt vmcnt(0)
	v_add_f64 v[3:4], v[8:9], -v[3:4]
	v_add_f64 v[1:2], v[10:11], -v[1:2]
	s_delay_alu instid0(VALU_DEP_2)
	v_dual_cndmask_b32 v4, 0, v4 :: v_dual_cndmask_b32 v3, 0, v3
	global_store_b128 v[6:7], v[1:4], off
.LBB396_11:
	s_nop 0
	s_sendmsg sendmsg(MSG_DEALLOC_VGPRS)
	s_endpgm
	.section	.rodata,"a",@progbits
	.p2align	6, 0x0
	.amdhsa_kernel _ZL37rocblas_syrkx_herkx_restricted_kernelIi19rocblas_complex_numIdELi16ELi32ELi8ELi1ELin1ELb1ELc84ELc85EKS1_S1_EviT_PT9_S3_lS5_S3_lPT10_S3_li
		.amdhsa_group_segment_fixed_size 8192
		.amdhsa_private_segment_fixed_size 0
		.amdhsa_kernarg_size 84
		.amdhsa_user_sgpr_count 13
		.amdhsa_user_sgpr_dispatch_ptr 0
		.amdhsa_user_sgpr_queue_ptr 0
		.amdhsa_user_sgpr_kernarg_segment_ptr 1
		.amdhsa_user_sgpr_dispatch_id 0
		.amdhsa_user_sgpr_private_segment_size 0
		.amdhsa_wavefront_size32 1
		.amdhsa_uses_dynamic_stack 0
		.amdhsa_enable_private_segment 0
		.amdhsa_system_sgpr_workgroup_id_x 1
		.amdhsa_system_sgpr_workgroup_id_y 1
		.amdhsa_system_sgpr_workgroup_id_z 1
		.amdhsa_system_sgpr_workgroup_info 0
		.amdhsa_system_vgpr_workitem_id 1
		.amdhsa_next_free_vgpr 52
		.amdhsa_next_free_sgpr 20
		.amdhsa_reserve_vcc 1
		.amdhsa_float_round_mode_32 0
		.amdhsa_float_round_mode_16_64 0
		.amdhsa_float_denorm_mode_32 3
		.amdhsa_float_denorm_mode_16_64 3
		.amdhsa_dx10_clamp 1
		.amdhsa_ieee_mode 1
		.amdhsa_fp16_overflow 0
		.amdhsa_workgroup_processor_mode 1
		.amdhsa_memory_ordered 1
		.amdhsa_forward_progress 0
		.amdhsa_shared_vgpr_count 0
		.amdhsa_exception_fp_ieee_invalid_op 0
		.amdhsa_exception_fp_denorm_src 0
		.amdhsa_exception_fp_ieee_div_zero 0
		.amdhsa_exception_fp_ieee_overflow 0
		.amdhsa_exception_fp_ieee_underflow 0
		.amdhsa_exception_fp_ieee_inexact 0
		.amdhsa_exception_int_div_zero 0
	.end_amdhsa_kernel
	.section	.text._ZL37rocblas_syrkx_herkx_restricted_kernelIi19rocblas_complex_numIdELi16ELi32ELi8ELi1ELin1ELb1ELc84ELc85EKS1_S1_EviT_PT9_S3_lS5_S3_lPT10_S3_li,"axG",@progbits,_ZL37rocblas_syrkx_herkx_restricted_kernelIi19rocblas_complex_numIdELi16ELi32ELi8ELi1ELin1ELb1ELc84ELc85EKS1_S1_EviT_PT9_S3_lS5_S3_lPT10_S3_li,comdat
.Lfunc_end396:
	.size	_ZL37rocblas_syrkx_herkx_restricted_kernelIi19rocblas_complex_numIdELi16ELi32ELi8ELi1ELin1ELb1ELc84ELc85EKS1_S1_EviT_PT9_S3_lS5_S3_lPT10_S3_li, .Lfunc_end396-_ZL37rocblas_syrkx_herkx_restricted_kernelIi19rocblas_complex_numIdELi16ELi32ELi8ELi1ELin1ELb1ELc84ELc85EKS1_S1_EviT_PT9_S3_lS5_S3_lPT10_S3_li
                                        ; -- End function
	.section	.AMDGPU.csdata,"",@progbits
; Kernel info:
; codeLenInByte = 3376
; NumSgprs: 22
; NumVgprs: 52
; ScratchSize: 0
; MemoryBound: 0
; FloatMode: 240
; IeeeMode: 1
; LDSByteSize: 8192 bytes/workgroup (compile time only)
; SGPRBlocks: 2
; VGPRBlocks: 6
; NumSGPRsForWavesPerEU: 22
; NumVGPRsForWavesPerEU: 52
; Occupancy: 16
; WaveLimiterHint : 0
; COMPUTE_PGM_RSRC2:SCRATCH_EN: 0
; COMPUTE_PGM_RSRC2:USER_SGPR: 13
; COMPUTE_PGM_RSRC2:TRAP_HANDLER: 0
; COMPUTE_PGM_RSRC2:TGID_X_EN: 1
; COMPUTE_PGM_RSRC2:TGID_Y_EN: 1
; COMPUTE_PGM_RSRC2:TGID_Z_EN: 1
; COMPUTE_PGM_RSRC2:TIDIG_COMP_CNT: 1
	.section	.text._ZL37rocblas_syrkx_herkx_restricted_kernelIi19rocblas_complex_numIdELi16ELi32ELi8ELi1ELin1ELb1ELc67ELc85EKS1_S1_EviT_PT9_S3_lS5_S3_lPT10_S3_li,"axG",@progbits,_ZL37rocblas_syrkx_herkx_restricted_kernelIi19rocblas_complex_numIdELi16ELi32ELi8ELi1ELin1ELb1ELc67ELc85EKS1_S1_EviT_PT9_S3_lS5_S3_lPT10_S3_li,comdat
	.globl	_ZL37rocblas_syrkx_herkx_restricted_kernelIi19rocblas_complex_numIdELi16ELi32ELi8ELi1ELin1ELb1ELc67ELc85EKS1_S1_EviT_PT9_S3_lS5_S3_lPT10_S3_li ; -- Begin function _ZL37rocblas_syrkx_herkx_restricted_kernelIi19rocblas_complex_numIdELi16ELi32ELi8ELi1ELin1ELb1ELc67ELc85EKS1_S1_EviT_PT9_S3_lS5_S3_lPT10_S3_li
	.p2align	8
	.type	_ZL37rocblas_syrkx_herkx_restricted_kernelIi19rocblas_complex_numIdELi16ELi32ELi8ELi1ELin1ELb1ELc67ELc85EKS1_S1_EviT_PT9_S3_lS5_S3_lPT10_S3_li,@function
_ZL37rocblas_syrkx_herkx_restricted_kernelIi19rocblas_complex_numIdELi16ELi32ELi8ELi1ELin1ELb1ELc67ELc85EKS1_S1_EviT_PT9_S3_lS5_S3_lPT10_S3_li: ; @_ZL37rocblas_syrkx_herkx_restricted_kernelIi19rocblas_complex_numIdELi16ELi32ELi8ELi1ELin1ELb1ELc67ELc85EKS1_S1_EviT_PT9_S3_lS5_S3_lPT10_S3_li
; %bb.0:
	s_clause 0x1
	s_load_b64 s[2:3], s[0:1], 0x0
	s_load_b128 s[4:7], s[0:1], 0x30
	v_mov_b32_e32 v16, 0
	v_dual_mov_b32 v17, 0 :: v_dual_and_b32 v20, 0x3ff, v0
	v_bfe_u32 v21, v0, 10, 10
	s_delay_alu instid0(VALU_DEP_3) | instskip(NEXT) | instid1(VALU_DEP_3)
	v_mov_b32_e32 v4, v16
	v_dual_mov_b32 v6, v16 :: v_dual_mov_b32 v7, v17
	v_dual_mov_b32 v19, v17 :: v_dual_mov_b32 v18, v16
	;; [unrolled: 1-line block ×6, first 2 shown]
	v_mov_b32_e32 v9, v17
	s_lshl_b32 s12, s13, 5
	s_lshl_b32 s13, s14, 5
	s_waitcnt lgkmcnt(0)
	s_cmp_lt_i32 s3, 1
	s_mov_b32 s14, 0
	s_cbranch_scc1 .LBB397_3
; %bb.1:
	s_clause 0x3
	s_load_b32 s18, s[0:1], 0x10
	s_load_b128 s[8:11], s[0:1], 0x18
	s_load_b64 s[16:17], s[0:1], 0x8
	s_load_b32 s19, s[0:1], 0x28
	v_lshl_add_u32 v2, v21, 4, v20
	v_dual_mov_b32 v1, 0 :: v_dual_and_b32 v0, 7, v20
	v_lshlrev_b32_e32 v22, 4, v20
	s_mul_i32 s5, s5, s15
	s_delay_alu instid0(VALU_DEP_3)
	v_lshrrev_b32_e32 v4, 3, v2
	v_and_b32_e32 v5, 31, v2
	v_lshlrev_b32_e32 v3, 4, v0
	v_lshrrev_b32_e32 v2, 5, v2
	v_lshl_add_u32 v25, v21, 7, 0x1000
	v_add_nc_u32_e32 v9, s13, v4
	v_add_nc_u32_e32 v8, s12, v5
	v_lshl_or_b32 v7, v4, 7, v3
	v_dual_mov_b32 v3, v1 :: v_dual_lshlrev_b32 v6, 4, v5
	s_waitcnt lgkmcnt(0)
	s_delay_alu instid0(VALU_DEP_1) | instskip(NEXT) | instid1(VALU_DEP_2)
	v_mad_i64_i32 v[4:5], null, s18, v8, v[2:3]
	v_lshl_or_b32 v23, v2, 9, v6
	s_mul_i32 s9, s9, s15
	s_mul_hi_u32 s18, s8, s15
	v_mad_i64_i32 v[2:3], null, s19, v9, v[0:1]
	s_mul_i32 s8, s8, s15
	s_add_i32 s9, s18, s9
	s_delay_alu instid0(VALU_DEP_3)
	v_lshlrev_b64 v[0:1], 4, v[4:5]
	s_lshl_b64 s[8:9], s[8:9], 4
	v_mov_b32_e32 v8, 0
	v_mov_b32_e32 v9, 0
	s_add_u32 s8, s16, s8
	s_mul_hi_u32 s16, s4, s15
	s_addc_u32 s9, s17, s9
	s_add_i32 s5, s16, s5
	s_mul_i32 s4, s4, s15
	v_lshlrev_b64 v[2:3], 4, v[2:3]
	s_lshl_b64 s[4:5], s[4:5], 4
	v_add_co_u32 v0, vcc_lo, s8, v0
	s_add_u32 s4, s10, s4
	v_add_co_ci_u32_e32 v1, vcc_lo, s9, v1, vcc_lo
	s_addc_u32 s5, s11, s5
	v_add_co_u32 v2, vcc_lo, s4, v2
	v_add_co_ci_u32_e32 v3, vcc_lo, s5, v3, vcc_lo
	v_add_co_u32 v0, vcc_lo, v0, 8
	v_add_co_ci_u32_e32 v1, vcc_lo, 0, v1, vcc_lo
	s_delay_alu instid0(VALU_DEP_4)
	v_add_co_u32 v2, vcc_lo, v2, 8
	v_dual_mov_b32 v11, v9 :: v_dual_add_nc_u32 v24, 0x1000, v7
	v_add_co_ci_u32_e32 v3, vcc_lo, 0, v3, vcc_lo
	v_dual_mov_b32 v10, v8 :: v_dual_mov_b32 v15, v9
	v_dual_mov_b32 v14, v8 :: v_dual_mov_b32 v13, v9
	v_mov_b32_e32 v12, v8
	v_dual_mov_b32 v6, v8 :: v_dual_mov_b32 v7, v9
	v_dual_mov_b32 v4, v8 :: v_dual_mov_b32 v5, v9
	;; [unrolled: 1-line block ×4, first 2 shown]
.LBB397_2:                              ; =>This Inner Loop Header: Depth=1
	global_load_b128 v[26:29], v[0:1], off offset:-8
	v_add_co_u32 v0, vcc_lo, 0x80, v0
	v_add_co_ci_u32_e32 v1, vcc_lo, 0, v1, vcc_lo
	s_add_i32 s14, s14, 8
	s_delay_alu instid0(SALU_CYCLE_1)
	s_cmp_ge_i32 s14, s3
	s_waitcnt vmcnt(0)
	v_xor_b32_e32 v29, 0x80000000, v29
	ds_store_b128 v23, v[26:29]
	global_load_b128 v[26:29], v[2:3], off offset:-8
	v_add_co_u32 v2, vcc_lo, 0x80, v2
	v_add_co_ci_u32_e32 v3, vcc_lo, 0, v3, vcc_lo
	s_waitcnt vmcnt(0)
	ds_store_b128 v24, v[26:29]
	s_waitcnt lgkmcnt(0)
	s_barrier
	buffer_gl0_inv
	ds_load_b128 v[26:29], v25
	ds_load_b128 v[30:33], v25 offset:16
	ds_load_b128 v[34:37], v25 offset:32
	;; [unrolled: 1-line block ×3, first 2 shown]
	ds_load_b128 v[42:45], v22
	s_waitcnt lgkmcnt(0)
	v_mul_f64 v[46:47], v[28:29], v[44:45]
	v_mul_f64 v[48:49], v[26:27], v[44:45]
	s_delay_alu instid0(VALU_DEP_2) | instskip(NEXT) | instid1(VALU_DEP_2)
	v_fma_f64 v[46:47], v[26:27], v[42:43], -v[46:47]
	v_fma_f64 v[48:49], v[28:29], v[42:43], v[48:49]
	s_delay_alu instid0(VALU_DEP_2) | instskip(NEXT) | instid1(VALU_DEP_2)
	v_add_f64 v[46:47], v[16:17], v[46:47]
	v_add_f64 v[48:49], v[18:19], v[48:49]
	ds_load_b128 v[16:19], v22 offset:256
	s_waitcnt lgkmcnt(0)
	v_mul_f64 v[50:51], v[28:29], v[18:19]
	s_delay_alu instid0(VALU_DEP_1) | instskip(SKIP_1) | instid1(VALU_DEP_1)
	v_fma_f64 v[50:51], v[26:27], v[16:17], -v[50:51]
	v_mul_f64 v[26:27], v[26:27], v[18:19]
	v_fma_f64 v[26:27], v[28:29], v[16:17], v[26:27]
	s_delay_alu instid0(VALU_DEP_3) | instskip(NEXT) | instid1(VALU_DEP_2)
	v_add_f64 v[28:29], v[4:5], v[50:51]
	v_add_f64 v[26:27], v[6:7], v[26:27]
	ds_load_b128 v[4:7], v25 offset:2048
	s_waitcnt lgkmcnt(0)
	v_mul_f64 v[50:51], v[6:7], v[44:45]
	v_mul_f64 v[44:45], v[4:5], v[44:45]
	s_delay_alu instid0(VALU_DEP_2) | instskip(NEXT) | instid1(VALU_DEP_2)
	v_fma_f64 v[50:51], v[4:5], v[42:43], -v[50:51]
	v_fma_f64 v[42:43], v[6:7], v[42:43], v[44:45]
	s_delay_alu instid0(VALU_DEP_2) | instskip(SKIP_1) | instid1(VALU_DEP_3)
	v_add_f64 v[44:45], v[12:13], v[50:51]
	v_mul_f64 v[12:13], v[6:7], v[18:19]
	v_add_f64 v[42:43], v[14:15], v[42:43]
	s_delay_alu instid0(VALU_DEP_2) | instskip(SKIP_1) | instid1(VALU_DEP_1)
	v_fma_f64 v[12:13], v[4:5], v[16:17], -v[12:13]
	v_mul_f64 v[4:5], v[4:5], v[18:19]
	v_fma_f64 v[4:5], v[6:7], v[16:17], v[4:5]
	s_delay_alu instid0(VALU_DEP_3) | instskip(NEXT) | instid1(VALU_DEP_2)
	v_add_f64 v[16:17], v[10:11], v[12:13]
	v_add_f64 v[18:19], v[8:9], v[4:5]
	ds_load_b128 v[4:7], v22 offset:512
	s_waitcnt lgkmcnt(0)
	v_mul_f64 v[8:9], v[32:33], v[6:7]
	v_mul_f64 v[10:11], v[30:31], v[6:7]
	s_delay_alu instid0(VALU_DEP_2) | instskip(NEXT) | instid1(VALU_DEP_2)
	v_fma_f64 v[8:9], v[30:31], v[4:5], -v[8:9]
	v_fma_f64 v[10:11], v[32:33], v[4:5], v[10:11]
	s_delay_alu instid0(VALU_DEP_2) | instskip(NEXT) | instid1(VALU_DEP_2)
	v_add_f64 v[46:47], v[46:47], v[8:9]
	v_add_f64 v[48:49], v[48:49], v[10:11]
	ds_load_b128 v[8:11], v22 offset:768
	s_waitcnt lgkmcnt(0)
	v_mul_f64 v[12:13], v[32:33], v[10:11]
	v_mul_f64 v[14:15], v[30:31], v[10:11]
	s_delay_alu instid0(VALU_DEP_2) | instskip(NEXT) | instid1(VALU_DEP_2)
	v_fma_f64 v[12:13], v[30:31], v[8:9], -v[12:13]
	v_fma_f64 v[14:15], v[32:33], v[8:9], v[14:15]
	s_delay_alu instid0(VALU_DEP_2) | instskip(NEXT) | instid1(VALU_DEP_2)
	v_add_f64 v[28:29], v[28:29], v[12:13]
	v_add_f64 v[26:27], v[26:27], v[14:15]
	ds_load_b128 v[12:15], v25 offset:2064
	s_waitcnt lgkmcnt(0)
	v_mul_f64 v[30:31], v[14:15], v[6:7]
	v_mul_f64 v[6:7], v[12:13], v[6:7]
	s_delay_alu instid0(VALU_DEP_2) | instskip(NEXT) | instid1(VALU_DEP_2)
	v_fma_f64 v[30:31], v[12:13], v[4:5], -v[30:31]
	v_fma_f64 v[4:5], v[14:15], v[4:5], v[6:7]
	v_mul_f64 v[6:7], v[12:13], v[10:11]
	s_delay_alu instid0(VALU_DEP_3) | instskip(NEXT) | instid1(VALU_DEP_3)
	v_add_f64 v[30:31], v[44:45], v[30:31]
	v_add_f64 v[32:33], v[42:43], v[4:5]
	v_mul_f64 v[4:5], v[14:15], v[10:11]
	s_delay_alu instid0(VALU_DEP_4) | instskip(NEXT) | instid1(VALU_DEP_2)
	v_fma_f64 v[6:7], v[14:15], v[8:9], v[6:7]
	v_fma_f64 v[4:5], v[12:13], v[8:9], -v[4:5]
	s_delay_alu instid0(VALU_DEP_2) | instskip(NEXT) | instid1(VALU_DEP_2)
	v_add_f64 v[18:19], v[18:19], v[6:7]
	v_add_f64 v[16:17], v[16:17], v[4:5]
	ds_load_b128 v[4:7], v22 offset:1024
	s_waitcnt lgkmcnt(0)
	v_mul_f64 v[8:9], v[36:37], v[6:7]
	v_mul_f64 v[10:11], v[34:35], v[6:7]
	s_delay_alu instid0(VALU_DEP_2) | instskip(NEXT) | instid1(VALU_DEP_2)
	v_fma_f64 v[8:9], v[34:35], v[4:5], -v[8:9]
	v_fma_f64 v[10:11], v[36:37], v[4:5], v[10:11]
	s_delay_alu instid0(VALU_DEP_2) | instskip(NEXT) | instid1(VALU_DEP_2)
	v_add_f64 v[42:43], v[46:47], v[8:9]
	v_add_f64 v[44:45], v[48:49], v[10:11]
	ds_load_b128 v[8:11], v22 offset:1280
	s_waitcnt lgkmcnt(0)
	v_mul_f64 v[12:13], v[36:37], v[10:11]
	v_mul_f64 v[14:15], v[34:35], v[10:11]
	s_delay_alu instid0(VALU_DEP_2) | instskip(NEXT) | instid1(VALU_DEP_2)
	v_fma_f64 v[12:13], v[34:35], v[8:9], -v[12:13]
	v_fma_f64 v[14:15], v[36:37], v[8:9], v[14:15]
	s_delay_alu instid0(VALU_DEP_2) | instskip(NEXT) | instid1(VALU_DEP_2)
	v_add_f64 v[28:29], v[28:29], v[12:13]
	v_add_f64 v[26:27], v[26:27], v[14:15]
	ds_load_b128 v[12:15], v25 offset:2080
	s_waitcnt lgkmcnt(0)
	v_mul_f64 v[34:35], v[14:15], v[6:7]
	v_mul_f64 v[6:7], v[12:13], v[6:7]
	s_delay_alu instid0(VALU_DEP_2) | instskip(NEXT) | instid1(VALU_DEP_2)
	v_fma_f64 v[34:35], v[12:13], v[4:5], -v[34:35]
	v_fma_f64 v[4:5], v[14:15], v[4:5], v[6:7]
	v_mul_f64 v[6:7], v[12:13], v[10:11]
	s_delay_alu instid0(VALU_DEP_3) | instskip(NEXT) | instid1(VALU_DEP_3)
	v_add_f64 v[30:31], v[30:31], v[34:35]
	v_add_f64 v[32:33], v[32:33], v[4:5]
	v_mul_f64 v[4:5], v[14:15], v[10:11]
	s_delay_alu instid0(VALU_DEP_4) | instskip(NEXT) | instid1(VALU_DEP_2)
	v_fma_f64 v[6:7], v[14:15], v[8:9], v[6:7]
	v_fma_f64 v[4:5], v[12:13], v[8:9], -v[4:5]
	s_delay_alu instid0(VALU_DEP_2) | instskip(NEXT) | instid1(VALU_DEP_2)
	;; [unrolled: 38-line block ×3, first 2 shown]
	v_add_f64 v[18:19], v[18:19], v[6:7]
	v_add_f64 v[16:17], v[16:17], v[4:5]
	ds_load_b128 v[4:7], v25 offset:64
	ds_load_b128 v[8:11], v22 offset:2048
	s_waitcnt lgkmcnt(0)
	v_mul_f64 v[12:13], v[6:7], v[10:11]
	v_mul_f64 v[14:15], v[4:5], v[10:11]
	s_delay_alu instid0(VALU_DEP_2) | instskip(NEXT) | instid1(VALU_DEP_2)
	v_fma_f64 v[12:13], v[4:5], v[8:9], -v[12:13]
	v_fma_f64 v[14:15], v[6:7], v[8:9], v[14:15]
	s_delay_alu instid0(VALU_DEP_2) | instskip(NEXT) | instid1(VALU_DEP_2)
	v_add_f64 v[34:35], v[34:35], v[12:13]
	v_add_f64 v[36:37], v[36:37], v[14:15]
	ds_load_b128 v[12:15], v22 offset:2304
	s_waitcnt lgkmcnt(0)
	v_mul_f64 v[38:39], v[6:7], v[14:15]
	s_delay_alu instid0(VALU_DEP_1) | instskip(SKIP_1) | instid1(VALU_DEP_2)
	v_fma_f64 v[38:39], v[4:5], v[12:13], -v[38:39]
	v_mul_f64 v[4:5], v[4:5], v[14:15]
	v_add_f64 v[28:29], v[28:29], v[38:39]
	s_delay_alu instid0(VALU_DEP_2) | instskip(NEXT) | instid1(VALU_DEP_1)
	v_fma_f64 v[4:5], v[6:7], v[12:13], v[4:5]
	v_add_f64 v[26:27], v[26:27], v[4:5]
	ds_load_b128 v[4:7], v25 offset:2112
	s_waitcnt lgkmcnt(0)
	v_mul_f64 v[38:39], v[6:7], v[10:11]
	v_mul_f64 v[10:11], v[4:5], v[10:11]
	s_delay_alu instid0(VALU_DEP_2) | instskip(NEXT) | instid1(VALU_DEP_2)
	v_fma_f64 v[38:39], v[4:5], v[8:9], -v[38:39]
	v_fma_f64 v[8:9], v[6:7], v[8:9], v[10:11]
	s_delay_alu instid0(VALU_DEP_2) | instskip(NEXT) | instid1(VALU_DEP_2)
	v_add_f64 v[30:31], v[30:31], v[38:39]
	v_add_f64 v[32:33], v[32:33], v[8:9]
	v_mul_f64 v[8:9], v[6:7], v[14:15]
	s_delay_alu instid0(VALU_DEP_1) | instskip(SKIP_1) | instid1(VALU_DEP_2)
	v_fma_f64 v[8:9], v[4:5], v[12:13], -v[8:9]
	v_mul_f64 v[4:5], v[4:5], v[14:15]
	v_add_f64 v[16:17], v[16:17], v[8:9]
	s_delay_alu instid0(VALU_DEP_2) | instskip(NEXT) | instid1(VALU_DEP_1)
	v_fma_f64 v[4:5], v[6:7], v[12:13], v[4:5]
	v_add_f64 v[18:19], v[18:19], v[4:5]
	ds_load_b128 v[4:7], v25 offset:80
	ds_load_b128 v[8:11], v22 offset:2560
	s_waitcnt lgkmcnt(0)
	v_mul_f64 v[12:13], v[6:7], v[10:11]
	v_mul_f64 v[14:15], v[4:5], v[10:11]
	s_delay_alu instid0(VALU_DEP_2) | instskip(NEXT) | instid1(VALU_DEP_2)
	v_fma_f64 v[12:13], v[4:5], v[8:9], -v[12:13]
	v_fma_f64 v[14:15], v[6:7], v[8:9], v[14:15]
	s_delay_alu instid0(VALU_DEP_2) | instskip(NEXT) | instid1(VALU_DEP_2)
	v_add_f64 v[34:35], v[34:35], v[12:13]
	v_add_f64 v[36:37], v[36:37], v[14:15]
	ds_load_b128 v[12:15], v22 offset:2816
	s_waitcnt lgkmcnt(0)
	v_mul_f64 v[38:39], v[6:7], v[14:15]
	s_delay_alu instid0(VALU_DEP_1) | instskip(SKIP_1) | instid1(VALU_DEP_2)
	v_fma_f64 v[38:39], v[4:5], v[12:13], -v[38:39]
	v_mul_f64 v[4:5], v[4:5], v[14:15]
	v_add_f64 v[28:29], v[28:29], v[38:39]
	s_delay_alu instid0(VALU_DEP_2) | instskip(NEXT) | instid1(VALU_DEP_1)
	v_fma_f64 v[4:5], v[6:7], v[12:13], v[4:5]
	v_add_f64 v[26:27], v[26:27], v[4:5]
	ds_load_b128 v[4:7], v25 offset:2128
	s_waitcnt lgkmcnt(0)
	v_mul_f64 v[38:39], v[6:7], v[10:11]
	v_mul_f64 v[10:11], v[4:5], v[10:11]
	s_delay_alu instid0(VALU_DEP_2) | instskip(NEXT) | instid1(VALU_DEP_2)
	v_fma_f64 v[38:39], v[4:5], v[8:9], -v[38:39]
	v_fma_f64 v[8:9], v[6:7], v[8:9], v[10:11]
	s_delay_alu instid0(VALU_DEP_2) | instskip(NEXT) | instid1(VALU_DEP_2)
	v_add_f64 v[30:31], v[30:31], v[38:39]
	v_add_f64 v[32:33], v[32:33], v[8:9]
	v_mul_f64 v[8:9], v[6:7], v[14:15]
	s_delay_alu instid0(VALU_DEP_1) | instskip(SKIP_1) | instid1(VALU_DEP_2)
	v_fma_f64 v[8:9], v[4:5], v[12:13], -v[8:9]
	v_mul_f64 v[4:5], v[4:5], v[14:15]
	v_add_f64 v[16:17], v[16:17], v[8:9]
	s_delay_alu instid0(VALU_DEP_2) | instskip(NEXT) | instid1(VALU_DEP_1)
	v_fma_f64 v[4:5], v[6:7], v[12:13], v[4:5]
	;; [unrolled: 39-line block ×3, first 2 shown]
	v_add_f64 v[48:49], v[18:19], v[4:5]
	ds_load_b128 v[4:7], v25 offset:112
	ds_load_b128 v[8:11], v22 offset:3584
	;; [unrolled: 1-line block ×4, first 2 shown]
	s_waitcnt lgkmcnt(0)
	s_barrier
	buffer_gl0_inv
	v_mul_f64 v[12:13], v[6:7], v[10:11]
	v_mul_f64 v[14:15], v[4:5], v[10:11]
	s_delay_alu instid0(VALU_DEP_2) | instskip(NEXT) | instid1(VALU_DEP_2)
	v_fma_f64 v[12:13], v[4:5], v[8:9], -v[12:13]
	v_fma_f64 v[14:15], v[6:7], v[8:9], v[14:15]
	s_delay_alu instid0(VALU_DEP_2) | instskip(SKIP_1) | instid1(VALU_DEP_3)
	v_add_f64 v[16:17], v[34:35], v[12:13]
	v_mul_f64 v[12:13], v[6:7], v[28:29]
	v_add_f64 v[18:19], v[36:37], v[14:15]
	s_delay_alu instid0(VALU_DEP_2) | instskip(SKIP_1) | instid1(VALU_DEP_1)
	v_fma_f64 v[12:13], v[4:5], v[26:27], -v[12:13]
	v_mul_f64 v[4:5], v[4:5], v[28:29]
	v_fma_f64 v[6:7], v[6:7], v[26:27], v[4:5]
	s_delay_alu instid0(VALU_DEP_3) | instskip(SKIP_2) | instid1(VALU_DEP_4)
	v_add_f64 v[4:5], v[38:39], v[12:13]
	v_mul_f64 v[12:13], v[32:33], v[10:11]
	v_mul_f64 v[10:11], v[30:31], v[10:11]
	v_add_f64 v[6:7], v[40:41], v[6:7]
	s_delay_alu instid0(VALU_DEP_3) | instskip(NEXT) | instid1(VALU_DEP_3)
	v_fma_f64 v[12:13], v[30:31], v[8:9], -v[12:13]
	v_fma_f64 v[8:9], v[32:33], v[8:9], v[10:11]
	v_mul_f64 v[10:11], v[30:31], v[28:29]
	s_delay_alu instid0(VALU_DEP_3) | instskip(NEXT) | instid1(VALU_DEP_3)
	v_add_f64 v[12:13], v[42:43], v[12:13]
	v_add_f64 v[14:15], v[44:45], v[8:9]
	v_mul_f64 v[8:9], v[32:33], v[28:29]
	s_delay_alu instid0(VALU_DEP_1) | instskip(SKIP_1) | instid1(VALU_DEP_2)
	v_fma_f64 v[8:9], v[30:31], v[26:27], -v[8:9]
	v_fma_f64 v[26:27], v[32:33], v[26:27], v[10:11]
	v_add_f64 v[10:11], v[46:47], v[8:9]
	s_delay_alu instid0(VALU_DEP_2)
	v_add_f64 v[8:9], v[48:49], v[26:27]
	s_cbranch_scc0 .LBB397_2
.LBB397_3:
	s_clause 0x1
	s_load_b32 s3, s[0:1], 0x40
	s_load_b64 s[0:1], s[0:1], 0x48
	v_add_nc_u32_e32 v21, s13, v21
	v_add_nc_u32_e32 v0, s12, v20
	s_delay_alu instid0(VALU_DEP_2)
	v_cmp_gt_i32_e32 vcc_lo, s2, v21
	s_waitcnt lgkmcnt(0)
	v_mad_i64_i32 v[1:2], null, v21, s3, 0
	s_mul_i32 s1, s15, s1
	s_mul_hi_u32 s4, s15, s0
	s_mul_i32 s0, s15, s0
	s_add_i32 s1, s4, s1
	s_delay_alu instid0(SALU_CYCLE_1) | instskip(NEXT) | instid1(VALU_DEP_1)
	s_lshl_b64 s[4:5], s[0:1], 4
	v_lshlrev_b64 v[1:2], 4, v[1:2]
	s_add_u32 s4, s6, s4
	v_cmp_le_i32_e64 s0, v0, v21
	s_addc_u32 s5, s7, s5
	s_delay_alu instid0(VALU_DEP_2) | instskip(NEXT) | instid1(VALU_DEP_1)
	v_add_co_u32 v20, s1, s4, v1
	v_add_co_ci_u32_e64 v22, s1, s5, v2, s1
	s_delay_alu instid0(VALU_DEP_3) | instskip(NEXT) | instid1(SALU_CYCLE_1)
	s_and_b32 s0, vcc_lo, s0
	s_and_saveexec_b32 s1, s0
	s_cbranch_execz .LBB397_5
; %bb.4:
	v_ashrrev_i32_e32 v1, 31, v0
	s_delay_alu instid0(VALU_DEP_1) | instskip(NEXT) | instid1(VALU_DEP_1)
	v_lshlrev_b64 v[1:2], 4, v[0:1]
	v_add_co_u32 v1, s0, v20, v1
	s_delay_alu instid0(VALU_DEP_1)
	v_add_co_ci_u32_e64 v2, s0, v22, v2, s0
	v_cmp_ne_u32_e64 s0, v21, v0
	global_load_b128 v[23:26], v[1:2], off
	s_waitcnt vmcnt(0)
	v_add_f64 v[18:19], v[18:19], -v[25:26]
	v_add_f64 v[16:17], v[16:17], -v[23:24]
	s_delay_alu instid0(VALU_DEP_2) | instskip(NEXT) | instid1(VALU_DEP_3)
	v_cndmask_b32_e64 v19, 0, v19, s0
	v_cndmask_b32_e64 v18, 0, v18, s0
	global_store_b128 v[1:2], v[16:19], off
.LBB397_5:
	s_or_b32 exec_lo, exec_lo, s1
	v_add_nc_u32_e32 v2, 16, v0
	s_delay_alu instid0(VALU_DEP_1) | instskip(NEXT) | instid1(VALU_DEP_1)
	v_cmp_le_i32_e64 s0, v2, v21
	s_and_b32 s1, vcc_lo, s0
	s_delay_alu instid0(SALU_CYCLE_1)
	s_and_saveexec_b32 s0, s1
	s_cbranch_execz .LBB397_7
; %bb.6:
	v_ashrrev_i32_e32 v3, 31, v2
	s_delay_alu instid0(VALU_DEP_1) | instskip(NEXT) | instid1(VALU_DEP_1)
	v_lshlrev_b64 v[16:17], 4, v[2:3]
	v_add_co_u32 v23, vcc_lo, v20, v16
	s_delay_alu instid0(VALU_DEP_2)
	v_add_co_ci_u32_e32 v24, vcc_lo, v22, v17, vcc_lo
	v_cmp_ne_u32_e32 vcc_lo, v21, v2
	global_load_b128 v[16:19], v[23:24], off
	s_waitcnt vmcnt(0)
	v_add_f64 v[18:19], v[6:7], -v[18:19]
	v_add_f64 v[3:4], v[4:5], -v[16:17]
	s_delay_alu instid0(VALU_DEP_2)
	v_dual_cndmask_b32 v6, 0, v19 :: v_dual_cndmask_b32 v5, 0, v18
	global_store_b128 v[23:24], v[3:6], off
.LBB397_7:
	s_or_b32 exec_lo, exec_lo, s0
	v_add_nc_u32_e32 v3, 16, v21
	s_delay_alu instid0(VALU_DEP_1) | instskip(SKIP_2) | instid1(VALU_DEP_1)
	v_mad_i64_i32 v[4:5], null, v3, s3, 0
	v_cmp_gt_i32_e32 vcc_lo, s2, v3
	v_cmp_le_i32_e64 s0, v0, v3
	s_and_b32 s0, vcc_lo, s0
	s_delay_alu instid0(VALU_DEP_3) | instskip(NEXT) | instid1(VALU_DEP_1)
	v_lshlrev_b64 v[4:5], 4, v[4:5]
	v_add_co_u32 v4, s1, s4, v4
	s_delay_alu instid0(VALU_DEP_1)
	v_add_co_ci_u32_e64 v5, s1, s5, v5, s1
	s_and_saveexec_b32 s1, s0
	s_cbranch_execz .LBB397_9
; %bb.8:
	v_ashrrev_i32_e32 v1, 31, v0
	s_delay_alu instid0(VALU_DEP_1) | instskip(NEXT) | instid1(VALU_DEP_1)
	v_lshlrev_b64 v[6:7], 4, v[0:1]
	v_add_co_u32 v6, s0, v4, v6
	s_delay_alu instid0(VALU_DEP_1)
	v_add_co_ci_u32_e64 v7, s0, v5, v7, s0
	v_cmp_ne_u32_e64 s0, v3, v0
	global_load_b128 v[16:19], v[6:7], off
	s_waitcnt vmcnt(0)
	v_add_f64 v[14:15], v[14:15], -v[18:19]
	v_add_f64 v[12:13], v[12:13], -v[16:17]
	s_delay_alu instid0(VALU_DEP_2) | instskip(NEXT) | instid1(VALU_DEP_3)
	v_cndmask_b32_e64 v15, 0, v15, s0
	v_cndmask_b32_e64 v14, 0, v14, s0
	global_store_b128 v[6:7], v[12:15], off
.LBB397_9:
	s_or_b32 exec_lo, exec_lo, s1
	v_cmp_le_i32_e64 s0, v2, v3
	s_delay_alu instid0(VALU_DEP_1) | instskip(NEXT) | instid1(SALU_CYCLE_1)
	s_and_b32 s0, vcc_lo, s0
	s_and_saveexec_b32 s1, s0
	s_cbranch_execz .LBB397_11
; %bb.10:
	v_ashrrev_i32_e32 v3, 31, v2
	s_delay_alu instid0(VALU_DEP_1) | instskip(NEXT) | instid1(VALU_DEP_1)
	v_lshlrev_b64 v[1:2], 4, v[2:3]
	v_add_co_u32 v6, vcc_lo, v4, v1
	s_delay_alu instid0(VALU_DEP_2)
	v_add_co_ci_u32_e32 v7, vcc_lo, v5, v2, vcc_lo
	v_cmp_ne_u32_e32 vcc_lo, v21, v0
	global_load_b128 v[1:4], v[6:7], off
	s_waitcnt vmcnt(0)
	v_add_f64 v[3:4], v[8:9], -v[3:4]
	v_add_f64 v[1:2], v[10:11], -v[1:2]
	s_delay_alu instid0(VALU_DEP_2)
	v_dual_cndmask_b32 v4, 0, v4 :: v_dual_cndmask_b32 v3, 0, v3
	global_store_b128 v[6:7], v[1:4], off
.LBB397_11:
	s_nop 0
	s_sendmsg sendmsg(MSG_DEALLOC_VGPRS)
	s_endpgm
	.section	.rodata,"a",@progbits
	.p2align	6, 0x0
	.amdhsa_kernel _ZL37rocblas_syrkx_herkx_restricted_kernelIi19rocblas_complex_numIdELi16ELi32ELi8ELi1ELin1ELb1ELc67ELc85EKS1_S1_EviT_PT9_S3_lS5_S3_lPT10_S3_li
		.amdhsa_group_segment_fixed_size 8192
		.amdhsa_private_segment_fixed_size 0
		.amdhsa_kernarg_size 84
		.amdhsa_user_sgpr_count 13
		.amdhsa_user_sgpr_dispatch_ptr 0
		.amdhsa_user_sgpr_queue_ptr 0
		.amdhsa_user_sgpr_kernarg_segment_ptr 1
		.amdhsa_user_sgpr_dispatch_id 0
		.amdhsa_user_sgpr_private_segment_size 0
		.amdhsa_wavefront_size32 1
		.amdhsa_uses_dynamic_stack 0
		.amdhsa_enable_private_segment 0
		.amdhsa_system_sgpr_workgroup_id_x 1
		.amdhsa_system_sgpr_workgroup_id_y 1
		.amdhsa_system_sgpr_workgroup_id_z 1
		.amdhsa_system_sgpr_workgroup_info 0
		.amdhsa_system_vgpr_workitem_id 1
		.amdhsa_next_free_vgpr 52
		.amdhsa_next_free_sgpr 20
		.amdhsa_reserve_vcc 1
		.amdhsa_float_round_mode_32 0
		.amdhsa_float_round_mode_16_64 0
		.amdhsa_float_denorm_mode_32 3
		.amdhsa_float_denorm_mode_16_64 3
		.amdhsa_dx10_clamp 1
		.amdhsa_ieee_mode 1
		.amdhsa_fp16_overflow 0
		.amdhsa_workgroup_processor_mode 1
		.amdhsa_memory_ordered 1
		.amdhsa_forward_progress 0
		.amdhsa_shared_vgpr_count 0
		.amdhsa_exception_fp_ieee_invalid_op 0
		.amdhsa_exception_fp_denorm_src 0
		.amdhsa_exception_fp_ieee_div_zero 0
		.amdhsa_exception_fp_ieee_overflow 0
		.amdhsa_exception_fp_ieee_underflow 0
		.amdhsa_exception_fp_ieee_inexact 0
		.amdhsa_exception_int_div_zero 0
	.end_amdhsa_kernel
	.section	.text._ZL37rocblas_syrkx_herkx_restricted_kernelIi19rocblas_complex_numIdELi16ELi32ELi8ELi1ELin1ELb1ELc67ELc85EKS1_S1_EviT_PT9_S3_lS5_S3_lPT10_S3_li,"axG",@progbits,_ZL37rocblas_syrkx_herkx_restricted_kernelIi19rocblas_complex_numIdELi16ELi32ELi8ELi1ELin1ELb1ELc67ELc85EKS1_S1_EviT_PT9_S3_lS5_S3_lPT10_S3_li,comdat
.Lfunc_end397:
	.size	_ZL37rocblas_syrkx_herkx_restricted_kernelIi19rocblas_complex_numIdELi16ELi32ELi8ELi1ELin1ELb1ELc67ELc85EKS1_S1_EviT_PT9_S3_lS5_S3_lPT10_S3_li, .Lfunc_end397-_ZL37rocblas_syrkx_herkx_restricted_kernelIi19rocblas_complex_numIdELi16ELi32ELi8ELi1ELin1ELb1ELc67ELc85EKS1_S1_EviT_PT9_S3_lS5_S3_lPT10_S3_li
                                        ; -- End function
	.section	.AMDGPU.csdata,"",@progbits
; Kernel info:
; codeLenInByte = 3384
; NumSgprs: 22
; NumVgprs: 52
; ScratchSize: 0
; MemoryBound: 0
; FloatMode: 240
; IeeeMode: 1
; LDSByteSize: 8192 bytes/workgroup (compile time only)
; SGPRBlocks: 2
; VGPRBlocks: 6
; NumSGPRsForWavesPerEU: 22
; NumVGPRsForWavesPerEU: 52
; Occupancy: 16
; WaveLimiterHint : 0
; COMPUTE_PGM_RSRC2:SCRATCH_EN: 0
; COMPUTE_PGM_RSRC2:USER_SGPR: 13
; COMPUTE_PGM_RSRC2:TRAP_HANDLER: 0
; COMPUTE_PGM_RSRC2:TGID_X_EN: 1
; COMPUTE_PGM_RSRC2:TGID_Y_EN: 1
; COMPUTE_PGM_RSRC2:TGID_Z_EN: 1
; COMPUTE_PGM_RSRC2:TIDIG_COMP_CNT: 1
	.section	.text._ZL37rocblas_syrkx_herkx_restricted_kernelIi19rocblas_complex_numIdELi16ELi32ELi8ELi1ELin1ELb1ELc78ELc85EKS1_S1_EviT_PT9_S3_lS5_S3_lPT10_S3_li,"axG",@progbits,_ZL37rocblas_syrkx_herkx_restricted_kernelIi19rocblas_complex_numIdELi16ELi32ELi8ELi1ELin1ELb1ELc78ELc85EKS1_S1_EviT_PT9_S3_lS5_S3_lPT10_S3_li,comdat
	.globl	_ZL37rocblas_syrkx_herkx_restricted_kernelIi19rocblas_complex_numIdELi16ELi32ELi8ELi1ELin1ELb1ELc78ELc85EKS1_S1_EviT_PT9_S3_lS5_S3_lPT10_S3_li ; -- Begin function _ZL37rocblas_syrkx_herkx_restricted_kernelIi19rocblas_complex_numIdELi16ELi32ELi8ELi1ELin1ELb1ELc78ELc85EKS1_S1_EviT_PT9_S3_lS5_S3_lPT10_S3_li
	.p2align	8
	.type	_ZL37rocblas_syrkx_herkx_restricted_kernelIi19rocblas_complex_numIdELi16ELi32ELi8ELi1ELin1ELb1ELc78ELc85EKS1_S1_EviT_PT9_S3_lS5_S3_lPT10_S3_li,@function
_ZL37rocblas_syrkx_herkx_restricted_kernelIi19rocblas_complex_numIdELi16ELi32ELi8ELi1ELin1ELb1ELc78ELc85EKS1_S1_EviT_PT9_S3_lS5_S3_lPT10_S3_li: ; @_ZL37rocblas_syrkx_herkx_restricted_kernelIi19rocblas_complex_numIdELi16ELi32ELi8ELi1ELin1ELb1ELc78ELc85EKS1_S1_EviT_PT9_S3_lS5_S3_lPT10_S3_li
; %bb.0:
	s_clause 0x1
	s_load_b64 s[2:3], s[0:1], 0x0
	s_load_b128 s[4:7], s[0:1], 0x30
	v_mov_b32_e32 v16, 0
	v_dual_mov_b32 v17, 0 :: v_dual_and_b32 v20, 0x3ff, v0
	v_bfe_u32 v21, v0, 10, 10
	s_delay_alu instid0(VALU_DEP_3) | instskip(NEXT) | instid1(VALU_DEP_3)
	v_mov_b32_e32 v4, v16
	v_dual_mov_b32 v6, v16 :: v_dual_mov_b32 v7, v17
	v_dual_mov_b32 v19, v17 :: v_dual_mov_b32 v18, v16
	v_dual_mov_b32 v5, v17 :: v_dual_mov_b32 v12, v16
	v_dual_mov_b32 v13, v17 :: v_dual_mov_b32 v14, v16
	v_dual_mov_b32 v15, v17 :: v_dual_mov_b32 v10, v16
	v_dual_mov_b32 v11, v17 :: v_dual_mov_b32 v8, v16
	v_mov_b32_e32 v9, v17
	s_lshl_b32 s12, s13, 5
	s_lshl_b32 s13, s14, 5
	s_waitcnt lgkmcnt(0)
	s_cmp_lt_i32 s3, 1
	s_mov_b32 s14, 0
	s_cbranch_scc1 .LBB398_3
; %bb.1:
	v_lshl_add_u32 v0, v21, 4, v20
	v_and_b32_e32 v6, 7, v20
	s_clause 0x3
	s_load_b32 s16, s[0:1], 0x10
	s_load_b32 s18, s[0:1], 0x28
	s_load_b128 s[8:11], s[0:1], 0x18
	s_load_b64 s[20:21], s[0:1], 0x8
	v_lshrrev_b32_e32 v1, 3, v0
	v_lshlrev_b32_e32 v3, 4, v6
	v_lshrrev_b32_e32 v7, 5, v0
	s_mul_i32 s5, s5, s15
	v_lshl_add_u32 v25, v21, 7, 0x1000
	s_delay_alu instid0(VALU_DEP_3) | instskip(NEXT) | instid1(VALU_DEP_1)
	v_lshl_or_b32 v8, v1, 7, v3
	v_dual_mov_b32 v8, 0 :: v_dual_add_nc_u32 v23, 0x1000, v8
	v_dual_mov_b32 v9, 0 :: v_dual_and_b32 v2, 31, v0
	v_add_nc_u32_e32 v0, s13, v1
	s_waitcnt lgkmcnt(0)
	s_ashr_i32 s17, s16, 31
	s_ashr_i32 s19, s18, 31
	v_mov_b32_e32 v15, v9
	v_dual_mov_b32 v11, v9 :: v_dual_lshlrev_b32 v4, 4, v2
	v_dual_mov_b32 v13, v9 :: v_dual_add_nc_u32 v2, s12, v2
	v_ashrrev_i32_e32 v1, 31, v0
	s_mul_i32 s9, s9, s15
	s_delay_alu instid0(VALU_DEP_3)
	v_lshl_or_b32 v22, v7, 9, v4
	s_mul_hi_u32 s22, s8, s15
	v_ashrrev_i32_e32 v3, 31, v2
	v_mad_i64_i32 v[4:5], null, s18, v6, v[0:1]
	s_add_i32 s9, s22, s9
	s_mul_i32 s8, s8, s15
	s_delay_alu instid0(VALU_DEP_2)
	v_mad_i64_i32 v[0:1], null, s16, v7, v[2:3]
	s_lshl_b64 s[8:9], s[8:9], 4
	v_dual_mov_b32 v14, v8 :: v_dual_mov_b32 v19, v9
	s_add_u32 s8, s20, s8
	s_addc_u32 s9, s21, s9
	s_mul_hi_u32 s20, s4, s15
	s_delay_alu instid0(VALU_DEP_2) | instskip(SKIP_4) | instid1(VALU_DEP_3)
	v_lshlrev_b64 v[0:1], 4, v[0:1]
	s_add_i32 s5, s20, s5
	s_mul_i32 s4, s4, s15
	v_dual_mov_b32 v12, v8 :: v_dual_mov_b32 v17, v9
	v_mov_b32_e32 v6, v8
	v_add_co_u32 v2, vcc_lo, s8, v0
	v_add_co_ci_u32_e32 v3, vcc_lo, s9, v1, vcc_lo
	v_lshlrev_b64 v[0:1], 4, v[4:5]
	s_lshl_b64 s[8:9], s[4:5], 4
	s_lshl_b64 s[4:5], s[16:17], 7
	s_add_u32 s8, s10, s8
	s_addc_u32 s9, s11, s9
	v_lshlrev_b32_e32 v24, 4, v20
	v_add_co_u32 v4, vcc_lo, s8, v0
	v_add_co_ci_u32_e32 v5, vcc_lo, s9, v1, vcc_lo
	v_add_co_u32 v0, vcc_lo, v2, 8
	v_add_co_ci_u32_e32 v1, vcc_lo, 0, v3, vcc_lo
	s_delay_alu instid0(VALU_DEP_4) | instskip(NEXT) | instid1(VALU_DEP_4)
	v_add_co_u32 v2, vcc_lo, v4, 8
	v_add_co_ci_u32_e32 v3, vcc_lo, 0, v5, vcc_lo
	v_dual_mov_b32 v4, v8 :: v_dual_mov_b32 v5, v9
	v_dual_mov_b32 v10, v8 :: v_dual_mov_b32 v7, v9
	v_mov_b32_e32 v18, v8
	v_mov_b32_e32 v16, v8
	s_lshl_b64 s[8:9], s[18:19], 7
.LBB398_2:                              ; =>This Inner Loop Header: Depth=1
	global_load_b128 v[26:29], v[0:1], off offset:-8
	v_add_co_u32 v0, vcc_lo, v0, s4
	v_add_co_ci_u32_e32 v1, vcc_lo, s5, v1, vcc_lo
	s_add_i32 s14, s14, 8
	s_delay_alu instid0(SALU_CYCLE_1)
	s_cmp_ge_i32 s14, s3
	s_waitcnt vmcnt(0)
	ds_store_b128 v22, v[26:29]
	global_load_b128 v[26:29], v[2:3], off offset:-8
	v_add_co_u32 v2, vcc_lo, v2, s8
	v_add_co_ci_u32_e32 v3, vcc_lo, s9, v3, vcc_lo
	s_waitcnt vmcnt(0)
	v_xor_b32_e32 v29, 0x80000000, v29
	ds_store_b128 v23, v[26:29]
	s_waitcnt lgkmcnt(0)
	s_barrier
	buffer_gl0_inv
	ds_load_b128 v[26:29], v25
	ds_load_b128 v[30:33], v25 offset:16
	ds_load_b128 v[34:37], v25 offset:32
	;; [unrolled: 1-line block ×3, first 2 shown]
	ds_load_b128 v[42:45], v24
	s_waitcnt lgkmcnt(0)
	v_mul_f64 v[46:47], v[28:29], v[44:45]
	v_mul_f64 v[48:49], v[26:27], v[44:45]
	s_delay_alu instid0(VALU_DEP_2) | instskip(NEXT) | instid1(VALU_DEP_2)
	v_fma_f64 v[46:47], v[26:27], v[42:43], -v[46:47]
	v_fma_f64 v[48:49], v[28:29], v[42:43], v[48:49]
	s_delay_alu instid0(VALU_DEP_2) | instskip(NEXT) | instid1(VALU_DEP_2)
	v_add_f64 v[46:47], v[16:17], v[46:47]
	v_add_f64 v[48:49], v[18:19], v[48:49]
	ds_load_b128 v[16:19], v24 offset:256
	s_waitcnt lgkmcnt(0)
	v_mul_f64 v[50:51], v[28:29], v[18:19]
	s_delay_alu instid0(VALU_DEP_1) | instskip(SKIP_1) | instid1(VALU_DEP_1)
	v_fma_f64 v[50:51], v[26:27], v[16:17], -v[50:51]
	v_mul_f64 v[26:27], v[26:27], v[18:19]
	v_fma_f64 v[26:27], v[28:29], v[16:17], v[26:27]
	s_delay_alu instid0(VALU_DEP_3) | instskip(NEXT) | instid1(VALU_DEP_2)
	v_add_f64 v[28:29], v[4:5], v[50:51]
	v_add_f64 v[26:27], v[6:7], v[26:27]
	ds_load_b128 v[4:7], v25 offset:2048
	s_waitcnt lgkmcnt(0)
	v_mul_f64 v[50:51], v[6:7], v[44:45]
	v_mul_f64 v[44:45], v[4:5], v[44:45]
	s_delay_alu instid0(VALU_DEP_2) | instskip(NEXT) | instid1(VALU_DEP_2)
	v_fma_f64 v[50:51], v[4:5], v[42:43], -v[50:51]
	v_fma_f64 v[42:43], v[6:7], v[42:43], v[44:45]
	s_delay_alu instid0(VALU_DEP_2) | instskip(SKIP_1) | instid1(VALU_DEP_3)
	v_add_f64 v[44:45], v[12:13], v[50:51]
	v_mul_f64 v[12:13], v[6:7], v[18:19]
	v_add_f64 v[42:43], v[14:15], v[42:43]
	s_delay_alu instid0(VALU_DEP_2) | instskip(SKIP_1) | instid1(VALU_DEP_1)
	v_fma_f64 v[12:13], v[4:5], v[16:17], -v[12:13]
	v_mul_f64 v[4:5], v[4:5], v[18:19]
	v_fma_f64 v[4:5], v[6:7], v[16:17], v[4:5]
	s_delay_alu instid0(VALU_DEP_3) | instskip(NEXT) | instid1(VALU_DEP_2)
	v_add_f64 v[16:17], v[10:11], v[12:13]
	v_add_f64 v[18:19], v[8:9], v[4:5]
	ds_load_b128 v[4:7], v24 offset:512
	s_waitcnt lgkmcnt(0)
	v_mul_f64 v[8:9], v[32:33], v[6:7]
	v_mul_f64 v[10:11], v[30:31], v[6:7]
	s_delay_alu instid0(VALU_DEP_2) | instskip(NEXT) | instid1(VALU_DEP_2)
	v_fma_f64 v[8:9], v[30:31], v[4:5], -v[8:9]
	v_fma_f64 v[10:11], v[32:33], v[4:5], v[10:11]
	s_delay_alu instid0(VALU_DEP_2) | instskip(NEXT) | instid1(VALU_DEP_2)
	v_add_f64 v[46:47], v[46:47], v[8:9]
	v_add_f64 v[48:49], v[48:49], v[10:11]
	ds_load_b128 v[8:11], v24 offset:768
	s_waitcnt lgkmcnt(0)
	v_mul_f64 v[12:13], v[32:33], v[10:11]
	v_mul_f64 v[14:15], v[30:31], v[10:11]
	s_delay_alu instid0(VALU_DEP_2) | instskip(NEXT) | instid1(VALU_DEP_2)
	v_fma_f64 v[12:13], v[30:31], v[8:9], -v[12:13]
	v_fma_f64 v[14:15], v[32:33], v[8:9], v[14:15]
	s_delay_alu instid0(VALU_DEP_2) | instskip(NEXT) | instid1(VALU_DEP_2)
	v_add_f64 v[28:29], v[28:29], v[12:13]
	v_add_f64 v[26:27], v[26:27], v[14:15]
	ds_load_b128 v[12:15], v25 offset:2064
	s_waitcnt lgkmcnt(0)
	v_mul_f64 v[30:31], v[14:15], v[6:7]
	v_mul_f64 v[6:7], v[12:13], v[6:7]
	s_delay_alu instid0(VALU_DEP_2) | instskip(NEXT) | instid1(VALU_DEP_2)
	v_fma_f64 v[30:31], v[12:13], v[4:5], -v[30:31]
	v_fma_f64 v[4:5], v[14:15], v[4:5], v[6:7]
	v_mul_f64 v[6:7], v[12:13], v[10:11]
	s_delay_alu instid0(VALU_DEP_3) | instskip(NEXT) | instid1(VALU_DEP_3)
	v_add_f64 v[30:31], v[44:45], v[30:31]
	v_add_f64 v[32:33], v[42:43], v[4:5]
	v_mul_f64 v[4:5], v[14:15], v[10:11]
	s_delay_alu instid0(VALU_DEP_4) | instskip(NEXT) | instid1(VALU_DEP_2)
	v_fma_f64 v[6:7], v[14:15], v[8:9], v[6:7]
	v_fma_f64 v[4:5], v[12:13], v[8:9], -v[4:5]
	s_delay_alu instid0(VALU_DEP_2) | instskip(NEXT) | instid1(VALU_DEP_2)
	v_add_f64 v[18:19], v[18:19], v[6:7]
	v_add_f64 v[16:17], v[16:17], v[4:5]
	ds_load_b128 v[4:7], v24 offset:1024
	s_waitcnt lgkmcnt(0)
	v_mul_f64 v[8:9], v[36:37], v[6:7]
	v_mul_f64 v[10:11], v[34:35], v[6:7]
	s_delay_alu instid0(VALU_DEP_2) | instskip(NEXT) | instid1(VALU_DEP_2)
	v_fma_f64 v[8:9], v[34:35], v[4:5], -v[8:9]
	v_fma_f64 v[10:11], v[36:37], v[4:5], v[10:11]
	s_delay_alu instid0(VALU_DEP_2) | instskip(NEXT) | instid1(VALU_DEP_2)
	v_add_f64 v[42:43], v[46:47], v[8:9]
	v_add_f64 v[44:45], v[48:49], v[10:11]
	ds_load_b128 v[8:11], v24 offset:1280
	s_waitcnt lgkmcnt(0)
	v_mul_f64 v[12:13], v[36:37], v[10:11]
	v_mul_f64 v[14:15], v[34:35], v[10:11]
	s_delay_alu instid0(VALU_DEP_2) | instskip(NEXT) | instid1(VALU_DEP_2)
	v_fma_f64 v[12:13], v[34:35], v[8:9], -v[12:13]
	v_fma_f64 v[14:15], v[36:37], v[8:9], v[14:15]
	s_delay_alu instid0(VALU_DEP_2) | instskip(NEXT) | instid1(VALU_DEP_2)
	v_add_f64 v[28:29], v[28:29], v[12:13]
	v_add_f64 v[26:27], v[26:27], v[14:15]
	ds_load_b128 v[12:15], v25 offset:2080
	s_waitcnt lgkmcnt(0)
	v_mul_f64 v[34:35], v[14:15], v[6:7]
	v_mul_f64 v[6:7], v[12:13], v[6:7]
	s_delay_alu instid0(VALU_DEP_2) | instskip(NEXT) | instid1(VALU_DEP_2)
	v_fma_f64 v[34:35], v[12:13], v[4:5], -v[34:35]
	v_fma_f64 v[4:5], v[14:15], v[4:5], v[6:7]
	v_mul_f64 v[6:7], v[12:13], v[10:11]
	s_delay_alu instid0(VALU_DEP_3) | instskip(NEXT) | instid1(VALU_DEP_3)
	v_add_f64 v[30:31], v[30:31], v[34:35]
	v_add_f64 v[32:33], v[32:33], v[4:5]
	v_mul_f64 v[4:5], v[14:15], v[10:11]
	s_delay_alu instid0(VALU_DEP_4) | instskip(NEXT) | instid1(VALU_DEP_2)
	v_fma_f64 v[6:7], v[14:15], v[8:9], v[6:7]
	v_fma_f64 v[4:5], v[12:13], v[8:9], -v[4:5]
	s_delay_alu instid0(VALU_DEP_2) | instskip(NEXT) | instid1(VALU_DEP_2)
	;; [unrolled: 38-line block ×3, first 2 shown]
	v_add_f64 v[18:19], v[18:19], v[6:7]
	v_add_f64 v[16:17], v[16:17], v[4:5]
	ds_load_b128 v[4:7], v25 offset:64
	ds_load_b128 v[8:11], v24 offset:2048
	s_waitcnt lgkmcnt(0)
	v_mul_f64 v[12:13], v[6:7], v[10:11]
	v_mul_f64 v[14:15], v[4:5], v[10:11]
	s_delay_alu instid0(VALU_DEP_2) | instskip(NEXT) | instid1(VALU_DEP_2)
	v_fma_f64 v[12:13], v[4:5], v[8:9], -v[12:13]
	v_fma_f64 v[14:15], v[6:7], v[8:9], v[14:15]
	s_delay_alu instid0(VALU_DEP_2) | instskip(NEXT) | instid1(VALU_DEP_2)
	v_add_f64 v[34:35], v[34:35], v[12:13]
	v_add_f64 v[36:37], v[36:37], v[14:15]
	ds_load_b128 v[12:15], v24 offset:2304
	s_waitcnt lgkmcnt(0)
	v_mul_f64 v[38:39], v[6:7], v[14:15]
	s_delay_alu instid0(VALU_DEP_1) | instskip(SKIP_1) | instid1(VALU_DEP_2)
	v_fma_f64 v[38:39], v[4:5], v[12:13], -v[38:39]
	v_mul_f64 v[4:5], v[4:5], v[14:15]
	v_add_f64 v[28:29], v[28:29], v[38:39]
	s_delay_alu instid0(VALU_DEP_2) | instskip(NEXT) | instid1(VALU_DEP_1)
	v_fma_f64 v[4:5], v[6:7], v[12:13], v[4:5]
	v_add_f64 v[26:27], v[26:27], v[4:5]
	ds_load_b128 v[4:7], v25 offset:2112
	s_waitcnt lgkmcnt(0)
	v_mul_f64 v[38:39], v[6:7], v[10:11]
	v_mul_f64 v[10:11], v[4:5], v[10:11]
	s_delay_alu instid0(VALU_DEP_2) | instskip(NEXT) | instid1(VALU_DEP_2)
	v_fma_f64 v[38:39], v[4:5], v[8:9], -v[38:39]
	v_fma_f64 v[8:9], v[6:7], v[8:9], v[10:11]
	s_delay_alu instid0(VALU_DEP_2) | instskip(NEXT) | instid1(VALU_DEP_2)
	v_add_f64 v[30:31], v[30:31], v[38:39]
	v_add_f64 v[32:33], v[32:33], v[8:9]
	v_mul_f64 v[8:9], v[6:7], v[14:15]
	s_delay_alu instid0(VALU_DEP_1) | instskip(SKIP_1) | instid1(VALU_DEP_2)
	v_fma_f64 v[8:9], v[4:5], v[12:13], -v[8:9]
	v_mul_f64 v[4:5], v[4:5], v[14:15]
	v_add_f64 v[16:17], v[16:17], v[8:9]
	s_delay_alu instid0(VALU_DEP_2) | instskip(NEXT) | instid1(VALU_DEP_1)
	v_fma_f64 v[4:5], v[6:7], v[12:13], v[4:5]
	v_add_f64 v[18:19], v[18:19], v[4:5]
	ds_load_b128 v[4:7], v25 offset:80
	ds_load_b128 v[8:11], v24 offset:2560
	s_waitcnt lgkmcnt(0)
	v_mul_f64 v[12:13], v[6:7], v[10:11]
	v_mul_f64 v[14:15], v[4:5], v[10:11]
	s_delay_alu instid0(VALU_DEP_2) | instskip(NEXT) | instid1(VALU_DEP_2)
	v_fma_f64 v[12:13], v[4:5], v[8:9], -v[12:13]
	v_fma_f64 v[14:15], v[6:7], v[8:9], v[14:15]
	s_delay_alu instid0(VALU_DEP_2) | instskip(NEXT) | instid1(VALU_DEP_2)
	v_add_f64 v[34:35], v[34:35], v[12:13]
	v_add_f64 v[36:37], v[36:37], v[14:15]
	ds_load_b128 v[12:15], v24 offset:2816
	s_waitcnt lgkmcnt(0)
	v_mul_f64 v[38:39], v[6:7], v[14:15]
	s_delay_alu instid0(VALU_DEP_1) | instskip(SKIP_1) | instid1(VALU_DEP_2)
	v_fma_f64 v[38:39], v[4:5], v[12:13], -v[38:39]
	v_mul_f64 v[4:5], v[4:5], v[14:15]
	v_add_f64 v[28:29], v[28:29], v[38:39]
	s_delay_alu instid0(VALU_DEP_2) | instskip(NEXT) | instid1(VALU_DEP_1)
	v_fma_f64 v[4:5], v[6:7], v[12:13], v[4:5]
	v_add_f64 v[26:27], v[26:27], v[4:5]
	ds_load_b128 v[4:7], v25 offset:2128
	s_waitcnt lgkmcnt(0)
	v_mul_f64 v[38:39], v[6:7], v[10:11]
	v_mul_f64 v[10:11], v[4:5], v[10:11]
	s_delay_alu instid0(VALU_DEP_2) | instskip(NEXT) | instid1(VALU_DEP_2)
	v_fma_f64 v[38:39], v[4:5], v[8:9], -v[38:39]
	v_fma_f64 v[8:9], v[6:7], v[8:9], v[10:11]
	s_delay_alu instid0(VALU_DEP_2) | instskip(NEXT) | instid1(VALU_DEP_2)
	v_add_f64 v[30:31], v[30:31], v[38:39]
	v_add_f64 v[32:33], v[32:33], v[8:9]
	v_mul_f64 v[8:9], v[6:7], v[14:15]
	s_delay_alu instid0(VALU_DEP_1) | instskip(SKIP_1) | instid1(VALU_DEP_2)
	v_fma_f64 v[8:9], v[4:5], v[12:13], -v[8:9]
	v_mul_f64 v[4:5], v[4:5], v[14:15]
	v_add_f64 v[16:17], v[16:17], v[8:9]
	s_delay_alu instid0(VALU_DEP_2) | instskip(NEXT) | instid1(VALU_DEP_1)
	v_fma_f64 v[4:5], v[6:7], v[12:13], v[4:5]
	;; [unrolled: 39-line block ×3, first 2 shown]
	v_add_f64 v[48:49], v[18:19], v[4:5]
	ds_load_b128 v[4:7], v25 offset:112
	ds_load_b128 v[8:11], v24 offset:3584
	;; [unrolled: 1-line block ×4, first 2 shown]
	s_waitcnt lgkmcnt(0)
	s_barrier
	buffer_gl0_inv
	v_mul_f64 v[12:13], v[6:7], v[10:11]
	v_mul_f64 v[14:15], v[4:5], v[10:11]
	s_delay_alu instid0(VALU_DEP_2) | instskip(NEXT) | instid1(VALU_DEP_2)
	v_fma_f64 v[12:13], v[4:5], v[8:9], -v[12:13]
	v_fma_f64 v[14:15], v[6:7], v[8:9], v[14:15]
	s_delay_alu instid0(VALU_DEP_2) | instskip(SKIP_1) | instid1(VALU_DEP_3)
	v_add_f64 v[16:17], v[34:35], v[12:13]
	v_mul_f64 v[12:13], v[6:7], v[28:29]
	v_add_f64 v[18:19], v[36:37], v[14:15]
	s_delay_alu instid0(VALU_DEP_2) | instskip(SKIP_1) | instid1(VALU_DEP_1)
	v_fma_f64 v[12:13], v[4:5], v[26:27], -v[12:13]
	v_mul_f64 v[4:5], v[4:5], v[28:29]
	v_fma_f64 v[6:7], v[6:7], v[26:27], v[4:5]
	s_delay_alu instid0(VALU_DEP_3) | instskip(SKIP_2) | instid1(VALU_DEP_4)
	v_add_f64 v[4:5], v[38:39], v[12:13]
	v_mul_f64 v[12:13], v[32:33], v[10:11]
	v_mul_f64 v[10:11], v[30:31], v[10:11]
	v_add_f64 v[6:7], v[40:41], v[6:7]
	s_delay_alu instid0(VALU_DEP_3) | instskip(NEXT) | instid1(VALU_DEP_3)
	v_fma_f64 v[12:13], v[30:31], v[8:9], -v[12:13]
	v_fma_f64 v[8:9], v[32:33], v[8:9], v[10:11]
	v_mul_f64 v[10:11], v[30:31], v[28:29]
	s_delay_alu instid0(VALU_DEP_3) | instskip(NEXT) | instid1(VALU_DEP_3)
	v_add_f64 v[12:13], v[42:43], v[12:13]
	v_add_f64 v[14:15], v[44:45], v[8:9]
	v_mul_f64 v[8:9], v[32:33], v[28:29]
	s_delay_alu instid0(VALU_DEP_1) | instskip(SKIP_1) | instid1(VALU_DEP_2)
	v_fma_f64 v[8:9], v[30:31], v[26:27], -v[8:9]
	v_fma_f64 v[26:27], v[32:33], v[26:27], v[10:11]
	v_add_f64 v[10:11], v[46:47], v[8:9]
	s_delay_alu instid0(VALU_DEP_2)
	v_add_f64 v[8:9], v[48:49], v[26:27]
	s_cbranch_scc0 .LBB398_2
.LBB398_3:
	s_clause 0x1
	s_load_b32 s3, s[0:1], 0x40
	s_load_b64 s[0:1], s[0:1], 0x48
	v_add_nc_u32_e32 v21, s13, v21
	v_add_nc_u32_e32 v0, s12, v20
	s_delay_alu instid0(VALU_DEP_2)
	v_cmp_gt_i32_e32 vcc_lo, s2, v21
	s_waitcnt lgkmcnt(0)
	v_mad_i64_i32 v[1:2], null, v21, s3, 0
	s_mul_i32 s1, s15, s1
	s_mul_hi_u32 s4, s15, s0
	s_mul_i32 s0, s15, s0
	s_add_i32 s1, s4, s1
	s_delay_alu instid0(SALU_CYCLE_1) | instskip(NEXT) | instid1(VALU_DEP_1)
	s_lshl_b64 s[4:5], s[0:1], 4
	v_lshlrev_b64 v[1:2], 4, v[1:2]
	s_add_u32 s4, s6, s4
	v_cmp_le_i32_e64 s0, v0, v21
	s_addc_u32 s5, s7, s5
	s_delay_alu instid0(VALU_DEP_2) | instskip(NEXT) | instid1(VALU_DEP_1)
	v_add_co_u32 v20, s1, s4, v1
	v_add_co_ci_u32_e64 v22, s1, s5, v2, s1
	s_delay_alu instid0(VALU_DEP_3) | instskip(NEXT) | instid1(SALU_CYCLE_1)
	s_and_b32 s0, vcc_lo, s0
	s_and_saveexec_b32 s1, s0
	s_cbranch_execz .LBB398_5
; %bb.4:
	v_ashrrev_i32_e32 v1, 31, v0
	s_delay_alu instid0(VALU_DEP_1) | instskip(NEXT) | instid1(VALU_DEP_1)
	v_lshlrev_b64 v[1:2], 4, v[0:1]
	v_add_co_u32 v1, s0, v20, v1
	s_delay_alu instid0(VALU_DEP_1)
	v_add_co_ci_u32_e64 v2, s0, v22, v2, s0
	v_cmp_ne_u32_e64 s0, v21, v0
	global_load_b128 v[23:26], v[1:2], off
	s_waitcnt vmcnt(0)
	v_add_f64 v[18:19], v[18:19], -v[25:26]
	v_add_f64 v[16:17], v[16:17], -v[23:24]
	s_delay_alu instid0(VALU_DEP_2) | instskip(NEXT) | instid1(VALU_DEP_3)
	v_cndmask_b32_e64 v19, 0, v19, s0
	v_cndmask_b32_e64 v18, 0, v18, s0
	global_store_b128 v[1:2], v[16:19], off
.LBB398_5:
	s_or_b32 exec_lo, exec_lo, s1
	v_add_nc_u32_e32 v2, 16, v0
	s_delay_alu instid0(VALU_DEP_1) | instskip(NEXT) | instid1(VALU_DEP_1)
	v_cmp_le_i32_e64 s0, v2, v21
	s_and_b32 s1, vcc_lo, s0
	s_delay_alu instid0(SALU_CYCLE_1)
	s_and_saveexec_b32 s0, s1
	s_cbranch_execz .LBB398_7
; %bb.6:
	v_ashrrev_i32_e32 v3, 31, v2
	s_delay_alu instid0(VALU_DEP_1) | instskip(NEXT) | instid1(VALU_DEP_1)
	v_lshlrev_b64 v[16:17], 4, v[2:3]
	v_add_co_u32 v23, vcc_lo, v20, v16
	s_delay_alu instid0(VALU_DEP_2)
	v_add_co_ci_u32_e32 v24, vcc_lo, v22, v17, vcc_lo
	v_cmp_ne_u32_e32 vcc_lo, v21, v2
	global_load_b128 v[16:19], v[23:24], off
	s_waitcnt vmcnt(0)
	v_add_f64 v[18:19], v[6:7], -v[18:19]
	v_add_f64 v[3:4], v[4:5], -v[16:17]
	s_delay_alu instid0(VALU_DEP_2)
	v_dual_cndmask_b32 v6, 0, v19 :: v_dual_cndmask_b32 v5, 0, v18
	global_store_b128 v[23:24], v[3:6], off
.LBB398_7:
	s_or_b32 exec_lo, exec_lo, s0
	v_add_nc_u32_e32 v3, 16, v21
	s_delay_alu instid0(VALU_DEP_1) | instskip(SKIP_2) | instid1(VALU_DEP_1)
	v_mad_i64_i32 v[4:5], null, v3, s3, 0
	v_cmp_gt_i32_e32 vcc_lo, s2, v3
	v_cmp_le_i32_e64 s0, v0, v3
	s_and_b32 s0, vcc_lo, s0
	s_delay_alu instid0(VALU_DEP_3) | instskip(NEXT) | instid1(VALU_DEP_1)
	v_lshlrev_b64 v[4:5], 4, v[4:5]
	v_add_co_u32 v4, s1, s4, v4
	s_delay_alu instid0(VALU_DEP_1)
	v_add_co_ci_u32_e64 v5, s1, s5, v5, s1
	s_and_saveexec_b32 s1, s0
	s_cbranch_execz .LBB398_9
; %bb.8:
	v_ashrrev_i32_e32 v1, 31, v0
	s_delay_alu instid0(VALU_DEP_1) | instskip(NEXT) | instid1(VALU_DEP_1)
	v_lshlrev_b64 v[6:7], 4, v[0:1]
	v_add_co_u32 v6, s0, v4, v6
	s_delay_alu instid0(VALU_DEP_1)
	v_add_co_ci_u32_e64 v7, s0, v5, v7, s0
	v_cmp_ne_u32_e64 s0, v3, v0
	global_load_b128 v[16:19], v[6:7], off
	s_waitcnt vmcnt(0)
	v_add_f64 v[14:15], v[14:15], -v[18:19]
	v_add_f64 v[12:13], v[12:13], -v[16:17]
	s_delay_alu instid0(VALU_DEP_2) | instskip(NEXT) | instid1(VALU_DEP_3)
	v_cndmask_b32_e64 v15, 0, v15, s0
	v_cndmask_b32_e64 v14, 0, v14, s0
	global_store_b128 v[6:7], v[12:15], off
.LBB398_9:
	s_or_b32 exec_lo, exec_lo, s1
	v_cmp_le_i32_e64 s0, v2, v3
	s_delay_alu instid0(VALU_DEP_1) | instskip(NEXT) | instid1(SALU_CYCLE_1)
	s_and_b32 s0, vcc_lo, s0
	s_and_saveexec_b32 s1, s0
	s_cbranch_execz .LBB398_11
; %bb.10:
	v_ashrrev_i32_e32 v3, 31, v2
	s_delay_alu instid0(VALU_DEP_1) | instskip(NEXT) | instid1(VALU_DEP_1)
	v_lshlrev_b64 v[1:2], 4, v[2:3]
	v_add_co_u32 v6, vcc_lo, v4, v1
	s_delay_alu instid0(VALU_DEP_2)
	v_add_co_ci_u32_e32 v7, vcc_lo, v5, v2, vcc_lo
	v_cmp_ne_u32_e32 vcc_lo, v21, v0
	global_load_b128 v[1:4], v[6:7], off
	s_waitcnt vmcnt(0)
	v_add_f64 v[3:4], v[8:9], -v[3:4]
	v_add_f64 v[1:2], v[10:11], -v[1:2]
	s_delay_alu instid0(VALU_DEP_2)
	v_dual_cndmask_b32 v4, 0, v4 :: v_dual_cndmask_b32 v3, 0, v3
	global_store_b128 v[6:7], v[1:4], off
.LBB398_11:
	s_nop 0
	s_sendmsg sendmsg(MSG_DEALLOC_VGPRS)
	s_endpgm
	.section	.rodata,"a",@progbits
	.p2align	6, 0x0
	.amdhsa_kernel _ZL37rocblas_syrkx_herkx_restricted_kernelIi19rocblas_complex_numIdELi16ELi32ELi8ELi1ELin1ELb1ELc78ELc85EKS1_S1_EviT_PT9_S3_lS5_S3_lPT10_S3_li
		.amdhsa_group_segment_fixed_size 8192
		.amdhsa_private_segment_fixed_size 0
		.amdhsa_kernarg_size 84
		.amdhsa_user_sgpr_count 13
		.amdhsa_user_sgpr_dispatch_ptr 0
		.amdhsa_user_sgpr_queue_ptr 0
		.amdhsa_user_sgpr_kernarg_segment_ptr 1
		.amdhsa_user_sgpr_dispatch_id 0
		.amdhsa_user_sgpr_private_segment_size 0
		.amdhsa_wavefront_size32 1
		.amdhsa_uses_dynamic_stack 0
		.amdhsa_enable_private_segment 0
		.amdhsa_system_sgpr_workgroup_id_x 1
		.amdhsa_system_sgpr_workgroup_id_y 1
		.amdhsa_system_sgpr_workgroup_id_z 1
		.amdhsa_system_sgpr_workgroup_info 0
		.amdhsa_system_vgpr_workitem_id 1
		.amdhsa_next_free_vgpr 52
		.amdhsa_next_free_sgpr 23
		.amdhsa_reserve_vcc 1
		.amdhsa_float_round_mode_32 0
		.amdhsa_float_round_mode_16_64 0
		.amdhsa_float_denorm_mode_32 3
		.amdhsa_float_denorm_mode_16_64 3
		.amdhsa_dx10_clamp 1
		.amdhsa_ieee_mode 1
		.amdhsa_fp16_overflow 0
		.amdhsa_workgroup_processor_mode 1
		.amdhsa_memory_ordered 1
		.amdhsa_forward_progress 0
		.amdhsa_shared_vgpr_count 0
		.amdhsa_exception_fp_ieee_invalid_op 0
		.amdhsa_exception_fp_denorm_src 0
		.amdhsa_exception_fp_ieee_div_zero 0
		.amdhsa_exception_fp_ieee_overflow 0
		.amdhsa_exception_fp_ieee_underflow 0
		.amdhsa_exception_fp_ieee_inexact 0
		.amdhsa_exception_int_div_zero 0
	.end_amdhsa_kernel
	.section	.text._ZL37rocblas_syrkx_herkx_restricted_kernelIi19rocblas_complex_numIdELi16ELi32ELi8ELi1ELin1ELb1ELc78ELc85EKS1_S1_EviT_PT9_S3_lS5_S3_lPT10_S3_li,"axG",@progbits,_ZL37rocblas_syrkx_herkx_restricted_kernelIi19rocblas_complex_numIdELi16ELi32ELi8ELi1ELin1ELb1ELc78ELc85EKS1_S1_EviT_PT9_S3_lS5_S3_lPT10_S3_li,comdat
.Lfunc_end398:
	.size	_ZL37rocblas_syrkx_herkx_restricted_kernelIi19rocblas_complex_numIdELi16ELi32ELi8ELi1ELin1ELb1ELc78ELc85EKS1_S1_EviT_PT9_S3_lS5_S3_lPT10_S3_li, .Lfunc_end398-_ZL37rocblas_syrkx_herkx_restricted_kernelIi19rocblas_complex_numIdELi16ELi32ELi8ELi1ELin1ELb1ELc78ELc85EKS1_S1_EviT_PT9_S3_lS5_S3_lPT10_S3_li
                                        ; -- End function
	.section	.AMDGPU.csdata,"",@progbits
; Kernel info:
; codeLenInByte = 3396
; NumSgprs: 25
; NumVgprs: 52
; ScratchSize: 0
; MemoryBound: 0
; FloatMode: 240
; IeeeMode: 1
; LDSByteSize: 8192 bytes/workgroup (compile time only)
; SGPRBlocks: 3
; VGPRBlocks: 6
; NumSGPRsForWavesPerEU: 25
; NumVGPRsForWavesPerEU: 52
; Occupancy: 16
; WaveLimiterHint : 0
; COMPUTE_PGM_RSRC2:SCRATCH_EN: 0
; COMPUTE_PGM_RSRC2:USER_SGPR: 13
; COMPUTE_PGM_RSRC2:TRAP_HANDLER: 0
; COMPUTE_PGM_RSRC2:TGID_X_EN: 1
; COMPUTE_PGM_RSRC2:TGID_Y_EN: 1
; COMPUTE_PGM_RSRC2:TGID_Z_EN: 1
; COMPUTE_PGM_RSRC2:TIDIG_COMP_CNT: 1
	.section	.text._ZL37rocblas_syrkx_herkx_restricted_kernelIi19rocblas_complex_numIdELi16ELi32ELi8ELi1ELi0ELb1ELc84ELc76EKS1_S1_EviT_PT9_S3_lS5_S3_lPT10_S3_li,"axG",@progbits,_ZL37rocblas_syrkx_herkx_restricted_kernelIi19rocblas_complex_numIdELi16ELi32ELi8ELi1ELi0ELb1ELc84ELc76EKS1_S1_EviT_PT9_S3_lS5_S3_lPT10_S3_li,comdat
	.globl	_ZL37rocblas_syrkx_herkx_restricted_kernelIi19rocblas_complex_numIdELi16ELi32ELi8ELi1ELi0ELb1ELc84ELc76EKS1_S1_EviT_PT9_S3_lS5_S3_lPT10_S3_li ; -- Begin function _ZL37rocblas_syrkx_herkx_restricted_kernelIi19rocblas_complex_numIdELi16ELi32ELi8ELi1ELi0ELb1ELc84ELc76EKS1_S1_EviT_PT9_S3_lS5_S3_lPT10_S3_li
	.p2align	8
	.type	_ZL37rocblas_syrkx_herkx_restricted_kernelIi19rocblas_complex_numIdELi16ELi32ELi8ELi1ELi0ELb1ELc84ELc76EKS1_S1_EviT_PT9_S3_lS5_S3_lPT10_S3_li,@function
_ZL37rocblas_syrkx_herkx_restricted_kernelIi19rocblas_complex_numIdELi16ELi32ELi8ELi1ELi0ELb1ELc84ELc76EKS1_S1_EviT_PT9_S3_lS5_S3_lPT10_S3_li: ; @_ZL37rocblas_syrkx_herkx_restricted_kernelIi19rocblas_complex_numIdELi16ELi32ELi8ELi1ELi0ELb1ELc84ELc76EKS1_S1_EviT_PT9_S3_lS5_S3_lPT10_S3_li
; %bb.0:
	s_clause 0x1
	s_load_b64 s[2:3], s[0:1], 0x0
	s_load_b128 s[4:7], s[0:1], 0x30
	v_mov_b32_e32 v2, 0
	v_dual_mov_b32 v3, 0 :: v_dual_and_b32 v20, 0x3ff, v0
	v_bfe_u32 v21, v0, 10, 10
	s_delay_alu instid0(VALU_DEP_3) | instskip(SKIP_1) | instid1(VALU_DEP_3)
	v_mov_b32_e32 v0, v2
	s_lshl_b32 s12, s13, 5
	v_mov_b32_e32 v1, v3
	v_dual_mov_b32 v19, v3 :: v_dual_mov_b32 v18, v2
	v_dual_mov_b32 v13, v3 :: v_dual_mov_b32 v12, v2
	;; [unrolled: 1-line block ×6, first 2 shown]
	s_lshl_b32 s13, s14, 5
	s_waitcnt lgkmcnt(0)
	s_cmp_lt_i32 s3, 1
	s_mov_b32 s14, 0
	s_cbranch_scc1 .LBB399_3
; %bb.1:
	s_clause 0x1
	s_load_b32 s18, s[0:1], 0x10
	s_load_b128 s[8:11], s[0:1], 0x18
	v_lshl_add_u32 v2, v21, 4, v20
	s_clause 0x1
	s_load_b64 s[16:17], s[0:1], 0x8
	s_load_b32 s19, s[0:1], 0x28
	v_dual_mov_b32 v1, 0 :: v_dual_and_b32 v0, 7, v20
	v_dual_mov_b32 v14, 0 :: v_dual_and_b32 v5, 31, v2
	v_lshrrev_b32_e32 v4, 3, v2
	v_dual_mov_b32 v15, 0 :: v_dual_lshlrev_b32 v22, 4, v20
	s_delay_alu instid0(VALU_DEP_3) | instskip(NEXT) | instid1(VALU_DEP_4)
	v_dual_mov_b32 v10, v14 :: v_dual_lshlrev_b32 v3, 4, v0
	v_lshlrev_b32_e32 v6, 4, v5
	v_lshrrev_b32_e32 v2, 5, v2
	s_delay_alu instid0(VALU_DEP_4) | instskip(NEXT) | instid1(VALU_DEP_4)
	v_dual_mov_b32 v11, v15 :: v_dual_add_nc_u32 v8, s12, v5
	v_lshl_or_b32 v7, v4, 7, v3
	v_mov_b32_e32 v3, v1
	v_add_nc_u32_e32 v9, s13, v4
	v_dual_mov_b32 v17, v15 :: v_dual_mov_b32 v16, v14
	s_delay_alu instid0(VALU_DEP_4)
	v_add_nc_u32_e32 v24, 0x1000, v7
	s_waitcnt lgkmcnt(0)
	v_mad_i64_i32 v[4:5], null, s18, v8, v[2:3]
	v_lshl_or_b32 v23, v2, 9, v6
	s_mul_i32 s9, s9, s15
	s_mul_hi_u32 s18, s8, s15
	v_mad_i64_i32 v[2:3], null, s19, v9, v[0:1]
	s_mul_i32 s8, s8, s15
	s_add_i32 s9, s18, s9
	s_delay_alu instid0(VALU_DEP_3)
	v_lshlrev_b64 v[0:1], 4, v[4:5]
	s_lshl_b64 s[8:9], s[8:9], 4
	s_mul_i32 s5, s5, s15
	s_add_u32 s8, s16, s8
	s_mul_hi_u32 s16, s4, s15
	s_addc_u32 s9, s17, s9
	s_add_i32 s5, s16, s5
	s_mul_i32 s4, s4, s15
	v_lshlrev_b64 v[2:3], 4, v[2:3]
	s_lshl_b64 s[4:5], s[4:5], 4
	v_add_co_u32 v0, vcc_lo, s8, v0
	s_add_u32 s4, s10, s4
	v_add_co_ci_u32_e32 v1, vcc_lo, s9, v1, vcc_lo
	s_addc_u32 s5, s11, s5
	v_add_co_u32 v2, vcc_lo, s4, v2
	v_add_co_ci_u32_e32 v3, vcc_lo, s5, v3, vcc_lo
	v_add_co_u32 v4, vcc_lo, v0, 8
	v_add_co_ci_u32_e32 v5, vcc_lo, 0, v1, vcc_lo
	s_delay_alu instid0(VALU_DEP_4)
	v_add_co_u32 v8, vcc_lo, v2, 8
	v_lshl_add_u32 v25, v21, 7, 0x1000
	v_add_co_ci_u32_e32 v9, vcc_lo, 0, v3, vcc_lo
	v_dual_mov_b32 v6, v14 :: v_dual_mov_b32 v7, v15
	v_dual_mov_b32 v12, v14 :: v_dual_mov_b32 v13, v15
	;; [unrolled: 1-line block ×5, first 2 shown]
.LBB399_2:                              ; =>This Inner Loop Header: Depth=1
	global_load_b128 v[26:29], v[4:5], off offset:-8
	v_add_co_u32 v4, vcc_lo, 0x80, v4
	v_add_co_ci_u32_e32 v5, vcc_lo, 0, v5, vcc_lo
	s_add_i32 s14, s14, 8
	s_delay_alu instid0(SALU_CYCLE_1)
	s_cmp_ge_i32 s14, s3
	s_waitcnt vmcnt(0)
	ds_store_b128 v23, v[26:29]
	global_load_b128 v[26:29], v[8:9], off offset:-8
	v_add_co_u32 v8, vcc_lo, 0x80, v8
	v_add_co_ci_u32_e32 v9, vcc_lo, 0, v9, vcc_lo
	s_waitcnt vmcnt(0)
	ds_store_b128 v24, v[26:29]
	s_waitcnt lgkmcnt(0)
	s_barrier
	buffer_gl0_inv
	ds_load_b128 v[26:29], v25
	ds_load_b128 v[30:33], v25 offset:16
	ds_load_b128 v[34:37], v25 offset:32
	;; [unrolled: 1-line block ×3, first 2 shown]
	ds_load_b128 v[42:45], v22
	s_waitcnt lgkmcnt(0)
	v_mul_f64 v[46:47], v[28:29], v[44:45]
	v_mul_f64 v[48:49], v[26:27], v[44:45]
	s_delay_alu instid0(VALU_DEP_2) | instskip(NEXT) | instid1(VALU_DEP_2)
	v_fma_f64 v[46:47], v[26:27], v[42:43], -v[46:47]
	v_fma_f64 v[48:49], v[28:29], v[42:43], v[48:49]
	s_delay_alu instid0(VALU_DEP_2) | instskip(NEXT) | instid1(VALU_DEP_2)
	v_add_f64 v[50:51], v[2:3], v[46:47]
	v_add_f64 v[18:19], v[18:19], v[48:49]
	ds_load_b128 v[46:49], v22 offset:256
	s_waitcnt lgkmcnt(0)
	v_mul_f64 v[2:3], v[28:29], v[48:49]
	s_delay_alu instid0(VALU_DEP_1) | instskip(SKIP_1) | instid1(VALU_DEP_1)
	v_fma_f64 v[2:3], v[26:27], v[46:47], -v[2:3]
	v_mul_f64 v[26:27], v[26:27], v[48:49]
	v_fma_f64 v[26:27], v[28:29], v[46:47], v[26:27]
	s_delay_alu instid0(VALU_DEP_3)
	v_add_f64 v[28:29], v[0:1], v[2:3]
	ds_load_b128 v[0:3], v25 offset:2048
	v_add_f64 v[26:27], v[12:13], v[26:27]
	s_waitcnt lgkmcnt(0)
	v_mul_f64 v[12:13], v[2:3], v[44:45]
	v_mul_f64 v[44:45], v[0:1], v[44:45]
	s_delay_alu instid0(VALU_DEP_2) | instskip(NEXT) | instid1(VALU_DEP_2)
	v_fma_f64 v[12:13], v[0:1], v[42:43], -v[12:13]
	v_fma_f64 v[42:43], v[2:3], v[42:43], v[44:45]
	s_delay_alu instid0(VALU_DEP_2) | instskip(SKIP_1) | instid1(VALU_DEP_3)
	v_add_f64 v[6:7], v[6:7], v[12:13]
	v_mul_f64 v[12:13], v[2:3], v[48:49]
	v_add_f64 v[42:43], v[16:17], v[42:43]
	s_delay_alu instid0(VALU_DEP_2) | instskip(SKIP_1) | instid1(VALU_DEP_2)
	v_fma_f64 v[12:13], v[0:1], v[46:47], -v[12:13]
	v_mul_f64 v[0:1], v[0:1], v[48:49]
	v_add_f64 v[44:45], v[10:11], v[12:13]
	s_delay_alu instid0(VALU_DEP_2) | instskip(NEXT) | instid1(VALU_DEP_1)
	v_fma_f64 v[0:1], v[2:3], v[46:47], v[0:1]
	v_add_f64 v[46:47], v[14:15], v[0:1]
	ds_load_b128 v[0:3], v22 offset:512
	s_waitcnt lgkmcnt(0)
	v_mul_f64 v[10:11], v[32:33], v[2:3]
	v_mul_f64 v[12:13], v[30:31], v[2:3]
	s_delay_alu instid0(VALU_DEP_2) | instskip(NEXT) | instid1(VALU_DEP_2)
	v_fma_f64 v[10:11], v[30:31], v[0:1], -v[10:11]
	v_fma_f64 v[12:13], v[32:33], v[0:1], v[12:13]
	s_delay_alu instid0(VALU_DEP_2) | instskip(NEXT) | instid1(VALU_DEP_2)
	v_add_f64 v[48:49], v[50:51], v[10:11]
	v_add_f64 v[18:19], v[18:19], v[12:13]
	ds_load_b128 v[10:13], v22 offset:768
	s_waitcnt lgkmcnt(0)
	v_mul_f64 v[14:15], v[32:33], v[12:13]
	v_mul_f64 v[16:17], v[30:31], v[12:13]
	s_delay_alu instid0(VALU_DEP_2) | instskip(NEXT) | instid1(VALU_DEP_2)
	v_fma_f64 v[14:15], v[30:31], v[10:11], -v[14:15]
	v_fma_f64 v[16:17], v[32:33], v[10:11], v[16:17]
	s_delay_alu instid0(VALU_DEP_2) | instskip(NEXT) | instid1(VALU_DEP_2)
	v_add_f64 v[28:29], v[28:29], v[14:15]
	v_add_f64 v[26:27], v[26:27], v[16:17]
	ds_load_b128 v[14:17], v25 offset:2064
	s_waitcnt lgkmcnt(0)
	v_mul_f64 v[30:31], v[16:17], v[2:3]
	v_mul_f64 v[2:3], v[14:15], v[2:3]
	s_delay_alu instid0(VALU_DEP_2) | instskip(NEXT) | instid1(VALU_DEP_2)
	v_fma_f64 v[30:31], v[14:15], v[0:1], -v[30:31]
	v_fma_f64 v[0:1], v[16:17], v[0:1], v[2:3]
	v_mul_f64 v[2:3], v[14:15], v[12:13]
	s_delay_alu instid0(VALU_DEP_3) | instskip(NEXT) | instid1(VALU_DEP_3)
	v_add_f64 v[6:7], v[6:7], v[30:31]
	v_add_f64 v[30:31], v[42:43], v[0:1]
	v_mul_f64 v[0:1], v[16:17], v[12:13]
	s_delay_alu instid0(VALU_DEP_4) | instskip(NEXT) | instid1(VALU_DEP_2)
	v_fma_f64 v[2:3], v[16:17], v[10:11], v[2:3]
	v_fma_f64 v[0:1], v[14:15], v[10:11], -v[0:1]
	s_delay_alu instid0(VALU_DEP_2) | instskip(NEXT) | instid1(VALU_DEP_2)
	v_add_f64 v[42:43], v[46:47], v[2:3]
	v_add_f64 v[32:33], v[44:45], v[0:1]
	ds_load_b128 v[0:3], v22 offset:1024
	s_waitcnt lgkmcnt(0)
	v_mul_f64 v[10:11], v[36:37], v[2:3]
	v_mul_f64 v[12:13], v[34:35], v[2:3]
	s_delay_alu instid0(VALU_DEP_2) | instskip(NEXT) | instid1(VALU_DEP_2)
	v_fma_f64 v[10:11], v[34:35], v[0:1], -v[10:11]
	v_fma_f64 v[12:13], v[36:37], v[0:1], v[12:13]
	s_delay_alu instid0(VALU_DEP_2) | instskip(NEXT) | instid1(VALU_DEP_2)
	v_add_f64 v[44:45], v[48:49], v[10:11]
	v_add_f64 v[18:19], v[18:19], v[12:13]
	ds_load_b128 v[10:13], v22 offset:1280
	s_waitcnt lgkmcnt(0)
	v_mul_f64 v[14:15], v[36:37], v[12:13]
	v_mul_f64 v[16:17], v[34:35], v[12:13]
	s_delay_alu instid0(VALU_DEP_2) | instskip(NEXT) | instid1(VALU_DEP_2)
	v_fma_f64 v[14:15], v[34:35], v[10:11], -v[14:15]
	v_fma_f64 v[16:17], v[36:37], v[10:11], v[16:17]
	s_delay_alu instid0(VALU_DEP_2) | instskip(NEXT) | instid1(VALU_DEP_2)
	v_add_f64 v[28:29], v[28:29], v[14:15]
	v_add_f64 v[26:27], v[26:27], v[16:17]
	ds_load_b128 v[14:17], v25 offset:2080
	s_waitcnt lgkmcnt(0)
	v_mul_f64 v[34:35], v[16:17], v[2:3]
	v_mul_f64 v[2:3], v[14:15], v[2:3]
	s_delay_alu instid0(VALU_DEP_2) | instskip(NEXT) | instid1(VALU_DEP_2)
	v_fma_f64 v[34:35], v[14:15], v[0:1], -v[34:35]
	v_fma_f64 v[0:1], v[16:17], v[0:1], v[2:3]
	v_mul_f64 v[2:3], v[14:15], v[12:13]
	s_delay_alu instid0(VALU_DEP_3) | instskip(NEXT) | instid1(VALU_DEP_3)
	v_add_f64 v[6:7], v[6:7], v[34:35]
	v_add_f64 v[30:31], v[30:31], v[0:1]
	v_mul_f64 v[0:1], v[16:17], v[12:13]
	s_delay_alu instid0(VALU_DEP_4) | instskip(NEXT) | instid1(VALU_DEP_2)
	v_fma_f64 v[2:3], v[16:17], v[10:11], v[2:3]
	v_fma_f64 v[0:1], v[14:15], v[10:11], -v[0:1]
	s_delay_alu instid0(VALU_DEP_2) | instskip(NEXT) | instid1(VALU_DEP_2)
	v_add_f64 v[34:35], v[42:43], v[2:3]
	;; [unrolled: 38-line block ×3, first 2 shown]
	v_add_f64 v[32:33], v[32:33], v[0:1]
	ds_load_b128 v[0:3], v25 offset:64
	ds_load_b128 v[10:13], v22 offset:2048
	s_waitcnt lgkmcnt(0)
	v_mul_f64 v[14:15], v[2:3], v[12:13]
	v_mul_f64 v[16:17], v[0:1], v[12:13]
	s_delay_alu instid0(VALU_DEP_2) | instskip(NEXT) | instid1(VALU_DEP_2)
	v_fma_f64 v[14:15], v[0:1], v[10:11], -v[14:15]
	v_fma_f64 v[16:17], v[2:3], v[10:11], v[16:17]
	s_delay_alu instid0(VALU_DEP_2) | instskip(NEXT) | instid1(VALU_DEP_2)
	v_add_f64 v[36:37], v[36:37], v[14:15]
	v_add_f64 v[18:19], v[18:19], v[16:17]
	ds_load_b128 v[14:17], v22 offset:2304
	s_waitcnt lgkmcnt(0)
	v_mul_f64 v[38:39], v[2:3], v[16:17]
	s_delay_alu instid0(VALU_DEP_1) | instskip(SKIP_1) | instid1(VALU_DEP_2)
	v_fma_f64 v[38:39], v[0:1], v[14:15], -v[38:39]
	v_mul_f64 v[0:1], v[0:1], v[16:17]
	v_add_f64 v[28:29], v[28:29], v[38:39]
	s_delay_alu instid0(VALU_DEP_2) | instskip(NEXT) | instid1(VALU_DEP_1)
	v_fma_f64 v[0:1], v[2:3], v[14:15], v[0:1]
	v_add_f64 v[26:27], v[26:27], v[0:1]
	ds_load_b128 v[0:3], v25 offset:2112
	s_waitcnt lgkmcnt(0)
	v_mul_f64 v[38:39], v[2:3], v[12:13]
	v_mul_f64 v[12:13], v[0:1], v[12:13]
	s_delay_alu instid0(VALU_DEP_2) | instskip(NEXT) | instid1(VALU_DEP_2)
	v_fma_f64 v[38:39], v[0:1], v[10:11], -v[38:39]
	v_fma_f64 v[10:11], v[2:3], v[10:11], v[12:13]
	s_delay_alu instid0(VALU_DEP_2) | instskip(NEXT) | instid1(VALU_DEP_2)
	v_add_f64 v[6:7], v[6:7], v[38:39]
	v_add_f64 v[30:31], v[30:31], v[10:11]
	v_mul_f64 v[10:11], v[2:3], v[16:17]
	s_delay_alu instid0(VALU_DEP_1) | instskip(SKIP_1) | instid1(VALU_DEP_2)
	v_fma_f64 v[10:11], v[0:1], v[14:15], -v[10:11]
	v_mul_f64 v[0:1], v[0:1], v[16:17]
	v_add_f64 v[32:33], v[32:33], v[10:11]
	s_delay_alu instid0(VALU_DEP_2) | instskip(NEXT) | instid1(VALU_DEP_1)
	v_fma_f64 v[0:1], v[2:3], v[14:15], v[0:1]
	v_add_f64 v[34:35], v[34:35], v[0:1]
	ds_load_b128 v[0:3], v25 offset:80
	ds_load_b128 v[10:13], v22 offset:2560
	s_waitcnt lgkmcnt(0)
	v_mul_f64 v[14:15], v[2:3], v[12:13]
	v_mul_f64 v[16:17], v[0:1], v[12:13]
	s_delay_alu instid0(VALU_DEP_2) | instskip(NEXT) | instid1(VALU_DEP_2)
	v_fma_f64 v[14:15], v[0:1], v[10:11], -v[14:15]
	v_fma_f64 v[16:17], v[2:3], v[10:11], v[16:17]
	s_delay_alu instid0(VALU_DEP_2) | instskip(NEXT) | instid1(VALU_DEP_2)
	v_add_f64 v[36:37], v[36:37], v[14:15]
	v_add_f64 v[18:19], v[18:19], v[16:17]
	ds_load_b128 v[14:17], v22 offset:2816
	s_waitcnt lgkmcnt(0)
	v_mul_f64 v[38:39], v[2:3], v[16:17]
	s_delay_alu instid0(VALU_DEP_1) | instskip(SKIP_1) | instid1(VALU_DEP_2)
	v_fma_f64 v[38:39], v[0:1], v[14:15], -v[38:39]
	v_mul_f64 v[0:1], v[0:1], v[16:17]
	v_add_f64 v[28:29], v[28:29], v[38:39]
	s_delay_alu instid0(VALU_DEP_2) | instskip(NEXT) | instid1(VALU_DEP_1)
	v_fma_f64 v[0:1], v[2:3], v[14:15], v[0:1]
	v_add_f64 v[26:27], v[26:27], v[0:1]
	ds_load_b128 v[0:3], v25 offset:2128
	s_waitcnt lgkmcnt(0)
	v_mul_f64 v[38:39], v[2:3], v[12:13]
	v_mul_f64 v[12:13], v[0:1], v[12:13]
	s_delay_alu instid0(VALU_DEP_2) | instskip(NEXT) | instid1(VALU_DEP_2)
	v_fma_f64 v[38:39], v[0:1], v[10:11], -v[38:39]
	v_fma_f64 v[10:11], v[2:3], v[10:11], v[12:13]
	s_delay_alu instid0(VALU_DEP_2) | instskip(NEXT) | instid1(VALU_DEP_2)
	v_add_f64 v[6:7], v[6:7], v[38:39]
	v_add_f64 v[30:31], v[30:31], v[10:11]
	v_mul_f64 v[10:11], v[2:3], v[16:17]
	s_delay_alu instid0(VALU_DEP_1) | instskip(SKIP_1) | instid1(VALU_DEP_2)
	v_fma_f64 v[10:11], v[0:1], v[14:15], -v[10:11]
	v_mul_f64 v[0:1], v[0:1], v[16:17]
	v_add_f64 v[32:33], v[32:33], v[10:11]
	s_delay_alu instid0(VALU_DEP_2) | instskip(NEXT) | instid1(VALU_DEP_1)
	v_fma_f64 v[0:1], v[2:3], v[14:15], v[0:1]
	v_add_f64 v[34:35], v[34:35], v[0:1]
	ds_load_b128 v[0:3], v25 offset:96
	ds_load_b128 v[10:13], v22 offset:3072
	s_waitcnt lgkmcnt(0)
	v_mul_f64 v[14:15], v[2:3], v[12:13]
	v_mul_f64 v[16:17], v[0:1], v[12:13]
	s_delay_alu instid0(VALU_DEP_2) | instskip(NEXT) | instid1(VALU_DEP_2)
	v_fma_f64 v[14:15], v[0:1], v[10:11], -v[14:15]
	v_fma_f64 v[16:17], v[2:3], v[10:11], v[16:17]
	s_delay_alu instid0(VALU_DEP_2) | instskip(NEXT) | instid1(VALU_DEP_2)
	v_add_f64 v[36:37], v[36:37], v[14:15]
	v_add_f64 v[18:19], v[18:19], v[16:17]
	ds_load_b128 v[14:17], v22 offset:3328
	s_waitcnt lgkmcnt(0)
	v_mul_f64 v[38:39], v[2:3], v[16:17]
	s_delay_alu instid0(VALU_DEP_1) | instskip(SKIP_1) | instid1(VALU_DEP_2)
	v_fma_f64 v[38:39], v[0:1], v[14:15], -v[38:39]
	v_mul_f64 v[0:1], v[0:1], v[16:17]
	v_add_f64 v[38:39], v[28:29], v[38:39]
	s_delay_alu instid0(VALU_DEP_2) | instskip(NEXT) | instid1(VALU_DEP_1)
	v_fma_f64 v[0:1], v[2:3], v[14:15], v[0:1]
	v_add_f64 v[40:41], v[26:27], v[0:1]
	ds_load_b128 v[0:3], v25 offset:2144
	s_waitcnt lgkmcnt(0)
	v_mul_f64 v[26:27], v[2:3], v[12:13]
	v_mul_f64 v[12:13], v[0:1], v[12:13]
	s_delay_alu instid0(VALU_DEP_2) | instskip(NEXT) | instid1(VALU_DEP_2)
	v_fma_f64 v[26:27], v[0:1], v[10:11], -v[26:27]
	v_fma_f64 v[10:11], v[2:3], v[10:11], v[12:13]
	s_delay_alu instid0(VALU_DEP_2) | instskip(NEXT) | instid1(VALU_DEP_2)
	v_add_f64 v[6:7], v[6:7], v[26:27]
	v_add_f64 v[42:43], v[30:31], v[10:11]
	v_mul_f64 v[10:11], v[2:3], v[16:17]
	s_delay_alu instid0(VALU_DEP_1) | instskip(SKIP_1) | instid1(VALU_DEP_2)
	v_fma_f64 v[10:11], v[0:1], v[14:15], -v[10:11]
	v_mul_f64 v[0:1], v[0:1], v[16:17]
	v_add_f64 v[44:45], v[32:33], v[10:11]
	s_delay_alu instid0(VALU_DEP_2)
	v_fma_f64 v[0:1], v[2:3], v[14:15], v[0:1]
	ds_load_b128 v[10:13], v25 offset:112
	ds_load_b128 v[14:17], v22 offset:3584
	;; [unrolled: 1-line block ×3, first 2 shown]
	s_waitcnt lgkmcnt(1)
	v_mul_f64 v[2:3], v[10:11], v[16:17]
	v_add_f64 v[34:35], v[34:35], v[0:1]
	v_mul_f64 v[0:1], v[12:13], v[16:17]
	s_delay_alu instid0(VALU_DEP_3) | instskip(NEXT) | instid1(VALU_DEP_2)
	v_fma_f64 v[26:27], v[12:13], v[14:15], v[2:3]
	v_fma_f64 v[0:1], v[10:11], v[14:15], -v[0:1]
	s_delay_alu instid0(VALU_DEP_2)
	v_add_f64 v[18:19], v[18:19], v[26:27]
	ds_load_b128 v[26:29], v22 offset:3840
	s_waitcnt lgkmcnt(0)
	s_barrier
	buffer_gl0_inv
	v_add_f64 v[2:3], v[36:37], v[0:1]
	v_mul_f64 v[0:1], v[12:13], v[28:29]
	s_delay_alu instid0(VALU_DEP_1) | instskip(SKIP_1) | instid1(VALU_DEP_2)
	v_fma_f64 v[0:1], v[10:11], v[26:27], -v[0:1]
	v_mul_f64 v[10:11], v[10:11], v[28:29]
	v_add_f64 v[0:1], v[38:39], v[0:1]
	s_delay_alu instid0(VALU_DEP_2) | instskip(NEXT) | instid1(VALU_DEP_1)
	v_fma_f64 v[10:11], v[12:13], v[26:27], v[10:11]
	v_add_f64 v[12:13], v[40:41], v[10:11]
	v_mul_f64 v[10:11], v[32:33], v[16:17]
	v_mul_f64 v[16:17], v[30:31], v[16:17]
	s_delay_alu instid0(VALU_DEP_2) | instskip(NEXT) | instid1(VALU_DEP_2)
	v_fma_f64 v[10:11], v[30:31], v[14:15], -v[10:11]
	v_fma_f64 v[14:15], v[32:33], v[14:15], v[16:17]
	s_delay_alu instid0(VALU_DEP_2) | instskip(NEXT) | instid1(VALU_DEP_2)
	v_add_f64 v[6:7], v[6:7], v[10:11]
	v_add_f64 v[16:17], v[42:43], v[14:15]
	v_mul_f64 v[10:11], v[32:33], v[28:29]
	v_mul_f64 v[14:15], v[30:31], v[28:29]
	s_delay_alu instid0(VALU_DEP_2) | instskip(NEXT) | instid1(VALU_DEP_2)
	v_fma_f64 v[10:11], v[30:31], v[26:27], -v[10:11]
	v_fma_f64 v[14:15], v[32:33], v[26:27], v[14:15]
	s_delay_alu instid0(VALU_DEP_2) | instskip(NEXT) | instid1(VALU_DEP_2)
	v_add_f64 v[10:11], v[44:45], v[10:11]
	v_add_f64 v[14:15], v[34:35], v[14:15]
	s_cbranch_scc0 .LBB399_2
.LBB399_3:
	s_clause 0x1
	s_load_b32 s3, s[0:1], 0x40
	s_load_b64 s[4:5], s[0:1], 0x48
	v_add_nc_u32_e32 v22, s13, v21
	v_add_nc_u32_e32 v20, s12, v20
	s_delay_alu instid0(VALU_DEP_1)
	v_cmp_le_i32_e64 s0, v22, v20
	v_cmp_gt_i32_e32 vcc_lo, s2, v20
	s_waitcnt lgkmcnt(0)
	v_mad_i64_i32 v[4:5], null, v22, s3, 0
	s_mul_i32 s1, s15, s5
	s_mul_hi_u32 s5, s15, s4
	s_mul_i32 s4, s15, s4
	s_add_i32 s5, s5, s1
	s_delay_alu instid0(SALU_CYCLE_1) | instskip(NEXT) | instid1(VALU_DEP_1)
	s_lshl_b64 s[4:5], s[4:5], 4
	v_lshlrev_b64 v[4:5], 4, v[4:5]
	s_add_u32 s4, s6, s4
	s_addc_u32 s5, s7, s5
	s_and_b32 s0, s0, vcc_lo
	s_delay_alu instid0(VALU_DEP_1) | instskip(NEXT) | instid1(VALU_DEP_1)
	v_add_co_u32 v8, s1, s4, v4
	v_add_co_ci_u32_e64 v9, s1, s5, v5, s1
	s_and_saveexec_b32 s6, s0
	s_cbranch_execz .LBB399_5
; %bb.4:
	v_ashrrev_i32_e32 v21, 31, v20
	v_cmp_ne_u32_e64 s0, v22, v20
	s_delay_alu instid0(VALU_DEP_2) | instskip(NEXT) | instid1(VALU_DEP_2)
	v_lshlrev_b64 v[23:24], 4, v[20:21]
	v_cndmask_b32_e64 v5, 0, v19, s0
	v_cndmask_b32_e64 v4, 0, v18, s0
	s_delay_alu instid0(VALU_DEP_3) | instskip(NEXT) | instid1(VALU_DEP_1)
	v_add_co_u32 v23, s1, v8, v23
	v_add_co_ci_u32_e64 v24, s1, v9, v24, s1
	global_store_b128 v[23:24], v[2:5], off
.LBB399_5:
	s_or_b32 exec_lo, exec_lo, s6
	v_add_nc_u32_e32 v4, 16, v20
	s_delay_alu instid0(VALU_DEP_1) | instskip(SKIP_1) | instid1(VALU_DEP_1)
	v_cmp_le_i32_e64 s1, v22, v4
	v_cmp_gt_i32_e64 s0, s2, v4
	s_and_b32 s1, s1, s0
	s_delay_alu instid0(SALU_CYCLE_1)
	s_and_saveexec_b32 s6, s1
	s_cbranch_execz .LBB399_7
; %bb.6:
	v_ashrrev_i32_e32 v5, 31, v4
	v_cmp_ne_u32_e64 s1, v22, v4
	s_delay_alu instid0(VALU_DEP_2) | instskip(NEXT) | instid1(VALU_DEP_2)
	v_lshlrev_b64 v[18:19], 4, v[4:5]
	v_cndmask_b32_e64 v3, 0, v13, s1
	v_cndmask_b32_e64 v2, 0, v12, s1
	s_delay_alu instid0(VALU_DEP_3) | instskip(NEXT) | instid1(VALU_DEP_1)
	v_add_co_u32 v8, s2, v8, v18
	v_add_co_ci_u32_e64 v9, s2, v9, v19, s2
	global_store_b128 v[8:9], v[0:3], off
.LBB399_7:
	s_or_b32 exec_lo, exec_lo, s6
	v_add_nc_u32_e32 v2, 16, v22
	s_delay_alu instid0(VALU_DEP_1) | instskip(SKIP_1) | instid1(VALU_DEP_1)
	v_mad_i64_i32 v[0:1], null, v2, s3, 0
	v_cmp_le_i32_e64 s1, v2, v20
	s_and_b32 s1, s1, vcc_lo
	s_delay_alu instid0(VALU_DEP_2) | instskip(NEXT) | instid1(VALU_DEP_1)
	v_lshlrev_b64 v[0:1], 4, v[0:1]
	v_add_co_u32 v0, s2, s4, v0
	s_delay_alu instid0(VALU_DEP_1)
	v_add_co_ci_u32_e64 v1, s2, s5, v1, s2
	s_and_saveexec_b32 s2, s1
	s_cbranch_execz .LBB399_9
; %bb.8:
	v_ashrrev_i32_e32 v21, 31, v20
	v_cmp_ne_u32_e32 vcc_lo, v2, v20
	s_delay_alu instid0(VALU_DEP_2) | instskip(SKIP_1) | instid1(VALU_DEP_2)
	v_lshlrev_b64 v[12:13], 4, v[20:21]
	v_dual_cndmask_b32 v9, 0, v17 :: v_dual_cndmask_b32 v8, 0, v16
	v_add_co_u32 v12, s1, v0, v12
	s_delay_alu instid0(VALU_DEP_1)
	v_add_co_ci_u32_e64 v13, s1, v1, v13, s1
	global_store_b128 v[12:13], v[6:9], off
.LBB399_9:
	s_or_b32 exec_lo, exec_lo, s2
	v_cmp_le_i32_e32 vcc_lo, v2, v4
	s_and_b32 s0, vcc_lo, s0
	s_delay_alu instid0(SALU_CYCLE_1)
	s_and_saveexec_b32 s1, s0
	s_cbranch_execz .LBB399_11
; %bb.10:
	v_ashrrev_i32_e32 v5, 31, v4
	v_cmp_ne_u32_e32 vcc_lo, v22, v20
	s_delay_alu instid0(VALU_DEP_2) | instskip(SKIP_1) | instid1(VALU_DEP_2)
	v_lshlrev_b64 v[2:3], 4, v[4:5]
	v_dual_cndmask_b32 v13, 0, v15 :: v_dual_cndmask_b32 v12, 0, v14
	v_add_co_u32 v0, s0, v0, v2
	s_delay_alu instid0(VALU_DEP_1)
	v_add_co_ci_u32_e64 v1, s0, v1, v3, s0
	global_store_b128 v[0:1], v[10:13], off
.LBB399_11:
	s_nop 0
	s_sendmsg sendmsg(MSG_DEALLOC_VGPRS)
	s_endpgm
	.section	.rodata,"a",@progbits
	.p2align	6, 0x0
	.amdhsa_kernel _ZL37rocblas_syrkx_herkx_restricted_kernelIi19rocblas_complex_numIdELi16ELi32ELi8ELi1ELi0ELb1ELc84ELc76EKS1_S1_EviT_PT9_S3_lS5_S3_lPT10_S3_li
		.amdhsa_group_segment_fixed_size 8192
		.amdhsa_private_segment_fixed_size 0
		.amdhsa_kernarg_size 84
		.amdhsa_user_sgpr_count 13
		.amdhsa_user_sgpr_dispatch_ptr 0
		.amdhsa_user_sgpr_queue_ptr 0
		.amdhsa_user_sgpr_kernarg_segment_ptr 1
		.amdhsa_user_sgpr_dispatch_id 0
		.amdhsa_user_sgpr_private_segment_size 0
		.amdhsa_wavefront_size32 1
		.amdhsa_uses_dynamic_stack 0
		.amdhsa_enable_private_segment 0
		.amdhsa_system_sgpr_workgroup_id_x 1
		.amdhsa_system_sgpr_workgroup_id_y 1
		.amdhsa_system_sgpr_workgroup_id_z 1
		.amdhsa_system_sgpr_workgroup_info 0
		.amdhsa_system_vgpr_workitem_id 1
		.amdhsa_next_free_vgpr 52
		.amdhsa_next_free_sgpr 20
		.amdhsa_reserve_vcc 1
		.amdhsa_float_round_mode_32 0
		.amdhsa_float_round_mode_16_64 0
		.amdhsa_float_denorm_mode_32 3
		.amdhsa_float_denorm_mode_16_64 3
		.amdhsa_dx10_clamp 1
		.amdhsa_ieee_mode 1
		.amdhsa_fp16_overflow 0
		.amdhsa_workgroup_processor_mode 1
		.amdhsa_memory_ordered 1
		.amdhsa_forward_progress 0
		.amdhsa_shared_vgpr_count 0
		.amdhsa_exception_fp_ieee_invalid_op 0
		.amdhsa_exception_fp_denorm_src 0
		.amdhsa_exception_fp_ieee_div_zero 0
		.amdhsa_exception_fp_ieee_overflow 0
		.amdhsa_exception_fp_ieee_underflow 0
		.amdhsa_exception_fp_ieee_inexact 0
		.amdhsa_exception_int_div_zero 0
	.end_amdhsa_kernel
	.section	.text._ZL37rocblas_syrkx_herkx_restricted_kernelIi19rocblas_complex_numIdELi16ELi32ELi8ELi1ELi0ELb1ELc84ELc76EKS1_S1_EviT_PT9_S3_lS5_S3_lPT10_S3_li,"axG",@progbits,_ZL37rocblas_syrkx_herkx_restricted_kernelIi19rocblas_complex_numIdELi16ELi32ELi8ELi1ELi0ELb1ELc84ELc76EKS1_S1_EviT_PT9_S3_lS5_S3_lPT10_S3_li,comdat
.Lfunc_end399:
	.size	_ZL37rocblas_syrkx_herkx_restricted_kernelIi19rocblas_complex_numIdELi16ELi32ELi8ELi1ELi0ELb1ELc84ELc76EKS1_S1_EviT_PT9_S3_lS5_S3_lPT10_S3_li, .Lfunc_end399-_ZL37rocblas_syrkx_herkx_restricted_kernelIi19rocblas_complex_numIdELi16ELi32ELi8ELi1ELi0ELb1ELc84ELc76EKS1_S1_EviT_PT9_S3_lS5_S3_lPT10_S3_li
                                        ; -- End function
	.section	.AMDGPU.csdata,"",@progbits
; Kernel info:
; codeLenInByte = 3264
; NumSgprs: 22
; NumVgprs: 52
; ScratchSize: 0
; MemoryBound: 0
; FloatMode: 240
; IeeeMode: 1
; LDSByteSize: 8192 bytes/workgroup (compile time only)
; SGPRBlocks: 2
; VGPRBlocks: 6
; NumSGPRsForWavesPerEU: 22
; NumVGPRsForWavesPerEU: 52
; Occupancy: 16
; WaveLimiterHint : 0
; COMPUTE_PGM_RSRC2:SCRATCH_EN: 0
; COMPUTE_PGM_RSRC2:USER_SGPR: 13
; COMPUTE_PGM_RSRC2:TRAP_HANDLER: 0
; COMPUTE_PGM_RSRC2:TGID_X_EN: 1
; COMPUTE_PGM_RSRC2:TGID_Y_EN: 1
; COMPUTE_PGM_RSRC2:TGID_Z_EN: 1
; COMPUTE_PGM_RSRC2:TIDIG_COMP_CNT: 1
	.section	.text._ZL37rocblas_syrkx_herkx_restricted_kernelIi19rocblas_complex_numIdELi16ELi32ELi8ELi1ELi0ELb1ELc67ELc76EKS1_S1_EviT_PT9_S3_lS5_S3_lPT10_S3_li,"axG",@progbits,_ZL37rocblas_syrkx_herkx_restricted_kernelIi19rocblas_complex_numIdELi16ELi32ELi8ELi1ELi0ELb1ELc67ELc76EKS1_S1_EviT_PT9_S3_lS5_S3_lPT10_S3_li,comdat
	.globl	_ZL37rocblas_syrkx_herkx_restricted_kernelIi19rocblas_complex_numIdELi16ELi32ELi8ELi1ELi0ELb1ELc67ELc76EKS1_S1_EviT_PT9_S3_lS5_S3_lPT10_S3_li ; -- Begin function _ZL37rocblas_syrkx_herkx_restricted_kernelIi19rocblas_complex_numIdELi16ELi32ELi8ELi1ELi0ELb1ELc67ELc76EKS1_S1_EviT_PT9_S3_lS5_S3_lPT10_S3_li
	.p2align	8
	.type	_ZL37rocblas_syrkx_herkx_restricted_kernelIi19rocblas_complex_numIdELi16ELi32ELi8ELi1ELi0ELb1ELc67ELc76EKS1_S1_EviT_PT9_S3_lS5_S3_lPT10_S3_li,@function
_ZL37rocblas_syrkx_herkx_restricted_kernelIi19rocblas_complex_numIdELi16ELi32ELi8ELi1ELi0ELb1ELc67ELc76EKS1_S1_EviT_PT9_S3_lS5_S3_lPT10_S3_li: ; @_ZL37rocblas_syrkx_herkx_restricted_kernelIi19rocblas_complex_numIdELi16ELi32ELi8ELi1ELi0ELb1ELc67ELc76EKS1_S1_EviT_PT9_S3_lS5_S3_lPT10_S3_li
; %bb.0:
	s_clause 0x1
	s_load_b64 s[2:3], s[0:1], 0x0
	s_load_b128 s[4:7], s[0:1], 0x30
	v_mov_b32_e32 v2, 0
	v_dual_mov_b32 v3, 0 :: v_dual_and_b32 v20, 0x3ff, v0
	v_bfe_u32 v21, v0, 10, 10
	s_delay_alu instid0(VALU_DEP_3) | instskip(SKIP_1) | instid1(VALU_DEP_3)
	v_mov_b32_e32 v0, v2
	s_lshl_b32 s12, s13, 5
	v_mov_b32_e32 v1, v3
	v_dual_mov_b32 v19, v3 :: v_dual_mov_b32 v18, v2
	v_dual_mov_b32 v13, v3 :: v_dual_mov_b32 v12, v2
	;; [unrolled: 1-line block ×6, first 2 shown]
	s_lshl_b32 s13, s14, 5
	s_waitcnt lgkmcnt(0)
	s_cmp_lt_i32 s3, 1
	s_mov_b32 s14, 0
	s_cbranch_scc1 .LBB400_3
; %bb.1:
	s_clause 0x1
	s_load_b32 s18, s[0:1], 0x10
	s_load_b128 s[8:11], s[0:1], 0x18
	v_lshl_add_u32 v2, v21, 4, v20
	s_clause 0x1
	s_load_b64 s[16:17], s[0:1], 0x8
	s_load_b32 s19, s[0:1], 0x28
	v_dual_mov_b32 v1, 0 :: v_dual_and_b32 v0, 7, v20
	v_dual_mov_b32 v14, 0 :: v_dual_and_b32 v5, 31, v2
	v_lshrrev_b32_e32 v4, 3, v2
	v_dual_mov_b32 v15, 0 :: v_dual_lshlrev_b32 v22, 4, v20
	s_delay_alu instid0(VALU_DEP_3) | instskip(NEXT) | instid1(VALU_DEP_4)
	v_dual_mov_b32 v10, v14 :: v_dual_lshlrev_b32 v3, 4, v0
	v_lshlrev_b32_e32 v6, 4, v5
	v_lshrrev_b32_e32 v2, 5, v2
	s_delay_alu instid0(VALU_DEP_4) | instskip(NEXT) | instid1(VALU_DEP_4)
	v_dual_mov_b32 v11, v15 :: v_dual_add_nc_u32 v8, s12, v5
	v_lshl_or_b32 v7, v4, 7, v3
	v_mov_b32_e32 v3, v1
	v_add_nc_u32_e32 v9, s13, v4
	v_dual_mov_b32 v17, v15 :: v_dual_mov_b32 v16, v14
	s_delay_alu instid0(VALU_DEP_4)
	v_add_nc_u32_e32 v24, 0x1000, v7
	s_waitcnt lgkmcnt(0)
	v_mad_i64_i32 v[4:5], null, s18, v8, v[2:3]
	v_lshl_or_b32 v23, v2, 9, v6
	s_mul_i32 s9, s9, s15
	s_mul_hi_u32 s18, s8, s15
	v_mad_i64_i32 v[2:3], null, s19, v9, v[0:1]
	s_mul_i32 s8, s8, s15
	s_add_i32 s9, s18, s9
	s_delay_alu instid0(VALU_DEP_3)
	v_lshlrev_b64 v[0:1], 4, v[4:5]
	s_lshl_b64 s[8:9], s[8:9], 4
	s_mul_i32 s5, s5, s15
	s_add_u32 s8, s16, s8
	s_mul_hi_u32 s16, s4, s15
	s_addc_u32 s9, s17, s9
	s_add_i32 s5, s16, s5
	s_mul_i32 s4, s4, s15
	v_lshlrev_b64 v[2:3], 4, v[2:3]
	s_lshl_b64 s[4:5], s[4:5], 4
	v_add_co_u32 v0, vcc_lo, s8, v0
	s_add_u32 s4, s10, s4
	v_add_co_ci_u32_e32 v1, vcc_lo, s9, v1, vcc_lo
	s_addc_u32 s5, s11, s5
	v_add_co_u32 v2, vcc_lo, s4, v2
	v_add_co_ci_u32_e32 v3, vcc_lo, s5, v3, vcc_lo
	v_add_co_u32 v4, vcc_lo, v0, 8
	v_add_co_ci_u32_e32 v5, vcc_lo, 0, v1, vcc_lo
	s_delay_alu instid0(VALU_DEP_4)
	v_add_co_u32 v8, vcc_lo, v2, 8
	v_lshl_add_u32 v25, v21, 7, 0x1000
	v_add_co_ci_u32_e32 v9, vcc_lo, 0, v3, vcc_lo
	v_dual_mov_b32 v6, v14 :: v_dual_mov_b32 v7, v15
	v_dual_mov_b32 v12, v14 :: v_dual_mov_b32 v13, v15
	;; [unrolled: 1-line block ×5, first 2 shown]
.LBB400_2:                              ; =>This Inner Loop Header: Depth=1
	global_load_b128 v[26:29], v[4:5], off offset:-8
	v_add_co_u32 v4, vcc_lo, 0x80, v4
	v_add_co_ci_u32_e32 v5, vcc_lo, 0, v5, vcc_lo
	s_add_i32 s14, s14, 8
	s_delay_alu instid0(SALU_CYCLE_1)
	s_cmp_ge_i32 s14, s3
	s_waitcnt vmcnt(0)
	v_xor_b32_e32 v29, 0x80000000, v29
	ds_store_b128 v23, v[26:29]
	global_load_b128 v[26:29], v[8:9], off offset:-8
	v_add_co_u32 v8, vcc_lo, 0x80, v8
	v_add_co_ci_u32_e32 v9, vcc_lo, 0, v9, vcc_lo
	s_waitcnt vmcnt(0)
	ds_store_b128 v24, v[26:29]
	s_waitcnt lgkmcnt(0)
	s_barrier
	buffer_gl0_inv
	ds_load_b128 v[26:29], v25
	ds_load_b128 v[30:33], v25 offset:16
	ds_load_b128 v[34:37], v25 offset:32
	;; [unrolled: 1-line block ×3, first 2 shown]
	ds_load_b128 v[42:45], v22
	s_waitcnt lgkmcnt(0)
	v_mul_f64 v[46:47], v[28:29], v[44:45]
	v_mul_f64 v[48:49], v[26:27], v[44:45]
	s_delay_alu instid0(VALU_DEP_2) | instskip(NEXT) | instid1(VALU_DEP_2)
	v_fma_f64 v[46:47], v[26:27], v[42:43], -v[46:47]
	v_fma_f64 v[48:49], v[28:29], v[42:43], v[48:49]
	s_delay_alu instid0(VALU_DEP_2) | instskip(NEXT) | instid1(VALU_DEP_2)
	v_add_f64 v[50:51], v[2:3], v[46:47]
	v_add_f64 v[18:19], v[18:19], v[48:49]
	ds_load_b128 v[46:49], v22 offset:256
	s_waitcnt lgkmcnt(0)
	v_mul_f64 v[2:3], v[28:29], v[48:49]
	s_delay_alu instid0(VALU_DEP_1) | instskip(SKIP_1) | instid1(VALU_DEP_1)
	v_fma_f64 v[2:3], v[26:27], v[46:47], -v[2:3]
	v_mul_f64 v[26:27], v[26:27], v[48:49]
	v_fma_f64 v[26:27], v[28:29], v[46:47], v[26:27]
	s_delay_alu instid0(VALU_DEP_3)
	v_add_f64 v[28:29], v[0:1], v[2:3]
	ds_load_b128 v[0:3], v25 offset:2048
	v_add_f64 v[26:27], v[12:13], v[26:27]
	s_waitcnt lgkmcnt(0)
	v_mul_f64 v[12:13], v[2:3], v[44:45]
	v_mul_f64 v[44:45], v[0:1], v[44:45]
	s_delay_alu instid0(VALU_DEP_2) | instskip(NEXT) | instid1(VALU_DEP_2)
	v_fma_f64 v[12:13], v[0:1], v[42:43], -v[12:13]
	v_fma_f64 v[42:43], v[2:3], v[42:43], v[44:45]
	s_delay_alu instid0(VALU_DEP_2) | instskip(SKIP_1) | instid1(VALU_DEP_3)
	v_add_f64 v[6:7], v[6:7], v[12:13]
	v_mul_f64 v[12:13], v[2:3], v[48:49]
	v_add_f64 v[42:43], v[16:17], v[42:43]
	s_delay_alu instid0(VALU_DEP_2) | instskip(SKIP_1) | instid1(VALU_DEP_2)
	v_fma_f64 v[12:13], v[0:1], v[46:47], -v[12:13]
	v_mul_f64 v[0:1], v[0:1], v[48:49]
	v_add_f64 v[44:45], v[10:11], v[12:13]
	s_delay_alu instid0(VALU_DEP_2) | instskip(NEXT) | instid1(VALU_DEP_1)
	v_fma_f64 v[0:1], v[2:3], v[46:47], v[0:1]
	v_add_f64 v[46:47], v[14:15], v[0:1]
	ds_load_b128 v[0:3], v22 offset:512
	s_waitcnt lgkmcnt(0)
	v_mul_f64 v[10:11], v[32:33], v[2:3]
	v_mul_f64 v[12:13], v[30:31], v[2:3]
	s_delay_alu instid0(VALU_DEP_2) | instskip(NEXT) | instid1(VALU_DEP_2)
	v_fma_f64 v[10:11], v[30:31], v[0:1], -v[10:11]
	v_fma_f64 v[12:13], v[32:33], v[0:1], v[12:13]
	s_delay_alu instid0(VALU_DEP_2) | instskip(NEXT) | instid1(VALU_DEP_2)
	v_add_f64 v[48:49], v[50:51], v[10:11]
	v_add_f64 v[18:19], v[18:19], v[12:13]
	ds_load_b128 v[10:13], v22 offset:768
	s_waitcnt lgkmcnt(0)
	v_mul_f64 v[14:15], v[32:33], v[12:13]
	v_mul_f64 v[16:17], v[30:31], v[12:13]
	s_delay_alu instid0(VALU_DEP_2) | instskip(NEXT) | instid1(VALU_DEP_2)
	v_fma_f64 v[14:15], v[30:31], v[10:11], -v[14:15]
	v_fma_f64 v[16:17], v[32:33], v[10:11], v[16:17]
	s_delay_alu instid0(VALU_DEP_2) | instskip(NEXT) | instid1(VALU_DEP_2)
	v_add_f64 v[28:29], v[28:29], v[14:15]
	v_add_f64 v[26:27], v[26:27], v[16:17]
	ds_load_b128 v[14:17], v25 offset:2064
	s_waitcnt lgkmcnt(0)
	v_mul_f64 v[30:31], v[16:17], v[2:3]
	v_mul_f64 v[2:3], v[14:15], v[2:3]
	s_delay_alu instid0(VALU_DEP_2) | instskip(NEXT) | instid1(VALU_DEP_2)
	v_fma_f64 v[30:31], v[14:15], v[0:1], -v[30:31]
	v_fma_f64 v[0:1], v[16:17], v[0:1], v[2:3]
	v_mul_f64 v[2:3], v[14:15], v[12:13]
	s_delay_alu instid0(VALU_DEP_3) | instskip(NEXT) | instid1(VALU_DEP_3)
	v_add_f64 v[6:7], v[6:7], v[30:31]
	v_add_f64 v[30:31], v[42:43], v[0:1]
	v_mul_f64 v[0:1], v[16:17], v[12:13]
	s_delay_alu instid0(VALU_DEP_4) | instskip(NEXT) | instid1(VALU_DEP_2)
	v_fma_f64 v[2:3], v[16:17], v[10:11], v[2:3]
	v_fma_f64 v[0:1], v[14:15], v[10:11], -v[0:1]
	s_delay_alu instid0(VALU_DEP_2) | instskip(NEXT) | instid1(VALU_DEP_2)
	v_add_f64 v[42:43], v[46:47], v[2:3]
	v_add_f64 v[32:33], v[44:45], v[0:1]
	ds_load_b128 v[0:3], v22 offset:1024
	s_waitcnt lgkmcnt(0)
	v_mul_f64 v[10:11], v[36:37], v[2:3]
	v_mul_f64 v[12:13], v[34:35], v[2:3]
	s_delay_alu instid0(VALU_DEP_2) | instskip(NEXT) | instid1(VALU_DEP_2)
	v_fma_f64 v[10:11], v[34:35], v[0:1], -v[10:11]
	v_fma_f64 v[12:13], v[36:37], v[0:1], v[12:13]
	s_delay_alu instid0(VALU_DEP_2) | instskip(NEXT) | instid1(VALU_DEP_2)
	v_add_f64 v[44:45], v[48:49], v[10:11]
	v_add_f64 v[18:19], v[18:19], v[12:13]
	ds_load_b128 v[10:13], v22 offset:1280
	s_waitcnt lgkmcnt(0)
	v_mul_f64 v[14:15], v[36:37], v[12:13]
	v_mul_f64 v[16:17], v[34:35], v[12:13]
	s_delay_alu instid0(VALU_DEP_2) | instskip(NEXT) | instid1(VALU_DEP_2)
	v_fma_f64 v[14:15], v[34:35], v[10:11], -v[14:15]
	v_fma_f64 v[16:17], v[36:37], v[10:11], v[16:17]
	s_delay_alu instid0(VALU_DEP_2) | instskip(NEXT) | instid1(VALU_DEP_2)
	v_add_f64 v[28:29], v[28:29], v[14:15]
	v_add_f64 v[26:27], v[26:27], v[16:17]
	ds_load_b128 v[14:17], v25 offset:2080
	s_waitcnt lgkmcnt(0)
	v_mul_f64 v[34:35], v[16:17], v[2:3]
	v_mul_f64 v[2:3], v[14:15], v[2:3]
	s_delay_alu instid0(VALU_DEP_2) | instskip(NEXT) | instid1(VALU_DEP_2)
	v_fma_f64 v[34:35], v[14:15], v[0:1], -v[34:35]
	v_fma_f64 v[0:1], v[16:17], v[0:1], v[2:3]
	v_mul_f64 v[2:3], v[14:15], v[12:13]
	s_delay_alu instid0(VALU_DEP_3) | instskip(NEXT) | instid1(VALU_DEP_3)
	v_add_f64 v[6:7], v[6:7], v[34:35]
	v_add_f64 v[30:31], v[30:31], v[0:1]
	v_mul_f64 v[0:1], v[16:17], v[12:13]
	s_delay_alu instid0(VALU_DEP_4) | instskip(NEXT) | instid1(VALU_DEP_2)
	v_fma_f64 v[2:3], v[16:17], v[10:11], v[2:3]
	v_fma_f64 v[0:1], v[14:15], v[10:11], -v[0:1]
	s_delay_alu instid0(VALU_DEP_2) | instskip(NEXT) | instid1(VALU_DEP_2)
	v_add_f64 v[34:35], v[42:43], v[2:3]
	;; [unrolled: 38-line block ×3, first 2 shown]
	v_add_f64 v[32:33], v[32:33], v[0:1]
	ds_load_b128 v[0:3], v25 offset:64
	ds_load_b128 v[10:13], v22 offset:2048
	s_waitcnt lgkmcnt(0)
	v_mul_f64 v[14:15], v[2:3], v[12:13]
	v_mul_f64 v[16:17], v[0:1], v[12:13]
	s_delay_alu instid0(VALU_DEP_2) | instskip(NEXT) | instid1(VALU_DEP_2)
	v_fma_f64 v[14:15], v[0:1], v[10:11], -v[14:15]
	v_fma_f64 v[16:17], v[2:3], v[10:11], v[16:17]
	s_delay_alu instid0(VALU_DEP_2) | instskip(NEXT) | instid1(VALU_DEP_2)
	v_add_f64 v[36:37], v[36:37], v[14:15]
	v_add_f64 v[18:19], v[18:19], v[16:17]
	ds_load_b128 v[14:17], v22 offset:2304
	s_waitcnt lgkmcnt(0)
	v_mul_f64 v[38:39], v[2:3], v[16:17]
	s_delay_alu instid0(VALU_DEP_1) | instskip(SKIP_1) | instid1(VALU_DEP_2)
	v_fma_f64 v[38:39], v[0:1], v[14:15], -v[38:39]
	v_mul_f64 v[0:1], v[0:1], v[16:17]
	v_add_f64 v[28:29], v[28:29], v[38:39]
	s_delay_alu instid0(VALU_DEP_2) | instskip(NEXT) | instid1(VALU_DEP_1)
	v_fma_f64 v[0:1], v[2:3], v[14:15], v[0:1]
	v_add_f64 v[26:27], v[26:27], v[0:1]
	ds_load_b128 v[0:3], v25 offset:2112
	s_waitcnt lgkmcnt(0)
	v_mul_f64 v[38:39], v[2:3], v[12:13]
	v_mul_f64 v[12:13], v[0:1], v[12:13]
	s_delay_alu instid0(VALU_DEP_2) | instskip(NEXT) | instid1(VALU_DEP_2)
	v_fma_f64 v[38:39], v[0:1], v[10:11], -v[38:39]
	v_fma_f64 v[10:11], v[2:3], v[10:11], v[12:13]
	s_delay_alu instid0(VALU_DEP_2) | instskip(NEXT) | instid1(VALU_DEP_2)
	v_add_f64 v[6:7], v[6:7], v[38:39]
	v_add_f64 v[30:31], v[30:31], v[10:11]
	v_mul_f64 v[10:11], v[2:3], v[16:17]
	s_delay_alu instid0(VALU_DEP_1) | instskip(SKIP_1) | instid1(VALU_DEP_2)
	v_fma_f64 v[10:11], v[0:1], v[14:15], -v[10:11]
	v_mul_f64 v[0:1], v[0:1], v[16:17]
	v_add_f64 v[32:33], v[32:33], v[10:11]
	s_delay_alu instid0(VALU_DEP_2) | instskip(NEXT) | instid1(VALU_DEP_1)
	v_fma_f64 v[0:1], v[2:3], v[14:15], v[0:1]
	v_add_f64 v[34:35], v[34:35], v[0:1]
	ds_load_b128 v[0:3], v25 offset:80
	ds_load_b128 v[10:13], v22 offset:2560
	s_waitcnt lgkmcnt(0)
	v_mul_f64 v[14:15], v[2:3], v[12:13]
	v_mul_f64 v[16:17], v[0:1], v[12:13]
	s_delay_alu instid0(VALU_DEP_2) | instskip(NEXT) | instid1(VALU_DEP_2)
	v_fma_f64 v[14:15], v[0:1], v[10:11], -v[14:15]
	v_fma_f64 v[16:17], v[2:3], v[10:11], v[16:17]
	s_delay_alu instid0(VALU_DEP_2) | instskip(NEXT) | instid1(VALU_DEP_2)
	v_add_f64 v[36:37], v[36:37], v[14:15]
	v_add_f64 v[18:19], v[18:19], v[16:17]
	ds_load_b128 v[14:17], v22 offset:2816
	s_waitcnt lgkmcnt(0)
	v_mul_f64 v[38:39], v[2:3], v[16:17]
	s_delay_alu instid0(VALU_DEP_1) | instskip(SKIP_1) | instid1(VALU_DEP_2)
	v_fma_f64 v[38:39], v[0:1], v[14:15], -v[38:39]
	v_mul_f64 v[0:1], v[0:1], v[16:17]
	v_add_f64 v[28:29], v[28:29], v[38:39]
	s_delay_alu instid0(VALU_DEP_2) | instskip(NEXT) | instid1(VALU_DEP_1)
	v_fma_f64 v[0:1], v[2:3], v[14:15], v[0:1]
	v_add_f64 v[26:27], v[26:27], v[0:1]
	ds_load_b128 v[0:3], v25 offset:2128
	s_waitcnt lgkmcnt(0)
	v_mul_f64 v[38:39], v[2:3], v[12:13]
	v_mul_f64 v[12:13], v[0:1], v[12:13]
	s_delay_alu instid0(VALU_DEP_2) | instskip(NEXT) | instid1(VALU_DEP_2)
	v_fma_f64 v[38:39], v[0:1], v[10:11], -v[38:39]
	v_fma_f64 v[10:11], v[2:3], v[10:11], v[12:13]
	s_delay_alu instid0(VALU_DEP_2) | instskip(NEXT) | instid1(VALU_DEP_2)
	v_add_f64 v[6:7], v[6:7], v[38:39]
	v_add_f64 v[30:31], v[30:31], v[10:11]
	v_mul_f64 v[10:11], v[2:3], v[16:17]
	s_delay_alu instid0(VALU_DEP_1) | instskip(SKIP_1) | instid1(VALU_DEP_2)
	v_fma_f64 v[10:11], v[0:1], v[14:15], -v[10:11]
	v_mul_f64 v[0:1], v[0:1], v[16:17]
	v_add_f64 v[32:33], v[32:33], v[10:11]
	s_delay_alu instid0(VALU_DEP_2) | instskip(NEXT) | instid1(VALU_DEP_1)
	v_fma_f64 v[0:1], v[2:3], v[14:15], v[0:1]
	v_add_f64 v[34:35], v[34:35], v[0:1]
	ds_load_b128 v[0:3], v25 offset:96
	ds_load_b128 v[10:13], v22 offset:3072
	s_waitcnt lgkmcnt(0)
	v_mul_f64 v[14:15], v[2:3], v[12:13]
	v_mul_f64 v[16:17], v[0:1], v[12:13]
	s_delay_alu instid0(VALU_DEP_2) | instskip(NEXT) | instid1(VALU_DEP_2)
	v_fma_f64 v[14:15], v[0:1], v[10:11], -v[14:15]
	v_fma_f64 v[16:17], v[2:3], v[10:11], v[16:17]
	s_delay_alu instid0(VALU_DEP_2) | instskip(NEXT) | instid1(VALU_DEP_2)
	v_add_f64 v[36:37], v[36:37], v[14:15]
	v_add_f64 v[18:19], v[18:19], v[16:17]
	ds_load_b128 v[14:17], v22 offset:3328
	s_waitcnt lgkmcnt(0)
	v_mul_f64 v[38:39], v[2:3], v[16:17]
	s_delay_alu instid0(VALU_DEP_1) | instskip(SKIP_1) | instid1(VALU_DEP_2)
	v_fma_f64 v[38:39], v[0:1], v[14:15], -v[38:39]
	v_mul_f64 v[0:1], v[0:1], v[16:17]
	v_add_f64 v[38:39], v[28:29], v[38:39]
	s_delay_alu instid0(VALU_DEP_2) | instskip(NEXT) | instid1(VALU_DEP_1)
	v_fma_f64 v[0:1], v[2:3], v[14:15], v[0:1]
	v_add_f64 v[40:41], v[26:27], v[0:1]
	ds_load_b128 v[0:3], v25 offset:2144
	s_waitcnt lgkmcnt(0)
	v_mul_f64 v[26:27], v[2:3], v[12:13]
	v_mul_f64 v[12:13], v[0:1], v[12:13]
	s_delay_alu instid0(VALU_DEP_2) | instskip(NEXT) | instid1(VALU_DEP_2)
	v_fma_f64 v[26:27], v[0:1], v[10:11], -v[26:27]
	v_fma_f64 v[10:11], v[2:3], v[10:11], v[12:13]
	s_delay_alu instid0(VALU_DEP_2) | instskip(NEXT) | instid1(VALU_DEP_2)
	v_add_f64 v[6:7], v[6:7], v[26:27]
	v_add_f64 v[42:43], v[30:31], v[10:11]
	v_mul_f64 v[10:11], v[2:3], v[16:17]
	s_delay_alu instid0(VALU_DEP_1) | instskip(SKIP_1) | instid1(VALU_DEP_2)
	v_fma_f64 v[10:11], v[0:1], v[14:15], -v[10:11]
	v_mul_f64 v[0:1], v[0:1], v[16:17]
	v_add_f64 v[44:45], v[32:33], v[10:11]
	s_delay_alu instid0(VALU_DEP_2)
	v_fma_f64 v[0:1], v[2:3], v[14:15], v[0:1]
	ds_load_b128 v[10:13], v25 offset:112
	ds_load_b128 v[14:17], v22 offset:3584
	;; [unrolled: 1-line block ×3, first 2 shown]
	s_waitcnt lgkmcnt(1)
	v_mul_f64 v[2:3], v[10:11], v[16:17]
	v_add_f64 v[34:35], v[34:35], v[0:1]
	v_mul_f64 v[0:1], v[12:13], v[16:17]
	s_delay_alu instid0(VALU_DEP_3) | instskip(NEXT) | instid1(VALU_DEP_2)
	v_fma_f64 v[26:27], v[12:13], v[14:15], v[2:3]
	v_fma_f64 v[0:1], v[10:11], v[14:15], -v[0:1]
	s_delay_alu instid0(VALU_DEP_2)
	v_add_f64 v[18:19], v[18:19], v[26:27]
	ds_load_b128 v[26:29], v22 offset:3840
	s_waitcnt lgkmcnt(0)
	s_barrier
	buffer_gl0_inv
	v_add_f64 v[2:3], v[36:37], v[0:1]
	v_mul_f64 v[0:1], v[12:13], v[28:29]
	s_delay_alu instid0(VALU_DEP_1) | instskip(SKIP_1) | instid1(VALU_DEP_2)
	v_fma_f64 v[0:1], v[10:11], v[26:27], -v[0:1]
	v_mul_f64 v[10:11], v[10:11], v[28:29]
	v_add_f64 v[0:1], v[38:39], v[0:1]
	s_delay_alu instid0(VALU_DEP_2) | instskip(NEXT) | instid1(VALU_DEP_1)
	v_fma_f64 v[10:11], v[12:13], v[26:27], v[10:11]
	v_add_f64 v[12:13], v[40:41], v[10:11]
	v_mul_f64 v[10:11], v[32:33], v[16:17]
	v_mul_f64 v[16:17], v[30:31], v[16:17]
	s_delay_alu instid0(VALU_DEP_2) | instskip(NEXT) | instid1(VALU_DEP_2)
	v_fma_f64 v[10:11], v[30:31], v[14:15], -v[10:11]
	v_fma_f64 v[14:15], v[32:33], v[14:15], v[16:17]
	s_delay_alu instid0(VALU_DEP_2) | instskip(NEXT) | instid1(VALU_DEP_2)
	v_add_f64 v[6:7], v[6:7], v[10:11]
	v_add_f64 v[16:17], v[42:43], v[14:15]
	v_mul_f64 v[10:11], v[32:33], v[28:29]
	v_mul_f64 v[14:15], v[30:31], v[28:29]
	s_delay_alu instid0(VALU_DEP_2) | instskip(NEXT) | instid1(VALU_DEP_2)
	v_fma_f64 v[10:11], v[30:31], v[26:27], -v[10:11]
	v_fma_f64 v[14:15], v[32:33], v[26:27], v[14:15]
	s_delay_alu instid0(VALU_DEP_2) | instskip(NEXT) | instid1(VALU_DEP_2)
	v_add_f64 v[10:11], v[44:45], v[10:11]
	v_add_f64 v[14:15], v[34:35], v[14:15]
	s_cbranch_scc0 .LBB400_2
.LBB400_3:
	s_clause 0x1
	s_load_b32 s3, s[0:1], 0x40
	s_load_b64 s[4:5], s[0:1], 0x48
	v_add_nc_u32_e32 v22, s13, v21
	v_add_nc_u32_e32 v20, s12, v20
	s_delay_alu instid0(VALU_DEP_1)
	v_cmp_le_i32_e64 s0, v22, v20
	v_cmp_gt_i32_e32 vcc_lo, s2, v20
	s_waitcnt lgkmcnt(0)
	v_mad_i64_i32 v[4:5], null, v22, s3, 0
	s_mul_i32 s1, s15, s5
	s_mul_hi_u32 s5, s15, s4
	s_mul_i32 s4, s15, s4
	s_add_i32 s5, s5, s1
	s_delay_alu instid0(SALU_CYCLE_1) | instskip(NEXT) | instid1(VALU_DEP_1)
	s_lshl_b64 s[4:5], s[4:5], 4
	v_lshlrev_b64 v[4:5], 4, v[4:5]
	s_add_u32 s4, s6, s4
	s_addc_u32 s5, s7, s5
	s_and_b32 s0, s0, vcc_lo
	s_delay_alu instid0(VALU_DEP_1) | instskip(NEXT) | instid1(VALU_DEP_1)
	v_add_co_u32 v8, s1, s4, v4
	v_add_co_ci_u32_e64 v9, s1, s5, v5, s1
	s_and_saveexec_b32 s6, s0
	s_cbranch_execz .LBB400_5
; %bb.4:
	v_ashrrev_i32_e32 v21, 31, v20
	v_cmp_ne_u32_e64 s0, v22, v20
	s_delay_alu instid0(VALU_DEP_2) | instskip(NEXT) | instid1(VALU_DEP_2)
	v_lshlrev_b64 v[23:24], 4, v[20:21]
	v_cndmask_b32_e64 v5, 0, v19, s0
	v_cndmask_b32_e64 v4, 0, v18, s0
	s_delay_alu instid0(VALU_DEP_3) | instskip(NEXT) | instid1(VALU_DEP_1)
	v_add_co_u32 v23, s1, v8, v23
	v_add_co_ci_u32_e64 v24, s1, v9, v24, s1
	global_store_b128 v[23:24], v[2:5], off
.LBB400_5:
	s_or_b32 exec_lo, exec_lo, s6
	v_add_nc_u32_e32 v4, 16, v20
	s_delay_alu instid0(VALU_DEP_1) | instskip(SKIP_1) | instid1(VALU_DEP_1)
	v_cmp_le_i32_e64 s1, v22, v4
	v_cmp_gt_i32_e64 s0, s2, v4
	s_and_b32 s1, s1, s0
	s_delay_alu instid0(SALU_CYCLE_1)
	s_and_saveexec_b32 s6, s1
	s_cbranch_execz .LBB400_7
; %bb.6:
	v_ashrrev_i32_e32 v5, 31, v4
	v_cmp_ne_u32_e64 s1, v22, v4
	s_delay_alu instid0(VALU_DEP_2) | instskip(NEXT) | instid1(VALU_DEP_2)
	v_lshlrev_b64 v[18:19], 4, v[4:5]
	v_cndmask_b32_e64 v3, 0, v13, s1
	v_cndmask_b32_e64 v2, 0, v12, s1
	s_delay_alu instid0(VALU_DEP_3) | instskip(NEXT) | instid1(VALU_DEP_1)
	v_add_co_u32 v8, s2, v8, v18
	v_add_co_ci_u32_e64 v9, s2, v9, v19, s2
	global_store_b128 v[8:9], v[0:3], off
.LBB400_7:
	s_or_b32 exec_lo, exec_lo, s6
	v_add_nc_u32_e32 v2, 16, v22
	s_delay_alu instid0(VALU_DEP_1) | instskip(SKIP_1) | instid1(VALU_DEP_1)
	v_mad_i64_i32 v[0:1], null, v2, s3, 0
	v_cmp_le_i32_e64 s1, v2, v20
	s_and_b32 s1, s1, vcc_lo
	s_delay_alu instid0(VALU_DEP_2) | instskip(NEXT) | instid1(VALU_DEP_1)
	v_lshlrev_b64 v[0:1], 4, v[0:1]
	v_add_co_u32 v0, s2, s4, v0
	s_delay_alu instid0(VALU_DEP_1)
	v_add_co_ci_u32_e64 v1, s2, s5, v1, s2
	s_and_saveexec_b32 s2, s1
	s_cbranch_execz .LBB400_9
; %bb.8:
	v_ashrrev_i32_e32 v21, 31, v20
	v_cmp_ne_u32_e32 vcc_lo, v2, v20
	s_delay_alu instid0(VALU_DEP_2) | instskip(SKIP_1) | instid1(VALU_DEP_2)
	v_lshlrev_b64 v[12:13], 4, v[20:21]
	v_dual_cndmask_b32 v9, 0, v17 :: v_dual_cndmask_b32 v8, 0, v16
	v_add_co_u32 v12, s1, v0, v12
	s_delay_alu instid0(VALU_DEP_1)
	v_add_co_ci_u32_e64 v13, s1, v1, v13, s1
	global_store_b128 v[12:13], v[6:9], off
.LBB400_9:
	s_or_b32 exec_lo, exec_lo, s2
	v_cmp_le_i32_e32 vcc_lo, v2, v4
	s_and_b32 s0, vcc_lo, s0
	s_delay_alu instid0(SALU_CYCLE_1)
	s_and_saveexec_b32 s1, s0
	s_cbranch_execz .LBB400_11
; %bb.10:
	v_ashrrev_i32_e32 v5, 31, v4
	v_cmp_ne_u32_e32 vcc_lo, v22, v20
	s_delay_alu instid0(VALU_DEP_2) | instskip(SKIP_1) | instid1(VALU_DEP_2)
	v_lshlrev_b64 v[2:3], 4, v[4:5]
	v_dual_cndmask_b32 v13, 0, v15 :: v_dual_cndmask_b32 v12, 0, v14
	v_add_co_u32 v0, s0, v0, v2
	s_delay_alu instid0(VALU_DEP_1)
	v_add_co_ci_u32_e64 v1, s0, v1, v3, s0
	global_store_b128 v[0:1], v[10:13], off
.LBB400_11:
	s_nop 0
	s_sendmsg sendmsg(MSG_DEALLOC_VGPRS)
	s_endpgm
	.section	.rodata,"a",@progbits
	.p2align	6, 0x0
	.amdhsa_kernel _ZL37rocblas_syrkx_herkx_restricted_kernelIi19rocblas_complex_numIdELi16ELi32ELi8ELi1ELi0ELb1ELc67ELc76EKS1_S1_EviT_PT9_S3_lS5_S3_lPT10_S3_li
		.amdhsa_group_segment_fixed_size 8192
		.amdhsa_private_segment_fixed_size 0
		.amdhsa_kernarg_size 84
		.amdhsa_user_sgpr_count 13
		.amdhsa_user_sgpr_dispatch_ptr 0
		.amdhsa_user_sgpr_queue_ptr 0
		.amdhsa_user_sgpr_kernarg_segment_ptr 1
		.amdhsa_user_sgpr_dispatch_id 0
		.amdhsa_user_sgpr_private_segment_size 0
		.amdhsa_wavefront_size32 1
		.amdhsa_uses_dynamic_stack 0
		.amdhsa_enable_private_segment 0
		.amdhsa_system_sgpr_workgroup_id_x 1
		.amdhsa_system_sgpr_workgroup_id_y 1
		.amdhsa_system_sgpr_workgroup_id_z 1
		.amdhsa_system_sgpr_workgroup_info 0
		.amdhsa_system_vgpr_workitem_id 1
		.amdhsa_next_free_vgpr 52
		.amdhsa_next_free_sgpr 20
		.amdhsa_reserve_vcc 1
		.amdhsa_float_round_mode_32 0
		.amdhsa_float_round_mode_16_64 0
		.amdhsa_float_denorm_mode_32 3
		.amdhsa_float_denorm_mode_16_64 3
		.amdhsa_dx10_clamp 1
		.amdhsa_ieee_mode 1
		.amdhsa_fp16_overflow 0
		.amdhsa_workgroup_processor_mode 1
		.amdhsa_memory_ordered 1
		.amdhsa_forward_progress 0
		.amdhsa_shared_vgpr_count 0
		.amdhsa_exception_fp_ieee_invalid_op 0
		.amdhsa_exception_fp_denorm_src 0
		.amdhsa_exception_fp_ieee_div_zero 0
		.amdhsa_exception_fp_ieee_overflow 0
		.amdhsa_exception_fp_ieee_underflow 0
		.amdhsa_exception_fp_ieee_inexact 0
		.amdhsa_exception_int_div_zero 0
	.end_amdhsa_kernel
	.section	.text._ZL37rocblas_syrkx_herkx_restricted_kernelIi19rocblas_complex_numIdELi16ELi32ELi8ELi1ELi0ELb1ELc67ELc76EKS1_S1_EviT_PT9_S3_lS5_S3_lPT10_S3_li,"axG",@progbits,_ZL37rocblas_syrkx_herkx_restricted_kernelIi19rocblas_complex_numIdELi16ELi32ELi8ELi1ELi0ELb1ELc67ELc76EKS1_S1_EviT_PT9_S3_lS5_S3_lPT10_S3_li,comdat
.Lfunc_end400:
	.size	_ZL37rocblas_syrkx_herkx_restricted_kernelIi19rocblas_complex_numIdELi16ELi32ELi8ELi1ELi0ELb1ELc67ELc76EKS1_S1_EviT_PT9_S3_lS5_S3_lPT10_S3_li, .Lfunc_end400-_ZL37rocblas_syrkx_herkx_restricted_kernelIi19rocblas_complex_numIdELi16ELi32ELi8ELi1ELi0ELb1ELc67ELc76EKS1_S1_EviT_PT9_S3_lS5_S3_lPT10_S3_li
                                        ; -- End function
	.section	.AMDGPU.csdata,"",@progbits
; Kernel info:
; codeLenInByte = 3272
; NumSgprs: 22
; NumVgprs: 52
; ScratchSize: 0
; MemoryBound: 0
; FloatMode: 240
; IeeeMode: 1
; LDSByteSize: 8192 bytes/workgroup (compile time only)
; SGPRBlocks: 2
; VGPRBlocks: 6
; NumSGPRsForWavesPerEU: 22
; NumVGPRsForWavesPerEU: 52
; Occupancy: 16
; WaveLimiterHint : 0
; COMPUTE_PGM_RSRC2:SCRATCH_EN: 0
; COMPUTE_PGM_RSRC2:USER_SGPR: 13
; COMPUTE_PGM_RSRC2:TRAP_HANDLER: 0
; COMPUTE_PGM_RSRC2:TGID_X_EN: 1
; COMPUTE_PGM_RSRC2:TGID_Y_EN: 1
; COMPUTE_PGM_RSRC2:TGID_Z_EN: 1
; COMPUTE_PGM_RSRC2:TIDIG_COMP_CNT: 1
	.section	.text._ZL37rocblas_syrkx_herkx_restricted_kernelIi19rocblas_complex_numIdELi16ELi32ELi8ELi1ELi0ELb1ELc78ELc76EKS1_S1_EviT_PT9_S3_lS5_S3_lPT10_S3_li,"axG",@progbits,_ZL37rocblas_syrkx_herkx_restricted_kernelIi19rocblas_complex_numIdELi16ELi32ELi8ELi1ELi0ELb1ELc78ELc76EKS1_S1_EviT_PT9_S3_lS5_S3_lPT10_S3_li,comdat
	.globl	_ZL37rocblas_syrkx_herkx_restricted_kernelIi19rocblas_complex_numIdELi16ELi32ELi8ELi1ELi0ELb1ELc78ELc76EKS1_S1_EviT_PT9_S3_lS5_S3_lPT10_S3_li ; -- Begin function _ZL37rocblas_syrkx_herkx_restricted_kernelIi19rocblas_complex_numIdELi16ELi32ELi8ELi1ELi0ELb1ELc78ELc76EKS1_S1_EviT_PT9_S3_lS5_S3_lPT10_S3_li
	.p2align	8
	.type	_ZL37rocblas_syrkx_herkx_restricted_kernelIi19rocblas_complex_numIdELi16ELi32ELi8ELi1ELi0ELb1ELc78ELc76EKS1_S1_EviT_PT9_S3_lS5_S3_lPT10_S3_li,@function
_ZL37rocblas_syrkx_herkx_restricted_kernelIi19rocblas_complex_numIdELi16ELi32ELi8ELi1ELi0ELb1ELc78ELc76EKS1_S1_EviT_PT9_S3_lS5_S3_lPT10_S3_li: ; @_ZL37rocblas_syrkx_herkx_restricted_kernelIi19rocblas_complex_numIdELi16ELi32ELi8ELi1ELi0ELb1ELc78ELc76EKS1_S1_EviT_PT9_S3_lS5_S3_lPT10_S3_li
; %bb.0:
	s_clause 0x1
	s_load_b64 s[2:3], s[0:1], 0x0
	s_load_b128 s[4:7], s[0:1], 0x30
	v_mov_b32_e32 v2, 0
	v_dual_mov_b32 v3, 0 :: v_dual_and_b32 v20, 0x3ff, v0
	v_bfe_u32 v21, v0, 10, 10
	s_delay_alu instid0(VALU_DEP_3) | instskip(SKIP_1) | instid1(VALU_DEP_3)
	v_mov_b32_e32 v0, v2
	s_lshl_b32 s12, s13, 5
	v_mov_b32_e32 v1, v3
	v_dual_mov_b32 v19, v3 :: v_dual_mov_b32 v18, v2
	v_dual_mov_b32 v13, v3 :: v_dual_mov_b32 v12, v2
	;; [unrolled: 1-line block ×6, first 2 shown]
	s_lshl_b32 s13, s14, 5
	s_waitcnt lgkmcnt(0)
	s_cmp_lt_i32 s3, 1
	s_mov_b32 s14, 0
	s_cbranch_scc1 .LBB401_3
; %bb.1:
	s_clause 0x1
	s_load_b32 s16, s[0:1], 0x10
	s_load_b32 s18, s[0:1], 0x28
	v_lshl_add_u32 v0, v21, 4, v20
	v_and_b32_e32 v6, 7, v20
	v_mov_b32_e32 v14, 0
	v_mov_b32_e32 v15, 0
	s_clause 0x1
	s_load_b128 s[8:11], s[0:1], 0x18
	s_load_b64 s[20:21], s[0:1], 0x8
	v_lshrrev_b32_e32 v1, 3, v0
	v_and_b32_e32 v2, 31, v0
	v_dual_mov_b32 v10, v14 :: v_dual_lshlrev_b32 v3, 4, v6
	v_lshrrev_b32_e32 v7, 5, v0
	s_delay_alu instid0(VALU_DEP_4) | instskip(NEXT) | instid1(VALU_DEP_4)
	v_dual_mov_b32 v17, v15 :: v_dual_add_nc_u32 v0, s13, v1
	v_dual_mov_b32 v11, v15 :: v_dual_lshlrev_b32 v4, 4, v2
	v_add_nc_u32_e32 v2, s12, v2
	v_mov_b32_e32 v12, v14
	v_lshl_or_b32 v8, v1, 7, v3
	v_ashrrev_i32_e32 v1, 31, v0
	v_mov_b32_e32 v13, v15
	v_ashrrev_i32_e32 v3, 31, v2
	v_lshl_or_b32 v22, v7, 9, v4
	s_waitcnt lgkmcnt(0)
	s_ashr_i32 s17, s16, 31
	v_mad_i64_i32 v[4:5], null, s18, v6, v[0:1]
	v_mad_i64_i32 v[0:1], null, s16, v7, v[2:3]
	s_mul_i32 s9, s9, s15
	s_mul_hi_u32 s22, s8, s15
	s_mul_i32 s8, s8, s15
	s_add_i32 s9, s22, s9
	s_ashr_i32 s19, s18, 31
	s_lshl_b64 s[8:9], s[8:9], 4
	s_delay_alu instid0(VALU_DEP_1)
	v_lshlrev_b64 v[0:1], 4, v[0:1]
	s_add_u32 s8, s20, s8
	s_addc_u32 s9, s21, s9
	s_mul_i32 s5, s5, s15
	s_mul_hi_u32 s20, s4, s15
	s_mul_i32 s4, s4, s15
	v_add_co_u32 v2, vcc_lo, s8, v0
	v_add_co_ci_u32_e32 v3, vcc_lo, s9, v1, vcc_lo
	s_add_i32 s5, s20, s5
	v_lshlrev_b64 v[0:1], 4, v[4:5]
	s_lshl_b64 s[8:9], s[4:5], 4
	s_lshl_b64 s[4:5], s[16:17], 7
	s_add_u32 s8, s10, s8
	s_addc_u32 s9, s11, s9
	v_dual_mov_b32 v16, v14 :: v_dual_add_nc_u32 v23, 0x1000, v8
	v_add_co_u32 v0, vcc_lo, s8, v0
	v_add_co_ci_u32_e32 v1, vcc_lo, s9, v1, vcc_lo
	v_add_co_u32 v4, vcc_lo, v2, 8
	v_add_co_ci_u32_e32 v5, vcc_lo, 0, v3, vcc_lo
	s_delay_alu instid0(VALU_DEP_4) | instskip(NEXT) | instid1(VALU_DEP_4)
	v_add_co_u32 v8, vcc_lo, v0, 8
	v_add_co_ci_u32_e32 v9, vcc_lo, 0, v1, vcc_lo
	v_dual_mov_b32 v6, v14 :: v_dual_mov_b32 v19, v15
	v_mov_b32_e32 v0, v14
	v_mov_b32_e32 v2, v14
	v_dual_mov_b32 v1, v15 :: v_dual_lshlrev_b32 v24, 4, v20
	v_lshl_add_u32 v25, v21, 7, 0x1000
	v_dual_mov_b32 v7, v15 :: v_dual_mov_b32 v18, v14
	v_mov_b32_e32 v3, v15
	s_lshl_b64 s[8:9], s[18:19], 7
.LBB401_2:                              ; =>This Inner Loop Header: Depth=1
	global_load_b128 v[26:29], v[4:5], off offset:-8
	v_add_co_u32 v4, vcc_lo, v4, s4
	v_add_co_ci_u32_e32 v5, vcc_lo, s5, v5, vcc_lo
	s_add_i32 s14, s14, 8
	s_delay_alu instid0(SALU_CYCLE_1)
	s_cmp_ge_i32 s14, s3
	s_waitcnt vmcnt(0)
	ds_store_b128 v22, v[26:29]
	global_load_b128 v[26:29], v[8:9], off offset:-8
	v_add_co_u32 v8, vcc_lo, v8, s8
	v_add_co_ci_u32_e32 v9, vcc_lo, s9, v9, vcc_lo
	s_waitcnt vmcnt(0)
	v_xor_b32_e32 v29, 0x80000000, v29
	ds_store_b128 v23, v[26:29]
	s_waitcnt lgkmcnt(0)
	s_barrier
	buffer_gl0_inv
	ds_load_b128 v[26:29], v25
	ds_load_b128 v[30:33], v25 offset:16
	ds_load_b128 v[34:37], v25 offset:32
	;; [unrolled: 1-line block ×3, first 2 shown]
	ds_load_b128 v[42:45], v24
	s_waitcnt lgkmcnt(0)
	v_mul_f64 v[46:47], v[28:29], v[44:45]
	v_mul_f64 v[48:49], v[26:27], v[44:45]
	s_delay_alu instid0(VALU_DEP_2) | instskip(NEXT) | instid1(VALU_DEP_2)
	v_fma_f64 v[46:47], v[26:27], v[42:43], -v[46:47]
	v_fma_f64 v[48:49], v[28:29], v[42:43], v[48:49]
	s_delay_alu instid0(VALU_DEP_2) | instskip(NEXT) | instid1(VALU_DEP_2)
	v_add_f64 v[50:51], v[2:3], v[46:47]
	v_add_f64 v[18:19], v[18:19], v[48:49]
	ds_load_b128 v[46:49], v24 offset:256
	s_waitcnt lgkmcnt(0)
	v_mul_f64 v[2:3], v[28:29], v[48:49]
	s_delay_alu instid0(VALU_DEP_1) | instskip(SKIP_1) | instid1(VALU_DEP_1)
	v_fma_f64 v[2:3], v[26:27], v[46:47], -v[2:3]
	v_mul_f64 v[26:27], v[26:27], v[48:49]
	v_fma_f64 v[26:27], v[28:29], v[46:47], v[26:27]
	s_delay_alu instid0(VALU_DEP_3)
	v_add_f64 v[28:29], v[0:1], v[2:3]
	ds_load_b128 v[0:3], v25 offset:2048
	v_add_f64 v[26:27], v[12:13], v[26:27]
	s_waitcnt lgkmcnt(0)
	v_mul_f64 v[12:13], v[2:3], v[44:45]
	v_mul_f64 v[44:45], v[0:1], v[44:45]
	s_delay_alu instid0(VALU_DEP_2) | instskip(NEXT) | instid1(VALU_DEP_2)
	v_fma_f64 v[12:13], v[0:1], v[42:43], -v[12:13]
	v_fma_f64 v[42:43], v[2:3], v[42:43], v[44:45]
	s_delay_alu instid0(VALU_DEP_2) | instskip(SKIP_1) | instid1(VALU_DEP_3)
	v_add_f64 v[6:7], v[6:7], v[12:13]
	v_mul_f64 v[12:13], v[2:3], v[48:49]
	v_add_f64 v[42:43], v[16:17], v[42:43]
	s_delay_alu instid0(VALU_DEP_2) | instskip(SKIP_1) | instid1(VALU_DEP_2)
	v_fma_f64 v[12:13], v[0:1], v[46:47], -v[12:13]
	v_mul_f64 v[0:1], v[0:1], v[48:49]
	v_add_f64 v[44:45], v[10:11], v[12:13]
	s_delay_alu instid0(VALU_DEP_2) | instskip(NEXT) | instid1(VALU_DEP_1)
	v_fma_f64 v[0:1], v[2:3], v[46:47], v[0:1]
	v_add_f64 v[46:47], v[14:15], v[0:1]
	ds_load_b128 v[0:3], v24 offset:512
	s_waitcnt lgkmcnt(0)
	v_mul_f64 v[10:11], v[32:33], v[2:3]
	v_mul_f64 v[12:13], v[30:31], v[2:3]
	s_delay_alu instid0(VALU_DEP_2) | instskip(NEXT) | instid1(VALU_DEP_2)
	v_fma_f64 v[10:11], v[30:31], v[0:1], -v[10:11]
	v_fma_f64 v[12:13], v[32:33], v[0:1], v[12:13]
	s_delay_alu instid0(VALU_DEP_2) | instskip(NEXT) | instid1(VALU_DEP_2)
	v_add_f64 v[48:49], v[50:51], v[10:11]
	v_add_f64 v[18:19], v[18:19], v[12:13]
	ds_load_b128 v[10:13], v24 offset:768
	s_waitcnt lgkmcnt(0)
	v_mul_f64 v[14:15], v[32:33], v[12:13]
	v_mul_f64 v[16:17], v[30:31], v[12:13]
	s_delay_alu instid0(VALU_DEP_2) | instskip(NEXT) | instid1(VALU_DEP_2)
	v_fma_f64 v[14:15], v[30:31], v[10:11], -v[14:15]
	v_fma_f64 v[16:17], v[32:33], v[10:11], v[16:17]
	s_delay_alu instid0(VALU_DEP_2) | instskip(NEXT) | instid1(VALU_DEP_2)
	v_add_f64 v[28:29], v[28:29], v[14:15]
	v_add_f64 v[26:27], v[26:27], v[16:17]
	ds_load_b128 v[14:17], v25 offset:2064
	s_waitcnt lgkmcnt(0)
	v_mul_f64 v[30:31], v[16:17], v[2:3]
	v_mul_f64 v[2:3], v[14:15], v[2:3]
	s_delay_alu instid0(VALU_DEP_2) | instskip(NEXT) | instid1(VALU_DEP_2)
	v_fma_f64 v[30:31], v[14:15], v[0:1], -v[30:31]
	v_fma_f64 v[0:1], v[16:17], v[0:1], v[2:3]
	v_mul_f64 v[2:3], v[14:15], v[12:13]
	s_delay_alu instid0(VALU_DEP_3) | instskip(NEXT) | instid1(VALU_DEP_3)
	v_add_f64 v[6:7], v[6:7], v[30:31]
	v_add_f64 v[30:31], v[42:43], v[0:1]
	v_mul_f64 v[0:1], v[16:17], v[12:13]
	s_delay_alu instid0(VALU_DEP_4) | instskip(NEXT) | instid1(VALU_DEP_2)
	v_fma_f64 v[2:3], v[16:17], v[10:11], v[2:3]
	v_fma_f64 v[0:1], v[14:15], v[10:11], -v[0:1]
	s_delay_alu instid0(VALU_DEP_2) | instskip(NEXT) | instid1(VALU_DEP_2)
	v_add_f64 v[42:43], v[46:47], v[2:3]
	v_add_f64 v[32:33], v[44:45], v[0:1]
	ds_load_b128 v[0:3], v24 offset:1024
	s_waitcnt lgkmcnt(0)
	v_mul_f64 v[10:11], v[36:37], v[2:3]
	v_mul_f64 v[12:13], v[34:35], v[2:3]
	s_delay_alu instid0(VALU_DEP_2) | instskip(NEXT) | instid1(VALU_DEP_2)
	v_fma_f64 v[10:11], v[34:35], v[0:1], -v[10:11]
	v_fma_f64 v[12:13], v[36:37], v[0:1], v[12:13]
	s_delay_alu instid0(VALU_DEP_2) | instskip(NEXT) | instid1(VALU_DEP_2)
	v_add_f64 v[44:45], v[48:49], v[10:11]
	v_add_f64 v[18:19], v[18:19], v[12:13]
	ds_load_b128 v[10:13], v24 offset:1280
	s_waitcnt lgkmcnt(0)
	v_mul_f64 v[14:15], v[36:37], v[12:13]
	v_mul_f64 v[16:17], v[34:35], v[12:13]
	s_delay_alu instid0(VALU_DEP_2) | instskip(NEXT) | instid1(VALU_DEP_2)
	v_fma_f64 v[14:15], v[34:35], v[10:11], -v[14:15]
	v_fma_f64 v[16:17], v[36:37], v[10:11], v[16:17]
	s_delay_alu instid0(VALU_DEP_2) | instskip(NEXT) | instid1(VALU_DEP_2)
	v_add_f64 v[28:29], v[28:29], v[14:15]
	v_add_f64 v[26:27], v[26:27], v[16:17]
	ds_load_b128 v[14:17], v25 offset:2080
	s_waitcnt lgkmcnt(0)
	v_mul_f64 v[34:35], v[16:17], v[2:3]
	v_mul_f64 v[2:3], v[14:15], v[2:3]
	s_delay_alu instid0(VALU_DEP_2) | instskip(NEXT) | instid1(VALU_DEP_2)
	v_fma_f64 v[34:35], v[14:15], v[0:1], -v[34:35]
	v_fma_f64 v[0:1], v[16:17], v[0:1], v[2:3]
	v_mul_f64 v[2:3], v[14:15], v[12:13]
	s_delay_alu instid0(VALU_DEP_3) | instskip(NEXT) | instid1(VALU_DEP_3)
	v_add_f64 v[6:7], v[6:7], v[34:35]
	v_add_f64 v[30:31], v[30:31], v[0:1]
	v_mul_f64 v[0:1], v[16:17], v[12:13]
	s_delay_alu instid0(VALU_DEP_4) | instskip(NEXT) | instid1(VALU_DEP_2)
	v_fma_f64 v[2:3], v[16:17], v[10:11], v[2:3]
	v_fma_f64 v[0:1], v[14:15], v[10:11], -v[0:1]
	s_delay_alu instid0(VALU_DEP_2) | instskip(NEXT) | instid1(VALU_DEP_2)
	v_add_f64 v[34:35], v[42:43], v[2:3]
	;; [unrolled: 38-line block ×3, first 2 shown]
	v_add_f64 v[32:33], v[32:33], v[0:1]
	ds_load_b128 v[0:3], v25 offset:64
	ds_load_b128 v[10:13], v24 offset:2048
	s_waitcnt lgkmcnt(0)
	v_mul_f64 v[14:15], v[2:3], v[12:13]
	v_mul_f64 v[16:17], v[0:1], v[12:13]
	s_delay_alu instid0(VALU_DEP_2) | instskip(NEXT) | instid1(VALU_DEP_2)
	v_fma_f64 v[14:15], v[0:1], v[10:11], -v[14:15]
	v_fma_f64 v[16:17], v[2:3], v[10:11], v[16:17]
	s_delay_alu instid0(VALU_DEP_2) | instskip(NEXT) | instid1(VALU_DEP_2)
	v_add_f64 v[36:37], v[36:37], v[14:15]
	v_add_f64 v[18:19], v[18:19], v[16:17]
	ds_load_b128 v[14:17], v24 offset:2304
	s_waitcnt lgkmcnt(0)
	v_mul_f64 v[38:39], v[2:3], v[16:17]
	s_delay_alu instid0(VALU_DEP_1) | instskip(SKIP_1) | instid1(VALU_DEP_2)
	v_fma_f64 v[38:39], v[0:1], v[14:15], -v[38:39]
	v_mul_f64 v[0:1], v[0:1], v[16:17]
	v_add_f64 v[28:29], v[28:29], v[38:39]
	s_delay_alu instid0(VALU_DEP_2) | instskip(NEXT) | instid1(VALU_DEP_1)
	v_fma_f64 v[0:1], v[2:3], v[14:15], v[0:1]
	v_add_f64 v[26:27], v[26:27], v[0:1]
	ds_load_b128 v[0:3], v25 offset:2112
	s_waitcnt lgkmcnt(0)
	v_mul_f64 v[38:39], v[2:3], v[12:13]
	v_mul_f64 v[12:13], v[0:1], v[12:13]
	s_delay_alu instid0(VALU_DEP_2) | instskip(NEXT) | instid1(VALU_DEP_2)
	v_fma_f64 v[38:39], v[0:1], v[10:11], -v[38:39]
	v_fma_f64 v[10:11], v[2:3], v[10:11], v[12:13]
	s_delay_alu instid0(VALU_DEP_2) | instskip(NEXT) | instid1(VALU_DEP_2)
	v_add_f64 v[6:7], v[6:7], v[38:39]
	v_add_f64 v[30:31], v[30:31], v[10:11]
	v_mul_f64 v[10:11], v[2:3], v[16:17]
	s_delay_alu instid0(VALU_DEP_1) | instskip(SKIP_1) | instid1(VALU_DEP_2)
	v_fma_f64 v[10:11], v[0:1], v[14:15], -v[10:11]
	v_mul_f64 v[0:1], v[0:1], v[16:17]
	v_add_f64 v[32:33], v[32:33], v[10:11]
	s_delay_alu instid0(VALU_DEP_2) | instskip(NEXT) | instid1(VALU_DEP_1)
	v_fma_f64 v[0:1], v[2:3], v[14:15], v[0:1]
	v_add_f64 v[34:35], v[34:35], v[0:1]
	ds_load_b128 v[0:3], v25 offset:80
	ds_load_b128 v[10:13], v24 offset:2560
	s_waitcnt lgkmcnt(0)
	v_mul_f64 v[14:15], v[2:3], v[12:13]
	v_mul_f64 v[16:17], v[0:1], v[12:13]
	s_delay_alu instid0(VALU_DEP_2) | instskip(NEXT) | instid1(VALU_DEP_2)
	v_fma_f64 v[14:15], v[0:1], v[10:11], -v[14:15]
	v_fma_f64 v[16:17], v[2:3], v[10:11], v[16:17]
	s_delay_alu instid0(VALU_DEP_2) | instskip(NEXT) | instid1(VALU_DEP_2)
	v_add_f64 v[36:37], v[36:37], v[14:15]
	v_add_f64 v[18:19], v[18:19], v[16:17]
	ds_load_b128 v[14:17], v24 offset:2816
	s_waitcnt lgkmcnt(0)
	v_mul_f64 v[38:39], v[2:3], v[16:17]
	s_delay_alu instid0(VALU_DEP_1) | instskip(SKIP_1) | instid1(VALU_DEP_2)
	v_fma_f64 v[38:39], v[0:1], v[14:15], -v[38:39]
	v_mul_f64 v[0:1], v[0:1], v[16:17]
	v_add_f64 v[28:29], v[28:29], v[38:39]
	s_delay_alu instid0(VALU_DEP_2) | instskip(NEXT) | instid1(VALU_DEP_1)
	v_fma_f64 v[0:1], v[2:3], v[14:15], v[0:1]
	v_add_f64 v[26:27], v[26:27], v[0:1]
	ds_load_b128 v[0:3], v25 offset:2128
	s_waitcnt lgkmcnt(0)
	v_mul_f64 v[38:39], v[2:3], v[12:13]
	v_mul_f64 v[12:13], v[0:1], v[12:13]
	s_delay_alu instid0(VALU_DEP_2) | instskip(NEXT) | instid1(VALU_DEP_2)
	v_fma_f64 v[38:39], v[0:1], v[10:11], -v[38:39]
	v_fma_f64 v[10:11], v[2:3], v[10:11], v[12:13]
	s_delay_alu instid0(VALU_DEP_2) | instskip(NEXT) | instid1(VALU_DEP_2)
	v_add_f64 v[6:7], v[6:7], v[38:39]
	v_add_f64 v[30:31], v[30:31], v[10:11]
	v_mul_f64 v[10:11], v[2:3], v[16:17]
	s_delay_alu instid0(VALU_DEP_1) | instskip(SKIP_1) | instid1(VALU_DEP_2)
	v_fma_f64 v[10:11], v[0:1], v[14:15], -v[10:11]
	v_mul_f64 v[0:1], v[0:1], v[16:17]
	v_add_f64 v[32:33], v[32:33], v[10:11]
	s_delay_alu instid0(VALU_DEP_2) | instskip(NEXT) | instid1(VALU_DEP_1)
	v_fma_f64 v[0:1], v[2:3], v[14:15], v[0:1]
	v_add_f64 v[34:35], v[34:35], v[0:1]
	ds_load_b128 v[0:3], v25 offset:96
	ds_load_b128 v[10:13], v24 offset:3072
	s_waitcnt lgkmcnt(0)
	v_mul_f64 v[14:15], v[2:3], v[12:13]
	v_mul_f64 v[16:17], v[0:1], v[12:13]
	s_delay_alu instid0(VALU_DEP_2) | instskip(NEXT) | instid1(VALU_DEP_2)
	v_fma_f64 v[14:15], v[0:1], v[10:11], -v[14:15]
	v_fma_f64 v[16:17], v[2:3], v[10:11], v[16:17]
	s_delay_alu instid0(VALU_DEP_2) | instskip(NEXT) | instid1(VALU_DEP_2)
	v_add_f64 v[36:37], v[36:37], v[14:15]
	v_add_f64 v[18:19], v[18:19], v[16:17]
	ds_load_b128 v[14:17], v24 offset:3328
	s_waitcnt lgkmcnt(0)
	v_mul_f64 v[38:39], v[2:3], v[16:17]
	s_delay_alu instid0(VALU_DEP_1) | instskip(SKIP_1) | instid1(VALU_DEP_2)
	v_fma_f64 v[38:39], v[0:1], v[14:15], -v[38:39]
	v_mul_f64 v[0:1], v[0:1], v[16:17]
	v_add_f64 v[38:39], v[28:29], v[38:39]
	s_delay_alu instid0(VALU_DEP_2) | instskip(NEXT) | instid1(VALU_DEP_1)
	v_fma_f64 v[0:1], v[2:3], v[14:15], v[0:1]
	v_add_f64 v[40:41], v[26:27], v[0:1]
	ds_load_b128 v[0:3], v25 offset:2144
	s_waitcnt lgkmcnt(0)
	v_mul_f64 v[26:27], v[2:3], v[12:13]
	v_mul_f64 v[12:13], v[0:1], v[12:13]
	s_delay_alu instid0(VALU_DEP_2) | instskip(NEXT) | instid1(VALU_DEP_2)
	v_fma_f64 v[26:27], v[0:1], v[10:11], -v[26:27]
	v_fma_f64 v[10:11], v[2:3], v[10:11], v[12:13]
	s_delay_alu instid0(VALU_DEP_2) | instskip(NEXT) | instid1(VALU_DEP_2)
	v_add_f64 v[6:7], v[6:7], v[26:27]
	v_add_f64 v[42:43], v[30:31], v[10:11]
	v_mul_f64 v[10:11], v[2:3], v[16:17]
	s_delay_alu instid0(VALU_DEP_1) | instskip(SKIP_1) | instid1(VALU_DEP_2)
	v_fma_f64 v[10:11], v[0:1], v[14:15], -v[10:11]
	v_mul_f64 v[0:1], v[0:1], v[16:17]
	v_add_f64 v[44:45], v[32:33], v[10:11]
	s_delay_alu instid0(VALU_DEP_2)
	v_fma_f64 v[0:1], v[2:3], v[14:15], v[0:1]
	ds_load_b128 v[10:13], v25 offset:112
	ds_load_b128 v[14:17], v24 offset:3584
	;; [unrolled: 1-line block ×3, first 2 shown]
	s_waitcnt lgkmcnt(1)
	v_mul_f64 v[2:3], v[10:11], v[16:17]
	v_add_f64 v[34:35], v[34:35], v[0:1]
	v_mul_f64 v[0:1], v[12:13], v[16:17]
	s_delay_alu instid0(VALU_DEP_3) | instskip(NEXT) | instid1(VALU_DEP_2)
	v_fma_f64 v[26:27], v[12:13], v[14:15], v[2:3]
	v_fma_f64 v[0:1], v[10:11], v[14:15], -v[0:1]
	s_delay_alu instid0(VALU_DEP_2)
	v_add_f64 v[18:19], v[18:19], v[26:27]
	ds_load_b128 v[26:29], v24 offset:3840
	s_waitcnt lgkmcnt(0)
	s_barrier
	buffer_gl0_inv
	v_add_f64 v[2:3], v[36:37], v[0:1]
	v_mul_f64 v[0:1], v[12:13], v[28:29]
	s_delay_alu instid0(VALU_DEP_1) | instskip(SKIP_1) | instid1(VALU_DEP_2)
	v_fma_f64 v[0:1], v[10:11], v[26:27], -v[0:1]
	v_mul_f64 v[10:11], v[10:11], v[28:29]
	v_add_f64 v[0:1], v[38:39], v[0:1]
	s_delay_alu instid0(VALU_DEP_2) | instskip(NEXT) | instid1(VALU_DEP_1)
	v_fma_f64 v[10:11], v[12:13], v[26:27], v[10:11]
	v_add_f64 v[12:13], v[40:41], v[10:11]
	v_mul_f64 v[10:11], v[32:33], v[16:17]
	v_mul_f64 v[16:17], v[30:31], v[16:17]
	s_delay_alu instid0(VALU_DEP_2) | instskip(NEXT) | instid1(VALU_DEP_2)
	v_fma_f64 v[10:11], v[30:31], v[14:15], -v[10:11]
	v_fma_f64 v[14:15], v[32:33], v[14:15], v[16:17]
	s_delay_alu instid0(VALU_DEP_2) | instskip(NEXT) | instid1(VALU_DEP_2)
	v_add_f64 v[6:7], v[6:7], v[10:11]
	v_add_f64 v[16:17], v[42:43], v[14:15]
	v_mul_f64 v[10:11], v[32:33], v[28:29]
	v_mul_f64 v[14:15], v[30:31], v[28:29]
	s_delay_alu instid0(VALU_DEP_2) | instskip(NEXT) | instid1(VALU_DEP_2)
	v_fma_f64 v[10:11], v[30:31], v[26:27], -v[10:11]
	v_fma_f64 v[14:15], v[32:33], v[26:27], v[14:15]
	s_delay_alu instid0(VALU_DEP_2) | instskip(NEXT) | instid1(VALU_DEP_2)
	v_add_f64 v[10:11], v[44:45], v[10:11]
	v_add_f64 v[14:15], v[34:35], v[14:15]
	s_cbranch_scc0 .LBB401_2
.LBB401_3:
	s_clause 0x1
	s_load_b32 s3, s[0:1], 0x40
	s_load_b64 s[4:5], s[0:1], 0x48
	v_add_nc_u32_e32 v22, s13, v21
	v_add_nc_u32_e32 v20, s12, v20
	s_delay_alu instid0(VALU_DEP_1)
	v_cmp_le_i32_e64 s0, v22, v20
	v_cmp_gt_i32_e32 vcc_lo, s2, v20
	s_waitcnt lgkmcnt(0)
	v_mad_i64_i32 v[4:5], null, v22, s3, 0
	s_mul_i32 s1, s15, s5
	s_mul_hi_u32 s5, s15, s4
	s_mul_i32 s4, s15, s4
	s_add_i32 s5, s5, s1
	s_delay_alu instid0(SALU_CYCLE_1) | instskip(NEXT) | instid1(VALU_DEP_1)
	s_lshl_b64 s[4:5], s[4:5], 4
	v_lshlrev_b64 v[4:5], 4, v[4:5]
	s_add_u32 s4, s6, s4
	s_addc_u32 s5, s7, s5
	s_and_b32 s0, s0, vcc_lo
	s_delay_alu instid0(VALU_DEP_1) | instskip(NEXT) | instid1(VALU_DEP_1)
	v_add_co_u32 v8, s1, s4, v4
	v_add_co_ci_u32_e64 v9, s1, s5, v5, s1
	s_and_saveexec_b32 s6, s0
	s_cbranch_execz .LBB401_5
; %bb.4:
	v_ashrrev_i32_e32 v21, 31, v20
	v_cmp_ne_u32_e64 s0, v22, v20
	s_delay_alu instid0(VALU_DEP_2) | instskip(NEXT) | instid1(VALU_DEP_2)
	v_lshlrev_b64 v[23:24], 4, v[20:21]
	v_cndmask_b32_e64 v5, 0, v19, s0
	v_cndmask_b32_e64 v4, 0, v18, s0
	s_delay_alu instid0(VALU_DEP_3) | instskip(NEXT) | instid1(VALU_DEP_1)
	v_add_co_u32 v23, s1, v8, v23
	v_add_co_ci_u32_e64 v24, s1, v9, v24, s1
	global_store_b128 v[23:24], v[2:5], off
.LBB401_5:
	s_or_b32 exec_lo, exec_lo, s6
	v_add_nc_u32_e32 v4, 16, v20
	s_delay_alu instid0(VALU_DEP_1) | instskip(SKIP_1) | instid1(VALU_DEP_1)
	v_cmp_le_i32_e64 s1, v22, v4
	v_cmp_gt_i32_e64 s0, s2, v4
	s_and_b32 s1, s1, s0
	s_delay_alu instid0(SALU_CYCLE_1)
	s_and_saveexec_b32 s6, s1
	s_cbranch_execz .LBB401_7
; %bb.6:
	v_ashrrev_i32_e32 v5, 31, v4
	v_cmp_ne_u32_e64 s1, v22, v4
	s_delay_alu instid0(VALU_DEP_2) | instskip(NEXT) | instid1(VALU_DEP_2)
	v_lshlrev_b64 v[18:19], 4, v[4:5]
	v_cndmask_b32_e64 v3, 0, v13, s1
	v_cndmask_b32_e64 v2, 0, v12, s1
	s_delay_alu instid0(VALU_DEP_3) | instskip(NEXT) | instid1(VALU_DEP_1)
	v_add_co_u32 v8, s2, v8, v18
	v_add_co_ci_u32_e64 v9, s2, v9, v19, s2
	global_store_b128 v[8:9], v[0:3], off
.LBB401_7:
	s_or_b32 exec_lo, exec_lo, s6
	v_add_nc_u32_e32 v2, 16, v22
	s_delay_alu instid0(VALU_DEP_1) | instskip(SKIP_1) | instid1(VALU_DEP_1)
	v_mad_i64_i32 v[0:1], null, v2, s3, 0
	v_cmp_le_i32_e64 s1, v2, v20
	s_and_b32 s1, s1, vcc_lo
	s_delay_alu instid0(VALU_DEP_2) | instskip(NEXT) | instid1(VALU_DEP_1)
	v_lshlrev_b64 v[0:1], 4, v[0:1]
	v_add_co_u32 v0, s2, s4, v0
	s_delay_alu instid0(VALU_DEP_1)
	v_add_co_ci_u32_e64 v1, s2, s5, v1, s2
	s_and_saveexec_b32 s2, s1
	s_cbranch_execz .LBB401_9
; %bb.8:
	v_ashrrev_i32_e32 v21, 31, v20
	v_cmp_ne_u32_e32 vcc_lo, v2, v20
	s_delay_alu instid0(VALU_DEP_2) | instskip(SKIP_1) | instid1(VALU_DEP_2)
	v_lshlrev_b64 v[12:13], 4, v[20:21]
	v_dual_cndmask_b32 v9, 0, v17 :: v_dual_cndmask_b32 v8, 0, v16
	v_add_co_u32 v12, s1, v0, v12
	s_delay_alu instid0(VALU_DEP_1)
	v_add_co_ci_u32_e64 v13, s1, v1, v13, s1
	global_store_b128 v[12:13], v[6:9], off
.LBB401_9:
	s_or_b32 exec_lo, exec_lo, s2
	v_cmp_le_i32_e32 vcc_lo, v2, v4
	s_and_b32 s0, vcc_lo, s0
	s_delay_alu instid0(SALU_CYCLE_1)
	s_and_saveexec_b32 s1, s0
	s_cbranch_execz .LBB401_11
; %bb.10:
	v_ashrrev_i32_e32 v5, 31, v4
	v_cmp_ne_u32_e32 vcc_lo, v22, v20
	s_delay_alu instid0(VALU_DEP_2) | instskip(SKIP_1) | instid1(VALU_DEP_2)
	v_lshlrev_b64 v[2:3], 4, v[4:5]
	v_dual_cndmask_b32 v13, 0, v15 :: v_dual_cndmask_b32 v12, 0, v14
	v_add_co_u32 v0, s0, v0, v2
	s_delay_alu instid0(VALU_DEP_1)
	v_add_co_ci_u32_e64 v1, s0, v1, v3, s0
	global_store_b128 v[0:1], v[10:13], off
.LBB401_11:
	s_nop 0
	s_sendmsg sendmsg(MSG_DEALLOC_VGPRS)
	s_endpgm
	.section	.rodata,"a",@progbits
	.p2align	6, 0x0
	.amdhsa_kernel _ZL37rocblas_syrkx_herkx_restricted_kernelIi19rocblas_complex_numIdELi16ELi32ELi8ELi1ELi0ELb1ELc78ELc76EKS1_S1_EviT_PT9_S3_lS5_S3_lPT10_S3_li
		.amdhsa_group_segment_fixed_size 8192
		.amdhsa_private_segment_fixed_size 0
		.amdhsa_kernarg_size 84
		.amdhsa_user_sgpr_count 13
		.amdhsa_user_sgpr_dispatch_ptr 0
		.amdhsa_user_sgpr_queue_ptr 0
		.amdhsa_user_sgpr_kernarg_segment_ptr 1
		.amdhsa_user_sgpr_dispatch_id 0
		.amdhsa_user_sgpr_private_segment_size 0
		.amdhsa_wavefront_size32 1
		.amdhsa_uses_dynamic_stack 0
		.amdhsa_enable_private_segment 0
		.amdhsa_system_sgpr_workgroup_id_x 1
		.amdhsa_system_sgpr_workgroup_id_y 1
		.amdhsa_system_sgpr_workgroup_id_z 1
		.amdhsa_system_sgpr_workgroup_info 0
		.amdhsa_system_vgpr_workitem_id 1
		.amdhsa_next_free_vgpr 52
		.amdhsa_next_free_sgpr 23
		.amdhsa_reserve_vcc 1
		.amdhsa_float_round_mode_32 0
		.amdhsa_float_round_mode_16_64 0
		.amdhsa_float_denorm_mode_32 3
		.amdhsa_float_denorm_mode_16_64 3
		.amdhsa_dx10_clamp 1
		.amdhsa_ieee_mode 1
		.amdhsa_fp16_overflow 0
		.amdhsa_workgroup_processor_mode 1
		.amdhsa_memory_ordered 1
		.amdhsa_forward_progress 0
		.amdhsa_shared_vgpr_count 0
		.amdhsa_exception_fp_ieee_invalid_op 0
		.amdhsa_exception_fp_denorm_src 0
		.amdhsa_exception_fp_ieee_div_zero 0
		.amdhsa_exception_fp_ieee_overflow 0
		.amdhsa_exception_fp_ieee_underflow 0
		.amdhsa_exception_fp_ieee_inexact 0
		.amdhsa_exception_int_div_zero 0
	.end_amdhsa_kernel
	.section	.text._ZL37rocblas_syrkx_herkx_restricted_kernelIi19rocblas_complex_numIdELi16ELi32ELi8ELi1ELi0ELb1ELc78ELc76EKS1_S1_EviT_PT9_S3_lS5_S3_lPT10_S3_li,"axG",@progbits,_ZL37rocblas_syrkx_herkx_restricted_kernelIi19rocblas_complex_numIdELi16ELi32ELi8ELi1ELi0ELb1ELc78ELc76EKS1_S1_EviT_PT9_S3_lS5_S3_lPT10_S3_li,comdat
.Lfunc_end401:
	.size	_ZL37rocblas_syrkx_herkx_restricted_kernelIi19rocblas_complex_numIdELi16ELi32ELi8ELi1ELi0ELb1ELc78ELc76EKS1_S1_EviT_PT9_S3_lS5_S3_lPT10_S3_li, .Lfunc_end401-_ZL37rocblas_syrkx_herkx_restricted_kernelIi19rocblas_complex_numIdELi16ELi32ELi8ELi1ELi0ELb1ELc78ELc76EKS1_S1_EviT_PT9_S3_lS5_S3_lPT10_S3_li
                                        ; -- End function
	.section	.AMDGPU.csdata,"",@progbits
; Kernel info:
; codeLenInByte = 3272
; NumSgprs: 25
; NumVgprs: 52
; ScratchSize: 0
; MemoryBound: 0
; FloatMode: 240
; IeeeMode: 1
; LDSByteSize: 8192 bytes/workgroup (compile time only)
; SGPRBlocks: 3
; VGPRBlocks: 6
; NumSGPRsForWavesPerEU: 25
; NumVGPRsForWavesPerEU: 52
; Occupancy: 16
; WaveLimiterHint : 0
; COMPUTE_PGM_RSRC2:SCRATCH_EN: 0
; COMPUTE_PGM_RSRC2:USER_SGPR: 13
; COMPUTE_PGM_RSRC2:TRAP_HANDLER: 0
; COMPUTE_PGM_RSRC2:TGID_X_EN: 1
; COMPUTE_PGM_RSRC2:TGID_Y_EN: 1
; COMPUTE_PGM_RSRC2:TGID_Z_EN: 1
; COMPUTE_PGM_RSRC2:TIDIG_COMP_CNT: 1
	.section	.text._ZL37rocblas_syrkx_herkx_restricted_kernelIi19rocblas_complex_numIdELi16ELi32ELi8ELi1ELi0ELb1ELc84ELc85EKS1_S1_EviT_PT9_S3_lS5_S3_lPT10_S3_li,"axG",@progbits,_ZL37rocblas_syrkx_herkx_restricted_kernelIi19rocblas_complex_numIdELi16ELi32ELi8ELi1ELi0ELb1ELc84ELc85EKS1_S1_EviT_PT9_S3_lS5_S3_lPT10_S3_li,comdat
	.globl	_ZL37rocblas_syrkx_herkx_restricted_kernelIi19rocblas_complex_numIdELi16ELi32ELi8ELi1ELi0ELb1ELc84ELc85EKS1_S1_EviT_PT9_S3_lS5_S3_lPT10_S3_li ; -- Begin function _ZL37rocblas_syrkx_herkx_restricted_kernelIi19rocblas_complex_numIdELi16ELi32ELi8ELi1ELi0ELb1ELc84ELc85EKS1_S1_EviT_PT9_S3_lS5_S3_lPT10_S3_li
	.p2align	8
	.type	_ZL37rocblas_syrkx_herkx_restricted_kernelIi19rocblas_complex_numIdELi16ELi32ELi8ELi1ELi0ELb1ELc84ELc85EKS1_S1_EviT_PT9_S3_lS5_S3_lPT10_S3_li,@function
_ZL37rocblas_syrkx_herkx_restricted_kernelIi19rocblas_complex_numIdELi16ELi32ELi8ELi1ELi0ELb1ELc84ELc85EKS1_S1_EviT_PT9_S3_lS5_S3_lPT10_S3_li: ; @_ZL37rocblas_syrkx_herkx_restricted_kernelIi19rocblas_complex_numIdELi16ELi32ELi8ELi1ELi0ELb1ELc84ELc85EKS1_S1_EviT_PT9_S3_lS5_S3_lPT10_S3_li
; %bb.0:
	s_clause 0x1
	s_load_b64 s[2:3], s[0:1], 0x0
	s_load_b128 s[4:7], s[0:1], 0x30
	v_mov_b32_e32 v2, 0
	v_dual_mov_b32 v3, 0 :: v_dual_and_b32 v20, 0x3ff, v0
	v_bfe_u32 v21, v0, 10, 10
	s_delay_alu instid0(VALU_DEP_3) | instskip(SKIP_1) | instid1(VALU_DEP_3)
	v_mov_b32_e32 v0, v2
	s_lshl_b32 s12, s13, 5
	v_mov_b32_e32 v1, v3
	v_dual_mov_b32 v19, v3 :: v_dual_mov_b32 v18, v2
	v_dual_mov_b32 v13, v3 :: v_dual_mov_b32 v12, v2
	;; [unrolled: 1-line block ×6, first 2 shown]
	s_lshl_b32 s13, s14, 5
	s_waitcnt lgkmcnt(0)
	s_cmp_lt_i32 s3, 1
	s_mov_b32 s14, 0
	s_cbranch_scc1 .LBB402_3
; %bb.1:
	s_clause 0x1
	s_load_b32 s18, s[0:1], 0x10
	s_load_b128 s[8:11], s[0:1], 0x18
	v_lshl_add_u32 v2, v21, 4, v20
	s_clause 0x1
	s_load_b64 s[16:17], s[0:1], 0x8
	s_load_b32 s19, s[0:1], 0x28
	v_dual_mov_b32 v1, 0 :: v_dual_and_b32 v0, 7, v20
	v_dual_mov_b32 v14, 0 :: v_dual_and_b32 v5, 31, v2
	v_lshrrev_b32_e32 v4, 3, v2
	v_dual_mov_b32 v15, 0 :: v_dual_lshlrev_b32 v22, 4, v20
	s_delay_alu instid0(VALU_DEP_3) | instskip(NEXT) | instid1(VALU_DEP_4)
	v_dual_mov_b32 v10, v14 :: v_dual_lshlrev_b32 v3, 4, v0
	v_lshlrev_b32_e32 v6, 4, v5
	v_lshrrev_b32_e32 v2, 5, v2
	s_delay_alu instid0(VALU_DEP_4) | instskip(NEXT) | instid1(VALU_DEP_4)
	v_dual_mov_b32 v11, v15 :: v_dual_add_nc_u32 v8, s12, v5
	v_lshl_or_b32 v7, v4, 7, v3
	v_mov_b32_e32 v3, v1
	v_add_nc_u32_e32 v9, s13, v4
	v_dual_mov_b32 v17, v15 :: v_dual_mov_b32 v16, v14
	s_delay_alu instid0(VALU_DEP_4)
	v_add_nc_u32_e32 v24, 0x1000, v7
	s_waitcnt lgkmcnt(0)
	v_mad_i64_i32 v[4:5], null, s18, v8, v[2:3]
	v_lshl_or_b32 v23, v2, 9, v6
	s_mul_i32 s9, s9, s15
	s_mul_hi_u32 s18, s8, s15
	v_mad_i64_i32 v[2:3], null, s19, v9, v[0:1]
	s_mul_i32 s8, s8, s15
	s_add_i32 s9, s18, s9
	s_delay_alu instid0(VALU_DEP_3)
	v_lshlrev_b64 v[0:1], 4, v[4:5]
	s_lshl_b64 s[8:9], s[8:9], 4
	s_mul_i32 s5, s5, s15
	s_add_u32 s8, s16, s8
	s_mul_hi_u32 s16, s4, s15
	s_addc_u32 s9, s17, s9
	s_add_i32 s5, s16, s5
	s_mul_i32 s4, s4, s15
	v_lshlrev_b64 v[2:3], 4, v[2:3]
	s_lshl_b64 s[4:5], s[4:5], 4
	v_add_co_u32 v0, vcc_lo, s8, v0
	s_add_u32 s4, s10, s4
	v_add_co_ci_u32_e32 v1, vcc_lo, s9, v1, vcc_lo
	s_addc_u32 s5, s11, s5
	v_add_co_u32 v2, vcc_lo, s4, v2
	v_add_co_ci_u32_e32 v3, vcc_lo, s5, v3, vcc_lo
	v_add_co_u32 v4, vcc_lo, v0, 8
	v_add_co_ci_u32_e32 v5, vcc_lo, 0, v1, vcc_lo
	s_delay_alu instid0(VALU_DEP_4)
	v_add_co_u32 v8, vcc_lo, v2, 8
	v_lshl_add_u32 v25, v21, 7, 0x1000
	v_add_co_ci_u32_e32 v9, vcc_lo, 0, v3, vcc_lo
	v_dual_mov_b32 v6, v14 :: v_dual_mov_b32 v7, v15
	v_dual_mov_b32 v12, v14 :: v_dual_mov_b32 v13, v15
	;; [unrolled: 1-line block ×5, first 2 shown]
.LBB402_2:                              ; =>This Inner Loop Header: Depth=1
	global_load_b128 v[26:29], v[4:5], off offset:-8
	v_add_co_u32 v4, vcc_lo, 0x80, v4
	v_add_co_ci_u32_e32 v5, vcc_lo, 0, v5, vcc_lo
	s_add_i32 s14, s14, 8
	s_delay_alu instid0(SALU_CYCLE_1)
	s_cmp_ge_i32 s14, s3
	s_waitcnt vmcnt(0)
	ds_store_b128 v23, v[26:29]
	global_load_b128 v[26:29], v[8:9], off offset:-8
	v_add_co_u32 v8, vcc_lo, 0x80, v8
	v_add_co_ci_u32_e32 v9, vcc_lo, 0, v9, vcc_lo
	s_waitcnt vmcnt(0)
	ds_store_b128 v24, v[26:29]
	s_waitcnt lgkmcnt(0)
	s_barrier
	buffer_gl0_inv
	ds_load_b128 v[26:29], v25
	ds_load_b128 v[30:33], v25 offset:16
	ds_load_b128 v[34:37], v25 offset:32
	ds_load_b128 v[38:41], v25 offset:48
	ds_load_b128 v[42:45], v22
	s_waitcnt lgkmcnt(0)
	v_mul_f64 v[46:47], v[28:29], v[44:45]
	v_mul_f64 v[48:49], v[26:27], v[44:45]
	s_delay_alu instid0(VALU_DEP_2) | instskip(NEXT) | instid1(VALU_DEP_2)
	v_fma_f64 v[46:47], v[26:27], v[42:43], -v[46:47]
	v_fma_f64 v[48:49], v[28:29], v[42:43], v[48:49]
	s_delay_alu instid0(VALU_DEP_2) | instskip(NEXT) | instid1(VALU_DEP_2)
	v_add_f64 v[50:51], v[2:3], v[46:47]
	v_add_f64 v[18:19], v[18:19], v[48:49]
	ds_load_b128 v[46:49], v22 offset:256
	s_waitcnt lgkmcnt(0)
	v_mul_f64 v[2:3], v[28:29], v[48:49]
	s_delay_alu instid0(VALU_DEP_1) | instskip(SKIP_1) | instid1(VALU_DEP_1)
	v_fma_f64 v[2:3], v[26:27], v[46:47], -v[2:3]
	v_mul_f64 v[26:27], v[26:27], v[48:49]
	v_fma_f64 v[26:27], v[28:29], v[46:47], v[26:27]
	s_delay_alu instid0(VALU_DEP_3)
	v_add_f64 v[28:29], v[0:1], v[2:3]
	ds_load_b128 v[0:3], v25 offset:2048
	v_add_f64 v[26:27], v[12:13], v[26:27]
	s_waitcnt lgkmcnt(0)
	v_mul_f64 v[12:13], v[2:3], v[44:45]
	v_mul_f64 v[44:45], v[0:1], v[44:45]
	s_delay_alu instid0(VALU_DEP_2) | instskip(NEXT) | instid1(VALU_DEP_2)
	v_fma_f64 v[12:13], v[0:1], v[42:43], -v[12:13]
	v_fma_f64 v[42:43], v[2:3], v[42:43], v[44:45]
	s_delay_alu instid0(VALU_DEP_2) | instskip(SKIP_1) | instid1(VALU_DEP_3)
	v_add_f64 v[6:7], v[6:7], v[12:13]
	v_mul_f64 v[12:13], v[2:3], v[48:49]
	v_add_f64 v[42:43], v[16:17], v[42:43]
	s_delay_alu instid0(VALU_DEP_2) | instskip(SKIP_1) | instid1(VALU_DEP_2)
	v_fma_f64 v[12:13], v[0:1], v[46:47], -v[12:13]
	v_mul_f64 v[0:1], v[0:1], v[48:49]
	v_add_f64 v[44:45], v[10:11], v[12:13]
	s_delay_alu instid0(VALU_DEP_2) | instskip(NEXT) | instid1(VALU_DEP_1)
	v_fma_f64 v[0:1], v[2:3], v[46:47], v[0:1]
	v_add_f64 v[46:47], v[14:15], v[0:1]
	ds_load_b128 v[0:3], v22 offset:512
	s_waitcnt lgkmcnt(0)
	v_mul_f64 v[10:11], v[32:33], v[2:3]
	v_mul_f64 v[12:13], v[30:31], v[2:3]
	s_delay_alu instid0(VALU_DEP_2) | instskip(NEXT) | instid1(VALU_DEP_2)
	v_fma_f64 v[10:11], v[30:31], v[0:1], -v[10:11]
	v_fma_f64 v[12:13], v[32:33], v[0:1], v[12:13]
	s_delay_alu instid0(VALU_DEP_2) | instskip(NEXT) | instid1(VALU_DEP_2)
	v_add_f64 v[48:49], v[50:51], v[10:11]
	v_add_f64 v[18:19], v[18:19], v[12:13]
	ds_load_b128 v[10:13], v22 offset:768
	s_waitcnt lgkmcnt(0)
	v_mul_f64 v[14:15], v[32:33], v[12:13]
	v_mul_f64 v[16:17], v[30:31], v[12:13]
	s_delay_alu instid0(VALU_DEP_2) | instskip(NEXT) | instid1(VALU_DEP_2)
	v_fma_f64 v[14:15], v[30:31], v[10:11], -v[14:15]
	v_fma_f64 v[16:17], v[32:33], v[10:11], v[16:17]
	s_delay_alu instid0(VALU_DEP_2) | instskip(NEXT) | instid1(VALU_DEP_2)
	v_add_f64 v[28:29], v[28:29], v[14:15]
	v_add_f64 v[26:27], v[26:27], v[16:17]
	ds_load_b128 v[14:17], v25 offset:2064
	s_waitcnt lgkmcnt(0)
	v_mul_f64 v[30:31], v[16:17], v[2:3]
	v_mul_f64 v[2:3], v[14:15], v[2:3]
	s_delay_alu instid0(VALU_DEP_2) | instskip(NEXT) | instid1(VALU_DEP_2)
	v_fma_f64 v[30:31], v[14:15], v[0:1], -v[30:31]
	v_fma_f64 v[0:1], v[16:17], v[0:1], v[2:3]
	v_mul_f64 v[2:3], v[14:15], v[12:13]
	s_delay_alu instid0(VALU_DEP_3) | instskip(NEXT) | instid1(VALU_DEP_3)
	v_add_f64 v[6:7], v[6:7], v[30:31]
	v_add_f64 v[30:31], v[42:43], v[0:1]
	v_mul_f64 v[0:1], v[16:17], v[12:13]
	s_delay_alu instid0(VALU_DEP_4) | instskip(NEXT) | instid1(VALU_DEP_2)
	v_fma_f64 v[2:3], v[16:17], v[10:11], v[2:3]
	v_fma_f64 v[0:1], v[14:15], v[10:11], -v[0:1]
	s_delay_alu instid0(VALU_DEP_2) | instskip(NEXT) | instid1(VALU_DEP_2)
	v_add_f64 v[42:43], v[46:47], v[2:3]
	v_add_f64 v[32:33], v[44:45], v[0:1]
	ds_load_b128 v[0:3], v22 offset:1024
	s_waitcnt lgkmcnt(0)
	v_mul_f64 v[10:11], v[36:37], v[2:3]
	v_mul_f64 v[12:13], v[34:35], v[2:3]
	s_delay_alu instid0(VALU_DEP_2) | instskip(NEXT) | instid1(VALU_DEP_2)
	v_fma_f64 v[10:11], v[34:35], v[0:1], -v[10:11]
	v_fma_f64 v[12:13], v[36:37], v[0:1], v[12:13]
	s_delay_alu instid0(VALU_DEP_2) | instskip(NEXT) | instid1(VALU_DEP_2)
	v_add_f64 v[44:45], v[48:49], v[10:11]
	v_add_f64 v[18:19], v[18:19], v[12:13]
	ds_load_b128 v[10:13], v22 offset:1280
	s_waitcnt lgkmcnt(0)
	v_mul_f64 v[14:15], v[36:37], v[12:13]
	v_mul_f64 v[16:17], v[34:35], v[12:13]
	s_delay_alu instid0(VALU_DEP_2) | instskip(NEXT) | instid1(VALU_DEP_2)
	v_fma_f64 v[14:15], v[34:35], v[10:11], -v[14:15]
	v_fma_f64 v[16:17], v[36:37], v[10:11], v[16:17]
	s_delay_alu instid0(VALU_DEP_2) | instskip(NEXT) | instid1(VALU_DEP_2)
	v_add_f64 v[28:29], v[28:29], v[14:15]
	v_add_f64 v[26:27], v[26:27], v[16:17]
	ds_load_b128 v[14:17], v25 offset:2080
	s_waitcnt lgkmcnt(0)
	v_mul_f64 v[34:35], v[16:17], v[2:3]
	v_mul_f64 v[2:3], v[14:15], v[2:3]
	s_delay_alu instid0(VALU_DEP_2) | instskip(NEXT) | instid1(VALU_DEP_2)
	v_fma_f64 v[34:35], v[14:15], v[0:1], -v[34:35]
	v_fma_f64 v[0:1], v[16:17], v[0:1], v[2:3]
	v_mul_f64 v[2:3], v[14:15], v[12:13]
	s_delay_alu instid0(VALU_DEP_3) | instskip(NEXT) | instid1(VALU_DEP_3)
	v_add_f64 v[6:7], v[6:7], v[34:35]
	v_add_f64 v[30:31], v[30:31], v[0:1]
	v_mul_f64 v[0:1], v[16:17], v[12:13]
	s_delay_alu instid0(VALU_DEP_4) | instskip(NEXT) | instid1(VALU_DEP_2)
	v_fma_f64 v[2:3], v[16:17], v[10:11], v[2:3]
	v_fma_f64 v[0:1], v[14:15], v[10:11], -v[0:1]
	s_delay_alu instid0(VALU_DEP_2) | instskip(NEXT) | instid1(VALU_DEP_2)
	v_add_f64 v[34:35], v[42:43], v[2:3]
	v_add_f64 v[32:33], v[32:33], v[0:1]
	ds_load_b128 v[0:3], v22 offset:1536
	s_waitcnt lgkmcnt(0)
	v_mul_f64 v[10:11], v[40:41], v[2:3]
	v_mul_f64 v[12:13], v[38:39], v[2:3]
	s_delay_alu instid0(VALU_DEP_2) | instskip(NEXT) | instid1(VALU_DEP_2)
	v_fma_f64 v[10:11], v[38:39], v[0:1], -v[10:11]
	v_fma_f64 v[12:13], v[40:41], v[0:1], v[12:13]
	s_delay_alu instid0(VALU_DEP_2) | instskip(NEXT) | instid1(VALU_DEP_2)
	v_add_f64 v[36:37], v[44:45], v[10:11]
	v_add_f64 v[18:19], v[18:19], v[12:13]
	ds_load_b128 v[10:13], v22 offset:1792
	s_waitcnt lgkmcnt(0)
	v_mul_f64 v[14:15], v[40:41], v[12:13]
	v_mul_f64 v[16:17], v[38:39], v[12:13]
	s_delay_alu instid0(VALU_DEP_2) | instskip(NEXT) | instid1(VALU_DEP_2)
	v_fma_f64 v[14:15], v[38:39], v[10:11], -v[14:15]
	v_fma_f64 v[16:17], v[40:41], v[10:11], v[16:17]
	s_delay_alu instid0(VALU_DEP_2) | instskip(NEXT) | instid1(VALU_DEP_2)
	v_add_f64 v[28:29], v[28:29], v[14:15]
	v_add_f64 v[26:27], v[26:27], v[16:17]
	ds_load_b128 v[14:17], v25 offset:2096
	s_waitcnt lgkmcnt(0)
	v_mul_f64 v[38:39], v[16:17], v[2:3]
	v_mul_f64 v[2:3], v[14:15], v[2:3]
	s_delay_alu instid0(VALU_DEP_2) | instskip(NEXT) | instid1(VALU_DEP_2)
	v_fma_f64 v[38:39], v[14:15], v[0:1], -v[38:39]
	v_fma_f64 v[0:1], v[16:17], v[0:1], v[2:3]
	v_mul_f64 v[2:3], v[14:15], v[12:13]
	s_delay_alu instid0(VALU_DEP_3) | instskip(NEXT) | instid1(VALU_DEP_3)
	v_add_f64 v[6:7], v[6:7], v[38:39]
	v_add_f64 v[30:31], v[30:31], v[0:1]
	v_mul_f64 v[0:1], v[16:17], v[12:13]
	s_delay_alu instid0(VALU_DEP_4) | instskip(NEXT) | instid1(VALU_DEP_2)
	v_fma_f64 v[2:3], v[16:17], v[10:11], v[2:3]
	v_fma_f64 v[0:1], v[14:15], v[10:11], -v[0:1]
	s_delay_alu instid0(VALU_DEP_2) | instskip(NEXT) | instid1(VALU_DEP_2)
	v_add_f64 v[34:35], v[34:35], v[2:3]
	v_add_f64 v[32:33], v[32:33], v[0:1]
	ds_load_b128 v[0:3], v25 offset:64
	ds_load_b128 v[10:13], v22 offset:2048
	s_waitcnt lgkmcnt(0)
	v_mul_f64 v[14:15], v[2:3], v[12:13]
	v_mul_f64 v[16:17], v[0:1], v[12:13]
	s_delay_alu instid0(VALU_DEP_2) | instskip(NEXT) | instid1(VALU_DEP_2)
	v_fma_f64 v[14:15], v[0:1], v[10:11], -v[14:15]
	v_fma_f64 v[16:17], v[2:3], v[10:11], v[16:17]
	s_delay_alu instid0(VALU_DEP_2) | instskip(NEXT) | instid1(VALU_DEP_2)
	v_add_f64 v[36:37], v[36:37], v[14:15]
	v_add_f64 v[18:19], v[18:19], v[16:17]
	ds_load_b128 v[14:17], v22 offset:2304
	s_waitcnt lgkmcnt(0)
	v_mul_f64 v[38:39], v[2:3], v[16:17]
	s_delay_alu instid0(VALU_DEP_1) | instskip(SKIP_1) | instid1(VALU_DEP_2)
	v_fma_f64 v[38:39], v[0:1], v[14:15], -v[38:39]
	v_mul_f64 v[0:1], v[0:1], v[16:17]
	v_add_f64 v[28:29], v[28:29], v[38:39]
	s_delay_alu instid0(VALU_DEP_2) | instskip(NEXT) | instid1(VALU_DEP_1)
	v_fma_f64 v[0:1], v[2:3], v[14:15], v[0:1]
	v_add_f64 v[26:27], v[26:27], v[0:1]
	ds_load_b128 v[0:3], v25 offset:2112
	s_waitcnt lgkmcnt(0)
	v_mul_f64 v[38:39], v[2:3], v[12:13]
	v_mul_f64 v[12:13], v[0:1], v[12:13]
	s_delay_alu instid0(VALU_DEP_2) | instskip(NEXT) | instid1(VALU_DEP_2)
	v_fma_f64 v[38:39], v[0:1], v[10:11], -v[38:39]
	v_fma_f64 v[10:11], v[2:3], v[10:11], v[12:13]
	s_delay_alu instid0(VALU_DEP_2) | instskip(NEXT) | instid1(VALU_DEP_2)
	v_add_f64 v[6:7], v[6:7], v[38:39]
	v_add_f64 v[30:31], v[30:31], v[10:11]
	v_mul_f64 v[10:11], v[2:3], v[16:17]
	s_delay_alu instid0(VALU_DEP_1) | instskip(SKIP_1) | instid1(VALU_DEP_2)
	v_fma_f64 v[10:11], v[0:1], v[14:15], -v[10:11]
	v_mul_f64 v[0:1], v[0:1], v[16:17]
	v_add_f64 v[32:33], v[32:33], v[10:11]
	s_delay_alu instid0(VALU_DEP_2) | instskip(NEXT) | instid1(VALU_DEP_1)
	v_fma_f64 v[0:1], v[2:3], v[14:15], v[0:1]
	v_add_f64 v[34:35], v[34:35], v[0:1]
	ds_load_b128 v[0:3], v25 offset:80
	ds_load_b128 v[10:13], v22 offset:2560
	s_waitcnt lgkmcnt(0)
	v_mul_f64 v[14:15], v[2:3], v[12:13]
	v_mul_f64 v[16:17], v[0:1], v[12:13]
	s_delay_alu instid0(VALU_DEP_2) | instskip(NEXT) | instid1(VALU_DEP_2)
	v_fma_f64 v[14:15], v[0:1], v[10:11], -v[14:15]
	v_fma_f64 v[16:17], v[2:3], v[10:11], v[16:17]
	s_delay_alu instid0(VALU_DEP_2) | instskip(NEXT) | instid1(VALU_DEP_2)
	v_add_f64 v[36:37], v[36:37], v[14:15]
	v_add_f64 v[18:19], v[18:19], v[16:17]
	ds_load_b128 v[14:17], v22 offset:2816
	s_waitcnt lgkmcnt(0)
	v_mul_f64 v[38:39], v[2:3], v[16:17]
	s_delay_alu instid0(VALU_DEP_1) | instskip(SKIP_1) | instid1(VALU_DEP_2)
	v_fma_f64 v[38:39], v[0:1], v[14:15], -v[38:39]
	v_mul_f64 v[0:1], v[0:1], v[16:17]
	v_add_f64 v[28:29], v[28:29], v[38:39]
	s_delay_alu instid0(VALU_DEP_2) | instskip(NEXT) | instid1(VALU_DEP_1)
	v_fma_f64 v[0:1], v[2:3], v[14:15], v[0:1]
	v_add_f64 v[26:27], v[26:27], v[0:1]
	ds_load_b128 v[0:3], v25 offset:2128
	s_waitcnt lgkmcnt(0)
	v_mul_f64 v[38:39], v[2:3], v[12:13]
	v_mul_f64 v[12:13], v[0:1], v[12:13]
	s_delay_alu instid0(VALU_DEP_2) | instskip(NEXT) | instid1(VALU_DEP_2)
	v_fma_f64 v[38:39], v[0:1], v[10:11], -v[38:39]
	v_fma_f64 v[10:11], v[2:3], v[10:11], v[12:13]
	s_delay_alu instid0(VALU_DEP_2) | instskip(NEXT) | instid1(VALU_DEP_2)
	v_add_f64 v[6:7], v[6:7], v[38:39]
	v_add_f64 v[30:31], v[30:31], v[10:11]
	v_mul_f64 v[10:11], v[2:3], v[16:17]
	s_delay_alu instid0(VALU_DEP_1) | instskip(SKIP_1) | instid1(VALU_DEP_2)
	v_fma_f64 v[10:11], v[0:1], v[14:15], -v[10:11]
	v_mul_f64 v[0:1], v[0:1], v[16:17]
	v_add_f64 v[32:33], v[32:33], v[10:11]
	s_delay_alu instid0(VALU_DEP_2) | instskip(NEXT) | instid1(VALU_DEP_1)
	v_fma_f64 v[0:1], v[2:3], v[14:15], v[0:1]
	v_add_f64 v[34:35], v[34:35], v[0:1]
	ds_load_b128 v[0:3], v25 offset:96
	ds_load_b128 v[10:13], v22 offset:3072
	s_waitcnt lgkmcnt(0)
	v_mul_f64 v[14:15], v[2:3], v[12:13]
	v_mul_f64 v[16:17], v[0:1], v[12:13]
	s_delay_alu instid0(VALU_DEP_2) | instskip(NEXT) | instid1(VALU_DEP_2)
	v_fma_f64 v[14:15], v[0:1], v[10:11], -v[14:15]
	v_fma_f64 v[16:17], v[2:3], v[10:11], v[16:17]
	s_delay_alu instid0(VALU_DEP_2) | instskip(NEXT) | instid1(VALU_DEP_2)
	v_add_f64 v[36:37], v[36:37], v[14:15]
	v_add_f64 v[18:19], v[18:19], v[16:17]
	ds_load_b128 v[14:17], v22 offset:3328
	s_waitcnt lgkmcnt(0)
	v_mul_f64 v[38:39], v[2:3], v[16:17]
	s_delay_alu instid0(VALU_DEP_1) | instskip(SKIP_1) | instid1(VALU_DEP_2)
	v_fma_f64 v[38:39], v[0:1], v[14:15], -v[38:39]
	v_mul_f64 v[0:1], v[0:1], v[16:17]
	v_add_f64 v[38:39], v[28:29], v[38:39]
	s_delay_alu instid0(VALU_DEP_2) | instskip(NEXT) | instid1(VALU_DEP_1)
	v_fma_f64 v[0:1], v[2:3], v[14:15], v[0:1]
	v_add_f64 v[40:41], v[26:27], v[0:1]
	ds_load_b128 v[0:3], v25 offset:2144
	s_waitcnt lgkmcnt(0)
	v_mul_f64 v[26:27], v[2:3], v[12:13]
	v_mul_f64 v[12:13], v[0:1], v[12:13]
	s_delay_alu instid0(VALU_DEP_2) | instskip(NEXT) | instid1(VALU_DEP_2)
	v_fma_f64 v[26:27], v[0:1], v[10:11], -v[26:27]
	v_fma_f64 v[10:11], v[2:3], v[10:11], v[12:13]
	s_delay_alu instid0(VALU_DEP_2) | instskip(NEXT) | instid1(VALU_DEP_2)
	v_add_f64 v[6:7], v[6:7], v[26:27]
	v_add_f64 v[42:43], v[30:31], v[10:11]
	v_mul_f64 v[10:11], v[2:3], v[16:17]
	s_delay_alu instid0(VALU_DEP_1) | instskip(SKIP_1) | instid1(VALU_DEP_2)
	v_fma_f64 v[10:11], v[0:1], v[14:15], -v[10:11]
	v_mul_f64 v[0:1], v[0:1], v[16:17]
	v_add_f64 v[44:45], v[32:33], v[10:11]
	s_delay_alu instid0(VALU_DEP_2)
	v_fma_f64 v[0:1], v[2:3], v[14:15], v[0:1]
	ds_load_b128 v[10:13], v25 offset:112
	ds_load_b128 v[14:17], v22 offset:3584
	;; [unrolled: 1-line block ×3, first 2 shown]
	s_waitcnt lgkmcnt(1)
	v_mul_f64 v[2:3], v[10:11], v[16:17]
	v_add_f64 v[34:35], v[34:35], v[0:1]
	v_mul_f64 v[0:1], v[12:13], v[16:17]
	s_delay_alu instid0(VALU_DEP_3) | instskip(NEXT) | instid1(VALU_DEP_2)
	v_fma_f64 v[26:27], v[12:13], v[14:15], v[2:3]
	v_fma_f64 v[0:1], v[10:11], v[14:15], -v[0:1]
	s_delay_alu instid0(VALU_DEP_2)
	v_add_f64 v[18:19], v[18:19], v[26:27]
	ds_load_b128 v[26:29], v22 offset:3840
	s_waitcnt lgkmcnt(0)
	s_barrier
	buffer_gl0_inv
	v_add_f64 v[2:3], v[36:37], v[0:1]
	v_mul_f64 v[0:1], v[12:13], v[28:29]
	s_delay_alu instid0(VALU_DEP_1) | instskip(SKIP_1) | instid1(VALU_DEP_2)
	v_fma_f64 v[0:1], v[10:11], v[26:27], -v[0:1]
	v_mul_f64 v[10:11], v[10:11], v[28:29]
	v_add_f64 v[0:1], v[38:39], v[0:1]
	s_delay_alu instid0(VALU_DEP_2) | instskip(NEXT) | instid1(VALU_DEP_1)
	v_fma_f64 v[10:11], v[12:13], v[26:27], v[10:11]
	v_add_f64 v[12:13], v[40:41], v[10:11]
	v_mul_f64 v[10:11], v[32:33], v[16:17]
	v_mul_f64 v[16:17], v[30:31], v[16:17]
	s_delay_alu instid0(VALU_DEP_2) | instskip(NEXT) | instid1(VALU_DEP_2)
	v_fma_f64 v[10:11], v[30:31], v[14:15], -v[10:11]
	v_fma_f64 v[14:15], v[32:33], v[14:15], v[16:17]
	s_delay_alu instid0(VALU_DEP_2) | instskip(NEXT) | instid1(VALU_DEP_2)
	v_add_f64 v[6:7], v[6:7], v[10:11]
	v_add_f64 v[16:17], v[42:43], v[14:15]
	v_mul_f64 v[10:11], v[32:33], v[28:29]
	v_mul_f64 v[14:15], v[30:31], v[28:29]
	s_delay_alu instid0(VALU_DEP_2) | instskip(NEXT) | instid1(VALU_DEP_2)
	v_fma_f64 v[10:11], v[30:31], v[26:27], -v[10:11]
	v_fma_f64 v[14:15], v[32:33], v[26:27], v[14:15]
	s_delay_alu instid0(VALU_DEP_2) | instskip(NEXT) | instid1(VALU_DEP_2)
	v_add_f64 v[10:11], v[44:45], v[10:11]
	v_add_f64 v[14:15], v[34:35], v[14:15]
	s_cbranch_scc0 .LBB402_2
.LBB402_3:
	s_clause 0x1
	s_load_b32 s3, s[0:1], 0x40
	s_load_b64 s[0:1], s[0:1], 0x48
	v_add_nc_u32_e32 v22, s13, v21
	v_add_nc_u32_e32 v20, s12, v20
	s_delay_alu instid0(VALU_DEP_2)
	v_cmp_gt_i32_e32 vcc_lo, s2, v22
	s_waitcnt lgkmcnt(0)
	v_mad_i64_i32 v[4:5], null, v22, s3, 0
	s_mul_i32 s1, s15, s1
	s_mul_hi_u32 s4, s15, s0
	s_mul_i32 s0, s15, s0
	s_add_i32 s1, s4, s1
	s_delay_alu instid0(SALU_CYCLE_1) | instskip(NEXT) | instid1(VALU_DEP_1)
	s_lshl_b64 s[4:5], s[0:1], 4
	v_lshlrev_b64 v[4:5], 4, v[4:5]
	s_add_u32 s4, s6, s4
	v_cmp_le_i32_e64 s0, v20, v22
	s_addc_u32 s5, s7, s5
	s_delay_alu instid0(VALU_DEP_2) | instskip(NEXT) | instid1(VALU_DEP_1)
	v_add_co_u32 v8, s1, s4, v4
	v_add_co_ci_u32_e64 v9, s1, s5, v5, s1
	s_delay_alu instid0(VALU_DEP_3) | instskip(NEXT) | instid1(SALU_CYCLE_1)
	s_and_b32 s0, vcc_lo, s0
	s_and_saveexec_b32 s6, s0
	s_cbranch_execz .LBB402_5
; %bb.4:
	v_ashrrev_i32_e32 v21, 31, v20
	v_cmp_ne_u32_e64 s0, v22, v20
	s_delay_alu instid0(VALU_DEP_2) | instskip(NEXT) | instid1(VALU_DEP_2)
	v_lshlrev_b64 v[23:24], 4, v[20:21]
	v_cndmask_b32_e64 v5, 0, v19, s0
	v_cndmask_b32_e64 v4, 0, v18, s0
	s_delay_alu instid0(VALU_DEP_3) | instskip(NEXT) | instid1(VALU_DEP_1)
	v_add_co_u32 v23, s1, v8, v23
	v_add_co_ci_u32_e64 v24, s1, v9, v24, s1
	global_store_b128 v[23:24], v[2:5], off
.LBB402_5:
	s_or_b32 exec_lo, exec_lo, s6
	v_add_nc_u32_e32 v4, 16, v20
	s_delay_alu instid0(VALU_DEP_1) | instskip(NEXT) | instid1(VALU_DEP_1)
	v_cmp_le_i32_e64 s0, v4, v22
	s_and_b32 s0, vcc_lo, s0
	s_delay_alu instid0(SALU_CYCLE_1)
	s_and_saveexec_b32 s1, s0
	s_cbranch_execz .LBB402_7
; %bb.6:
	v_ashrrev_i32_e32 v5, 31, v4
	v_cmp_ne_u32_e32 vcc_lo, v22, v4
	s_delay_alu instid0(VALU_DEP_2) | instskip(SKIP_1) | instid1(VALU_DEP_2)
	v_lshlrev_b64 v[18:19], 4, v[4:5]
	v_dual_cndmask_b32 v3, 0, v13 :: v_dual_cndmask_b32 v2, 0, v12
	v_add_co_u32 v8, s0, v8, v18
	s_delay_alu instid0(VALU_DEP_1)
	v_add_co_ci_u32_e64 v9, s0, v9, v19, s0
	global_store_b128 v[8:9], v[0:3], off
.LBB402_7:
	s_or_b32 exec_lo, exec_lo, s1
	v_add_nc_u32_e32 v2, 16, v22
	s_delay_alu instid0(VALU_DEP_1) | instskip(SKIP_2) | instid1(VALU_DEP_1)
	v_mad_i64_i32 v[0:1], null, v2, s3, 0
	v_cmp_gt_i32_e32 vcc_lo, s2, v2
	v_cmp_le_i32_e64 s0, v20, v2
	s_and_b32 s0, vcc_lo, s0
	s_delay_alu instid0(VALU_DEP_3) | instskip(NEXT) | instid1(VALU_DEP_1)
	v_lshlrev_b64 v[0:1], 4, v[0:1]
	v_add_co_u32 v0, s1, s4, v0
	s_delay_alu instid0(VALU_DEP_1)
	v_add_co_ci_u32_e64 v1, s1, s5, v1, s1
	s_and_saveexec_b32 s2, s0
	s_cbranch_execz .LBB402_9
; %bb.8:
	v_ashrrev_i32_e32 v21, 31, v20
	v_cmp_ne_u32_e64 s0, v2, v20
	s_delay_alu instid0(VALU_DEP_2) | instskip(NEXT) | instid1(VALU_DEP_2)
	v_lshlrev_b64 v[12:13], 4, v[20:21]
	v_cndmask_b32_e64 v9, 0, v17, s0
	v_cndmask_b32_e64 v8, 0, v16, s0
	s_delay_alu instid0(VALU_DEP_3) | instskip(NEXT) | instid1(VALU_DEP_1)
	v_add_co_u32 v12, s1, v0, v12
	v_add_co_ci_u32_e64 v13, s1, v1, v13, s1
	global_store_b128 v[12:13], v[6:9], off
.LBB402_9:
	s_or_b32 exec_lo, exec_lo, s2
	v_cmp_le_i32_e64 s0, v4, v2
	s_delay_alu instid0(VALU_DEP_1) | instskip(NEXT) | instid1(SALU_CYCLE_1)
	s_and_b32 s0, vcc_lo, s0
	s_and_saveexec_b32 s1, s0
	s_cbranch_execz .LBB402_11
; %bb.10:
	v_ashrrev_i32_e32 v5, 31, v4
	v_cmp_ne_u32_e32 vcc_lo, v22, v20
	s_delay_alu instid0(VALU_DEP_2) | instskip(SKIP_1) | instid1(VALU_DEP_2)
	v_lshlrev_b64 v[2:3], 4, v[4:5]
	v_dual_cndmask_b32 v13, 0, v15 :: v_dual_cndmask_b32 v12, 0, v14
	v_add_co_u32 v0, s0, v0, v2
	s_delay_alu instid0(VALU_DEP_1)
	v_add_co_ci_u32_e64 v1, s0, v1, v3, s0
	global_store_b128 v[0:1], v[10:13], off
.LBB402_11:
	s_nop 0
	s_sendmsg sendmsg(MSG_DEALLOC_VGPRS)
	s_endpgm
	.section	.rodata,"a",@progbits
	.p2align	6, 0x0
	.amdhsa_kernel _ZL37rocblas_syrkx_herkx_restricted_kernelIi19rocblas_complex_numIdELi16ELi32ELi8ELi1ELi0ELb1ELc84ELc85EKS1_S1_EviT_PT9_S3_lS5_S3_lPT10_S3_li
		.amdhsa_group_segment_fixed_size 8192
		.amdhsa_private_segment_fixed_size 0
		.amdhsa_kernarg_size 84
		.amdhsa_user_sgpr_count 13
		.amdhsa_user_sgpr_dispatch_ptr 0
		.amdhsa_user_sgpr_queue_ptr 0
		.amdhsa_user_sgpr_kernarg_segment_ptr 1
		.amdhsa_user_sgpr_dispatch_id 0
		.amdhsa_user_sgpr_private_segment_size 0
		.amdhsa_wavefront_size32 1
		.amdhsa_uses_dynamic_stack 0
		.amdhsa_enable_private_segment 0
		.amdhsa_system_sgpr_workgroup_id_x 1
		.amdhsa_system_sgpr_workgroup_id_y 1
		.amdhsa_system_sgpr_workgroup_id_z 1
		.amdhsa_system_sgpr_workgroup_info 0
		.amdhsa_system_vgpr_workitem_id 1
		.amdhsa_next_free_vgpr 52
		.amdhsa_next_free_sgpr 20
		.amdhsa_reserve_vcc 1
		.amdhsa_float_round_mode_32 0
		.amdhsa_float_round_mode_16_64 0
		.amdhsa_float_denorm_mode_32 3
		.amdhsa_float_denorm_mode_16_64 3
		.amdhsa_dx10_clamp 1
		.amdhsa_ieee_mode 1
		.amdhsa_fp16_overflow 0
		.amdhsa_workgroup_processor_mode 1
		.amdhsa_memory_ordered 1
		.amdhsa_forward_progress 0
		.amdhsa_shared_vgpr_count 0
		.amdhsa_exception_fp_ieee_invalid_op 0
		.amdhsa_exception_fp_denorm_src 0
		.amdhsa_exception_fp_ieee_div_zero 0
		.amdhsa_exception_fp_ieee_overflow 0
		.amdhsa_exception_fp_ieee_underflow 0
		.amdhsa_exception_fp_ieee_inexact 0
		.amdhsa_exception_int_div_zero 0
	.end_amdhsa_kernel
	.section	.text._ZL37rocblas_syrkx_herkx_restricted_kernelIi19rocblas_complex_numIdELi16ELi32ELi8ELi1ELi0ELb1ELc84ELc85EKS1_S1_EviT_PT9_S3_lS5_S3_lPT10_S3_li,"axG",@progbits,_ZL37rocblas_syrkx_herkx_restricted_kernelIi19rocblas_complex_numIdELi16ELi32ELi8ELi1ELi0ELb1ELc84ELc85EKS1_S1_EviT_PT9_S3_lS5_S3_lPT10_S3_li,comdat
.Lfunc_end402:
	.size	_ZL37rocblas_syrkx_herkx_restricted_kernelIi19rocblas_complex_numIdELi16ELi32ELi8ELi1ELi0ELb1ELc84ELc85EKS1_S1_EviT_PT9_S3_lS5_S3_lPT10_S3_li, .Lfunc_end402-_ZL37rocblas_syrkx_herkx_restricted_kernelIi19rocblas_complex_numIdELi16ELi32ELi8ELi1ELi0ELb1ELc84ELc85EKS1_S1_EviT_PT9_S3_lS5_S3_lPT10_S3_li
                                        ; -- End function
	.section	.AMDGPU.csdata,"",@progbits
; Kernel info:
; codeLenInByte = 3268
; NumSgprs: 22
; NumVgprs: 52
; ScratchSize: 0
; MemoryBound: 0
; FloatMode: 240
; IeeeMode: 1
; LDSByteSize: 8192 bytes/workgroup (compile time only)
; SGPRBlocks: 2
; VGPRBlocks: 6
; NumSGPRsForWavesPerEU: 22
; NumVGPRsForWavesPerEU: 52
; Occupancy: 16
; WaveLimiterHint : 0
; COMPUTE_PGM_RSRC2:SCRATCH_EN: 0
; COMPUTE_PGM_RSRC2:USER_SGPR: 13
; COMPUTE_PGM_RSRC2:TRAP_HANDLER: 0
; COMPUTE_PGM_RSRC2:TGID_X_EN: 1
; COMPUTE_PGM_RSRC2:TGID_Y_EN: 1
; COMPUTE_PGM_RSRC2:TGID_Z_EN: 1
; COMPUTE_PGM_RSRC2:TIDIG_COMP_CNT: 1
	.section	.text._ZL37rocblas_syrkx_herkx_restricted_kernelIi19rocblas_complex_numIdELi16ELi32ELi8ELi1ELi0ELb1ELc67ELc85EKS1_S1_EviT_PT9_S3_lS5_S3_lPT10_S3_li,"axG",@progbits,_ZL37rocblas_syrkx_herkx_restricted_kernelIi19rocblas_complex_numIdELi16ELi32ELi8ELi1ELi0ELb1ELc67ELc85EKS1_S1_EviT_PT9_S3_lS5_S3_lPT10_S3_li,comdat
	.globl	_ZL37rocblas_syrkx_herkx_restricted_kernelIi19rocblas_complex_numIdELi16ELi32ELi8ELi1ELi0ELb1ELc67ELc85EKS1_S1_EviT_PT9_S3_lS5_S3_lPT10_S3_li ; -- Begin function _ZL37rocblas_syrkx_herkx_restricted_kernelIi19rocblas_complex_numIdELi16ELi32ELi8ELi1ELi0ELb1ELc67ELc85EKS1_S1_EviT_PT9_S3_lS5_S3_lPT10_S3_li
	.p2align	8
	.type	_ZL37rocblas_syrkx_herkx_restricted_kernelIi19rocblas_complex_numIdELi16ELi32ELi8ELi1ELi0ELb1ELc67ELc85EKS1_S1_EviT_PT9_S3_lS5_S3_lPT10_S3_li,@function
_ZL37rocblas_syrkx_herkx_restricted_kernelIi19rocblas_complex_numIdELi16ELi32ELi8ELi1ELi0ELb1ELc67ELc85EKS1_S1_EviT_PT9_S3_lS5_S3_lPT10_S3_li: ; @_ZL37rocblas_syrkx_herkx_restricted_kernelIi19rocblas_complex_numIdELi16ELi32ELi8ELi1ELi0ELb1ELc67ELc85EKS1_S1_EviT_PT9_S3_lS5_S3_lPT10_S3_li
; %bb.0:
	s_clause 0x1
	s_load_b64 s[2:3], s[0:1], 0x0
	s_load_b128 s[4:7], s[0:1], 0x30
	v_mov_b32_e32 v2, 0
	v_dual_mov_b32 v3, 0 :: v_dual_and_b32 v20, 0x3ff, v0
	v_bfe_u32 v21, v0, 10, 10
	s_delay_alu instid0(VALU_DEP_3) | instskip(SKIP_1) | instid1(VALU_DEP_3)
	v_mov_b32_e32 v0, v2
	s_lshl_b32 s12, s13, 5
	v_mov_b32_e32 v1, v3
	v_dual_mov_b32 v19, v3 :: v_dual_mov_b32 v18, v2
	v_dual_mov_b32 v13, v3 :: v_dual_mov_b32 v12, v2
	;; [unrolled: 1-line block ×6, first 2 shown]
	s_lshl_b32 s13, s14, 5
	s_waitcnt lgkmcnt(0)
	s_cmp_lt_i32 s3, 1
	s_mov_b32 s14, 0
	s_cbranch_scc1 .LBB403_3
; %bb.1:
	s_clause 0x1
	s_load_b32 s18, s[0:1], 0x10
	s_load_b128 s[8:11], s[0:1], 0x18
	v_lshl_add_u32 v2, v21, 4, v20
	s_clause 0x1
	s_load_b64 s[16:17], s[0:1], 0x8
	s_load_b32 s19, s[0:1], 0x28
	v_dual_mov_b32 v1, 0 :: v_dual_and_b32 v0, 7, v20
	v_dual_mov_b32 v14, 0 :: v_dual_and_b32 v5, 31, v2
	v_lshrrev_b32_e32 v4, 3, v2
	v_dual_mov_b32 v15, 0 :: v_dual_lshlrev_b32 v22, 4, v20
	s_delay_alu instid0(VALU_DEP_3) | instskip(NEXT) | instid1(VALU_DEP_4)
	v_dual_mov_b32 v10, v14 :: v_dual_lshlrev_b32 v3, 4, v0
	v_lshlrev_b32_e32 v6, 4, v5
	v_lshrrev_b32_e32 v2, 5, v2
	s_delay_alu instid0(VALU_DEP_4) | instskip(NEXT) | instid1(VALU_DEP_4)
	v_dual_mov_b32 v11, v15 :: v_dual_add_nc_u32 v8, s12, v5
	v_lshl_or_b32 v7, v4, 7, v3
	v_mov_b32_e32 v3, v1
	v_add_nc_u32_e32 v9, s13, v4
	v_dual_mov_b32 v17, v15 :: v_dual_mov_b32 v16, v14
	s_delay_alu instid0(VALU_DEP_4)
	v_add_nc_u32_e32 v24, 0x1000, v7
	s_waitcnt lgkmcnt(0)
	v_mad_i64_i32 v[4:5], null, s18, v8, v[2:3]
	v_lshl_or_b32 v23, v2, 9, v6
	s_mul_i32 s9, s9, s15
	s_mul_hi_u32 s18, s8, s15
	v_mad_i64_i32 v[2:3], null, s19, v9, v[0:1]
	s_mul_i32 s8, s8, s15
	s_add_i32 s9, s18, s9
	s_delay_alu instid0(VALU_DEP_3)
	v_lshlrev_b64 v[0:1], 4, v[4:5]
	s_lshl_b64 s[8:9], s[8:9], 4
	s_mul_i32 s5, s5, s15
	s_add_u32 s8, s16, s8
	s_mul_hi_u32 s16, s4, s15
	s_addc_u32 s9, s17, s9
	s_add_i32 s5, s16, s5
	s_mul_i32 s4, s4, s15
	v_lshlrev_b64 v[2:3], 4, v[2:3]
	s_lshl_b64 s[4:5], s[4:5], 4
	v_add_co_u32 v0, vcc_lo, s8, v0
	s_add_u32 s4, s10, s4
	v_add_co_ci_u32_e32 v1, vcc_lo, s9, v1, vcc_lo
	s_addc_u32 s5, s11, s5
	v_add_co_u32 v2, vcc_lo, s4, v2
	v_add_co_ci_u32_e32 v3, vcc_lo, s5, v3, vcc_lo
	v_add_co_u32 v4, vcc_lo, v0, 8
	v_add_co_ci_u32_e32 v5, vcc_lo, 0, v1, vcc_lo
	s_delay_alu instid0(VALU_DEP_4)
	v_add_co_u32 v8, vcc_lo, v2, 8
	v_lshl_add_u32 v25, v21, 7, 0x1000
	v_add_co_ci_u32_e32 v9, vcc_lo, 0, v3, vcc_lo
	v_dual_mov_b32 v6, v14 :: v_dual_mov_b32 v7, v15
	v_dual_mov_b32 v12, v14 :: v_dual_mov_b32 v13, v15
	;; [unrolled: 1-line block ×5, first 2 shown]
.LBB403_2:                              ; =>This Inner Loop Header: Depth=1
	global_load_b128 v[26:29], v[4:5], off offset:-8
	v_add_co_u32 v4, vcc_lo, 0x80, v4
	v_add_co_ci_u32_e32 v5, vcc_lo, 0, v5, vcc_lo
	s_add_i32 s14, s14, 8
	s_delay_alu instid0(SALU_CYCLE_1)
	s_cmp_ge_i32 s14, s3
	s_waitcnt vmcnt(0)
	v_xor_b32_e32 v29, 0x80000000, v29
	ds_store_b128 v23, v[26:29]
	global_load_b128 v[26:29], v[8:9], off offset:-8
	v_add_co_u32 v8, vcc_lo, 0x80, v8
	v_add_co_ci_u32_e32 v9, vcc_lo, 0, v9, vcc_lo
	s_waitcnt vmcnt(0)
	ds_store_b128 v24, v[26:29]
	s_waitcnt lgkmcnt(0)
	s_barrier
	buffer_gl0_inv
	ds_load_b128 v[26:29], v25
	ds_load_b128 v[30:33], v25 offset:16
	ds_load_b128 v[34:37], v25 offset:32
	;; [unrolled: 1-line block ×3, first 2 shown]
	ds_load_b128 v[42:45], v22
	s_waitcnt lgkmcnt(0)
	v_mul_f64 v[46:47], v[28:29], v[44:45]
	v_mul_f64 v[48:49], v[26:27], v[44:45]
	s_delay_alu instid0(VALU_DEP_2) | instskip(NEXT) | instid1(VALU_DEP_2)
	v_fma_f64 v[46:47], v[26:27], v[42:43], -v[46:47]
	v_fma_f64 v[48:49], v[28:29], v[42:43], v[48:49]
	s_delay_alu instid0(VALU_DEP_2) | instskip(NEXT) | instid1(VALU_DEP_2)
	v_add_f64 v[50:51], v[2:3], v[46:47]
	v_add_f64 v[18:19], v[18:19], v[48:49]
	ds_load_b128 v[46:49], v22 offset:256
	s_waitcnt lgkmcnt(0)
	v_mul_f64 v[2:3], v[28:29], v[48:49]
	s_delay_alu instid0(VALU_DEP_1) | instskip(SKIP_1) | instid1(VALU_DEP_1)
	v_fma_f64 v[2:3], v[26:27], v[46:47], -v[2:3]
	v_mul_f64 v[26:27], v[26:27], v[48:49]
	v_fma_f64 v[26:27], v[28:29], v[46:47], v[26:27]
	s_delay_alu instid0(VALU_DEP_3)
	v_add_f64 v[28:29], v[0:1], v[2:3]
	ds_load_b128 v[0:3], v25 offset:2048
	v_add_f64 v[26:27], v[12:13], v[26:27]
	s_waitcnt lgkmcnt(0)
	v_mul_f64 v[12:13], v[2:3], v[44:45]
	v_mul_f64 v[44:45], v[0:1], v[44:45]
	s_delay_alu instid0(VALU_DEP_2) | instskip(NEXT) | instid1(VALU_DEP_2)
	v_fma_f64 v[12:13], v[0:1], v[42:43], -v[12:13]
	v_fma_f64 v[42:43], v[2:3], v[42:43], v[44:45]
	s_delay_alu instid0(VALU_DEP_2) | instskip(SKIP_1) | instid1(VALU_DEP_3)
	v_add_f64 v[6:7], v[6:7], v[12:13]
	v_mul_f64 v[12:13], v[2:3], v[48:49]
	v_add_f64 v[42:43], v[16:17], v[42:43]
	s_delay_alu instid0(VALU_DEP_2) | instskip(SKIP_1) | instid1(VALU_DEP_2)
	v_fma_f64 v[12:13], v[0:1], v[46:47], -v[12:13]
	v_mul_f64 v[0:1], v[0:1], v[48:49]
	v_add_f64 v[44:45], v[10:11], v[12:13]
	s_delay_alu instid0(VALU_DEP_2) | instskip(NEXT) | instid1(VALU_DEP_1)
	v_fma_f64 v[0:1], v[2:3], v[46:47], v[0:1]
	v_add_f64 v[46:47], v[14:15], v[0:1]
	ds_load_b128 v[0:3], v22 offset:512
	s_waitcnt lgkmcnt(0)
	v_mul_f64 v[10:11], v[32:33], v[2:3]
	v_mul_f64 v[12:13], v[30:31], v[2:3]
	s_delay_alu instid0(VALU_DEP_2) | instskip(NEXT) | instid1(VALU_DEP_2)
	v_fma_f64 v[10:11], v[30:31], v[0:1], -v[10:11]
	v_fma_f64 v[12:13], v[32:33], v[0:1], v[12:13]
	s_delay_alu instid0(VALU_DEP_2) | instskip(NEXT) | instid1(VALU_DEP_2)
	v_add_f64 v[48:49], v[50:51], v[10:11]
	v_add_f64 v[18:19], v[18:19], v[12:13]
	ds_load_b128 v[10:13], v22 offset:768
	s_waitcnt lgkmcnt(0)
	v_mul_f64 v[14:15], v[32:33], v[12:13]
	v_mul_f64 v[16:17], v[30:31], v[12:13]
	s_delay_alu instid0(VALU_DEP_2) | instskip(NEXT) | instid1(VALU_DEP_2)
	v_fma_f64 v[14:15], v[30:31], v[10:11], -v[14:15]
	v_fma_f64 v[16:17], v[32:33], v[10:11], v[16:17]
	s_delay_alu instid0(VALU_DEP_2) | instskip(NEXT) | instid1(VALU_DEP_2)
	v_add_f64 v[28:29], v[28:29], v[14:15]
	v_add_f64 v[26:27], v[26:27], v[16:17]
	ds_load_b128 v[14:17], v25 offset:2064
	s_waitcnt lgkmcnt(0)
	v_mul_f64 v[30:31], v[16:17], v[2:3]
	v_mul_f64 v[2:3], v[14:15], v[2:3]
	s_delay_alu instid0(VALU_DEP_2) | instskip(NEXT) | instid1(VALU_DEP_2)
	v_fma_f64 v[30:31], v[14:15], v[0:1], -v[30:31]
	v_fma_f64 v[0:1], v[16:17], v[0:1], v[2:3]
	v_mul_f64 v[2:3], v[14:15], v[12:13]
	s_delay_alu instid0(VALU_DEP_3) | instskip(NEXT) | instid1(VALU_DEP_3)
	v_add_f64 v[6:7], v[6:7], v[30:31]
	v_add_f64 v[30:31], v[42:43], v[0:1]
	v_mul_f64 v[0:1], v[16:17], v[12:13]
	s_delay_alu instid0(VALU_DEP_4) | instskip(NEXT) | instid1(VALU_DEP_2)
	v_fma_f64 v[2:3], v[16:17], v[10:11], v[2:3]
	v_fma_f64 v[0:1], v[14:15], v[10:11], -v[0:1]
	s_delay_alu instid0(VALU_DEP_2) | instskip(NEXT) | instid1(VALU_DEP_2)
	v_add_f64 v[42:43], v[46:47], v[2:3]
	v_add_f64 v[32:33], v[44:45], v[0:1]
	ds_load_b128 v[0:3], v22 offset:1024
	s_waitcnt lgkmcnt(0)
	v_mul_f64 v[10:11], v[36:37], v[2:3]
	v_mul_f64 v[12:13], v[34:35], v[2:3]
	s_delay_alu instid0(VALU_DEP_2) | instskip(NEXT) | instid1(VALU_DEP_2)
	v_fma_f64 v[10:11], v[34:35], v[0:1], -v[10:11]
	v_fma_f64 v[12:13], v[36:37], v[0:1], v[12:13]
	s_delay_alu instid0(VALU_DEP_2) | instskip(NEXT) | instid1(VALU_DEP_2)
	v_add_f64 v[44:45], v[48:49], v[10:11]
	v_add_f64 v[18:19], v[18:19], v[12:13]
	ds_load_b128 v[10:13], v22 offset:1280
	s_waitcnt lgkmcnt(0)
	v_mul_f64 v[14:15], v[36:37], v[12:13]
	v_mul_f64 v[16:17], v[34:35], v[12:13]
	s_delay_alu instid0(VALU_DEP_2) | instskip(NEXT) | instid1(VALU_DEP_2)
	v_fma_f64 v[14:15], v[34:35], v[10:11], -v[14:15]
	v_fma_f64 v[16:17], v[36:37], v[10:11], v[16:17]
	s_delay_alu instid0(VALU_DEP_2) | instskip(NEXT) | instid1(VALU_DEP_2)
	v_add_f64 v[28:29], v[28:29], v[14:15]
	v_add_f64 v[26:27], v[26:27], v[16:17]
	ds_load_b128 v[14:17], v25 offset:2080
	s_waitcnt lgkmcnt(0)
	v_mul_f64 v[34:35], v[16:17], v[2:3]
	v_mul_f64 v[2:3], v[14:15], v[2:3]
	s_delay_alu instid0(VALU_DEP_2) | instskip(NEXT) | instid1(VALU_DEP_2)
	v_fma_f64 v[34:35], v[14:15], v[0:1], -v[34:35]
	v_fma_f64 v[0:1], v[16:17], v[0:1], v[2:3]
	v_mul_f64 v[2:3], v[14:15], v[12:13]
	s_delay_alu instid0(VALU_DEP_3) | instskip(NEXT) | instid1(VALU_DEP_3)
	v_add_f64 v[6:7], v[6:7], v[34:35]
	v_add_f64 v[30:31], v[30:31], v[0:1]
	v_mul_f64 v[0:1], v[16:17], v[12:13]
	s_delay_alu instid0(VALU_DEP_4) | instskip(NEXT) | instid1(VALU_DEP_2)
	v_fma_f64 v[2:3], v[16:17], v[10:11], v[2:3]
	v_fma_f64 v[0:1], v[14:15], v[10:11], -v[0:1]
	s_delay_alu instid0(VALU_DEP_2) | instskip(NEXT) | instid1(VALU_DEP_2)
	v_add_f64 v[34:35], v[42:43], v[2:3]
	;; [unrolled: 38-line block ×3, first 2 shown]
	v_add_f64 v[32:33], v[32:33], v[0:1]
	ds_load_b128 v[0:3], v25 offset:64
	ds_load_b128 v[10:13], v22 offset:2048
	s_waitcnt lgkmcnt(0)
	v_mul_f64 v[14:15], v[2:3], v[12:13]
	v_mul_f64 v[16:17], v[0:1], v[12:13]
	s_delay_alu instid0(VALU_DEP_2) | instskip(NEXT) | instid1(VALU_DEP_2)
	v_fma_f64 v[14:15], v[0:1], v[10:11], -v[14:15]
	v_fma_f64 v[16:17], v[2:3], v[10:11], v[16:17]
	s_delay_alu instid0(VALU_DEP_2) | instskip(NEXT) | instid1(VALU_DEP_2)
	v_add_f64 v[36:37], v[36:37], v[14:15]
	v_add_f64 v[18:19], v[18:19], v[16:17]
	ds_load_b128 v[14:17], v22 offset:2304
	s_waitcnt lgkmcnt(0)
	v_mul_f64 v[38:39], v[2:3], v[16:17]
	s_delay_alu instid0(VALU_DEP_1) | instskip(SKIP_1) | instid1(VALU_DEP_2)
	v_fma_f64 v[38:39], v[0:1], v[14:15], -v[38:39]
	v_mul_f64 v[0:1], v[0:1], v[16:17]
	v_add_f64 v[28:29], v[28:29], v[38:39]
	s_delay_alu instid0(VALU_DEP_2) | instskip(NEXT) | instid1(VALU_DEP_1)
	v_fma_f64 v[0:1], v[2:3], v[14:15], v[0:1]
	v_add_f64 v[26:27], v[26:27], v[0:1]
	ds_load_b128 v[0:3], v25 offset:2112
	s_waitcnt lgkmcnt(0)
	v_mul_f64 v[38:39], v[2:3], v[12:13]
	v_mul_f64 v[12:13], v[0:1], v[12:13]
	s_delay_alu instid0(VALU_DEP_2) | instskip(NEXT) | instid1(VALU_DEP_2)
	v_fma_f64 v[38:39], v[0:1], v[10:11], -v[38:39]
	v_fma_f64 v[10:11], v[2:3], v[10:11], v[12:13]
	s_delay_alu instid0(VALU_DEP_2) | instskip(NEXT) | instid1(VALU_DEP_2)
	v_add_f64 v[6:7], v[6:7], v[38:39]
	v_add_f64 v[30:31], v[30:31], v[10:11]
	v_mul_f64 v[10:11], v[2:3], v[16:17]
	s_delay_alu instid0(VALU_DEP_1) | instskip(SKIP_1) | instid1(VALU_DEP_2)
	v_fma_f64 v[10:11], v[0:1], v[14:15], -v[10:11]
	v_mul_f64 v[0:1], v[0:1], v[16:17]
	v_add_f64 v[32:33], v[32:33], v[10:11]
	s_delay_alu instid0(VALU_DEP_2) | instskip(NEXT) | instid1(VALU_DEP_1)
	v_fma_f64 v[0:1], v[2:3], v[14:15], v[0:1]
	v_add_f64 v[34:35], v[34:35], v[0:1]
	ds_load_b128 v[0:3], v25 offset:80
	ds_load_b128 v[10:13], v22 offset:2560
	s_waitcnt lgkmcnt(0)
	v_mul_f64 v[14:15], v[2:3], v[12:13]
	v_mul_f64 v[16:17], v[0:1], v[12:13]
	s_delay_alu instid0(VALU_DEP_2) | instskip(NEXT) | instid1(VALU_DEP_2)
	v_fma_f64 v[14:15], v[0:1], v[10:11], -v[14:15]
	v_fma_f64 v[16:17], v[2:3], v[10:11], v[16:17]
	s_delay_alu instid0(VALU_DEP_2) | instskip(NEXT) | instid1(VALU_DEP_2)
	v_add_f64 v[36:37], v[36:37], v[14:15]
	v_add_f64 v[18:19], v[18:19], v[16:17]
	ds_load_b128 v[14:17], v22 offset:2816
	s_waitcnt lgkmcnt(0)
	v_mul_f64 v[38:39], v[2:3], v[16:17]
	s_delay_alu instid0(VALU_DEP_1) | instskip(SKIP_1) | instid1(VALU_DEP_2)
	v_fma_f64 v[38:39], v[0:1], v[14:15], -v[38:39]
	v_mul_f64 v[0:1], v[0:1], v[16:17]
	v_add_f64 v[28:29], v[28:29], v[38:39]
	s_delay_alu instid0(VALU_DEP_2) | instskip(NEXT) | instid1(VALU_DEP_1)
	v_fma_f64 v[0:1], v[2:3], v[14:15], v[0:1]
	v_add_f64 v[26:27], v[26:27], v[0:1]
	ds_load_b128 v[0:3], v25 offset:2128
	s_waitcnt lgkmcnt(0)
	v_mul_f64 v[38:39], v[2:3], v[12:13]
	v_mul_f64 v[12:13], v[0:1], v[12:13]
	s_delay_alu instid0(VALU_DEP_2) | instskip(NEXT) | instid1(VALU_DEP_2)
	v_fma_f64 v[38:39], v[0:1], v[10:11], -v[38:39]
	v_fma_f64 v[10:11], v[2:3], v[10:11], v[12:13]
	s_delay_alu instid0(VALU_DEP_2) | instskip(NEXT) | instid1(VALU_DEP_2)
	v_add_f64 v[6:7], v[6:7], v[38:39]
	v_add_f64 v[30:31], v[30:31], v[10:11]
	v_mul_f64 v[10:11], v[2:3], v[16:17]
	s_delay_alu instid0(VALU_DEP_1) | instskip(SKIP_1) | instid1(VALU_DEP_2)
	v_fma_f64 v[10:11], v[0:1], v[14:15], -v[10:11]
	v_mul_f64 v[0:1], v[0:1], v[16:17]
	v_add_f64 v[32:33], v[32:33], v[10:11]
	s_delay_alu instid0(VALU_DEP_2) | instskip(NEXT) | instid1(VALU_DEP_1)
	v_fma_f64 v[0:1], v[2:3], v[14:15], v[0:1]
	v_add_f64 v[34:35], v[34:35], v[0:1]
	ds_load_b128 v[0:3], v25 offset:96
	ds_load_b128 v[10:13], v22 offset:3072
	s_waitcnt lgkmcnt(0)
	v_mul_f64 v[14:15], v[2:3], v[12:13]
	v_mul_f64 v[16:17], v[0:1], v[12:13]
	s_delay_alu instid0(VALU_DEP_2) | instskip(NEXT) | instid1(VALU_DEP_2)
	v_fma_f64 v[14:15], v[0:1], v[10:11], -v[14:15]
	v_fma_f64 v[16:17], v[2:3], v[10:11], v[16:17]
	s_delay_alu instid0(VALU_DEP_2) | instskip(NEXT) | instid1(VALU_DEP_2)
	v_add_f64 v[36:37], v[36:37], v[14:15]
	v_add_f64 v[18:19], v[18:19], v[16:17]
	ds_load_b128 v[14:17], v22 offset:3328
	s_waitcnt lgkmcnt(0)
	v_mul_f64 v[38:39], v[2:3], v[16:17]
	s_delay_alu instid0(VALU_DEP_1) | instskip(SKIP_1) | instid1(VALU_DEP_2)
	v_fma_f64 v[38:39], v[0:1], v[14:15], -v[38:39]
	v_mul_f64 v[0:1], v[0:1], v[16:17]
	v_add_f64 v[38:39], v[28:29], v[38:39]
	s_delay_alu instid0(VALU_DEP_2) | instskip(NEXT) | instid1(VALU_DEP_1)
	v_fma_f64 v[0:1], v[2:3], v[14:15], v[0:1]
	v_add_f64 v[40:41], v[26:27], v[0:1]
	ds_load_b128 v[0:3], v25 offset:2144
	s_waitcnt lgkmcnt(0)
	v_mul_f64 v[26:27], v[2:3], v[12:13]
	v_mul_f64 v[12:13], v[0:1], v[12:13]
	s_delay_alu instid0(VALU_DEP_2) | instskip(NEXT) | instid1(VALU_DEP_2)
	v_fma_f64 v[26:27], v[0:1], v[10:11], -v[26:27]
	v_fma_f64 v[10:11], v[2:3], v[10:11], v[12:13]
	s_delay_alu instid0(VALU_DEP_2) | instskip(NEXT) | instid1(VALU_DEP_2)
	v_add_f64 v[6:7], v[6:7], v[26:27]
	v_add_f64 v[42:43], v[30:31], v[10:11]
	v_mul_f64 v[10:11], v[2:3], v[16:17]
	s_delay_alu instid0(VALU_DEP_1) | instskip(SKIP_1) | instid1(VALU_DEP_2)
	v_fma_f64 v[10:11], v[0:1], v[14:15], -v[10:11]
	v_mul_f64 v[0:1], v[0:1], v[16:17]
	v_add_f64 v[44:45], v[32:33], v[10:11]
	s_delay_alu instid0(VALU_DEP_2)
	v_fma_f64 v[0:1], v[2:3], v[14:15], v[0:1]
	ds_load_b128 v[10:13], v25 offset:112
	ds_load_b128 v[14:17], v22 offset:3584
	;; [unrolled: 1-line block ×3, first 2 shown]
	s_waitcnt lgkmcnt(1)
	v_mul_f64 v[2:3], v[10:11], v[16:17]
	v_add_f64 v[34:35], v[34:35], v[0:1]
	v_mul_f64 v[0:1], v[12:13], v[16:17]
	s_delay_alu instid0(VALU_DEP_3) | instskip(NEXT) | instid1(VALU_DEP_2)
	v_fma_f64 v[26:27], v[12:13], v[14:15], v[2:3]
	v_fma_f64 v[0:1], v[10:11], v[14:15], -v[0:1]
	s_delay_alu instid0(VALU_DEP_2)
	v_add_f64 v[18:19], v[18:19], v[26:27]
	ds_load_b128 v[26:29], v22 offset:3840
	s_waitcnt lgkmcnt(0)
	s_barrier
	buffer_gl0_inv
	v_add_f64 v[2:3], v[36:37], v[0:1]
	v_mul_f64 v[0:1], v[12:13], v[28:29]
	s_delay_alu instid0(VALU_DEP_1) | instskip(SKIP_1) | instid1(VALU_DEP_2)
	v_fma_f64 v[0:1], v[10:11], v[26:27], -v[0:1]
	v_mul_f64 v[10:11], v[10:11], v[28:29]
	v_add_f64 v[0:1], v[38:39], v[0:1]
	s_delay_alu instid0(VALU_DEP_2) | instskip(NEXT) | instid1(VALU_DEP_1)
	v_fma_f64 v[10:11], v[12:13], v[26:27], v[10:11]
	v_add_f64 v[12:13], v[40:41], v[10:11]
	v_mul_f64 v[10:11], v[32:33], v[16:17]
	v_mul_f64 v[16:17], v[30:31], v[16:17]
	s_delay_alu instid0(VALU_DEP_2) | instskip(NEXT) | instid1(VALU_DEP_2)
	v_fma_f64 v[10:11], v[30:31], v[14:15], -v[10:11]
	v_fma_f64 v[14:15], v[32:33], v[14:15], v[16:17]
	s_delay_alu instid0(VALU_DEP_2) | instskip(NEXT) | instid1(VALU_DEP_2)
	v_add_f64 v[6:7], v[6:7], v[10:11]
	v_add_f64 v[16:17], v[42:43], v[14:15]
	v_mul_f64 v[10:11], v[32:33], v[28:29]
	v_mul_f64 v[14:15], v[30:31], v[28:29]
	s_delay_alu instid0(VALU_DEP_2) | instskip(NEXT) | instid1(VALU_DEP_2)
	v_fma_f64 v[10:11], v[30:31], v[26:27], -v[10:11]
	v_fma_f64 v[14:15], v[32:33], v[26:27], v[14:15]
	s_delay_alu instid0(VALU_DEP_2) | instskip(NEXT) | instid1(VALU_DEP_2)
	v_add_f64 v[10:11], v[44:45], v[10:11]
	v_add_f64 v[14:15], v[34:35], v[14:15]
	s_cbranch_scc0 .LBB403_2
.LBB403_3:
	s_clause 0x1
	s_load_b32 s3, s[0:1], 0x40
	s_load_b64 s[0:1], s[0:1], 0x48
	v_add_nc_u32_e32 v22, s13, v21
	v_add_nc_u32_e32 v20, s12, v20
	s_delay_alu instid0(VALU_DEP_2)
	v_cmp_gt_i32_e32 vcc_lo, s2, v22
	s_waitcnt lgkmcnt(0)
	v_mad_i64_i32 v[4:5], null, v22, s3, 0
	s_mul_i32 s1, s15, s1
	s_mul_hi_u32 s4, s15, s0
	s_mul_i32 s0, s15, s0
	s_add_i32 s1, s4, s1
	s_delay_alu instid0(SALU_CYCLE_1) | instskip(NEXT) | instid1(VALU_DEP_1)
	s_lshl_b64 s[4:5], s[0:1], 4
	v_lshlrev_b64 v[4:5], 4, v[4:5]
	s_add_u32 s4, s6, s4
	v_cmp_le_i32_e64 s0, v20, v22
	s_addc_u32 s5, s7, s5
	s_delay_alu instid0(VALU_DEP_2) | instskip(NEXT) | instid1(VALU_DEP_1)
	v_add_co_u32 v8, s1, s4, v4
	v_add_co_ci_u32_e64 v9, s1, s5, v5, s1
	s_delay_alu instid0(VALU_DEP_3) | instskip(NEXT) | instid1(SALU_CYCLE_1)
	s_and_b32 s0, vcc_lo, s0
	s_and_saveexec_b32 s6, s0
	s_cbranch_execz .LBB403_5
; %bb.4:
	v_ashrrev_i32_e32 v21, 31, v20
	v_cmp_ne_u32_e64 s0, v22, v20
	s_delay_alu instid0(VALU_DEP_2) | instskip(NEXT) | instid1(VALU_DEP_2)
	v_lshlrev_b64 v[23:24], 4, v[20:21]
	v_cndmask_b32_e64 v5, 0, v19, s0
	v_cndmask_b32_e64 v4, 0, v18, s0
	s_delay_alu instid0(VALU_DEP_3) | instskip(NEXT) | instid1(VALU_DEP_1)
	v_add_co_u32 v23, s1, v8, v23
	v_add_co_ci_u32_e64 v24, s1, v9, v24, s1
	global_store_b128 v[23:24], v[2:5], off
.LBB403_5:
	s_or_b32 exec_lo, exec_lo, s6
	v_add_nc_u32_e32 v4, 16, v20
	s_delay_alu instid0(VALU_DEP_1) | instskip(NEXT) | instid1(VALU_DEP_1)
	v_cmp_le_i32_e64 s0, v4, v22
	s_and_b32 s0, vcc_lo, s0
	s_delay_alu instid0(SALU_CYCLE_1)
	s_and_saveexec_b32 s1, s0
	s_cbranch_execz .LBB403_7
; %bb.6:
	v_ashrrev_i32_e32 v5, 31, v4
	v_cmp_ne_u32_e32 vcc_lo, v22, v4
	s_delay_alu instid0(VALU_DEP_2) | instskip(SKIP_1) | instid1(VALU_DEP_2)
	v_lshlrev_b64 v[18:19], 4, v[4:5]
	v_dual_cndmask_b32 v3, 0, v13 :: v_dual_cndmask_b32 v2, 0, v12
	v_add_co_u32 v8, s0, v8, v18
	s_delay_alu instid0(VALU_DEP_1)
	v_add_co_ci_u32_e64 v9, s0, v9, v19, s0
	global_store_b128 v[8:9], v[0:3], off
.LBB403_7:
	s_or_b32 exec_lo, exec_lo, s1
	v_add_nc_u32_e32 v2, 16, v22
	s_delay_alu instid0(VALU_DEP_1) | instskip(SKIP_2) | instid1(VALU_DEP_1)
	v_mad_i64_i32 v[0:1], null, v2, s3, 0
	v_cmp_gt_i32_e32 vcc_lo, s2, v2
	v_cmp_le_i32_e64 s0, v20, v2
	s_and_b32 s0, vcc_lo, s0
	s_delay_alu instid0(VALU_DEP_3) | instskip(NEXT) | instid1(VALU_DEP_1)
	v_lshlrev_b64 v[0:1], 4, v[0:1]
	v_add_co_u32 v0, s1, s4, v0
	s_delay_alu instid0(VALU_DEP_1)
	v_add_co_ci_u32_e64 v1, s1, s5, v1, s1
	s_and_saveexec_b32 s2, s0
	s_cbranch_execz .LBB403_9
; %bb.8:
	v_ashrrev_i32_e32 v21, 31, v20
	v_cmp_ne_u32_e64 s0, v2, v20
	s_delay_alu instid0(VALU_DEP_2) | instskip(NEXT) | instid1(VALU_DEP_2)
	v_lshlrev_b64 v[12:13], 4, v[20:21]
	v_cndmask_b32_e64 v9, 0, v17, s0
	v_cndmask_b32_e64 v8, 0, v16, s0
	s_delay_alu instid0(VALU_DEP_3) | instskip(NEXT) | instid1(VALU_DEP_1)
	v_add_co_u32 v12, s1, v0, v12
	v_add_co_ci_u32_e64 v13, s1, v1, v13, s1
	global_store_b128 v[12:13], v[6:9], off
.LBB403_9:
	s_or_b32 exec_lo, exec_lo, s2
	v_cmp_le_i32_e64 s0, v4, v2
	s_delay_alu instid0(VALU_DEP_1) | instskip(NEXT) | instid1(SALU_CYCLE_1)
	s_and_b32 s0, vcc_lo, s0
	s_and_saveexec_b32 s1, s0
	s_cbranch_execz .LBB403_11
; %bb.10:
	v_ashrrev_i32_e32 v5, 31, v4
	v_cmp_ne_u32_e32 vcc_lo, v22, v20
	s_delay_alu instid0(VALU_DEP_2) | instskip(SKIP_1) | instid1(VALU_DEP_2)
	v_lshlrev_b64 v[2:3], 4, v[4:5]
	v_dual_cndmask_b32 v13, 0, v15 :: v_dual_cndmask_b32 v12, 0, v14
	v_add_co_u32 v0, s0, v0, v2
	s_delay_alu instid0(VALU_DEP_1)
	v_add_co_ci_u32_e64 v1, s0, v1, v3, s0
	global_store_b128 v[0:1], v[10:13], off
.LBB403_11:
	s_nop 0
	s_sendmsg sendmsg(MSG_DEALLOC_VGPRS)
	s_endpgm
	.section	.rodata,"a",@progbits
	.p2align	6, 0x0
	.amdhsa_kernel _ZL37rocblas_syrkx_herkx_restricted_kernelIi19rocblas_complex_numIdELi16ELi32ELi8ELi1ELi0ELb1ELc67ELc85EKS1_S1_EviT_PT9_S3_lS5_S3_lPT10_S3_li
		.amdhsa_group_segment_fixed_size 8192
		.amdhsa_private_segment_fixed_size 0
		.amdhsa_kernarg_size 84
		.amdhsa_user_sgpr_count 13
		.amdhsa_user_sgpr_dispatch_ptr 0
		.amdhsa_user_sgpr_queue_ptr 0
		.amdhsa_user_sgpr_kernarg_segment_ptr 1
		.amdhsa_user_sgpr_dispatch_id 0
		.amdhsa_user_sgpr_private_segment_size 0
		.amdhsa_wavefront_size32 1
		.amdhsa_uses_dynamic_stack 0
		.amdhsa_enable_private_segment 0
		.amdhsa_system_sgpr_workgroup_id_x 1
		.amdhsa_system_sgpr_workgroup_id_y 1
		.amdhsa_system_sgpr_workgroup_id_z 1
		.amdhsa_system_sgpr_workgroup_info 0
		.amdhsa_system_vgpr_workitem_id 1
		.amdhsa_next_free_vgpr 52
		.amdhsa_next_free_sgpr 20
		.amdhsa_reserve_vcc 1
		.amdhsa_float_round_mode_32 0
		.amdhsa_float_round_mode_16_64 0
		.amdhsa_float_denorm_mode_32 3
		.amdhsa_float_denorm_mode_16_64 3
		.amdhsa_dx10_clamp 1
		.amdhsa_ieee_mode 1
		.amdhsa_fp16_overflow 0
		.amdhsa_workgroup_processor_mode 1
		.amdhsa_memory_ordered 1
		.amdhsa_forward_progress 0
		.amdhsa_shared_vgpr_count 0
		.amdhsa_exception_fp_ieee_invalid_op 0
		.amdhsa_exception_fp_denorm_src 0
		.amdhsa_exception_fp_ieee_div_zero 0
		.amdhsa_exception_fp_ieee_overflow 0
		.amdhsa_exception_fp_ieee_underflow 0
		.amdhsa_exception_fp_ieee_inexact 0
		.amdhsa_exception_int_div_zero 0
	.end_amdhsa_kernel
	.section	.text._ZL37rocblas_syrkx_herkx_restricted_kernelIi19rocblas_complex_numIdELi16ELi32ELi8ELi1ELi0ELb1ELc67ELc85EKS1_S1_EviT_PT9_S3_lS5_S3_lPT10_S3_li,"axG",@progbits,_ZL37rocblas_syrkx_herkx_restricted_kernelIi19rocblas_complex_numIdELi16ELi32ELi8ELi1ELi0ELb1ELc67ELc85EKS1_S1_EviT_PT9_S3_lS5_S3_lPT10_S3_li,comdat
.Lfunc_end403:
	.size	_ZL37rocblas_syrkx_herkx_restricted_kernelIi19rocblas_complex_numIdELi16ELi32ELi8ELi1ELi0ELb1ELc67ELc85EKS1_S1_EviT_PT9_S3_lS5_S3_lPT10_S3_li, .Lfunc_end403-_ZL37rocblas_syrkx_herkx_restricted_kernelIi19rocblas_complex_numIdELi16ELi32ELi8ELi1ELi0ELb1ELc67ELc85EKS1_S1_EviT_PT9_S3_lS5_S3_lPT10_S3_li
                                        ; -- End function
	.section	.AMDGPU.csdata,"",@progbits
; Kernel info:
; codeLenInByte = 3276
; NumSgprs: 22
; NumVgprs: 52
; ScratchSize: 0
; MemoryBound: 0
; FloatMode: 240
; IeeeMode: 1
; LDSByteSize: 8192 bytes/workgroup (compile time only)
; SGPRBlocks: 2
; VGPRBlocks: 6
; NumSGPRsForWavesPerEU: 22
; NumVGPRsForWavesPerEU: 52
; Occupancy: 16
; WaveLimiterHint : 0
; COMPUTE_PGM_RSRC2:SCRATCH_EN: 0
; COMPUTE_PGM_RSRC2:USER_SGPR: 13
; COMPUTE_PGM_RSRC2:TRAP_HANDLER: 0
; COMPUTE_PGM_RSRC2:TGID_X_EN: 1
; COMPUTE_PGM_RSRC2:TGID_Y_EN: 1
; COMPUTE_PGM_RSRC2:TGID_Z_EN: 1
; COMPUTE_PGM_RSRC2:TIDIG_COMP_CNT: 1
	.section	.text._ZL37rocblas_syrkx_herkx_restricted_kernelIi19rocblas_complex_numIdELi16ELi32ELi8ELi1ELi0ELb1ELc78ELc85EKS1_S1_EviT_PT9_S3_lS5_S3_lPT10_S3_li,"axG",@progbits,_ZL37rocblas_syrkx_herkx_restricted_kernelIi19rocblas_complex_numIdELi16ELi32ELi8ELi1ELi0ELb1ELc78ELc85EKS1_S1_EviT_PT9_S3_lS5_S3_lPT10_S3_li,comdat
	.globl	_ZL37rocblas_syrkx_herkx_restricted_kernelIi19rocblas_complex_numIdELi16ELi32ELi8ELi1ELi0ELb1ELc78ELc85EKS1_S1_EviT_PT9_S3_lS5_S3_lPT10_S3_li ; -- Begin function _ZL37rocblas_syrkx_herkx_restricted_kernelIi19rocblas_complex_numIdELi16ELi32ELi8ELi1ELi0ELb1ELc78ELc85EKS1_S1_EviT_PT9_S3_lS5_S3_lPT10_S3_li
	.p2align	8
	.type	_ZL37rocblas_syrkx_herkx_restricted_kernelIi19rocblas_complex_numIdELi16ELi32ELi8ELi1ELi0ELb1ELc78ELc85EKS1_S1_EviT_PT9_S3_lS5_S3_lPT10_S3_li,@function
_ZL37rocblas_syrkx_herkx_restricted_kernelIi19rocblas_complex_numIdELi16ELi32ELi8ELi1ELi0ELb1ELc78ELc85EKS1_S1_EviT_PT9_S3_lS5_S3_lPT10_S3_li: ; @_ZL37rocblas_syrkx_herkx_restricted_kernelIi19rocblas_complex_numIdELi16ELi32ELi8ELi1ELi0ELb1ELc78ELc85EKS1_S1_EviT_PT9_S3_lS5_S3_lPT10_S3_li
; %bb.0:
	s_clause 0x1
	s_load_b64 s[2:3], s[0:1], 0x0
	s_load_b128 s[4:7], s[0:1], 0x30
	v_mov_b32_e32 v2, 0
	v_dual_mov_b32 v3, 0 :: v_dual_and_b32 v20, 0x3ff, v0
	v_bfe_u32 v21, v0, 10, 10
	s_delay_alu instid0(VALU_DEP_3) | instskip(SKIP_1) | instid1(VALU_DEP_3)
	v_mov_b32_e32 v0, v2
	s_lshl_b32 s12, s13, 5
	v_mov_b32_e32 v1, v3
	v_dual_mov_b32 v19, v3 :: v_dual_mov_b32 v18, v2
	v_dual_mov_b32 v13, v3 :: v_dual_mov_b32 v12, v2
	v_dual_mov_b32 v7, v3 :: v_dual_mov_b32 v6, v2
	v_dual_mov_b32 v17, v3 :: v_dual_mov_b32 v16, v2
	v_dual_mov_b32 v11, v3 :: v_dual_mov_b32 v10, v2
	v_dual_mov_b32 v15, v3 :: v_dual_mov_b32 v14, v2
	s_lshl_b32 s13, s14, 5
	s_waitcnt lgkmcnt(0)
	s_cmp_lt_i32 s3, 1
	s_mov_b32 s14, 0
	s_cbranch_scc1 .LBB404_3
; %bb.1:
	s_clause 0x1
	s_load_b32 s16, s[0:1], 0x10
	s_load_b32 s18, s[0:1], 0x28
	v_lshl_add_u32 v0, v21, 4, v20
	v_and_b32_e32 v6, 7, v20
	v_mov_b32_e32 v14, 0
	v_mov_b32_e32 v15, 0
	s_clause 0x1
	s_load_b128 s[8:11], s[0:1], 0x18
	s_load_b64 s[20:21], s[0:1], 0x8
	v_lshrrev_b32_e32 v1, 3, v0
	v_and_b32_e32 v2, 31, v0
	v_dual_mov_b32 v10, v14 :: v_dual_lshlrev_b32 v3, 4, v6
	v_lshrrev_b32_e32 v7, 5, v0
	s_delay_alu instid0(VALU_DEP_4) | instskip(NEXT) | instid1(VALU_DEP_4)
	v_dual_mov_b32 v17, v15 :: v_dual_add_nc_u32 v0, s13, v1
	v_dual_mov_b32 v11, v15 :: v_dual_lshlrev_b32 v4, 4, v2
	v_add_nc_u32_e32 v2, s12, v2
	v_mov_b32_e32 v12, v14
	v_lshl_or_b32 v8, v1, 7, v3
	v_ashrrev_i32_e32 v1, 31, v0
	v_mov_b32_e32 v13, v15
	v_ashrrev_i32_e32 v3, 31, v2
	v_lshl_or_b32 v22, v7, 9, v4
	s_waitcnt lgkmcnt(0)
	s_ashr_i32 s17, s16, 31
	v_mad_i64_i32 v[4:5], null, s18, v6, v[0:1]
	v_mad_i64_i32 v[0:1], null, s16, v7, v[2:3]
	s_mul_i32 s9, s9, s15
	s_mul_hi_u32 s22, s8, s15
	s_mul_i32 s8, s8, s15
	s_add_i32 s9, s22, s9
	s_ashr_i32 s19, s18, 31
	s_lshl_b64 s[8:9], s[8:9], 4
	s_delay_alu instid0(VALU_DEP_1)
	v_lshlrev_b64 v[0:1], 4, v[0:1]
	s_add_u32 s8, s20, s8
	s_addc_u32 s9, s21, s9
	s_mul_i32 s5, s5, s15
	s_mul_hi_u32 s20, s4, s15
	s_mul_i32 s4, s4, s15
	v_add_co_u32 v2, vcc_lo, s8, v0
	v_add_co_ci_u32_e32 v3, vcc_lo, s9, v1, vcc_lo
	s_add_i32 s5, s20, s5
	v_lshlrev_b64 v[0:1], 4, v[4:5]
	s_lshl_b64 s[8:9], s[4:5], 4
	s_lshl_b64 s[4:5], s[16:17], 7
	s_add_u32 s8, s10, s8
	s_addc_u32 s9, s11, s9
	v_dual_mov_b32 v16, v14 :: v_dual_add_nc_u32 v23, 0x1000, v8
	v_add_co_u32 v0, vcc_lo, s8, v0
	v_add_co_ci_u32_e32 v1, vcc_lo, s9, v1, vcc_lo
	v_add_co_u32 v4, vcc_lo, v2, 8
	v_add_co_ci_u32_e32 v5, vcc_lo, 0, v3, vcc_lo
	s_delay_alu instid0(VALU_DEP_4) | instskip(NEXT) | instid1(VALU_DEP_4)
	v_add_co_u32 v8, vcc_lo, v0, 8
	v_add_co_ci_u32_e32 v9, vcc_lo, 0, v1, vcc_lo
	v_dual_mov_b32 v6, v14 :: v_dual_mov_b32 v19, v15
	v_mov_b32_e32 v0, v14
	v_mov_b32_e32 v2, v14
	v_dual_mov_b32 v1, v15 :: v_dual_lshlrev_b32 v24, 4, v20
	v_lshl_add_u32 v25, v21, 7, 0x1000
	v_dual_mov_b32 v7, v15 :: v_dual_mov_b32 v18, v14
	v_mov_b32_e32 v3, v15
	s_lshl_b64 s[8:9], s[18:19], 7
.LBB404_2:                              ; =>This Inner Loop Header: Depth=1
	global_load_b128 v[26:29], v[4:5], off offset:-8
	v_add_co_u32 v4, vcc_lo, v4, s4
	v_add_co_ci_u32_e32 v5, vcc_lo, s5, v5, vcc_lo
	s_add_i32 s14, s14, 8
	s_delay_alu instid0(SALU_CYCLE_1)
	s_cmp_ge_i32 s14, s3
	s_waitcnt vmcnt(0)
	ds_store_b128 v22, v[26:29]
	global_load_b128 v[26:29], v[8:9], off offset:-8
	v_add_co_u32 v8, vcc_lo, v8, s8
	v_add_co_ci_u32_e32 v9, vcc_lo, s9, v9, vcc_lo
	s_waitcnt vmcnt(0)
	v_xor_b32_e32 v29, 0x80000000, v29
	ds_store_b128 v23, v[26:29]
	s_waitcnt lgkmcnt(0)
	s_barrier
	buffer_gl0_inv
	ds_load_b128 v[26:29], v25
	ds_load_b128 v[30:33], v25 offset:16
	ds_load_b128 v[34:37], v25 offset:32
	;; [unrolled: 1-line block ×3, first 2 shown]
	ds_load_b128 v[42:45], v24
	s_waitcnt lgkmcnt(0)
	v_mul_f64 v[46:47], v[28:29], v[44:45]
	v_mul_f64 v[48:49], v[26:27], v[44:45]
	s_delay_alu instid0(VALU_DEP_2) | instskip(NEXT) | instid1(VALU_DEP_2)
	v_fma_f64 v[46:47], v[26:27], v[42:43], -v[46:47]
	v_fma_f64 v[48:49], v[28:29], v[42:43], v[48:49]
	s_delay_alu instid0(VALU_DEP_2) | instskip(NEXT) | instid1(VALU_DEP_2)
	v_add_f64 v[50:51], v[2:3], v[46:47]
	v_add_f64 v[18:19], v[18:19], v[48:49]
	ds_load_b128 v[46:49], v24 offset:256
	s_waitcnt lgkmcnt(0)
	v_mul_f64 v[2:3], v[28:29], v[48:49]
	s_delay_alu instid0(VALU_DEP_1) | instskip(SKIP_1) | instid1(VALU_DEP_1)
	v_fma_f64 v[2:3], v[26:27], v[46:47], -v[2:3]
	v_mul_f64 v[26:27], v[26:27], v[48:49]
	v_fma_f64 v[26:27], v[28:29], v[46:47], v[26:27]
	s_delay_alu instid0(VALU_DEP_3)
	v_add_f64 v[28:29], v[0:1], v[2:3]
	ds_load_b128 v[0:3], v25 offset:2048
	v_add_f64 v[26:27], v[12:13], v[26:27]
	s_waitcnt lgkmcnt(0)
	v_mul_f64 v[12:13], v[2:3], v[44:45]
	v_mul_f64 v[44:45], v[0:1], v[44:45]
	s_delay_alu instid0(VALU_DEP_2) | instskip(NEXT) | instid1(VALU_DEP_2)
	v_fma_f64 v[12:13], v[0:1], v[42:43], -v[12:13]
	v_fma_f64 v[42:43], v[2:3], v[42:43], v[44:45]
	s_delay_alu instid0(VALU_DEP_2) | instskip(SKIP_1) | instid1(VALU_DEP_3)
	v_add_f64 v[6:7], v[6:7], v[12:13]
	v_mul_f64 v[12:13], v[2:3], v[48:49]
	v_add_f64 v[42:43], v[16:17], v[42:43]
	s_delay_alu instid0(VALU_DEP_2) | instskip(SKIP_1) | instid1(VALU_DEP_2)
	v_fma_f64 v[12:13], v[0:1], v[46:47], -v[12:13]
	v_mul_f64 v[0:1], v[0:1], v[48:49]
	v_add_f64 v[44:45], v[10:11], v[12:13]
	s_delay_alu instid0(VALU_DEP_2) | instskip(NEXT) | instid1(VALU_DEP_1)
	v_fma_f64 v[0:1], v[2:3], v[46:47], v[0:1]
	v_add_f64 v[46:47], v[14:15], v[0:1]
	ds_load_b128 v[0:3], v24 offset:512
	s_waitcnt lgkmcnt(0)
	v_mul_f64 v[10:11], v[32:33], v[2:3]
	v_mul_f64 v[12:13], v[30:31], v[2:3]
	s_delay_alu instid0(VALU_DEP_2) | instskip(NEXT) | instid1(VALU_DEP_2)
	v_fma_f64 v[10:11], v[30:31], v[0:1], -v[10:11]
	v_fma_f64 v[12:13], v[32:33], v[0:1], v[12:13]
	s_delay_alu instid0(VALU_DEP_2) | instskip(NEXT) | instid1(VALU_DEP_2)
	v_add_f64 v[48:49], v[50:51], v[10:11]
	v_add_f64 v[18:19], v[18:19], v[12:13]
	ds_load_b128 v[10:13], v24 offset:768
	s_waitcnt lgkmcnt(0)
	v_mul_f64 v[14:15], v[32:33], v[12:13]
	v_mul_f64 v[16:17], v[30:31], v[12:13]
	s_delay_alu instid0(VALU_DEP_2) | instskip(NEXT) | instid1(VALU_DEP_2)
	v_fma_f64 v[14:15], v[30:31], v[10:11], -v[14:15]
	v_fma_f64 v[16:17], v[32:33], v[10:11], v[16:17]
	s_delay_alu instid0(VALU_DEP_2) | instskip(NEXT) | instid1(VALU_DEP_2)
	v_add_f64 v[28:29], v[28:29], v[14:15]
	v_add_f64 v[26:27], v[26:27], v[16:17]
	ds_load_b128 v[14:17], v25 offset:2064
	s_waitcnt lgkmcnt(0)
	v_mul_f64 v[30:31], v[16:17], v[2:3]
	v_mul_f64 v[2:3], v[14:15], v[2:3]
	s_delay_alu instid0(VALU_DEP_2) | instskip(NEXT) | instid1(VALU_DEP_2)
	v_fma_f64 v[30:31], v[14:15], v[0:1], -v[30:31]
	v_fma_f64 v[0:1], v[16:17], v[0:1], v[2:3]
	v_mul_f64 v[2:3], v[14:15], v[12:13]
	s_delay_alu instid0(VALU_DEP_3) | instskip(NEXT) | instid1(VALU_DEP_3)
	v_add_f64 v[6:7], v[6:7], v[30:31]
	v_add_f64 v[30:31], v[42:43], v[0:1]
	v_mul_f64 v[0:1], v[16:17], v[12:13]
	s_delay_alu instid0(VALU_DEP_4) | instskip(NEXT) | instid1(VALU_DEP_2)
	v_fma_f64 v[2:3], v[16:17], v[10:11], v[2:3]
	v_fma_f64 v[0:1], v[14:15], v[10:11], -v[0:1]
	s_delay_alu instid0(VALU_DEP_2) | instskip(NEXT) | instid1(VALU_DEP_2)
	v_add_f64 v[42:43], v[46:47], v[2:3]
	v_add_f64 v[32:33], v[44:45], v[0:1]
	ds_load_b128 v[0:3], v24 offset:1024
	s_waitcnt lgkmcnt(0)
	v_mul_f64 v[10:11], v[36:37], v[2:3]
	v_mul_f64 v[12:13], v[34:35], v[2:3]
	s_delay_alu instid0(VALU_DEP_2) | instskip(NEXT) | instid1(VALU_DEP_2)
	v_fma_f64 v[10:11], v[34:35], v[0:1], -v[10:11]
	v_fma_f64 v[12:13], v[36:37], v[0:1], v[12:13]
	s_delay_alu instid0(VALU_DEP_2) | instskip(NEXT) | instid1(VALU_DEP_2)
	v_add_f64 v[44:45], v[48:49], v[10:11]
	v_add_f64 v[18:19], v[18:19], v[12:13]
	ds_load_b128 v[10:13], v24 offset:1280
	s_waitcnt lgkmcnt(0)
	v_mul_f64 v[14:15], v[36:37], v[12:13]
	v_mul_f64 v[16:17], v[34:35], v[12:13]
	s_delay_alu instid0(VALU_DEP_2) | instskip(NEXT) | instid1(VALU_DEP_2)
	v_fma_f64 v[14:15], v[34:35], v[10:11], -v[14:15]
	v_fma_f64 v[16:17], v[36:37], v[10:11], v[16:17]
	s_delay_alu instid0(VALU_DEP_2) | instskip(NEXT) | instid1(VALU_DEP_2)
	v_add_f64 v[28:29], v[28:29], v[14:15]
	v_add_f64 v[26:27], v[26:27], v[16:17]
	ds_load_b128 v[14:17], v25 offset:2080
	s_waitcnt lgkmcnt(0)
	v_mul_f64 v[34:35], v[16:17], v[2:3]
	v_mul_f64 v[2:3], v[14:15], v[2:3]
	s_delay_alu instid0(VALU_DEP_2) | instskip(NEXT) | instid1(VALU_DEP_2)
	v_fma_f64 v[34:35], v[14:15], v[0:1], -v[34:35]
	v_fma_f64 v[0:1], v[16:17], v[0:1], v[2:3]
	v_mul_f64 v[2:3], v[14:15], v[12:13]
	s_delay_alu instid0(VALU_DEP_3) | instskip(NEXT) | instid1(VALU_DEP_3)
	v_add_f64 v[6:7], v[6:7], v[34:35]
	v_add_f64 v[30:31], v[30:31], v[0:1]
	v_mul_f64 v[0:1], v[16:17], v[12:13]
	s_delay_alu instid0(VALU_DEP_4) | instskip(NEXT) | instid1(VALU_DEP_2)
	v_fma_f64 v[2:3], v[16:17], v[10:11], v[2:3]
	v_fma_f64 v[0:1], v[14:15], v[10:11], -v[0:1]
	s_delay_alu instid0(VALU_DEP_2) | instskip(NEXT) | instid1(VALU_DEP_2)
	v_add_f64 v[34:35], v[42:43], v[2:3]
	v_add_f64 v[32:33], v[32:33], v[0:1]
	ds_load_b128 v[0:3], v24 offset:1536
	s_waitcnt lgkmcnt(0)
	v_mul_f64 v[10:11], v[40:41], v[2:3]
	v_mul_f64 v[12:13], v[38:39], v[2:3]
	s_delay_alu instid0(VALU_DEP_2) | instskip(NEXT) | instid1(VALU_DEP_2)
	v_fma_f64 v[10:11], v[38:39], v[0:1], -v[10:11]
	v_fma_f64 v[12:13], v[40:41], v[0:1], v[12:13]
	s_delay_alu instid0(VALU_DEP_2) | instskip(NEXT) | instid1(VALU_DEP_2)
	v_add_f64 v[36:37], v[44:45], v[10:11]
	v_add_f64 v[18:19], v[18:19], v[12:13]
	ds_load_b128 v[10:13], v24 offset:1792
	s_waitcnt lgkmcnt(0)
	v_mul_f64 v[14:15], v[40:41], v[12:13]
	v_mul_f64 v[16:17], v[38:39], v[12:13]
	s_delay_alu instid0(VALU_DEP_2) | instskip(NEXT) | instid1(VALU_DEP_2)
	v_fma_f64 v[14:15], v[38:39], v[10:11], -v[14:15]
	v_fma_f64 v[16:17], v[40:41], v[10:11], v[16:17]
	s_delay_alu instid0(VALU_DEP_2) | instskip(NEXT) | instid1(VALU_DEP_2)
	v_add_f64 v[28:29], v[28:29], v[14:15]
	v_add_f64 v[26:27], v[26:27], v[16:17]
	ds_load_b128 v[14:17], v25 offset:2096
	s_waitcnt lgkmcnt(0)
	v_mul_f64 v[38:39], v[16:17], v[2:3]
	v_mul_f64 v[2:3], v[14:15], v[2:3]
	s_delay_alu instid0(VALU_DEP_2) | instskip(NEXT) | instid1(VALU_DEP_2)
	v_fma_f64 v[38:39], v[14:15], v[0:1], -v[38:39]
	v_fma_f64 v[0:1], v[16:17], v[0:1], v[2:3]
	v_mul_f64 v[2:3], v[14:15], v[12:13]
	s_delay_alu instid0(VALU_DEP_3) | instskip(NEXT) | instid1(VALU_DEP_3)
	v_add_f64 v[6:7], v[6:7], v[38:39]
	v_add_f64 v[30:31], v[30:31], v[0:1]
	v_mul_f64 v[0:1], v[16:17], v[12:13]
	s_delay_alu instid0(VALU_DEP_4) | instskip(NEXT) | instid1(VALU_DEP_2)
	v_fma_f64 v[2:3], v[16:17], v[10:11], v[2:3]
	v_fma_f64 v[0:1], v[14:15], v[10:11], -v[0:1]
	s_delay_alu instid0(VALU_DEP_2) | instskip(NEXT) | instid1(VALU_DEP_2)
	v_add_f64 v[34:35], v[34:35], v[2:3]
	v_add_f64 v[32:33], v[32:33], v[0:1]
	ds_load_b128 v[0:3], v25 offset:64
	ds_load_b128 v[10:13], v24 offset:2048
	s_waitcnt lgkmcnt(0)
	v_mul_f64 v[14:15], v[2:3], v[12:13]
	v_mul_f64 v[16:17], v[0:1], v[12:13]
	s_delay_alu instid0(VALU_DEP_2) | instskip(NEXT) | instid1(VALU_DEP_2)
	v_fma_f64 v[14:15], v[0:1], v[10:11], -v[14:15]
	v_fma_f64 v[16:17], v[2:3], v[10:11], v[16:17]
	s_delay_alu instid0(VALU_DEP_2) | instskip(NEXT) | instid1(VALU_DEP_2)
	v_add_f64 v[36:37], v[36:37], v[14:15]
	v_add_f64 v[18:19], v[18:19], v[16:17]
	ds_load_b128 v[14:17], v24 offset:2304
	s_waitcnt lgkmcnt(0)
	v_mul_f64 v[38:39], v[2:3], v[16:17]
	s_delay_alu instid0(VALU_DEP_1) | instskip(SKIP_1) | instid1(VALU_DEP_2)
	v_fma_f64 v[38:39], v[0:1], v[14:15], -v[38:39]
	v_mul_f64 v[0:1], v[0:1], v[16:17]
	v_add_f64 v[28:29], v[28:29], v[38:39]
	s_delay_alu instid0(VALU_DEP_2) | instskip(NEXT) | instid1(VALU_DEP_1)
	v_fma_f64 v[0:1], v[2:3], v[14:15], v[0:1]
	v_add_f64 v[26:27], v[26:27], v[0:1]
	ds_load_b128 v[0:3], v25 offset:2112
	s_waitcnt lgkmcnt(0)
	v_mul_f64 v[38:39], v[2:3], v[12:13]
	v_mul_f64 v[12:13], v[0:1], v[12:13]
	s_delay_alu instid0(VALU_DEP_2) | instskip(NEXT) | instid1(VALU_DEP_2)
	v_fma_f64 v[38:39], v[0:1], v[10:11], -v[38:39]
	v_fma_f64 v[10:11], v[2:3], v[10:11], v[12:13]
	s_delay_alu instid0(VALU_DEP_2) | instskip(NEXT) | instid1(VALU_DEP_2)
	v_add_f64 v[6:7], v[6:7], v[38:39]
	v_add_f64 v[30:31], v[30:31], v[10:11]
	v_mul_f64 v[10:11], v[2:3], v[16:17]
	s_delay_alu instid0(VALU_DEP_1) | instskip(SKIP_1) | instid1(VALU_DEP_2)
	v_fma_f64 v[10:11], v[0:1], v[14:15], -v[10:11]
	v_mul_f64 v[0:1], v[0:1], v[16:17]
	v_add_f64 v[32:33], v[32:33], v[10:11]
	s_delay_alu instid0(VALU_DEP_2) | instskip(NEXT) | instid1(VALU_DEP_1)
	v_fma_f64 v[0:1], v[2:3], v[14:15], v[0:1]
	v_add_f64 v[34:35], v[34:35], v[0:1]
	ds_load_b128 v[0:3], v25 offset:80
	ds_load_b128 v[10:13], v24 offset:2560
	s_waitcnt lgkmcnt(0)
	v_mul_f64 v[14:15], v[2:3], v[12:13]
	v_mul_f64 v[16:17], v[0:1], v[12:13]
	s_delay_alu instid0(VALU_DEP_2) | instskip(NEXT) | instid1(VALU_DEP_2)
	v_fma_f64 v[14:15], v[0:1], v[10:11], -v[14:15]
	v_fma_f64 v[16:17], v[2:3], v[10:11], v[16:17]
	s_delay_alu instid0(VALU_DEP_2) | instskip(NEXT) | instid1(VALU_DEP_2)
	v_add_f64 v[36:37], v[36:37], v[14:15]
	v_add_f64 v[18:19], v[18:19], v[16:17]
	ds_load_b128 v[14:17], v24 offset:2816
	s_waitcnt lgkmcnt(0)
	v_mul_f64 v[38:39], v[2:3], v[16:17]
	s_delay_alu instid0(VALU_DEP_1) | instskip(SKIP_1) | instid1(VALU_DEP_2)
	v_fma_f64 v[38:39], v[0:1], v[14:15], -v[38:39]
	v_mul_f64 v[0:1], v[0:1], v[16:17]
	v_add_f64 v[28:29], v[28:29], v[38:39]
	s_delay_alu instid0(VALU_DEP_2) | instskip(NEXT) | instid1(VALU_DEP_1)
	v_fma_f64 v[0:1], v[2:3], v[14:15], v[0:1]
	v_add_f64 v[26:27], v[26:27], v[0:1]
	ds_load_b128 v[0:3], v25 offset:2128
	s_waitcnt lgkmcnt(0)
	v_mul_f64 v[38:39], v[2:3], v[12:13]
	v_mul_f64 v[12:13], v[0:1], v[12:13]
	s_delay_alu instid0(VALU_DEP_2) | instskip(NEXT) | instid1(VALU_DEP_2)
	v_fma_f64 v[38:39], v[0:1], v[10:11], -v[38:39]
	v_fma_f64 v[10:11], v[2:3], v[10:11], v[12:13]
	s_delay_alu instid0(VALU_DEP_2) | instskip(NEXT) | instid1(VALU_DEP_2)
	v_add_f64 v[6:7], v[6:7], v[38:39]
	v_add_f64 v[30:31], v[30:31], v[10:11]
	v_mul_f64 v[10:11], v[2:3], v[16:17]
	s_delay_alu instid0(VALU_DEP_1) | instskip(SKIP_1) | instid1(VALU_DEP_2)
	v_fma_f64 v[10:11], v[0:1], v[14:15], -v[10:11]
	v_mul_f64 v[0:1], v[0:1], v[16:17]
	v_add_f64 v[32:33], v[32:33], v[10:11]
	s_delay_alu instid0(VALU_DEP_2) | instskip(NEXT) | instid1(VALU_DEP_1)
	v_fma_f64 v[0:1], v[2:3], v[14:15], v[0:1]
	v_add_f64 v[34:35], v[34:35], v[0:1]
	ds_load_b128 v[0:3], v25 offset:96
	ds_load_b128 v[10:13], v24 offset:3072
	s_waitcnt lgkmcnt(0)
	v_mul_f64 v[14:15], v[2:3], v[12:13]
	v_mul_f64 v[16:17], v[0:1], v[12:13]
	s_delay_alu instid0(VALU_DEP_2) | instskip(NEXT) | instid1(VALU_DEP_2)
	v_fma_f64 v[14:15], v[0:1], v[10:11], -v[14:15]
	v_fma_f64 v[16:17], v[2:3], v[10:11], v[16:17]
	s_delay_alu instid0(VALU_DEP_2) | instskip(NEXT) | instid1(VALU_DEP_2)
	v_add_f64 v[36:37], v[36:37], v[14:15]
	v_add_f64 v[18:19], v[18:19], v[16:17]
	ds_load_b128 v[14:17], v24 offset:3328
	s_waitcnt lgkmcnt(0)
	v_mul_f64 v[38:39], v[2:3], v[16:17]
	s_delay_alu instid0(VALU_DEP_1) | instskip(SKIP_1) | instid1(VALU_DEP_2)
	v_fma_f64 v[38:39], v[0:1], v[14:15], -v[38:39]
	v_mul_f64 v[0:1], v[0:1], v[16:17]
	v_add_f64 v[38:39], v[28:29], v[38:39]
	s_delay_alu instid0(VALU_DEP_2) | instskip(NEXT) | instid1(VALU_DEP_1)
	v_fma_f64 v[0:1], v[2:3], v[14:15], v[0:1]
	v_add_f64 v[40:41], v[26:27], v[0:1]
	ds_load_b128 v[0:3], v25 offset:2144
	s_waitcnt lgkmcnt(0)
	v_mul_f64 v[26:27], v[2:3], v[12:13]
	v_mul_f64 v[12:13], v[0:1], v[12:13]
	s_delay_alu instid0(VALU_DEP_2) | instskip(NEXT) | instid1(VALU_DEP_2)
	v_fma_f64 v[26:27], v[0:1], v[10:11], -v[26:27]
	v_fma_f64 v[10:11], v[2:3], v[10:11], v[12:13]
	s_delay_alu instid0(VALU_DEP_2) | instskip(NEXT) | instid1(VALU_DEP_2)
	v_add_f64 v[6:7], v[6:7], v[26:27]
	v_add_f64 v[42:43], v[30:31], v[10:11]
	v_mul_f64 v[10:11], v[2:3], v[16:17]
	s_delay_alu instid0(VALU_DEP_1) | instskip(SKIP_1) | instid1(VALU_DEP_2)
	v_fma_f64 v[10:11], v[0:1], v[14:15], -v[10:11]
	v_mul_f64 v[0:1], v[0:1], v[16:17]
	v_add_f64 v[44:45], v[32:33], v[10:11]
	s_delay_alu instid0(VALU_DEP_2)
	v_fma_f64 v[0:1], v[2:3], v[14:15], v[0:1]
	ds_load_b128 v[10:13], v25 offset:112
	ds_load_b128 v[14:17], v24 offset:3584
	ds_load_b128 v[30:33], v25 offset:2160
	s_waitcnt lgkmcnt(1)
	v_mul_f64 v[2:3], v[10:11], v[16:17]
	v_add_f64 v[34:35], v[34:35], v[0:1]
	v_mul_f64 v[0:1], v[12:13], v[16:17]
	s_delay_alu instid0(VALU_DEP_3) | instskip(NEXT) | instid1(VALU_DEP_2)
	v_fma_f64 v[26:27], v[12:13], v[14:15], v[2:3]
	v_fma_f64 v[0:1], v[10:11], v[14:15], -v[0:1]
	s_delay_alu instid0(VALU_DEP_2)
	v_add_f64 v[18:19], v[18:19], v[26:27]
	ds_load_b128 v[26:29], v24 offset:3840
	s_waitcnt lgkmcnt(0)
	s_barrier
	buffer_gl0_inv
	v_add_f64 v[2:3], v[36:37], v[0:1]
	v_mul_f64 v[0:1], v[12:13], v[28:29]
	s_delay_alu instid0(VALU_DEP_1) | instskip(SKIP_1) | instid1(VALU_DEP_2)
	v_fma_f64 v[0:1], v[10:11], v[26:27], -v[0:1]
	v_mul_f64 v[10:11], v[10:11], v[28:29]
	v_add_f64 v[0:1], v[38:39], v[0:1]
	s_delay_alu instid0(VALU_DEP_2) | instskip(NEXT) | instid1(VALU_DEP_1)
	v_fma_f64 v[10:11], v[12:13], v[26:27], v[10:11]
	v_add_f64 v[12:13], v[40:41], v[10:11]
	v_mul_f64 v[10:11], v[32:33], v[16:17]
	v_mul_f64 v[16:17], v[30:31], v[16:17]
	s_delay_alu instid0(VALU_DEP_2) | instskip(NEXT) | instid1(VALU_DEP_2)
	v_fma_f64 v[10:11], v[30:31], v[14:15], -v[10:11]
	v_fma_f64 v[14:15], v[32:33], v[14:15], v[16:17]
	s_delay_alu instid0(VALU_DEP_2) | instskip(NEXT) | instid1(VALU_DEP_2)
	v_add_f64 v[6:7], v[6:7], v[10:11]
	v_add_f64 v[16:17], v[42:43], v[14:15]
	v_mul_f64 v[10:11], v[32:33], v[28:29]
	v_mul_f64 v[14:15], v[30:31], v[28:29]
	s_delay_alu instid0(VALU_DEP_2) | instskip(NEXT) | instid1(VALU_DEP_2)
	v_fma_f64 v[10:11], v[30:31], v[26:27], -v[10:11]
	v_fma_f64 v[14:15], v[32:33], v[26:27], v[14:15]
	s_delay_alu instid0(VALU_DEP_2) | instskip(NEXT) | instid1(VALU_DEP_2)
	v_add_f64 v[10:11], v[44:45], v[10:11]
	v_add_f64 v[14:15], v[34:35], v[14:15]
	s_cbranch_scc0 .LBB404_2
.LBB404_3:
	s_clause 0x1
	s_load_b32 s3, s[0:1], 0x40
	s_load_b64 s[0:1], s[0:1], 0x48
	v_add_nc_u32_e32 v22, s13, v21
	v_add_nc_u32_e32 v20, s12, v20
	s_delay_alu instid0(VALU_DEP_2)
	v_cmp_gt_i32_e32 vcc_lo, s2, v22
	s_waitcnt lgkmcnt(0)
	v_mad_i64_i32 v[4:5], null, v22, s3, 0
	s_mul_i32 s1, s15, s1
	s_mul_hi_u32 s4, s15, s0
	s_mul_i32 s0, s15, s0
	s_add_i32 s1, s4, s1
	s_delay_alu instid0(SALU_CYCLE_1) | instskip(NEXT) | instid1(VALU_DEP_1)
	s_lshl_b64 s[4:5], s[0:1], 4
	v_lshlrev_b64 v[4:5], 4, v[4:5]
	s_add_u32 s4, s6, s4
	v_cmp_le_i32_e64 s0, v20, v22
	s_addc_u32 s5, s7, s5
	s_delay_alu instid0(VALU_DEP_2) | instskip(NEXT) | instid1(VALU_DEP_1)
	v_add_co_u32 v8, s1, s4, v4
	v_add_co_ci_u32_e64 v9, s1, s5, v5, s1
	s_delay_alu instid0(VALU_DEP_3) | instskip(NEXT) | instid1(SALU_CYCLE_1)
	s_and_b32 s0, vcc_lo, s0
	s_and_saveexec_b32 s6, s0
	s_cbranch_execz .LBB404_5
; %bb.4:
	v_ashrrev_i32_e32 v21, 31, v20
	v_cmp_ne_u32_e64 s0, v22, v20
	s_delay_alu instid0(VALU_DEP_2) | instskip(NEXT) | instid1(VALU_DEP_2)
	v_lshlrev_b64 v[23:24], 4, v[20:21]
	v_cndmask_b32_e64 v5, 0, v19, s0
	v_cndmask_b32_e64 v4, 0, v18, s0
	s_delay_alu instid0(VALU_DEP_3) | instskip(NEXT) | instid1(VALU_DEP_1)
	v_add_co_u32 v23, s1, v8, v23
	v_add_co_ci_u32_e64 v24, s1, v9, v24, s1
	global_store_b128 v[23:24], v[2:5], off
.LBB404_5:
	s_or_b32 exec_lo, exec_lo, s6
	v_add_nc_u32_e32 v4, 16, v20
	s_delay_alu instid0(VALU_DEP_1) | instskip(NEXT) | instid1(VALU_DEP_1)
	v_cmp_le_i32_e64 s0, v4, v22
	s_and_b32 s0, vcc_lo, s0
	s_delay_alu instid0(SALU_CYCLE_1)
	s_and_saveexec_b32 s1, s0
	s_cbranch_execz .LBB404_7
; %bb.6:
	v_ashrrev_i32_e32 v5, 31, v4
	v_cmp_ne_u32_e32 vcc_lo, v22, v4
	s_delay_alu instid0(VALU_DEP_2) | instskip(SKIP_1) | instid1(VALU_DEP_2)
	v_lshlrev_b64 v[18:19], 4, v[4:5]
	v_dual_cndmask_b32 v3, 0, v13 :: v_dual_cndmask_b32 v2, 0, v12
	v_add_co_u32 v8, s0, v8, v18
	s_delay_alu instid0(VALU_DEP_1)
	v_add_co_ci_u32_e64 v9, s0, v9, v19, s0
	global_store_b128 v[8:9], v[0:3], off
.LBB404_7:
	s_or_b32 exec_lo, exec_lo, s1
	v_add_nc_u32_e32 v2, 16, v22
	s_delay_alu instid0(VALU_DEP_1) | instskip(SKIP_2) | instid1(VALU_DEP_1)
	v_mad_i64_i32 v[0:1], null, v2, s3, 0
	v_cmp_gt_i32_e32 vcc_lo, s2, v2
	v_cmp_le_i32_e64 s0, v20, v2
	s_and_b32 s0, vcc_lo, s0
	s_delay_alu instid0(VALU_DEP_3) | instskip(NEXT) | instid1(VALU_DEP_1)
	v_lshlrev_b64 v[0:1], 4, v[0:1]
	v_add_co_u32 v0, s1, s4, v0
	s_delay_alu instid0(VALU_DEP_1)
	v_add_co_ci_u32_e64 v1, s1, s5, v1, s1
	s_and_saveexec_b32 s2, s0
	s_cbranch_execz .LBB404_9
; %bb.8:
	v_ashrrev_i32_e32 v21, 31, v20
	v_cmp_ne_u32_e64 s0, v2, v20
	s_delay_alu instid0(VALU_DEP_2) | instskip(NEXT) | instid1(VALU_DEP_2)
	v_lshlrev_b64 v[12:13], 4, v[20:21]
	v_cndmask_b32_e64 v9, 0, v17, s0
	v_cndmask_b32_e64 v8, 0, v16, s0
	s_delay_alu instid0(VALU_DEP_3) | instskip(NEXT) | instid1(VALU_DEP_1)
	v_add_co_u32 v12, s1, v0, v12
	v_add_co_ci_u32_e64 v13, s1, v1, v13, s1
	global_store_b128 v[12:13], v[6:9], off
.LBB404_9:
	s_or_b32 exec_lo, exec_lo, s2
	v_cmp_le_i32_e64 s0, v4, v2
	s_delay_alu instid0(VALU_DEP_1) | instskip(NEXT) | instid1(SALU_CYCLE_1)
	s_and_b32 s0, vcc_lo, s0
	s_and_saveexec_b32 s1, s0
	s_cbranch_execz .LBB404_11
; %bb.10:
	v_ashrrev_i32_e32 v5, 31, v4
	v_cmp_ne_u32_e32 vcc_lo, v22, v20
	s_delay_alu instid0(VALU_DEP_2) | instskip(SKIP_1) | instid1(VALU_DEP_2)
	v_lshlrev_b64 v[2:3], 4, v[4:5]
	v_dual_cndmask_b32 v13, 0, v15 :: v_dual_cndmask_b32 v12, 0, v14
	v_add_co_u32 v0, s0, v0, v2
	s_delay_alu instid0(VALU_DEP_1)
	v_add_co_ci_u32_e64 v1, s0, v1, v3, s0
	global_store_b128 v[0:1], v[10:13], off
.LBB404_11:
	s_nop 0
	s_sendmsg sendmsg(MSG_DEALLOC_VGPRS)
	s_endpgm
	.section	.rodata,"a",@progbits
	.p2align	6, 0x0
	.amdhsa_kernel _ZL37rocblas_syrkx_herkx_restricted_kernelIi19rocblas_complex_numIdELi16ELi32ELi8ELi1ELi0ELb1ELc78ELc85EKS1_S1_EviT_PT9_S3_lS5_S3_lPT10_S3_li
		.amdhsa_group_segment_fixed_size 8192
		.amdhsa_private_segment_fixed_size 0
		.amdhsa_kernarg_size 84
		.amdhsa_user_sgpr_count 13
		.amdhsa_user_sgpr_dispatch_ptr 0
		.amdhsa_user_sgpr_queue_ptr 0
		.amdhsa_user_sgpr_kernarg_segment_ptr 1
		.amdhsa_user_sgpr_dispatch_id 0
		.amdhsa_user_sgpr_private_segment_size 0
		.amdhsa_wavefront_size32 1
		.amdhsa_uses_dynamic_stack 0
		.amdhsa_enable_private_segment 0
		.amdhsa_system_sgpr_workgroup_id_x 1
		.amdhsa_system_sgpr_workgroup_id_y 1
		.amdhsa_system_sgpr_workgroup_id_z 1
		.amdhsa_system_sgpr_workgroup_info 0
		.amdhsa_system_vgpr_workitem_id 1
		.amdhsa_next_free_vgpr 52
		.amdhsa_next_free_sgpr 23
		.amdhsa_reserve_vcc 1
		.amdhsa_float_round_mode_32 0
		.amdhsa_float_round_mode_16_64 0
		.amdhsa_float_denorm_mode_32 3
		.amdhsa_float_denorm_mode_16_64 3
		.amdhsa_dx10_clamp 1
		.amdhsa_ieee_mode 1
		.amdhsa_fp16_overflow 0
		.amdhsa_workgroup_processor_mode 1
		.amdhsa_memory_ordered 1
		.amdhsa_forward_progress 0
		.amdhsa_shared_vgpr_count 0
		.amdhsa_exception_fp_ieee_invalid_op 0
		.amdhsa_exception_fp_denorm_src 0
		.amdhsa_exception_fp_ieee_div_zero 0
		.amdhsa_exception_fp_ieee_overflow 0
		.amdhsa_exception_fp_ieee_underflow 0
		.amdhsa_exception_fp_ieee_inexact 0
		.amdhsa_exception_int_div_zero 0
	.end_amdhsa_kernel
	.section	.text._ZL37rocblas_syrkx_herkx_restricted_kernelIi19rocblas_complex_numIdELi16ELi32ELi8ELi1ELi0ELb1ELc78ELc85EKS1_S1_EviT_PT9_S3_lS5_S3_lPT10_S3_li,"axG",@progbits,_ZL37rocblas_syrkx_herkx_restricted_kernelIi19rocblas_complex_numIdELi16ELi32ELi8ELi1ELi0ELb1ELc78ELc85EKS1_S1_EviT_PT9_S3_lS5_S3_lPT10_S3_li,comdat
.Lfunc_end404:
	.size	_ZL37rocblas_syrkx_herkx_restricted_kernelIi19rocblas_complex_numIdELi16ELi32ELi8ELi1ELi0ELb1ELc78ELc85EKS1_S1_EviT_PT9_S3_lS5_S3_lPT10_S3_li, .Lfunc_end404-_ZL37rocblas_syrkx_herkx_restricted_kernelIi19rocblas_complex_numIdELi16ELi32ELi8ELi1ELi0ELb1ELc78ELc85EKS1_S1_EviT_PT9_S3_lS5_S3_lPT10_S3_li
                                        ; -- End function
	.section	.AMDGPU.csdata,"",@progbits
; Kernel info:
; codeLenInByte = 3276
; NumSgprs: 25
; NumVgprs: 52
; ScratchSize: 0
; MemoryBound: 0
; FloatMode: 240
; IeeeMode: 1
; LDSByteSize: 8192 bytes/workgroup (compile time only)
; SGPRBlocks: 3
; VGPRBlocks: 6
; NumSGPRsForWavesPerEU: 25
; NumVGPRsForWavesPerEU: 52
; Occupancy: 16
; WaveLimiterHint : 0
; COMPUTE_PGM_RSRC2:SCRATCH_EN: 0
; COMPUTE_PGM_RSRC2:USER_SGPR: 13
; COMPUTE_PGM_RSRC2:TRAP_HANDLER: 0
; COMPUTE_PGM_RSRC2:TGID_X_EN: 1
; COMPUTE_PGM_RSRC2:TGID_Y_EN: 1
; COMPUTE_PGM_RSRC2:TGID_Z_EN: 1
; COMPUTE_PGM_RSRC2:TIDIG_COMP_CNT: 1
	.section	.text._ZL37rocblas_syrkx_herkx_restricted_kernelIi19rocblas_complex_numIdELi16ELi32ELi8ELin1ELi0ELb1ELc84ELc76EKS1_S1_EviT_PT9_S3_lS5_S3_lPT10_S3_li,"axG",@progbits,_ZL37rocblas_syrkx_herkx_restricted_kernelIi19rocblas_complex_numIdELi16ELi32ELi8ELin1ELi0ELb1ELc84ELc76EKS1_S1_EviT_PT9_S3_lS5_S3_lPT10_S3_li,comdat
	.globl	_ZL37rocblas_syrkx_herkx_restricted_kernelIi19rocblas_complex_numIdELi16ELi32ELi8ELin1ELi0ELb1ELc84ELc76EKS1_S1_EviT_PT9_S3_lS5_S3_lPT10_S3_li ; -- Begin function _ZL37rocblas_syrkx_herkx_restricted_kernelIi19rocblas_complex_numIdELi16ELi32ELi8ELin1ELi0ELb1ELc84ELc76EKS1_S1_EviT_PT9_S3_lS5_S3_lPT10_S3_li
	.p2align	8
	.type	_ZL37rocblas_syrkx_herkx_restricted_kernelIi19rocblas_complex_numIdELi16ELi32ELi8ELin1ELi0ELb1ELc84ELc76EKS1_S1_EviT_PT9_S3_lS5_S3_lPT10_S3_li,@function
_ZL37rocblas_syrkx_herkx_restricted_kernelIi19rocblas_complex_numIdELi16ELi32ELi8ELin1ELi0ELb1ELc84ELc76EKS1_S1_EviT_PT9_S3_lS5_S3_lPT10_S3_li: ; @_ZL37rocblas_syrkx_herkx_restricted_kernelIi19rocblas_complex_numIdELi16ELi32ELi8ELin1ELi0ELb1ELc84ELc76EKS1_S1_EviT_PT9_S3_lS5_S3_lPT10_S3_li
; %bb.0:
	s_clause 0x1
	s_load_b64 s[2:3], s[0:1], 0x0
	s_load_b128 s[4:7], s[0:1], 0x30
	v_mov_b32_e32 v6, 0
	v_dual_mov_b32 v7, 0 :: v_dual_and_b32 v20, 0x3ff, v0
	v_bfe_u32 v21, v0, 10, 10
	s_delay_alu instid0(VALU_DEP_3) | instskip(NEXT) | instid1(VALU_DEP_3)
	v_mov_b32_e32 v0, v6
	v_dual_mov_b32 v4, v6 :: v_dual_mov_b32 v5, v7
	v_dual_mov_b32 v19, v7 :: v_dual_mov_b32 v18, v6
	v_mov_b32_e32 v1, v7
	v_dual_mov_b32 v13, v7 :: v_dual_mov_b32 v12, v6
	v_dual_mov_b32 v17, v7 :: v_dual_mov_b32 v16, v6
	;; [unrolled: 1-line block ×4, first 2 shown]
	s_lshl_b32 s12, s13, 5
	s_lshl_b32 s13, s14, 5
	s_waitcnt lgkmcnt(0)
	s_cmp_lt_i32 s3, 1
	s_mov_b32 s14, 0
	s_cbranch_scc1 .LBB405_3
; %bb.1:
	s_clause 0x1
	s_load_b32 s18, s[0:1], 0x10
	s_load_b128 s[8:11], s[0:1], 0x18
	v_lshl_add_u32 v2, v21, 4, v20
	s_clause 0x1
	s_load_b64 s[16:17], s[0:1], 0x8
	s_load_b32 s19, s[0:1], 0x28
	v_dual_mov_b32 v1, 0 :: v_dual_and_b32 v0, 7, v20
	v_dual_mov_b32 v14, 0 :: v_dual_and_b32 v5, 31, v2
	v_lshrrev_b32_e32 v4, 3, v2
	v_dual_mov_b32 v15, 0 :: v_dual_lshlrev_b32 v22, 4, v20
	s_delay_alu instid0(VALU_DEP_3) | instskip(NEXT) | instid1(VALU_DEP_4)
	v_dual_mov_b32 v10, v14 :: v_dual_lshlrev_b32 v3, 4, v0
	v_lshlrev_b32_e32 v6, 4, v5
	v_lshrrev_b32_e32 v2, 5, v2
	s_delay_alu instid0(VALU_DEP_4) | instskip(NEXT) | instid1(VALU_DEP_4)
	v_dual_mov_b32 v11, v15 :: v_dual_add_nc_u32 v8, s12, v5
	v_lshl_or_b32 v7, v4, 7, v3
	v_mov_b32_e32 v3, v1
	v_add_nc_u32_e32 v9, s13, v4
	v_dual_mov_b32 v17, v15 :: v_dual_mov_b32 v16, v14
	s_delay_alu instid0(VALU_DEP_4)
	v_add_nc_u32_e32 v24, 0x1000, v7
	s_waitcnt lgkmcnt(0)
	v_mad_i64_i32 v[4:5], null, s18, v8, v[2:3]
	v_lshl_or_b32 v23, v2, 9, v6
	s_mul_i32 s9, s9, s15
	s_mul_hi_u32 s18, s8, s15
	v_mad_i64_i32 v[2:3], null, s19, v9, v[0:1]
	s_mul_i32 s8, s8, s15
	s_add_i32 s9, s18, s9
	s_delay_alu instid0(VALU_DEP_3)
	v_lshlrev_b64 v[0:1], 4, v[4:5]
	s_lshl_b64 s[8:9], s[8:9], 4
	s_mul_i32 s5, s5, s15
	s_add_u32 s8, s16, s8
	s_mul_hi_u32 s16, s4, s15
	s_addc_u32 s9, s17, s9
	s_add_i32 s5, s16, s5
	s_mul_i32 s4, s4, s15
	v_lshlrev_b64 v[2:3], 4, v[2:3]
	s_lshl_b64 s[4:5], s[4:5], 4
	v_add_co_u32 v0, vcc_lo, s8, v0
	s_add_u32 s4, s10, s4
	v_add_co_ci_u32_e32 v1, vcc_lo, s9, v1, vcc_lo
	s_addc_u32 s5, s11, s5
	v_add_co_u32 v4, vcc_lo, s4, v2
	v_add_co_ci_u32_e32 v5, vcc_lo, s5, v3, vcc_lo
	v_add_co_u32 v2, vcc_lo, v0, 8
	v_add_co_ci_u32_e32 v3, vcc_lo, 0, v1, vcc_lo
	s_delay_alu instid0(VALU_DEP_4)
	v_add_co_u32 v8, vcc_lo, v4, 8
	v_lshl_add_u32 v25, v21, 7, 0x1000
	v_add_co_ci_u32_e32 v9, vcc_lo, 0, v5, vcc_lo
	v_dual_mov_b32 v4, v14 :: v_dual_mov_b32 v5, v15
	v_dual_mov_b32 v12, v14 :: v_dual_mov_b32 v13, v15
	;; [unrolled: 1-line block ×5, first 2 shown]
.LBB405_2:                              ; =>This Inner Loop Header: Depth=1
	global_load_b128 v[26:29], v[2:3], off offset:-8
	v_add_co_u32 v2, vcc_lo, 0x80, v2
	v_add_co_ci_u32_e32 v3, vcc_lo, 0, v3, vcc_lo
	s_add_i32 s14, s14, 8
	s_delay_alu instid0(SALU_CYCLE_1)
	s_cmp_ge_i32 s14, s3
	s_waitcnt vmcnt(0)
	ds_store_b128 v23, v[26:29]
	global_load_b128 v[26:29], v[8:9], off offset:-8
	v_add_co_u32 v8, vcc_lo, 0x80, v8
	v_add_co_ci_u32_e32 v9, vcc_lo, 0, v9, vcc_lo
	s_waitcnt vmcnt(0)
	ds_store_b128 v24, v[26:29]
	s_waitcnt lgkmcnt(0)
	s_barrier
	buffer_gl0_inv
	ds_load_b128 v[26:29], v25
	ds_load_b128 v[30:33], v25 offset:16
	ds_load_b128 v[34:37], v25 offset:32
	;; [unrolled: 1-line block ×3, first 2 shown]
	ds_load_b128 v[42:45], v22
	s_waitcnt lgkmcnt(0)
	v_mul_f64 v[46:47], v[28:29], v[44:45]
	v_mul_f64 v[48:49], v[26:27], v[44:45]
	s_delay_alu instid0(VALU_DEP_2) | instskip(NEXT) | instid1(VALU_DEP_2)
	v_fma_f64 v[46:47], v[26:27], v[42:43], -v[46:47]
	v_fma_f64 v[48:49], v[28:29], v[42:43], v[48:49]
	s_delay_alu instid0(VALU_DEP_2) | instskip(NEXT) | instid1(VALU_DEP_2)
	v_add_f64 v[50:51], v[6:7], v[46:47]
	v_add_f64 v[18:19], v[18:19], v[48:49]
	ds_load_b128 v[46:49], v22 offset:256
	s_waitcnt lgkmcnt(0)
	v_mul_f64 v[6:7], v[28:29], v[48:49]
	s_delay_alu instid0(VALU_DEP_1) | instskip(SKIP_1) | instid1(VALU_DEP_2)
	v_fma_f64 v[6:7], v[26:27], v[46:47], -v[6:7]
	v_mul_f64 v[26:27], v[26:27], v[48:49]
	v_add_f64 v[0:1], v[0:1], v[6:7]
	s_delay_alu instid0(VALU_DEP_2) | instskip(NEXT) | instid1(VALU_DEP_1)
	v_fma_f64 v[26:27], v[28:29], v[46:47], v[26:27]
	v_add_f64 v[52:53], v[12:13], v[26:27]
	ds_load_b128 v[26:29], v25 offset:2048
	s_waitcnt lgkmcnt(0)
	v_mul_f64 v[6:7], v[28:29], v[44:45]
	v_mul_f64 v[12:13], v[26:27], v[44:45]
	s_delay_alu instid0(VALU_DEP_2) | instskip(NEXT) | instid1(VALU_DEP_2)
	v_fma_f64 v[6:7], v[26:27], v[42:43], -v[6:7]
	v_fma_f64 v[12:13], v[28:29], v[42:43], v[12:13]
	s_delay_alu instid0(VALU_DEP_2) | instskip(SKIP_2) | instid1(VALU_DEP_4)
	v_add_f64 v[42:43], v[4:5], v[6:7]
	v_mul_f64 v[4:5], v[28:29], v[48:49]
	v_mul_f64 v[6:7], v[26:27], v[48:49]
	v_add_f64 v[44:45], v[16:17], v[12:13]
	s_delay_alu instid0(VALU_DEP_3) | instskip(NEXT) | instid1(VALU_DEP_3)
	v_fma_f64 v[4:5], v[26:27], v[46:47], -v[4:5]
	v_fma_f64 v[6:7], v[28:29], v[46:47], v[6:7]
	s_delay_alu instid0(VALU_DEP_2) | instskip(NEXT) | instid1(VALU_DEP_2)
	v_add_f64 v[26:27], v[10:11], v[4:5]
	v_add_f64 v[28:29], v[14:15], v[6:7]
	ds_load_b128 v[4:7], v22 offset:512
	s_waitcnt lgkmcnt(0)
	v_mul_f64 v[10:11], v[32:33], v[6:7]
	v_mul_f64 v[12:13], v[30:31], v[6:7]
	s_delay_alu instid0(VALU_DEP_2) | instskip(NEXT) | instid1(VALU_DEP_2)
	v_fma_f64 v[10:11], v[30:31], v[4:5], -v[10:11]
	v_fma_f64 v[12:13], v[32:33], v[4:5], v[12:13]
	s_delay_alu instid0(VALU_DEP_2) | instskip(NEXT) | instid1(VALU_DEP_2)
	v_add_f64 v[46:47], v[50:51], v[10:11]
	v_add_f64 v[18:19], v[18:19], v[12:13]
	ds_load_b128 v[10:13], v22 offset:768
	s_waitcnt lgkmcnt(0)
	v_mul_f64 v[14:15], v[32:33], v[12:13]
	v_mul_f64 v[16:17], v[30:31], v[12:13]
	s_delay_alu instid0(VALU_DEP_2) | instskip(NEXT) | instid1(VALU_DEP_2)
	v_fma_f64 v[14:15], v[30:31], v[10:11], -v[14:15]
	v_fma_f64 v[16:17], v[32:33], v[10:11], v[16:17]
	s_delay_alu instid0(VALU_DEP_2) | instskip(NEXT) | instid1(VALU_DEP_2)
	v_add_f64 v[0:1], v[0:1], v[14:15]
	v_add_f64 v[30:31], v[52:53], v[16:17]
	ds_load_b128 v[14:17], v25 offset:2064
	s_waitcnt lgkmcnt(0)
	v_mul_f64 v[32:33], v[16:17], v[6:7]
	v_mul_f64 v[6:7], v[14:15], v[6:7]
	s_delay_alu instid0(VALU_DEP_2) | instskip(NEXT) | instid1(VALU_DEP_2)
	v_fma_f64 v[32:33], v[14:15], v[4:5], -v[32:33]
	v_fma_f64 v[4:5], v[16:17], v[4:5], v[6:7]
	v_mul_f64 v[6:7], v[14:15], v[12:13]
	s_delay_alu instid0(VALU_DEP_3) | instskip(NEXT) | instid1(VALU_DEP_3)
	v_add_f64 v[32:33], v[42:43], v[32:33]
	v_add_f64 v[42:43], v[44:45], v[4:5]
	v_mul_f64 v[4:5], v[16:17], v[12:13]
	s_delay_alu instid0(VALU_DEP_4) | instskip(NEXT) | instid1(VALU_DEP_2)
	v_fma_f64 v[6:7], v[16:17], v[10:11], v[6:7]
	v_fma_f64 v[4:5], v[14:15], v[10:11], -v[4:5]
	s_delay_alu instid0(VALU_DEP_2) | instskip(NEXT) | instid1(VALU_DEP_2)
	v_add_f64 v[28:29], v[28:29], v[6:7]
	v_add_f64 v[26:27], v[26:27], v[4:5]
	ds_load_b128 v[4:7], v22 offset:1024
	s_waitcnt lgkmcnt(0)
	v_mul_f64 v[10:11], v[36:37], v[6:7]
	v_mul_f64 v[12:13], v[34:35], v[6:7]
	s_delay_alu instid0(VALU_DEP_2) | instskip(NEXT) | instid1(VALU_DEP_2)
	v_fma_f64 v[10:11], v[34:35], v[4:5], -v[10:11]
	v_fma_f64 v[12:13], v[36:37], v[4:5], v[12:13]
	s_delay_alu instid0(VALU_DEP_2) | instskip(NEXT) | instid1(VALU_DEP_2)
	v_add_f64 v[44:45], v[46:47], v[10:11]
	v_add_f64 v[18:19], v[18:19], v[12:13]
	ds_load_b128 v[10:13], v22 offset:1280
	s_waitcnt lgkmcnt(0)
	v_mul_f64 v[14:15], v[36:37], v[12:13]
	v_mul_f64 v[16:17], v[34:35], v[12:13]
	s_delay_alu instid0(VALU_DEP_2) | instskip(NEXT) | instid1(VALU_DEP_2)
	v_fma_f64 v[14:15], v[34:35], v[10:11], -v[14:15]
	v_fma_f64 v[16:17], v[36:37], v[10:11], v[16:17]
	;; [unrolled: 10-line block ×3, first 2 shown]
	v_mul_f64 v[6:7], v[14:15], v[12:13]
	s_delay_alu instid0(VALU_DEP_3) | instskip(NEXT) | instid1(VALU_DEP_3)
	v_add_f64 v[32:33], v[32:33], v[34:35]
	v_add_f64 v[34:35], v[42:43], v[4:5]
	v_mul_f64 v[4:5], v[16:17], v[12:13]
	s_delay_alu instid0(VALU_DEP_4) | instskip(NEXT) | instid1(VALU_DEP_2)
	v_fma_f64 v[6:7], v[16:17], v[10:11], v[6:7]
	v_fma_f64 v[4:5], v[14:15], v[10:11], -v[4:5]
	s_delay_alu instid0(VALU_DEP_2) | instskip(NEXT) | instid1(VALU_DEP_2)
	v_add_f64 v[28:29], v[28:29], v[6:7]
	v_add_f64 v[26:27], v[26:27], v[4:5]
	ds_load_b128 v[4:7], v22 offset:1536
	s_waitcnt lgkmcnt(0)
	v_mul_f64 v[10:11], v[40:41], v[6:7]
	v_mul_f64 v[12:13], v[38:39], v[6:7]
	s_delay_alu instid0(VALU_DEP_2) | instskip(NEXT) | instid1(VALU_DEP_2)
	v_fma_f64 v[10:11], v[38:39], v[4:5], -v[10:11]
	v_fma_f64 v[12:13], v[40:41], v[4:5], v[12:13]
	s_delay_alu instid0(VALU_DEP_2) | instskip(NEXT) | instid1(VALU_DEP_2)
	v_add_f64 v[36:37], v[44:45], v[10:11]
	v_add_f64 v[18:19], v[18:19], v[12:13]
	ds_load_b128 v[10:13], v22 offset:1792
	s_waitcnt lgkmcnt(0)
	v_mul_f64 v[14:15], v[40:41], v[12:13]
	v_mul_f64 v[16:17], v[38:39], v[12:13]
	s_delay_alu instid0(VALU_DEP_2) | instskip(NEXT) | instid1(VALU_DEP_2)
	v_fma_f64 v[14:15], v[38:39], v[10:11], -v[14:15]
	v_fma_f64 v[16:17], v[40:41], v[10:11], v[16:17]
	;; [unrolled: 10-line block ×3, first 2 shown]
	v_mul_f64 v[6:7], v[14:15], v[12:13]
	s_delay_alu instid0(VALU_DEP_3) | instskip(NEXT) | instid1(VALU_DEP_3)
	v_add_f64 v[32:33], v[32:33], v[38:39]
	v_add_f64 v[34:35], v[34:35], v[4:5]
	v_mul_f64 v[4:5], v[16:17], v[12:13]
	s_delay_alu instid0(VALU_DEP_4) | instskip(NEXT) | instid1(VALU_DEP_2)
	v_fma_f64 v[6:7], v[16:17], v[10:11], v[6:7]
	v_fma_f64 v[4:5], v[14:15], v[10:11], -v[4:5]
	s_delay_alu instid0(VALU_DEP_2) | instskip(NEXT) | instid1(VALU_DEP_2)
	v_add_f64 v[28:29], v[28:29], v[6:7]
	v_add_f64 v[26:27], v[26:27], v[4:5]
	ds_load_b128 v[4:7], v25 offset:64
	ds_load_b128 v[10:13], v22 offset:2048
	s_waitcnt lgkmcnt(0)
	v_mul_f64 v[14:15], v[6:7], v[12:13]
	v_mul_f64 v[16:17], v[4:5], v[12:13]
	s_delay_alu instid0(VALU_DEP_2) | instskip(NEXT) | instid1(VALU_DEP_2)
	v_fma_f64 v[14:15], v[4:5], v[10:11], -v[14:15]
	v_fma_f64 v[16:17], v[6:7], v[10:11], v[16:17]
	s_delay_alu instid0(VALU_DEP_2) | instskip(NEXT) | instid1(VALU_DEP_2)
	v_add_f64 v[36:37], v[36:37], v[14:15]
	v_add_f64 v[18:19], v[18:19], v[16:17]
	ds_load_b128 v[14:17], v22 offset:2304
	s_waitcnt lgkmcnt(0)
	v_mul_f64 v[38:39], v[6:7], v[16:17]
	s_delay_alu instid0(VALU_DEP_1) | instskip(SKIP_1) | instid1(VALU_DEP_2)
	v_fma_f64 v[38:39], v[4:5], v[14:15], -v[38:39]
	v_mul_f64 v[4:5], v[4:5], v[16:17]
	v_add_f64 v[0:1], v[0:1], v[38:39]
	s_delay_alu instid0(VALU_DEP_2) | instskip(NEXT) | instid1(VALU_DEP_1)
	v_fma_f64 v[4:5], v[6:7], v[14:15], v[4:5]
	v_add_f64 v[30:31], v[30:31], v[4:5]
	ds_load_b128 v[4:7], v25 offset:2112
	s_waitcnt lgkmcnt(0)
	v_mul_f64 v[38:39], v[6:7], v[12:13]
	v_mul_f64 v[12:13], v[4:5], v[12:13]
	s_delay_alu instid0(VALU_DEP_2) | instskip(NEXT) | instid1(VALU_DEP_2)
	v_fma_f64 v[38:39], v[4:5], v[10:11], -v[38:39]
	v_fma_f64 v[10:11], v[6:7], v[10:11], v[12:13]
	s_delay_alu instid0(VALU_DEP_2) | instskip(NEXT) | instid1(VALU_DEP_2)
	v_add_f64 v[32:33], v[32:33], v[38:39]
	v_add_f64 v[34:35], v[34:35], v[10:11]
	v_mul_f64 v[10:11], v[6:7], v[16:17]
	s_delay_alu instid0(VALU_DEP_1) | instskip(SKIP_1) | instid1(VALU_DEP_2)
	v_fma_f64 v[10:11], v[4:5], v[14:15], -v[10:11]
	v_mul_f64 v[4:5], v[4:5], v[16:17]
	v_add_f64 v[26:27], v[26:27], v[10:11]
	s_delay_alu instid0(VALU_DEP_2) | instskip(NEXT) | instid1(VALU_DEP_1)
	v_fma_f64 v[4:5], v[6:7], v[14:15], v[4:5]
	v_add_f64 v[28:29], v[28:29], v[4:5]
	ds_load_b128 v[4:7], v25 offset:80
	ds_load_b128 v[10:13], v22 offset:2560
	s_waitcnt lgkmcnt(0)
	v_mul_f64 v[14:15], v[6:7], v[12:13]
	v_mul_f64 v[16:17], v[4:5], v[12:13]
	s_delay_alu instid0(VALU_DEP_2) | instskip(NEXT) | instid1(VALU_DEP_2)
	v_fma_f64 v[14:15], v[4:5], v[10:11], -v[14:15]
	v_fma_f64 v[16:17], v[6:7], v[10:11], v[16:17]
	s_delay_alu instid0(VALU_DEP_2) | instskip(NEXT) | instid1(VALU_DEP_2)
	v_add_f64 v[36:37], v[36:37], v[14:15]
	v_add_f64 v[18:19], v[18:19], v[16:17]
	ds_load_b128 v[14:17], v22 offset:2816
	s_waitcnt lgkmcnt(0)
	v_mul_f64 v[38:39], v[6:7], v[16:17]
	s_delay_alu instid0(VALU_DEP_1) | instskip(SKIP_1) | instid1(VALU_DEP_2)
	v_fma_f64 v[38:39], v[4:5], v[14:15], -v[38:39]
	v_mul_f64 v[4:5], v[4:5], v[16:17]
	v_add_f64 v[0:1], v[0:1], v[38:39]
	s_delay_alu instid0(VALU_DEP_2) | instskip(NEXT) | instid1(VALU_DEP_1)
	v_fma_f64 v[4:5], v[6:7], v[14:15], v[4:5]
	v_add_f64 v[30:31], v[30:31], v[4:5]
	ds_load_b128 v[4:7], v25 offset:2128
	s_waitcnt lgkmcnt(0)
	v_mul_f64 v[38:39], v[6:7], v[12:13]
	v_mul_f64 v[12:13], v[4:5], v[12:13]
	s_delay_alu instid0(VALU_DEP_2) | instskip(NEXT) | instid1(VALU_DEP_2)
	v_fma_f64 v[38:39], v[4:5], v[10:11], -v[38:39]
	v_fma_f64 v[10:11], v[6:7], v[10:11], v[12:13]
	s_delay_alu instid0(VALU_DEP_2) | instskip(NEXT) | instid1(VALU_DEP_2)
	v_add_f64 v[32:33], v[32:33], v[38:39]
	v_add_f64 v[34:35], v[34:35], v[10:11]
	v_mul_f64 v[10:11], v[6:7], v[16:17]
	s_delay_alu instid0(VALU_DEP_1) | instskip(SKIP_1) | instid1(VALU_DEP_2)
	v_fma_f64 v[10:11], v[4:5], v[14:15], -v[10:11]
	v_mul_f64 v[4:5], v[4:5], v[16:17]
	v_add_f64 v[26:27], v[26:27], v[10:11]
	s_delay_alu instid0(VALU_DEP_2) | instskip(NEXT) | instid1(VALU_DEP_1)
	v_fma_f64 v[4:5], v[6:7], v[14:15], v[4:5]
	v_add_f64 v[28:29], v[28:29], v[4:5]
	ds_load_b128 v[4:7], v25 offset:96
	ds_load_b128 v[10:13], v22 offset:3072
	s_waitcnt lgkmcnt(0)
	v_mul_f64 v[14:15], v[6:7], v[12:13]
	v_mul_f64 v[16:17], v[4:5], v[12:13]
	s_delay_alu instid0(VALU_DEP_2) | instskip(NEXT) | instid1(VALU_DEP_2)
	v_fma_f64 v[14:15], v[4:5], v[10:11], -v[14:15]
	v_fma_f64 v[16:17], v[6:7], v[10:11], v[16:17]
	s_delay_alu instid0(VALU_DEP_2) | instskip(NEXT) | instid1(VALU_DEP_2)
	v_add_f64 v[36:37], v[36:37], v[14:15]
	v_add_f64 v[18:19], v[18:19], v[16:17]
	ds_load_b128 v[14:17], v22 offset:3328
	s_waitcnt lgkmcnt(0)
	v_mul_f64 v[38:39], v[6:7], v[16:17]
	s_delay_alu instid0(VALU_DEP_1) | instskip(SKIP_1) | instid1(VALU_DEP_2)
	v_fma_f64 v[38:39], v[4:5], v[14:15], -v[38:39]
	v_mul_f64 v[4:5], v[4:5], v[16:17]
	v_add_f64 v[0:1], v[0:1], v[38:39]
	s_delay_alu instid0(VALU_DEP_2) | instskip(NEXT) | instid1(VALU_DEP_1)
	v_fma_f64 v[4:5], v[6:7], v[14:15], v[4:5]
	v_add_f64 v[30:31], v[30:31], v[4:5]
	ds_load_b128 v[4:7], v25 offset:2144
	s_waitcnt lgkmcnt(0)
	v_mul_f64 v[38:39], v[6:7], v[12:13]
	v_mul_f64 v[12:13], v[4:5], v[12:13]
	s_delay_alu instid0(VALU_DEP_2) | instskip(NEXT) | instid1(VALU_DEP_2)
	v_fma_f64 v[38:39], v[4:5], v[10:11], -v[38:39]
	v_fma_f64 v[10:11], v[6:7], v[10:11], v[12:13]
	s_delay_alu instid0(VALU_DEP_2) | instskip(NEXT) | instid1(VALU_DEP_2)
	v_add_f64 v[38:39], v[32:33], v[38:39]
	v_add_f64 v[34:35], v[34:35], v[10:11]
	v_mul_f64 v[10:11], v[6:7], v[16:17]
	s_delay_alu instid0(VALU_DEP_1) | instskip(SKIP_1) | instid1(VALU_DEP_2)
	v_fma_f64 v[10:11], v[4:5], v[14:15], -v[10:11]
	v_mul_f64 v[4:5], v[4:5], v[16:17]
	v_add_f64 v[40:41], v[26:27], v[10:11]
	s_delay_alu instid0(VALU_DEP_2)
	v_fma_f64 v[4:5], v[6:7], v[14:15], v[4:5]
	ds_load_b128 v[10:13], v25 offset:112
	ds_load_b128 v[14:17], v22 offset:3584
	s_waitcnt lgkmcnt(0)
	v_mul_f64 v[6:7], v[10:11], v[16:17]
	v_add_f64 v[42:43], v[28:29], v[4:5]
	v_mul_f64 v[4:5], v[12:13], v[16:17]
	s_delay_alu instid0(VALU_DEP_3) | instskip(NEXT) | instid1(VALU_DEP_2)
	v_fma_f64 v[26:27], v[12:13], v[14:15], v[6:7]
	v_fma_f64 v[4:5], v[10:11], v[14:15], -v[4:5]
	s_delay_alu instid0(VALU_DEP_2) | instskip(SKIP_4) | instid1(VALU_DEP_1)
	v_add_f64 v[18:19], v[18:19], v[26:27]
	ds_load_b128 v[26:29], v22 offset:3840
	v_add_f64 v[6:7], v[36:37], v[4:5]
	s_waitcnt lgkmcnt(0)
	v_mul_f64 v[4:5], v[12:13], v[28:29]
	v_fma_f64 v[4:5], v[10:11], v[26:27], -v[4:5]
	v_mul_f64 v[10:11], v[10:11], v[28:29]
	s_delay_alu instid0(VALU_DEP_2) | instskip(NEXT) | instid1(VALU_DEP_2)
	v_add_f64 v[0:1], v[0:1], v[4:5]
	v_fma_f64 v[10:11], v[12:13], v[26:27], v[10:11]
	s_delay_alu instid0(VALU_DEP_1)
	v_add_f64 v[12:13], v[30:31], v[10:11]
	ds_load_b128 v[30:33], v25 offset:2160
	s_waitcnt lgkmcnt(0)
	s_barrier
	buffer_gl0_inv
	v_mul_f64 v[10:11], v[30:31], v[16:17]
	v_mul_f64 v[4:5], v[32:33], v[16:17]
	s_delay_alu instid0(VALU_DEP_2) | instskip(NEXT) | instid1(VALU_DEP_2)
	v_fma_f64 v[10:11], v[32:33], v[14:15], v[10:11]
	v_fma_f64 v[4:5], v[30:31], v[14:15], -v[4:5]
	v_mul_f64 v[14:15], v[30:31], v[28:29]
	s_delay_alu instid0(VALU_DEP_3) | instskip(SKIP_1) | instid1(VALU_DEP_3)
	v_add_f64 v[16:17], v[34:35], v[10:11]
	v_mul_f64 v[10:11], v[32:33], v[28:29]
	v_fma_f64 v[14:15], v[32:33], v[26:27], v[14:15]
	v_add_f64 v[4:5], v[38:39], v[4:5]
	s_delay_alu instid0(VALU_DEP_3) | instskip(NEXT) | instid1(VALU_DEP_3)
	v_fma_f64 v[10:11], v[30:31], v[26:27], -v[10:11]
	v_add_f64 v[14:15], v[42:43], v[14:15]
	s_delay_alu instid0(VALU_DEP_2)
	v_add_f64 v[10:11], v[40:41], v[10:11]
	s_cbranch_scc0 .LBB405_2
.LBB405_3:
	s_clause 0x1
	s_load_b32 s3, s[0:1], 0x40
	s_load_b64 s[4:5], s[0:1], 0x48
	v_add_nc_u32_e32 v22, s13, v21
	v_add_nc_u32_e32 v20, s12, v20
	s_delay_alu instid0(VALU_DEP_1)
	v_cmp_le_i32_e64 s0, v22, v20
	v_cmp_gt_i32_e32 vcc_lo, s2, v20
	s_waitcnt lgkmcnt(0)
	v_mad_i64_i32 v[2:3], null, v22, s3, 0
	s_mul_i32 s1, s15, s5
	s_mul_hi_u32 s5, s15, s4
	s_mul_i32 s4, s15, s4
	s_add_i32 s5, s5, s1
	s_delay_alu instid0(SALU_CYCLE_1) | instskip(NEXT) | instid1(VALU_DEP_1)
	s_lshl_b64 s[4:5], s[4:5], 4
	v_lshlrev_b64 v[2:3], 4, v[2:3]
	s_add_u32 s4, s6, s4
	s_addc_u32 s5, s7, s5
	s_and_b32 s0, s0, vcc_lo
	s_delay_alu instid0(VALU_DEP_1) | instskip(NEXT) | instid1(VALU_DEP_1)
	v_add_co_u32 v2, s1, s4, v2
	v_add_co_ci_u32_e64 v23, s1, s5, v3, s1
	s_and_saveexec_b32 s6, s0
	s_cbranch_execz .LBB405_5
; %bb.4:
	v_ashrrev_i32_e32 v21, 31, v20
	v_cmp_ne_u32_e64 s0, v22, v20
	v_xor_b32_e32 v7, 0x80000000, v7
	s_delay_alu instid0(VALU_DEP_3) | instskip(NEXT) | instid1(VALU_DEP_3)
	v_lshlrev_b64 v[24:25], 4, v[20:21]
	v_cndmask_b32_e64 v9, 0, -v19, s0
	v_cndmask_b32_e64 v8, 0, v18, s0
	s_delay_alu instid0(VALU_DEP_3) | instskip(NEXT) | instid1(VALU_DEP_1)
	v_add_co_u32 v24, s1, v2, v24
	v_add_co_ci_u32_e64 v25, s1, v23, v25, s1
	global_store_b128 v[24:25], v[6:9], off
.LBB405_5:
	s_or_b32 exec_lo, exec_lo, s6
	v_add_nc_u32_e32 v8, 16, v20
	s_delay_alu instid0(VALU_DEP_1) | instskip(SKIP_1) | instid1(VALU_DEP_1)
	v_cmp_le_i32_e64 s1, v22, v8
	v_cmp_gt_i32_e64 s0, s2, v8
	s_and_b32 s1, s1, s0
	s_delay_alu instid0(SALU_CYCLE_1)
	s_and_saveexec_b32 s6, s1
	s_cbranch_execz .LBB405_7
; %bb.6:
	v_ashrrev_i32_e32 v9, 31, v8
	v_cmp_ne_u32_e64 s1, v22, v8
	v_xor_b32_e32 v1, 0x80000000, v1
	s_delay_alu instid0(VALU_DEP_3) | instskip(NEXT) | instid1(VALU_DEP_3)
	v_lshlrev_b64 v[6:7], 4, v[8:9]
	v_cndmask_b32_e64 v3, 0, -v13, s1
	s_delay_alu instid0(VALU_DEP_2) | instskip(NEXT) | instid1(VALU_DEP_1)
	v_add_co_u32 v6, s2, v2, v6
	v_add_co_ci_u32_e64 v7, s2, v23, v7, s2
	v_cndmask_b32_e64 v2, 0, v12, s1
	global_store_b128 v[6:7], v[0:3], off
.LBB405_7:
	s_or_b32 exec_lo, exec_lo, s6
	v_add_nc_u32_e32 v2, 16, v22
	s_delay_alu instid0(VALU_DEP_1) | instskip(SKIP_1) | instid1(VALU_DEP_1)
	v_mad_i64_i32 v[0:1], null, v2, s3, 0
	v_cmp_le_i32_e64 s1, v2, v20
	s_and_b32 s1, s1, vcc_lo
	s_delay_alu instid0(VALU_DEP_2) | instskip(NEXT) | instid1(VALU_DEP_1)
	v_lshlrev_b64 v[0:1], 4, v[0:1]
	v_add_co_u32 v0, s2, s4, v0
	s_delay_alu instid0(VALU_DEP_1)
	v_add_co_ci_u32_e64 v1, s2, s5, v1, s2
	s_and_saveexec_b32 s2, s1
	s_cbranch_execz .LBB405_9
; %bb.8:
	v_ashrrev_i32_e32 v21, 31, v20
	v_cmp_ne_u32_e32 vcc_lo, v2, v20
	v_xor_b32_e32 v5, 0x80000000, v5
	s_delay_alu instid0(VALU_DEP_3) | instskip(SKIP_2) | instid1(VALU_DEP_3)
	v_lshlrev_b64 v[12:13], 4, v[20:21]
	v_cndmask_b32_e64 v7, 0, -v17, vcc_lo
	v_cndmask_b32_e32 v6, 0, v16, vcc_lo
	v_add_co_u32 v12, s1, v0, v12
	s_delay_alu instid0(VALU_DEP_1)
	v_add_co_ci_u32_e64 v13, s1, v1, v13, s1
	global_store_b128 v[12:13], v[4:7], off
.LBB405_9:
	s_or_b32 exec_lo, exec_lo, s2
	v_cmp_le_i32_e32 vcc_lo, v2, v8
	s_and_b32 s0, vcc_lo, s0
	s_delay_alu instid0(SALU_CYCLE_1)
	s_and_saveexec_b32 s1, s0
	s_cbranch_execz .LBB405_11
; %bb.10:
	v_ashrrev_i32_e32 v9, 31, v8
	v_cmp_ne_u32_e32 vcc_lo, v22, v20
	v_xor_b32_e32 v11, 0x80000000, v11
	s_delay_alu instid0(VALU_DEP_3) | instskip(SKIP_2) | instid1(VALU_DEP_3)
	v_lshlrev_b64 v[2:3], 4, v[8:9]
	v_cndmask_b32_e64 v13, 0, -v15, vcc_lo
	v_cndmask_b32_e32 v12, 0, v14, vcc_lo
	v_add_co_u32 v0, s0, v0, v2
	s_delay_alu instid0(VALU_DEP_1)
	v_add_co_ci_u32_e64 v1, s0, v1, v3, s0
	global_store_b128 v[0:1], v[10:13], off
.LBB405_11:
	s_nop 0
	s_sendmsg sendmsg(MSG_DEALLOC_VGPRS)
	s_endpgm
	.section	.rodata,"a",@progbits
	.p2align	6, 0x0
	.amdhsa_kernel _ZL37rocblas_syrkx_herkx_restricted_kernelIi19rocblas_complex_numIdELi16ELi32ELi8ELin1ELi0ELb1ELc84ELc76EKS1_S1_EviT_PT9_S3_lS5_S3_lPT10_S3_li
		.amdhsa_group_segment_fixed_size 8192
		.amdhsa_private_segment_fixed_size 0
		.amdhsa_kernarg_size 84
		.amdhsa_user_sgpr_count 13
		.amdhsa_user_sgpr_dispatch_ptr 0
		.amdhsa_user_sgpr_queue_ptr 0
		.amdhsa_user_sgpr_kernarg_segment_ptr 1
		.amdhsa_user_sgpr_dispatch_id 0
		.amdhsa_user_sgpr_private_segment_size 0
		.amdhsa_wavefront_size32 1
		.amdhsa_uses_dynamic_stack 0
		.amdhsa_enable_private_segment 0
		.amdhsa_system_sgpr_workgroup_id_x 1
		.amdhsa_system_sgpr_workgroup_id_y 1
		.amdhsa_system_sgpr_workgroup_id_z 1
		.amdhsa_system_sgpr_workgroup_info 0
		.amdhsa_system_vgpr_workitem_id 1
		.amdhsa_next_free_vgpr 54
		.amdhsa_next_free_sgpr 20
		.amdhsa_reserve_vcc 1
		.amdhsa_float_round_mode_32 0
		.amdhsa_float_round_mode_16_64 0
		.amdhsa_float_denorm_mode_32 3
		.amdhsa_float_denorm_mode_16_64 3
		.amdhsa_dx10_clamp 1
		.amdhsa_ieee_mode 1
		.amdhsa_fp16_overflow 0
		.amdhsa_workgroup_processor_mode 1
		.amdhsa_memory_ordered 1
		.amdhsa_forward_progress 0
		.amdhsa_shared_vgpr_count 0
		.amdhsa_exception_fp_ieee_invalid_op 0
		.amdhsa_exception_fp_denorm_src 0
		.amdhsa_exception_fp_ieee_div_zero 0
		.amdhsa_exception_fp_ieee_overflow 0
		.amdhsa_exception_fp_ieee_underflow 0
		.amdhsa_exception_fp_ieee_inexact 0
		.amdhsa_exception_int_div_zero 0
	.end_amdhsa_kernel
	.section	.text._ZL37rocblas_syrkx_herkx_restricted_kernelIi19rocblas_complex_numIdELi16ELi32ELi8ELin1ELi0ELb1ELc84ELc76EKS1_S1_EviT_PT9_S3_lS5_S3_lPT10_S3_li,"axG",@progbits,_ZL37rocblas_syrkx_herkx_restricted_kernelIi19rocblas_complex_numIdELi16ELi32ELi8ELin1ELi0ELb1ELc84ELc76EKS1_S1_EviT_PT9_S3_lS5_S3_lPT10_S3_li,comdat
.Lfunc_end405:
	.size	_ZL37rocblas_syrkx_herkx_restricted_kernelIi19rocblas_complex_numIdELi16ELi32ELi8ELin1ELi0ELb1ELc84ELc76EKS1_S1_EviT_PT9_S3_lS5_S3_lPT10_S3_li, .Lfunc_end405-_ZL37rocblas_syrkx_herkx_restricted_kernelIi19rocblas_complex_numIdELi16ELi32ELi8ELin1ELi0ELb1ELc84ELc76EKS1_S1_EviT_PT9_S3_lS5_S3_lPT10_S3_li
                                        ; -- End function
	.section	.AMDGPU.csdata,"",@progbits
; Kernel info:
; codeLenInByte = 3308
; NumSgprs: 22
; NumVgprs: 54
; ScratchSize: 0
; MemoryBound: 0
; FloatMode: 240
; IeeeMode: 1
; LDSByteSize: 8192 bytes/workgroup (compile time only)
; SGPRBlocks: 2
; VGPRBlocks: 6
; NumSGPRsForWavesPerEU: 22
; NumVGPRsForWavesPerEU: 54
; Occupancy: 16
; WaveLimiterHint : 0
; COMPUTE_PGM_RSRC2:SCRATCH_EN: 0
; COMPUTE_PGM_RSRC2:USER_SGPR: 13
; COMPUTE_PGM_RSRC2:TRAP_HANDLER: 0
; COMPUTE_PGM_RSRC2:TGID_X_EN: 1
; COMPUTE_PGM_RSRC2:TGID_Y_EN: 1
; COMPUTE_PGM_RSRC2:TGID_Z_EN: 1
; COMPUTE_PGM_RSRC2:TIDIG_COMP_CNT: 1
	.section	.text._ZL37rocblas_syrkx_herkx_restricted_kernelIi19rocblas_complex_numIdELi16ELi32ELi8ELin1ELi0ELb1ELc67ELc76EKS1_S1_EviT_PT9_S3_lS5_S3_lPT10_S3_li,"axG",@progbits,_ZL37rocblas_syrkx_herkx_restricted_kernelIi19rocblas_complex_numIdELi16ELi32ELi8ELin1ELi0ELb1ELc67ELc76EKS1_S1_EviT_PT9_S3_lS5_S3_lPT10_S3_li,comdat
	.globl	_ZL37rocblas_syrkx_herkx_restricted_kernelIi19rocblas_complex_numIdELi16ELi32ELi8ELin1ELi0ELb1ELc67ELc76EKS1_S1_EviT_PT9_S3_lS5_S3_lPT10_S3_li ; -- Begin function _ZL37rocblas_syrkx_herkx_restricted_kernelIi19rocblas_complex_numIdELi16ELi32ELi8ELin1ELi0ELb1ELc67ELc76EKS1_S1_EviT_PT9_S3_lS5_S3_lPT10_S3_li
	.p2align	8
	.type	_ZL37rocblas_syrkx_herkx_restricted_kernelIi19rocblas_complex_numIdELi16ELi32ELi8ELin1ELi0ELb1ELc67ELc76EKS1_S1_EviT_PT9_S3_lS5_S3_lPT10_S3_li,@function
_ZL37rocblas_syrkx_herkx_restricted_kernelIi19rocblas_complex_numIdELi16ELi32ELi8ELin1ELi0ELb1ELc67ELc76EKS1_S1_EviT_PT9_S3_lS5_S3_lPT10_S3_li: ; @_ZL37rocblas_syrkx_herkx_restricted_kernelIi19rocblas_complex_numIdELi16ELi32ELi8ELin1ELi0ELb1ELc67ELc76EKS1_S1_EviT_PT9_S3_lS5_S3_lPT10_S3_li
; %bb.0:
	s_clause 0x1
	s_load_b64 s[2:3], s[0:1], 0x0
	s_load_b128 s[4:7], s[0:1], 0x30
	v_mov_b32_e32 v6, 0
	v_dual_mov_b32 v7, 0 :: v_dual_and_b32 v20, 0x3ff, v0
	v_bfe_u32 v21, v0, 10, 10
	s_delay_alu instid0(VALU_DEP_3) | instskip(NEXT) | instid1(VALU_DEP_3)
	v_mov_b32_e32 v0, v6
	v_dual_mov_b32 v4, v6 :: v_dual_mov_b32 v5, v7
	v_dual_mov_b32 v19, v7 :: v_dual_mov_b32 v18, v6
	v_mov_b32_e32 v1, v7
	v_dual_mov_b32 v13, v7 :: v_dual_mov_b32 v12, v6
	v_dual_mov_b32 v17, v7 :: v_dual_mov_b32 v16, v6
	v_dual_mov_b32 v11, v7 :: v_dual_mov_b32 v10, v6
	v_dual_mov_b32 v15, v7 :: v_dual_mov_b32 v14, v6
	s_lshl_b32 s12, s13, 5
	s_lshl_b32 s13, s14, 5
	s_waitcnt lgkmcnt(0)
	s_cmp_lt_i32 s3, 1
	s_mov_b32 s14, 0
	s_cbranch_scc1 .LBB406_3
; %bb.1:
	s_clause 0x1
	s_load_b32 s18, s[0:1], 0x10
	s_load_b128 s[8:11], s[0:1], 0x18
	v_lshl_add_u32 v2, v21, 4, v20
	s_clause 0x1
	s_load_b64 s[16:17], s[0:1], 0x8
	s_load_b32 s19, s[0:1], 0x28
	v_dual_mov_b32 v1, 0 :: v_dual_and_b32 v0, 7, v20
	v_dual_mov_b32 v14, 0 :: v_dual_and_b32 v5, 31, v2
	v_lshrrev_b32_e32 v4, 3, v2
	v_dual_mov_b32 v15, 0 :: v_dual_lshlrev_b32 v22, 4, v20
	s_delay_alu instid0(VALU_DEP_3) | instskip(NEXT) | instid1(VALU_DEP_4)
	v_dual_mov_b32 v10, v14 :: v_dual_lshlrev_b32 v3, 4, v0
	v_lshlrev_b32_e32 v6, 4, v5
	v_lshrrev_b32_e32 v2, 5, v2
	s_delay_alu instid0(VALU_DEP_4) | instskip(NEXT) | instid1(VALU_DEP_4)
	v_dual_mov_b32 v11, v15 :: v_dual_add_nc_u32 v8, s12, v5
	v_lshl_or_b32 v7, v4, 7, v3
	v_mov_b32_e32 v3, v1
	v_add_nc_u32_e32 v9, s13, v4
	v_dual_mov_b32 v17, v15 :: v_dual_mov_b32 v16, v14
	s_delay_alu instid0(VALU_DEP_4)
	v_add_nc_u32_e32 v24, 0x1000, v7
	s_waitcnt lgkmcnt(0)
	v_mad_i64_i32 v[4:5], null, s18, v8, v[2:3]
	v_lshl_or_b32 v23, v2, 9, v6
	s_mul_i32 s9, s9, s15
	s_mul_hi_u32 s18, s8, s15
	v_mad_i64_i32 v[2:3], null, s19, v9, v[0:1]
	s_mul_i32 s8, s8, s15
	s_add_i32 s9, s18, s9
	s_delay_alu instid0(VALU_DEP_3)
	v_lshlrev_b64 v[0:1], 4, v[4:5]
	s_lshl_b64 s[8:9], s[8:9], 4
	s_mul_i32 s5, s5, s15
	s_add_u32 s8, s16, s8
	s_mul_hi_u32 s16, s4, s15
	s_addc_u32 s9, s17, s9
	s_add_i32 s5, s16, s5
	s_mul_i32 s4, s4, s15
	v_lshlrev_b64 v[2:3], 4, v[2:3]
	s_lshl_b64 s[4:5], s[4:5], 4
	v_add_co_u32 v0, vcc_lo, s8, v0
	s_add_u32 s4, s10, s4
	v_add_co_ci_u32_e32 v1, vcc_lo, s9, v1, vcc_lo
	s_addc_u32 s5, s11, s5
	v_add_co_u32 v4, vcc_lo, s4, v2
	v_add_co_ci_u32_e32 v5, vcc_lo, s5, v3, vcc_lo
	v_add_co_u32 v2, vcc_lo, v0, 8
	v_add_co_ci_u32_e32 v3, vcc_lo, 0, v1, vcc_lo
	s_delay_alu instid0(VALU_DEP_4)
	v_add_co_u32 v8, vcc_lo, v4, 8
	v_lshl_add_u32 v25, v21, 7, 0x1000
	v_add_co_ci_u32_e32 v9, vcc_lo, 0, v5, vcc_lo
	v_dual_mov_b32 v4, v14 :: v_dual_mov_b32 v5, v15
	v_dual_mov_b32 v12, v14 :: v_dual_mov_b32 v13, v15
	;; [unrolled: 1-line block ×5, first 2 shown]
.LBB406_2:                              ; =>This Inner Loop Header: Depth=1
	global_load_b128 v[26:29], v[2:3], off offset:-8
	v_add_co_u32 v2, vcc_lo, 0x80, v2
	v_add_co_ci_u32_e32 v3, vcc_lo, 0, v3, vcc_lo
	s_add_i32 s14, s14, 8
	s_delay_alu instid0(SALU_CYCLE_1)
	s_cmp_ge_i32 s14, s3
	s_waitcnt vmcnt(0)
	v_xor_b32_e32 v29, 0x80000000, v29
	ds_store_b128 v23, v[26:29]
	global_load_b128 v[26:29], v[8:9], off offset:-8
	v_add_co_u32 v8, vcc_lo, 0x80, v8
	v_add_co_ci_u32_e32 v9, vcc_lo, 0, v9, vcc_lo
	s_waitcnt vmcnt(0)
	ds_store_b128 v24, v[26:29]
	s_waitcnt lgkmcnt(0)
	s_barrier
	buffer_gl0_inv
	ds_load_b128 v[26:29], v25
	ds_load_b128 v[30:33], v25 offset:16
	ds_load_b128 v[34:37], v25 offset:32
	;; [unrolled: 1-line block ×3, first 2 shown]
	ds_load_b128 v[42:45], v22
	s_waitcnt lgkmcnt(0)
	v_mul_f64 v[46:47], v[28:29], v[44:45]
	v_mul_f64 v[48:49], v[26:27], v[44:45]
	s_delay_alu instid0(VALU_DEP_2) | instskip(NEXT) | instid1(VALU_DEP_2)
	v_fma_f64 v[46:47], v[26:27], v[42:43], -v[46:47]
	v_fma_f64 v[48:49], v[28:29], v[42:43], v[48:49]
	s_delay_alu instid0(VALU_DEP_2) | instskip(NEXT) | instid1(VALU_DEP_2)
	v_add_f64 v[50:51], v[6:7], v[46:47]
	v_add_f64 v[18:19], v[18:19], v[48:49]
	ds_load_b128 v[46:49], v22 offset:256
	s_waitcnt lgkmcnt(0)
	v_mul_f64 v[6:7], v[28:29], v[48:49]
	s_delay_alu instid0(VALU_DEP_1) | instskip(SKIP_1) | instid1(VALU_DEP_2)
	v_fma_f64 v[6:7], v[26:27], v[46:47], -v[6:7]
	v_mul_f64 v[26:27], v[26:27], v[48:49]
	v_add_f64 v[0:1], v[0:1], v[6:7]
	s_delay_alu instid0(VALU_DEP_2) | instskip(NEXT) | instid1(VALU_DEP_1)
	v_fma_f64 v[26:27], v[28:29], v[46:47], v[26:27]
	v_add_f64 v[52:53], v[12:13], v[26:27]
	ds_load_b128 v[26:29], v25 offset:2048
	s_waitcnt lgkmcnt(0)
	v_mul_f64 v[6:7], v[28:29], v[44:45]
	v_mul_f64 v[12:13], v[26:27], v[44:45]
	s_delay_alu instid0(VALU_DEP_2) | instskip(NEXT) | instid1(VALU_DEP_2)
	v_fma_f64 v[6:7], v[26:27], v[42:43], -v[6:7]
	v_fma_f64 v[12:13], v[28:29], v[42:43], v[12:13]
	s_delay_alu instid0(VALU_DEP_2) | instskip(SKIP_2) | instid1(VALU_DEP_4)
	v_add_f64 v[42:43], v[4:5], v[6:7]
	v_mul_f64 v[4:5], v[28:29], v[48:49]
	v_mul_f64 v[6:7], v[26:27], v[48:49]
	v_add_f64 v[44:45], v[16:17], v[12:13]
	s_delay_alu instid0(VALU_DEP_3) | instskip(NEXT) | instid1(VALU_DEP_3)
	v_fma_f64 v[4:5], v[26:27], v[46:47], -v[4:5]
	v_fma_f64 v[6:7], v[28:29], v[46:47], v[6:7]
	s_delay_alu instid0(VALU_DEP_2) | instskip(NEXT) | instid1(VALU_DEP_2)
	v_add_f64 v[26:27], v[10:11], v[4:5]
	v_add_f64 v[28:29], v[14:15], v[6:7]
	ds_load_b128 v[4:7], v22 offset:512
	s_waitcnt lgkmcnt(0)
	v_mul_f64 v[10:11], v[32:33], v[6:7]
	v_mul_f64 v[12:13], v[30:31], v[6:7]
	s_delay_alu instid0(VALU_DEP_2) | instskip(NEXT) | instid1(VALU_DEP_2)
	v_fma_f64 v[10:11], v[30:31], v[4:5], -v[10:11]
	v_fma_f64 v[12:13], v[32:33], v[4:5], v[12:13]
	s_delay_alu instid0(VALU_DEP_2) | instskip(NEXT) | instid1(VALU_DEP_2)
	v_add_f64 v[46:47], v[50:51], v[10:11]
	v_add_f64 v[18:19], v[18:19], v[12:13]
	ds_load_b128 v[10:13], v22 offset:768
	s_waitcnt lgkmcnt(0)
	v_mul_f64 v[14:15], v[32:33], v[12:13]
	v_mul_f64 v[16:17], v[30:31], v[12:13]
	s_delay_alu instid0(VALU_DEP_2) | instskip(NEXT) | instid1(VALU_DEP_2)
	v_fma_f64 v[14:15], v[30:31], v[10:11], -v[14:15]
	v_fma_f64 v[16:17], v[32:33], v[10:11], v[16:17]
	s_delay_alu instid0(VALU_DEP_2) | instskip(NEXT) | instid1(VALU_DEP_2)
	v_add_f64 v[0:1], v[0:1], v[14:15]
	v_add_f64 v[30:31], v[52:53], v[16:17]
	ds_load_b128 v[14:17], v25 offset:2064
	s_waitcnt lgkmcnt(0)
	v_mul_f64 v[32:33], v[16:17], v[6:7]
	v_mul_f64 v[6:7], v[14:15], v[6:7]
	s_delay_alu instid0(VALU_DEP_2) | instskip(NEXT) | instid1(VALU_DEP_2)
	v_fma_f64 v[32:33], v[14:15], v[4:5], -v[32:33]
	v_fma_f64 v[4:5], v[16:17], v[4:5], v[6:7]
	v_mul_f64 v[6:7], v[14:15], v[12:13]
	s_delay_alu instid0(VALU_DEP_3) | instskip(NEXT) | instid1(VALU_DEP_3)
	v_add_f64 v[32:33], v[42:43], v[32:33]
	v_add_f64 v[42:43], v[44:45], v[4:5]
	v_mul_f64 v[4:5], v[16:17], v[12:13]
	s_delay_alu instid0(VALU_DEP_4) | instskip(NEXT) | instid1(VALU_DEP_2)
	v_fma_f64 v[6:7], v[16:17], v[10:11], v[6:7]
	v_fma_f64 v[4:5], v[14:15], v[10:11], -v[4:5]
	s_delay_alu instid0(VALU_DEP_2) | instskip(NEXT) | instid1(VALU_DEP_2)
	v_add_f64 v[28:29], v[28:29], v[6:7]
	v_add_f64 v[26:27], v[26:27], v[4:5]
	ds_load_b128 v[4:7], v22 offset:1024
	s_waitcnt lgkmcnt(0)
	v_mul_f64 v[10:11], v[36:37], v[6:7]
	v_mul_f64 v[12:13], v[34:35], v[6:7]
	s_delay_alu instid0(VALU_DEP_2) | instskip(NEXT) | instid1(VALU_DEP_2)
	v_fma_f64 v[10:11], v[34:35], v[4:5], -v[10:11]
	v_fma_f64 v[12:13], v[36:37], v[4:5], v[12:13]
	s_delay_alu instid0(VALU_DEP_2) | instskip(NEXT) | instid1(VALU_DEP_2)
	v_add_f64 v[44:45], v[46:47], v[10:11]
	v_add_f64 v[18:19], v[18:19], v[12:13]
	ds_load_b128 v[10:13], v22 offset:1280
	s_waitcnt lgkmcnt(0)
	v_mul_f64 v[14:15], v[36:37], v[12:13]
	v_mul_f64 v[16:17], v[34:35], v[12:13]
	s_delay_alu instid0(VALU_DEP_2) | instskip(NEXT) | instid1(VALU_DEP_2)
	v_fma_f64 v[14:15], v[34:35], v[10:11], -v[14:15]
	v_fma_f64 v[16:17], v[36:37], v[10:11], v[16:17]
	;; [unrolled: 10-line block ×3, first 2 shown]
	v_mul_f64 v[6:7], v[14:15], v[12:13]
	s_delay_alu instid0(VALU_DEP_3) | instskip(NEXT) | instid1(VALU_DEP_3)
	v_add_f64 v[32:33], v[32:33], v[34:35]
	v_add_f64 v[34:35], v[42:43], v[4:5]
	v_mul_f64 v[4:5], v[16:17], v[12:13]
	s_delay_alu instid0(VALU_DEP_4) | instskip(NEXT) | instid1(VALU_DEP_2)
	v_fma_f64 v[6:7], v[16:17], v[10:11], v[6:7]
	v_fma_f64 v[4:5], v[14:15], v[10:11], -v[4:5]
	s_delay_alu instid0(VALU_DEP_2) | instskip(NEXT) | instid1(VALU_DEP_2)
	v_add_f64 v[28:29], v[28:29], v[6:7]
	v_add_f64 v[26:27], v[26:27], v[4:5]
	ds_load_b128 v[4:7], v22 offset:1536
	s_waitcnt lgkmcnt(0)
	v_mul_f64 v[10:11], v[40:41], v[6:7]
	v_mul_f64 v[12:13], v[38:39], v[6:7]
	s_delay_alu instid0(VALU_DEP_2) | instskip(NEXT) | instid1(VALU_DEP_2)
	v_fma_f64 v[10:11], v[38:39], v[4:5], -v[10:11]
	v_fma_f64 v[12:13], v[40:41], v[4:5], v[12:13]
	s_delay_alu instid0(VALU_DEP_2) | instskip(NEXT) | instid1(VALU_DEP_2)
	v_add_f64 v[36:37], v[44:45], v[10:11]
	v_add_f64 v[18:19], v[18:19], v[12:13]
	ds_load_b128 v[10:13], v22 offset:1792
	s_waitcnt lgkmcnt(0)
	v_mul_f64 v[14:15], v[40:41], v[12:13]
	v_mul_f64 v[16:17], v[38:39], v[12:13]
	s_delay_alu instid0(VALU_DEP_2) | instskip(NEXT) | instid1(VALU_DEP_2)
	v_fma_f64 v[14:15], v[38:39], v[10:11], -v[14:15]
	v_fma_f64 v[16:17], v[40:41], v[10:11], v[16:17]
	;; [unrolled: 10-line block ×3, first 2 shown]
	v_mul_f64 v[6:7], v[14:15], v[12:13]
	s_delay_alu instid0(VALU_DEP_3) | instskip(NEXT) | instid1(VALU_DEP_3)
	v_add_f64 v[32:33], v[32:33], v[38:39]
	v_add_f64 v[34:35], v[34:35], v[4:5]
	v_mul_f64 v[4:5], v[16:17], v[12:13]
	s_delay_alu instid0(VALU_DEP_4) | instskip(NEXT) | instid1(VALU_DEP_2)
	v_fma_f64 v[6:7], v[16:17], v[10:11], v[6:7]
	v_fma_f64 v[4:5], v[14:15], v[10:11], -v[4:5]
	s_delay_alu instid0(VALU_DEP_2) | instskip(NEXT) | instid1(VALU_DEP_2)
	v_add_f64 v[28:29], v[28:29], v[6:7]
	v_add_f64 v[26:27], v[26:27], v[4:5]
	ds_load_b128 v[4:7], v25 offset:64
	ds_load_b128 v[10:13], v22 offset:2048
	s_waitcnt lgkmcnt(0)
	v_mul_f64 v[14:15], v[6:7], v[12:13]
	v_mul_f64 v[16:17], v[4:5], v[12:13]
	s_delay_alu instid0(VALU_DEP_2) | instskip(NEXT) | instid1(VALU_DEP_2)
	v_fma_f64 v[14:15], v[4:5], v[10:11], -v[14:15]
	v_fma_f64 v[16:17], v[6:7], v[10:11], v[16:17]
	s_delay_alu instid0(VALU_DEP_2) | instskip(NEXT) | instid1(VALU_DEP_2)
	v_add_f64 v[36:37], v[36:37], v[14:15]
	v_add_f64 v[18:19], v[18:19], v[16:17]
	ds_load_b128 v[14:17], v22 offset:2304
	s_waitcnt lgkmcnt(0)
	v_mul_f64 v[38:39], v[6:7], v[16:17]
	s_delay_alu instid0(VALU_DEP_1) | instskip(SKIP_1) | instid1(VALU_DEP_2)
	v_fma_f64 v[38:39], v[4:5], v[14:15], -v[38:39]
	v_mul_f64 v[4:5], v[4:5], v[16:17]
	v_add_f64 v[0:1], v[0:1], v[38:39]
	s_delay_alu instid0(VALU_DEP_2) | instskip(NEXT) | instid1(VALU_DEP_1)
	v_fma_f64 v[4:5], v[6:7], v[14:15], v[4:5]
	v_add_f64 v[30:31], v[30:31], v[4:5]
	ds_load_b128 v[4:7], v25 offset:2112
	s_waitcnt lgkmcnt(0)
	v_mul_f64 v[38:39], v[6:7], v[12:13]
	v_mul_f64 v[12:13], v[4:5], v[12:13]
	s_delay_alu instid0(VALU_DEP_2) | instskip(NEXT) | instid1(VALU_DEP_2)
	v_fma_f64 v[38:39], v[4:5], v[10:11], -v[38:39]
	v_fma_f64 v[10:11], v[6:7], v[10:11], v[12:13]
	s_delay_alu instid0(VALU_DEP_2) | instskip(NEXT) | instid1(VALU_DEP_2)
	v_add_f64 v[32:33], v[32:33], v[38:39]
	v_add_f64 v[34:35], v[34:35], v[10:11]
	v_mul_f64 v[10:11], v[6:7], v[16:17]
	s_delay_alu instid0(VALU_DEP_1) | instskip(SKIP_1) | instid1(VALU_DEP_2)
	v_fma_f64 v[10:11], v[4:5], v[14:15], -v[10:11]
	v_mul_f64 v[4:5], v[4:5], v[16:17]
	v_add_f64 v[26:27], v[26:27], v[10:11]
	s_delay_alu instid0(VALU_DEP_2) | instskip(NEXT) | instid1(VALU_DEP_1)
	v_fma_f64 v[4:5], v[6:7], v[14:15], v[4:5]
	v_add_f64 v[28:29], v[28:29], v[4:5]
	ds_load_b128 v[4:7], v25 offset:80
	ds_load_b128 v[10:13], v22 offset:2560
	s_waitcnt lgkmcnt(0)
	v_mul_f64 v[14:15], v[6:7], v[12:13]
	v_mul_f64 v[16:17], v[4:5], v[12:13]
	s_delay_alu instid0(VALU_DEP_2) | instskip(NEXT) | instid1(VALU_DEP_2)
	v_fma_f64 v[14:15], v[4:5], v[10:11], -v[14:15]
	v_fma_f64 v[16:17], v[6:7], v[10:11], v[16:17]
	s_delay_alu instid0(VALU_DEP_2) | instskip(NEXT) | instid1(VALU_DEP_2)
	v_add_f64 v[36:37], v[36:37], v[14:15]
	v_add_f64 v[18:19], v[18:19], v[16:17]
	ds_load_b128 v[14:17], v22 offset:2816
	s_waitcnt lgkmcnt(0)
	v_mul_f64 v[38:39], v[6:7], v[16:17]
	s_delay_alu instid0(VALU_DEP_1) | instskip(SKIP_1) | instid1(VALU_DEP_2)
	v_fma_f64 v[38:39], v[4:5], v[14:15], -v[38:39]
	v_mul_f64 v[4:5], v[4:5], v[16:17]
	v_add_f64 v[0:1], v[0:1], v[38:39]
	s_delay_alu instid0(VALU_DEP_2) | instskip(NEXT) | instid1(VALU_DEP_1)
	v_fma_f64 v[4:5], v[6:7], v[14:15], v[4:5]
	v_add_f64 v[30:31], v[30:31], v[4:5]
	ds_load_b128 v[4:7], v25 offset:2128
	s_waitcnt lgkmcnt(0)
	v_mul_f64 v[38:39], v[6:7], v[12:13]
	v_mul_f64 v[12:13], v[4:5], v[12:13]
	s_delay_alu instid0(VALU_DEP_2) | instskip(NEXT) | instid1(VALU_DEP_2)
	v_fma_f64 v[38:39], v[4:5], v[10:11], -v[38:39]
	v_fma_f64 v[10:11], v[6:7], v[10:11], v[12:13]
	s_delay_alu instid0(VALU_DEP_2) | instskip(NEXT) | instid1(VALU_DEP_2)
	v_add_f64 v[32:33], v[32:33], v[38:39]
	v_add_f64 v[34:35], v[34:35], v[10:11]
	v_mul_f64 v[10:11], v[6:7], v[16:17]
	s_delay_alu instid0(VALU_DEP_1) | instskip(SKIP_1) | instid1(VALU_DEP_2)
	v_fma_f64 v[10:11], v[4:5], v[14:15], -v[10:11]
	v_mul_f64 v[4:5], v[4:5], v[16:17]
	v_add_f64 v[26:27], v[26:27], v[10:11]
	s_delay_alu instid0(VALU_DEP_2) | instskip(NEXT) | instid1(VALU_DEP_1)
	v_fma_f64 v[4:5], v[6:7], v[14:15], v[4:5]
	v_add_f64 v[28:29], v[28:29], v[4:5]
	ds_load_b128 v[4:7], v25 offset:96
	ds_load_b128 v[10:13], v22 offset:3072
	s_waitcnt lgkmcnt(0)
	v_mul_f64 v[14:15], v[6:7], v[12:13]
	v_mul_f64 v[16:17], v[4:5], v[12:13]
	s_delay_alu instid0(VALU_DEP_2) | instskip(NEXT) | instid1(VALU_DEP_2)
	v_fma_f64 v[14:15], v[4:5], v[10:11], -v[14:15]
	v_fma_f64 v[16:17], v[6:7], v[10:11], v[16:17]
	s_delay_alu instid0(VALU_DEP_2) | instskip(NEXT) | instid1(VALU_DEP_2)
	v_add_f64 v[36:37], v[36:37], v[14:15]
	v_add_f64 v[18:19], v[18:19], v[16:17]
	ds_load_b128 v[14:17], v22 offset:3328
	s_waitcnt lgkmcnt(0)
	v_mul_f64 v[38:39], v[6:7], v[16:17]
	s_delay_alu instid0(VALU_DEP_1) | instskip(SKIP_1) | instid1(VALU_DEP_2)
	v_fma_f64 v[38:39], v[4:5], v[14:15], -v[38:39]
	v_mul_f64 v[4:5], v[4:5], v[16:17]
	v_add_f64 v[0:1], v[0:1], v[38:39]
	s_delay_alu instid0(VALU_DEP_2) | instskip(NEXT) | instid1(VALU_DEP_1)
	v_fma_f64 v[4:5], v[6:7], v[14:15], v[4:5]
	v_add_f64 v[30:31], v[30:31], v[4:5]
	ds_load_b128 v[4:7], v25 offset:2144
	s_waitcnt lgkmcnt(0)
	v_mul_f64 v[38:39], v[6:7], v[12:13]
	v_mul_f64 v[12:13], v[4:5], v[12:13]
	s_delay_alu instid0(VALU_DEP_2) | instskip(NEXT) | instid1(VALU_DEP_2)
	v_fma_f64 v[38:39], v[4:5], v[10:11], -v[38:39]
	v_fma_f64 v[10:11], v[6:7], v[10:11], v[12:13]
	s_delay_alu instid0(VALU_DEP_2) | instskip(NEXT) | instid1(VALU_DEP_2)
	v_add_f64 v[38:39], v[32:33], v[38:39]
	v_add_f64 v[34:35], v[34:35], v[10:11]
	v_mul_f64 v[10:11], v[6:7], v[16:17]
	s_delay_alu instid0(VALU_DEP_1) | instskip(SKIP_1) | instid1(VALU_DEP_2)
	v_fma_f64 v[10:11], v[4:5], v[14:15], -v[10:11]
	v_mul_f64 v[4:5], v[4:5], v[16:17]
	v_add_f64 v[40:41], v[26:27], v[10:11]
	s_delay_alu instid0(VALU_DEP_2)
	v_fma_f64 v[4:5], v[6:7], v[14:15], v[4:5]
	ds_load_b128 v[10:13], v25 offset:112
	ds_load_b128 v[14:17], v22 offset:3584
	s_waitcnt lgkmcnt(0)
	v_mul_f64 v[6:7], v[10:11], v[16:17]
	v_add_f64 v[42:43], v[28:29], v[4:5]
	v_mul_f64 v[4:5], v[12:13], v[16:17]
	s_delay_alu instid0(VALU_DEP_3) | instskip(NEXT) | instid1(VALU_DEP_2)
	v_fma_f64 v[26:27], v[12:13], v[14:15], v[6:7]
	v_fma_f64 v[4:5], v[10:11], v[14:15], -v[4:5]
	s_delay_alu instid0(VALU_DEP_2) | instskip(SKIP_4) | instid1(VALU_DEP_1)
	v_add_f64 v[18:19], v[18:19], v[26:27]
	ds_load_b128 v[26:29], v22 offset:3840
	v_add_f64 v[6:7], v[36:37], v[4:5]
	s_waitcnt lgkmcnt(0)
	v_mul_f64 v[4:5], v[12:13], v[28:29]
	v_fma_f64 v[4:5], v[10:11], v[26:27], -v[4:5]
	v_mul_f64 v[10:11], v[10:11], v[28:29]
	s_delay_alu instid0(VALU_DEP_2) | instskip(NEXT) | instid1(VALU_DEP_2)
	v_add_f64 v[0:1], v[0:1], v[4:5]
	v_fma_f64 v[10:11], v[12:13], v[26:27], v[10:11]
	s_delay_alu instid0(VALU_DEP_1)
	v_add_f64 v[12:13], v[30:31], v[10:11]
	ds_load_b128 v[30:33], v25 offset:2160
	s_waitcnt lgkmcnt(0)
	s_barrier
	buffer_gl0_inv
	v_mul_f64 v[10:11], v[30:31], v[16:17]
	v_mul_f64 v[4:5], v[32:33], v[16:17]
	s_delay_alu instid0(VALU_DEP_2) | instskip(NEXT) | instid1(VALU_DEP_2)
	v_fma_f64 v[10:11], v[32:33], v[14:15], v[10:11]
	v_fma_f64 v[4:5], v[30:31], v[14:15], -v[4:5]
	v_mul_f64 v[14:15], v[30:31], v[28:29]
	s_delay_alu instid0(VALU_DEP_3) | instskip(SKIP_1) | instid1(VALU_DEP_3)
	v_add_f64 v[16:17], v[34:35], v[10:11]
	v_mul_f64 v[10:11], v[32:33], v[28:29]
	v_fma_f64 v[14:15], v[32:33], v[26:27], v[14:15]
	v_add_f64 v[4:5], v[38:39], v[4:5]
	s_delay_alu instid0(VALU_DEP_3) | instskip(NEXT) | instid1(VALU_DEP_3)
	v_fma_f64 v[10:11], v[30:31], v[26:27], -v[10:11]
	v_add_f64 v[14:15], v[42:43], v[14:15]
	s_delay_alu instid0(VALU_DEP_2)
	v_add_f64 v[10:11], v[40:41], v[10:11]
	s_cbranch_scc0 .LBB406_2
.LBB406_3:
	s_clause 0x1
	s_load_b32 s3, s[0:1], 0x40
	s_load_b64 s[4:5], s[0:1], 0x48
	v_add_nc_u32_e32 v22, s13, v21
	v_add_nc_u32_e32 v20, s12, v20
	s_delay_alu instid0(VALU_DEP_1)
	v_cmp_le_i32_e64 s0, v22, v20
	v_cmp_gt_i32_e32 vcc_lo, s2, v20
	s_waitcnt lgkmcnt(0)
	v_mad_i64_i32 v[2:3], null, v22, s3, 0
	s_mul_i32 s1, s15, s5
	s_mul_hi_u32 s5, s15, s4
	s_mul_i32 s4, s15, s4
	s_add_i32 s5, s5, s1
	s_delay_alu instid0(SALU_CYCLE_1) | instskip(NEXT) | instid1(VALU_DEP_1)
	s_lshl_b64 s[4:5], s[4:5], 4
	v_lshlrev_b64 v[2:3], 4, v[2:3]
	s_add_u32 s4, s6, s4
	s_addc_u32 s5, s7, s5
	s_and_b32 s0, s0, vcc_lo
	s_delay_alu instid0(VALU_DEP_1) | instskip(NEXT) | instid1(VALU_DEP_1)
	v_add_co_u32 v2, s1, s4, v2
	v_add_co_ci_u32_e64 v23, s1, s5, v3, s1
	s_and_saveexec_b32 s6, s0
	s_cbranch_execz .LBB406_5
; %bb.4:
	v_ashrrev_i32_e32 v21, 31, v20
	v_cmp_ne_u32_e64 s0, v22, v20
	v_xor_b32_e32 v7, 0x80000000, v7
	s_delay_alu instid0(VALU_DEP_3) | instskip(NEXT) | instid1(VALU_DEP_3)
	v_lshlrev_b64 v[24:25], 4, v[20:21]
	v_cndmask_b32_e64 v9, 0, -v19, s0
	v_cndmask_b32_e64 v8, 0, v18, s0
	s_delay_alu instid0(VALU_DEP_3) | instskip(NEXT) | instid1(VALU_DEP_1)
	v_add_co_u32 v24, s1, v2, v24
	v_add_co_ci_u32_e64 v25, s1, v23, v25, s1
	global_store_b128 v[24:25], v[6:9], off
.LBB406_5:
	s_or_b32 exec_lo, exec_lo, s6
	v_add_nc_u32_e32 v8, 16, v20
	s_delay_alu instid0(VALU_DEP_1) | instskip(SKIP_1) | instid1(VALU_DEP_1)
	v_cmp_le_i32_e64 s1, v22, v8
	v_cmp_gt_i32_e64 s0, s2, v8
	s_and_b32 s1, s1, s0
	s_delay_alu instid0(SALU_CYCLE_1)
	s_and_saveexec_b32 s6, s1
	s_cbranch_execz .LBB406_7
; %bb.6:
	v_ashrrev_i32_e32 v9, 31, v8
	v_cmp_ne_u32_e64 s1, v22, v8
	v_xor_b32_e32 v1, 0x80000000, v1
	s_delay_alu instid0(VALU_DEP_3) | instskip(NEXT) | instid1(VALU_DEP_3)
	v_lshlrev_b64 v[6:7], 4, v[8:9]
	v_cndmask_b32_e64 v3, 0, -v13, s1
	s_delay_alu instid0(VALU_DEP_2) | instskip(NEXT) | instid1(VALU_DEP_1)
	v_add_co_u32 v6, s2, v2, v6
	v_add_co_ci_u32_e64 v7, s2, v23, v7, s2
	v_cndmask_b32_e64 v2, 0, v12, s1
	global_store_b128 v[6:7], v[0:3], off
.LBB406_7:
	s_or_b32 exec_lo, exec_lo, s6
	v_add_nc_u32_e32 v2, 16, v22
	s_delay_alu instid0(VALU_DEP_1) | instskip(SKIP_1) | instid1(VALU_DEP_1)
	v_mad_i64_i32 v[0:1], null, v2, s3, 0
	v_cmp_le_i32_e64 s1, v2, v20
	s_and_b32 s1, s1, vcc_lo
	s_delay_alu instid0(VALU_DEP_2) | instskip(NEXT) | instid1(VALU_DEP_1)
	v_lshlrev_b64 v[0:1], 4, v[0:1]
	v_add_co_u32 v0, s2, s4, v0
	s_delay_alu instid0(VALU_DEP_1)
	v_add_co_ci_u32_e64 v1, s2, s5, v1, s2
	s_and_saveexec_b32 s2, s1
	s_cbranch_execz .LBB406_9
; %bb.8:
	v_ashrrev_i32_e32 v21, 31, v20
	v_cmp_ne_u32_e32 vcc_lo, v2, v20
	v_xor_b32_e32 v5, 0x80000000, v5
	s_delay_alu instid0(VALU_DEP_3) | instskip(SKIP_2) | instid1(VALU_DEP_3)
	v_lshlrev_b64 v[12:13], 4, v[20:21]
	v_cndmask_b32_e64 v7, 0, -v17, vcc_lo
	v_cndmask_b32_e32 v6, 0, v16, vcc_lo
	v_add_co_u32 v12, s1, v0, v12
	s_delay_alu instid0(VALU_DEP_1)
	v_add_co_ci_u32_e64 v13, s1, v1, v13, s1
	global_store_b128 v[12:13], v[4:7], off
.LBB406_9:
	s_or_b32 exec_lo, exec_lo, s2
	v_cmp_le_i32_e32 vcc_lo, v2, v8
	s_and_b32 s0, vcc_lo, s0
	s_delay_alu instid0(SALU_CYCLE_1)
	s_and_saveexec_b32 s1, s0
	s_cbranch_execz .LBB406_11
; %bb.10:
	v_ashrrev_i32_e32 v9, 31, v8
	v_cmp_ne_u32_e32 vcc_lo, v22, v20
	v_xor_b32_e32 v11, 0x80000000, v11
	s_delay_alu instid0(VALU_DEP_3) | instskip(SKIP_2) | instid1(VALU_DEP_3)
	v_lshlrev_b64 v[2:3], 4, v[8:9]
	v_cndmask_b32_e64 v13, 0, -v15, vcc_lo
	v_cndmask_b32_e32 v12, 0, v14, vcc_lo
	v_add_co_u32 v0, s0, v0, v2
	s_delay_alu instid0(VALU_DEP_1)
	v_add_co_ci_u32_e64 v1, s0, v1, v3, s0
	global_store_b128 v[0:1], v[10:13], off
.LBB406_11:
	s_nop 0
	s_sendmsg sendmsg(MSG_DEALLOC_VGPRS)
	s_endpgm
	.section	.rodata,"a",@progbits
	.p2align	6, 0x0
	.amdhsa_kernel _ZL37rocblas_syrkx_herkx_restricted_kernelIi19rocblas_complex_numIdELi16ELi32ELi8ELin1ELi0ELb1ELc67ELc76EKS1_S1_EviT_PT9_S3_lS5_S3_lPT10_S3_li
		.amdhsa_group_segment_fixed_size 8192
		.amdhsa_private_segment_fixed_size 0
		.amdhsa_kernarg_size 84
		.amdhsa_user_sgpr_count 13
		.amdhsa_user_sgpr_dispatch_ptr 0
		.amdhsa_user_sgpr_queue_ptr 0
		.amdhsa_user_sgpr_kernarg_segment_ptr 1
		.amdhsa_user_sgpr_dispatch_id 0
		.amdhsa_user_sgpr_private_segment_size 0
		.amdhsa_wavefront_size32 1
		.amdhsa_uses_dynamic_stack 0
		.amdhsa_enable_private_segment 0
		.amdhsa_system_sgpr_workgroup_id_x 1
		.amdhsa_system_sgpr_workgroup_id_y 1
		.amdhsa_system_sgpr_workgroup_id_z 1
		.amdhsa_system_sgpr_workgroup_info 0
		.amdhsa_system_vgpr_workitem_id 1
		.amdhsa_next_free_vgpr 54
		.amdhsa_next_free_sgpr 20
		.amdhsa_reserve_vcc 1
		.amdhsa_float_round_mode_32 0
		.amdhsa_float_round_mode_16_64 0
		.amdhsa_float_denorm_mode_32 3
		.amdhsa_float_denorm_mode_16_64 3
		.amdhsa_dx10_clamp 1
		.amdhsa_ieee_mode 1
		.amdhsa_fp16_overflow 0
		.amdhsa_workgroup_processor_mode 1
		.amdhsa_memory_ordered 1
		.amdhsa_forward_progress 0
		.amdhsa_shared_vgpr_count 0
		.amdhsa_exception_fp_ieee_invalid_op 0
		.amdhsa_exception_fp_denorm_src 0
		.amdhsa_exception_fp_ieee_div_zero 0
		.amdhsa_exception_fp_ieee_overflow 0
		.amdhsa_exception_fp_ieee_underflow 0
		.amdhsa_exception_fp_ieee_inexact 0
		.amdhsa_exception_int_div_zero 0
	.end_amdhsa_kernel
	.section	.text._ZL37rocblas_syrkx_herkx_restricted_kernelIi19rocblas_complex_numIdELi16ELi32ELi8ELin1ELi0ELb1ELc67ELc76EKS1_S1_EviT_PT9_S3_lS5_S3_lPT10_S3_li,"axG",@progbits,_ZL37rocblas_syrkx_herkx_restricted_kernelIi19rocblas_complex_numIdELi16ELi32ELi8ELin1ELi0ELb1ELc67ELc76EKS1_S1_EviT_PT9_S3_lS5_S3_lPT10_S3_li,comdat
.Lfunc_end406:
	.size	_ZL37rocblas_syrkx_herkx_restricted_kernelIi19rocblas_complex_numIdELi16ELi32ELi8ELin1ELi0ELb1ELc67ELc76EKS1_S1_EviT_PT9_S3_lS5_S3_lPT10_S3_li, .Lfunc_end406-_ZL37rocblas_syrkx_herkx_restricted_kernelIi19rocblas_complex_numIdELi16ELi32ELi8ELin1ELi0ELb1ELc67ELc76EKS1_S1_EviT_PT9_S3_lS5_S3_lPT10_S3_li
                                        ; -- End function
	.section	.AMDGPU.csdata,"",@progbits
; Kernel info:
; codeLenInByte = 3316
; NumSgprs: 22
; NumVgprs: 54
; ScratchSize: 0
; MemoryBound: 0
; FloatMode: 240
; IeeeMode: 1
; LDSByteSize: 8192 bytes/workgroup (compile time only)
; SGPRBlocks: 2
; VGPRBlocks: 6
; NumSGPRsForWavesPerEU: 22
; NumVGPRsForWavesPerEU: 54
; Occupancy: 16
; WaveLimiterHint : 0
; COMPUTE_PGM_RSRC2:SCRATCH_EN: 0
; COMPUTE_PGM_RSRC2:USER_SGPR: 13
; COMPUTE_PGM_RSRC2:TRAP_HANDLER: 0
; COMPUTE_PGM_RSRC2:TGID_X_EN: 1
; COMPUTE_PGM_RSRC2:TGID_Y_EN: 1
; COMPUTE_PGM_RSRC2:TGID_Z_EN: 1
; COMPUTE_PGM_RSRC2:TIDIG_COMP_CNT: 1
	.section	.text._ZL37rocblas_syrkx_herkx_restricted_kernelIi19rocblas_complex_numIdELi16ELi32ELi8ELin1ELi0ELb1ELc78ELc76EKS1_S1_EviT_PT9_S3_lS5_S3_lPT10_S3_li,"axG",@progbits,_ZL37rocblas_syrkx_herkx_restricted_kernelIi19rocblas_complex_numIdELi16ELi32ELi8ELin1ELi0ELb1ELc78ELc76EKS1_S1_EviT_PT9_S3_lS5_S3_lPT10_S3_li,comdat
	.globl	_ZL37rocblas_syrkx_herkx_restricted_kernelIi19rocblas_complex_numIdELi16ELi32ELi8ELin1ELi0ELb1ELc78ELc76EKS1_S1_EviT_PT9_S3_lS5_S3_lPT10_S3_li ; -- Begin function _ZL37rocblas_syrkx_herkx_restricted_kernelIi19rocblas_complex_numIdELi16ELi32ELi8ELin1ELi0ELb1ELc78ELc76EKS1_S1_EviT_PT9_S3_lS5_S3_lPT10_S3_li
	.p2align	8
	.type	_ZL37rocblas_syrkx_herkx_restricted_kernelIi19rocblas_complex_numIdELi16ELi32ELi8ELin1ELi0ELb1ELc78ELc76EKS1_S1_EviT_PT9_S3_lS5_S3_lPT10_S3_li,@function
_ZL37rocblas_syrkx_herkx_restricted_kernelIi19rocblas_complex_numIdELi16ELi32ELi8ELin1ELi0ELb1ELc78ELc76EKS1_S1_EviT_PT9_S3_lS5_S3_lPT10_S3_li: ; @_ZL37rocblas_syrkx_herkx_restricted_kernelIi19rocblas_complex_numIdELi16ELi32ELi8ELin1ELi0ELb1ELc78ELc76EKS1_S1_EviT_PT9_S3_lS5_S3_lPT10_S3_li
; %bb.0:
	s_clause 0x1
	s_load_b64 s[2:3], s[0:1], 0x0
	s_load_b128 s[4:7], s[0:1], 0x30
	v_mov_b32_e32 v6, 0
	v_dual_mov_b32 v7, 0 :: v_dual_and_b32 v20, 0x3ff, v0
	v_bfe_u32 v21, v0, 10, 10
	s_delay_alu instid0(VALU_DEP_3) | instskip(NEXT) | instid1(VALU_DEP_3)
	v_mov_b32_e32 v0, v6
	v_dual_mov_b32 v4, v6 :: v_dual_mov_b32 v5, v7
	v_dual_mov_b32 v19, v7 :: v_dual_mov_b32 v18, v6
	v_mov_b32_e32 v1, v7
	v_dual_mov_b32 v13, v7 :: v_dual_mov_b32 v12, v6
	v_dual_mov_b32 v17, v7 :: v_dual_mov_b32 v16, v6
	;; [unrolled: 1-line block ×4, first 2 shown]
	s_lshl_b32 s12, s13, 5
	s_lshl_b32 s13, s14, 5
	s_waitcnt lgkmcnt(0)
	s_cmp_lt_i32 s3, 1
	s_mov_b32 s14, 0
	s_cbranch_scc1 .LBB407_3
; %bb.1:
	s_clause 0x1
	s_load_b32 s16, s[0:1], 0x10
	s_load_b32 s18, s[0:1], 0x28
	v_lshl_add_u32 v0, v21, 4, v20
	v_and_b32_e32 v6, 7, v20
	v_mov_b32_e32 v14, 0
	v_mov_b32_e32 v15, 0
	s_clause 0x1
	s_load_b128 s[8:11], s[0:1], 0x18
	s_load_b64 s[20:21], s[0:1], 0x8
	v_lshrrev_b32_e32 v1, 3, v0
	v_and_b32_e32 v2, 31, v0
	v_dual_mov_b32 v10, v14 :: v_dual_lshlrev_b32 v3, 4, v6
	v_lshrrev_b32_e32 v7, 5, v0
	s_delay_alu instid0(VALU_DEP_4) | instskip(NEXT) | instid1(VALU_DEP_4)
	v_dual_mov_b32 v17, v15 :: v_dual_add_nc_u32 v0, s13, v1
	v_dual_mov_b32 v11, v15 :: v_dual_lshlrev_b32 v4, 4, v2
	v_add_nc_u32_e32 v2, s12, v2
	v_mov_b32_e32 v12, v14
	v_lshl_or_b32 v8, v1, 7, v3
	v_ashrrev_i32_e32 v1, 31, v0
	v_mov_b32_e32 v13, v15
	v_ashrrev_i32_e32 v3, 31, v2
	v_lshl_or_b32 v22, v7, 9, v4
	s_waitcnt lgkmcnt(0)
	s_ashr_i32 s17, s16, 31
	v_mad_i64_i32 v[4:5], null, s18, v6, v[0:1]
	v_mad_i64_i32 v[0:1], null, s16, v7, v[2:3]
	s_mul_i32 s9, s9, s15
	s_mul_hi_u32 s22, s8, s15
	s_mul_i32 s8, s8, s15
	s_add_i32 s9, s22, s9
	s_ashr_i32 s19, s18, 31
	s_lshl_b64 s[8:9], s[8:9], 4
	s_delay_alu instid0(VALU_DEP_1)
	v_lshlrev_b64 v[0:1], 4, v[0:1]
	s_add_u32 s8, s20, s8
	s_addc_u32 s9, s21, s9
	s_mul_i32 s5, s5, s15
	s_mul_hi_u32 s20, s4, s15
	s_mul_i32 s4, s4, s15
	v_add_co_u32 v2, vcc_lo, s8, v0
	v_add_co_ci_u32_e32 v3, vcc_lo, s9, v1, vcc_lo
	s_add_i32 s5, s20, s5
	v_lshlrev_b64 v[0:1], 4, v[4:5]
	s_lshl_b64 s[8:9], s[4:5], 4
	s_lshl_b64 s[4:5], s[16:17], 7
	s_add_u32 s8, s10, s8
	s_addc_u32 s9, s11, s9
	v_dual_mov_b32 v16, v14 :: v_dual_add_nc_u32 v23, 0x1000, v8
	v_add_co_u32 v0, vcc_lo, s8, v0
	v_add_co_ci_u32_e32 v1, vcc_lo, s9, v1, vcc_lo
	v_add_co_u32 v2, vcc_lo, v2, 8
	v_add_co_ci_u32_e32 v3, vcc_lo, 0, v3, vcc_lo
	s_delay_alu instid0(VALU_DEP_4) | instskip(NEXT) | instid1(VALU_DEP_4)
	v_add_co_u32 v8, vcc_lo, v0, 8
	v_add_co_ci_u32_e32 v9, vcc_lo, 0, v1, vcc_lo
	v_dual_mov_b32 v4, v14 :: v_dual_mov_b32 v19, v15
	v_mov_b32_e32 v0, v14
	v_mov_b32_e32 v6, v14
	v_dual_mov_b32 v1, v15 :: v_dual_lshlrev_b32 v24, 4, v20
	v_lshl_add_u32 v25, v21, 7, 0x1000
	v_dual_mov_b32 v5, v15 :: v_dual_mov_b32 v18, v14
	v_mov_b32_e32 v7, v15
	s_lshl_b64 s[8:9], s[18:19], 7
.LBB407_2:                              ; =>This Inner Loop Header: Depth=1
	global_load_b128 v[26:29], v[2:3], off offset:-8
	v_add_co_u32 v2, vcc_lo, v2, s4
	v_add_co_ci_u32_e32 v3, vcc_lo, s5, v3, vcc_lo
	s_add_i32 s14, s14, 8
	s_delay_alu instid0(SALU_CYCLE_1)
	s_cmp_ge_i32 s14, s3
	s_waitcnt vmcnt(0)
	ds_store_b128 v22, v[26:29]
	global_load_b128 v[26:29], v[8:9], off offset:-8
	v_add_co_u32 v8, vcc_lo, v8, s8
	v_add_co_ci_u32_e32 v9, vcc_lo, s9, v9, vcc_lo
	s_waitcnt vmcnt(0)
	v_xor_b32_e32 v29, 0x80000000, v29
	ds_store_b128 v23, v[26:29]
	s_waitcnt lgkmcnt(0)
	s_barrier
	buffer_gl0_inv
	ds_load_b128 v[26:29], v25
	ds_load_b128 v[30:33], v25 offset:16
	ds_load_b128 v[34:37], v25 offset:32
	;; [unrolled: 1-line block ×3, first 2 shown]
	ds_load_b128 v[42:45], v24
	s_waitcnt lgkmcnt(0)
	v_mul_f64 v[46:47], v[28:29], v[44:45]
	v_mul_f64 v[48:49], v[26:27], v[44:45]
	s_delay_alu instid0(VALU_DEP_2) | instskip(NEXT) | instid1(VALU_DEP_2)
	v_fma_f64 v[46:47], v[26:27], v[42:43], -v[46:47]
	v_fma_f64 v[48:49], v[28:29], v[42:43], v[48:49]
	s_delay_alu instid0(VALU_DEP_2) | instskip(NEXT) | instid1(VALU_DEP_2)
	v_add_f64 v[50:51], v[6:7], v[46:47]
	v_add_f64 v[18:19], v[18:19], v[48:49]
	ds_load_b128 v[46:49], v24 offset:256
	s_waitcnt lgkmcnt(0)
	v_mul_f64 v[6:7], v[28:29], v[48:49]
	s_delay_alu instid0(VALU_DEP_1) | instskip(SKIP_1) | instid1(VALU_DEP_2)
	v_fma_f64 v[6:7], v[26:27], v[46:47], -v[6:7]
	v_mul_f64 v[26:27], v[26:27], v[48:49]
	v_add_f64 v[0:1], v[0:1], v[6:7]
	s_delay_alu instid0(VALU_DEP_2) | instskip(NEXT) | instid1(VALU_DEP_1)
	v_fma_f64 v[26:27], v[28:29], v[46:47], v[26:27]
	v_add_f64 v[52:53], v[12:13], v[26:27]
	ds_load_b128 v[26:29], v25 offset:2048
	s_waitcnt lgkmcnt(0)
	v_mul_f64 v[6:7], v[28:29], v[44:45]
	v_mul_f64 v[12:13], v[26:27], v[44:45]
	s_delay_alu instid0(VALU_DEP_2) | instskip(NEXT) | instid1(VALU_DEP_2)
	v_fma_f64 v[6:7], v[26:27], v[42:43], -v[6:7]
	v_fma_f64 v[12:13], v[28:29], v[42:43], v[12:13]
	s_delay_alu instid0(VALU_DEP_2) | instskip(SKIP_2) | instid1(VALU_DEP_4)
	v_add_f64 v[42:43], v[4:5], v[6:7]
	v_mul_f64 v[4:5], v[28:29], v[48:49]
	v_mul_f64 v[6:7], v[26:27], v[48:49]
	v_add_f64 v[44:45], v[16:17], v[12:13]
	s_delay_alu instid0(VALU_DEP_3) | instskip(NEXT) | instid1(VALU_DEP_3)
	v_fma_f64 v[4:5], v[26:27], v[46:47], -v[4:5]
	v_fma_f64 v[6:7], v[28:29], v[46:47], v[6:7]
	s_delay_alu instid0(VALU_DEP_2) | instskip(NEXT) | instid1(VALU_DEP_2)
	v_add_f64 v[26:27], v[10:11], v[4:5]
	v_add_f64 v[28:29], v[14:15], v[6:7]
	ds_load_b128 v[4:7], v24 offset:512
	s_waitcnt lgkmcnt(0)
	v_mul_f64 v[10:11], v[32:33], v[6:7]
	v_mul_f64 v[12:13], v[30:31], v[6:7]
	s_delay_alu instid0(VALU_DEP_2) | instskip(NEXT) | instid1(VALU_DEP_2)
	v_fma_f64 v[10:11], v[30:31], v[4:5], -v[10:11]
	v_fma_f64 v[12:13], v[32:33], v[4:5], v[12:13]
	s_delay_alu instid0(VALU_DEP_2) | instskip(NEXT) | instid1(VALU_DEP_2)
	v_add_f64 v[46:47], v[50:51], v[10:11]
	v_add_f64 v[18:19], v[18:19], v[12:13]
	ds_load_b128 v[10:13], v24 offset:768
	s_waitcnt lgkmcnt(0)
	v_mul_f64 v[14:15], v[32:33], v[12:13]
	v_mul_f64 v[16:17], v[30:31], v[12:13]
	s_delay_alu instid0(VALU_DEP_2) | instskip(NEXT) | instid1(VALU_DEP_2)
	;; [unrolled: 10-line block ×3, first 2 shown]
	v_fma_f64 v[32:33], v[14:15], v[4:5], -v[32:33]
	v_fma_f64 v[4:5], v[16:17], v[4:5], v[6:7]
	v_mul_f64 v[6:7], v[14:15], v[12:13]
	s_delay_alu instid0(VALU_DEP_3) | instskip(NEXT) | instid1(VALU_DEP_3)
	v_add_f64 v[32:33], v[42:43], v[32:33]
	v_add_f64 v[42:43], v[44:45], v[4:5]
	v_mul_f64 v[4:5], v[16:17], v[12:13]
	s_delay_alu instid0(VALU_DEP_4) | instskip(NEXT) | instid1(VALU_DEP_2)
	v_fma_f64 v[6:7], v[16:17], v[10:11], v[6:7]
	v_fma_f64 v[4:5], v[14:15], v[10:11], -v[4:5]
	s_delay_alu instid0(VALU_DEP_2) | instskip(NEXT) | instid1(VALU_DEP_2)
	v_add_f64 v[28:29], v[28:29], v[6:7]
	v_add_f64 v[26:27], v[26:27], v[4:5]
	ds_load_b128 v[4:7], v24 offset:1024
	s_waitcnt lgkmcnt(0)
	v_mul_f64 v[10:11], v[36:37], v[6:7]
	v_mul_f64 v[12:13], v[34:35], v[6:7]
	s_delay_alu instid0(VALU_DEP_2) | instskip(NEXT) | instid1(VALU_DEP_2)
	v_fma_f64 v[10:11], v[34:35], v[4:5], -v[10:11]
	v_fma_f64 v[12:13], v[36:37], v[4:5], v[12:13]
	s_delay_alu instid0(VALU_DEP_2) | instskip(NEXT) | instid1(VALU_DEP_2)
	v_add_f64 v[44:45], v[46:47], v[10:11]
	v_add_f64 v[18:19], v[18:19], v[12:13]
	ds_load_b128 v[10:13], v24 offset:1280
	s_waitcnt lgkmcnt(0)
	v_mul_f64 v[14:15], v[36:37], v[12:13]
	v_mul_f64 v[16:17], v[34:35], v[12:13]
	s_delay_alu instid0(VALU_DEP_2) | instskip(NEXT) | instid1(VALU_DEP_2)
	v_fma_f64 v[14:15], v[34:35], v[10:11], -v[14:15]
	v_fma_f64 v[16:17], v[36:37], v[10:11], v[16:17]
	;; [unrolled: 10-line block ×3, first 2 shown]
	v_mul_f64 v[6:7], v[14:15], v[12:13]
	s_delay_alu instid0(VALU_DEP_3) | instskip(NEXT) | instid1(VALU_DEP_3)
	v_add_f64 v[32:33], v[32:33], v[34:35]
	v_add_f64 v[34:35], v[42:43], v[4:5]
	v_mul_f64 v[4:5], v[16:17], v[12:13]
	s_delay_alu instid0(VALU_DEP_4) | instskip(NEXT) | instid1(VALU_DEP_2)
	v_fma_f64 v[6:7], v[16:17], v[10:11], v[6:7]
	v_fma_f64 v[4:5], v[14:15], v[10:11], -v[4:5]
	s_delay_alu instid0(VALU_DEP_2) | instskip(NEXT) | instid1(VALU_DEP_2)
	v_add_f64 v[28:29], v[28:29], v[6:7]
	v_add_f64 v[26:27], v[26:27], v[4:5]
	ds_load_b128 v[4:7], v24 offset:1536
	s_waitcnt lgkmcnt(0)
	v_mul_f64 v[10:11], v[40:41], v[6:7]
	v_mul_f64 v[12:13], v[38:39], v[6:7]
	s_delay_alu instid0(VALU_DEP_2) | instskip(NEXT) | instid1(VALU_DEP_2)
	v_fma_f64 v[10:11], v[38:39], v[4:5], -v[10:11]
	v_fma_f64 v[12:13], v[40:41], v[4:5], v[12:13]
	s_delay_alu instid0(VALU_DEP_2) | instskip(NEXT) | instid1(VALU_DEP_2)
	v_add_f64 v[36:37], v[44:45], v[10:11]
	v_add_f64 v[18:19], v[18:19], v[12:13]
	ds_load_b128 v[10:13], v24 offset:1792
	s_waitcnt lgkmcnt(0)
	v_mul_f64 v[14:15], v[40:41], v[12:13]
	v_mul_f64 v[16:17], v[38:39], v[12:13]
	s_delay_alu instid0(VALU_DEP_2) | instskip(NEXT) | instid1(VALU_DEP_2)
	v_fma_f64 v[14:15], v[38:39], v[10:11], -v[14:15]
	v_fma_f64 v[16:17], v[40:41], v[10:11], v[16:17]
	;; [unrolled: 10-line block ×3, first 2 shown]
	v_mul_f64 v[6:7], v[14:15], v[12:13]
	s_delay_alu instid0(VALU_DEP_3) | instskip(NEXT) | instid1(VALU_DEP_3)
	v_add_f64 v[32:33], v[32:33], v[38:39]
	v_add_f64 v[34:35], v[34:35], v[4:5]
	v_mul_f64 v[4:5], v[16:17], v[12:13]
	s_delay_alu instid0(VALU_DEP_4) | instskip(NEXT) | instid1(VALU_DEP_2)
	v_fma_f64 v[6:7], v[16:17], v[10:11], v[6:7]
	v_fma_f64 v[4:5], v[14:15], v[10:11], -v[4:5]
	s_delay_alu instid0(VALU_DEP_2) | instskip(NEXT) | instid1(VALU_DEP_2)
	v_add_f64 v[28:29], v[28:29], v[6:7]
	v_add_f64 v[26:27], v[26:27], v[4:5]
	ds_load_b128 v[4:7], v25 offset:64
	ds_load_b128 v[10:13], v24 offset:2048
	s_waitcnt lgkmcnt(0)
	v_mul_f64 v[14:15], v[6:7], v[12:13]
	v_mul_f64 v[16:17], v[4:5], v[12:13]
	s_delay_alu instid0(VALU_DEP_2) | instskip(NEXT) | instid1(VALU_DEP_2)
	v_fma_f64 v[14:15], v[4:5], v[10:11], -v[14:15]
	v_fma_f64 v[16:17], v[6:7], v[10:11], v[16:17]
	s_delay_alu instid0(VALU_DEP_2) | instskip(NEXT) | instid1(VALU_DEP_2)
	v_add_f64 v[36:37], v[36:37], v[14:15]
	v_add_f64 v[18:19], v[18:19], v[16:17]
	ds_load_b128 v[14:17], v24 offset:2304
	s_waitcnt lgkmcnt(0)
	v_mul_f64 v[38:39], v[6:7], v[16:17]
	s_delay_alu instid0(VALU_DEP_1) | instskip(SKIP_1) | instid1(VALU_DEP_2)
	v_fma_f64 v[38:39], v[4:5], v[14:15], -v[38:39]
	v_mul_f64 v[4:5], v[4:5], v[16:17]
	v_add_f64 v[0:1], v[0:1], v[38:39]
	s_delay_alu instid0(VALU_DEP_2) | instskip(NEXT) | instid1(VALU_DEP_1)
	v_fma_f64 v[4:5], v[6:7], v[14:15], v[4:5]
	v_add_f64 v[30:31], v[30:31], v[4:5]
	ds_load_b128 v[4:7], v25 offset:2112
	s_waitcnt lgkmcnt(0)
	v_mul_f64 v[38:39], v[6:7], v[12:13]
	v_mul_f64 v[12:13], v[4:5], v[12:13]
	s_delay_alu instid0(VALU_DEP_2) | instskip(NEXT) | instid1(VALU_DEP_2)
	v_fma_f64 v[38:39], v[4:5], v[10:11], -v[38:39]
	v_fma_f64 v[10:11], v[6:7], v[10:11], v[12:13]
	s_delay_alu instid0(VALU_DEP_2) | instskip(NEXT) | instid1(VALU_DEP_2)
	v_add_f64 v[32:33], v[32:33], v[38:39]
	v_add_f64 v[34:35], v[34:35], v[10:11]
	v_mul_f64 v[10:11], v[6:7], v[16:17]
	s_delay_alu instid0(VALU_DEP_1) | instskip(SKIP_1) | instid1(VALU_DEP_2)
	v_fma_f64 v[10:11], v[4:5], v[14:15], -v[10:11]
	v_mul_f64 v[4:5], v[4:5], v[16:17]
	v_add_f64 v[26:27], v[26:27], v[10:11]
	s_delay_alu instid0(VALU_DEP_2) | instskip(NEXT) | instid1(VALU_DEP_1)
	v_fma_f64 v[4:5], v[6:7], v[14:15], v[4:5]
	v_add_f64 v[28:29], v[28:29], v[4:5]
	ds_load_b128 v[4:7], v25 offset:80
	ds_load_b128 v[10:13], v24 offset:2560
	s_waitcnt lgkmcnt(0)
	v_mul_f64 v[14:15], v[6:7], v[12:13]
	v_mul_f64 v[16:17], v[4:5], v[12:13]
	s_delay_alu instid0(VALU_DEP_2) | instskip(NEXT) | instid1(VALU_DEP_2)
	v_fma_f64 v[14:15], v[4:5], v[10:11], -v[14:15]
	v_fma_f64 v[16:17], v[6:7], v[10:11], v[16:17]
	s_delay_alu instid0(VALU_DEP_2) | instskip(NEXT) | instid1(VALU_DEP_2)
	v_add_f64 v[36:37], v[36:37], v[14:15]
	v_add_f64 v[18:19], v[18:19], v[16:17]
	ds_load_b128 v[14:17], v24 offset:2816
	s_waitcnt lgkmcnt(0)
	v_mul_f64 v[38:39], v[6:7], v[16:17]
	s_delay_alu instid0(VALU_DEP_1) | instskip(SKIP_1) | instid1(VALU_DEP_2)
	v_fma_f64 v[38:39], v[4:5], v[14:15], -v[38:39]
	v_mul_f64 v[4:5], v[4:5], v[16:17]
	v_add_f64 v[0:1], v[0:1], v[38:39]
	s_delay_alu instid0(VALU_DEP_2) | instskip(NEXT) | instid1(VALU_DEP_1)
	v_fma_f64 v[4:5], v[6:7], v[14:15], v[4:5]
	v_add_f64 v[30:31], v[30:31], v[4:5]
	ds_load_b128 v[4:7], v25 offset:2128
	s_waitcnt lgkmcnt(0)
	v_mul_f64 v[38:39], v[6:7], v[12:13]
	v_mul_f64 v[12:13], v[4:5], v[12:13]
	s_delay_alu instid0(VALU_DEP_2) | instskip(NEXT) | instid1(VALU_DEP_2)
	v_fma_f64 v[38:39], v[4:5], v[10:11], -v[38:39]
	v_fma_f64 v[10:11], v[6:7], v[10:11], v[12:13]
	s_delay_alu instid0(VALU_DEP_2) | instskip(NEXT) | instid1(VALU_DEP_2)
	v_add_f64 v[32:33], v[32:33], v[38:39]
	v_add_f64 v[34:35], v[34:35], v[10:11]
	v_mul_f64 v[10:11], v[6:7], v[16:17]
	s_delay_alu instid0(VALU_DEP_1) | instskip(SKIP_1) | instid1(VALU_DEP_2)
	v_fma_f64 v[10:11], v[4:5], v[14:15], -v[10:11]
	v_mul_f64 v[4:5], v[4:5], v[16:17]
	v_add_f64 v[26:27], v[26:27], v[10:11]
	s_delay_alu instid0(VALU_DEP_2) | instskip(NEXT) | instid1(VALU_DEP_1)
	v_fma_f64 v[4:5], v[6:7], v[14:15], v[4:5]
	v_add_f64 v[28:29], v[28:29], v[4:5]
	ds_load_b128 v[4:7], v25 offset:96
	ds_load_b128 v[10:13], v24 offset:3072
	s_waitcnt lgkmcnt(0)
	v_mul_f64 v[14:15], v[6:7], v[12:13]
	v_mul_f64 v[16:17], v[4:5], v[12:13]
	s_delay_alu instid0(VALU_DEP_2) | instskip(NEXT) | instid1(VALU_DEP_2)
	v_fma_f64 v[14:15], v[4:5], v[10:11], -v[14:15]
	v_fma_f64 v[16:17], v[6:7], v[10:11], v[16:17]
	s_delay_alu instid0(VALU_DEP_2) | instskip(NEXT) | instid1(VALU_DEP_2)
	v_add_f64 v[36:37], v[36:37], v[14:15]
	v_add_f64 v[18:19], v[18:19], v[16:17]
	ds_load_b128 v[14:17], v24 offset:3328
	s_waitcnt lgkmcnt(0)
	v_mul_f64 v[38:39], v[6:7], v[16:17]
	s_delay_alu instid0(VALU_DEP_1) | instskip(SKIP_1) | instid1(VALU_DEP_2)
	v_fma_f64 v[38:39], v[4:5], v[14:15], -v[38:39]
	v_mul_f64 v[4:5], v[4:5], v[16:17]
	v_add_f64 v[0:1], v[0:1], v[38:39]
	s_delay_alu instid0(VALU_DEP_2) | instskip(NEXT) | instid1(VALU_DEP_1)
	v_fma_f64 v[4:5], v[6:7], v[14:15], v[4:5]
	v_add_f64 v[30:31], v[30:31], v[4:5]
	ds_load_b128 v[4:7], v25 offset:2144
	s_waitcnt lgkmcnt(0)
	v_mul_f64 v[38:39], v[6:7], v[12:13]
	v_mul_f64 v[12:13], v[4:5], v[12:13]
	s_delay_alu instid0(VALU_DEP_2) | instskip(NEXT) | instid1(VALU_DEP_2)
	v_fma_f64 v[38:39], v[4:5], v[10:11], -v[38:39]
	v_fma_f64 v[10:11], v[6:7], v[10:11], v[12:13]
	s_delay_alu instid0(VALU_DEP_2) | instskip(NEXT) | instid1(VALU_DEP_2)
	v_add_f64 v[38:39], v[32:33], v[38:39]
	v_add_f64 v[34:35], v[34:35], v[10:11]
	v_mul_f64 v[10:11], v[6:7], v[16:17]
	s_delay_alu instid0(VALU_DEP_1) | instskip(SKIP_1) | instid1(VALU_DEP_2)
	v_fma_f64 v[10:11], v[4:5], v[14:15], -v[10:11]
	v_mul_f64 v[4:5], v[4:5], v[16:17]
	v_add_f64 v[40:41], v[26:27], v[10:11]
	s_delay_alu instid0(VALU_DEP_2)
	v_fma_f64 v[4:5], v[6:7], v[14:15], v[4:5]
	ds_load_b128 v[10:13], v25 offset:112
	ds_load_b128 v[14:17], v24 offset:3584
	s_waitcnt lgkmcnt(0)
	v_mul_f64 v[6:7], v[10:11], v[16:17]
	v_add_f64 v[42:43], v[28:29], v[4:5]
	v_mul_f64 v[4:5], v[12:13], v[16:17]
	s_delay_alu instid0(VALU_DEP_3) | instskip(NEXT) | instid1(VALU_DEP_2)
	v_fma_f64 v[26:27], v[12:13], v[14:15], v[6:7]
	v_fma_f64 v[4:5], v[10:11], v[14:15], -v[4:5]
	s_delay_alu instid0(VALU_DEP_2) | instskip(SKIP_4) | instid1(VALU_DEP_1)
	v_add_f64 v[18:19], v[18:19], v[26:27]
	ds_load_b128 v[26:29], v24 offset:3840
	v_add_f64 v[6:7], v[36:37], v[4:5]
	s_waitcnt lgkmcnt(0)
	v_mul_f64 v[4:5], v[12:13], v[28:29]
	v_fma_f64 v[4:5], v[10:11], v[26:27], -v[4:5]
	v_mul_f64 v[10:11], v[10:11], v[28:29]
	s_delay_alu instid0(VALU_DEP_2) | instskip(NEXT) | instid1(VALU_DEP_2)
	v_add_f64 v[0:1], v[0:1], v[4:5]
	v_fma_f64 v[10:11], v[12:13], v[26:27], v[10:11]
	s_delay_alu instid0(VALU_DEP_1)
	v_add_f64 v[12:13], v[30:31], v[10:11]
	ds_load_b128 v[30:33], v25 offset:2160
	s_waitcnt lgkmcnt(0)
	s_barrier
	buffer_gl0_inv
	v_mul_f64 v[10:11], v[30:31], v[16:17]
	v_mul_f64 v[4:5], v[32:33], v[16:17]
	s_delay_alu instid0(VALU_DEP_2) | instskip(NEXT) | instid1(VALU_DEP_2)
	v_fma_f64 v[10:11], v[32:33], v[14:15], v[10:11]
	v_fma_f64 v[4:5], v[30:31], v[14:15], -v[4:5]
	v_mul_f64 v[14:15], v[30:31], v[28:29]
	s_delay_alu instid0(VALU_DEP_3) | instskip(SKIP_1) | instid1(VALU_DEP_3)
	v_add_f64 v[16:17], v[34:35], v[10:11]
	v_mul_f64 v[10:11], v[32:33], v[28:29]
	v_fma_f64 v[14:15], v[32:33], v[26:27], v[14:15]
	v_add_f64 v[4:5], v[38:39], v[4:5]
	s_delay_alu instid0(VALU_DEP_3) | instskip(NEXT) | instid1(VALU_DEP_3)
	v_fma_f64 v[10:11], v[30:31], v[26:27], -v[10:11]
	v_add_f64 v[14:15], v[42:43], v[14:15]
	s_delay_alu instid0(VALU_DEP_2)
	v_add_f64 v[10:11], v[40:41], v[10:11]
	s_cbranch_scc0 .LBB407_2
.LBB407_3:
	s_clause 0x1
	s_load_b32 s3, s[0:1], 0x40
	s_load_b64 s[4:5], s[0:1], 0x48
	v_add_nc_u32_e32 v22, s13, v21
	v_add_nc_u32_e32 v20, s12, v20
	s_delay_alu instid0(VALU_DEP_1)
	v_cmp_le_i32_e64 s0, v22, v20
	v_cmp_gt_i32_e32 vcc_lo, s2, v20
	s_waitcnt lgkmcnt(0)
	v_mad_i64_i32 v[2:3], null, v22, s3, 0
	s_mul_i32 s1, s15, s5
	s_mul_hi_u32 s5, s15, s4
	s_mul_i32 s4, s15, s4
	s_add_i32 s5, s5, s1
	s_delay_alu instid0(SALU_CYCLE_1) | instskip(NEXT) | instid1(VALU_DEP_1)
	s_lshl_b64 s[4:5], s[4:5], 4
	v_lshlrev_b64 v[2:3], 4, v[2:3]
	s_add_u32 s4, s6, s4
	s_addc_u32 s5, s7, s5
	s_and_b32 s0, s0, vcc_lo
	s_delay_alu instid0(VALU_DEP_1) | instskip(NEXT) | instid1(VALU_DEP_1)
	v_add_co_u32 v2, s1, s4, v2
	v_add_co_ci_u32_e64 v23, s1, s5, v3, s1
	s_and_saveexec_b32 s6, s0
	s_cbranch_execz .LBB407_5
; %bb.4:
	v_ashrrev_i32_e32 v21, 31, v20
	v_cmp_ne_u32_e64 s0, v22, v20
	v_xor_b32_e32 v7, 0x80000000, v7
	s_delay_alu instid0(VALU_DEP_3) | instskip(NEXT) | instid1(VALU_DEP_3)
	v_lshlrev_b64 v[24:25], 4, v[20:21]
	v_cndmask_b32_e64 v9, 0, -v19, s0
	v_cndmask_b32_e64 v8, 0, v18, s0
	s_delay_alu instid0(VALU_DEP_3) | instskip(NEXT) | instid1(VALU_DEP_1)
	v_add_co_u32 v24, s1, v2, v24
	v_add_co_ci_u32_e64 v25, s1, v23, v25, s1
	global_store_b128 v[24:25], v[6:9], off
.LBB407_5:
	s_or_b32 exec_lo, exec_lo, s6
	v_add_nc_u32_e32 v8, 16, v20
	s_delay_alu instid0(VALU_DEP_1) | instskip(SKIP_1) | instid1(VALU_DEP_1)
	v_cmp_le_i32_e64 s1, v22, v8
	v_cmp_gt_i32_e64 s0, s2, v8
	s_and_b32 s1, s1, s0
	s_delay_alu instid0(SALU_CYCLE_1)
	s_and_saveexec_b32 s6, s1
	s_cbranch_execz .LBB407_7
; %bb.6:
	v_ashrrev_i32_e32 v9, 31, v8
	v_cmp_ne_u32_e64 s1, v22, v8
	v_xor_b32_e32 v1, 0x80000000, v1
	s_delay_alu instid0(VALU_DEP_3) | instskip(NEXT) | instid1(VALU_DEP_3)
	v_lshlrev_b64 v[6:7], 4, v[8:9]
	v_cndmask_b32_e64 v3, 0, -v13, s1
	s_delay_alu instid0(VALU_DEP_2) | instskip(NEXT) | instid1(VALU_DEP_1)
	v_add_co_u32 v6, s2, v2, v6
	v_add_co_ci_u32_e64 v7, s2, v23, v7, s2
	v_cndmask_b32_e64 v2, 0, v12, s1
	global_store_b128 v[6:7], v[0:3], off
.LBB407_7:
	s_or_b32 exec_lo, exec_lo, s6
	v_add_nc_u32_e32 v2, 16, v22
	s_delay_alu instid0(VALU_DEP_1) | instskip(SKIP_1) | instid1(VALU_DEP_1)
	v_mad_i64_i32 v[0:1], null, v2, s3, 0
	v_cmp_le_i32_e64 s1, v2, v20
	s_and_b32 s1, s1, vcc_lo
	s_delay_alu instid0(VALU_DEP_2) | instskip(NEXT) | instid1(VALU_DEP_1)
	v_lshlrev_b64 v[0:1], 4, v[0:1]
	v_add_co_u32 v0, s2, s4, v0
	s_delay_alu instid0(VALU_DEP_1)
	v_add_co_ci_u32_e64 v1, s2, s5, v1, s2
	s_and_saveexec_b32 s2, s1
	s_cbranch_execz .LBB407_9
; %bb.8:
	v_ashrrev_i32_e32 v21, 31, v20
	v_cmp_ne_u32_e32 vcc_lo, v2, v20
	v_xor_b32_e32 v5, 0x80000000, v5
	s_delay_alu instid0(VALU_DEP_3) | instskip(SKIP_2) | instid1(VALU_DEP_3)
	v_lshlrev_b64 v[12:13], 4, v[20:21]
	v_cndmask_b32_e64 v7, 0, -v17, vcc_lo
	v_cndmask_b32_e32 v6, 0, v16, vcc_lo
	v_add_co_u32 v12, s1, v0, v12
	s_delay_alu instid0(VALU_DEP_1)
	v_add_co_ci_u32_e64 v13, s1, v1, v13, s1
	global_store_b128 v[12:13], v[4:7], off
.LBB407_9:
	s_or_b32 exec_lo, exec_lo, s2
	v_cmp_le_i32_e32 vcc_lo, v2, v8
	s_and_b32 s0, vcc_lo, s0
	s_delay_alu instid0(SALU_CYCLE_1)
	s_and_saveexec_b32 s1, s0
	s_cbranch_execz .LBB407_11
; %bb.10:
	v_ashrrev_i32_e32 v9, 31, v8
	v_cmp_ne_u32_e32 vcc_lo, v22, v20
	v_xor_b32_e32 v11, 0x80000000, v11
	s_delay_alu instid0(VALU_DEP_3) | instskip(SKIP_2) | instid1(VALU_DEP_3)
	v_lshlrev_b64 v[2:3], 4, v[8:9]
	v_cndmask_b32_e64 v13, 0, -v15, vcc_lo
	v_cndmask_b32_e32 v12, 0, v14, vcc_lo
	v_add_co_u32 v0, s0, v0, v2
	s_delay_alu instid0(VALU_DEP_1)
	v_add_co_ci_u32_e64 v1, s0, v1, v3, s0
	global_store_b128 v[0:1], v[10:13], off
.LBB407_11:
	s_nop 0
	s_sendmsg sendmsg(MSG_DEALLOC_VGPRS)
	s_endpgm
	.section	.rodata,"a",@progbits
	.p2align	6, 0x0
	.amdhsa_kernel _ZL37rocblas_syrkx_herkx_restricted_kernelIi19rocblas_complex_numIdELi16ELi32ELi8ELin1ELi0ELb1ELc78ELc76EKS1_S1_EviT_PT9_S3_lS5_S3_lPT10_S3_li
		.amdhsa_group_segment_fixed_size 8192
		.amdhsa_private_segment_fixed_size 0
		.amdhsa_kernarg_size 84
		.amdhsa_user_sgpr_count 13
		.amdhsa_user_sgpr_dispatch_ptr 0
		.amdhsa_user_sgpr_queue_ptr 0
		.amdhsa_user_sgpr_kernarg_segment_ptr 1
		.amdhsa_user_sgpr_dispatch_id 0
		.amdhsa_user_sgpr_private_segment_size 0
		.amdhsa_wavefront_size32 1
		.amdhsa_uses_dynamic_stack 0
		.amdhsa_enable_private_segment 0
		.amdhsa_system_sgpr_workgroup_id_x 1
		.amdhsa_system_sgpr_workgroup_id_y 1
		.amdhsa_system_sgpr_workgroup_id_z 1
		.amdhsa_system_sgpr_workgroup_info 0
		.amdhsa_system_vgpr_workitem_id 1
		.amdhsa_next_free_vgpr 54
		.amdhsa_next_free_sgpr 23
		.amdhsa_reserve_vcc 1
		.amdhsa_float_round_mode_32 0
		.amdhsa_float_round_mode_16_64 0
		.amdhsa_float_denorm_mode_32 3
		.amdhsa_float_denorm_mode_16_64 3
		.amdhsa_dx10_clamp 1
		.amdhsa_ieee_mode 1
		.amdhsa_fp16_overflow 0
		.amdhsa_workgroup_processor_mode 1
		.amdhsa_memory_ordered 1
		.amdhsa_forward_progress 0
		.amdhsa_shared_vgpr_count 0
		.amdhsa_exception_fp_ieee_invalid_op 0
		.amdhsa_exception_fp_denorm_src 0
		.amdhsa_exception_fp_ieee_div_zero 0
		.amdhsa_exception_fp_ieee_overflow 0
		.amdhsa_exception_fp_ieee_underflow 0
		.amdhsa_exception_fp_ieee_inexact 0
		.amdhsa_exception_int_div_zero 0
	.end_amdhsa_kernel
	.section	.text._ZL37rocblas_syrkx_herkx_restricted_kernelIi19rocblas_complex_numIdELi16ELi32ELi8ELin1ELi0ELb1ELc78ELc76EKS1_S1_EviT_PT9_S3_lS5_S3_lPT10_S3_li,"axG",@progbits,_ZL37rocblas_syrkx_herkx_restricted_kernelIi19rocblas_complex_numIdELi16ELi32ELi8ELin1ELi0ELb1ELc78ELc76EKS1_S1_EviT_PT9_S3_lS5_S3_lPT10_S3_li,comdat
.Lfunc_end407:
	.size	_ZL37rocblas_syrkx_herkx_restricted_kernelIi19rocblas_complex_numIdELi16ELi32ELi8ELin1ELi0ELb1ELc78ELc76EKS1_S1_EviT_PT9_S3_lS5_S3_lPT10_S3_li, .Lfunc_end407-_ZL37rocblas_syrkx_herkx_restricted_kernelIi19rocblas_complex_numIdELi16ELi32ELi8ELin1ELi0ELb1ELc78ELc76EKS1_S1_EviT_PT9_S3_lS5_S3_lPT10_S3_li
                                        ; -- End function
	.section	.AMDGPU.csdata,"",@progbits
; Kernel info:
; codeLenInByte = 3316
; NumSgprs: 25
; NumVgprs: 54
; ScratchSize: 0
; MemoryBound: 0
; FloatMode: 240
; IeeeMode: 1
; LDSByteSize: 8192 bytes/workgroup (compile time only)
; SGPRBlocks: 3
; VGPRBlocks: 6
; NumSGPRsForWavesPerEU: 25
; NumVGPRsForWavesPerEU: 54
; Occupancy: 16
; WaveLimiterHint : 0
; COMPUTE_PGM_RSRC2:SCRATCH_EN: 0
; COMPUTE_PGM_RSRC2:USER_SGPR: 13
; COMPUTE_PGM_RSRC2:TRAP_HANDLER: 0
; COMPUTE_PGM_RSRC2:TGID_X_EN: 1
; COMPUTE_PGM_RSRC2:TGID_Y_EN: 1
; COMPUTE_PGM_RSRC2:TGID_Z_EN: 1
; COMPUTE_PGM_RSRC2:TIDIG_COMP_CNT: 1
	.section	.text._ZL37rocblas_syrkx_herkx_restricted_kernelIi19rocblas_complex_numIdELi16ELi32ELi8ELin1ELi0ELb1ELc84ELc85EKS1_S1_EviT_PT9_S3_lS5_S3_lPT10_S3_li,"axG",@progbits,_ZL37rocblas_syrkx_herkx_restricted_kernelIi19rocblas_complex_numIdELi16ELi32ELi8ELin1ELi0ELb1ELc84ELc85EKS1_S1_EviT_PT9_S3_lS5_S3_lPT10_S3_li,comdat
	.globl	_ZL37rocblas_syrkx_herkx_restricted_kernelIi19rocblas_complex_numIdELi16ELi32ELi8ELin1ELi0ELb1ELc84ELc85EKS1_S1_EviT_PT9_S3_lS5_S3_lPT10_S3_li ; -- Begin function _ZL37rocblas_syrkx_herkx_restricted_kernelIi19rocblas_complex_numIdELi16ELi32ELi8ELin1ELi0ELb1ELc84ELc85EKS1_S1_EviT_PT9_S3_lS5_S3_lPT10_S3_li
	.p2align	8
	.type	_ZL37rocblas_syrkx_herkx_restricted_kernelIi19rocblas_complex_numIdELi16ELi32ELi8ELin1ELi0ELb1ELc84ELc85EKS1_S1_EviT_PT9_S3_lS5_S3_lPT10_S3_li,@function
_ZL37rocblas_syrkx_herkx_restricted_kernelIi19rocblas_complex_numIdELi16ELi32ELi8ELin1ELi0ELb1ELc84ELc85EKS1_S1_EviT_PT9_S3_lS5_S3_lPT10_S3_li: ; @_ZL37rocblas_syrkx_herkx_restricted_kernelIi19rocblas_complex_numIdELi16ELi32ELi8ELin1ELi0ELb1ELc84ELc85EKS1_S1_EviT_PT9_S3_lS5_S3_lPT10_S3_li
; %bb.0:
	s_clause 0x1
	s_load_b64 s[2:3], s[0:1], 0x0
	s_load_b128 s[4:7], s[0:1], 0x30
	v_mov_b32_e32 v10, 0
	v_dual_mov_b32 v11, 0 :: v_dual_and_b32 v20, 0x3ff, v0
	v_bfe_u32 v21, v0, 10, 10
	s_delay_alu instid0(VALU_DEP_3) | instskip(NEXT) | instid1(VALU_DEP_3)
	v_mov_b32_e32 v0, v10
	v_dual_mov_b32 v4, v10 :: v_dual_mov_b32 v5, v11
	v_dual_mov_b32 v13, v11 :: v_dual_mov_b32 v12, v10
	v_mov_b32_e32 v1, v11
	v_dual_mov_b32 v15, v11 :: v_dual_mov_b32 v14, v10
	v_dual_mov_b32 v19, v11 :: v_dual_mov_b32 v18, v10
	;; [unrolled: 1-line block ×4, first 2 shown]
	s_lshl_b32 s12, s13, 5
	s_lshl_b32 s13, s14, 5
	s_waitcnt lgkmcnt(0)
	s_cmp_lt_i32 s3, 1
	s_mov_b32 s14, 0
	s_cbranch_scc1 .LBB408_3
; %bb.1:
	s_clause 0x1
	s_load_b32 s18, s[0:1], 0x10
	s_load_b128 s[8:11], s[0:1], 0x18
	v_lshl_add_u32 v2, v21, 4, v20
	s_clause 0x1
	s_load_b64 s[16:17], s[0:1], 0x8
	s_load_b32 s19, s[0:1], 0x28
	v_dual_mov_b32 v1, 0 :: v_dual_and_b32 v0, 7, v20
	v_dual_mov_b32 v16, 0 :: v_dual_and_b32 v5, 31, v2
	v_lshrrev_b32_e32 v4, 3, v2
	v_dual_mov_b32 v17, 0 :: v_dual_lshlrev_b32 v22, 4, v20
	s_delay_alu instid0(VALU_DEP_4) | instskip(NEXT) | instid1(VALU_DEP_4)
	v_lshlrev_b32_e32 v3, 4, v0
	v_lshlrev_b32_e32 v6, 4, v5
	v_lshrrev_b32_e32 v2, 5, v2
	v_add_nc_u32_e32 v8, s12, v5
	v_add_nc_u32_e32 v9, s13, v4
	v_lshl_or_b32 v7, v4, 7, v3
	v_mov_b32_e32 v3, v1
	v_lshl_or_b32 v23, v2, 9, v6
	s_mul_i32 s5, s5, s15
	v_dual_mov_b32 v19, v17 :: v_dual_mov_b32 v18, v16
	s_waitcnt lgkmcnt(0)
	v_mad_i64_i32 v[4:5], null, s18, v8, v[2:3]
	v_add_nc_u32_e32 v24, 0x1000, v7
	s_mul_i32 s9, s9, s15
	s_mul_hi_u32 s18, s8, s15
	v_mad_i64_i32 v[2:3], null, s19, v9, v[0:1]
	s_mul_i32 s8, s8, s15
	s_add_i32 s9, s18, s9
	s_delay_alu instid0(VALU_DEP_3)
	v_lshlrev_b64 v[0:1], 4, v[4:5]
	s_lshl_b64 s[8:9], s[8:9], 4
	v_mov_b32_e32 v8, v16
	s_add_u32 s8, s16, s8
	s_mul_hi_u32 s16, s4, s15
	s_addc_u32 s9, s17, s9
	s_add_i32 s5, s16, s5
	s_mul_i32 s4, s4, s15
	v_lshlrev_b64 v[2:3], 4, v[2:3]
	s_lshl_b64 s[4:5], s[4:5], 4
	v_add_co_u32 v0, vcc_lo, s8, v0
	s_add_u32 s4, s10, s4
	v_add_co_ci_u32_e32 v1, vcc_lo, s9, v1, vcc_lo
	s_addc_u32 s5, s11, s5
	v_add_co_u32 v4, vcc_lo, s4, v2
	v_add_co_ci_u32_e32 v5, vcc_lo, s5, v3, vcc_lo
	v_add_co_u32 v2, vcc_lo, v0, 8
	v_add_co_ci_u32_e32 v3, vcc_lo, 0, v1, vcc_lo
	s_delay_alu instid0(VALU_DEP_4)
	v_add_co_u32 v6, vcc_lo, v4, 8
	v_lshl_add_u32 v25, v21, 7, 0x1000
	v_add_co_ci_u32_e32 v7, vcc_lo, 0, v5, vcc_lo
	v_dual_mov_b32 v9, v17 :: v_dual_mov_b32 v4, v16
	v_dual_mov_b32 v5, v17 :: v_dual_mov_b32 v14, v16
	;; [unrolled: 1-line block ×5, first 2 shown]
	v_mov_b32_e32 v11, v17
.LBB408_2:                              ; =>This Inner Loop Header: Depth=1
	global_load_b128 v[26:29], v[2:3], off offset:-8
	v_add_co_u32 v2, vcc_lo, 0x80, v2
	v_add_co_ci_u32_e32 v3, vcc_lo, 0, v3, vcc_lo
	s_add_i32 s14, s14, 8
	s_delay_alu instid0(SALU_CYCLE_1)
	s_cmp_ge_i32 s14, s3
	s_waitcnt vmcnt(0)
	ds_store_b128 v23, v[26:29]
	global_load_b128 v[26:29], v[6:7], off offset:-8
	v_add_co_u32 v6, vcc_lo, 0x80, v6
	v_add_co_ci_u32_e32 v7, vcc_lo, 0, v7, vcc_lo
	s_waitcnt vmcnt(0)
	ds_store_b128 v24, v[26:29]
	s_waitcnt lgkmcnt(0)
	s_barrier
	buffer_gl0_inv
	ds_load_b128 v[26:29], v25
	ds_load_b128 v[30:33], v25 offset:16
	ds_load_b128 v[34:37], v25 offset:32
	ds_load_b128 v[38:41], v25 offset:48
	ds_load_b128 v[42:45], v22
	s_waitcnt lgkmcnt(0)
	v_mul_f64 v[46:47], v[28:29], v[44:45]
	v_mul_f64 v[48:49], v[26:27], v[44:45]
	s_delay_alu instid0(VALU_DEP_2) | instskip(NEXT) | instid1(VALU_DEP_2)
	v_fma_f64 v[46:47], v[26:27], v[42:43], -v[46:47]
	v_fma_f64 v[48:49], v[28:29], v[42:43], v[48:49]
	s_delay_alu instid0(VALU_DEP_2) | instskip(NEXT) | instid1(VALU_DEP_2)
	v_add_f64 v[46:47], v[10:11], v[46:47]
	v_add_f64 v[48:49], v[12:13], v[48:49]
	ds_load_b128 v[10:13], v22 offset:256
	s_waitcnt lgkmcnt(0)
	v_mul_f64 v[50:51], v[28:29], v[12:13]
	s_delay_alu instid0(VALU_DEP_1) | instskip(SKIP_1) | instid1(VALU_DEP_2)
	v_fma_f64 v[50:51], v[26:27], v[10:11], -v[50:51]
	v_mul_f64 v[26:27], v[26:27], v[12:13]
	v_add_f64 v[0:1], v[0:1], v[50:51]
	s_delay_alu instid0(VALU_DEP_2) | instskip(NEXT) | instid1(VALU_DEP_1)
	v_fma_f64 v[26:27], v[28:29], v[10:11], v[26:27]
	v_add_f64 v[50:51], v[14:15], v[26:27]
	ds_load_b128 v[26:29], v25 offset:2048
	s_waitcnt lgkmcnt(0)
	v_mul_f64 v[14:15], v[28:29], v[44:45]
	v_mul_f64 v[44:45], v[26:27], v[44:45]
	s_delay_alu instid0(VALU_DEP_2) | instskip(NEXT) | instid1(VALU_DEP_2)
	v_fma_f64 v[14:15], v[26:27], v[42:43], -v[14:15]
	v_fma_f64 v[42:43], v[28:29], v[42:43], v[44:45]
	s_delay_alu instid0(VALU_DEP_2) | instskip(SKIP_2) | instid1(VALU_DEP_4)
	v_add_f64 v[4:5], v[4:5], v[14:15]
	v_mul_f64 v[14:15], v[28:29], v[12:13]
	v_mul_f64 v[12:13], v[26:27], v[12:13]
	v_add_f64 v[42:43], v[18:19], v[42:43]
	s_delay_alu instid0(VALU_DEP_3) | instskip(NEXT) | instid1(VALU_DEP_3)
	v_fma_f64 v[14:15], v[26:27], v[10:11], -v[14:15]
	v_fma_f64 v[10:11], v[28:29], v[10:11], v[12:13]
	s_delay_alu instid0(VALU_DEP_2) | instskip(NEXT) | instid1(VALU_DEP_2)
	v_add_f64 v[26:27], v[8:9], v[14:15]
	v_add_f64 v[28:29], v[16:17], v[10:11]
	ds_load_b128 v[8:11], v22 offset:512
	s_waitcnt lgkmcnt(0)
	v_mul_f64 v[12:13], v[32:33], v[10:11]
	v_mul_f64 v[14:15], v[30:31], v[10:11]
	s_delay_alu instid0(VALU_DEP_2) | instskip(NEXT) | instid1(VALU_DEP_2)
	v_fma_f64 v[12:13], v[30:31], v[8:9], -v[12:13]
	v_fma_f64 v[14:15], v[32:33], v[8:9], v[14:15]
	s_delay_alu instid0(VALU_DEP_2) | instskip(NEXT) | instid1(VALU_DEP_2)
	v_add_f64 v[44:45], v[46:47], v[12:13]
	v_add_f64 v[46:47], v[48:49], v[14:15]
	ds_load_b128 v[12:15], v22 offset:768
	s_waitcnt lgkmcnt(0)
	v_mul_f64 v[16:17], v[32:33], v[14:15]
	v_mul_f64 v[18:19], v[30:31], v[14:15]
	s_delay_alu instid0(VALU_DEP_2) | instskip(NEXT) | instid1(VALU_DEP_2)
	;; [unrolled: 10-line block ×3, first 2 shown]
	v_fma_f64 v[32:33], v[16:17], v[8:9], -v[32:33]
	v_fma_f64 v[8:9], v[18:19], v[8:9], v[10:11]
	v_mul_f64 v[10:11], v[16:17], v[14:15]
	s_delay_alu instid0(VALU_DEP_3) | instskip(NEXT) | instid1(VALU_DEP_3)
	v_add_f64 v[4:5], v[4:5], v[32:33]
	v_add_f64 v[32:33], v[42:43], v[8:9]
	v_mul_f64 v[8:9], v[18:19], v[14:15]
	s_delay_alu instid0(VALU_DEP_4) | instskip(NEXT) | instid1(VALU_DEP_2)
	v_fma_f64 v[10:11], v[18:19], v[12:13], v[10:11]
	v_fma_f64 v[8:9], v[16:17], v[12:13], -v[8:9]
	s_delay_alu instid0(VALU_DEP_2) | instskip(NEXT) | instid1(VALU_DEP_2)
	v_add_f64 v[28:29], v[28:29], v[10:11]
	v_add_f64 v[26:27], v[26:27], v[8:9]
	ds_load_b128 v[8:11], v22 offset:1024
	s_waitcnt lgkmcnt(0)
	v_mul_f64 v[12:13], v[36:37], v[10:11]
	v_mul_f64 v[14:15], v[34:35], v[10:11]
	s_delay_alu instid0(VALU_DEP_2) | instskip(NEXT) | instid1(VALU_DEP_2)
	v_fma_f64 v[12:13], v[34:35], v[8:9], -v[12:13]
	v_fma_f64 v[14:15], v[36:37], v[8:9], v[14:15]
	s_delay_alu instid0(VALU_DEP_2) | instskip(NEXT) | instid1(VALU_DEP_2)
	v_add_f64 v[42:43], v[44:45], v[12:13]
	v_add_f64 v[44:45], v[46:47], v[14:15]
	ds_load_b128 v[12:15], v22 offset:1280
	s_waitcnt lgkmcnt(0)
	v_mul_f64 v[16:17], v[36:37], v[14:15]
	v_mul_f64 v[18:19], v[34:35], v[14:15]
	s_delay_alu instid0(VALU_DEP_2) | instskip(NEXT) | instid1(VALU_DEP_2)
	v_fma_f64 v[16:17], v[34:35], v[12:13], -v[16:17]
	v_fma_f64 v[18:19], v[36:37], v[12:13], v[18:19]
	s_delay_alu instid0(VALU_DEP_2) | instskip(NEXT) | instid1(VALU_DEP_2)
	v_add_f64 v[0:1], v[0:1], v[16:17]
	v_add_f64 v[30:31], v[30:31], v[18:19]
	ds_load_b128 v[16:19], v25 offset:2080
	s_waitcnt lgkmcnt(0)
	v_mul_f64 v[34:35], v[18:19], v[10:11]
	v_mul_f64 v[10:11], v[16:17], v[10:11]
	s_delay_alu instid0(VALU_DEP_2) | instskip(NEXT) | instid1(VALU_DEP_2)
	v_fma_f64 v[34:35], v[16:17], v[8:9], -v[34:35]
	v_fma_f64 v[8:9], v[18:19], v[8:9], v[10:11]
	v_mul_f64 v[10:11], v[16:17], v[14:15]
	s_delay_alu instid0(VALU_DEP_3) | instskip(NEXT) | instid1(VALU_DEP_3)
	v_add_f64 v[4:5], v[4:5], v[34:35]
	v_add_f64 v[32:33], v[32:33], v[8:9]
	v_mul_f64 v[8:9], v[18:19], v[14:15]
	s_delay_alu instid0(VALU_DEP_4) | instskip(NEXT) | instid1(VALU_DEP_2)
	v_fma_f64 v[10:11], v[18:19], v[12:13], v[10:11]
	v_fma_f64 v[8:9], v[16:17], v[12:13], -v[8:9]
	s_delay_alu instid0(VALU_DEP_2) | instskip(NEXT) | instid1(VALU_DEP_2)
	v_add_f64 v[28:29], v[28:29], v[10:11]
	v_add_f64 v[26:27], v[26:27], v[8:9]
	ds_load_b128 v[8:11], v22 offset:1536
	s_waitcnt lgkmcnt(0)
	v_mul_f64 v[12:13], v[40:41], v[10:11]
	v_mul_f64 v[14:15], v[38:39], v[10:11]
	s_delay_alu instid0(VALU_DEP_2) | instskip(NEXT) | instid1(VALU_DEP_2)
	v_fma_f64 v[12:13], v[38:39], v[8:9], -v[12:13]
	v_fma_f64 v[14:15], v[40:41], v[8:9], v[14:15]
	s_delay_alu instid0(VALU_DEP_2) | instskip(NEXT) | instid1(VALU_DEP_2)
	v_add_f64 v[34:35], v[42:43], v[12:13]
	v_add_f64 v[36:37], v[44:45], v[14:15]
	ds_load_b128 v[12:15], v22 offset:1792
	s_waitcnt lgkmcnt(0)
	v_mul_f64 v[16:17], v[40:41], v[14:15]
	v_mul_f64 v[18:19], v[38:39], v[14:15]
	s_delay_alu instid0(VALU_DEP_2) | instskip(NEXT) | instid1(VALU_DEP_2)
	v_fma_f64 v[16:17], v[38:39], v[12:13], -v[16:17]
	v_fma_f64 v[18:19], v[40:41], v[12:13], v[18:19]
	;; [unrolled: 10-line block ×3, first 2 shown]
	v_mul_f64 v[10:11], v[16:17], v[14:15]
	s_delay_alu instid0(VALU_DEP_3) | instskip(NEXT) | instid1(VALU_DEP_3)
	v_add_f64 v[4:5], v[4:5], v[38:39]
	v_add_f64 v[32:33], v[32:33], v[8:9]
	v_mul_f64 v[8:9], v[18:19], v[14:15]
	s_delay_alu instid0(VALU_DEP_4) | instskip(NEXT) | instid1(VALU_DEP_2)
	v_fma_f64 v[10:11], v[18:19], v[12:13], v[10:11]
	v_fma_f64 v[8:9], v[16:17], v[12:13], -v[8:9]
	s_delay_alu instid0(VALU_DEP_2) | instskip(NEXT) | instid1(VALU_DEP_2)
	v_add_f64 v[28:29], v[28:29], v[10:11]
	v_add_f64 v[26:27], v[26:27], v[8:9]
	ds_load_b128 v[8:11], v25 offset:64
	ds_load_b128 v[12:15], v22 offset:2048
	s_waitcnt lgkmcnt(0)
	v_mul_f64 v[16:17], v[10:11], v[14:15]
	v_mul_f64 v[18:19], v[8:9], v[14:15]
	s_delay_alu instid0(VALU_DEP_2) | instskip(NEXT) | instid1(VALU_DEP_2)
	v_fma_f64 v[16:17], v[8:9], v[12:13], -v[16:17]
	v_fma_f64 v[18:19], v[10:11], v[12:13], v[18:19]
	s_delay_alu instid0(VALU_DEP_2) | instskip(NEXT) | instid1(VALU_DEP_2)
	v_add_f64 v[34:35], v[34:35], v[16:17]
	v_add_f64 v[36:37], v[36:37], v[18:19]
	ds_load_b128 v[16:19], v22 offset:2304
	s_waitcnt lgkmcnt(0)
	v_mul_f64 v[38:39], v[10:11], v[18:19]
	s_delay_alu instid0(VALU_DEP_1) | instskip(SKIP_1) | instid1(VALU_DEP_2)
	v_fma_f64 v[38:39], v[8:9], v[16:17], -v[38:39]
	v_mul_f64 v[8:9], v[8:9], v[18:19]
	v_add_f64 v[0:1], v[0:1], v[38:39]
	s_delay_alu instid0(VALU_DEP_2) | instskip(NEXT) | instid1(VALU_DEP_1)
	v_fma_f64 v[8:9], v[10:11], v[16:17], v[8:9]
	v_add_f64 v[30:31], v[30:31], v[8:9]
	ds_load_b128 v[8:11], v25 offset:2112
	s_waitcnt lgkmcnt(0)
	v_mul_f64 v[38:39], v[10:11], v[14:15]
	v_mul_f64 v[14:15], v[8:9], v[14:15]
	s_delay_alu instid0(VALU_DEP_2) | instskip(NEXT) | instid1(VALU_DEP_2)
	v_fma_f64 v[38:39], v[8:9], v[12:13], -v[38:39]
	v_fma_f64 v[12:13], v[10:11], v[12:13], v[14:15]
	s_delay_alu instid0(VALU_DEP_2) | instskip(NEXT) | instid1(VALU_DEP_2)
	v_add_f64 v[4:5], v[4:5], v[38:39]
	v_add_f64 v[32:33], v[32:33], v[12:13]
	v_mul_f64 v[12:13], v[10:11], v[18:19]
	s_delay_alu instid0(VALU_DEP_1) | instskip(SKIP_1) | instid1(VALU_DEP_2)
	v_fma_f64 v[12:13], v[8:9], v[16:17], -v[12:13]
	v_mul_f64 v[8:9], v[8:9], v[18:19]
	v_add_f64 v[26:27], v[26:27], v[12:13]
	s_delay_alu instid0(VALU_DEP_2) | instskip(NEXT) | instid1(VALU_DEP_1)
	v_fma_f64 v[8:9], v[10:11], v[16:17], v[8:9]
	v_add_f64 v[28:29], v[28:29], v[8:9]
	ds_load_b128 v[8:11], v25 offset:80
	ds_load_b128 v[12:15], v22 offset:2560
	s_waitcnt lgkmcnt(0)
	v_mul_f64 v[16:17], v[10:11], v[14:15]
	v_mul_f64 v[18:19], v[8:9], v[14:15]
	s_delay_alu instid0(VALU_DEP_2) | instskip(NEXT) | instid1(VALU_DEP_2)
	v_fma_f64 v[16:17], v[8:9], v[12:13], -v[16:17]
	v_fma_f64 v[18:19], v[10:11], v[12:13], v[18:19]
	s_delay_alu instid0(VALU_DEP_2) | instskip(NEXT) | instid1(VALU_DEP_2)
	v_add_f64 v[34:35], v[34:35], v[16:17]
	v_add_f64 v[36:37], v[36:37], v[18:19]
	ds_load_b128 v[16:19], v22 offset:2816
	s_waitcnt lgkmcnt(0)
	v_mul_f64 v[38:39], v[10:11], v[18:19]
	s_delay_alu instid0(VALU_DEP_1) | instskip(SKIP_1) | instid1(VALU_DEP_2)
	v_fma_f64 v[38:39], v[8:9], v[16:17], -v[38:39]
	v_mul_f64 v[8:9], v[8:9], v[18:19]
	v_add_f64 v[0:1], v[0:1], v[38:39]
	s_delay_alu instid0(VALU_DEP_2) | instskip(NEXT) | instid1(VALU_DEP_1)
	v_fma_f64 v[8:9], v[10:11], v[16:17], v[8:9]
	v_add_f64 v[30:31], v[30:31], v[8:9]
	ds_load_b128 v[8:11], v25 offset:2128
	s_waitcnt lgkmcnt(0)
	v_mul_f64 v[38:39], v[10:11], v[14:15]
	v_mul_f64 v[14:15], v[8:9], v[14:15]
	s_delay_alu instid0(VALU_DEP_2) | instskip(NEXT) | instid1(VALU_DEP_2)
	v_fma_f64 v[38:39], v[8:9], v[12:13], -v[38:39]
	v_fma_f64 v[12:13], v[10:11], v[12:13], v[14:15]
	s_delay_alu instid0(VALU_DEP_2) | instskip(NEXT) | instid1(VALU_DEP_2)
	v_add_f64 v[4:5], v[4:5], v[38:39]
	v_add_f64 v[32:33], v[32:33], v[12:13]
	v_mul_f64 v[12:13], v[10:11], v[18:19]
	s_delay_alu instid0(VALU_DEP_1) | instskip(SKIP_1) | instid1(VALU_DEP_2)
	v_fma_f64 v[12:13], v[8:9], v[16:17], -v[12:13]
	v_mul_f64 v[8:9], v[8:9], v[18:19]
	v_add_f64 v[26:27], v[26:27], v[12:13]
	s_delay_alu instid0(VALU_DEP_2) | instskip(NEXT) | instid1(VALU_DEP_1)
	v_fma_f64 v[8:9], v[10:11], v[16:17], v[8:9]
	;; [unrolled: 39-line block ×3, first 2 shown]
	v_add_f64 v[44:45], v[28:29], v[8:9]
	ds_load_b128 v[14:17], v25 offset:112
	ds_load_b128 v[26:29], v22 offset:3584
	;; [unrolled: 1-line block ×3, first 2 shown]
	s_waitcnt lgkmcnt(1)
	v_mul_f64 v[8:9], v[16:17], v[28:29]
	v_mul_f64 v[10:11], v[14:15], v[28:29]
	s_delay_alu instid0(VALU_DEP_2) | instskip(NEXT) | instid1(VALU_DEP_2)
	v_fma_f64 v[8:9], v[14:15], v[26:27], -v[8:9]
	v_fma_f64 v[12:13], v[16:17], v[26:27], v[10:11]
	s_delay_alu instid0(VALU_DEP_2) | instskip(NEXT) | instid1(VALU_DEP_2)
	v_add_f64 v[10:11], v[34:35], v[8:9]
	v_add_f64 v[12:13], v[36:37], v[12:13]
	ds_load_b128 v[34:37], v25 offset:2160
	s_waitcnt lgkmcnt(1)
	v_mul_f64 v[8:9], v[16:17], v[32:33]
	s_waitcnt lgkmcnt(0)
	s_barrier
	buffer_gl0_inv
	v_fma_f64 v[8:9], v[14:15], v[30:31], -v[8:9]
	v_mul_f64 v[14:15], v[14:15], v[32:33]
	s_delay_alu instid0(VALU_DEP_2) | instskip(NEXT) | instid1(VALU_DEP_2)
	v_add_f64 v[0:1], v[0:1], v[8:9]
	v_fma_f64 v[14:15], v[16:17], v[30:31], v[14:15]
	v_mul_f64 v[8:9], v[36:37], v[28:29]
	v_mul_f64 v[16:17], v[34:35], v[28:29]
	s_delay_alu instid0(VALU_DEP_3) | instskip(NEXT) | instid1(VALU_DEP_3)
	v_add_f64 v[14:15], v[38:39], v[14:15]
	v_fma_f64 v[8:9], v[34:35], v[26:27], -v[8:9]
	s_delay_alu instid0(VALU_DEP_3) | instskip(NEXT) | instid1(VALU_DEP_2)
	v_fma_f64 v[16:17], v[36:37], v[26:27], v[16:17]
	v_add_f64 v[4:5], v[4:5], v[8:9]
	s_delay_alu instid0(VALU_DEP_2) | instskip(SKIP_2) | instid1(VALU_DEP_2)
	v_add_f64 v[18:19], v[40:41], v[16:17]
	v_mul_f64 v[8:9], v[36:37], v[32:33]
	v_mul_f64 v[16:17], v[34:35], v[32:33]
	v_fma_f64 v[8:9], v[34:35], v[30:31], -v[8:9]
	s_delay_alu instid0(VALU_DEP_2) | instskip(NEXT) | instid1(VALU_DEP_2)
	v_fma_f64 v[16:17], v[36:37], v[30:31], v[16:17]
	v_add_f64 v[8:9], v[42:43], v[8:9]
	s_delay_alu instid0(VALU_DEP_2)
	v_add_f64 v[16:17], v[44:45], v[16:17]
	s_cbranch_scc0 .LBB408_2
.LBB408_3:
	s_clause 0x1
	s_load_b32 s3, s[0:1], 0x40
	s_load_b64 s[0:1], s[0:1], 0x48
	v_add_nc_u32_e32 v22, s13, v21
	v_add_nc_u32_e32 v20, s12, v20
	s_delay_alu instid0(VALU_DEP_2)
	v_cmp_gt_i32_e32 vcc_lo, s2, v22
	s_waitcnt lgkmcnt(0)
	v_mad_i64_i32 v[2:3], null, v22, s3, 0
	s_mul_i32 s1, s15, s1
	s_mul_hi_u32 s4, s15, s0
	s_mul_i32 s0, s15, s0
	s_add_i32 s1, s4, s1
	s_delay_alu instid0(SALU_CYCLE_1) | instskip(NEXT) | instid1(VALU_DEP_1)
	s_lshl_b64 s[4:5], s[0:1], 4
	v_lshlrev_b64 v[2:3], 4, v[2:3]
	s_add_u32 s4, s6, s4
	v_cmp_le_i32_e64 s0, v20, v22
	s_addc_u32 s5, s7, s5
	s_delay_alu instid0(VALU_DEP_2) | instskip(NEXT) | instid1(VALU_DEP_1)
	v_add_co_u32 v2, s1, s4, v2
	v_add_co_ci_u32_e64 v6, s1, s5, v3, s1
	s_delay_alu instid0(VALU_DEP_3) | instskip(NEXT) | instid1(SALU_CYCLE_1)
	s_and_b32 s0, vcc_lo, s0
	s_and_saveexec_b32 s6, s0
	s_cbranch_execz .LBB408_5
; %bb.4:
	v_ashrrev_i32_e32 v21, 31, v20
	v_cmp_ne_u32_e64 s0, v22, v20
	v_xor_b32_e32 v11, 0x80000000, v11
	s_delay_alu instid0(VALU_DEP_3) | instskip(NEXT) | instid1(VALU_DEP_3)
	v_lshlrev_b64 v[23:24], 4, v[20:21]
	v_cndmask_b32_e64 v13, 0, -v13, s0
	v_cndmask_b32_e64 v12, 0, v12, s0
	s_delay_alu instid0(VALU_DEP_3) | instskip(NEXT) | instid1(VALU_DEP_1)
	v_add_co_u32 v23, s1, v2, v23
	v_add_co_ci_u32_e64 v24, s1, v6, v24, s1
	global_store_b128 v[23:24], v[10:13], off
.LBB408_5:
	s_or_b32 exec_lo, exec_lo, s6
	v_add_nc_u32_e32 v10, 16, v20
	s_delay_alu instid0(VALU_DEP_1) | instskip(NEXT) | instid1(VALU_DEP_1)
	v_cmp_le_i32_e64 s0, v10, v22
	s_and_b32 s0, vcc_lo, s0
	s_delay_alu instid0(SALU_CYCLE_1)
	s_and_saveexec_b32 s1, s0
	s_cbranch_execz .LBB408_7
; %bb.6:
	v_ashrrev_i32_e32 v11, 31, v10
	v_cmp_ne_u32_e32 vcc_lo, v22, v10
	v_xor_b32_e32 v1, 0x80000000, v1
	s_delay_alu instid0(VALU_DEP_3) | instskip(SKIP_1) | instid1(VALU_DEP_2)
	v_lshlrev_b64 v[11:12], 4, v[10:11]
	v_cndmask_b32_e64 v3, 0, -v15, vcc_lo
	v_add_co_u32 v11, s0, v2, v11
	s_delay_alu instid0(VALU_DEP_1)
	v_add_co_ci_u32_e64 v12, s0, v6, v12, s0
	v_cndmask_b32_e32 v2, 0, v14, vcc_lo
	global_store_b128 v[11:12], v[0:3], off
.LBB408_7:
	s_or_b32 exec_lo, exec_lo, s1
	v_add_nc_u32_e32 v2, 16, v22
	s_delay_alu instid0(VALU_DEP_1) | instskip(SKIP_2) | instid1(VALU_DEP_1)
	v_mad_i64_i32 v[0:1], null, v2, s3, 0
	v_cmp_gt_i32_e32 vcc_lo, s2, v2
	v_cmp_le_i32_e64 s0, v20, v2
	s_and_b32 s0, vcc_lo, s0
	s_delay_alu instid0(VALU_DEP_3) | instskip(NEXT) | instid1(VALU_DEP_1)
	v_lshlrev_b64 v[0:1], 4, v[0:1]
	v_add_co_u32 v0, s1, s4, v0
	s_delay_alu instid0(VALU_DEP_1)
	v_add_co_ci_u32_e64 v1, s1, s5, v1, s1
	s_and_saveexec_b32 s2, s0
	s_cbranch_execz .LBB408_9
; %bb.8:
	v_ashrrev_i32_e32 v21, 31, v20
	v_cmp_ne_u32_e64 s0, v2, v20
	v_xor_b32_e32 v5, 0x80000000, v5
	s_delay_alu instid0(VALU_DEP_3) | instskip(NEXT) | instid1(VALU_DEP_3)
	v_lshlrev_b64 v[11:12], 4, v[20:21]
	v_cndmask_b32_e64 v7, 0, -v19, s0
	v_cndmask_b32_e64 v6, 0, v18, s0
	s_delay_alu instid0(VALU_DEP_3) | instskip(NEXT) | instid1(VALU_DEP_1)
	v_add_co_u32 v11, s1, v0, v11
	v_add_co_ci_u32_e64 v12, s1, v1, v12, s1
	global_store_b128 v[11:12], v[4:7], off
.LBB408_9:
	s_or_b32 exec_lo, exec_lo, s2
	v_cmp_le_i32_e64 s0, v10, v2
	s_delay_alu instid0(VALU_DEP_1) | instskip(NEXT) | instid1(SALU_CYCLE_1)
	s_and_b32 s0, vcc_lo, s0
	s_and_saveexec_b32 s1, s0
	s_cbranch_execz .LBB408_11
; %bb.10:
	v_ashrrev_i32_e32 v11, 31, v10
	v_cmp_ne_u32_e32 vcc_lo, v22, v20
	v_xor_b32_e32 v9, 0x80000000, v9
	s_delay_alu instid0(VALU_DEP_3) | instskip(SKIP_2) | instid1(VALU_DEP_3)
	v_lshlrev_b64 v[2:3], 4, v[10:11]
	v_cndmask_b32_e64 v11, 0, -v17, vcc_lo
	v_cndmask_b32_e32 v10, 0, v16, vcc_lo
	v_add_co_u32 v0, s0, v0, v2
	s_delay_alu instid0(VALU_DEP_1)
	v_add_co_ci_u32_e64 v1, s0, v1, v3, s0
	global_store_b128 v[0:1], v[8:11], off
.LBB408_11:
	s_nop 0
	s_sendmsg sendmsg(MSG_DEALLOC_VGPRS)
	s_endpgm
	.section	.rodata,"a",@progbits
	.p2align	6, 0x0
	.amdhsa_kernel _ZL37rocblas_syrkx_herkx_restricted_kernelIi19rocblas_complex_numIdELi16ELi32ELi8ELin1ELi0ELb1ELc84ELc85EKS1_S1_EviT_PT9_S3_lS5_S3_lPT10_S3_li
		.amdhsa_group_segment_fixed_size 8192
		.amdhsa_private_segment_fixed_size 0
		.amdhsa_kernarg_size 84
		.amdhsa_user_sgpr_count 13
		.amdhsa_user_sgpr_dispatch_ptr 0
		.amdhsa_user_sgpr_queue_ptr 0
		.amdhsa_user_sgpr_kernarg_segment_ptr 1
		.amdhsa_user_sgpr_dispatch_id 0
		.amdhsa_user_sgpr_private_segment_size 0
		.amdhsa_wavefront_size32 1
		.amdhsa_uses_dynamic_stack 0
		.amdhsa_enable_private_segment 0
		.amdhsa_system_sgpr_workgroup_id_x 1
		.amdhsa_system_sgpr_workgroup_id_y 1
		.amdhsa_system_sgpr_workgroup_id_z 1
		.amdhsa_system_sgpr_workgroup_info 0
		.amdhsa_system_vgpr_workitem_id 1
		.amdhsa_next_free_vgpr 52
		.amdhsa_next_free_sgpr 20
		.amdhsa_reserve_vcc 1
		.amdhsa_float_round_mode_32 0
		.amdhsa_float_round_mode_16_64 0
		.amdhsa_float_denorm_mode_32 3
		.amdhsa_float_denorm_mode_16_64 3
		.amdhsa_dx10_clamp 1
		.amdhsa_ieee_mode 1
		.amdhsa_fp16_overflow 0
		.amdhsa_workgroup_processor_mode 1
		.amdhsa_memory_ordered 1
		.amdhsa_forward_progress 0
		.amdhsa_shared_vgpr_count 0
		.amdhsa_exception_fp_ieee_invalid_op 0
		.amdhsa_exception_fp_denorm_src 0
		.amdhsa_exception_fp_ieee_div_zero 0
		.amdhsa_exception_fp_ieee_overflow 0
		.amdhsa_exception_fp_ieee_underflow 0
		.amdhsa_exception_fp_ieee_inexact 0
		.amdhsa_exception_int_div_zero 0
	.end_amdhsa_kernel
	.section	.text._ZL37rocblas_syrkx_herkx_restricted_kernelIi19rocblas_complex_numIdELi16ELi32ELi8ELin1ELi0ELb1ELc84ELc85EKS1_S1_EviT_PT9_S3_lS5_S3_lPT10_S3_li,"axG",@progbits,_ZL37rocblas_syrkx_herkx_restricted_kernelIi19rocblas_complex_numIdELi16ELi32ELi8ELin1ELi0ELb1ELc84ELc85EKS1_S1_EviT_PT9_S3_lS5_S3_lPT10_S3_li,comdat
.Lfunc_end408:
	.size	_ZL37rocblas_syrkx_herkx_restricted_kernelIi19rocblas_complex_numIdELi16ELi32ELi8ELin1ELi0ELb1ELc84ELc85EKS1_S1_EviT_PT9_S3_lS5_S3_lPT10_S3_li, .Lfunc_end408-_ZL37rocblas_syrkx_herkx_restricted_kernelIi19rocblas_complex_numIdELi16ELi32ELi8ELin1ELi0ELb1ELc84ELc85EKS1_S1_EviT_PT9_S3_lS5_S3_lPT10_S3_li
                                        ; -- End function
	.section	.AMDGPU.csdata,"",@progbits
; Kernel info:
; codeLenInByte = 3304
; NumSgprs: 22
; NumVgprs: 52
; ScratchSize: 0
; MemoryBound: 0
; FloatMode: 240
; IeeeMode: 1
; LDSByteSize: 8192 bytes/workgroup (compile time only)
; SGPRBlocks: 2
; VGPRBlocks: 6
; NumSGPRsForWavesPerEU: 22
; NumVGPRsForWavesPerEU: 52
; Occupancy: 16
; WaveLimiterHint : 0
; COMPUTE_PGM_RSRC2:SCRATCH_EN: 0
; COMPUTE_PGM_RSRC2:USER_SGPR: 13
; COMPUTE_PGM_RSRC2:TRAP_HANDLER: 0
; COMPUTE_PGM_RSRC2:TGID_X_EN: 1
; COMPUTE_PGM_RSRC2:TGID_Y_EN: 1
; COMPUTE_PGM_RSRC2:TGID_Z_EN: 1
; COMPUTE_PGM_RSRC2:TIDIG_COMP_CNT: 1
	.section	.text._ZL37rocblas_syrkx_herkx_restricted_kernelIi19rocblas_complex_numIdELi16ELi32ELi8ELin1ELi0ELb1ELc67ELc85EKS1_S1_EviT_PT9_S3_lS5_S3_lPT10_S3_li,"axG",@progbits,_ZL37rocblas_syrkx_herkx_restricted_kernelIi19rocblas_complex_numIdELi16ELi32ELi8ELin1ELi0ELb1ELc67ELc85EKS1_S1_EviT_PT9_S3_lS5_S3_lPT10_S3_li,comdat
	.globl	_ZL37rocblas_syrkx_herkx_restricted_kernelIi19rocblas_complex_numIdELi16ELi32ELi8ELin1ELi0ELb1ELc67ELc85EKS1_S1_EviT_PT9_S3_lS5_S3_lPT10_S3_li ; -- Begin function _ZL37rocblas_syrkx_herkx_restricted_kernelIi19rocblas_complex_numIdELi16ELi32ELi8ELin1ELi0ELb1ELc67ELc85EKS1_S1_EviT_PT9_S3_lS5_S3_lPT10_S3_li
	.p2align	8
	.type	_ZL37rocblas_syrkx_herkx_restricted_kernelIi19rocblas_complex_numIdELi16ELi32ELi8ELin1ELi0ELb1ELc67ELc85EKS1_S1_EviT_PT9_S3_lS5_S3_lPT10_S3_li,@function
_ZL37rocblas_syrkx_herkx_restricted_kernelIi19rocblas_complex_numIdELi16ELi32ELi8ELin1ELi0ELb1ELc67ELc85EKS1_S1_EviT_PT9_S3_lS5_S3_lPT10_S3_li: ; @_ZL37rocblas_syrkx_herkx_restricted_kernelIi19rocblas_complex_numIdELi16ELi32ELi8ELin1ELi0ELb1ELc67ELc85EKS1_S1_EviT_PT9_S3_lS5_S3_lPT10_S3_li
; %bb.0:
	s_clause 0x1
	s_load_b64 s[2:3], s[0:1], 0x0
	s_load_b128 s[4:7], s[0:1], 0x30
	v_mov_b32_e32 v10, 0
	v_dual_mov_b32 v11, 0 :: v_dual_and_b32 v20, 0x3ff, v0
	v_bfe_u32 v21, v0, 10, 10
	s_delay_alu instid0(VALU_DEP_3) | instskip(NEXT) | instid1(VALU_DEP_3)
	v_mov_b32_e32 v0, v10
	v_dual_mov_b32 v4, v10 :: v_dual_mov_b32 v5, v11
	v_dual_mov_b32 v13, v11 :: v_dual_mov_b32 v12, v10
	v_mov_b32_e32 v1, v11
	v_dual_mov_b32 v15, v11 :: v_dual_mov_b32 v14, v10
	v_dual_mov_b32 v19, v11 :: v_dual_mov_b32 v18, v10
	;; [unrolled: 1-line block ×4, first 2 shown]
	s_lshl_b32 s12, s13, 5
	s_lshl_b32 s13, s14, 5
	s_waitcnt lgkmcnt(0)
	s_cmp_lt_i32 s3, 1
	s_mov_b32 s14, 0
	s_cbranch_scc1 .LBB409_3
; %bb.1:
	s_clause 0x1
	s_load_b32 s18, s[0:1], 0x10
	s_load_b128 s[8:11], s[0:1], 0x18
	v_lshl_add_u32 v2, v21, 4, v20
	s_clause 0x1
	s_load_b64 s[16:17], s[0:1], 0x8
	s_load_b32 s19, s[0:1], 0x28
	v_dual_mov_b32 v1, 0 :: v_dual_and_b32 v0, 7, v20
	v_dual_mov_b32 v16, 0 :: v_dual_and_b32 v5, 31, v2
	v_lshrrev_b32_e32 v4, 3, v2
	v_dual_mov_b32 v17, 0 :: v_dual_lshlrev_b32 v22, 4, v20
	s_delay_alu instid0(VALU_DEP_4) | instskip(NEXT) | instid1(VALU_DEP_4)
	v_lshlrev_b32_e32 v3, 4, v0
	v_lshlrev_b32_e32 v6, 4, v5
	v_lshrrev_b32_e32 v2, 5, v2
	v_add_nc_u32_e32 v8, s12, v5
	v_add_nc_u32_e32 v9, s13, v4
	v_lshl_or_b32 v7, v4, 7, v3
	v_mov_b32_e32 v3, v1
	v_lshl_or_b32 v23, v2, 9, v6
	s_mul_i32 s5, s5, s15
	v_dual_mov_b32 v19, v17 :: v_dual_mov_b32 v18, v16
	s_waitcnt lgkmcnt(0)
	v_mad_i64_i32 v[4:5], null, s18, v8, v[2:3]
	v_add_nc_u32_e32 v24, 0x1000, v7
	s_mul_i32 s9, s9, s15
	s_mul_hi_u32 s18, s8, s15
	v_mad_i64_i32 v[2:3], null, s19, v9, v[0:1]
	s_mul_i32 s8, s8, s15
	s_add_i32 s9, s18, s9
	s_delay_alu instid0(VALU_DEP_3)
	v_lshlrev_b64 v[0:1], 4, v[4:5]
	s_lshl_b64 s[8:9], s[8:9], 4
	v_mov_b32_e32 v8, v16
	s_add_u32 s8, s16, s8
	s_mul_hi_u32 s16, s4, s15
	s_addc_u32 s9, s17, s9
	s_add_i32 s5, s16, s5
	s_mul_i32 s4, s4, s15
	v_lshlrev_b64 v[2:3], 4, v[2:3]
	s_lshl_b64 s[4:5], s[4:5], 4
	v_add_co_u32 v0, vcc_lo, s8, v0
	s_add_u32 s4, s10, s4
	v_add_co_ci_u32_e32 v1, vcc_lo, s9, v1, vcc_lo
	s_addc_u32 s5, s11, s5
	v_add_co_u32 v4, vcc_lo, s4, v2
	v_add_co_ci_u32_e32 v5, vcc_lo, s5, v3, vcc_lo
	v_add_co_u32 v2, vcc_lo, v0, 8
	v_add_co_ci_u32_e32 v3, vcc_lo, 0, v1, vcc_lo
	s_delay_alu instid0(VALU_DEP_4)
	v_add_co_u32 v6, vcc_lo, v4, 8
	v_lshl_add_u32 v25, v21, 7, 0x1000
	v_add_co_ci_u32_e32 v7, vcc_lo, 0, v5, vcc_lo
	v_dual_mov_b32 v9, v17 :: v_dual_mov_b32 v4, v16
	v_dual_mov_b32 v5, v17 :: v_dual_mov_b32 v14, v16
	;; [unrolled: 1-line block ×5, first 2 shown]
	v_mov_b32_e32 v11, v17
.LBB409_2:                              ; =>This Inner Loop Header: Depth=1
	global_load_b128 v[26:29], v[2:3], off offset:-8
	v_add_co_u32 v2, vcc_lo, 0x80, v2
	v_add_co_ci_u32_e32 v3, vcc_lo, 0, v3, vcc_lo
	s_add_i32 s14, s14, 8
	s_delay_alu instid0(SALU_CYCLE_1)
	s_cmp_ge_i32 s14, s3
	s_waitcnt vmcnt(0)
	v_xor_b32_e32 v29, 0x80000000, v29
	ds_store_b128 v23, v[26:29]
	global_load_b128 v[26:29], v[6:7], off offset:-8
	v_add_co_u32 v6, vcc_lo, 0x80, v6
	v_add_co_ci_u32_e32 v7, vcc_lo, 0, v7, vcc_lo
	s_waitcnt vmcnt(0)
	ds_store_b128 v24, v[26:29]
	s_waitcnt lgkmcnt(0)
	s_barrier
	buffer_gl0_inv
	ds_load_b128 v[26:29], v25
	ds_load_b128 v[30:33], v25 offset:16
	ds_load_b128 v[34:37], v25 offset:32
	;; [unrolled: 1-line block ×3, first 2 shown]
	ds_load_b128 v[42:45], v22
	s_waitcnt lgkmcnt(0)
	v_mul_f64 v[46:47], v[28:29], v[44:45]
	v_mul_f64 v[48:49], v[26:27], v[44:45]
	s_delay_alu instid0(VALU_DEP_2) | instskip(NEXT) | instid1(VALU_DEP_2)
	v_fma_f64 v[46:47], v[26:27], v[42:43], -v[46:47]
	v_fma_f64 v[48:49], v[28:29], v[42:43], v[48:49]
	s_delay_alu instid0(VALU_DEP_2) | instskip(NEXT) | instid1(VALU_DEP_2)
	v_add_f64 v[46:47], v[10:11], v[46:47]
	v_add_f64 v[48:49], v[12:13], v[48:49]
	ds_load_b128 v[10:13], v22 offset:256
	s_waitcnt lgkmcnt(0)
	v_mul_f64 v[50:51], v[28:29], v[12:13]
	s_delay_alu instid0(VALU_DEP_1) | instskip(SKIP_1) | instid1(VALU_DEP_2)
	v_fma_f64 v[50:51], v[26:27], v[10:11], -v[50:51]
	v_mul_f64 v[26:27], v[26:27], v[12:13]
	v_add_f64 v[0:1], v[0:1], v[50:51]
	s_delay_alu instid0(VALU_DEP_2) | instskip(NEXT) | instid1(VALU_DEP_1)
	v_fma_f64 v[26:27], v[28:29], v[10:11], v[26:27]
	v_add_f64 v[50:51], v[14:15], v[26:27]
	ds_load_b128 v[26:29], v25 offset:2048
	s_waitcnt lgkmcnt(0)
	v_mul_f64 v[14:15], v[28:29], v[44:45]
	v_mul_f64 v[44:45], v[26:27], v[44:45]
	s_delay_alu instid0(VALU_DEP_2) | instskip(NEXT) | instid1(VALU_DEP_2)
	v_fma_f64 v[14:15], v[26:27], v[42:43], -v[14:15]
	v_fma_f64 v[42:43], v[28:29], v[42:43], v[44:45]
	s_delay_alu instid0(VALU_DEP_2) | instskip(SKIP_2) | instid1(VALU_DEP_4)
	v_add_f64 v[4:5], v[4:5], v[14:15]
	v_mul_f64 v[14:15], v[28:29], v[12:13]
	v_mul_f64 v[12:13], v[26:27], v[12:13]
	v_add_f64 v[42:43], v[18:19], v[42:43]
	s_delay_alu instid0(VALU_DEP_3) | instskip(NEXT) | instid1(VALU_DEP_3)
	v_fma_f64 v[14:15], v[26:27], v[10:11], -v[14:15]
	v_fma_f64 v[10:11], v[28:29], v[10:11], v[12:13]
	s_delay_alu instid0(VALU_DEP_2) | instskip(NEXT) | instid1(VALU_DEP_2)
	v_add_f64 v[26:27], v[8:9], v[14:15]
	v_add_f64 v[28:29], v[16:17], v[10:11]
	ds_load_b128 v[8:11], v22 offset:512
	s_waitcnt lgkmcnt(0)
	v_mul_f64 v[12:13], v[32:33], v[10:11]
	v_mul_f64 v[14:15], v[30:31], v[10:11]
	s_delay_alu instid0(VALU_DEP_2) | instskip(NEXT) | instid1(VALU_DEP_2)
	v_fma_f64 v[12:13], v[30:31], v[8:9], -v[12:13]
	v_fma_f64 v[14:15], v[32:33], v[8:9], v[14:15]
	s_delay_alu instid0(VALU_DEP_2) | instskip(NEXT) | instid1(VALU_DEP_2)
	v_add_f64 v[44:45], v[46:47], v[12:13]
	v_add_f64 v[46:47], v[48:49], v[14:15]
	ds_load_b128 v[12:15], v22 offset:768
	s_waitcnt lgkmcnt(0)
	v_mul_f64 v[16:17], v[32:33], v[14:15]
	v_mul_f64 v[18:19], v[30:31], v[14:15]
	s_delay_alu instid0(VALU_DEP_2) | instskip(NEXT) | instid1(VALU_DEP_2)
	;; [unrolled: 10-line block ×3, first 2 shown]
	v_fma_f64 v[32:33], v[16:17], v[8:9], -v[32:33]
	v_fma_f64 v[8:9], v[18:19], v[8:9], v[10:11]
	v_mul_f64 v[10:11], v[16:17], v[14:15]
	s_delay_alu instid0(VALU_DEP_3) | instskip(NEXT) | instid1(VALU_DEP_3)
	v_add_f64 v[4:5], v[4:5], v[32:33]
	v_add_f64 v[32:33], v[42:43], v[8:9]
	v_mul_f64 v[8:9], v[18:19], v[14:15]
	s_delay_alu instid0(VALU_DEP_4) | instskip(NEXT) | instid1(VALU_DEP_2)
	v_fma_f64 v[10:11], v[18:19], v[12:13], v[10:11]
	v_fma_f64 v[8:9], v[16:17], v[12:13], -v[8:9]
	s_delay_alu instid0(VALU_DEP_2) | instskip(NEXT) | instid1(VALU_DEP_2)
	v_add_f64 v[28:29], v[28:29], v[10:11]
	v_add_f64 v[26:27], v[26:27], v[8:9]
	ds_load_b128 v[8:11], v22 offset:1024
	s_waitcnt lgkmcnt(0)
	v_mul_f64 v[12:13], v[36:37], v[10:11]
	v_mul_f64 v[14:15], v[34:35], v[10:11]
	s_delay_alu instid0(VALU_DEP_2) | instskip(NEXT) | instid1(VALU_DEP_2)
	v_fma_f64 v[12:13], v[34:35], v[8:9], -v[12:13]
	v_fma_f64 v[14:15], v[36:37], v[8:9], v[14:15]
	s_delay_alu instid0(VALU_DEP_2) | instskip(NEXT) | instid1(VALU_DEP_2)
	v_add_f64 v[42:43], v[44:45], v[12:13]
	v_add_f64 v[44:45], v[46:47], v[14:15]
	ds_load_b128 v[12:15], v22 offset:1280
	s_waitcnt lgkmcnt(0)
	v_mul_f64 v[16:17], v[36:37], v[14:15]
	v_mul_f64 v[18:19], v[34:35], v[14:15]
	s_delay_alu instid0(VALU_DEP_2) | instskip(NEXT) | instid1(VALU_DEP_2)
	v_fma_f64 v[16:17], v[34:35], v[12:13], -v[16:17]
	v_fma_f64 v[18:19], v[36:37], v[12:13], v[18:19]
	;; [unrolled: 10-line block ×3, first 2 shown]
	v_mul_f64 v[10:11], v[16:17], v[14:15]
	s_delay_alu instid0(VALU_DEP_3) | instskip(NEXT) | instid1(VALU_DEP_3)
	v_add_f64 v[4:5], v[4:5], v[34:35]
	v_add_f64 v[32:33], v[32:33], v[8:9]
	v_mul_f64 v[8:9], v[18:19], v[14:15]
	s_delay_alu instid0(VALU_DEP_4) | instskip(NEXT) | instid1(VALU_DEP_2)
	v_fma_f64 v[10:11], v[18:19], v[12:13], v[10:11]
	v_fma_f64 v[8:9], v[16:17], v[12:13], -v[8:9]
	s_delay_alu instid0(VALU_DEP_2) | instskip(NEXT) | instid1(VALU_DEP_2)
	v_add_f64 v[28:29], v[28:29], v[10:11]
	v_add_f64 v[26:27], v[26:27], v[8:9]
	ds_load_b128 v[8:11], v22 offset:1536
	s_waitcnt lgkmcnt(0)
	v_mul_f64 v[12:13], v[40:41], v[10:11]
	v_mul_f64 v[14:15], v[38:39], v[10:11]
	s_delay_alu instid0(VALU_DEP_2) | instskip(NEXT) | instid1(VALU_DEP_2)
	v_fma_f64 v[12:13], v[38:39], v[8:9], -v[12:13]
	v_fma_f64 v[14:15], v[40:41], v[8:9], v[14:15]
	s_delay_alu instid0(VALU_DEP_2) | instskip(NEXT) | instid1(VALU_DEP_2)
	v_add_f64 v[34:35], v[42:43], v[12:13]
	v_add_f64 v[36:37], v[44:45], v[14:15]
	ds_load_b128 v[12:15], v22 offset:1792
	s_waitcnt lgkmcnt(0)
	v_mul_f64 v[16:17], v[40:41], v[14:15]
	v_mul_f64 v[18:19], v[38:39], v[14:15]
	s_delay_alu instid0(VALU_DEP_2) | instskip(NEXT) | instid1(VALU_DEP_2)
	v_fma_f64 v[16:17], v[38:39], v[12:13], -v[16:17]
	v_fma_f64 v[18:19], v[40:41], v[12:13], v[18:19]
	;; [unrolled: 10-line block ×3, first 2 shown]
	v_mul_f64 v[10:11], v[16:17], v[14:15]
	s_delay_alu instid0(VALU_DEP_3) | instskip(NEXT) | instid1(VALU_DEP_3)
	v_add_f64 v[4:5], v[4:5], v[38:39]
	v_add_f64 v[32:33], v[32:33], v[8:9]
	v_mul_f64 v[8:9], v[18:19], v[14:15]
	s_delay_alu instid0(VALU_DEP_4) | instskip(NEXT) | instid1(VALU_DEP_2)
	v_fma_f64 v[10:11], v[18:19], v[12:13], v[10:11]
	v_fma_f64 v[8:9], v[16:17], v[12:13], -v[8:9]
	s_delay_alu instid0(VALU_DEP_2) | instskip(NEXT) | instid1(VALU_DEP_2)
	v_add_f64 v[28:29], v[28:29], v[10:11]
	v_add_f64 v[26:27], v[26:27], v[8:9]
	ds_load_b128 v[8:11], v25 offset:64
	ds_load_b128 v[12:15], v22 offset:2048
	s_waitcnt lgkmcnt(0)
	v_mul_f64 v[16:17], v[10:11], v[14:15]
	v_mul_f64 v[18:19], v[8:9], v[14:15]
	s_delay_alu instid0(VALU_DEP_2) | instskip(NEXT) | instid1(VALU_DEP_2)
	v_fma_f64 v[16:17], v[8:9], v[12:13], -v[16:17]
	v_fma_f64 v[18:19], v[10:11], v[12:13], v[18:19]
	s_delay_alu instid0(VALU_DEP_2) | instskip(NEXT) | instid1(VALU_DEP_2)
	v_add_f64 v[34:35], v[34:35], v[16:17]
	v_add_f64 v[36:37], v[36:37], v[18:19]
	ds_load_b128 v[16:19], v22 offset:2304
	s_waitcnt lgkmcnt(0)
	v_mul_f64 v[38:39], v[10:11], v[18:19]
	s_delay_alu instid0(VALU_DEP_1) | instskip(SKIP_1) | instid1(VALU_DEP_2)
	v_fma_f64 v[38:39], v[8:9], v[16:17], -v[38:39]
	v_mul_f64 v[8:9], v[8:9], v[18:19]
	v_add_f64 v[0:1], v[0:1], v[38:39]
	s_delay_alu instid0(VALU_DEP_2) | instskip(NEXT) | instid1(VALU_DEP_1)
	v_fma_f64 v[8:9], v[10:11], v[16:17], v[8:9]
	v_add_f64 v[30:31], v[30:31], v[8:9]
	ds_load_b128 v[8:11], v25 offset:2112
	s_waitcnt lgkmcnt(0)
	v_mul_f64 v[38:39], v[10:11], v[14:15]
	v_mul_f64 v[14:15], v[8:9], v[14:15]
	s_delay_alu instid0(VALU_DEP_2) | instskip(NEXT) | instid1(VALU_DEP_2)
	v_fma_f64 v[38:39], v[8:9], v[12:13], -v[38:39]
	v_fma_f64 v[12:13], v[10:11], v[12:13], v[14:15]
	s_delay_alu instid0(VALU_DEP_2) | instskip(NEXT) | instid1(VALU_DEP_2)
	v_add_f64 v[4:5], v[4:5], v[38:39]
	v_add_f64 v[32:33], v[32:33], v[12:13]
	v_mul_f64 v[12:13], v[10:11], v[18:19]
	s_delay_alu instid0(VALU_DEP_1) | instskip(SKIP_1) | instid1(VALU_DEP_2)
	v_fma_f64 v[12:13], v[8:9], v[16:17], -v[12:13]
	v_mul_f64 v[8:9], v[8:9], v[18:19]
	v_add_f64 v[26:27], v[26:27], v[12:13]
	s_delay_alu instid0(VALU_DEP_2) | instskip(NEXT) | instid1(VALU_DEP_1)
	v_fma_f64 v[8:9], v[10:11], v[16:17], v[8:9]
	v_add_f64 v[28:29], v[28:29], v[8:9]
	ds_load_b128 v[8:11], v25 offset:80
	ds_load_b128 v[12:15], v22 offset:2560
	s_waitcnt lgkmcnt(0)
	v_mul_f64 v[16:17], v[10:11], v[14:15]
	v_mul_f64 v[18:19], v[8:9], v[14:15]
	s_delay_alu instid0(VALU_DEP_2) | instskip(NEXT) | instid1(VALU_DEP_2)
	v_fma_f64 v[16:17], v[8:9], v[12:13], -v[16:17]
	v_fma_f64 v[18:19], v[10:11], v[12:13], v[18:19]
	s_delay_alu instid0(VALU_DEP_2) | instskip(NEXT) | instid1(VALU_DEP_2)
	v_add_f64 v[34:35], v[34:35], v[16:17]
	v_add_f64 v[36:37], v[36:37], v[18:19]
	ds_load_b128 v[16:19], v22 offset:2816
	s_waitcnt lgkmcnt(0)
	v_mul_f64 v[38:39], v[10:11], v[18:19]
	s_delay_alu instid0(VALU_DEP_1) | instskip(SKIP_1) | instid1(VALU_DEP_2)
	v_fma_f64 v[38:39], v[8:9], v[16:17], -v[38:39]
	v_mul_f64 v[8:9], v[8:9], v[18:19]
	v_add_f64 v[0:1], v[0:1], v[38:39]
	s_delay_alu instid0(VALU_DEP_2) | instskip(NEXT) | instid1(VALU_DEP_1)
	v_fma_f64 v[8:9], v[10:11], v[16:17], v[8:9]
	v_add_f64 v[30:31], v[30:31], v[8:9]
	ds_load_b128 v[8:11], v25 offset:2128
	s_waitcnt lgkmcnt(0)
	v_mul_f64 v[38:39], v[10:11], v[14:15]
	v_mul_f64 v[14:15], v[8:9], v[14:15]
	s_delay_alu instid0(VALU_DEP_2) | instskip(NEXT) | instid1(VALU_DEP_2)
	v_fma_f64 v[38:39], v[8:9], v[12:13], -v[38:39]
	v_fma_f64 v[12:13], v[10:11], v[12:13], v[14:15]
	s_delay_alu instid0(VALU_DEP_2) | instskip(NEXT) | instid1(VALU_DEP_2)
	v_add_f64 v[4:5], v[4:5], v[38:39]
	v_add_f64 v[32:33], v[32:33], v[12:13]
	v_mul_f64 v[12:13], v[10:11], v[18:19]
	s_delay_alu instid0(VALU_DEP_1) | instskip(SKIP_1) | instid1(VALU_DEP_2)
	v_fma_f64 v[12:13], v[8:9], v[16:17], -v[12:13]
	v_mul_f64 v[8:9], v[8:9], v[18:19]
	v_add_f64 v[26:27], v[26:27], v[12:13]
	s_delay_alu instid0(VALU_DEP_2) | instskip(NEXT) | instid1(VALU_DEP_1)
	v_fma_f64 v[8:9], v[10:11], v[16:17], v[8:9]
	;; [unrolled: 39-line block ×3, first 2 shown]
	v_add_f64 v[44:45], v[28:29], v[8:9]
	ds_load_b128 v[14:17], v25 offset:112
	ds_load_b128 v[26:29], v22 offset:3584
	;; [unrolled: 1-line block ×3, first 2 shown]
	s_waitcnt lgkmcnt(1)
	v_mul_f64 v[8:9], v[16:17], v[28:29]
	v_mul_f64 v[10:11], v[14:15], v[28:29]
	s_delay_alu instid0(VALU_DEP_2) | instskip(NEXT) | instid1(VALU_DEP_2)
	v_fma_f64 v[8:9], v[14:15], v[26:27], -v[8:9]
	v_fma_f64 v[12:13], v[16:17], v[26:27], v[10:11]
	s_delay_alu instid0(VALU_DEP_2) | instskip(NEXT) | instid1(VALU_DEP_2)
	v_add_f64 v[10:11], v[34:35], v[8:9]
	v_add_f64 v[12:13], v[36:37], v[12:13]
	ds_load_b128 v[34:37], v25 offset:2160
	s_waitcnt lgkmcnt(1)
	v_mul_f64 v[8:9], v[16:17], v[32:33]
	s_waitcnt lgkmcnt(0)
	s_barrier
	buffer_gl0_inv
	v_fma_f64 v[8:9], v[14:15], v[30:31], -v[8:9]
	v_mul_f64 v[14:15], v[14:15], v[32:33]
	s_delay_alu instid0(VALU_DEP_2) | instskip(NEXT) | instid1(VALU_DEP_2)
	v_add_f64 v[0:1], v[0:1], v[8:9]
	v_fma_f64 v[14:15], v[16:17], v[30:31], v[14:15]
	v_mul_f64 v[8:9], v[36:37], v[28:29]
	v_mul_f64 v[16:17], v[34:35], v[28:29]
	s_delay_alu instid0(VALU_DEP_3) | instskip(NEXT) | instid1(VALU_DEP_3)
	v_add_f64 v[14:15], v[38:39], v[14:15]
	v_fma_f64 v[8:9], v[34:35], v[26:27], -v[8:9]
	s_delay_alu instid0(VALU_DEP_3) | instskip(NEXT) | instid1(VALU_DEP_2)
	v_fma_f64 v[16:17], v[36:37], v[26:27], v[16:17]
	v_add_f64 v[4:5], v[4:5], v[8:9]
	s_delay_alu instid0(VALU_DEP_2) | instskip(SKIP_2) | instid1(VALU_DEP_2)
	v_add_f64 v[18:19], v[40:41], v[16:17]
	v_mul_f64 v[8:9], v[36:37], v[32:33]
	v_mul_f64 v[16:17], v[34:35], v[32:33]
	v_fma_f64 v[8:9], v[34:35], v[30:31], -v[8:9]
	s_delay_alu instid0(VALU_DEP_2) | instskip(NEXT) | instid1(VALU_DEP_2)
	v_fma_f64 v[16:17], v[36:37], v[30:31], v[16:17]
	v_add_f64 v[8:9], v[42:43], v[8:9]
	s_delay_alu instid0(VALU_DEP_2)
	v_add_f64 v[16:17], v[44:45], v[16:17]
	s_cbranch_scc0 .LBB409_2
.LBB409_3:
	s_clause 0x1
	s_load_b32 s3, s[0:1], 0x40
	s_load_b64 s[0:1], s[0:1], 0x48
	v_add_nc_u32_e32 v22, s13, v21
	v_add_nc_u32_e32 v20, s12, v20
	s_delay_alu instid0(VALU_DEP_2)
	v_cmp_gt_i32_e32 vcc_lo, s2, v22
	s_waitcnt lgkmcnt(0)
	v_mad_i64_i32 v[2:3], null, v22, s3, 0
	s_mul_i32 s1, s15, s1
	s_mul_hi_u32 s4, s15, s0
	s_mul_i32 s0, s15, s0
	s_add_i32 s1, s4, s1
	s_delay_alu instid0(SALU_CYCLE_1) | instskip(NEXT) | instid1(VALU_DEP_1)
	s_lshl_b64 s[4:5], s[0:1], 4
	v_lshlrev_b64 v[2:3], 4, v[2:3]
	s_add_u32 s4, s6, s4
	v_cmp_le_i32_e64 s0, v20, v22
	s_addc_u32 s5, s7, s5
	s_delay_alu instid0(VALU_DEP_2) | instskip(NEXT) | instid1(VALU_DEP_1)
	v_add_co_u32 v2, s1, s4, v2
	v_add_co_ci_u32_e64 v6, s1, s5, v3, s1
	s_delay_alu instid0(VALU_DEP_3) | instskip(NEXT) | instid1(SALU_CYCLE_1)
	s_and_b32 s0, vcc_lo, s0
	s_and_saveexec_b32 s6, s0
	s_cbranch_execz .LBB409_5
; %bb.4:
	v_ashrrev_i32_e32 v21, 31, v20
	v_cmp_ne_u32_e64 s0, v22, v20
	v_xor_b32_e32 v11, 0x80000000, v11
	s_delay_alu instid0(VALU_DEP_3) | instskip(NEXT) | instid1(VALU_DEP_3)
	v_lshlrev_b64 v[23:24], 4, v[20:21]
	v_cndmask_b32_e64 v13, 0, -v13, s0
	v_cndmask_b32_e64 v12, 0, v12, s0
	s_delay_alu instid0(VALU_DEP_3) | instskip(NEXT) | instid1(VALU_DEP_1)
	v_add_co_u32 v23, s1, v2, v23
	v_add_co_ci_u32_e64 v24, s1, v6, v24, s1
	global_store_b128 v[23:24], v[10:13], off
.LBB409_5:
	s_or_b32 exec_lo, exec_lo, s6
	v_add_nc_u32_e32 v10, 16, v20
	s_delay_alu instid0(VALU_DEP_1) | instskip(NEXT) | instid1(VALU_DEP_1)
	v_cmp_le_i32_e64 s0, v10, v22
	s_and_b32 s0, vcc_lo, s0
	s_delay_alu instid0(SALU_CYCLE_1)
	s_and_saveexec_b32 s1, s0
	s_cbranch_execz .LBB409_7
; %bb.6:
	v_ashrrev_i32_e32 v11, 31, v10
	v_cmp_ne_u32_e32 vcc_lo, v22, v10
	v_xor_b32_e32 v1, 0x80000000, v1
	s_delay_alu instid0(VALU_DEP_3) | instskip(SKIP_1) | instid1(VALU_DEP_2)
	v_lshlrev_b64 v[11:12], 4, v[10:11]
	v_cndmask_b32_e64 v3, 0, -v15, vcc_lo
	v_add_co_u32 v11, s0, v2, v11
	s_delay_alu instid0(VALU_DEP_1)
	v_add_co_ci_u32_e64 v12, s0, v6, v12, s0
	v_cndmask_b32_e32 v2, 0, v14, vcc_lo
	global_store_b128 v[11:12], v[0:3], off
.LBB409_7:
	s_or_b32 exec_lo, exec_lo, s1
	v_add_nc_u32_e32 v2, 16, v22
	s_delay_alu instid0(VALU_DEP_1) | instskip(SKIP_2) | instid1(VALU_DEP_1)
	v_mad_i64_i32 v[0:1], null, v2, s3, 0
	v_cmp_gt_i32_e32 vcc_lo, s2, v2
	v_cmp_le_i32_e64 s0, v20, v2
	s_and_b32 s0, vcc_lo, s0
	s_delay_alu instid0(VALU_DEP_3) | instskip(NEXT) | instid1(VALU_DEP_1)
	v_lshlrev_b64 v[0:1], 4, v[0:1]
	v_add_co_u32 v0, s1, s4, v0
	s_delay_alu instid0(VALU_DEP_1)
	v_add_co_ci_u32_e64 v1, s1, s5, v1, s1
	s_and_saveexec_b32 s2, s0
	s_cbranch_execz .LBB409_9
; %bb.8:
	v_ashrrev_i32_e32 v21, 31, v20
	v_cmp_ne_u32_e64 s0, v2, v20
	v_xor_b32_e32 v5, 0x80000000, v5
	s_delay_alu instid0(VALU_DEP_3) | instskip(NEXT) | instid1(VALU_DEP_3)
	v_lshlrev_b64 v[11:12], 4, v[20:21]
	v_cndmask_b32_e64 v7, 0, -v19, s0
	v_cndmask_b32_e64 v6, 0, v18, s0
	s_delay_alu instid0(VALU_DEP_3) | instskip(NEXT) | instid1(VALU_DEP_1)
	v_add_co_u32 v11, s1, v0, v11
	v_add_co_ci_u32_e64 v12, s1, v1, v12, s1
	global_store_b128 v[11:12], v[4:7], off
.LBB409_9:
	s_or_b32 exec_lo, exec_lo, s2
	v_cmp_le_i32_e64 s0, v10, v2
	s_delay_alu instid0(VALU_DEP_1) | instskip(NEXT) | instid1(SALU_CYCLE_1)
	s_and_b32 s0, vcc_lo, s0
	s_and_saveexec_b32 s1, s0
	s_cbranch_execz .LBB409_11
; %bb.10:
	v_ashrrev_i32_e32 v11, 31, v10
	v_cmp_ne_u32_e32 vcc_lo, v22, v20
	v_xor_b32_e32 v9, 0x80000000, v9
	s_delay_alu instid0(VALU_DEP_3) | instskip(SKIP_2) | instid1(VALU_DEP_3)
	v_lshlrev_b64 v[2:3], 4, v[10:11]
	v_cndmask_b32_e64 v11, 0, -v17, vcc_lo
	v_cndmask_b32_e32 v10, 0, v16, vcc_lo
	v_add_co_u32 v0, s0, v0, v2
	s_delay_alu instid0(VALU_DEP_1)
	v_add_co_ci_u32_e64 v1, s0, v1, v3, s0
	global_store_b128 v[0:1], v[8:11], off
.LBB409_11:
	s_nop 0
	s_sendmsg sendmsg(MSG_DEALLOC_VGPRS)
	s_endpgm
	.section	.rodata,"a",@progbits
	.p2align	6, 0x0
	.amdhsa_kernel _ZL37rocblas_syrkx_herkx_restricted_kernelIi19rocblas_complex_numIdELi16ELi32ELi8ELin1ELi0ELb1ELc67ELc85EKS1_S1_EviT_PT9_S3_lS5_S3_lPT10_S3_li
		.amdhsa_group_segment_fixed_size 8192
		.amdhsa_private_segment_fixed_size 0
		.amdhsa_kernarg_size 84
		.amdhsa_user_sgpr_count 13
		.amdhsa_user_sgpr_dispatch_ptr 0
		.amdhsa_user_sgpr_queue_ptr 0
		.amdhsa_user_sgpr_kernarg_segment_ptr 1
		.amdhsa_user_sgpr_dispatch_id 0
		.amdhsa_user_sgpr_private_segment_size 0
		.amdhsa_wavefront_size32 1
		.amdhsa_uses_dynamic_stack 0
		.amdhsa_enable_private_segment 0
		.amdhsa_system_sgpr_workgroup_id_x 1
		.amdhsa_system_sgpr_workgroup_id_y 1
		.amdhsa_system_sgpr_workgroup_id_z 1
		.amdhsa_system_sgpr_workgroup_info 0
		.amdhsa_system_vgpr_workitem_id 1
		.amdhsa_next_free_vgpr 52
		.amdhsa_next_free_sgpr 20
		.amdhsa_reserve_vcc 1
		.amdhsa_float_round_mode_32 0
		.amdhsa_float_round_mode_16_64 0
		.amdhsa_float_denorm_mode_32 3
		.amdhsa_float_denorm_mode_16_64 3
		.amdhsa_dx10_clamp 1
		.amdhsa_ieee_mode 1
		.amdhsa_fp16_overflow 0
		.amdhsa_workgroup_processor_mode 1
		.amdhsa_memory_ordered 1
		.amdhsa_forward_progress 0
		.amdhsa_shared_vgpr_count 0
		.amdhsa_exception_fp_ieee_invalid_op 0
		.amdhsa_exception_fp_denorm_src 0
		.amdhsa_exception_fp_ieee_div_zero 0
		.amdhsa_exception_fp_ieee_overflow 0
		.amdhsa_exception_fp_ieee_underflow 0
		.amdhsa_exception_fp_ieee_inexact 0
		.amdhsa_exception_int_div_zero 0
	.end_amdhsa_kernel
	.section	.text._ZL37rocblas_syrkx_herkx_restricted_kernelIi19rocblas_complex_numIdELi16ELi32ELi8ELin1ELi0ELb1ELc67ELc85EKS1_S1_EviT_PT9_S3_lS5_S3_lPT10_S3_li,"axG",@progbits,_ZL37rocblas_syrkx_herkx_restricted_kernelIi19rocblas_complex_numIdELi16ELi32ELi8ELin1ELi0ELb1ELc67ELc85EKS1_S1_EviT_PT9_S3_lS5_S3_lPT10_S3_li,comdat
.Lfunc_end409:
	.size	_ZL37rocblas_syrkx_herkx_restricted_kernelIi19rocblas_complex_numIdELi16ELi32ELi8ELin1ELi0ELb1ELc67ELc85EKS1_S1_EviT_PT9_S3_lS5_S3_lPT10_S3_li, .Lfunc_end409-_ZL37rocblas_syrkx_herkx_restricted_kernelIi19rocblas_complex_numIdELi16ELi32ELi8ELin1ELi0ELb1ELc67ELc85EKS1_S1_EviT_PT9_S3_lS5_S3_lPT10_S3_li
                                        ; -- End function
	.section	.AMDGPU.csdata,"",@progbits
; Kernel info:
; codeLenInByte = 3312
; NumSgprs: 22
; NumVgprs: 52
; ScratchSize: 0
; MemoryBound: 0
; FloatMode: 240
; IeeeMode: 1
; LDSByteSize: 8192 bytes/workgroup (compile time only)
; SGPRBlocks: 2
; VGPRBlocks: 6
; NumSGPRsForWavesPerEU: 22
; NumVGPRsForWavesPerEU: 52
; Occupancy: 16
; WaveLimiterHint : 0
; COMPUTE_PGM_RSRC2:SCRATCH_EN: 0
; COMPUTE_PGM_RSRC2:USER_SGPR: 13
; COMPUTE_PGM_RSRC2:TRAP_HANDLER: 0
; COMPUTE_PGM_RSRC2:TGID_X_EN: 1
; COMPUTE_PGM_RSRC2:TGID_Y_EN: 1
; COMPUTE_PGM_RSRC2:TGID_Z_EN: 1
; COMPUTE_PGM_RSRC2:TIDIG_COMP_CNT: 1
	.section	.text._ZL37rocblas_syrkx_herkx_restricted_kernelIi19rocblas_complex_numIdELi16ELi32ELi8ELin1ELi0ELb1ELc78ELc85EKS1_S1_EviT_PT9_S3_lS5_S3_lPT10_S3_li,"axG",@progbits,_ZL37rocblas_syrkx_herkx_restricted_kernelIi19rocblas_complex_numIdELi16ELi32ELi8ELin1ELi0ELb1ELc78ELc85EKS1_S1_EviT_PT9_S3_lS5_S3_lPT10_S3_li,comdat
	.globl	_ZL37rocblas_syrkx_herkx_restricted_kernelIi19rocblas_complex_numIdELi16ELi32ELi8ELin1ELi0ELb1ELc78ELc85EKS1_S1_EviT_PT9_S3_lS5_S3_lPT10_S3_li ; -- Begin function _ZL37rocblas_syrkx_herkx_restricted_kernelIi19rocblas_complex_numIdELi16ELi32ELi8ELin1ELi0ELb1ELc78ELc85EKS1_S1_EviT_PT9_S3_lS5_S3_lPT10_S3_li
	.p2align	8
	.type	_ZL37rocblas_syrkx_herkx_restricted_kernelIi19rocblas_complex_numIdELi16ELi32ELi8ELin1ELi0ELb1ELc78ELc85EKS1_S1_EviT_PT9_S3_lS5_S3_lPT10_S3_li,@function
_ZL37rocblas_syrkx_herkx_restricted_kernelIi19rocblas_complex_numIdELi16ELi32ELi8ELin1ELi0ELb1ELc78ELc85EKS1_S1_EviT_PT9_S3_lS5_S3_lPT10_S3_li: ; @_ZL37rocblas_syrkx_herkx_restricted_kernelIi19rocblas_complex_numIdELi16ELi32ELi8ELin1ELi0ELb1ELc78ELc85EKS1_S1_EviT_PT9_S3_lS5_S3_lPT10_S3_li
; %bb.0:
	s_clause 0x1
	s_load_b64 s[2:3], s[0:1], 0x0
	s_load_b128 s[4:7], s[0:1], 0x30
	v_mov_b32_e32 v10, 0
	v_dual_mov_b32 v11, 0 :: v_dual_and_b32 v20, 0x3ff, v0
	v_bfe_u32 v21, v0, 10, 10
	s_delay_alu instid0(VALU_DEP_3) | instskip(NEXT) | instid1(VALU_DEP_3)
	v_mov_b32_e32 v0, v10
	v_dual_mov_b32 v4, v10 :: v_dual_mov_b32 v5, v11
	v_dual_mov_b32 v13, v11 :: v_dual_mov_b32 v12, v10
	v_mov_b32_e32 v1, v11
	v_dual_mov_b32 v15, v11 :: v_dual_mov_b32 v14, v10
	v_dual_mov_b32 v19, v11 :: v_dual_mov_b32 v18, v10
	;; [unrolled: 1-line block ×4, first 2 shown]
	s_lshl_b32 s12, s13, 5
	s_lshl_b32 s13, s14, 5
	s_waitcnt lgkmcnt(0)
	s_cmp_lt_i32 s3, 1
	s_mov_b32 s14, 0
	s_cbranch_scc1 .LBB410_3
; %bb.1:
	v_lshl_add_u32 v0, v21, 4, v20
	v_and_b32_e32 v6, 7, v20
	v_mov_b32_e32 v16, 0
	v_mov_b32_e32 v17, 0
	s_clause 0x1
	s_load_b32 s16, s[0:1], 0x10
	s_load_b32 s18, s[0:1], 0x28
	v_lshrrev_b32_e32 v1, 3, v0
	v_lshlrev_b32_e32 v3, 4, v6
	v_and_b32_e32 v2, 31, v0
	s_clause 0x1
	s_load_b128 s[8:11], s[0:1], 0x18
	s_load_b64 s[20:21], s[0:1], 0x8
	v_lshrrev_b32_e32 v7, 5, v0
	v_lshl_or_b32 v8, v1, 7, v3
	v_dual_mov_b32 v19, v17 :: v_dual_add_nc_u32 v0, s13, v1
	v_mov_b32_e32 v14, v16
	s_mul_i32 s5, s5, s15
	s_delay_alu instid0(VALU_DEP_3)
	v_dual_mov_b32 v18, v16 :: v_dual_add_nc_u32 v23, 0x1000, v8
	v_dual_mov_b32 v8, v16 :: v_dual_mov_b32 v9, v17
	v_lshlrev_b32_e32 v4, 4, v2
	v_dual_mov_b32 v15, v17 :: v_dual_add_nc_u32 v2, s12, v2
	v_ashrrev_i32_e32 v1, 31, v0
	s_waitcnt lgkmcnt(0)
	s_ashr_i32 s17, s16, 31
	v_lshl_or_b32 v22, v7, 9, v4
	v_ashrrev_i32_e32 v3, 31, v2
	s_ashr_i32 s19, s18, 31
	v_mad_i64_i32 v[4:5], null, s18, v6, v[0:1]
	s_mul_i32 s9, s9, s15
	s_delay_alu instid0(VALU_DEP_2)
	v_mad_i64_i32 v[0:1], null, s16, v7, v[2:3]
	s_mul_hi_u32 s22, s8, s15
	s_mul_i32 s8, s8, s15
	s_add_i32 s9, s22, s9
	v_mov_b32_e32 v12, v16
	s_lshl_b64 s[8:9], s[8:9], 4
	v_mov_b32_e32 v10, v16
	s_delay_alu instid0(VALU_DEP_3)
	v_lshlrev_b64 v[0:1], 4, v[0:1]
	s_add_u32 s8, s20, s8
	s_addc_u32 s9, s21, s9
	s_mul_hi_u32 s20, s4, s15
	s_mul_i32 s4, s4, s15
	s_add_i32 s5, s20, s5
	v_add_co_u32 v2, vcc_lo, s8, v0
	v_add_co_ci_u32_e32 v3, vcc_lo, s9, v1, vcc_lo
	v_lshlrev_b64 v[0:1], 4, v[4:5]
	s_lshl_b64 s[8:9], s[4:5], 4
	s_lshl_b64 s[4:5], s[16:17], 7
	s_add_u32 s8, s10, s8
	s_addc_u32 s9, s11, s9
	v_dual_mov_b32 v4, v16 :: v_dual_mov_b32 v13, v17
	v_add_co_u32 v0, vcc_lo, s8, v0
	v_add_co_ci_u32_e32 v1, vcc_lo, s9, v1, vcc_lo
	v_add_co_u32 v2, vcc_lo, v2, 8
	v_add_co_ci_u32_e32 v3, vcc_lo, 0, v3, vcc_lo
	s_delay_alu instid0(VALU_DEP_4) | instskip(NEXT) | instid1(VALU_DEP_4)
	v_add_co_u32 v6, vcc_lo, v0, 8
	v_add_co_ci_u32_e32 v7, vcc_lo, 0, v1, vcc_lo
	v_mov_b32_e32 v0, v16
	v_dual_mov_b32 v1, v17 :: v_dual_lshlrev_b32 v24, 4, v20
	v_lshl_add_u32 v25, v21, 7, 0x1000
	v_mov_b32_e32 v5, v17
	v_mov_b32_e32 v11, v17
	s_lshl_b64 s[8:9], s[18:19], 7
.LBB410_2:                              ; =>This Inner Loop Header: Depth=1
	global_load_b128 v[26:29], v[2:3], off offset:-8
	v_add_co_u32 v2, vcc_lo, v2, s4
	v_add_co_ci_u32_e32 v3, vcc_lo, s5, v3, vcc_lo
	s_add_i32 s14, s14, 8
	s_delay_alu instid0(SALU_CYCLE_1)
	s_cmp_ge_i32 s14, s3
	s_waitcnt vmcnt(0)
	ds_store_b128 v22, v[26:29]
	global_load_b128 v[26:29], v[6:7], off offset:-8
	v_add_co_u32 v6, vcc_lo, v6, s8
	v_add_co_ci_u32_e32 v7, vcc_lo, s9, v7, vcc_lo
	s_waitcnt vmcnt(0)
	v_xor_b32_e32 v29, 0x80000000, v29
	ds_store_b128 v23, v[26:29]
	s_waitcnt lgkmcnt(0)
	s_barrier
	buffer_gl0_inv
	ds_load_b128 v[26:29], v25
	ds_load_b128 v[30:33], v25 offset:16
	ds_load_b128 v[34:37], v25 offset:32
	;; [unrolled: 1-line block ×3, first 2 shown]
	ds_load_b128 v[42:45], v24
	s_waitcnt lgkmcnt(0)
	v_mul_f64 v[46:47], v[28:29], v[44:45]
	v_mul_f64 v[48:49], v[26:27], v[44:45]
	s_delay_alu instid0(VALU_DEP_2) | instskip(NEXT) | instid1(VALU_DEP_2)
	v_fma_f64 v[46:47], v[26:27], v[42:43], -v[46:47]
	v_fma_f64 v[48:49], v[28:29], v[42:43], v[48:49]
	s_delay_alu instid0(VALU_DEP_2) | instskip(NEXT) | instid1(VALU_DEP_2)
	v_add_f64 v[46:47], v[10:11], v[46:47]
	v_add_f64 v[48:49], v[12:13], v[48:49]
	ds_load_b128 v[10:13], v24 offset:256
	s_waitcnt lgkmcnt(0)
	v_mul_f64 v[50:51], v[28:29], v[12:13]
	s_delay_alu instid0(VALU_DEP_1) | instskip(SKIP_1) | instid1(VALU_DEP_2)
	v_fma_f64 v[50:51], v[26:27], v[10:11], -v[50:51]
	v_mul_f64 v[26:27], v[26:27], v[12:13]
	v_add_f64 v[0:1], v[0:1], v[50:51]
	s_delay_alu instid0(VALU_DEP_2) | instskip(NEXT) | instid1(VALU_DEP_1)
	v_fma_f64 v[26:27], v[28:29], v[10:11], v[26:27]
	v_add_f64 v[50:51], v[14:15], v[26:27]
	ds_load_b128 v[26:29], v25 offset:2048
	s_waitcnt lgkmcnt(0)
	v_mul_f64 v[14:15], v[28:29], v[44:45]
	v_mul_f64 v[44:45], v[26:27], v[44:45]
	s_delay_alu instid0(VALU_DEP_2) | instskip(NEXT) | instid1(VALU_DEP_2)
	v_fma_f64 v[14:15], v[26:27], v[42:43], -v[14:15]
	v_fma_f64 v[42:43], v[28:29], v[42:43], v[44:45]
	s_delay_alu instid0(VALU_DEP_2) | instskip(SKIP_2) | instid1(VALU_DEP_4)
	v_add_f64 v[4:5], v[4:5], v[14:15]
	v_mul_f64 v[14:15], v[28:29], v[12:13]
	v_mul_f64 v[12:13], v[26:27], v[12:13]
	v_add_f64 v[42:43], v[18:19], v[42:43]
	s_delay_alu instid0(VALU_DEP_3) | instskip(NEXT) | instid1(VALU_DEP_3)
	v_fma_f64 v[14:15], v[26:27], v[10:11], -v[14:15]
	v_fma_f64 v[10:11], v[28:29], v[10:11], v[12:13]
	s_delay_alu instid0(VALU_DEP_2) | instskip(NEXT) | instid1(VALU_DEP_2)
	v_add_f64 v[26:27], v[8:9], v[14:15]
	v_add_f64 v[28:29], v[16:17], v[10:11]
	ds_load_b128 v[8:11], v24 offset:512
	s_waitcnt lgkmcnt(0)
	v_mul_f64 v[12:13], v[32:33], v[10:11]
	v_mul_f64 v[14:15], v[30:31], v[10:11]
	s_delay_alu instid0(VALU_DEP_2) | instskip(NEXT) | instid1(VALU_DEP_2)
	v_fma_f64 v[12:13], v[30:31], v[8:9], -v[12:13]
	v_fma_f64 v[14:15], v[32:33], v[8:9], v[14:15]
	s_delay_alu instid0(VALU_DEP_2) | instskip(NEXT) | instid1(VALU_DEP_2)
	v_add_f64 v[44:45], v[46:47], v[12:13]
	v_add_f64 v[46:47], v[48:49], v[14:15]
	ds_load_b128 v[12:15], v24 offset:768
	s_waitcnt lgkmcnt(0)
	v_mul_f64 v[16:17], v[32:33], v[14:15]
	v_mul_f64 v[18:19], v[30:31], v[14:15]
	s_delay_alu instid0(VALU_DEP_2) | instskip(NEXT) | instid1(VALU_DEP_2)
	;; [unrolled: 10-line block ×3, first 2 shown]
	v_fma_f64 v[32:33], v[16:17], v[8:9], -v[32:33]
	v_fma_f64 v[8:9], v[18:19], v[8:9], v[10:11]
	v_mul_f64 v[10:11], v[16:17], v[14:15]
	s_delay_alu instid0(VALU_DEP_3) | instskip(NEXT) | instid1(VALU_DEP_3)
	v_add_f64 v[4:5], v[4:5], v[32:33]
	v_add_f64 v[32:33], v[42:43], v[8:9]
	v_mul_f64 v[8:9], v[18:19], v[14:15]
	s_delay_alu instid0(VALU_DEP_4) | instskip(NEXT) | instid1(VALU_DEP_2)
	v_fma_f64 v[10:11], v[18:19], v[12:13], v[10:11]
	v_fma_f64 v[8:9], v[16:17], v[12:13], -v[8:9]
	s_delay_alu instid0(VALU_DEP_2) | instskip(NEXT) | instid1(VALU_DEP_2)
	v_add_f64 v[28:29], v[28:29], v[10:11]
	v_add_f64 v[26:27], v[26:27], v[8:9]
	ds_load_b128 v[8:11], v24 offset:1024
	s_waitcnt lgkmcnt(0)
	v_mul_f64 v[12:13], v[36:37], v[10:11]
	v_mul_f64 v[14:15], v[34:35], v[10:11]
	s_delay_alu instid0(VALU_DEP_2) | instskip(NEXT) | instid1(VALU_DEP_2)
	v_fma_f64 v[12:13], v[34:35], v[8:9], -v[12:13]
	v_fma_f64 v[14:15], v[36:37], v[8:9], v[14:15]
	s_delay_alu instid0(VALU_DEP_2) | instskip(NEXT) | instid1(VALU_DEP_2)
	v_add_f64 v[42:43], v[44:45], v[12:13]
	v_add_f64 v[44:45], v[46:47], v[14:15]
	ds_load_b128 v[12:15], v24 offset:1280
	s_waitcnt lgkmcnt(0)
	v_mul_f64 v[16:17], v[36:37], v[14:15]
	v_mul_f64 v[18:19], v[34:35], v[14:15]
	s_delay_alu instid0(VALU_DEP_2) | instskip(NEXT) | instid1(VALU_DEP_2)
	v_fma_f64 v[16:17], v[34:35], v[12:13], -v[16:17]
	v_fma_f64 v[18:19], v[36:37], v[12:13], v[18:19]
	s_delay_alu instid0(VALU_DEP_2) | instskip(NEXT) | instid1(VALU_DEP_2)
	v_add_f64 v[0:1], v[0:1], v[16:17]
	v_add_f64 v[30:31], v[30:31], v[18:19]
	ds_load_b128 v[16:19], v25 offset:2080
	s_waitcnt lgkmcnt(0)
	v_mul_f64 v[34:35], v[18:19], v[10:11]
	v_mul_f64 v[10:11], v[16:17], v[10:11]
	s_delay_alu instid0(VALU_DEP_2) | instskip(NEXT) | instid1(VALU_DEP_2)
	v_fma_f64 v[34:35], v[16:17], v[8:9], -v[34:35]
	v_fma_f64 v[8:9], v[18:19], v[8:9], v[10:11]
	v_mul_f64 v[10:11], v[16:17], v[14:15]
	s_delay_alu instid0(VALU_DEP_3) | instskip(NEXT) | instid1(VALU_DEP_3)
	v_add_f64 v[4:5], v[4:5], v[34:35]
	v_add_f64 v[32:33], v[32:33], v[8:9]
	v_mul_f64 v[8:9], v[18:19], v[14:15]
	s_delay_alu instid0(VALU_DEP_4) | instskip(NEXT) | instid1(VALU_DEP_2)
	v_fma_f64 v[10:11], v[18:19], v[12:13], v[10:11]
	v_fma_f64 v[8:9], v[16:17], v[12:13], -v[8:9]
	s_delay_alu instid0(VALU_DEP_2) | instskip(NEXT) | instid1(VALU_DEP_2)
	v_add_f64 v[28:29], v[28:29], v[10:11]
	v_add_f64 v[26:27], v[26:27], v[8:9]
	ds_load_b128 v[8:11], v24 offset:1536
	s_waitcnt lgkmcnt(0)
	v_mul_f64 v[12:13], v[40:41], v[10:11]
	v_mul_f64 v[14:15], v[38:39], v[10:11]
	s_delay_alu instid0(VALU_DEP_2) | instskip(NEXT) | instid1(VALU_DEP_2)
	v_fma_f64 v[12:13], v[38:39], v[8:9], -v[12:13]
	v_fma_f64 v[14:15], v[40:41], v[8:9], v[14:15]
	s_delay_alu instid0(VALU_DEP_2) | instskip(NEXT) | instid1(VALU_DEP_2)
	v_add_f64 v[34:35], v[42:43], v[12:13]
	v_add_f64 v[36:37], v[44:45], v[14:15]
	ds_load_b128 v[12:15], v24 offset:1792
	s_waitcnt lgkmcnt(0)
	v_mul_f64 v[16:17], v[40:41], v[14:15]
	v_mul_f64 v[18:19], v[38:39], v[14:15]
	s_delay_alu instid0(VALU_DEP_2) | instskip(NEXT) | instid1(VALU_DEP_2)
	v_fma_f64 v[16:17], v[38:39], v[12:13], -v[16:17]
	v_fma_f64 v[18:19], v[40:41], v[12:13], v[18:19]
	;; [unrolled: 10-line block ×3, first 2 shown]
	v_mul_f64 v[10:11], v[16:17], v[14:15]
	s_delay_alu instid0(VALU_DEP_3) | instskip(NEXT) | instid1(VALU_DEP_3)
	v_add_f64 v[4:5], v[4:5], v[38:39]
	v_add_f64 v[32:33], v[32:33], v[8:9]
	v_mul_f64 v[8:9], v[18:19], v[14:15]
	s_delay_alu instid0(VALU_DEP_4) | instskip(NEXT) | instid1(VALU_DEP_2)
	v_fma_f64 v[10:11], v[18:19], v[12:13], v[10:11]
	v_fma_f64 v[8:9], v[16:17], v[12:13], -v[8:9]
	s_delay_alu instid0(VALU_DEP_2) | instskip(NEXT) | instid1(VALU_DEP_2)
	v_add_f64 v[28:29], v[28:29], v[10:11]
	v_add_f64 v[26:27], v[26:27], v[8:9]
	ds_load_b128 v[8:11], v25 offset:64
	ds_load_b128 v[12:15], v24 offset:2048
	s_waitcnt lgkmcnt(0)
	v_mul_f64 v[16:17], v[10:11], v[14:15]
	v_mul_f64 v[18:19], v[8:9], v[14:15]
	s_delay_alu instid0(VALU_DEP_2) | instskip(NEXT) | instid1(VALU_DEP_2)
	v_fma_f64 v[16:17], v[8:9], v[12:13], -v[16:17]
	v_fma_f64 v[18:19], v[10:11], v[12:13], v[18:19]
	s_delay_alu instid0(VALU_DEP_2) | instskip(NEXT) | instid1(VALU_DEP_2)
	v_add_f64 v[34:35], v[34:35], v[16:17]
	v_add_f64 v[36:37], v[36:37], v[18:19]
	ds_load_b128 v[16:19], v24 offset:2304
	s_waitcnt lgkmcnt(0)
	v_mul_f64 v[38:39], v[10:11], v[18:19]
	s_delay_alu instid0(VALU_DEP_1) | instskip(SKIP_1) | instid1(VALU_DEP_2)
	v_fma_f64 v[38:39], v[8:9], v[16:17], -v[38:39]
	v_mul_f64 v[8:9], v[8:9], v[18:19]
	v_add_f64 v[0:1], v[0:1], v[38:39]
	s_delay_alu instid0(VALU_DEP_2) | instskip(NEXT) | instid1(VALU_DEP_1)
	v_fma_f64 v[8:9], v[10:11], v[16:17], v[8:9]
	v_add_f64 v[30:31], v[30:31], v[8:9]
	ds_load_b128 v[8:11], v25 offset:2112
	s_waitcnt lgkmcnt(0)
	v_mul_f64 v[38:39], v[10:11], v[14:15]
	v_mul_f64 v[14:15], v[8:9], v[14:15]
	s_delay_alu instid0(VALU_DEP_2) | instskip(NEXT) | instid1(VALU_DEP_2)
	v_fma_f64 v[38:39], v[8:9], v[12:13], -v[38:39]
	v_fma_f64 v[12:13], v[10:11], v[12:13], v[14:15]
	s_delay_alu instid0(VALU_DEP_2) | instskip(NEXT) | instid1(VALU_DEP_2)
	v_add_f64 v[4:5], v[4:5], v[38:39]
	v_add_f64 v[32:33], v[32:33], v[12:13]
	v_mul_f64 v[12:13], v[10:11], v[18:19]
	s_delay_alu instid0(VALU_DEP_1) | instskip(SKIP_1) | instid1(VALU_DEP_2)
	v_fma_f64 v[12:13], v[8:9], v[16:17], -v[12:13]
	v_mul_f64 v[8:9], v[8:9], v[18:19]
	v_add_f64 v[26:27], v[26:27], v[12:13]
	s_delay_alu instid0(VALU_DEP_2) | instskip(NEXT) | instid1(VALU_DEP_1)
	v_fma_f64 v[8:9], v[10:11], v[16:17], v[8:9]
	v_add_f64 v[28:29], v[28:29], v[8:9]
	ds_load_b128 v[8:11], v25 offset:80
	ds_load_b128 v[12:15], v24 offset:2560
	s_waitcnt lgkmcnt(0)
	v_mul_f64 v[16:17], v[10:11], v[14:15]
	v_mul_f64 v[18:19], v[8:9], v[14:15]
	s_delay_alu instid0(VALU_DEP_2) | instskip(NEXT) | instid1(VALU_DEP_2)
	v_fma_f64 v[16:17], v[8:9], v[12:13], -v[16:17]
	v_fma_f64 v[18:19], v[10:11], v[12:13], v[18:19]
	s_delay_alu instid0(VALU_DEP_2) | instskip(NEXT) | instid1(VALU_DEP_2)
	v_add_f64 v[34:35], v[34:35], v[16:17]
	v_add_f64 v[36:37], v[36:37], v[18:19]
	ds_load_b128 v[16:19], v24 offset:2816
	s_waitcnt lgkmcnt(0)
	v_mul_f64 v[38:39], v[10:11], v[18:19]
	s_delay_alu instid0(VALU_DEP_1) | instskip(SKIP_1) | instid1(VALU_DEP_2)
	v_fma_f64 v[38:39], v[8:9], v[16:17], -v[38:39]
	v_mul_f64 v[8:9], v[8:9], v[18:19]
	v_add_f64 v[0:1], v[0:1], v[38:39]
	s_delay_alu instid0(VALU_DEP_2) | instskip(NEXT) | instid1(VALU_DEP_1)
	v_fma_f64 v[8:9], v[10:11], v[16:17], v[8:9]
	v_add_f64 v[30:31], v[30:31], v[8:9]
	ds_load_b128 v[8:11], v25 offset:2128
	s_waitcnt lgkmcnt(0)
	v_mul_f64 v[38:39], v[10:11], v[14:15]
	v_mul_f64 v[14:15], v[8:9], v[14:15]
	s_delay_alu instid0(VALU_DEP_2) | instskip(NEXT) | instid1(VALU_DEP_2)
	v_fma_f64 v[38:39], v[8:9], v[12:13], -v[38:39]
	v_fma_f64 v[12:13], v[10:11], v[12:13], v[14:15]
	s_delay_alu instid0(VALU_DEP_2) | instskip(NEXT) | instid1(VALU_DEP_2)
	v_add_f64 v[4:5], v[4:5], v[38:39]
	v_add_f64 v[32:33], v[32:33], v[12:13]
	v_mul_f64 v[12:13], v[10:11], v[18:19]
	s_delay_alu instid0(VALU_DEP_1) | instskip(SKIP_1) | instid1(VALU_DEP_2)
	v_fma_f64 v[12:13], v[8:9], v[16:17], -v[12:13]
	v_mul_f64 v[8:9], v[8:9], v[18:19]
	v_add_f64 v[26:27], v[26:27], v[12:13]
	s_delay_alu instid0(VALU_DEP_2) | instskip(NEXT) | instid1(VALU_DEP_1)
	v_fma_f64 v[8:9], v[10:11], v[16:17], v[8:9]
	;; [unrolled: 39-line block ×3, first 2 shown]
	v_add_f64 v[44:45], v[28:29], v[8:9]
	ds_load_b128 v[14:17], v25 offset:112
	ds_load_b128 v[26:29], v24 offset:3584
	;; [unrolled: 1-line block ×3, first 2 shown]
	s_waitcnt lgkmcnt(1)
	v_mul_f64 v[8:9], v[16:17], v[28:29]
	v_mul_f64 v[10:11], v[14:15], v[28:29]
	s_delay_alu instid0(VALU_DEP_2) | instskip(NEXT) | instid1(VALU_DEP_2)
	v_fma_f64 v[8:9], v[14:15], v[26:27], -v[8:9]
	v_fma_f64 v[12:13], v[16:17], v[26:27], v[10:11]
	s_delay_alu instid0(VALU_DEP_2) | instskip(NEXT) | instid1(VALU_DEP_2)
	v_add_f64 v[10:11], v[34:35], v[8:9]
	v_add_f64 v[12:13], v[36:37], v[12:13]
	ds_load_b128 v[34:37], v25 offset:2160
	s_waitcnt lgkmcnt(1)
	v_mul_f64 v[8:9], v[16:17], v[32:33]
	s_waitcnt lgkmcnt(0)
	s_barrier
	buffer_gl0_inv
	v_fma_f64 v[8:9], v[14:15], v[30:31], -v[8:9]
	v_mul_f64 v[14:15], v[14:15], v[32:33]
	s_delay_alu instid0(VALU_DEP_2) | instskip(NEXT) | instid1(VALU_DEP_2)
	v_add_f64 v[0:1], v[0:1], v[8:9]
	v_fma_f64 v[14:15], v[16:17], v[30:31], v[14:15]
	v_mul_f64 v[8:9], v[36:37], v[28:29]
	v_mul_f64 v[16:17], v[34:35], v[28:29]
	s_delay_alu instid0(VALU_DEP_3) | instskip(NEXT) | instid1(VALU_DEP_3)
	v_add_f64 v[14:15], v[38:39], v[14:15]
	v_fma_f64 v[8:9], v[34:35], v[26:27], -v[8:9]
	s_delay_alu instid0(VALU_DEP_3) | instskip(NEXT) | instid1(VALU_DEP_2)
	v_fma_f64 v[16:17], v[36:37], v[26:27], v[16:17]
	v_add_f64 v[4:5], v[4:5], v[8:9]
	s_delay_alu instid0(VALU_DEP_2) | instskip(SKIP_2) | instid1(VALU_DEP_2)
	v_add_f64 v[18:19], v[40:41], v[16:17]
	v_mul_f64 v[8:9], v[36:37], v[32:33]
	v_mul_f64 v[16:17], v[34:35], v[32:33]
	v_fma_f64 v[8:9], v[34:35], v[30:31], -v[8:9]
	s_delay_alu instid0(VALU_DEP_2) | instskip(NEXT) | instid1(VALU_DEP_2)
	v_fma_f64 v[16:17], v[36:37], v[30:31], v[16:17]
	v_add_f64 v[8:9], v[42:43], v[8:9]
	s_delay_alu instid0(VALU_DEP_2)
	v_add_f64 v[16:17], v[44:45], v[16:17]
	s_cbranch_scc0 .LBB410_2
.LBB410_3:
	s_clause 0x1
	s_load_b32 s3, s[0:1], 0x40
	s_load_b64 s[0:1], s[0:1], 0x48
	v_add_nc_u32_e32 v22, s13, v21
	v_add_nc_u32_e32 v20, s12, v20
	s_delay_alu instid0(VALU_DEP_2)
	v_cmp_gt_i32_e32 vcc_lo, s2, v22
	s_waitcnt lgkmcnt(0)
	v_mad_i64_i32 v[2:3], null, v22, s3, 0
	s_mul_i32 s1, s15, s1
	s_mul_hi_u32 s4, s15, s0
	s_mul_i32 s0, s15, s0
	s_add_i32 s1, s4, s1
	s_delay_alu instid0(SALU_CYCLE_1) | instskip(NEXT) | instid1(VALU_DEP_1)
	s_lshl_b64 s[4:5], s[0:1], 4
	v_lshlrev_b64 v[2:3], 4, v[2:3]
	s_add_u32 s4, s6, s4
	v_cmp_le_i32_e64 s0, v20, v22
	s_addc_u32 s5, s7, s5
	s_delay_alu instid0(VALU_DEP_2) | instskip(NEXT) | instid1(VALU_DEP_1)
	v_add_co_u32 v2, s1, s4, v2
	v_add_co_ci_u32_e64 v6, s1, s5, v3, s1
	s_delay_alu instid0(VALU_DEP_3) | instskip(NEXT) | instid1(SALU_CYCLE_1)
	s_and_b32 s0, vcc_lo, s0
	s_and_saveexec_b32 s6, s0
	s_cbranch_execz .LBB410_5
; %bb.4:
	v_ashrrev_i32_e32 v21, 31, v20
	v_cmp_ne_u32_e64 s0, v22, v20
	v_xor_b32_e32 v11, 0x80000000, v11
	s_delay_alu instid0(VALU_DEP_3) | instskip(NEXT) | instid1(VALU_DEP_3)
	v_lshlrev_b64 v[23:24], 4, v[20:21]
	v_cndmask_b32_e64 v13, 0, -v13, s0
	v_cndmask_b32_e64 v12, 0, v12, s0
	s_delay_alu instid0(VALU_DEP_3) | instskip(NEXT) | instid1(VALU_DEP_1)
	v_add_co_u32 v23, s1, v2, v23
	v_add_co_ci_u32_e64 v24, s1, v6, v24, s1
	global_store_b128 v[23:24], v[10:13], off
.LBB410_5:
	s_or_b32 exec_lo, exec_lo, s6
	v_add_nc_u32_e32 v10, 16, v20
	s_delay_alu instid0(VALU_DEP_1) | instskip(NEXT) | instid1(VALU_DEP_1)
	v_cmp_le_i32_e64 s0, v10, v22
	s_and_b32 s0, vcc_lo, s0
	s_delay_alu instid0(SALU_CYCLE_1)
	s_and_saveexec_b32 s1, s0
	s_cbranch_execz .LBB410_7
; %bb.6:
	v_ashrrev_i32_e32 v11, 31, v10
	v_cmp_ne_u32_e32 vcc_lo, v22, v10
	v_xor_b32_e32 v1, 0x80000000, v1
	s_delay_alu instid0(VALU_DEP_3) | instskip(SKIP_1) | instid1(VALU_DEP_2)
	v_lshlrev_b64 v[11:12], 4, v[10:11]
	v_cndmask_b32_e64 v3, 0, -v15, vcc_lo
	v_add_co_u32 v11, s0, v2, v11
	s_delay_alu instid0(VALU_DEP_1)
	v_add_co_ci_u32_e64 v12, s0, v6, v12, s0
	v_cndmask_b32_e32 v2, 0, v14, vcc_lo
	global_store_b128 v[11:12], v[0:3], off
.LBB410_7:
	s_or_b32 exec_lo, exec_lo, s1
	v_add_nc_u32_e32 v2, 16, v22
	s_delay_alu instid0(VALU_DEP_1) | instskip(SKIP_2) | instid1(VALU_DEP_1)
	v_mad_i64_i32 v[0:1], null, v2, s3, 0
	v_cmp_gt_i32_e32 vcc_lo, s2, v2
	v_cmp_le_i32_e64 s0, v20, v2
	s_and_b32 s0, vcc_lo, s0
	s_delay_alu instid0(VALU_DEP_3) | instskip(NEXT) | instid1(VALU_DEP_1)
	v_lshlrev_b64 v[0:1], 4, v[0:1]
	v_add_co_u32 v0, s1, s4, v0
	s_delay_alu instid0(VALU_DEP_1)
	v_add_co_ci_u32_e64 v1, s1, s5, v1, s1
	s_and_saveexec_b32 s2, s0
	s_cbranch_execz .LBB410_9
; %bb.8:
	v_ashrrev_i32_e32 v21, 31, v20
	v_cmp_ne_u32_e64 s0, v2, v20
	v_xor_b32_e32 v5, 0x80000000, v5
	s_delay_alu instid0(VALU_DEP_3) | instskip(NEXT) | instid1(VALU_DEP_3)
	v_lshlrev_b64 v[11:12], 4, v[20:21]
	v_cndmask_b32_e64 v7, 0, -v19, s0
	v_cndmask_b32_e64 v6, 0, v18, s0
	s_delay_alu instid0(VALU_DEP_3) | instskip(NEXT) | instid1(VALU_DEP_1)
	v_add_co_u32 v11, s1, v0, v11
	v_add_co_ci_u32_e64 v12, s1, v1, v12, s1
	global_store_b128 v[11:12], v[4:7], off
.LBB410_9:
	s_or_b32 exec_lo, exec_lo, s2
	v_cmp_le_i32_e64 s0, v10, v2
	s_delay_alu instid0(VALU_DEP_1) | instskip(NEXT) | instid1(SALU_CYCLE_1)
	s_and_b32 s0, vcc_lo, s0
	s_and_saveexec_b32 s1, s0
	s_cbranch_execz .LBB410_11
; %bb.10:
	v_ashrrev_i32_e32 v11, 31, v10
	v_cmp_ne_u32_e32 vcc_lo, v22, v20
	v_xor_b32_e32 v9, 0x80000000, v9
	s_delay_alu instid0(VALU_DEP_3) | instskip(SKIP_2) | instid1(VALU_DEP_3)
	v_lshlrev_b64 v[2:3], 4, v[10:11]
	v_cndmask_b32_e64 v11, 0, -v17, vcc_lo
	v_cndmask_b32_e32 v10, 0, v16, vcc_lo
	v_add_co_u32 v0, s0, v0, v2
	s_delay_alu instid0(VALU_DEP_1)
	v_add_co_ci_u32_e64 v1, s0, v1, v3, s0
	global_store_b128 v[0:1], v[8:11], off
.LBB410_11:
	s_nop 0
	s_sendmsg sendmsg(MSG_DEALLOC_VGPRS)
	s_endpgm
	.section	.rodata,"a",@progbits
	.p2align	6, 0x0
	.amdhsa_kernel _ZL37rocblas_syrkx_herkx_restricted_kernelIi19rocblas_complex_numIdELi16ELi32ELi8ELin1ELi0ELb1ELc78ELc85EKS1_S1_EviT_PT9_S3_lS5_S3_lPT10_S3_li
		.amdhsa_group_segment_fixed_size 8192
		.amdhsa_private_segment_fixed_size 0
		.amdhsa_kernarg_size 84
		.amdhsa_user_sgpr_count 13
		.amdhsa_user_sgpr_dispatch_ptr 0
		.amdhsa_user_sgpr_queue_ptr 0
		.amdhsa_user_sgpr_kernarg_segment_ptr 1
		.amdhsa_user_sgpr_dispatch_id 0
		.amdhsa_user_sgpr_private_segment_size 0
		.amdhsa_wavefront_size32 1
		.amdhsa_uses_dynamic_stack 0
		.amdhsa_enable_private_segment 0
		.amdhsa_system_sgpr_workgroup_id_x 1
		.amdhsa_system_sgpr_workgroup_id_y 1
		.amdhsa_system_sgpr_workgroup_id_z 1
		.amdhsa_system_sgpr_workgroup_info 0
		.amdhsa_system_vgpr_workitem_id 1
		.amdhsa_next_free_vgpr 52
		.amdhsa_next_free_sgpr 23
		.amdhsa_reserve_vcc 1
		.amdhsa_float_round_mode_32 0
		.amdhsa_float_round_mode_16_64 0
		.amdhsa_float_denorm_mode_32 3
		.amdhsa_float_denorm_mode_16_64 3
		.amdhsa_dx10_clamp 1
		.amdhsa_ieee_mode 1
		.amdhsa_fp16_overflow 0
		.amdhsa_workgroup_processor_mode 1
		.amdhsa_memory_ordered 1
		.amdhsa_forward_progress 0
		.amdhsa_shared_vgpr_count 0
		.amdhsa_exception_fp_ieee_invalid_op 0
		.amdhsa_exception_fp_denorm_src 0
		.amdhsa_exception_fp_ieee_div_zero 0
		.amdhsa_exception_fp_ieee_overflow 0
		.amdhsa_exception_fp_ieee_underflow 0
		.amdhsa_exception_fp_ieee_inexact 0
		.amdhsa_exception_int_div_zero 0
	.end_amdhsa_kernel
	.section	.text._ZL37rocblas_syrkx_herkx_restricted_kernelIi19rocblas_complex_numIdELi16ELi32ELi8ELin1ELi0ELb1ELc78ELc85EKS1_S1_EviT_PT9_S3_lS5_S3_lPT10_S3_li,"axG",@progbits,_ZL37rocblas_syrkx_herkx_restricted_kernelIi19rocblas_complex_numIdELi16ELi32ELi8ELin1ELi0ELb1ELc78ELc85EKS1_S1_EviT_PT9_S3_lS5_S3_lPT10_S3_li,comdat
.Lfunc_end410:
	.size	_ZL37rocblas_syrkx_herkx_restricted_kernelIi19rocblas_complex_numIdELi16ELi32ELi8ELin1ELi0ELb1ELc78ELc85EKS1_S1_EviT_PT9_S3_lS5_S3_lPT10_S3_li, .Lfunc_end410-_ZL37rocblas_syrkx_herkx_restricted_kernelIi19rocblas_complex_numIdELi16ELi32ELi8ELin1ELi0ELb1ELc78ELc85EKS1_S1_EviT_PT9_S3_lS5_S3_lPT10_S3_li
                                        ; -- End function
	.section	.AMDGPU.csdata,"",@progbits
; Kernel info:
; codeLenInByte = 3324
; NumSgprs: 25
; NumVgprs: 52
; ScratchSize: 0
; MemoryBound: 0
; FloatMode: 240
; IeeeMode: 1
; LDSByteSize: 8192 bytes/workgroup (compile time only)
; SGPRBlocks: 3
; VGPRBlocks: 6
; NumSGPRsForWavesPerEU: 25
; NumVGPRsForWavesPerEU: 52
; Occupancy: 16
; WaveLimiterHint : 0
; COMPUTE_PGM_RSRC2:SCRATCH_EN: 0
; COMPUTE_PGM_RSRC2:USER_SGPR: 13
; COMPUTE_PGM_RSRC2:TRAP_HANDLER: 0
; COMPUTE_PGM_RSRC2:TGID_X_EN: 1
; COMPUTE_PGM_RSRC2:TGID_Y_EN: 1
; COMPUTE_PGM_RSRC2:TGID_Z_EN: 1
; COMPUTE_PGM_RSRC2:TIDIG_COMP_CNT: 1
	.section	.text._ZL37rocblas_syrkx_herkx_restricted_kernelIi19rocblas_complex_numIdELi16ELi32ELi8ELb1ELb1ELc84ELc76EKS1_S1_EviT_T0_PT8_S3_lS6_S3_lS4_PT9_S3_li,"axG",@progbits,_ZL37rocblas_syrkx_herkx_restricted_kernelIi19rocblas_complex_numIdELi16ELi32ELi8ELb1ELb1ELc84ELc76EKS1_S1_EviT_T0_PT8_S3_lS6_S3_lS4_PT9_S3_li,comdat
	.globl	_ZL37rocblas_syrkx_herkx_restricted_kernelIi19rocblas_complex_numIdELi16ELi32ELi8ELb1ELb1ELc84ELc76EKS1_S1_EviT_T0_PT8_S3_lS6_S3_lS4_PT9_S3_li ; -- Begin function _ZL37rocblas_syrkx_herkx_restricted_kernelIi19rocblas_complex_numIdELi16ELi32ELi8ELb1ELb1ELc84ELc76EKS1_S1_EviT_T0_PT8_S3_lS6_S3_lS4_PT9_S3_li
	.p2align	8
	.type	_ZL37rocblas_syrkx_herkx_restricted_kernelIi19rocblas_complex_numIdELi16ELi32ELi8ELb1ELb1ELc84ELc76EKS1_S1_EviT_T0_PT8_S3_lS6_S3_lS4_PT9_S3_li,@function
_ZL37rocblas_syrkx_herkx_restricted_kernelIi19rocblas_complex_numIdELi16ELi32ELi8ELb1ELb1ELc84ELc76EKS1_S1_EviT_T0_PT8_S3_lS6_S3_lS4_PT9_S3_li: ; @_ZL37rocblas_syrkx_herkx_restricted_kernelIi19rocblas_complex_numIdELi16ELi32ELi8ELb1ELb1ELc84ELc76EKS1_S1_EviT_T0_PT8_S3_lS6_S3_lS4_PT9_S3_li
; %bb.0:
	s_clause 0x2
	s_load_b64 s[2:3], s[0:1], 0x0
	s_load_b128 s[4:7], s[0:1], 0x8
	s_load_b64 s[16:17], s[0:1], 0x18
	v_mov_b32_e32 v16, 0
	v_dual_mov_b32 v17, 0 :: v_dual_and_b32 v20, 0x3ff, v0
	v_bfe_u32 v21, v0, 10, 10
	s_delay_alu instid0(VALU_DEP_3) | instskip(NEXT) | instid1(VALU_DEP_3)
	v_mov_b32_e32 v4, v16
	v_dual_mov_b32 v6, v16 :: v_dual_mov_b32 v7, v17
	v_dual_mov_b32 v19, v17 :: v_dual_mov_b32 v18, v16
	v_dual_mov_b32 v5, v17 :: v_dual_mov_b32 v12, v16
	v_dual_mov_b32 v13, v17 :: v_dual_mov_b32 v14, v16
	v_dual_mov_b32 v15, v17 :: v_dual_mov_b32 v10, v16
	v_dual_mov_b32 v11, v17 :: v_dual_mov_b32 v8, v16
	v_mov_b32_e32 v9, v17
	s_lshl_b32 s12, s13, 5
	s_lshl_b32 s13, s14, 5
	s_waitcnt lgkmcnt(0)
	s_cmp_lt_i32 s3, 1
	s_mov_b32 s14, 0
	s_cbranch_scc1 .LBB411_3
; %bb.1:
	s_clause 0x3
	s_load_b32 s20, s[0:1], 0x20
	s_load_b128 s[8:11], s[0:1], 0x28
	s_load_b32 s21, s[0:1], 0x38
	s_load_b64 s[18:19], s[0:1], 0x40
	v_lshl_add_u32 v2, v21, 4, v20
	v_dual_mov_b32 v1, 0 :: v_dual_and_b32 v0, 7, v20
	v_lshlrev_b32_e32 v22, 4, v20
	v_lshl_add_u32 v25, v21, 7, 0x1000
	s_delay_alu instid0(VALU_DEP_4) | instskip(SKIP_3) | instid1(VALU_DEP_4)
	v_lshrrev_b32_e32 v4, 3, v2
	v_and_b32_e32 v5, 31, v2
	v_lshlrev_b32_e32 v3, 4, v0
	v_lshrrev_b32_e32 v2, 5, v2
	v_add_nc_u32_e32 v9, s13, v4
	s_delay_alu instid0(VALU_DEP_4) | instskip(NEXT) | instid1(VALU_DEP_4)
	v_add_nc_u32_e32 v8, s12, v5
	v_lshl_or_b32 v7, v4, 7, v3
	v_dual_mov_b32 v3, v1 :: v_dual_lshlrev_b32 v6, 4, v5
	s_waitcnt lgkmcnt(0)
	s_delay_alu instid0(VALU_DEP_1) | instskip(NEXT) | instid1(VALU_DEP_2)
	v_mad_i64_i32 v[4:5], null, s20, v8, v[2:3]
	v_lshl_or_b32 v23, v2, 9, v6
	s_mul_i32 s9, s9, s15
	s_mul_hi_u32 s20, s8, s15
	v_mad_i64_i32 v[2:3], null, s21, v9, v[0:1]
	s_mul_i32 s8, s8, s15
	s_add_i32 s9, s20, s9
	s_delay_alu instid0(VALU_DEP_3)
	v_lshlrev_b64 v[0:1], 4, v[4:5]
	s_lshl_b64 s[8:9], s[8:9], 4
	v_mov_b32_e32 v8, 0
	v_mov_b32_e32 v9, 0
	s_add_u32 s16, s16, s8
	s_mul_i32 s8, s19, s15
	s_mul_hi_u32 s19, s18, s15
	s_addc_u32 s17, s17, s9
	s_add_i32 s9, s19, s8
	s_mul_i32 s8, s18, s15
	v_lshlrev_b64 v[2:3], 4, v[2:3]
	s_lshl_b64 s[8:9], s[8:9], 4
	v_add_co_u32 v0, vcc_lo, s16, v0
	s_add_u32 s8, s10, s8
	v_add_co_ci_u32_e32 v1, vcc_lo, s17, v1, vcc_lo
	s_addc_u32 s9, s11, s9
	v_add_co_u32 v2, vcc_lo, s8, v2
	v_add_co_ci_u32_e32 v3, vcc_lo, s9, v3, vcc_lo
	v_add_co_u32 v0, vcc_lo, v0, 8
	v_add_co_ci_u32_e32 v1, vcc_lo, 0, v1, vcc_lo
	s_delay_alu instid0(VALU_DEP_4)
	v_add_co_u32 v2, vcc_lo, v2, 8
	v_dual_mov_b32 v11, v9 :: v_dual_add_nc_u32 v24, 0x1000, v7
	v_add_co_ci_u32_e32 v3, vcc_lo, 0, v3, vcc_lo
	v_dual_mov_b32 v10, v8 :: v_dual_mov_b32 v15, v9
	v_dual_mov_b32 v14, v8 :: v_dual_mov_b32 v13, v9
	v_mov_b32_e32 v12, v8
	v_dual_mov_b32 v6, v8 :: v_dual_mov_b32 v7, v9
	v_dual_mov_b32 v4, v8 :: v_dual_mov_b32 v5, v9
	;; [unrolled: 1-line block ×4, first 2 shown]
.LBB411_2:                              ; =>This Inner Loop Header: Depth=1
	global_load_b128 v[26:29], v[0:1], off offset:-8
	v_add_co_u32 v0, vcc_lo, 0x80, v0
	v_add_co_ci_u32_e32 v1, vcc_lo, 0, v1, vcc_lo
	s_add_i32 s14, s14, 8
	s_delay_alu instid0(SALU_CYCLE_1)
	s_cmp_ge_i32 s14, s3
	s_waitcnt vmcnt(0)
	ds_store_b128 v23, v[26:29]
	global_load_b128 v[26:29], v[2:3], off offset:-8
	v_add_co_u32 v2, vcc_lo, 0x80, v2
	v_add_co_ci_u32_e32 v3, vcc_lo, 0, v3, vcc_lo
	s_waitcnt vmcnt(0)
	ds_store_b128 v24, v[26:29]
	s_waitcnt lgkmcnt(0)
	s_barrier
	buffer_gl0_inv
	ds_load_b128 v[26:29], v25
	ds_load_b128 v[30:33], v25 offset:16
	ds_load_b128 v[34:37], v25 offset:32
	;; [unrolled: 1-line block ×3, first 2 shown]
	ds_load_b128 v[42:45], v22
	s_waitcnt lgkmcnt(0)
	v_mul_f64 v[46:47], v[28:29], v[44:45]
	v_mul_f64 v[48:49], v[26:27], v[44:45]
	s_delay_alu instid0(VALU_DEP_2) | instskip(NEXT) | instid1(VALU_DEP_2)
	v_fma_f64 v[46:47], v[26:27], v[42:43], -v[46:47]
	v_fma_f64 v[48:49], v[28:29], v[42:43], v[48:49]
	s_delay_alu instid0(VALU_DEP_2) | instskip(NEXT) | instid1(VALU_DEP_2)
	v_add_f64 v[46:47], v[16:17], v[46:47]
	v_add_f64 v[48:49], v[18:19], v[48:49]
	ds_load_b128 v[16:19], v22 offset:256
	s_waitcnt lgkmcnt(0)
	v_mul_f64 v[50:51], v[28:29], v[18:19]
	s_delay_alu instid0(VALU_DEP_1) | instskip(SKIP_1) | instid1(VALU_DEP_1)
	v_fma_f64 v[50:51], v[26:27], v[16:17], -v[50:51]
	v_mul_f64 v[26:27], v[26:27], v[18:19]
	v_fma_f64 v[26:27], v[28:29], v[16:17], v[26:27]
	s_delay_alu instid0(VALU_DEP_3) | instskip(NEXT) | instid1(VALU_DEP_2)
	v_add_f64 v[28:29], v[4:5], v[50:51]
	v_add_f64 v[26:27], v[6:7], v[26:27]
	ds_load_b128 v[4:7], v25 offset:2048
	s_waitcnt lgkmcnt(0)
	v_mul_f64 v[50:51], v[6:7], v[44:45]
	v_mul_f64 v[44:45], v[4:5], v[44:45]
	s_delay_alu instid0(VALU_DEP_2) | instskip(NEXT) | instid1(VALU_DEP_2)
	v_fma_f64 v[50:51], v[4:5], v[42:43], -v[50:51]
	v_fma_f64 v[42:43], v[6:7], v[42:43], v[44:45]
	s_delay_alu instid0(VALU_DEP_2) | instskip(SKIP_1) | instid1(VALU_DEP_3)
	v_add_f64 v[44:45], v[12:13], v[50:51]
	v_mul_f64 v[12:13], v[6:7], v[18:19]
	v_add_f64 v[42:43], v[14:15], v[42:43]
	s_delay_alu instid0(VALU_DEP_2) | instskip(SKIP_1) | instid1(VALU_DEP_1)
	v_fma_f64 v[12:13], v[4:5], v[16:17], -v[12:13]
	v_mul_f64 v[4:5], v[4:5], v[18:19]
	v_fma_f64 v[4:5], v[6:7], v[16:17], v[4:5]
	s_delay_alu instid0(VALU_DEP_3) | instskip(NEXT) | instid1(VALU_DEP_2)
	v_add_f64 v[16:17], v[10:11], v[12:13]
	v_add_f64 v[18:19], v[8:9], v[4:5]
	ds_load_b128 v[4:7], v22 offset:512
	s_waitcnt lgkmcnt(0)
	v_mul_f64 v[8:9], v[32:33], v[6:7]
	v_mul_f64 v[10:11], v[30:31], v[6:7]
	s_delay_alu instid0(VALU_DEP_2) | instskip(NEXT) | instid1(VALU_DEP_2)
	v_fma_f64 v[8:9], v[30:31], v[4:5], -v[8:9]
	v_fma_f64 v[10:11], v[32:33], v[4:5], v[10:11]
	s_delay_alu instid0(VALU_DEP_2) | instskip(NEXT) | instid1(VALU_DEP_2)
	v_add_f64 v[46:47], v[46:47], v[8:9]
	v_add_f64 v[48:49], v[48:49], v[10:11]
	ds_load_b128 v[8:11], v22 offset:768
	s_waitcnt lgkmcnt(0)
	v_mul_f64 v[12:13], v[32:33], v[10:11]
	v_mul_f64 v[14:15], v[30:31], v[10:11]
	s_delay_alu instid0(VALU_DEP_2) | instskip(NEXT) | instid1(VALU_DEP_2)
	v_fma_f64 v[12:13], v[30:31], v[8:9], -v[12:13]
	v_fma_f64 v[14:15], v[32:33], v[8:9], v[14:15]
	s_delay_alu instid0(VALU_DEP_2) | instskip(NEXT) | instid1(VALU_DEP_2)
	v_add_f64 v[28:29], v[28:29], v[12:13]
	v_add_f64 v[26:27], v[26:27], v[14:15]
	ds_load_b128 v[12:15], v25 offset:2064
	s_waitcnt lgkmcnt(0)
	v_mul_f64 v[30:31], v[14:15], v[6:7]
	v_mul_f64 v[6:7], v[12:13], v[6:7]
	s_delay_alu instid0(VALU_DEP_2) | instskip(NEXT) | instid1(VALU_DEP_2)
	v_fma_f64 v[30:31], v[12:13], v[4:5], -v[30:31]
	v_fma_f64 v[4:5], v[14:15], v[4:5], v[6:7]
	v_mul_f64 v[6:7], v[12:13], v[10:11]
	s_delay_alu instid0(VALU_DEP_3) | instskip(NEXT) | instid1(VALU_DEP_3)
	v_add_f64 v[30:31], v[44:45], v[30:31]
	v_add_f64 v[32:33], v[42:43], v[4:5]
	v_mul_f64 v[4:5], v[14:15], v[10:11]
	s_delay_alu instid0(VALU_DEP_4) | instskip(NEXT) | instid1(VALU_DEP_2)
	v_fma_f64 v[6:7], v[14:15], v[8:9], v[6:7]
	v_fma_f64 v[4:5], v[12:13], v[8:9], -v[4:5]
	s_delay_alu instid0(VALU_DEP_2) | instskip(NEXT) | instid1(VALU_DEP_2)
	v_add_f64 v[18:19], v[18:19], v[6:7]
	v_add_f64 v[16:17], v[16:17], v[4:5]
	ds_load_b128 v[4:7], v22 offset:1024
	s_waitcnt lgkmcnt(0)
	v_mul_f64 v[8:9], v[36:37], v[6:7]
	v_mul_f64 v[10:11], v[34:35], v[6:7]
	s_delay_alu instid0(VALU_DEP_2) | instskip(NEXT) | instid1(VALU_DEP_2)
	v_fma_f64 v[8:9], v[34:35], v[4:5], -v[8:9]
	v_fma_f64 v[10:11], v[36:37], v[4:5], v[10:11]
	s_delay_alu instid0(VALU_DEP_2) | instskip(NEXT) | instid1(VALU_DEP_2)
	v_add_f64 v[42:43], v[46:47], v[8:9]
	v_add_f64 v[44:45], v[48:49], v[10:11]
	ds_load_b128 v[8:11], v22 offset:1280
	s_waitcnt lgkmcnt(0)
	v_mul_f64 v[12:13], v[36:37], v[10:11]
	v_mul_f64 v[14:15], v[34:35], v[10:11]
	s_delay_alu instid0(VALU_DEP_2) | instskip(NEXT) | instid1(VALU_DEP_2)
	v_fma_f64 v[12:13], v[34:35], v[8:9], -v[12:13]
	v_fma_f64 v[14:15], v[36:37], v[8:9], v[14:15]
	s_delay_alu instid0(VALU_DEP_2) | instskip(NEXT) | instid1(VALU_DEP_2)
	v_add_f64 v[28:29], v[28:29], v[12:13]
	v_add_f64 v[26:27], v[26:27], v[14:15]
	ds_load_b128 v[12:15], v25 offset:2080
	s_waitcnt lgkmcnt(0)
	v_mul_f64 v[34:35], v[14:15], v[6:7]
	v_mul_f64 v[6:7], v[12:13], v[6:7]
	s_delay_alu instid0(VALU_DEP_2) | instskip(NEXT) | instid1(VALU_DEP_2)
	v_fma_f64 v[34:35], v[12:13], v[4:5], -v[34:35]
	v_fma_f64 v[4:5], v[14:15], v[4:5], v[6:7]
	v_mul_f64 v[6:7], v[12:13], v[10:11]
	s_delay_alu instid0(VALU_DEP_3) | instskip(NEXT) | instid1(VALU_DEP_3)
	v_add_f64 v[30:31], v[30:31], v[34:35]
	v_add_f64 v[32:33], v[32:33], v[4:5]
	v_mul_f64 v[4:5], v[14:15], v[10:11]
	s_delay_alu instid0(VALU_DEP_4) | instskip(NEXT) | instid1(VALU_DEP_2)
	v_fma_f64 v[6:7], v[14:15], v[8:9], v[6:7]
	v_fma_f64 v[4:5], v[12:13], v[8:9], -v[4:5]
	s_delay_alu instid0(VALU_DEP_2) | instskip(NEXT) | instid1(VALU_DEP_2)
	;; [unrolled: 38-line block ×3, first 2 shown]
	v_add_f64 v[18:19], v[18:19], v[6:7]
	v_add_f64 v[16:17], v[16:17], v[4:5]
	ds_load_b128 v[4:7], v25 offset:64
	ds_load_b128 v[8:11], v22 offset:2048
	s_waitcnt lgkmcnt(0)
	v_mul_f64 v[12:13], v[6:7], v[10:11]
	v_mul_f64 v[14:15], v[4:5], v[10:11]
	s_delay_alu instid0(VALU_DEP_2) | instskip(NEXT) | instid1(VALU_DEP_2)
	v_fma_f64 v[12:13], v[4:5], v[8:9], -v[12:13]
	v_fma_f64 v[14:15], v[6:7], v[8:9], v[14:15]
	s_delay_alu instid0(VALU_DEP_2) | instskip(NEXT) | instid1(VALU_DEP_2)
	v_add_f64 v[34:35], v[34:35], v[12:13]
	v_add_f64 v[36:37], v[36:37], v[14:15]
	ds_load_b128 v[12:15], v22 offset:2304
	s_waitcnt lgkmcnt(0)
	v_mul_f64 v[38:39], v[6:7], v[14:15]
	s_delay_alu instid0(VALU_DEP_1) | instskip(SKIP_1) | instid1(VALU_DEP_2)
	v_fma_f64 v[38:39], v[4:5], v[12:13], -v[38:39]
	v_mul_f64 v[4:5], v[4:5], v[14:15]
	v_add_f64 v[28:29], v[28:29], v[38:39]
	s_delay_alu instid0(VALU_DEP_2) | instskip(NEXT) | instid1(VALU_DEP_1)
	v_fma_f64 v[4:5], v[6:7], v[12:13], v[4:5]
	v_add_f64 v[26:27], v[26:27], v[4:5]
	ds_load_b128 v[4:7], v25 offset:2112
	s_waitcnt lgkmcnt(0)
	v_mul_f64 v[38:39], v[6:7], v[10:11]
	v_mul_f64 v[10:11], v[4:5], v[10:11]
	s_delay_alu instid0(VALU_DEP_2) | instskip(NEXT) | instid1(VALU_DEP_2)
	v_fma_f64 v[38:39], v[4:5], v[8:9], -v[38:39]
	v_fma_f64 v[8:9], v[6:7], v[8:9], v[10:11]
	s_delay_alu instid0(VALU_DEP_2) | instskip(NEXT) | instid1(VALU_DEP_2)
	v_add_f64 v[30:31], v[30:31], v[38:39]
	v_add_f64 v[32:33], v[32:33], v[8:9]
	v_mul_f64 v[8:9], v[6:7], v[14:15]
	s_delay_alu instid0(VALU_DEP_1) | instskip(SKIP_1) | instid1(VALU_DEP_2)
	v_fma_f64 v[8:9], v[4:5], v[12:13], -v[8:9]
	v_mul_f64 v[4:5], v[4:5], v[14:15]
	v_add_f64 v[16:17], v[16:17], v[8:9]
	s_delay_alu instid0(VALU_DEP_2) | instskip(NEXT) | instid1(VALU_DEP_1)
	v_fma_f64 v[4:5], v[6:7], v[12:13], v[4:5]
	v_add_f64 v[18:19], v[18:19], v[4:5]
	ds_load_b128 v[4:7], v25 offset:80
	ds_load_b128 v[8:11], v22 offset:2560
	s_waitcnt lgkmcnt(0)
	v_mul_f64 v[12:13], v[6:7], v[10:11]
	v_mul_f64 v[14:15], v[4:5], v[10:11]
	s_delay_alu instid0(VALU_DEP_2) | instskip(NEXT) | instid1(VALU_DEP_2)
	v_fma_f64 v[12:13], v[4:5], v[8:9], -v[12:13]
	v_fma_f64 v[14:15], v[6:7], v[8:9], v[14:15]
	s_delay_alu instid0(VALU_DEP_2) | instskip(NEXT) | instid1(VALU_DEP_2)
	v_add_f64 v[34:35], v[34:35], v[12:13]
	v_add_f64 v[36:37], v[36:37], v[14:15]
	ds_load_b128 v[12:15], v22 offset:2816
	s_waitcnt lgkmcnt(0)
	v_mul_f64 v[38:39], v[6:7], v[14:15]
	s_delay_alu instid0(VALU_DEP_1) | instskip(SKIP_1) | instid1(VALU_DEP_2)
	v_fma_f64 v[38:39], v[4:5], v[12:13], -v[38:39]
	v_mul_f64 v[4:5], v[4:5], v[14:15]
	v_add_f64 v[28:29], v[28:29], v[38:39]
	s_delay_alu instid0(VALU_DEP_2) | instskip(NEXT) | instid1(VALU_DEP_1)
	v_fma_f64 v[4:5], v[6:7], v[12:13], v[4:5]
	v_add_f64 v[26:27], v[26:27], v[4:5]
	ds_load_b128 v[4:7], v25 offset:2128
	s_waitcnt lgkmcnt(0)
	v_mul_f64 v[38:39], v[6:7], v[10:11]
	v_mul_f64 v[10:11], v[4:5], v[10:11]
	s_delay_alu instid0(VALU_DEP_2) | instskip(NEXT) | instid1(VALU_DEP_2)
	v_fma_f64 v[38:39], v[4:5], v[8:9], -v[38:39]
	v_fma_f64 v[8:9], v[6:7], v[8:9], v[10:11]
	s_delay_alu instid0(VALU_DEP_2) | instskip(NEXT) | instid1(VALU_DEP_2)
	v_add_f64 v[30:31], v[30:31], v[38:39]
	v_add_f64 v[32:33], v[32:33], v[8:9]
	v_mul_f64 v[8:9], v[6:7], v[14:15]
	s_delay_alu instid0(VALU_DEP_1) | instskip(SKIP_1) | instid1(VALU_DEP_2)
	v_fma_f64 v[8:9], v[4:5], v[12:13], -v[8:9]
	v_mul_f64 v[4:5], v[4:5], v[14:15]
	v_add_f64 v[16:17], v[16:17], v[8:9]
	s_delay_alu instid0(VALU_DEP_2) | instskip(NEXT) | instid1(VALU_DEP_1)
	v_fma_f64 v[4:5], v[6:7], v[12:13], v[4:5]
	;; [unrolled: 39-line block ×3, first 2 shown]
	v_add_f64 v[48:49], v[18:19], v[4:5]
	ds_load_b128 v[4:7], v25 offset:112
	ds_load_b128 v[8:11], v22 offset:3584
	ds_load_b128 v[26:29], v22 offset:3840
	ds_load_b128 v[30:33], v25 offset:2160
	s_waitcnt lgkmcnt(0)
	s_barrier
	buffer_gl0_inv
	v_mul_f64 v[12:13], v[6:7], v[10:11]
	v_mul_f64 v[14:15], v[4:5], v[10:11]
	s_delay_alu instid0(VALU_DEP_2) | instskip(NEXT) | instid1(VALU_DEP_2)
	v_fma_f64 v[12:13], v[4:5], v[8:9], -v[12:13]
	v_fma_f64 v[14:15], v[6:7], v[8:9], v[14:15]
	s_delay_alu instid0(VALU_DEP_2) | instskip(SKIP_1) | instid1(VALU_DEP_3)
	v_add_f64 v[16:17], v[34:35], v[12:13]
	v_mul_f64 v[12:13], v[6:7], v[28:29]
	v_add_f64 v[18:19], v[36:37], v[14:15]
	s_delay_alu instid0(VALU_DEP_2) | instskip(SKIP_1) | instid1(VALU_DEP_1)
	v_fma_f64 v[12:13], v[4:5], v[26:27], -v[12:13]
	v_mul_f64 v[4:5], v[4:5], v[28:29]
	v_fma_f64 v[6:7], v[6:7], v[26:27], v[4:5]
	s_delay_alu instid0(VALU_DEP_3) | instskip(SKIP_2) | instid1(VALU_DEP_4)
	v_add_f64 v[4:5], v[38:39], v[12:13]
	v_mul_f64 v[12:13], v[32:33], v[10:11]
	v_mul_f64 v[10:11], v[30:31], v[10:11]
	v_add_f64 v[6:7], v[40:41], v[6:7]
	s_delay_alu instid0(VALU_DEP_3) | instskip(NEXT) | instid1(VALU_DEP_3)
	v_fma_f64 v[12:13], v[30:31], v[8:9], -v[12:13]
	v_fma_f64 v[8:9], v[32:33], v[8:9], v[10:11]
	v_mul_f64 v[10:11], v[30:31], v[28:29]
	s_delay_alu instid0(VALU_DEP_3) | instskip(NEXT) | instid1(VALU_DEP_3)
	v_add_f64 v[12:13], v[42:43], v[12:13]
	v_add_f64 v[14:15], v[44:45], v[8:9]
	v_mul_f64 v[8:9], v[32:33], v[28:29]
	s_delay_alu instid0(VALU_DEP_1) | instskip(SKIP_1) | instid1(VALU_DEP_2)
	v_fma_f64 v[8:9], v[30:31], v[26:27], -v[8:9]
	v_fma_f64 v[26:27], v[32:33], v[26:27], v[10:11]
	v_add_f64 v[10:11], v[46:47], v[8:9]
	s_delay_alu instid0(VALU_DEP_2)
	v_add_f64 v[8:9], v[48:49], v[26:27]
	s_cbranch_scc0 .LBB411_2
.LBB411_3:
	s_clause 0x2
	s_load_b32 s3, s[0:1], 0x60
	s_load_b64 s[8:9], s[0:1], 0x68
	s_load_b64 s[10:11], s[0:1], 0x58
	v_add_nc_u32_e32 v21, s13, v21
	v_add_nc_u32_e32 v0, s12, v20
	s_delay_alu instid0(VALU_DEP_1)
	v_cmp_le_i32_e64 s0, v21, v0
	v_cmp_gt_i32_e32 vcc_lo, s2, v0
	s_waitcnt lgkmcnt(0)
	v_mad_i64_i32 v[1:2], null, v21, s3, 0
	s_mul_i32 s1, s15, s9
	s_mul_hi_u32 s9, s15, s8
	s_mul_i32 s8, s15, s8
	s_add_i32 s9, s9, s1
	s_delay_alu instid0(SALU_CYCLE_1) | instskip(NEXT) | instid1(VALU_DEP_1)
	s_lshl_b64 s[8:9], s[8:9], 4
	v_lshlrev_b64 v[1:2], 4, v[1:2]
	s_add_u32 s8, s10, s8
	s_addc_u32 s9, s11, s9
	s_and_b32 s0, s0, vcc_lo
	s_delay_alu instid0(VALU_DEP_1) | instskip(NEXT) | instid1(VALU_DEP_1)
	v_add_co_u32 v20, s1, s8, v1
	v_add_co_ci_u32_e64 v22, s1, s9, v2, s1
	s_and_saveexec_b32 s10, s0
	s_cbranch_execz .LBB411_5
; %bb.4:
	v_mul_f64 v[1:2], s[4:5], v[18:19]
	v_mul_f64 v[18:19], s[6:7], v[18:19]
	v_cmp_ne_u32_e64 s0, v21, v0
	s_delay_alu instid0(VALU_DEP_3) | instskip(NEXT) | instid1(VALU_DEP_3)
	v_fma_f64 v[2:3], s[6:7], v[16:17], v[1:2]
	v_fma_f64 v[16:17], s[4:5], v[16:17], -v[18:19]
	v_ashrrev_i32_e32 v1, 31, v0
	s_delay_alu instid0(VALU_DEP_1) | instskip(NEXT) | instid1(VALU_DEP_1)
	v_lshlrev_b64 v[18:19], 4, v[0:1]
	v_add_co_u32 v23, s1, v20, v18
	s_delay_alu instid0(VALU_DEP_1)
	v_add_co_ci_u32_e64 v24, s1, v22, v19, s1
	v_cndmask_b32_e64 v19, 0, v3, s0
	v_cndmask_b32_e64 v18, 0, v2, s0
	global_store_b128 v[23:24], v[16:19], off
.LBB411_5:
	s_or_b32 exec_lo, exec_lo, s10
	v_add_nc_u32_e32 v2, 16, v0
	s_delay_alu instid0(VALU_DEP_1) | instskip(SKIP_1) | instid1(VALU_DEP_1)
	v_cmp_le_i32_e64 s1, v21, v2
	v_cmp_gt_i32_e64 s0, s2, v2
	s_and_b32 s1, s1, s0
	s_delay_alu instid0(SALU_CYCLE_1)
	s_and_saveexec_b32 s10, s1
	s_cbranch_execz .LBB411_7
; %bb.6:
	v_mul_f64 v[16:17], s[4:5], v[6:7]
	v_mul_f64 v[6:7], s[6:7], v[6:7]
	v_ashrrev_i32_e32 v3, 31, v2
	v_cmp_ne_u32_e64 s1, v21, v2
	s_delay_alu instid0(VALU_DEP_4) | instskip(NEXT) | instid1(VALU_DEP_4)
	v_fma_f64 v[16:17], s[6:7], v[4:5], v[16:17]
	v_fma_f64 v[4:5], s[4:5], v[4:5], -v[6:7]
	s_delay_alu instid0(VALU_DEP_4) | instskip(NEXT) | instid1(VALU_DEP_1)
	v_lshlrev_b64 v[6:7], 4, v[2:3]
	v_add_co_u32 v18, s2, v20, v6
	s_delay_alu instid0(VALU_DEP_1)
	v_add_co_ci_u32_e64 v19, s2, v22, v7, s2
	v_cndmask_b32_e64 v7, 0, v17, s1
	v_cndmask_b32_e64 v6, 0, v16, s1
	global_store_b128 v[18:19], v[4:7], off
.LBB411_7:
	s_or_b32 exec_lo, exec_lo, s10
	v_add_nc_u32_e32 v3, 16, v21
	s_delay_alu instid0(VALU_DEP_1) | instskip(SKIP_1) | instid1(VALU_DEP_1)
	v_mad_i64_i32 v[4:5], null, v3, s3, 0
	v_cmp_le_i32_e64 s1, v3, v0
	s_and_b32 s1, s1, vcc_lo
	s_delay_alu instid0(VALU_DEP_2) | instskip(NEXT) | instid1(VALU_DEP_1)
	v_lshlrev_b64 v[4:5], 4, v[4:5]
	v_add_co_u32 v4, s2, s8, v4
	s_delay_alu instid0(VALU_DEP_1)
	v_add_co_ci_u32_e64 v5, s2, s9, v5, s2
	s_and_saveexec_b32 s2, s1
	s_cbranch_execz .LBB411_9
; %bb.8:
	v_mul_f64 v[6:7], s[4:5], v[14:15]
	v_mul_f64 v[14:15], s[6:7], v[14:15]
	v_ashrrev_i32_e32 v1, 31, v0
	v_cmp_ne_u32_e32 vcc_lo, v3, v0
	s_delay_alu instid0(VALU_DEP_4) | instskip(NEXT) | instid1(VALU_DEP_4)
	v_fma_f64 v[6:7], s[6:7], v[12:13], v[6:7]
	v_fma_f64 v[12:13], s[4:5], v[12:13], -v[14:15]
	s_delay_alu instid0(VALU_DEP_4) | instskip(NEXT) | instid1(VALU_DEP_1)
	v_lshlrev_b64 v[14:15], 4, v[0:1]
	v_add_co_u32 v16, s1, v4, v14
	s_delay_alu instid0(VALU_DEP_1)
	v_add_co_ci_u32_e64 v17, s1, v5, v15, s1
	v_dual_cndmask_b32 v15, 0, v7 :: v_dual_cndmask_b32 v14, 0, v6
	global_store_b128 v[16:17], v[12:15], off
.LBB411_9:
	s_or_b32 exec_lo, exec_lo, s2
	v_cmp_le_i32_e32 vcc_lo, v3, v2
	s_and_b32 s0, vcc_lo, s0
	s_delay_alu instid0(SALU_CYCLE_1)
	s_and_saveexec_b32 s1, s0
	s_cbranch_execz .LBB411_11
; %bb.10:
	v_mul_f64 v[6:7], s[4:5], v[8:9]
	v_mul_f64 v[8:9], s[6:7], v[8:9]
	v_ashrrev_i32_e32 v3, 31, v2
	v_cmp_ne_u32_e32 vcc_lo, v21, v0
	s_delay_alu instid0(VALU_DEP_2) | instskip(NEXT) | instid1(VALU_DEP_1)
	v_lshlrev_b64 v[1:2], 4, v[2:3]
	v_add_co_u32 v0, s0, v4, v1
	s_delay_alu instid0(VALU_DEP_1) | instskip(SKIP_2) | instid1(VALU_DEP_2)
	v_add_co_ci_u32_e64 v1, s0, v5, v2, s0
	v_fma_f64 v[12:13], s[6:7], v[10:11], v[6:7]
	v_fma_f64 v[6:7], s[4:5], v[10:11], -v[8:9]
	v_dual_cndmask_b32 v9, 0, v13 :: v_dual_cndmask_b32 v8, 0, v12
	global_store_b128 v[0:1], v[6:9], off
.LBB411_11:
	s_nop 0
	s_sendmsg sendmsg(MSG_DEALLOC_VGPRS)
	s_endpgm
	.section	.rodata,"a",@progbits
	.p2align	6, 0x0
	.amdhsa_kernel _ZL37rocblas_syrkx_herkx_restricted_kernelIi19rocblas_complex_numIdELi16ELi32ELi8ELb1ELb1ELc84ELc76EKS1_S1_EviT_T0_PT8_S3_lS6_S3_lS4_PT9_S3_li
		.amdhsa_group_segment_fixed_size 8192
		.amdhsa_private_segment_fixed_size 0
		.amdhsa_kernarg_size 116
		.amdhsa_user_sgpr_count 13
		.amdhsa_user_sgpr_dispatch_ptr 0
		.amdhsa_user_sgpr_queue_ptr 0
		.amdhsa_user_sgpr_kernarg_segment_ptr 1
		.amdhsa_user_sgpr_dispatch_id 0
		.amdhsa_user_sgpr_private_segment_size 0
		.amdhsa_wavefront_size32 1
		.amdhsa_uses_dynamic_stack 0
		.amdhsa_enable_private_segment 0
		.amdhsa_system_sgpr_workgroup_id_x 1
		.amdhsa_system_sgpr_workgroup_id_y 1
		.amdhsa_system_sgpr_workgroup_id_z 1
		.amdhsa_system_sgpr_workgroup_info 0
		.amdhsa_system_vgpr_workitem_id 1
		.amdhsa_next_free_vgpr 52
		.amdhsa_next_free_sgpr 22
		.amdhsa_reserve_vcc 1
		.amdhsa_float_round_mode_32 0
		.amdhsa_float_round_mode_16_64 0
		.amdhsa_float_denorm_mode_32 3
		.amdhsa_float_denorm_mode_16_64 3
		.amdhsa_dx10_clamp 1
		.amdhsa_ieee_mode 1
		.amdhsa_fp16_overflow 0
		.amdhsa_workgroup_processor_mode 1
		.amdhsa_memory_ordered 1
		.amdhsa_forward_progress 0
		.amdhsa_shared_vgpr_count 0
		.amdhsa_exception_fp_ieee_invalid_op 0
		.amdhsa_exception_fp_denorm_src 0
		.amdhsa_exception_fp_ieee_div_zero 0
		.amdhsa_exception_fp_ieee_overflow 0
		.amdhsa_exception_fp_ieee_underflow 0
		.amdhsa_exception_fp_ieee_inexact 0
		.amdhsa_exception_int_div_zero 0
	.end_amdhsa_kernel
	.section	.text._ZL37rocblas_syrkx_herkx_restricted_kernelIi19rocblas_complex_numIdELi16ELi32ELi8ELb1ELb1ELc84ELc76EKS1_S1_EviT_T0_PT8_S3_lS6_S3_lS4_PT9_S3_li,"axG",@progbits,_ZL37rocblas_syrkx_herkx_restricted_kernelIi19rocblas_complex_numIdELi16ELi32ELi8ELb1ELb1ELc84ELc76EKS1_S1_EviT_T0_PT8_S3_lS6_S3_lS4_PT9_S3_li,comdat
.Lfunc_end411:
	.size	_ZL37rocblas_syrkx_herkx_restricted_kernelIi19rocblas_complex_numIdELi16ELi32ELi8ELb1ELb1ELc84ELc76EKS1_S1_EviT_T0_PT8_S3_lS6_S3_lS4_PT9_S3_li, .Lfunc_end411-_ZL37rocblas_syrkx_herkx_restricted_kernelIi19rocblas_complex_numIdELi16ELi32ELi8ELb1ELb1ELc84ELc76EKS1_S1_EviT_T0_PT8_S3_lS6_S3_lS4_PT9_S3_li
                                        ; -- End function
	.section	.AMDGPU.csdata,"",@progbits
; Kernel info:
; codeLenInByte = 3412
; NumSgprs: 24
; NumVgprs: 52
; ScratchSize: 0
; MemoryBound: 0
; FloatMode: 240
; IeeeMode: 1
; LDSByteSize: 8192 bytes/workgroup (compile time only)
; SGPRBlocks: 2
; VGPRBlocks: 6
; NumSGPRsForWavesPerEU: 24
; NumVGPRsForWavesPerEU: 52
; Occupancy: 16
; WaveLimiterHint : 0
; COMPUTE_PGM_RSRC2:SCRATCH_EN: 0
; COMPUTE_PGM_RSRC2:USER_SGPR: 13
; COMPUTE_PGM_RSRC2:TRAP_HANDLER: 0
; COMPUTE_PGM_RSRC2:TGID_X_EN: 1
; COMPUTE_PGM_RSRC2:TGID_Y_EN: 1
; COMPUTE_PGM_RSRC2:TGID_Z_EN: 1
; COMPUTE_PGM_RSRC2:TIDIG_COMP_CNT: 1
	.section	.text._ZL37rocblas_syrkx_herkx_restricted_kernelIi19rocblas_complex_numIdELi16ELi32ELi8ELb1ELb1ELc67ELc76EKS1_S1_EviT_T0_PT8_S3_lS6_S3_lS4_PT9_S3_li,"axG",@progbits,_ZL37rocblas_syrkx_herkx_restricted_kernelIi19rocblas_complex_numIdELi16ELi32ELi8ELb1ELb1ELc67ELc76EKS1_S1_EviT_T0_PT8_S3_lS6_S3_lS4_PT9_S3_li,comdat
	.globl	_ZL37rocblas_syrkx_herkx_restricted_kernelIi19rocblas_complex_numIdELi16ELi32ELi8ELb1ELb1ELc67ELc76EKS1_S1_EviT_T0_PT8_S3_lS6_S3_lS4_PT9_S3_li ; -- Begin function _ZL37rocblas_syrkx_herkx_restricted_kernelIi19rocblas_complex_numIdELi16ELi32ELi8ELb1ELb1ELc67ELc76EKS1_S1_EviT_T0_PT8_S3_lS6_S3_lS4_PT9_S3_li
	.p2align	8
	.type	_ZL37rocblas_syrkx_herkx_restricted_kernelIi19rocblas_complex_numIdELi16ELi32ELi8ELb1ELb1ELc67ELc76EKS1_S1_EviT_T0_PT8_S3_lS6_S3_lS4_PT9_S3_li,@function
_ZL37rocblas_syrkx_herkx_restricted_kernelIi19rocblas_complex_numIdELi16ELi32ELi8ELb1ELb1ELc67ELc76EKS1_S1_EviT_T0_PT8_S3_lS6_S3_lS4_PT9_S3_li: ; @_ZL37rocblas_syrkx_herkx_restricted_kernelIi19rocblas_complex_numIdELi16ELi32ELi8ELb1ELb1ELc67ELc76EKS1_S1_EviT_T0_PT8_S3_lS6_S3_lS4_PT9_S3_li
; %bb.0:
	s_clause 0x2
	s_load_b64 s[2:3], s[0:1], 0x0
	s_load_b128 s[4:7], s[0:1], 0x8
	s_load_b64 s[16:17], s[0:1], 0x18
	v_mov_b32_e32 v16, 0
	v_dual_mov_b32 v17, 0 :: v_dual_and_b32 v20, 0x3ff, v0
	v_bfe_u32 v21, v0, 10, 10
	s_delay_alu instid0(VALU_DEP_3) | instskip(NEXT) | instid1(VALU_DEP_3)
	v_mov_b32_e32 v4, v16
	v_dual_mov_b32 v6, v16 :: v_dual_mov_b32 v7, v17
	v_dual_mov_b32 v19, v17 :: v_dual_mov_b32 v18, v16
	;; [unrolled: 1-line block ×6, first 2 shown]
	v_mov_b32_e32 v9, v17
	s_lshl_b32 s12, s13, 5
	s_lshl_b32 s13, s14, 5
	s_waitcnt lgkmcnt(0)
	s_cmp_lt_i32 s3, 1
	s_mov_b32 s14, 0
	s_cbranch_scc1 .LBB412_3
; %bb.1:
	s_clause 0x3
	s_load_b32 s20, s[0:1], 0x20
	s_load_b128 s[8:11], s[0:1], 0x28
	s_load_b32 s21, s[0:1], 0x38
	s_load_b64 s[18:19], s[0:1], 0x40
	v_lshl_add_u32 v2, v21, 4, v20
	v_dual_mov_b32 v1, 0 :: v_dual_and_b32 v0, 7, v20
	v_lshlrev_b32_e32 v22, 4, v20
	v_lshl_add_u32 v25, v21, 7, 0x1000
	s_delay_alu instid0(VALU_DEP_4) | instskip(SKIP_3) | instid1(VALU_DEP_4)
	v_lshrrev_b32_e32 v4, 3, v2
	v_and_b32_e32 v5, 31, v2
	v_lshlrev_b32_e32 v3, 4, v0
	v_lshrrev_b32_e32 v2, 5, v2
	v_add_nc_u32_e32 v9, s13, v4
	s_delay_alu instid0(VALU_DEP_4) | instskip(NEXT) | instid1(VALU_DEP_4)
	v_add_nc_u32_e32 v8, s12, v5
	v_lshl_or_b32 v7, v4, 7, v3
	v_dual_mov_b32 v3, v1 :: v_dual_lshlrev_b32 v6, 4, v5
	s_waitcnt lgkmcnt(0)
	s_delay_alu instid0(VALU_DEP_1) | instskip(NEXT) | instid1(VALU_DEP_2)
	v_mad_i64_i32 v[4:5], null, s20, v8, v[2:3]
	v_lshl_or_b32 v23, v2, 9, v6
	s_mul_i32 s9, s9, s15
	s_mul_hi_u32 s20, s8, s15
	v_mad_i64_i32 v[2:3], null, s21, v9, v[0:1]
	s_mul_i32 s8, s8, s15
	s_add_i32 s9, s20, s9
	s_delay_alu instid0(VALU_DEP_3)
	v_lshlrev_b64 v[0:1], 4, v[4:5]
	s_lshl_b64 s[8:9], s[8:9], 4
	v_mov_b32_e32 v8, 0
	v_mov_b32_e32 v9, 0
	s_add_u32 s16, s16, s8
	s_mul_i32 s8, s19, s15
	s_mul_hi_u32 s19, s18, s15
	s_addc_u32 s17, s17, s9
	s_add_i32 s9, s19, s8
	s_mul_i32 s8, s18, s15
	v_lshlrev_b64 v[2:3], 4, v[2:3]
	s_lshl_b64 s[8:9], s[8:9], 4
	v_add_co_u32 v0, vcc_lo, s16, v0
	s_add_u32 s8, s10, s8
	v_add_co_ci_u32_e32 v1, vcc_lo, s17, v1, vcc_lo
	s_addc_u32 s9, s11, s9
	v_add_co_u32 v2, vcc_lo, s8, v2
	v_add_co_ci_u32_e32 v3, vcc_lo, s9, v3, vcc_lo
	v_add_co_u32 v0, vcc_lo, v0, 8
	v_add_co_ci_u32_e32 v1, vcc_lo, 0, v1, vcc_lo
	s_delay_alu instid0(VALU_DEP_4)
	v_add_co_u32 v2, vcc_lo, v2, 8
	v_dual_mov_b32 v11, v9 :: v_dual_add_nc_u32 v24, 0x1000, v7
	v_add_co_ci_u32_e32 v3, vcc_lo, 0, v3, vcc_lo
	v_dual_mov_b32 v10, v8 :: v_dual_mov_b32 v15, v9
	v_dual_mov_b32 v14, v8 :: v_dual_mov_b32 v13, v9
	v_mov_b32_e32 v12, v8
	v_dual_mov_b32 v6, v8 :: v_dual_mov_b32 v7, v9
	v_dual_mov_b32 v4, v8 :: v_dual_mov_b32 v5, v9
	;; [unrolled: 1-line block ×4, first 2 shown]
.LBB412_2:                              ; =>This Inner Loop Header: Depth=1
	global_load_b128 v[26:29], v[0:1], off offset:-8
	v_add_co_u32 v0, vcc_lo, 0x80, v0
	v_add_co_ci_u32_e32 v1, vcc_lo, 0, v1, vcc_lo
	s_add_i32 s14, s14, 8
	s_delay_alu instid0(SALU_CYCLE_1)
	s_cmp_ge_i32 s14, s3
	s_waitcnt vmcnt(0)
	v_xor_b32_e32 v29, 0x80000000, v29
	ds_store_b128 v23, v[26:29]
	global_load_b128 v[26:29], v[2:3], off offset:-8
	v_add_co_u32 v2, vcc_lo, 0x80, v2
	v_add_co_ci_u32_e32 v3, vcc_lo, 0, v3, vcc_lo
	s_waitcnt vmcnt(0)
	ds_store_b128 v24, v[26:29]
	s_waitcnt lgkmcnt(0)
	s_barrier
	buffer_gl0_inv
	ds_load_b128 v[26:29], v25
	ds_load_b128 v[30:33], v25 offset:16
	ds_load_b128 v[34:37], v25 offset:32
	;; [unrolled: 1-line block ×3, first 2 shown]
	ds_load_b128 v[42:45], v22
	s_waitcnt lgkmcnt(0)
	v_mul_f64 v[46:47], v[28:29], v[44:45]
	v_mul_f64 v[48:49], v[26:27], v[44:45]
	s_delay_alu instid0(VALU_DEP_2) | instskip(NEXT) | instid1(VALU_DEP_2)
	v_fma_f64 v[46:47], v[26:27], v[42:43], -v[46:47]
	v_fma_f64 v[48:49], v[28:29], v[42:43], v[48:49]
	s_delay_alu instid0(VALU_DEP_2) | instskip(NEXT) | instid1(VALU_DEP_2)
	v_add_f64 v[46:47], v[16:17], v[46:47]
	v_add_f64 v[48:49], v[18:19], v[48:49]
	ds_load_b128 v[16:19], v22 offset:256
	s_waitcnt lgkmcnt(0)
	v_mul_f64 v[50:51], v[28:29], v[18:19]
	s_delay_alu instid0(VALU_DEP_1) | instskip(SKIP_1) | instid1(VALU_DEP_1)
	v_fma_f64 v[50:51], v[26:27], v[16:17], -v[50:51]
	v_mul_f64 v[26:27], v[26:27], v[18:19]
	v_fma_f64 v[26:27], v[28:29], v[16:17], v[26:27]
	s_delay_alu instid0(VALU_DEP_3) | instskip(NEXT) | instid1(VALU_DEP_2)
	v_add_f64 v[28:29], v[4:5], v[50:51]
	v_add_f64 v[26:27], v[6:7], v[26:27]
	ds_load_b128 v[4:7], v25 offset:2048
	s_waitcnt lgkmcnt(0)
	v_mul_f64 v[50:51], v[6:7], v[44:45]
	v_mul_f64 v[44:45], v[4:5], v[44:45]
	s_delay_alu instid0(VALU_DEP_2) | instskip(NEXT) | instid1(VALU_DEP_2)
	v_fma_f64 v[50:51], v[4:5], v[42:43], -v[50:51]
	v_fma_f64 v[42:43], v[6:7], v[42:43], v[44:45]
	s_delay_alu instid0(VALU_DEP_2) | instskip(SKIP_1) | instid1(VALU_DEP_3)
	v_add_f64 v[44:45], v[12:13], v[50:51]
	v_mul_f64 v[12:13], v[6:7], v[18:19]
	v_add_f64 v[42:43], v[14:15], v[42:43]
	s_delay_alu instid0(VALU_DEP_2) | instskip(SKIP_1) | instid1(VALU_DEP_1)
	v_fma_f64 v[12:13], v[4:5], v[16:17], -v[12:13]
	v_mul_f64 v[4:5], v[4:5], v[18:19]
	v_fma_f64 v[4:5], v[6:7], v[16:17], v[4:5]
	s_delay_alu instid0(VALU_DEP_3) | instskip(NEXT) | instid1(VALU_DEP_2)
	v_add_f64 v[16:17], v[10:11], v[12:13]
	v_add_f64 v[18:19], v[8:9], v[4:5]
	ds_load_b128 v[4:7], v22 offset:512
	s_waitcnt lgkmcnt(0)
	v_mul_f64 v[8:9], v[32:33], v[6:7]
	v_mul_f64 v[10:11], v[30:31], v[6:7]
	s_delay_alu instid0(VALU_DEP_2) | instskip(NEXT) | instid1(VALU_DEP_2)
	v_fma_f64 v[8:9], v[30:31], v[4:5], -v[8:9]
	v_fma_f64 v[10:11], v[32:33], v[4:5], v[10:11]
	s_delay_alu instid0(VALU_DEP_2) | instskip(NEXT) | instid1(VALU_DEP_2)
	v_add_f64 v[46:47], v[46:47], v[8:9]
	v_add_f64 v[48:49], v[48:49], v[10:11]
	ds_load_b128 v[8:11], v22 offset:768
	s_waitcnt lgkmcnt(0)
	v_mul_f64 v[12:13], v[32:33], v[10:11]
	v_mul_f64 v[14:15], v[30:31], v[10:11]
	s_delay_alu instid0(VALU_DEP_2) | instskip(NEXT) | instid1(VALU_DEP_2)
	v_fma_f64 v[12:13], v[30:31], v[8:9], -v[12:13]
	v_fma_f64 v[14:15], v[32:33], v[8:9], v[14:15]
	s_delay_alu instid0(VALU_DEP_2) | instskip(NEXT) | instid1(VALU_DEP_2)
	v_add_f64 v[28:29], v[28:29], v[12:13]
	v_add_f64 v[26:27], v[26:27], v[14:15]
	ds_load_b128 v[12:15], v25 offset:2064
	s_waitcnt lgkmcnt(0)
	v_mul_f64 v[30:31], v[14:15], v[6:7]
	v_mul_f64 v[6:7], v[12:13], v[6:7]
	s_delay_alu instid0(VALU_DEP_2) | instskip(NEXT) | instid1(VALU_DEP_2)
	v_fma_f64 v[30:31], v[12:13], v[4:5], -v[30:31]
	v_fma_f64 v[4:5], v[14:15], v[4:5], v[6:7]
	v_mul_f64 v[6:7], v[12:13], v[10:11]
	s_delay_alu instid0(VALU_DEP_3) | instskip(NEXT) | instid1(VALU_DEP_3)
	v_add_f64 v[30:31], v[44:45], v[30:31]
	v_add_f64 v[32:33], v[42:43], v[4:5]
	v_mul_f64 v[4:5], v[14:15], v[10:11]
	s_delay_alu instid0(VALU_DEP_4) | instskip(NEXT) | instid1(VALU_DEP_2)
	v_fma_f64 v[6:7], v[14:15], v[8:9], v[6:7]
	v_fma_f64 v[4:5], v[12:13], v[8:9], -v[4:5]
	s_delay_alu instid0(VALU_DEP_2) | instskip(NEXT) | instid1(VALU_DEP_2)
	v_add_f64 v[18:19], v[18:19], v[6:7]
	v_add_f64 v[16:17], v[16:17], v[4:5]
	ds_load_b128 v[4:7], v22 offset:1024
	s_waitcnt lgkmcnt(0)
	v_mul_f64 v[8:9], v[36:37], v[6:7]
	v_mul_f64 v[10:11], v[34:35], v[6:7]
	s_delay_alu instid0(VALU_DEP_2) | instskip(NEXT) | instid1(VALU_DEP_2)
	v_fma_f64 v[8:9], v[34:35], v[4:5], -v[8:9]
	v_fma_f64 v[10:11], v[36:37], v[4:5], v[10:11]
	s_delay_alu instid0(VALU_DEP_2) | instskip(NEXT) | instid1(VALU_DEP_2)
	v_add_f64 v[42:43], v[46:47], v[8:9]
	v_add_f64 v[44:45], v[48:49], v[10:11]
	ds_load_b128 v[8:11], v22 offset:1280
	s_waitcnt lgkmcnt(0)
	v_mul_f64 v[12:13], v[36:37], v[10:11]
	v_mul_f64 v[14:15], v[34:35], v[10:11]
	s_delay_alu instid0(VALU_DEP_2) | instskip(NEXT) | instid1(VALU_DEP_2)
	v_fma_f64 v[12:13], v[34:35], v[8:9], -v[12:13]
	v_fma_f64 v[14:15], v[36:37], v[8:9], v[14:15]
	s_delay_alu instid0(VALU_DEP_2) | instskip(NEXT) | instid1(VALU_DEP_2)
	v_add_f64 v[28:29], v[28:29], v[12:13]
	v_add_f64 v[26:27], v[26:27], v[14:15]
	ds_load_b128 v[12:15], v25 offset:2080
	s_waitcnt lgkmcnt(0)
	v_mul_f64 v[34:35], v[14:15], v[6:7]
	v_mul_f64 v[6:7], v[12:13], v[6:7]
	s_delay_alu instid0(VALU_DEP_2) | instskip(NEXT) | instid1(VALU_DEP_2)
	v_fma_f64 v[34:35], v[12:13], v[4:5], -v[34:35]
	v_fma_f64 v[4:5], v[14:15], v[4:5], v[6:7]
	v_mul_f64 v[6:7], v[12:13], v[10:11]
	s_delay_alu instid0(VALU_DEP_3) | instskip(NEXT) | instid1(VALU_DEP_3)
	v_add_f64 v[30:31], v[30:31], v[34:35]
	v_add_f64 v[32:33], v[32:33], v[4:5]
	v_mul_f64 v[4:5], v[14:15], v[10:11]
	s_delay_alu instid0(VALU_DEP_4) | instskip(NEXT) | instid1(VALU_DEP_2)
	v_fma_f64 v[6:7], v[14:15], v[8:9], v[6:7]
	v_fma_f64 v[4:5], v[12:13], v[8:9], -v[4:5]
	s_delay_alu instid0(VALU_DEP_2) | instskip(NEXT) | instid1(VALU_DEP_2)
	;; [unrolled: 38-line block ×3, first 2 shown]
	v_add_f64 v[18:19], v[18:19], v[6:7]
	v_add_f64 v[16:17], v[16:17], v[4:5]
	ds_load_b128 v[4:7], v25 offset:64
	ds_load_b128 v[8:11], v22 offset:2048
	s_waitcnt lgkmcnt(0)
	v_mul_f64 v[12:13], v[6:7], v[10:11]
	v_mul_f64 v[14:15], v[4:5], v[10:11]
	s_delay_alu instid0(VALU_DEP_2) | instskip(NEXT) | instid1(VALU_DEP_2)
	v_fma_f64 v[12:13], v[4:5], v[8:9], -v[12:13]
	v_fma_f64 v[14:15], v[6:7], v[8:9], v[14:15]
	s_delay_alu instid0(VALU_DEP_2) | instskip(NEXT) | instid1(VALU_DEP_2)
	v_add_f64 v[34:35], v[34:35], v[12:13]
	v_add_f64 v[36:37], v[36:37], v[14:15]
	ds_load_b128 v[12:15], v22 offset:2304
	s_waitcnt lgkmcnt(0)
	v_mul_f64 v[38:39], v[6:7], v[14:15]
	s_delay_alu instid0(VALU_DEP_1) | instskip(SKIP_1) | instid1(VALU_DEP_2)
	v_fma_f64 v[38:39], v[4:5], v[12:13], -v[38:39]
	v_mul_f64 v[4:5], v[4:5], v[14:15]
	v_add_f64 v[28:29], v[28:29], v[38:39]
	s_delay_alu instid0(VALU_DEP_2) | instskip(NEXT) | instid1(VALU_DEP_1)
	v_fma_f64 v[4:5], v[6:7], v[12:13], v[4:5]
	v_add_f64 v[26:27], v[26:27], v[4:5]
	ds_load_b128 v[4:7], v25 offset:2112
	s_waitcnt lgkmcnt(0)
	v_mul_f64 v[38:39], v[6:7], v[10:11]
	v_mul_f64 v[10:11], v[4:5], v[10:11]
	s_delay_alu instid0(VALU_DEP_2) | instskip(NEXT) | instid1(VALU_DEP_2)
	v_fma_f64 v[38:39], v[4:5], v[8:9], -v[38:39]
	v_fma_f64 v[8:9], v[6:7], v[8:9], v[10:11]
	s_delay_alu instid0(VALU_DEP_2) | instskip(NEXT) | instid1(VALU_DEP_2)
	v_add_f64 v[30:31], v[30:31], v[38:39]
	v_add_f64 v[32:33], v[32:33], v[8:9]
	v_mul_f64 v[8:9], v[6:7], v[14:15]
	s_delay_alu instid0(VALU_DEP_1) | instskip(SKIP_1) | instid1(VALU_DEP_2)
	v_fma_f64 v[8:9], v[4:5], v[12:13], -v[8:9]
	v_mul_f64 v[4:5], v[4:5], v[14:15]
	v_add_f64 v[16:17], v[16:17], v[8:9]
	s_delay_alu instid0(VALU_DEP_2) | instskip(NEXT) | instid1(VALU_DEP_1)
	v_fma_f64 v[4:5], v[6:7], v[12:13], v[4:5]
	v_add_f64 v[18:19], v[18:19], v[4:5]
	ds_load_b128 v[4:7], v25 offset:80
	ds_load_b128 v[8:11], v22 offset:2560
	s_waitcnt lgkmcnt(0)
	v_mul_f64 v[12:13], v[6:7], v[10:11]
	v_mul_f64 v[14:15], v[4:5], v[10:11]
	s_delay_alu instid0(VALU_DEP_2) | instskip(NEXT) | instid1(VALU_DEP_2)
	v_fma_f64 v[12:13], v[4:5], v[8:9], -v[12:13]
	v_fma_f64 v[14:15], v[6:7], v[8:9], v[14:15]
	s_delay_alu instid0(VALU_DEP_2) | instskip(NEXT) | instid1(VALU_DEP_2)
	v_add_f64 v[34:35], v[34:35], v[12:13]
	v_add_f64 v[36:37], v[36:37], v[14:15]
	ds_load_b128 v[12:15], v22 offset:2816
	s_waitcnt lgkmcnt(0)
	v_mul_f64 v[38:39], v[6:7], v[14:15]
	s_delay_alu instid0(VALU_DEP_1) | instskip(SKIP_1) | instid1(VALU_DEP_2)
	v_fma_f64 v[38:39], v[4:5], v[12:13], -v[38:39]
	v_mul_f64 v[4:5], v[4:5], v[14:15]
	v_add_f64 v[28:29], v[28:29], v[38:39]
	s_delay_alu instid0(VALU_DEP_2) | instskip(NEXT) | instid1(VALU_DEP_1)
	v_fma_f64 v[4:5], v[6:7], v[12:13], v[4:5]
	v_add_f64 v[26:27], v[26:27], v[4:5]
	ds_load_b128 v[4:7], v25 offset:2128
	s_waitcnt lgkmcnt(0)
	v_mul_f64 v[38:39], v[6:7], v[10:11]
	v_mul_f64 v[10:11], v[4:5], v[10:11]
	s_delay_alu instid0(VALU_DEP_2) | instskip(NEXT) | instid1(VALU_DEP_2)
	v_fma_f64 v[38:39], v[4:5], v[8:9], -v[38:39]
	v_fma_f64 v[8:9], v[6:7], v[8:9], v[10:11]
	s_delay_alu instid0(VALU_DEP_2) | instskip(NEXT) | instid1(VALU_DEP_2)
	v_add_f64 v[30:31], v[30:31], v[38:39]
	v_add_f64 v[32:33], v[32:33], v[8:9]
	v_mul_f64 v[8:9], v[6:7], v[14:15]
	s_delay_alu instid0(VALU_DEP_1) | instskip(SKIP_1) | instid1(VALU_DEP_2)
	v_fma_f64 v[8:9], v[4:5], v[12:13], -v[8:9]
	v_mul_f64 v[4:5], v[4:5], v[14:15]
	v_add_f64 v[16:17], v[16:17], v[8:9]
	s_delay_alu instid0(VALU_DEP_2) | instskip(NEXT) | instid1(VALU_DEP_1)
	v_fma_f64 v[4:5], v[6:7], v[12:13], v[4:5]
	v_add_f64 v[18:19], v[18:19], v[4:5]
	ds_load_b128 v[4:7], v25 offset:96
	ds_load_b128 v[8:11], v22 offset:3072
	s_waitcnt lgkmcnt(0)
	v_mul_f64 v[12:13], v[6:7], v[10:11]
	v_mul_f64 v[14:15], v[4:5], v[10:11]
	s_delay_alu instid0(VALU_DEP_2) | instskip(NEXT) | instid1(VALU_DEP_2)
	v_fma_f64 v[12:13], v[4:5], v[8:9], -v[12:13]
	v_fma_f64 v[14:15], v[6:7], v[8:9], v[14:15]
	s_delay_alu instid0(VALU_DEP_2) | instskip(NEXT) | instid1(VALU_DEP_2)
	v_add_f64 v[34:35], v[34:35], v[12:13]
	v_add_f64 v[36:37], v[36:37], v[14:15]
	ds_load_b128 v[12:15], v22 offset:3328
	s_waitcnt lgkmcnt(0)
	v_mul_f64 v[38:39], v[6:7], v[14:15]
	s_delay_alu instid0(VALU_DEP_1) | instskip(SKIP_1) | instid1(VALU_DEP_2)
	v_fma_f64 v[38:39], v[4:5], v[12:13], -v[38:39]
	v_mul_f64 v[4:5], v[4:5], v[14:15]
	v_add_f64 v[38:39], v[28:29], v[38:39]
	s_delay_alu instid0(VALU_DEP_2) | instskip(NEXT) | instid1(VALU_DEP_1)
	v_fma_f64 v[4:5], v[6:7], v[12:13], v[4:5]
	v_add_f64 v[40:41], v[26:27], v[4:5]
	ds_load_b128 v[4:7], v25 offset:2144
	s_waitcnt lgkmcnt(0)
	v_mul_f64 v[26:27], v[6:7], v[10:11]
	v_mul_f64 v[10:11], v[4:5], v[10:11]
	s_delay_alu instid0(VALU_DEP_2) | instskip(NEXT) | instid1(VALU_DEP_2)
	v_fma_f64 v[26:27], v[4:5], v[8:9], -v[26:27]
	v_fma_f64 v[8:9], v[6:7], v[8:9], v[10:11]
	s_delay_alu instid0(VALU_DEP_2) | instskip(NEXT) | instid1(VALU_DEP_2)
	v_add_f64 v[42:43], v[30:31], v[26:27]
	v_add_f64 v[44:45], v[32:33], v[8:9]
	v_mul_f64 v[8:9], v[6:7], v[14:15]
	s_delay_alu instid0(VALU_DEP_1) | instskip(SKIP_1) | instid1(VALU_DEP_2)
	v_fma_f64 v[8:9], v[4:5], v[12:13], -v[8:9]
	v_mul_f64 v[4:5], v[4:5], v[14:15]
	v_add_f64 v[46:47], v[16:17], v[8:9]
	s_delay_alu instid0(VALU_DEP_2) | instskip(NEXT) | instid1(VALU_DEP_1)
	v_fma_f64 v[4:5], v[6:7], v[12:13], v[4:5]
	v_add_f64 v[48:49], v[18:19], v[4:5]
	ds_load_b128 v[4:7], v25 offset:112
	ds_load_b128 v[8:11], v22 offset:3584
	;; [unrolled: 1-line block ×4, first 2 shown]
	s_waitcnt lgkmcnt(0)
	s_barrier
	buffer_gl0_inv
	v_mul_f64 v[12:13], v[6:7], v[10:11]
	v_mul_f64 v[14:15], v[4:5], v[10:11]
	s_delay_alu instid0(VALU_DEP_2) | instskip(NEXT) | instid1(VALU_DEP_2)
	v_fma_f64 v[12:13], v[4:5], v[8:9], -v[12:13]
	v_fma_f64 v[14:15], v[6:7], v[8:9], v[14:15]
	s_delay_alu instid0(VALU_DEP_2) | instskip(SKIP_1) | instid1(VALU_DEP_3)
	v_add_f64 v[16:17], v[34:35], v[12:13]
	v_mul_f64 v[12:13], v[6:7], v[28:29]
	v_add_f64 v[18:19], v[36:37], v[14:15]
	s_delay_alu instid0(VALU_DEP_2) | instskip(SKIP_1) | instid1(VALU_DEP_1)
	v_fma_f64 v[12:13], v[4:5], v[26:27], -v[12:13]
	v_mul_f64 v[4:5], v[4:5], v[28:29]
	v_fma_f64 v[6:7], v[6:7], v[26:27], v[4:5]
	s_delay_alu instid0(VALU_DEP_3) | instskip(SKIP_2) | instid1(VALU_DEP_4)
	v_add_f64 v[4:5], v[38:39], v[12:13]
	v_mul_f64 v[12:13], v[32:33], v[10:11]
	v_mul_f64 v[10:11], v[30:31], v[10:11]
	v_add_f64 v[6:7], v[40:41], v[6:7]
	s_delay_alu instid0(VALU_DEP_3) | instskip(NEXT) | instid1(VALU_DEP_3)
	v_fma_f64 v[12:13], v[30:31], v[8:9], -v[12:13]
	v_fma_f64 v[8:9], v[32:33], v[8:9], v[10:11]
	v_mul_f64 v[10:11], v[30:31], v[28:29]
	s_delay_alu instid0(VALU_DEP_3) | instskip(NEXT) | instid1(VALU_DEP_3)
	v_add_f64 v[12:13], v[42:43], v[12:13]
	v_add_f64 v[14:15], v[44:45], v[8:9]
	v_mul_f64 v[8:9], v[32:33], v[28:29]
	s_delay_alu instid0(VALU_DEP_1) | instskip(SKIP_1) | instid1(VALU_DEP_2)
	v_fma_f64 v[8:9], v[30:31], v[26:27], -v[8:9]
	v_fma_f64 v[26:27], v[32:33], v[26:27], v[10:11]
	v_add_f64 v[10:11], v[46:47], v[8:9]
	s_delay_alu instid0(VALU_DEP_2)
	v_add_f64 v[8:9], v[48:49], v[26:27]
	s_cbranch_scc0 .LBB412_2
.LBB412_3:
	s_clause 0x2
	s_load_b32 s3, s[0:1], 0x60
	s_load_b64 s[8:9], s[0:1], 0x68
	s_load_b64 s[10:11], s[0:1], 0x58
	v_add_nc_u32_e32 v21, s13, v21
	v_add_nc_u32_e32 v0, s12, v20
	s_delay_alu instid0(VALU_DEP_1)
	v_cmp_le_i32_e64 s0, v21, v0
	v_cmp_gt_i32_e32 vcc_lo, s2, v0
	s_waitcnt lgkmcnt(0)
	v_mad_i64_i32 v[1:2], null, v21, s3, 0
	s_mul_i32 s1, s15, s9
	s_mul_hi_u32 s9, s15, s8
	s_mul_i32 s8, s15, s8
	s_add_i32 s9, s9, s1
	s_delay_alu instid0(SALU_CYCLE_1) | instskip(NEXT) | instid1(VALU_DEP_1)
	s_lshl_b64 s[8:9], s[8:9], 4
	v_lshlrev_b64 v[1:2], 4, v[1:2]
	s_add_u32 s8, s10, s8
	s_addc_u32 s9, s11, s9
	s_and_b32 s0, s0, vcc_lo
	s_delay_alu instid0(VALU_DEP_1) | instskip(NEXT) | instid1(VALU_DEP_1)
	v_add_co_u32 v20, s1, s8, v1
	v_add_co_ci_u32_e64 v22, s1, s9, v2, s1
	s_and_saveexec_b32 s10, s0
	s_cbranch_execz .LBB412_5
; %bb.4:
	v_mul_f64 v[1:2], s[4:5], v[18:19]
	v_mul_f64 v[18:19], s[6:7], v[18:19]
	v_cmp_ne_u32_e64 s0, v21, v0
	s_delay_alu instid0(VALU_DEP_3) | instskip(NEXT) | instid1(VALU_DEP_3)
	v_fma_f64 v[2:3], s[6:7], v[16:17], v[1:2]
	v_fma_f64 v[16:17], s[4:5], v[16:17], -v[18:19]
	v_ashrrev_i32_e32 v1, 31, v0
	s_delay_alu instid0(VALU_DEP_1) | instskip(NEXT) | instid1(VALU_DEP_1)
	v_lshlrev_b64 v[18:19], 4, v[0:1]
	v_add_co_u32 v23, s1, v20, v18
	s_delay_alu instid0(VALU_DEP_1)
	v_add_co_ci_u32_e64 v24, s1, v22, v19, s1
	v_cndmask_b32_e64 v19, 0, v3, s0
	v_cndmask_b32_e64 v18, 0, v2, s0
	global_store_b128 v[23:24], v[16:19], off
.LBB412_5:
	s_or_b32 exec_lo, exec_lo, s10
	v_add_nc_u32_e32 v2, 16, v0
	s_delay_alu instid0(VALU_DEP_1) | instskip(SKIP_1) | instid1(VALU_DEP_1)
	v_cmp_le_i32_e64 s1, v21, v2
	v_cmp_gt_i32_e64 s0, s2, v2
	s_and_b32 s1, s1, s0
	s_delay_alu instid0(SALU_CYCLE_1)
	s_and_saveexec_b32 s10, s1
	s_cbranch_execz .LBB412_7
; %bb.6:
	v_mul_f64 v[16:17], s[4:5], v[6:7]
	v_mul_f64 v[6:7], s[6:7], v[6:7]
	v_ashrrev_i32_e32 v3, 31, v2
	v_cmp_ne_u32_e64 s1, v21, v2
	s_delay_alu instid0(VALU_DEP_4) | instskip(NEXT) | instid1(VALU_DEP_4)
	v_fma_f64 v[16:17], s[6:7], v[4:5], v[16:17]
	v_fma_f64 v[4:5], s[4:5], v[4:5], -v[6:7]
	s_delay_alu instid0(VALU_DEP_4) | instskip(NEXT) | instid1(VALU_DEP_1)
	v_lshlrev_b64 v[6:7], 4, v[2:3]
	v_add_co_u32 v18, s2, v20, v6
	s_delay_alu instid0(VALU_DEP_1)
	v_add_co_ci_u32_e64 v19, s2, v22, v7, s2
	v_cndmask_b32_e64 v7, 0, v17, s1
	v_cndmask_b32_e64 v6, 0, v16, s1
	global_store_b128 v[18:19], v[4:7], off
.LBB412_7:
	s_or_b32 exec_lo, exec_lo, s10
	v_add_nc_u32_e32 v3, 16, v21
	s_delay_alu instid0(VALU_DEP_1) | instskip(SKIP_1) | instid1(VALU_DEP_1)
	v_mad_i64_i32 v[4:5], null, v3, s3, 0
	v_cmp_le_i32_e64 s1, v3, v0
	s_and_b32 s1, s1, vcc_lo
	s_delay_alu instid0(VALU_DEP_2) | instskip(NEXT) | instid1(VALU_DEP_1)
	v_lshlrev_b64 v[4:5], 4, v[4:5]
	v_add_co_u32 v4, s2, s8, v4
	s_delay_alu instid0(VALU_DEP_1)
	v_add_co_ci_u32_e64 v5, s2, s9, v5, s2
	s_and_saveexec_b32 s2, s1
	s_cbranch_execz .LBB412_9
; %bb.8:
	v_mul_f64 v[6:7], s[4:5], v[14:15]
	v_mul_f64 v[14:15], s[6:7], v[14:15]
	v_ashrrev_i32_e32 v1, 31, v0
	v_cmp_ne_u32_e32 vcc_lo, v3, v0
	s_delay_alu instid0(VALU_DEP_4) | instskip(NEXT) | instid1(VALU_DEP_4)
	v_fma_f64 v[6:7], s[6:7], v[12:13], v[6:7]
	v_fma_f64 v[12:13], s[4:5], v[12:13], -v[14:15]
	s_delay_alu instid0(VALU_DEP_4) | instskip(NEXT) | instid1(VALU_DEP_1)
	v_lshlrev_b64 v[14:15], 4, v[0:1]
	v_add_co_u32 v16, s1, v4, v14
	s_delay_alu instid0(VALU_DEP_1)
	v_add_co_ci_u32_e64 v17, s1, v5, v15, s1
	v_dual_cndmask_b32 v15, 0, v7 :: v_dual_cndmask_b32 v14, 0, v6
	global_store_b128 v[16:17], v[12:15], off
.LBB412_9:
	s_or_b32 exec_lo, exec_lo, s2
	v_cmp_le_i32_e32 vcc_lo, v3, v2
	s_and_b32 s0, vcc_lo, s0
	s_delay_alu instid0(SALU_CYCLE_1)
	s_and_saveexec_b32 s1, s0
	s_cbranch_execz .LBB412_11
; %bb.10:
	v_mul_f64 v[6:7], s[4:5], v[8:9]
	v_mul_f64 v[8:9], s[6:7], v[8:9]
	v_ashrrev_i32_e32 v3, 31, v2
	v_cmp_ne_u32_e32 vcc_lo, v21, v0
	s_delay_alu instid0(VALU_DEP_2) | instskip(NEXT) | instid1(VALU_DEP_1)
	v_lshlrev_b64 v[1:2], 4, v[2:3]
	v_add_co_u32 v0, s0, v4, v1
	s_delay_alu instid0(VALU_DEP_1) | instskip(SKIP_2) | instid1(VALU_DEP_2)
	v_add_co_ci_u32_e64 v1, s0, v5, v2, s0
	v_fma_f64 v[12:13], s[6:7], v[10:11], v[6:7]
	v_fma_f64 v[6:7], s[4:5], v[10:11], -v[8:9]
	v_dual_cndmask_b32 v9, 0, v13 :: v_dual_cndmask_b32 v8, 0, v12
	global_store_b128 v[0:1], v[6:9], off
.LBB412_11:
	s_nop 0
	s_sendmsg sendmsg(MSG_DEALLOC_VGPRS)
	s_endpgm
	.section	.rodata,"a",@progbits
	.p2align	6, 0x0
	.amdhsa_kernel _ZL37rocblas_syrkx_herkx_restricted_kernelIi19rocblas_complex_numIdELi16ELi32ELi8ELb1ELb1ELc67ELc76EKS1_S1_EviT_T0_PT8_S3_lS6_S3_lS4_PT9_S3_li
		.amdhsa_group_segment_fixed_size 8192
		.amdhsa_private_segment_fixed_size 0
		.amdhsa_kernarg_size 116
		.amdhsa_user_sgpr_count 13
		.amdhsa_user_sgpr_dispatch_ptr 0
		.amdhsa_user_sgpr_queue_ptr 0
		.amdhsa_user_sgpr_kernarg_segment_ptr 1
		.amdhsa_user_sgpr_dispatch_id 0
		.amdhsa_user_sgpr_private_segment_size 0
		.amdhsa_wavefront_size32 1
		.amdhsa_uses_dynamic_stack 0
		.amdhsa_enable_private_segment 0
		.amdhsa_system_sgpr_workgroup_id_x 1
		.amdhsa_system_sgpr_workgroup_id_y 1
		.amdhsa_system_sgpr_workgroup_id_z 1
		.amdhsa_system_sgpr_workgroup_info 0
		.amdhsa_system_vgpr_workitem_id 1
		.amdhsa_next_free_vgpr 52
		.amdhsa_next_free_sgpr 22
		.amdhsa_reserve_vcc 1
		.amdhsa_float_round_mode_32 0
		.amdhsa_float_round_mode_16_64 0
		.amdhsa_float_denorm_mode_32 3
		.amdhsa_float_denorm_mode_16_64 3
		.amdhsa_dx10_clamp 1
		.amdhsa_ieee_mode 1
		.amdhsa_fp16_overflow 0
		.amdhsa_workgroup_processor_mode 1
		.amdhsa_memory_ordered 1
		.amdhsa_forward_progress 0
		.amdhsa_shared_vgpr_count 0
		.amdhsa_exception_fp_ieee_invalid_op 0
		.amdhsa_exception_fp_denorm_src 0
		.amdhsa_exception_fp_ieee_div_zero 0
		.amdhsa_exception_fp_ieee_overflow 0
		.amdhsa_exception_fp_ieee_underflow 0
		.amdhsa_exception_fp_ieee_inexact 0
		.amdhsa_exception_int_div_zero 0
	.end_amdhsa_kernel
	.section	.text._ZL37rocblas_syrkx_herkx_restricted_kernelIi19rocblas_complex_numIdELi16ELi32ELi8ELb1ELb1ELc67ELc76EKS1_S1_EviT_T0_PT8_S3_lS6_S3_lS4_PT9_S3_li,"axG",@progbits,_ZL37rocblas_syrkx_herkx_restricted_kernelIi19rocblas_complex_numIdELi16ELi32ELi8ELb1ELb1ELc67ELc76EKS1_S1_EviT_T0_PT8_S3_lS6_S3_lS4_PT9_S3_li,comdat
.Lfunc_end412:
	.size	_ZL37rocblas_syrkx_herkx_restricted_kernelIi19rocblas_complex_numIdELi16ELi32ELi8ELb1ELb1ELc67ELc76EKS1_S1_EviT_T0_PT8_S3_lS6_S3_lS4_PT9_S3_li, .Lfunc_end412-_ZL37rocblas_syrkx_herkx_restricted_kernelIi19rocblas_complex_numIdELi16ELi32ELi8ELb1ELb1ELc67ELc76EKS1_S1_EviT_T0_PT8_S3_lS6_S3_lS4_PT9_S3_li
                                        ; -- End function
	.section	.AMDGPU.csdata,"",@progbits
; Kernel info:
; codeLenInByte = 3420
; NumSgprs: 24
; NumVgprs: 52
; ScratchSize: 0
; MemoryBound: 0
; FloatMode: 240
; IeeeMode: 1
; LDSByteSize: 8192 bytes/workgroup (compile time only)
; SGPRBlocks: 2
; VGPRBlocks: 6
; NumSGPRsForWavesPerEU: 24
; NumVGPRsForWavesPerEU: 52
; Occupancy: 16
; WaveLimiterHint : 0
; COMPUTE_PGM_RSRC2:SCRATCH_EN: 0
; COMPUTE_PGM_RSRC2:USER_SGPR: 13
; COMPUTE_PGM_RSRC2:TRAP_HANDLER: 0
; COMPUTE_PGM_RSRC2:TGID_X_EN: 1
; COMPUTE_PGM_RSRC2:TGID_Y_EN: 1
; COMPUTE_PGM_RSRC2:TGID_Z_EN: 1
; COMPUTE_PGM_RSRC2:TIDIG_COMP_CNT: 1
	.section	.text._ZL37rocblas_syrkx_herkx_restricted_kernelIi19rocblas_complex_numIdELi16ELi32ELi8ELb1ELb1ELc78ELc76EKS1_S1_EviT_T0_PT8_S3_lS6_S3_lS4_PT9_S3_li,"axG",@progbits,_ZL37rocblas_syrkx_herkx_restricted_kernelIi19rocblas_complex_numIdELi16ELi32ELi8ELb1ELb1ELc78ELc76EKS1_S1_EviT_T0_PT8_S3_lS6_S3_lS4_PT9_S3_li,comdat
	.globl	_ZL37rocblas_syrkx_herkx_restricted_kernelIi19rocblas_complex_numIdELi16ELi32ELi8ELb1ELb1ELc78ELc76EKS1_S1_EviT_T0_PT8_S3_lS6_S3_lS4_PT9_S3_li ; -- Begin function _ZL37rocblas_syrkx_herkx_restricted_kernelIi19rocblas_complex_numIdELi16ELi32ELi8ELb1ELb1ELc78ELc76EKS1_S1_EviT_T0_PT8_S3_lS6_S3_lS4_PT9_S3_li
	.p2align	8
	.type	_ZL37rocblas_syrkx_herkx_restricted_kernelIi19rocblas_complex_numIdELi16ELi32ELi8ELb1ELb1ELc78ELc76EKS1_S1_EviT_T0_PT8_S3_lS6_S3_lS4_PT9_S3_li,@function
_ZL37rocblas_syrkx_herkx_restricted_kernelIi19rocblas_complex_numIdELi16ELi32ELi8ELb1ELb1ELc78ELc76EKS1_S1_EviT_T0_PT8_S3_lS6_S3_lS4_PT9_S3_li: ; @_ZL37rocblas_syrkx_herkx_restricted_kernelIi19rocblas_complex_numIdELi16ELi32ELi8ELb1ELb1ELc78ELc76EKS1_S1_EviT_T0_PT8_S3_lS6_S3_lS4_PT9_S3_li
; %bb.0:
	s_clause 0x2
	s_load_b64 s[2:3], s[0:1], 0x0
	s_load_b128 s[4:7], s[0:1], 0x8
	s_load_b64 s[16:17], s[0:1], 0x18
	v_mov_b32_e32 v16, 0
	v_dual_mov_b32 v17, 0 :: v_dual_and_b32 v20, 0x3ff, v0
	v_bfe_u32 v21, v0, 10, 10
	s_delay_alu instid0(VALU_DEP_3) | instskip(NEXT) | instid1(VALU_DEP_3)
	v_mov_b32_e32 v4, v16
	v_dual_mov_b32 v6, v16 :: v_dual_mov_b32 v7, v17
	v_dual_mov_b32 v19, v17 :: v_dual_mov_b32 v18, v16
	;; [unrolled: 1-line block ×6, first 2 shown]
	v_mov_b32_e32 v9, v17
	s_lshl_b32 s12, s13, 5
	s_lshl_b32 s13, s14, 5
	s_waitcnt lgkmcnt(0)
	s_cmp_lt_i32 s3, 1
	s_mov_b32 s14, 0
	s_cbranch_scc1 .LBB413_3
; %bb.1:
	v_lshl_add_u32 v0, v21, 4, v20
	v_and_b32_e32 v6, 7, v20
	s_clause 0x3
	s_load_b32 s18, s[0:1], 0x20
	s_load_b32 s20, s[0:1], 0x38
	s_load_b128 s[8:11], s[0:1], 0x28
	s_load_b64 s[22:23], s[0:1], 0x40
	v_lshrrev_b32_e32 v1, 3, v0
	v_lshlrev_b32_e32 v3, 4, v6
	v_lshrrev_b32_e32 v7, 5, v0
	v_lshl_add_u32 v25, v21, 7, 0x1000
	s_delay_alu instid0(VALU_DEP_3) | instskip(NEXT) | instid1(VALU_DEP_1)
	v_lshl_or_b32 v8, v1, 7, v3
	v_dual_mov_b32 v8, 0 :: v_dual_add_nc_u32 v23, 0x1000, v8
	v_dual_mov_b32 v9, 0 :: v_dual_and_b32 v2, 31, v0
	v_add_nc_u32_e32 v0, s13, v1
	s_waitcnt lgkmcnt(0)
	s_ashr_i32 s19, s18, 31
	s_ashr_i32 s21, s20, 31
	v_mov_b32_e32 v15, v9
	v_dual_mov_b32 v11, v9 :: v_dual_lshlrev_b32 v4, 4, v2
	v_dual_mov_b32 v13, v9 :: v_dual_add_nc_u32 v2, s12, v2
	v_ashrrev_i32_e32 v1, 31, v0
	s_mul_i32 s9, s9, s15
	s_delay_alu instid0(VALU_DEP_3)
	v_lshl_or_b32 v22, v7, 9, v4
	s_mul_hi_u32 s24, s8, s15
	v_ashrrev_i32_e32 v3, 31, v2
	v_mad_i64_i32 v[4:5], null, s20, v6, v[0:1]
	s_add_i32 s9, s24, s9
	s_mul_i32 s8, s8, s15
	s_delay_alu instid0(VALU_DEP_2)
	v_mad_i64_i32 v[0:1], null, s18, v7, v[2:3]
	s_lshl_b64 s[8:9], s[8:9], 4
	v_dual_mov_b32 v14, v8 :: v_dual_mov_b32 v19, v9
	s_add_u32 s8, s16, s8
	s_addc_u32 s9, s17, s9
	s_mul_i32 s16, s23, s15
	s_delay_alu instid0(VALU_DEP_2) | instskip(SKIP_4) | instid1(VALU_DEP_4)
	v_lshlrev_b64 v[0:1], 4, v[0:1]
	s_mul_hi_u32 s17, s22, s15
	v_dual_mov_b32 v12, v8 :: v_dual_mov_b32 v17, v9
	v_mov_b32_e32 v6, v8
	v_lshlrev_b32_e32 v24, 4, v20
	v_add_co_u32 v2, vcc_lo, s8, v0
	v_add_co_ci_u32_e32 v3, vcc_lo, s9, v1, vcc_lo
	s_add_i32 s9, s17, s16
	s_mul_i32 s8, s22, s15
	v_lshlrev_b64 v[0:1], 4, v[4:5]
	s_lshl_b64 s[16:17], s[8:9], 4
	s_lshl_b64 s[8:9], s[18:19], 7
	s_add_u32 s10, s10, s16
	s_addc_u32 s11, s11, s17
	v_mov_b32_e32 v10, v8
	v_add_co_u32 v4, vcc_lo, s10, v0
	v_add_co_ci_u32_e32 v5, vcc_lo, s11, v1, vcc_lo
	v_add_co_u32 v0, vcc_lo, v2, 8
	v_add_co_ci_u32_e32 v1, vcc_lo, 0, v3, vcc_lo
	s_delay_alu instid0(VALU_DEP_4) | instskip(NEXT) | instid1(VALU_DEP_4)
	v_add_co_u32 v2, vcc_lo, v4, 8
	v_add_co_ci_u32_e32 v3, vcc_lo, 0, v5, vcc_lo
	v_dual_mov_b32 v4, v8 :: v_dual_mov_b32 v5, v9
	v_dual_mov_b32 v7, v9 :: v_dual_mov_b32 v18, v8
	v_mov_b32_e32 v16, v8
	s_lshl_b64 s[10:11], s[20:21], 7
.LBB413_2:                              ; =>This Inner Loop Header: Depth=1
	global_load_b128 v[26:29], v[0:1], off offset:-8
	v_add_co_u32 v0, vcc_lo, v0, s8
	v_add_co_ci_u32_e32 v1, vcc_lo, s9, v1, vcc_lo
	s_add_i32 s14, s14, 8
	s_delay_alu instid0(SALU_CYCLE_1)
	s_cmp_ge_i32 s14, s3
	s_waitcnt vmcnt(0)
	ds_store_b128 v22, v[26:29]
	global_load_b128 v[26:29], v[2:3], off offset:-8
	v_add_co_u32 v2, vcc_lo, v2, s10
	v_add_co_ci_u32_e32 v3, vcc_lo, s11, v3, vcc_lo
	s_waitcnt vmcnt(0)
	v_xor_b32_e32 v29, 0x80000000, v29
	ds_store_b128 v23, v[26:29]
	s_waitcnt lgkmcnt(0)
	s_barrier
	buffer_gl0_inv
	ds_load_b128 v[26:29], v25
	ds_load_b128 v[30:33], v25 offset:16
	ds_load_b128 v[34:37], v25 offset:32
	;; [unrolled: 1-line block ×3, first 2 shown]
	ds_load_b128 v[42:45], v24
	s_waitcnt lgkmcnt(0)
	v_mul_f64 v[46:47], v[28:29], v[44:45]
	v_mul_f64 v[48:49], v[26:27], v[44:45]
	s_delay_alu instid0(VALU_DEP_2) | instskip(NEXT) | instid1(VALU_DEP_2)
	v_fma_f64 v[46:47], v[26:27], v[42:43], -v[46:47]
	v_fma_f64 v[48:49], v[28:29], v[42:43], v[48:49]
	s_delay_alu instid0(VALU_DEP_2) | instskip(NEXT) | instid1(VALU_DEP_2)
	v_add_f64 v[46:47], v[16:17], v[46:47]
	v_add_f64 v[48:49], v[18:19], v[48:49]
	ds_load_b128 v[16:19], v24 offset:256
	s_waitcnt lgkmcnt(0)
	v_mul_f64 v[50:51], v[28:29], v[18:19]
	s_delay_alu instid0(VALU_DEP_1) | instskip(SKIP_1) | instid1(VALU_DEP_1)
	v_fma_f64 v[50:51], v[26:27], v[16:17], -v[50:51]
	v_mul_f64 v[26:27], v[26:27], v[18:19]
	v_fma_f64 v[26:27], v[28:29], v[16:17], v[26:27]
	s_delay_alu instid0(VALU_DEP_3) | instskip(NEXT) | instid1(VALU_DEP_2)
	v_add_f64 v[28:29], v[4:5], v[50:51]
	v_add_f64 v[26:27], v[6:7], v[26:27]
	ds_load_b128 v[4:7], v25 offset:2048
	s_waitcnt lgkmcnt(0)
	v_mul_f64 v[50:51], v[6:7], v[44:45]
	v_mul_f64 v[44:45], v[4:5], v[44:45]
	s_delay_alu instid0(VALU_DEP_2) | instskip(NEXT) | instid1(VALU_DEP_2)
	v_fma_f64 v[50:51], v[4:5], v[42:43], -v[50:51]
	v_fma_f64 v[42:43], v[6:7], v[42:43], v[44:45]
	s_delay_alu instid0(VALU_DEP_2) | instskip(SKIP_1) | instid1(VALU_DEP_3)
	v_add_f64 v[44:45], v[12:13], v[50:51]
	v_mul_f64 v[12:13], v[6:7], v[18:19]
	v_add_f64 v[42:43], v[14:15], v[42:43]
	s_delay_alu instid0(VALU_DEP_2) | instskip(SKIP_1) | instid1(VALU_DEP_1)
	v_fma_f64 v[12:13], v[4:5], v[16:17], -v[12:13]
	v_mul_f64 v[4:5], v[4:5], v[18:19]
	v_fma_f64 v[4:5], v[6:7], v[16:17], v[4:5]
	s_delay_alu instid0(VALU_DEP_3) | instskip(NEXT) | instid1(VALU_DEP_2)
	v_add_f64 v[16:17], v[10:11], v[12:13]
	v_add_f64 v[18:19], v[8:9], v[4:5]
	ds_load_b128 v[4:7], v24 offset:512
	s_waitcnt lgkmcnt(0)
	v_mul_f64 v[8:9], v[32:33], v[6:7]
	v_mul_f64 v[10:11], v[30:31], v[6:7]
	s_delay_alu instid0(VALU_DEP_2) | instskip(NEXT) | instid1(VALU_DEP_2)
	v_fma_f64 v[8:9], v[30:31], v[4:5], -v[8:9]
	v_fma_f64 v[10:11], v[32:33], v[4:5], v[10:11]
	s_delay_alu instid0(VALU_DEP_2) | instskip(NEXT) | instid1(VALU_DEP_2)
	v_add_f64 v[46:47], v[46:47], v[8:9]
	v_add_f64 v[48:49], v[48:49], v[10:11]
	ds_load_b128 v[8:11], v24 offset:768
	s_waitcnt lgkmcnt(0)
	v_mul_f64 v[12:13], v[32:33], v[10:11]
	v_mul_f64 v[14:15], v[30:31], v[10:11]
	s_delay_alu instid0(VALU_DEP_2) | instskip(NEXT) | instid1(VALU_DEP_2)
	v_fma_f64 v[12:13], v[30:31], v[8:9], -v[12:13]
	v_fma_f64 v[14:15], v[32:33], v[8:9], v[14:15]
	s_delay_alu instid0(VALU_DEP_2) | instskip(NEXT) | instid1(VALU_DEP_2)
	v_add_f64 v[28:29], v[28:29], v[12:13]
	v_add_f64 v[26:27], v[26:27], v[14:15]
	ds_load_b128 v[12:15], v25 offset:2064
	s_waitcnt lgkmcnt(0)
	v_mul_f64 v[30:31], v[14:15], v[6:7]
	v_mul_f64 v[6:7], v[12:13], v[6:7]
	s_delay_alu instid0(VALU_DEP_2) | instskip(NEXT) | instid1(VALU_DEP_2)
	v_fma_f64 v[30:31], v[12:13], v[4:5], -v[30:31]
	v_fma_f64 v[4:5], v[14:15], v[4:5], v[6:7]
	v_mul_f64 v[6:7], v[12:13], v[10:11]
	s_delay_alu instid0(VALU_DEP_3) | instskip(NEXT) | instid1(VALU_DEP_3)
	v_add_f64 v[30:31], v[44:45], v[30:31]
	v_add_f64 v[32:33], v[42:43], v[4:5]
	v_mul_f64 v[4:5], v[14:15], v[10:11]
	s_delay_alu instid0(VALU_DEP_4) | instskip(NEXT) | instid1(VALU_DEP_2)
	v_fma_f64 v[6:7], v[14:15], v[8:9], v[6:7]
	v_fma_f64 v[4:5], v[12:13], v[8:9], -v[4:5]
	s_delay_alu instid0(VALU_DEP_2) | instskip(NEXT) | instid1(VALU_DEP_2)
	v_add_f64 v[18:19], v[18:19], v[6:7]
	v_add_f64 v[16:17], v[16:17], v[4:5]
	ds_load_b128 v[4:7], v24 offset:1024
	s_waitcnt lgkmcnt(0)
	v_mul_f64 v[8:9], v[36:37], v[6:7]
	v_mul_f64 v[10:11], v[34:35], v[6:7]
	s_delay_alu instid0(VALU_DEP_2) | instskip(NEXT) | instid1(VALU_DEP_2)
	v_fma_f64 v[8:9], v[34:35], v[4:5], -v[8:9]
	v_fma_f64 v[10:11], v[36:37], v[4:5], v[10:11]
	s_delay_alu instid0(VALU_DEP_2) | instskip(NEXT) | instid1(VALU_DEP_2)
	v_add_f64 v[42:43], v[46:47], v[8:9]
	v_add_f64 v[44:45], v[48:49], v[10:11]
	ds_load_b128 v[8:11], v24 offset:1280
	s_waitcnt lgkmcnt(0)
	v_mul_f64 v[12:13], v[36:37], v[10:11]
	v_mul_f64 v[14:15], v[34:35], v[10:11]
	s_delay_alu instid0(VALU_DEP_2) | instskip(NEXT) | instid1(VALU_DEP_2)
	v_fma_f64 v[12:13], v[34:35], v[8:9], -v[12:13]
	v_fma_f64 v[14:15], v[36:37], v[8:9], v[14:15]
	s_delay_alu instid0(VALU_DEP_2) | instskip(NEXT) | instid1(VALU_DEP_2)
	v_add_f64 v[28:29], v[28:29], v[12:13]
	v_add_f64 v[26:27], v[26:27], v[14:15]
	ds_load_b128 v[12:15], v25 offset:2080
	s_waitcnt lgkmcnt(0)
	v_mul_f64 v[34:35], v[14:15], v[6:7]
	v_mul_f64 v[6:7], v[12:13], v[6:7]
	s_delay_alu instid0(VALU_DEP_2) | instskip(NEXT) | instid1(VALU_DEP_2)
	v_fma_f64 v[34:35], v[12:13], v[4:5], -v[34:35]
	v_fma_f64 v[4:5], v[14:15], v[4:5], v[6:7]
	v_mul_f64 v[6:7], v[12:13], v[10:11]
	s_delay_alu instid0(VALU_DEP_3) | instskip(NEXT) | instid1(VALU_DEP_3)
	v_add_f64 v[30:31], v[30:31], v[34:35]
	v_add_f64 v[32:33], v[32:33], v[4:5]
	v_mul_f64 v[4:5], v[14:15], v[10:11]
	s_delay_alu instid0(VALU_DEP_4) | instskip(NEXT) | instid1(VALU_DEP_2)
	v_fma_f64 v[6:7], v[14:15], v[8:9], v[6:7]
	v_fma_f64 v[4:5], v[12:13], v[8:9], -v[4:5]
	s_delay_alu instid0(VALU_DEP_2) | instskip(NEXT) | instid1(VALU_DEP_2)
	;; [unrolled: 38-line block ×3, first 2 shown]
	v_add_f64 v[18:19], v[18:19], v[6:7]
	v_add_f64 v[16:17], v[16:17], v[4:5]
	ds_load_b128 v[4:7], v25 offset:64
	ds_load_b128 v[8:11], v24 offset:2048
	s_waitcnt lgkmcnt(0)
	v_mul_f64 v[12:13], v[6:7], v[10:11]
	v_mul_f64 v[14:15], v[4:5], v[10:11]
	s_delay_alu instid0(VALU_DEP_2) | instskip(NEXT) | instid1(VALU_DEP_2)
	v_fma_f64 v[12:13], v[4:5], v[8:9], -v[12:13]
	v_fma_f64 v[14:15], v[6:7], v[8:9], v[14:15]
	s_delay_alu instid0(VALU_DEP_2) | instskip(NEXT) | instid1(VALU_DEP_2)
	v_add_f64 v[34:35], v[34:35], v[12:13]
	v_add_f64 v[36:37], v[36:37], v[14:15]
	ds_load_b128 v[12:15], v24 offset:2304
	s_waitcnt lgkmcnt(0)
	v_mul_f64 v[38:39], v[6:7], v[14:15]
	s_delay_alu instid0(VALU_DEP_1) | instskip(SKIP_1) | instid1(VALU_DEP_2)
	v_fma_f64 v[38:39], v[4:5], v[12:13], -v[38:39]
	v_mul_f64 v[4:5], v[4:5], v[14:15]
	v_add_f64 v[28:29], v[28:29], v[38:39]
	s_delay_alu instid0(VALU_DEP_2) | instskip(NEXT) | instid1(VALU_DEP_1)
	v_fma_f64 v[4:5], v[6:7], v[12:13], v[4:5]
	v_add_f64 v[26:27], v[26:27], v[4:5]
	ds_load_b128 v[4:7], v25 offset:2112
	s_waitcnt lgkmcnt(0)
	v_mul_f64 v[38:39], v[6:7], v[10:11]
	v_mul_f64 v[10:11], v[4:5], v[10:11]
	s_delay_alu instid0(VALU_DEP_2) | instskip(NEXT) | instid1(VALU_DEP_2)
	v_fma_f64 v[38:39], v[4:5], v[8:9], -v[38:39]
	v_fma_f64 v[8:9], v[6:7], v[8:9], v[10:11]
	s_delay_alu instid0(VALU_DEP_2) | instskip(NEXT) | instid1(VALU_DEP_2)
	v_add_f64 v[30:31], v[30:31], v[38:39]
	v_add_f64 v[32:33], v[32:33], v[8:9]
	v_mul_f64 v[8:9], v[6:7], v[14:15]
	s_delay_alu instid0(VALU_DEP_1) | instskip(SKIP_1) | instid1(VALU_DEP_2)
	v_fma_f64 v[8:9], v[4:5], v[12:13], -v[8:9]
	v_mul_f64 v[4:5], v[4:5], v[14:15]
	v_add_f64 v[16:17], v[16:17], v[8:9]
	s_delay_alu instid0(VALU_DEP_2) | instskip(NEXT) | instid1(VALU_DEP_1)
	v_fma_f64 v[4:5], v[6:7], v[12:13], v[4:5]
	v_add_f64 v[18:19], v[18:19], v[4:5]
	ds_load_b128 v[4:7], v25 offset:80
	ds_load_b128 v[8:11], v24 offset:2560
	s_waitcnt lgkmcnt(0)
	v_mul_f64 v[12:13], v[6:7], v[10:11]
	v_mul_f64 v[14:15], v[4:5], v[10:11]
	s_delay_alu instid0(VALU_DEP_2) | instskip(NEXT) | instid1(VALU_DEP_2)
	v_fma_f64 v[12:13], v[4:5], v[8:9], -v[12:13]
	v_fma_f64 v[14:15], v[6:7], v[8:9], v[14:15]
	s_delay_alu instid0(VALU_DEP_2) | instskip(NEXT) | instid1(VALU_DEP_2)
	v_add_f64 v[34:35], v[34:35], v[12:13]
	v_add_f64 v[36:37], v[36:37], v[14:15]
	ds_load_b128 v[12:15], v24 offset:2816
	s_waitcnt lgkmcnt(0)
	v_mul_f64 v[38:39], v[6:7], v[14:15]
	s_delay_alu instid0(VALU_DEP_1) | instskip(SKIP_1) | instid1(VALU_DEP_2)
	v_fma_f64 v[38:39], v[4:5], v[12:13], -v[38:39]
	v_mul_f64 v[4:5], v[4:5], v[14:15]
	v_add_f64 v[28:29], v[28:29], v[38:39]
	s_delay_alu instid0(VALU_DEP_2) | instskip(NEXT) | instid1(VALU_DEP_1)
	v_fma_f64 v[4:5], v[6:7], v[12:13], v[4:5]
	v_add_f64 v[26:27], v[26:27], v[4:5]
	ds_load_b128 v[4:7], v25 offset:2128
	s_waitcnt lgkmcnt(0)
	v_mul_f64 v[38:39], v[6:7], v[10:11]
	v_mul_f64 v[10:11], v[4:5], v[10:11]
	s_delay_alu instid0(VALU_DEP_2) | instskip(NEXT) | instid1(VALU_DEP_2)
	v_fma_f64 v[38:39], v[4:5], v[8:9], -v[38:39]
	v_fma_f64 v[8:9], v[6:7], v[8:9], v[10:11]
	s_delay_alu instid0(VALU_DEP_2) | instskip(NEXT) | instid1(VALU_DEP_2)
	v_add_f64 v[30:31], v[30:31], v[38:39]
	v_add_f64 v[32:33], v[32:33], v[8:9]
	v_mul_f64 v[8:9], v[6:7], v[14:15]
	s_delay_alu instid0(VALU_DEP_1) | instskip(SKIP_1) | instid1(VALU_DEP_2)
	v_fma_f64 v[8:9], v[4:5], v[12:13], -v[8:9]
	v_mul_f64 v[4:5], v[4:5], v[14:15]
	v_add_f64 v[16:17], v[16:17], v[8:9]
	s_delay_alu instid0(VALU_DEP_2) | instskip(NEXT) | instid1(VALU_DEP_1)
	v_fma_f64 v[4:5], v[6:7], v[12:13], v[4:5]
	;; [unrolled: 39-line block ×3, first 2 shown]
	v_add_f64 v[48:49], v[18:19], v[4:5]
	ds_load_b128 v[4:7], v25 offset:112
	ds_load_b128 v[8:11], v24 offset:3584
	;; [unrolled: 1-line block ×4, first 2 shown]
	s_waitcnt lgkmcnt(0)
	s_barrier
	buffer_gl0_inv
	v_mul_f64 v[12:13], v[6:7], v[10:11]
	v_mul_f64 v[14:15], v[4:5], v[10:11]
	s_delay_alu instid0(VALU_DEP_2) | instskip(NEXT) | instid1(VALU_DEP_2)
	v_fma_f64 v[12:13], v[4:5], v[8:9], -v[12:13]
	v_fma_f64 v[14:15], v[6:7], v[8:9], v[14:15]
	s_delay_alu instid0(VALU_DEP_2) | instskip(SKIP_1) | instid1(VALU_DEP_3)
	v_add_f64 v[16:17], v[34:35], v[12:13]
	v_mul_f64 v[12:13], v[6:7], v[28:29]
	v_add_f64 v[18:19], v[36:37], v[14:15]
	s_delay_alu instid0(VALU_DEP_2) | instskip(SKIP_1) | instid1(VALU_DEP_1)
	v_fma_f64 v[12:13], v[4:5], v[26:27], -v[12:13]
	v_mul_f64 v[4:5], v[4:5], v[28:29]
	v_fma_f64 v[6:7], v[6:7], v[26:27], v[4:5]
	s_delay_alu instid0(VALU_DEP_3) | instskip(SKIP_2) | instid1(VALU_DEP_4)
	v_add_f64 v[4:5], v[38:39], v[12:13]
	v_mul_f64 v[12:13], v[32:33], v[10:11]
	v_mul_f64 v[10:11], v[30:31], v[10:11]
	v_add_f64 v[6:7], v[40:41], v[6:7]
	s_delay_alu instid0(VALU_DEP_3) | instskip(NEXT) | instid1(VALU_DEP_3)
	v_fma_f64 v[12:13], v[30:31], v[8:9], -v[12:13]
	v_fma_f64 v[8:9], v[32:33], v[8:9], v[10:11]
	v_mul_f64 v[10:11], v[30:31], v[28:29]
	s_delay_alu instid0(VALU_DEP_3) | instskip(NEXT) | instid1(VALU_DEP_3)
	v_add_f64 v[12:13], v[42:43], v[12:13]
	v_add_f64 v[14:15], v[44:45], v[8:9]
	v_mul_f64 v[8:9], v[32:33], v[28:29]
	s_delay_alu instid0(VALU_DEP_1) | instskip(SKIP_1) | instid1(VALU_DEP_2)
	v_fma_f64 v[8:9], v[30:31], v[26:27], -v[8:9]
	v_fma_f64 v[26:27], v[32:33], v[26:27], v[10:11]
	v_add_f64 v[10:11], v[46:47], v[8:9]
	s_delay_alu instid0(VALU_DEP_2)
	v_add_f64 v[8:9], v[48:49], v[26:27]
	s_cbranch_scc0 .LBB413_2
.LBB413_3:
	s_clause 0x2
	s_load_b32 s3, s[0:1], 0x60
	s_load_b64 s[8:9], s[0:1], 0x68
	s_load_b64 s[10:11], s[0:1], 0x58
	v_add_nc_u32_e32 v21, s13, v21
	v_add_nc_u32_e32 v0, s12, v20
	s_delay_alu instid0(VALU_DEP_1)
	v_cmp_le_i32_e64 s0, v21, v0
	v_cmp_gt_i32_e32 vcc_lo, s2, v0
	s_waitcnt lgkmcnt(0)
	v_mad_i64_i32 v[1:2], null, v21, s3, 0
	s_mul_i32 s1, s15, s9
	s_mul_hi_u32 s9, s15, s8
	s_mul_i32 s8, s15, s8
	s_add_i32 s9, s9, s1
	s_delay_alu instid0(SALU_CYCLE_1) | instskip(NEXT) | instid1(VALU_DEP_1)
	s_lshl_b64 s[8:9], s[8:9], 4
	v_lshlrev_b64 v[1:2], 4, v[1:2]
	s_add_u32 s8, s10, s8
	s_addc_u32 s9, s11, s9
	s_and_b32 s0, s0, vcc_lo
	s_delay_alu instid0(VALU_DEP_1) | instskip(NEXT) | instid1(VALU_DEP_1)
	v_add_co_u32 v20, s1, s8, v1
	v_add_co_ci_u32_e64 v22, s1, s9, v2, s1
	s_and_saveexec_b32 s10, s0
	s_cbranch_execz .LBB413_5
; %bb.4:
	v_mul_f64 v[1:2], s[4:5], v[18:19]
	v_mul_f64 v[18:19], s[6:7], v[18:19]
	v_cmp_ne_u32_e64 s0, v21, v0
	s_delay_alu instid0(VALU_DEP_3) | instskip(NEXT) | instid1(VALU_DEP_3)
	v_fma_f64 v[2:3], s[6:7], v[16:17], v[1:2]
	v_fma_f64 v[16:17], s[4:5], v[16:17], -v[18:19]
	v_ashrrev_i32_e32 v1, 31, v0
	s_delay_alu instid0(VALU_DEP_1) | instskip(NEXT) | instid1(VALU_DEP_1)
	v_lshlrev_b64 v[18:19], 4, v[0:1]
	v_add_co_u32 v23, s1, v20, v18
	s_delay_alu instid0(VALU_DEP_1)
	v_add_co_ci_u32_e64 v24, s1, v22, v19, s1
	v_cndmask_b32_e64 v19, 0, v3, s0
	v_cndmask_b32_e64 v18, 0, v2, s0
	global_store_b128 v[23:24], v[16:19], off
.LBB413_5:
	s_or_b32 exec_lo, exec_lo, s10
	v_add_nc_u32_e32 v2, 16, v0
	s_delay_alu instid0(VALU_DEP_1) | instskip(SKIP_1) | instid1(VALU_DEP_1)
	v_cmp_le_i32_e64 s1, v21, v2
	v_cmp_gt_i32_e64 s0, s2, v2
	s_and_b32 s1, s1, s0
	s_delay_alu instid0(SALU_CYCLE_1)
	s_and_saveexec_b32 s10, s1
	s_cbranch_execz .LBB413_7
; %bb.6:
	v_mul_f64 v[16:17], s[4:5], v[6:7]
	v_mul_f64 v[6:7], s[6:7], v[6:7]
	v_ashrrev_i32_e32 v3, 31, v2
	v_cmp_ne_u32_e64 s1, v21, v2
	s_delay_alu instid0(VALU_DEP_4) | instskip(NEXT) | instid1(VALU_DEP_4)
	v_fma_f64 v[16:17], s[6:7], v[4:5], v[16:17]
	v_fma_f64 v[4:5], s[4:5], v[4:5], -v[6:7]
	s_delay_alu instid0(VALU_DEP_4) | instskip(NEXT) | instid1(VALU_DEP_1)
	v_lshlrev_b64 v[6:7], 4, v[2:3]
	v_add_co_u32 v18, s2, v20, v6
	s_delay_alu instid0(VALU_DEP_1)
	v_add_co_ci_u32_e64 v19, s2, v22, v7, s2
	v_cndmask_b32_e64 v7, 0, v17, s1
	v_cndmask_b32_e64 v6, 0, v16, s1
	global_store_b128 v[18:19], v[4:7], off
.LBB413_7:
	s_or_b32 exec_lo, exec_lo, s10
	v_add_nc_u32_e32 v3, 16, v21
	s_delay_alu instid0(VALU_DEP_1) | instskip(SKIP_1) | instid1(VALU_DEP_1)
	v_mad_i64_i32 v[4:5], null, v3, s3, 0
	v_cmp_le_i32_e64 s1, v3, v0
	s_and_b32 s1, s1, vcc_lo
	s_delay_alu instid0(VALU_DEP_2) | instskip(NEXT) | instid1(VALU_DEP_1)
	v_lshlrev_b64 v[4:5], 4, v[4:5]
	v_add_co_u32 v4, s2, s8, v4
	s_delay_alu instid0(VALU_DEP_1)
	v_add_co_ci_u32_e64 v5, s2, s9, v5, s2
	s_and_saveexec_b32 s2, s1
	s_cbranch_execz .LBB413_9
; %bb.8:
	v_mul_f64 v[6:7], s[4:5], v[14:15]
	v_mul_f64 v[14:15], s[6:7], v[14:15]
	v_ashrrev_i32_e32 v1, 31, v0
	v_cmp_ne_u32_e32 vcc_lo, v3, v0
	s_delay_alu instid0(VALU_DEP_4) | instskip(NEXT) | instid1(VALU_DEP_4)
	v_fma_f64 v[6:7], s[6:7], v[12:13], v[6:7]
	v_fma_f64 v[12:13], s[4:5], v[12:13], -v[14:15]
	s_delay_alu instid0(VALU_DEP_4) | instskip(NEXT) | instid1(VALU_DEP_1)
	v_lshlrev_b64 v[14:15], 4, v[0:1]
	v_add_co_u32 v16, s1, v4, v14
	s_delay_alu instid0(VALU_DEP_1)
	v_add_co_ci_u32_e64 v17, s1, v5, v15, s1
	v_dual_cndmask_b32 v15, 0, v7 :: v_dual_cndmask_b32 v14, 0, v6
	global_store_b128 v[16:17], v[12:15], off
.LBB413_9:
	s_or_b32 exec_lo, exec_lo, s2
	v_cmp_le_i32_e32 vcc_lo, v3, v2
	s_and_b32 s0, vcc_lo, s0
	s_delay_alu instid0(SALU_CYCLE_1)
	s_and_saveexec_b32 s1, s0
	s_cbranch_execz .LBB413_11
; %bb.10:
	v_mul_f64 v[6:7], s[4:5], v[8:9]
	v_mul_f64 v[8:9], s[6:7], v[8:9]
	v_ashrrev_i32_e32 v3, 31, v2
	v_cmp_ne_u32_e32 vcc_lo, v21, v0
	s_delay_alu instid0(VALU_DEP_2) | instskip(NEXT) | instid1(VALU_DEP_1)
	v_lshlrev_b64 v[1:2], 4, v[2:3]
	v_add_co_u32 v0, s0, v4, v1
	s_delay_alu instid0(VALU_DEP_1) | instskip(SKIP_2) | instid1(VALU_DEP_2)
	v_add_co_ci_u32_e64 v1, s0, v5, v2, s0
	v_fma_f64 v[12:13], s[6:7], v[10:11], v[6:7]
	v_fma_f64 v[6:7], s[4:5], v[10:11], -v[8:9]
	v_dual_cndmask_b32 v9, 0, v13 :: v_dual_cndmask_b32 v8, 0, v12
	global_store_b128 v[0:1], v[6:9], off
.LBB413_11:
	s_nop 0
	s_sendmsg sendmsg(MSG_DEALLOC_VGPRS)
	s_endpgm
	.section	.rodata,"a",@progbits
	.p2align	6, 0x0
	.amdhsa_kernel _ZL37rocblas_syrkx_herkx_restricted_kernelIi19rocblas_complex_numIdELi16ELi32ELi8ELb1ELb1ELc78ELc76EKS1_S1_EviT_T0_PT8_S3_lS6_S3_lS4_PT9_S3_li
		.amdhsa_group_segment_fixed_size 8192
		.amdhsa_private_segment_fixed_size 0
		.amdhsa_kernarg_size 116
		.amdhsa_user_sgpr_count 13
		.amdhsa_user_sgpr_dispatch_ptr 0
		.amdhsa_user_sgpr_queue_ptr 0
		.amdhsa_user_sgpr_kernarg_segment_ptr 1
		.amdhsa_user_sgpr_dispatch_id 0
		.amdhsa_user_sgpr_private_segment_size 0
		.amdhsa_wavefront_size32 1
		.amdhsa_uses_dynamic_stack 0
		.amdhsa_enable_private_segment 0
		.amdhsa_system_sgpr_workgroup_id_x 1
		.amdhsa_system_sgpr_workgroup_id_y 1
		.amdhsa_system_sgpr_workgroup_id_z 1
		.amdhsa_system_sgpr_workgroup_info 0
		.amdhsa_system_vgpr_workitem_id 1
		.amdhsa_next_free_vgpr 52
		.amdhsa_next_free_sgpr 25
		.amdhsa_reserve_vcc 1
		.amdhsa_float_round_mode_32 0
		.amdhsa_float_round_mode_16_64 0
		.amdhsa_float_denorm_mode_32 3
		.amdhsa_float_denorm_mode_16_64 3
		.amdhsa_dx10_clamp 1
		.amdhsa_ieee_mode 1
		.amdhsa_fp16_overflow 0
		.amdhsa_workgroup_processor_mode 1
		.amdhsa_memory_ordered 1
		.amdhsa_forward_progress 0
		.amdhsa_shared_vgpr_count 0
		.amdhsa_exception_fp_ieee_invalid_op 0
		.amdhsa_exception_fp_denorm_src 0
		.amdhsa_exception_fp_ieee_div_zero 0
		.amdhsa_exception_fp_ieee_overflow 0
		.amdhsa_exception_fp_ieee_underflow 0
		.amdhsa_exception_fp_ieee_inexact 0
		.amdhsa_exception_int_div_zero 0
	.end_amdhsa_kernel
	.section	.text._ZL37rocblas_syrkx_herkx_restricted_kernelIi19rocblas_complex_numIdELi16ELi32ELi8ELb1ELb1ELc78ELc76EKS1_S1_EviT_T0_PT8_S3_lS6_S3_lS4_PT9_S3_li,"axG",@progbits,_ZL37rocblas_syrkx_herkx_restricted_kernelIi19rocblas_complex_numIdELi16ELi32ELi8ELb1ELb1ELc78ELc76EKS1_S1_EviT_T0_PT8_S3_lS6_S3_lS4_PT9_S3_li,comdat
.Lfunc_end413:
	.size	_ZL37rocblas_syrkx_herkx_restricted_kernelIi19rocblas_complex_numIdELi16ELi32ELi8ELb1ELb1ELc78ELc76EKS1_S1_EviT_T0_PT8_S3_lS6_S3_lS4_PT9_S3_li, .Lfunc_end413-_ZL37rocblas_syrkx_herkx_restricted_kernelIi19rocblas_complex_numIdELi16ELi32ELi8ELb1ELb1ELc78ELc76EKS1_S1_EviT_T0_PT8_S3_lS6_S3_lS4_PT9_S3_li
                                        ; -- End function
	.section	.AMDGPU.csdata,"",@progbits
; Kernel info:
; codeLenInByte = 3428
; NumSgprs: 27
; NumVgprs: 52
; ScratchSize: 0
; MemoryBound: 0
; FloatMode: 240
; IeeeMode: 1
; LDSByteSize: 8192 bytes/workgroup (compile time only)
; SGPRBlocks: 3
; VGPRBlocks: 6
; NumSGPRsForWavesPerEU: 27
; NumVGPRsForWavesPerEU: 52
; Occupancy: 16
; WaveLimiterHint : 0
; COMPUTE_PGM_RSRC2:SCRATCH_EN: 0
; COMPUTE_PGM_RSRC2:USER_SGPR: 13
; COMPUTE_PGM_RSRC2:TRAP_HANDLER: 0
; COMPUTE_PGM_RSRC2:TGID_X_EN: 1
; COMPUTE_PGM_RSRC2:TGID_Y_EN: 1
; COMPUTE_PGM_RSRC2:TGID_Z_EN: 1
; COMPUTE_PGM_RSRC2:TIDIG_COMP_CNT: 1
	.section	.text._ZL37rocblas_syrkx_herkx_restricted_kernelIi19rocblas_complex_numIdELi16ELi32ELi8ELb1ELb1ELc84ELc85EKS1_S1_EviT_T0_PT8_S3_lS6_S3_lS4_PT9_S3_li,"axG",@progbits,_ZL37rocblas_syrkx_herkx_restricted_kernelIi19rocblas_complex_numIdELi16ELi32ELi8ELb1ELb1ELc84ELc85EKS1_S1_EviT_T0_PT8_S3_lS6_S3_lS4_PT9_S3_li,comdat
	.globl	_ZL37rocblas_syrkx_herkx_restricted_kernelIi19rocblas_complex_numIdELi16ELi32ELi8ELb1ELb1ELc84ELc85EKS1_S1_EviT_T0_PT8_S3_lS6_S3_lS4_PT9_S3_li ; -- Begin function _ZL37rocblas_syrkx_herkx_restricted_kernelIi19rocblas_complex_numIdELi16ELi32ELi8ELb1ELb1ELc84ELc85EKS1_S1_EviT_T0_PT8_S3_lS6_S3_lS4_PT9_S3_li
	.p2align	8
	.type	_ZL37rocblas_syrkx_herkx_restricted_kernelIi19rocblas_complex_numIdELi16ELi32ELi8ELb1ELb1ELc84ELc85EKS1_S1_EviT_T0_PT8_S3_lS6_S3_lS4_PT9_S3_li,@function
_ZL37rocblas_syrkx_herkx_restricted_kernelIi19rocblas_complex_numIdELi16ELi32ELi8ELb1ELb1ELc84ELc85EKS1_S1_EviT_T0_PT8_S3_lS6_S3_lS4_PT9_S3_li: ; @_ZL37rocblas_syrkx_herkx_restricted_kernelIi19rocblas_complex_numIdELi16ELi32ELi8ELb1ELb1ELc84ELc85EKS1_S1_EviT_T0_PT8_S3_lS6_S3_lS4_PT9_S3_li
; %bb.0:
	s_clause 0x2
	s_load_b64 s[2:3], s[0:1], 0x0
	s_load_b128 s[4:7], s[0:1], 0x8
	s_load_b64 s[16:17], s[0:1], 0x18
	v_mov_b32_e32 v16, 0
	v_dual_mov_b32 v17, 0 :: v_dual_and_b32 v20, 0x3ff, v0
	v_bfe_u32 v21, v0, 10, 10
	s_delay_alu instid0(VALU_DEP_3) | instskip(NEXT) | instid1(VALU_DEP_3)
	v_mov_b32_e32 v4, v16
	v_dual_mov_b32 v6, v16 :: v_dual_mov_b32 v7, v17
	v_dual_mov_b32 v19, v17 :: v_dual_mov_b32 v18, v16
	;; [unrolled: 1-line block ×6, first 2 shown]
	v_mov_b32_e32 v9, v17
	s_lshl_b32 s12, s13, 5
	s_lshl_b32 s13, s14, 5
	s_waitcnt lgkmcnt(0)
	s_cmp_lt_i32 s3, 1
	s_mov_b32 s14, 0
	s_cbranch_scc1 .LBB414_3
; %bb.1:
	s_clause 0x3
	s_load_b32 s20, s[0:1], 0x20
	s_load_b128 s[8:11], s[0:1], 0x28
	s_load_b32 s21, s[0:1], 0x38
	s_load_b64 s[18:19], s[0:1], 0x40
	v_lshl_add_u32 v2, v21, 4, v20
	v_dual_mov_b32 v1, 0 :: v_dual_and_b32 v0, 7, v20
	v_lshlrev_b32_e32 v22, 4, v20
	v_lshl_add_u32 v25, v21, 7, 0x1000
	s_delay_alu instid0(VALU_DEP_4) | instskip(SKIP_3) | instid1(VALU_DEP_4)
	v_lshrrev_b32_e32 v4, 3, v2
	v_and_b32_e32 v5, 31, v2
	v_lshlrev_b32_e32 v3, 4, v0
	v_lshrrev_b32_e32 v2, 5, v2
	v_add_nc_u32_e32 v9, s13, v4
	s_delay_alu instid0(VALU_DEP_4) | instskip(NEXT) | instid1(VALU_DEP_4)
	v_add_nc_u32_e32 v8, s12, v5
	v_lshl_or_b32 v7, v4, 7, v3
	v_dual_mov_b32 v3, v1 :: v_dual_lshlrev_b32 v6, 4, v5
	s_waitcnt lgkmcnt(0)
	s_delay_alu instid0(VALU_DEP_1) | instskip(NEXT) | instid1(VALU_DEP_2)
	v_mad_i64_i32 v[4:5], null, s20, v8, v[2:3]
	v_lshl_or_b32 v23, v2, 9, v6
	s_mul_i32 s9, s9, s15
	s_mul_hi_u32 s20, s8, s15
	v_mad_i64_i32 v[2:3], null, s21, v9, v[0:1]
	s_mul_i32 s8, s8, s15
	s_add_i32 s9, s20, s9
	s_delay_alu instid0(VALU_DEP_3)
	v_lshlrev_b64 v[0:1], 4, v[4:5]
	s_lshl_b64 s[8:9], s[8:9], 4
	v_mov_b32_e32 v8, 0
	v_mov_b32_e32 v9, 0
	s_add_u32 s16, s16, s8
	s_mul_i32 s8, s19, s15
	s_mul_hi_u32 s19, s18, s15
	s_addc_u32 s17, s17, s9
	s_add_i32 s9, s19, s8
	s_mul_i32 s8, s18, s15
	v_lshlrev_b64 v[2:3], 4, v[2:3]
	s_lshl_b64 s[8:9], s[8:9], 4
	v_add_co_u32 v0, vcc_lo, s16, v0
	s_add_u32 s8, s10, s8
	v_add_co_ci_u32_e32 v1, vcc_lo, s17, v1, vcc_lo
	s_addc_u32 s9, s11, s9
	v_add_co_u32 v2, vcc_lo, s8, v2
	v_add_co_ci_u32_e32 v3, vcc_lo, s9, v3, vcc_lo
	v_add_co_u32 v0, vcc_lo, v0, 8
	v_add_co_ci_u32_e32 v1, vcc_lo, 0, v1, vcc_lo
	s_delay_alu instid0(VALU_DEP_4)
	v_add_co_u32 v2, vcc_lo, v2, 8
	v_dual_mov_b32 v11, v9 :: v_dual_add_nc_u32 v24, 0x1000, v7
	v_add_co_ci_u32_e32 v3, vcc_lo, 0, v3, vcc_lo
	v_dual_mov_b32 v10, v8 :: v_dual_mov_b32 v15, v9
	v_dual_mov_b32 v14, v8 :: v_dual_mov_b32 v13, v9
	v_mov_b32_e32 v12, v8
	v_dual_mov_b32 v6, v8 :: v_dual_mov_b32 v7, v9
	v_dual_mov_b32 v4, v8 :: v_dual_mov_b32 v5, v9
	;; [unrolled: 1-line block ×4, first 2 shown]
.LBB414_2:                              ; =>This Inner Loop Header: Depth=1
	global_load_b128 v[26:29], v[0:1], off offset:-8
	v_add_co_u32 v0, vcc_lo, 0x80, v0
	v_add_co_ci_u32_e32 v1, vcc_lo, 0, v1, vcc_lo
	s_add_i32 s14, s14, 8
	s_delay_alu instid0(SALU_CYCLE_1)
	s_cmp_ge_i32 s14, s3
	s_waitcnt vmcnt(0)
	ds_store_b128 v23, v[26:29]
	global_load_b128 v[26:29], v[2:3], off offset:-8
	v_add_co_u32 v2, vcc_lo, 0x80, v2
	v_add_co_ci_u32_e32 v3, vcc_lo, 0, v3, vcc_lo
	s_waitcnt vmcnt(0)
	ds_store_b128 v24, v[26:29]
	s_waitcnt lgkmcnt(0)
	s_barrier
	buffer_gl0_inv
	ds_load_b128 v[26:29], v25
	ds_load_b128 v[30:33], v25 offset:16
	ds_load_b128 v[34:37], v25 offset:32
	;; [unrolled: 1-line block ×3, first 2 shown]
	ds_load_b128 v[42:45], v22
	s_waitcnt lgkmcnt(0)
	v_mul_f64 v[46:47], v[28:29], v[44:45]
	v_mul_f64 v[48:49], v[26:27], v[44:45]
	s_delay_alu instid0(VALU_DEP_2) | instskip(NEXT) | instid1(VALU_DEP_2)
	v_fma_f64 v[46:47], v[26:27], v[42:43], -v[46:47]
	v_fma_f64 v[48:49], v[28:29], v[42:43], v[48:49]
	s_delay_alu instid0(VALU_DEP_2) | instskip(NEXT) | instid1(VALU_DEP_2)
	v_add_f64 v[46:47], v[16:17], v[46:47]
	v_add_f64 v[48:49], v[18:19], v[48:49]
	ds_load_b128 v[16:19], v22 offset:256
	s_waitcnt lgkmcnt(0)
	v_mul_f64 v[50:51], v[28:29], v[18:19]
	s_delay_alu instid0(VALU_DEP_1) | instskip(SKIP_1) | instid1(VALU_DEP_1)
	v_fma_f64 v[50:51], v[26:27], v[16:17], -v[50:51]
	v_mul_f64 v[26:27], v[26:27], v[18:19]
	v_fma_f64 v[26:27], v[28:29], v[16:17], v[26:27]
	s_delay_alu instid0(VALU_DEP_3) | instskip(NEXT) | instid1(VALU_DEP_2)
	v_add_f64 v[28:29], v[4:5], v[50:51]
	v_add_f64 v[26:27], v[6:7], v[26:27]
	ds_load_b128 v[4:7], v25 offset:2048
	s_waitcnt lgkmcnt(0)
	v_mul_f64 v[50:51], v[6:7], v[44:45]
	v_mul_f64 v[44:45], v[4:5], v[44:45]
	s_delay_alu instid0(VALU_DEP_2) | instskip(NEXT) | instid1(VALU_DEP_2)
	v_fma_f64 v[50:51], v[4:5], v[42:43], -v[50:51]
	v_fma_f64 v[42:43], v[6:7], v[42:43], v[44:45]
	s_delay_alu instid0(VALU_DEP_2) | instskip(SKIP_1) | instid1(VALU_DEP_3)
	v_add_f64 v[44:45], v[12:13], v[50:51]
	v_mul_f64 v[12:13], v[6:7], v[18:19]
	v_add_f64 v[42:43], v[14:15], v[42:43]
	s_delay_alu instid0(VALU_DEP_2) | instskip(SKIP_1) | instid1(VALU_DEP_1)
	v_fma_f64 v[12:13], v[4:5], v[16:17], -v[12:13]
	v_mul_f64 v[4:5], v[4:5], v[18:19]
	v_fma_f64 v[4:5], v[6:7], v[16:17], v[4:5]
	s_delay_alu instid0(VALU_DEP_3) | instskip(NEXT) | instid1(VALU_DEP_2)
	v_add_f64 v[16:17], v[10:11], v[12:13]
	v_add_f64 v[18:19], v[8:9], v[4:5]
	ds_load_b128 v[4:7], v22 offset:512
	s_waitcnt lgkmcnt(0)
	v_mul_f64 v[8:9], v[32:33], v[6:7]
	v_mul_f64 v[10:11], v[30:31], v[6:7]
	s_delay_alu instid0(VALU_DEP_2) | instskip(NEXT) | instid1(VALU_DEP_2)
	v_fma_f64 v[8:9], v[30:31], v[4:5], -v[8:9]
	v_fma_f64 v[10:11], v[32:33], v[4:5], v[10:11]
	s_delay_alu instid0(VALU_DEP_2) | instskip(NEXT) | instid1(VALU_DEP_2)
	v_add_f64 v[46:47], v[46:47], v[8:9]
	v_add_f64 v[48:49], v[48:49], v[10:11]
	ds_load_b128 v[8:11], v22 offset:768
	s_waitcnt lgkmcnt(0)
	v_mul_f64 v[12:13], v[32:33], v[10:11]
	v_mul_f64 v[14:15], v[30:31], v[10:11]
	s_delay_alu instid0(VALU_DEP_2) | instskip(NEXT) | instid1(VALU_DEP_2)
	v_fma_f64 v[12:13], v[30:31], v[8:9], -v[12:13]
	v_fma_f64 v[14:15], v[32:33], v[8:9], v[14:15]
	s_delay_alu instid0(VALU_DEP_2) | instskip(NEXT) | instid1(VALU_DEP_2)
	v_add_f64 v[28:29], v[28:29], v[12:13]
	v_add_f64 v[26:27], v[26:27], v[14:15]
	ds_load_b128 v[12:15], v25 offset:2064
	s_waitcnt lgkmcnt(0)
	v_mul_f64 v[30:31], v[14:15], v[6:7]
	v_mul_f64 v[6:7], v[12:13], v[6:7]
	s_delay_alu instid0(VALU_DEP_2) | instskip(NEXT) | instid1(VALU_DEP_2)
	v_fma_f64 v[30:31], v[12:13], v[4:5], -v[30:31]
	v_fma_f64 v[4:5], v[14:15], v[4:5], v[6:7]
	v_mul_f64 v[6:7], v[12:13], v[10:11]
	s_delay_alu instid0(VALU_DEP_3) | instskip(NEXT) | instid1(VALU_DEP_3)
	v_add_f64 v[30:31], v[44:45], v[30:31]
	v_add_f64 v[32:33], v[42:43], v[4:5]
	v_mul_f64 v[4:5], v[14:15], v[10:11]
	s_delay_alu instid0(VALU_DEP_4) | instskip(NEXT) | instid1(VALU_DEP_2)
	v_fma_f64 v[6:7], v[14:15], v[8:9], v[6:7]
	v_fma_f64 v[4:5], v[12:13], v[8:9], -v[4:5]
	s_delay_alu instid0(VALU_DEP_2) | instskip(NEXT) | instid1(VALU_DEP_2)
	v_add_f64 v[18:19], v[18:19], v[6:7]
	v_add_f64 v[16:17], v[16:17], v[4:5]
	ds_load_b128 v[4:7], v22 offset:1024
	s_waitcnt lgkmcnt(0)
	v_mul_f64 v[8:9], v[36:37], v[6:7]
	v_mul_f64 v[10:11], v[34:35], v[6:7]
	s_delay_alu instid0(VALU_DEP_2) | instskip(NEXT) | instid1(VALU_DEP_2)
	v_fma_f64 v[8:9], v[34:35], v[4:5], -v[8:9]
	v_fma_f64 v[10:11], v[36:37], v[4:5], v[10:11]
	s_delay_alu instid0(VALU_DEP_2) | instskip(NEXT) | instid1(VALU_DEP_2)
	v_add_f64 v[42:43], v[46:47], v[8:9]
	v_add_f64 v[44:45], v[48:49], v[10:11]
	ds_load_b128 v[8:11], v22 offset:1280
	s_waitcnt lgkmcnt(0)
	v_mul_f64 v[12:13], v[36:37], v[10:11]
	v_mul_f64 v[14:15], v[34:35], v[10:11]
	s_delay_alu instid0(VALU_DEP_2) | instskip(NEXT) | instid1(VALU_DEP_2)
	v_fma_f64 v[12:13], v[34:35], v[8:9], -v[12:13]
	v_fma_f64 v[14:15], v[36:37], v[8:9], v[14:15]
	s_delay_alu instid0(VALU_DEP_2) | instskip(NEXT) | instid1(VALU_DEP_2)
	v_add_f64 v[28:29], v[28:29], v[12:13]
	v_add_f64 v[26:27], v[26:27], v[14:15]
	ds_load_b128 v[12:15], v25 offset:2080
	s_waitcnt lgkmcnt(0)
	v_mul_f64 v[34:35], v[14:15], v[6:7]
	v_mul_f64 v[6:7], v[12:13], v[6:7]
	s_delay_alu instid0(VALU_DEP_2) | instskip(NEXT) | instid1(VALU_DEP_2)
	v_fma_f64 v[34:35], v[12:13], v[4:5], -v[34:35]
	v_fma_f64 v[4:5], v[14:15], v[4:5], v[6:7]
	v_mul_f64 v[6:7], v[12:13], v[10:11]
	s_delay_alu instid0(VALU_DEP_3) | instskip(NEXT) | instid1(VALU_DEP_3)
	v_add_f64 v[30:31], v[30:31], v[34:35]
	v_add_f64 v[32:33], v[32:33], v[4:5]
	v_mul_f64 v[4:5], v[14:15], v[10:11]
	s_delay_alu instid0(VALU_DEP_4) | instskip(NEXT) | instid1(VALU_DEP_2)
	v_fma_f64 v[6:7], v[14:15], v[8:9], v[6:7]
	v_fma_f64 v[4:5], v[12:13], v[8:9], -v[4:5]
	s_delay_alu instid0(VALU_DEP_2) | instskip(NEXT) | instid1(VALU_DEP_2)
	;; [unrolled: 38-line block ×3, first 2 shown]
	v_add_f64 v[18:19], v[18:19], v[6:7]
	v_add_f64 v[16:17], v[16:17], v[4:5]
	ds_load_b128 v[4:7], v25 offset:64
	ds_load_b128 v[8:11], v22 offset:2048
	s_waitcnt lgkmcnt(0)
	v_mul_f64 v[12:13], v[6:7], v[10:11]
	v_mul_f64 v[14:15], v[4:5], v[10:11]
	s_delay_alu instid0(VALU_DEP_2) | instskip(NEXT) | instid1(VALU_DEP_2)
	v_fma_f64 v[12:13], v[4:5], v[8:9], -v[12:13]
	v_fma_f64 v[14:15], v[6:7], v[8:9], v[14:15]
	s_delay_alu instid0(VALU_DEP_2) | instskip(NEXT) | instid1(VALU_DEP_2)
	v_add_f64 v[34:35], v[34:35], v[12:13]
	v_add_f64 v[36:37], v[36:37], v[14:15]
	ds_load_b128 v[12:15], v22 offset:2304
	s_waitcnt lgkmcnt(0)
	v_mul_f64 v[38:39], v[6:7], v[14:15]
	s_delay_alu instid0(VALU_DEP_1) | instskip(SKIP_1) | instid1(VALU_DEP_2)
	v_fma_f64 v[38:39], v[4:5], v[12:13], -v[38:39]
	v_mul_f64 v[4:5], v[4:5], v[14:15]
	v_add_f64 v[28:29], v[28:29], v[38:39]
	s_delay_alu instid0(VALU_DEP_2) | instskip(NEXT) | instid1(VALU_DEP_1)
	v_fma_f64 v[4:5], v[6:7], v[12:13], v[4:5]
	v_add_f64 v[26:27], v[26:27], v[4:5]
	ds_load_b128 v[4:7], v25 offset:2112
	s_waitcnt lgkmcnt(0)
	v_mul_f64 v[38:39], v[6:7], v[10:11]
	v_mul_f64 v[10:11], v[4:5], v[10:11]
	s_delay_alu instid0(VALU_DEP_2) | instskip(NEXT) | instid1(VALU_DEP_2)
	v_fma_f64 v[38:39], v[4:5], v[8:9], -v[38:39]
	v_fma_f64 v[8:9], v[6:7], v[8:9], v[10:11]
	s_delay_alu instid0(VALU_DEP_2) | instskip(NEXT) | instid1(VALU_DEP_2)
	v_add_f64 v[30:31], v[30:31], v[38:39]
	v_add_f64 v[32:33], v[32:33], v[8:9]
	v_mul_f64 v[8:9], v[6:7], v[14:15]
	s_delay_alu instid0(VALU_DEP_1) | instskip(SKIP_1) | instid1(VALU_DEP_2)
	v_fma_f64 v[8:9], v[4:5], v[12:13], -v[8:9]
	v_mul_f64 v[4:5], v[4:5], v[14:15]
	v_add_f64 v[16:17], v[16:17], v[8:9]
	s_delay_alu instid0(VALU_DEP_2) | instskip(NEXT) | instid1(VALU_DEP_1)
	v_fma_f64 v[4:5], v[6:7], v[12:13], v[4:5]
	v_add_f64 v[18:19], v[18:19], v[4:5]
	ds_load_b128 v[4:7], v25 offset:80
	ds_load_b128 v[8:11], v22 offset:2560
	s_waitcnt lgkmcnt(0)
	v_mul_f64 v[12:13], v[6:7], v[10:11]
	v_mul_f64 v[14:15], v[4:5], v[10:11]
	s_delay_alu instid0(VALU_DEP_2) | instskip(NEXT) | instid1(VALU_DEP_2)
	v_fma_f64 v[12:13], v[4:5], v[8:9], -v[12:13]
	v_fma_f64 v[14:15], v[6:7], v[8:9], v[14:15]
	s_delay_alu instid0(VALU_DEP_2) | instskip(NEXT) | instid1(VALU_DEP_2)
	v_add_f64 v[34:35], v[34:35], v[12:13]
	v_add_f64 v[36:37], v[36:37], v[14:15]
	ds_load_b128 v[12:15], v22 offset:2816
	s_waitcnt lgkmcnt(0)
	v_mul_f64 v[38:39], v[6:7], v[14:15]
	s_delay_alu instid0(VALU_DEP_1) | instskip(SKIP_1) | instid1(VALU_DEP_2)
	v_fma_f64 v[38:39], v[4:5], v[12:13], -v[38:39]
	v_mul_f64 v[4:5], v[4:5], v[14:15]
	v_add_f64 v[28:29], v[28:29], v[38:39]
	s_delay_alu instid0(VALU_DEP_2) | instskip(NEXT) | instid1(VALU_DEP_1)
	v_fma_f64 v[4:5], v[6:7], v[12:13], v[4:5]
	v_add_f64 v[26:27], v[26:27], v[4:5]
	ds_load_b128 v[4:7], v25 offset:2128
	s_waitcnt lgkmcnt(0)
	v_mul_f64 v[38:39], v[6:7], v[10:11]
	v_mul_f64 v[10:11], v[4:5], v[10:11]
	s_delay_alu instid0(VALU_DEP_2) | instskip(NEXT) | instid1(VALU_DEP_2)
	v_fma_f64 v[38:39], v[4:5], v[8:9], -v[38:39]
	v_fma_f64 v[8:9], v[6:7], v[8:9], v[10:11]
	s_delay_alu instid0(VALU_DEP_2) | instskip(NEXT) | instid1(VALU_DEP_2)
	v_add_f64 v[30:31], v[30:31], v[38:39]
	v_add_f64 v[32:33], v[32:33], v[8:9]
	v_mul_f64 v[8:9], v[6:7], v[14:15]
	s_delay_alu instid0(VALU_DEP_1) | instskip(SKIP_1) | instid1(VALU_DEP_2)
	v_fma_f64 v[8:9], v[4:5], v[12:13], -v[8:9]
	v_mul_f64 v[4:5], v[4:5], v[14:15]
	v_add_f64 v[16:17], v[16:17], v[8:9]
	s_delay_alu instid0(VALU_DEP_2) | instskip(NEXT) | instid1(VALU_DEP_1)
	v_fma_f64 v[4:5], v[6:7], v[12:13], v[4:5]
	;; [unrolled: 39-line block ×3, first 2 shown]
	v_add_f64 v[48:49], v[18:19], v[4:5]
	ds_load_b128 v[4:7], v25 offset:112
	ds_load_b128 v[8:11], v22 offset:3584
	;; [unrolled: 1-line block ×4, first 2 shown]
	s_waitcnt lgkmcnt(0)
	s_barrier
	buffer_gl0_inv
	v_mul_f64 v[12:13], v[6:7], v[10:11]
	v_mul_f64 v[14:15], v[4:5], v[10:11]
	s_delay_alu instid0(VALU_DEP_2) | instskip(NEXT) | instid1(VALU_DEP_2)
	v_fma_f64 v[12:13], v[4:5], v[8:9], -v[12:13]
	v_fma_f64 v[14:15], v[6:7], v[8:9], v[14:15]
	s_delay_alu instid0(VALU_DEP_2) | instskip(SKIP_1) | instid1(VALU_DEP_3)
	v_add_f64 v[16:17], v[34:35], v[12:13]
	v_mul_f64 v[12:13], v[6:7], v[28:29]
	v_add_f64 v[18:19], v[36:37], v[14:15]
	s_delay_alu instid0(VALU_DEP_2) | instskip(SKIP_1) | instid1(VALU_DEP_1)
	v_fma_f64 v[12:13], v[4:5], v[26:27], -v[12:13]
	v_mul_f64 v[4:5], v[4:5], v[28:29]
	v_fma_f64 v[6:7], v[6:7], v[26:27], v[4:5]
	s_delay_alu instid0(VALU_DEP_3) | instskip(SKIP_2) | instid1(VALU_DEP_4)
	v_add_f64 v[4:5], v[38:39], v[12:13]
	v_mul_f64 v[12:13], v[32:33], v[10:11]
	v_mul_f64 v[10:11], v[30:31], v[10:11]
	v_add_f64 v[6:7], v[40:41], v[6:7]
	s_delay_alu instid0(VALU_DEP_3) | instskip(NEXT) | instid1(VALU_DEP_3)
	v_fma_f64 v[12:13], v[30:31], v[8:9], -v[12:13]
	v_fma_f64 v[8:9], v[32:33], v[8:9], v[10:11]
	v_mul_f64 v[10:11], v[30:31], v[28:29]
	s_delay_alu instid0(VALU_DEP_3) | instskip(NEXT) | instid1(VALU_DEP_3)
	v_add_f64 v[12:13], v[42:43], v[12:13]
	v_add_f64 v[14:15], v[44:45], v[8:9]
	v_mul_f64 v[8:9], v[32:33], v[28:29]
	s_delay_alu instid0(VALU_DEP_1) | instskip(SKIP_1) | instid1(VALU_DEP_2)
	v_fma_f64 v[8:9], v[30:31], v[26:27], -v[8:9]
	v_fma_f64 v[26:27], v[32:33], v[26:27], v[10:11]
	v_add_f64 v[10:11], v[46:47], v[8:9]
	s_delay_alu instid0(VALU_DEP_2)
	v_add_f64 v[8:9], v[48:49], v[26:27]
	s_cbranch_scc0 .LBB414_2
.LBB414_3:
	s_clause 0x2
	s_load_b32 s3, s[0:1], 0x60
	s_load_b64 s[8:9], s[0:1], 0x68
	s_load_b64 s[10:11], s[0:1], 0x58
	v_add_nc_u32_e32 v21, s13, v21
	v_add_nc_u32_e32 v0, s12, v20
	s_delay_alu instid0(VALU_DEP_2)
	v_cmp_gt_i32_e32 vcc_lo, s2, v21
	s_waitcnt lgkmcnt(0)
	v_mad_i64_i32 v[1:2], null, v21, s3, 0
	s_mul_i32 s1, s15, s9
	s_mul_hi_u32 s9, s15, s8
	s_mul_i32 s0, s15, s8
	s_add_i32 s1, s9, s1
	s_delay_alu instid0(SALU_CYCLE_1) | instskip(NEXT) | instid1(VALU_DEP_1)
	s_lshl_b64 s[8:9], s[0:1], 4
	v_lshlrev_b64 v[1:2], 4, v[1:2]
	s_add_u32 s8, s10, s8
	v_cmp_le_i32_e64 s0, v0, v21
	s_addc_u32 s9, s11, s9
	s_delay_alu instid0(VALU_DEP_2) | instskip(NEXT) | instid1(VALU_DEP_1)
	v_add_co_u32 v20, s1, s8, v1
	v_add_co_ci_u32_e64 v22, s1, s9, v2, s1
	s_delay_alu instid0(VALU_DEP_3) | instskip(NEXT) | instid1(SALU_CYCLE_1)
	s_and_b32 s0, vcc_lo, s0
	s_and_saveexec_b32 s10, s0
	s_cbranch_execz .LBB414_5
; %bb.4:
	v_mul_f64 v[1:2], s[4:5], v[18:19]
	v_mul_f64 v[18:19], s[6:7], v[18:19]
	v_cmp_ne_u32_e64 s0, v21, v0
	s_delay_alu instid0(VALU_DEP_3) | instskip(NEXT) | instid1(VALU_DEP_3)
	v_fma_f64 v[2:3], s[6:7], v[16:17], v[1:2]
	v_fma_f64 v[16:17], s[4:5], v[16:17], -v[18:19]
	v_ashrrev_i32_e32 v1, 31, v0
	s_delay_alu instid0(VALU_DEP_1) | instskip(NEXT) | instid1(VALU_DEP_1)
	v_lshlrev_b64 v[18:19], 4, v[0:1]
	v_add_co_u32 v23, s1, v20, v18
	s_delay_alu instid0(VALU_DEP_1)
	v_add_co_ci_u32_e64 v24, s1, v22, v19, s1
	v_cndmask_b32_e64 v19, 0, v3, s0
	v_cndmask_b32_e64 v18, 0, v2, s0
	global_store_b128 v[23:24], v[16:19], off
.LBB414_5:
	s_or_b32 exec_lo, exec_lo, s10
	v_add_nc_u32_e32 v2, 16, v0
	s_delay_alu instid0(VALU_DEP_1) | instskip(NEXT) | instid1(VALU_DEP_1)
	v_cmp_le_i32_e64 s0, v2, v21
	s_and_b32 s0, vcc_lo, s0
	s_delay_alu instid0(SALU_CYCLE_1)
	s_and_saveexec_b32 s1, s0
	s_cbranch_execz .LBB414_7
; %bb.6:
	v_mul_f64 v[16:17], s[4:5], v[6:7]
	v_mul_f64 v[6:7], s[6:7], v[6:7]
	v_ashrrev_i32_e32 v3, 31, v2
	v_cmp_ne_u32_e32 vcc_lo, v21, v2
	s_delay_alu instid0(VALU_DEP_4) | instskip(NEXT) | instid1(VALU_DEP_4)
	v_fma_f64 v[16:17], s[6:7], v[4:5], v[16:17]
	v_fma_f64 v[4:5], s[4:5], v[4:5], -v[6:7]
	s_delay_alu instid0(VALU_DEP_4) | instskip(NEXT) | instid1(VALU_DEP_1)
	v_lshlrev_b64 v[6:7], 4, v[2:3]
	v_add_co_u32 v18, s0, v20, v6
	s_delay_alu instid0(VALU_DEP_1)
	v_add_co_ci_u32_e64 v19, s0, v22, v7, s0
	v_dual_cndmask_b32 v7, 0, v17 :: v_dual_cndmask_b32 v6, 0, v16
	global_store_b128 v[18:19], v[4:7], off
.LBB414_7:
	s_or_b32 exec_lo, exec_lo, s1
	v_add_nc_u32_e32 v3, 16, v21
	s_delay_alu instid0(VALU_DEP_1) | instskip(SKIP_2) | instid1(VALU_DEP_1)
	v_mad_i64_i32 v[4:5], null, v3, s3, 0
	v_cmp_gt_i32_e32 vcc_lo, s2, v3
	v_cmp_le_i32_e64 s0, v0, v3
	s_and_b32 s0, vcc_lo, s0
	s_delay_alu instid0(VALU_DEP_3) | instskip(NEXT) | instid1(VALU_DEP_1)
	v_lshlrev_b64 v[4:5], 4, v[4:5]
	v_add_co_u32 v4, s1, s8, v4
	s_delay_alu instid0(VALU_DEP_1)
	v_add_co_ci_u32_e64 v5, s1, s9, v5, s1
	s_and_saveexec_b32 s2, s0
	s_cbranch_execz .LBB414_9
; %bb.8:
	v_mul_f64 v[6:7], s[4:5], v[14:15]
	v_mul_f64 v[14:15], s[6:7], v[14:15]
	v_ashrrev_i32_e32 v1, 31, v0
	v_cmp_ne_u32_e64 s0, v3, v0
	s_delay_alu instid0(VALU_DEP_4) | instskip(NEXT) | instid1(VALU_DEP_4)
	v_fma_f64 v[6:7], s[6:7], v[12:13], v[6:7]
	v_fma_f64 v[12:13], s[4:5], v[12:13], -v[14:15]
	s_delay_alu instid0(VALU_DEP_4) | instskip(NEXT) | instid1(VALU_DEP_1)
	v_lshlrev_b64 v[14:15], 4, v[0:1]
	v_add_co_u32 v16, s1, v4, v14
	s_delay_alu instid0(VALU_DEP_1)
	v_add_co_ci_u32_e64 v17, s1, v5, v15, s1
	v_cndmask_b32_e64 v15, 0, v7, s0
	v_cndmask_b32_e64 v14, 0, v6, s0
	global_store_b128 v[16:17], v[12:15], off
.LBB414_9:
	s_or_b32 exec_lo, exec_lo, s2
	v_cmp_le_i32_e64 s0, v2, v3
	s_delay_alu instid0(VALU_DEP_1) | instskip(NEXT) | instid1(SALU_CYCLE_1)
	s_and_b32 s0, vcc_lo, s0
	s_and_saveexec_b32 s1, s0
	s_cbranch_execz .LBB414_11
; %bb.10:
	v_mul_f64 v[6:7], s[4:5], v[8:9]
	v_mul_f64 v[8:9], s[6:7], v[8:9]
	v_ashrrev_i32_e32 v3, 31, v2
	v_cmp_ne_u32_e32 vcc_lo, v21, v0
	s_delay_alu instid0(VALU_DEP_2) | instskip(NEXT) | instid1(VALU_DEP_1)
	v_lshlrev_b64 v[1:2], 4, v[2:3]
	v_add_co_u32 v0, s0, v4, v1
	s_delay_alu instid0(VALU_DEP_1) | instskip(SKIP_2) | instid1(VALU_DEP_2)
	v_add_co_ci_u32_e64 v1, s0, v5, v2, s0
	v_fma_f64 v[12:13], s[6:7], v[10:11], v[6:7]
	v_fma_f64 v[6:7], s[4:5], v[10:11], -v[8:9]
	v_dual_cndmask_b32 v9, 0, v13 :: v_dual_cndmask_b32 v8, 0, v12
	global_store_b128 v[0:1], v[6:9], off
.LBB414_11:
	s_nop 0
	s_sendmsg sendmsg(MSG_DEALLOC_VGPRS)
	s_endpgm
	.section	.rodata,"a",@progbits
	.p2align	6, 0x0
	.amdhsa_kernel _ZL37rocblas_syrkx_herkx_restricted_kernelIi19rocblas_complex_numIdELi16ELi32ELi8ELb1ELb1ELc84ELc85EKS1_S1_EviT_T0_PT8_S3_lS6_S3_lS4_PT9_S3_li
		.amdhsa_group_segment_fixed_size 8192
		.amdhsa_private_segment_fixed_size 0
		.amdhsa_kernarg_size 116
		.amdhsa_user_sgpr_count 13
		.amdhsa_user_sgpr_dispatch_ptr 0
		.amdhsa_user_sgpr_queue_ptr 0
		.amdhsa_user_sgpr_kernarg_segment_ptr 1
		.amdhsa_user_sgpr_dispatch_id 0
		.amdhsa_user_sgpr_private_segment_size 0
		.amdhsa_wavefront_size32 1
		.amdhsa_uses_dynamic_stack 0
		.amdhsa_enable_private_segment 0
		.amdhsa_system_sgpr_workgroup_id_x 1
		.amdhsa_system_sgpr_workgroup_id_y 1
		.amdhsa_system_sgpr_workgroup_id_z 1
		.amdhsa_system_sgpr_workgroup_info 0
		.amdhsa_system_vgpr_workitem_id 1
		.amdhsa_next_free_vgpr 52
		.amdhsa_next_free_sgpr 22
		.amdhsa_reserve_vcc 1
		.amdhsa_float_round_mode_32 0
		.amdhsa_float_round_mode_16_64 0
		.amdhsa_float_denorm_mode_32 3
		.amdhsa_float_denorm_mode_16_64 3
		.amdhsa_dx10_clamp 1
		.amdhsa_ieee_mode 1
		.amdhsa_fp16_overflow 0
		.amdhsa_workgroup_processor_mode 1
		.amdhsa_memory_ordered 1
		.amdhsa_forward_progress 0
		.amdhsa_shared_vgpr_count 0
		.amdhsa_exception_fp_ieee_invalid_op 0
		.amdhsa_exception_fp_denorm_src 0
		.amdhsa_exception_fp_ieee_div_zero 0
		.amdhsa_exception_fp_ieee_overflow 0
		.amdhsa_exception_fp_ieee_underflow 0
		.amdhsa_exception_fp_ieee_inexact 0
		.amdhsa_exception_int_div_zero 0
	.end_amdhsa_kernel
	.section	.text._ZL37rocblas_syrkx_herkx_restricted_kernelIi19rocblas_complex_numIdELi16ELi32ELi8ELb1ELb1ELc84ELc85EKS1_S1_EviT_T0_PT8_S3_lS6_S3_lS4_PT9_S3_li,"axG",@progbits,_ZL37rocblas_syrkx_herkx_restricted_kernelIi19rocblas_complex_numIdELi16ELi32ELi8ELb1ELb1ELc84ELc85EKS1_S1_EviT_T0_PT8_S3_lS6_S3_lS4_PT9_S3_li,comdat
.Lfunc_end414:
	.size	_ZL37rocblas_syrkx_herkx_restricted_kernelIi19rocblas_complex_numIdELi16ELi32ELi8ELb1ELb1ELc84ELc85EKS1_S1_EviT_T0_PT8_S3_lS6_S3_lS4_PT9_S3_li, .Lfunc_end414-_ZL37rocblas_syrkx_herkx_restricted_kernelIi19rocblas_complex_numIdELi16ELi32ELi8ELb1ELb1ELc84ELc85EKS1_S1_EviT_T0_PT8_S3_lS6_S3_lS4_PT9_S3_li
                                        ; -- End function
	.section	.AMDGPU.csdata,"",@progbits
; Kernel info:
; codeLenInByte = 3416
; NumSgprs: 24
; NumVgprs: 52
; ScratchSize: 0
; MemoryBound: 0
; FloatMode: 240
; IeeeMode: 1
; LDSByteSize: 8192 bytes/workgroup (compile time only)
; SGPRBlocks: 2
; VGPRBlocks: 6
; NumSGPRsForWavesPerEU: 24
; NumVGPRsForWavesPerEU: 52
; Occupancy: 16
; WaveLimiterHint : 0
; COMPUTE_PGM_RSRC2:SCRATCH_EN: 0
; COMPUTE_PGM_RSRC2:USER_SGPR: 13
; COMPUTE_PGM_RSRC2:TRAP_HANDLER: 0
; COMPUTE_PGM_RSRC2:TGID_X_EN: 1
; COMPUTE_PGM_RSRC2:TGID_Y_EN: 1
; COMPUTE_PGM_RSRC2:TGID_Z_EN: 1
; COMPUTE_PGM_RSRC2:TIDIG_COMP_CNT: 1
	.section	.text._ZL37rocblas_syrkx_herkx_restricted_kernelIi19rocblas_complex_numIdELi16ELi32ELi8ELb1ELb1ELc67ELc85EKS1_S1_EviT_T0_PT8_S3_lS6_S3_lS4_PT9_S3_li,"axG",@progbits,_ZL37rocblas_syrkx_herkx_restricted_kernelIi19rocblas_complex_numIdELi16ELi32ELi8ELb1ELb1ELc67ELc85EKS1_S1_EviT_T0_PT8_S3_lS6_S3_lS4_PT9_S3_li,comdat
	.globl	_ZL37rocblas_syrkx_herkx_restricted_kernelIi19rocblas_complex_numIdELi16ELi32ELi8ELb1ELb1ELc67ELc85EKS1_S1_EviT_T0_PT8_S3_lS6_S3_lS4_PT9_S3_li ; -- Begin function _ZL37rocblas_syrkx_herkx_restricted_kernelIi19rocblas_complex_numIdELi16ELi32ELi8ELb1ELb1ELc67ELc85EKS1_S1_EviT_T0_PT8_S3_lS6_S3_lS4_PT9_S3_li
	.p2align	8
	.type	_ZL37rocblas_syrkx_herkx_restricted_kernelIi19rocblas_complex_numIdELi16ELi32ELi8ELb1ELb1ELc67ELc85EKS1_S1_EviT_T0_PT8_S3_lS6_S3_lS4_PT9_S3_li,@function
_ZL37rocblas_syrkx_herkx_restricted_kernelIi19rocblas_complex_numIdELi16ELi32ELi8ELb1ELb1ELc67ELc85EKS1_S1_EviT_T0_PT8_S3_lS6_S3_lS4_PT9_S3_li: ; @_ZL37rocblas_syrkx_herkx_restricted_kernelIi19rocblas_complex_numIdELi16ELi32ELi8ELb1ELb1ELc67ELc85EKS1_S1_EviT_T0_PT8_S3_lS6_S3_lS4_PT9_S3_li
; %bb.0:
	s_clause 0x2
	s_load_b64 s[2:3], s[0:1], 0x0
	s_load_b128 s[4:7], s[0:1], 0x8
	s_load_b64 s[16:17], s[0:1], 0x18
	v_mov_b32_e32 v16, 0
	v_dual_mov_b32 v17, 0 :: v_dual_and_b32 v20, 0x3ff, v0
	v_bfe_u32 v21, v0, 10, 10
	s_delay_alu instid0(VALU_DEP_3) | instskip(NEXT) | instid1(VALU_DEP_3)
	v_mov_b32_e32 v4, v16
	v_dual_mov_b32 v6, v16 :: v_dual_mov_b32 v7, v17
	v_dual_mov_b32 v19, v17 :: v_dual_mov_b32 v18, v16
	;; [unrolled: 1-line block ×6, first 2 shown]
	v_mov_b32_e32 v9, v17
	s_lshl_b32 s12, s13, 5
	s_lshl_b32 s13, s14, 5
	s_waitcnt lgkmcnt(0)
	s_cmp_lt_i32 s3, 1
	s_mov_b32 s14, 0
	s_cbranch_scc1 .LBB415_3
; %bb.1:
	s_clause 0x3
	s_load_b32 s20, s[0:1], 0x20
	s_load_b128 s[8:11], s[0:1], 0x28
	s_load_b32 s21, s[0:1], 0x38
	s_load_b64 s[18:19], s[0:1], 0x40
	v_lshl_add_u32 v2, v21, 4, v20
	v_dual_mov_b32 v1, 0 :: v_dual_and_b32 v0, 7, v20
	v_lshlrev_b32_e32 v22, 4, v20
	v_lshl_add_u32 v25, v21, 7, 0x1000
	s_delay_alu instid0(VALU_DEP_4) | instskip(SKIP_3) | instid1(VALU_DEP_4)
	v_lshrrev_b32_e32 v4, 3, v2
	v_and_b32_e32 v5, 31, v2
	v_lshlrev_b32_e32 v3, 4, v0
	v_lshrrev_b32_e32 v2, 5, v2
	v_add_nc_u32_e32 v9, s13, v4
	s_delay_alu instid0(VALU_DEP_4) | instskip(NEXT) | instid1(VALU_DEP_4)
	v_add_nc_u32_e32 v8, s12, v5
	v_lshl_or_b32 v7, v4, 7, v3
	v_dual_mov_b32 v3, v1 :: v_dual_lshlrev_b32 v6, 4, v5
	s_waitcnt lgkmcnt(0)
	s_delay_alu instid0(VALU_DEP_1) | instskip(NEXT) | instid1(VALU_DEP_2)
	v_mad_i64_i32 v[4:5], null, s20, v8, v[2:3]
	v_lshl_or_b32 v23, v2, 9, v6
	s_mul_i32 s9, s9, s15
	s_mul_hi_u32 s20, s8, s15
	v_mad_i64_i32 v[2:3], null, s21, v9, v[0:1]
	s_mul_i32 s8, s8, s15
	s_add_i32 s9, s20, s9
	s_delay_alu instid0(VALU_DEP_3)
	v_lshlrev_b64 v[0:1], 4, v[4:5]
	s_lshl_b64 s[8:9], s[8:9], 4
	v_mov_b32_e32 v8, 0
	v_mov_b32_e32 v9, 0
	s_add_u32 s16, s16, s8
	s_mul_i32 s8, s19, s15
	s_mul_hi_u32 s19, s18, s15
	s_addc_u32 s17, s17, s9
	s_add_i32 s9, s19, s8
	s_mul_i32 s8, s18, s15
	v_lshlrev_b64 v[2:3], 4, v[2:3]
	s_lshl_b64 s[8:9], s[8:9], 4
	v_add_co_u32 v0, vcc_lo, s16, v0
	s_add_u32 s8, s10, s8
	v_add_co_ci_u32_e32 v1, vcc_lo, s17, v1, vcc_lo
	s_addc_u32 s9, s11, s9
	v_add_co_u32 v2, vcc_lo, s8, v2
	v_add_co_ci_u32_e32 v3, vcc_lo, s9, v3, vcc_lo
	v_add_co_u32 v0, vcc_lo, v0, 8
	v_add_co_ci_u32_e32 v1, vcc_lo, 0, v1, vcc_lo
	s_delay_alu instid0(VALU_DEP_4)
	v_add_co_u32 v2, vcc_lo, v2, 8
	v_dual_mov_b32 v11, v9 :: v_dual_add_nc_u32 v24, 0x1000, v7
	v_add_co_ci_u32_e32 v3, vcc_lo, 0, v3, vcc_lo
	v_dual_mov_b32 v10, v8 :: v_dual_mov_b32 v15, v9
	v_dual_mov_b32 v14, v8 :: v_dual_mov_b32 v13, v9
	v_mov_b32_e32 v12, v8
	v_dual_mov_b32 v6, v8 :: v_dual_mov_b32 v7, v9
	v_dual_mov_b32 v4, v8 :: v_dual_mov_b32 v5, v9
	;; [unrolled: 1-line block ×4, first 2 shown]
.LBB415_2:                              ; =>This Inner Loop Header: Depth=1
	global_load_b128 v[26:29], v[0:1], off offset:-8
	v_add_co_u32 v0, vcc_lo, 0x80, v0
	v_add_co_ci_u32_e32 v1, vcc_lo, 0, v1, vcc_lo
	s_add_i32 s14, s14, 8
	s_delay_alu instid0(SALU_CYCLE_1)
	s_cmp_ge_i32 s14, s3
	s_waitcnt vmcnt(0)
	v_xor_b32_e32 v29, 0x80000000, v29
	ds_store_b128 v23, v[26:29]
	global_load_b128 v[26:29], v[2:3], off offset:-8
	v_add_co_u32 v2, vcc_lo, 0x80, v2
	v_add_co_ci_u32_e32 v3, vcc_lo, 0, v3, vcc_lo
	s_waitcnt vmcnt(0)
	ds_store_b128 v24, v[26:29]
	s_waitcnt lgkmcnt(0)
	s_barrier
	buffer_gl0_inv
	ds_load_b128 v[26:29], v25
	ds_load_b128 v[30:33], v25 offset:16
	ds_load_b128 v[34:37], v25 offset:32
	;; [unrolled: 1-line block ×3, first 2 shown]
	ds_load_b128 v[42:45], v22
	s_waitcnt lgkmcnt(0)
	v_mul_f64 v[46:47], v[28:29], v[44:45]
	v_mul_f64 v[48:49], v[26:27], v[44:45]
	s_delay_alu instid0(VALU_DEP_2) | instskip(NEXT) | instid1(VALU_DEP_2)
	v_fma_f64 v[46:47], v[26:27], v[42:43], -v[46:47]
	v_fma_f64 v[48:49], v[28:29], v[42:43], v[48:49]
	s_delay_alu instid0(VALU_DEP_2) | instskip(NEXT) | instid1(VALU_DEP_2)
	v_add_f64 v[46:47], v[16:17], v[46:47]
	v_add_f64 v[48:49], v[18:19], v[48:49]
	ds_load_b128 v[16:19], v22 offset:256
	s_waitcnt lgkmcnt(0)
	v_mul_f64 v[50:51], v[28:29], v[18:19]
	s_delay_alu instid0(VALU_DEP_1) | instskip(SKIP_1) | instid1(VALU_DEP_1)
	v_fma_f64 v[50:51], v[26:27], v[16:17], -v[50:51]
	v_mul_f64 v[26:27], v[26:27], v[18:19]
	v_fma_f64 v[26:27], v[28:29], v[16:17], v[26:27]
	s_delay_alu instid0(VALU_DEP_3) | instskip(NEXT) | instid1(VALU_DEP_2)
	v_add_f64 v[28:29], v[4:5], v[50:51]
	v_add_f64 v[26:27], v[6:7], v[26:27]
	ds_load_b128 v[4:7], v25 offset:2048
	s_waitcnt lgkmcnt(0)
	v_mul_f64 v[50:51], v[6:7], v[44:45]
	v_mul_f64 v[44:45], v[4:5], v[44:45]
	s_delay_alu instid0(VALU_DEP_2) | instskip(NEXT) | instid1(VALU_DEP_2)
	v_fma_f64 v[50:51], v[4:5], v[42:43], -v[50:51]
	v_fma_f64 v[42:43], v[6:7], v[42:43], v[44:45]
	s_delay_alu instid0(VALU_DEP_2) | instskip(SKIP_1) | instid1(VALU_DEP_3)
	v_add_f64 v[44:45], v[12:13], v[50:51]
	v_mul_f64 v[12:13], v[6:7], v[18:19]
	v_add_f64 v[42:43], v[14:15], v[42:43]
	s_delay_alu instid0(VALU_DEP_2) | instskip(SKIP_1) | instid1(VALU_DEP_1)
	v_fma_f64 v[12:13], v[4:5], v[16:17], -v[12:13]
	v_mul_f64 v[4:5], v[4:5], v[18:19]
	v_fma_f64 v[4:5], v[6:7], v[16:17], v[4:5]
	s_delay_alu instid0(VALU_DEP_3) | instskip(NEXT) | instid1(VALU_DEP_2)
	v_add_f64 v[16:17], v[10:11], v[12:13]
	v_add_f64 v[18:19], v[8:9], v[4:5]
	ds_load_b128 v[4:7], v22 offset:512
	s_waitcnt lgkmcnt(0)
	v_mul_f64 v[8:9], v[32:33], v[6:7]
	v_mul_f64 v[10:11], v[30:31], v[6:7]
	s_delay_alu instid0(VALU_DEP_2) | instskip(NEXT) | instid1(VALU_DEP_2)
	v_fma_f64 v[8:9], v[30:31], v[4:5], -v[8:9]
	v_fma_f64 v[10:11], v[32:33], v[4:5], v[10:11]
	s_delay_alu instid0(VALU_DEP_2) | instskip(NEXT) | instid1(VALU_DEP_2)
	v_add_f64 v[46:47], v[46:47], v[8:9]
	v_add_f64 v[48:49], v[48:49], v[10:11]
	ds_load_b128 v[8:11], v22 offset:768
	s_waitcnt lgkmcnt(0)
	v_mul_f64 v[12:13], v[32:33], v[10:11]
	v_mul_f64 v[14:15], v[30:31], v[10:11]
	s_delay_alu instid0(VALU_DEP_2) | instskip(NEXT) | instid1(VALU_DEP_2)
	v_fma_f64 v[12:13], v[30:31], v[8:9], -v[12:13]
	v_fma_f64 v[14:15], v[32:33], v[8:9], v[14:15]
	s_delay_alu instid0(VALU_DEP_2) | instskip(NEXT) | instid1(VALU_DEP_2)
	v_add_f64 v[28:29], v[28:29], v[12:13]
	v_add_f64 v[26:27], v[26:27], v[14:15]
	ds_load_b128 v[12:15], v25 offset:2064
	s_waitcnt lgkmcnt(0)
	v_mul_f64 v[30:31], v[14:15], v[6:7]
	v_mul_f64 v[6:7], v[12:13], v[6:7]
	s_delay_alu instid0(VALU_DEP_2) | instskip(NEXT) | instid1(VALU_DEP_2)
	v_fma_f64 v[30:31], v[12:13], v[4:5], -v[30:31]
	v_fma_f64 v[4:5], v[14:15], v[4:5], v[6:7]
	v_mul_f64 v[6:7], v[12:13], v[10:11]
	s_delay_alu instid0(VALU_DEP_3) | instskip(NEXT) | instid1(VALU_DEP_3)
	v_add_f64 v[30:31], v[44:45], v[30:31]
	v_add_f64 v[32:33], v[42:43], v[4:5]
	v_mul_f64 v[4:5], v[14:15], v[10:11]
	s_delay_alu instid0(VALU_DEP_4) | instskip(NEXT) | instid1(VALU_DEP_2)
	v_fma_f64 v[6:7], v[14:15], v[8:9], v[6:7]
	v_fma_f64 v[4:5], v[12:13], v[8:9], -v[4:5]
	s_delay_alu instid0(VALU_DEP_2) | instskip(NEXT) | instid1(VALU_DEP_2)
	v_add_f64 v[18:19], v[18:19], v[6:7]
	v_add_f64 v[16:17], v[16:17], v[4:5]
	ds_load_b128 v[4:7], v22 offset:1024
	s_waitcnt lgkmcnt(0)
	v_mul_f64 v[8:9], v[36:37], v[6:7]
	v_mul_f64 v[10:11], v[34:35], v[6:7]
	s_delay_alu instid0(VALU_DEP_2) | instskip(NEXT) | instid1(VALU_DEP_2)
	v_fma_f64 v[8:9], v[34:35], v[4:5], -v[8:9]
	v_fma_f64 v[10:11], v[36:37], v[4:5], v[10:11]
	s_delay_alu instid0(VALU_DEP_2) | instskip(NEXT) | instid1(VALU_DEP_2)
	v_add_f64 v[42:43], v[46:47], v[8:9]
	v_add_f64 v[44:45], v[48:49], v[10:11]
	ds_load_b128 v[8:11], v22 offset:1280
	s_waitcnt lgkmcnt(0)
	v_mul_f64 v[12:13], v[36:37], v[10:11]
	v_mul_f64 v[14:15], v[34:35], v[10:11]
	s_delay_alu instid0(VALU_DEP_2) | instskip(NEXT) | instid1(VALU_DEP_2)
	v_fma_f64 v[12:13], v[34:35], v[8:9], -v[12:13]
	v_fma_f64 v[14:15], v[36:37], v[8:9], v[14:15]
	s_delay_alu instid0(VALU_DEP_2) | instskip(NEXT) | instid1(VALU_DEP_2)
	v_add_f64 v[28:29], v[28:29], v[12:13]
	v_add_f64 v[26:27], v[26:27], v[14:15]
	ds_load_b128 v[12:15], v25 offset:2080
	s_waitcnt lgkmcnt(0)
	v_mul_f64 v[34:35], v[14:15], v[6:7]
	v_mul_f64 v[6:7], v[12:13], v[6:7]
	s_delay_alu instid0(VALU_DEP_2) | instskip(NEXT) | instid1(VALU_DEP_2)
	v_fma_f64 v[34:35], v[12:13], v[4:5], -v[34:35]
	v_fma_f64 v[4:5], v[14:15], v[4:5], v[6:7]
	v_mul_f64 v[6:7], v[12:13], v[10:11]
	s_delay_alu instid0(VALU_DEP_3) | instskip(NEXT) | instid1(VALU_DEP_3)
	v_add_f64 v[30:31], v[30:31], v[34:35]
	v_add_f64 v[32:33], v[32:33], v[4:5]
	v_mul_f64 v[4:5], v[14:15], v[10:11]
	s_delay_alu instid0(VALU_DEP_4) | instskip(NEXT) | instid1(VALU_DEP_2)
	v_fma_f64 v[6:7], v[14:15], v[8:9], v[6:7]
	v_fma_f64 v[4:5], v[12:13], v[8:9], -v[4:5]
	s_delay_alu instid0(VALU_DEP_2) | instskip(NEXT) | instid1(VALU_DEP_2)
	;; [unrolled: 38-line block ×3, first 2 shown]
	v_add_f64 v[18:19], v[18:19], v[6:7]
	v_add_f64 v[16:17], v[16:17], v[4:5]
	ds_load_b128 v[4:7], v25 offset:64
	ds_load_b128 v[8:11], v22 offset:2048
	s_waitcnt lgkmcnt(0)
	v_mul_f64 v[12:13], v[6:7], v[10:11]
	v_mul_f64 v[14:15], v[4:5], v[10:11]
	s_delay_alu instid0(VALU_DEP_2) | instskip(NEXT) | instid1(VALU_DEP_2)
	v_fma_f64 v[12:13], v[4:5], v[8:9], -v[12:13]
	v_fma_f64 v[14:15], v[6:7], v[8:9], v[14:15]
	s_delay_alu instid0(VALU_DEP_2) | instskip(NEXT) | instid1(VALU_DEP_2)
	v_add_f64 v[34:35], v[34:35], v[12:13]
	v_add_f64 v[36:37], v[36:37], v[14:15]
	ds_load_b128 v[12:15], v22 offset:2304
	s_waitcnt lgkmcnt(0)
	v_mul_f64 v[38:39], v[6:7], v[14:15]
	s_delay_alu instid0(VALU_DEP_1) | instskip(SKIP_1) | instid1(VALU_DEP_2)
	v_fma_f64 v[38:39], v[4:5], v[12:13], -v[38:39]
	v_mul_f64 v[4:5], v[4:5], v[14:15]
	v_add_f64 v[28:29], v[28:29], v[38:39]
	s_delay_alu instid0(VALU_DEP_2) | instskip(NEXT) | instid1(VALU_DEP_1)
	v_fma_f64 v[4:5], v[6:7], v[12:13], v[4:5]
	v_add_f64 v[26:27], v[26:27], v[4:5]
	ds_load_b128 v[4:7], v25 offset:2112
	s_waitcnt lgkmcnt(0)
	v_mul_f64 v[38:39], v[6:7], v[10:11]
	v_mul_f64 v[10:11], v[4:5], v[10:11]
	s_delay_alu instid0(VALU_DEP_2) | instskip(NEXT) | instid1(VALU_DEP_2)
	v_fma_f64 v[38:39], v[4:5], v[8:9], -v[38:39]
	v_fma_f64 v[8:9], v[6:7], v[8:9], v[10:11]
	s_delay_alu instid0(VALU_DEP_2) | instskip(NEXT) | instid1(VALU_DEP_2)
	v_add_f64 v[30:31], v[30:31], v[38:39]
	v_add_f64 v[32:33], v[32:33], v[8:9]
	v_mul_f64 v[8:9], v[6:7], v[14:15]
	s_delay_alu instid0(VALU_DEP_1) | instskip(SKIP_1) | instid1(VALU_DEP_2)
	v_fma_f64 v[8:9], v[4:5], v[12:13], -v[8:9]
	v_mul_f64 v[4:5], v[4:5], v[14:15]
	v_add_f64 v[16:17], v[16:17], v[8:9]
	s_delay_alu instid0(VALU_DEP_2) | instskip(NEXT) | instid1(VALU_DEP_1)
	v_fma_f64 v[4:5], v[6:7], v[12:13], v[4:5]
	v_add_f64 v[18:19], v[18:19], v[4:5]
	ds_load_b128 v[4:7], v25 offset:80
	ds_load_b128 v[8:11], v22 offset:2560
	s_waitcnt lgkmcnt(0)
	v_mul_f64 v[12:13], v[6:7], v[10:11]
	v_mul_f64 v[14:15], v[4:5], v[10:11]
	s_delay_alu instid0(VALU_DEP_2) | instskip(NEXT) | instid1(VALU_DEP_2)
	v_fma_f64 v[12:13], v[4:5], v[8:9], -v[12:13]
	v_fma_f64 v[14:15], v[6:7], v[8:9], v[14:15]
	s_delay_alu instid0(VALU_DEP_2) | instskip(NEXT) | instid1(VALU_DEP_2)
	v_add_f64 v[34:35], v[34:35], v[12:13]
	v_add_f64 v[36:37], v[36:37], v[14:15]
	ds_load_b128 v[12:15], v22 offset:2816
	s_waitcnt lgkmcnt(0)
	v_mul_f64 v[38:39], v[6:7], v[14:15]
	s_delay_alu instid0(VALU_DEP_1) | instskip(SKIP_1) | instid1(VALU_DEP_2)
	v_fma_f64 v[38:39], v[4:5], v[12:13], -v[38:39]
	v_mul_f64 v[4:5], v[4:5], v[14:15]
	v_add_f64 v[28:29], v[28:29], v[38:39]
	s_delay_alu instid0(VALU_DEP_2) | instskip(NEXT) | instid1(VALU_DEP_1)
	v_fma_f64 v[4:5], v[6:7], v[12:13], v[4:5]
	v_add_f64 v[26:27], v[26:27], v[4:5]
	ds_load_b128 v[4:7], v25 offset:2128
	s_waitcnt lgkmcnt(0)
	v_mul_f64 v[38:39], v[6:7], v[10:11]
	v_mul_f64 v[10:11], v[4:5], v[10:11]
	s_delay_alu instid0(VALU_DEP_2) | instskip(NEXT) | instid1(VALU_DEP_2)
	v_fma_f64 v[38:39], v[4:5], v[8:9], -v[38:39]
	v_fma_f64 v[8:9], v[6:7], v[8:9], v[10:11]
	s_delay_alu instid0(VALU_DEP_2) | instskip(NEXT) | instid1(VALU_DEP_2)
	v_add_f64 v[30:31], v[30:31], v[38:39]
	v_add_f64 v[32:33], v[32:33], v[8:9]
	v_mul_f64 v[8:9], v[6:7], v[14:15]
	s_delay_alu instid0(VALU_DEP_1) | instskip(SKIP_1) | instid1(VALU_DEP_2)
	v_fma_f64 v[8:9], v[4:5], v[12:13], -v[8:9]
	v_mul_f64 v[4:5], v[4:5], v[14:15]
	v_add_f64 v[16:17], v[16:17], v[8:9]
	s_delay_alu instid0(VALU_DEP_2) | instskip(NEXT) | instid1(VALU_DEP_1)
	v_fma_f64 v[4:5], v[6:7], v[12:13], v[4:5]
	;; [unrolled: 39-line block ×3, first 2 shown]
	v_add_f64 v[48:49], v[18:19], v[4:5]
	ds_load_b128 v[4:7], v25 offset:112
	ds_load_b128 v[8:11], v22 offset:3584
	;; [unrolled: 1-line block ×4, first 2 shown]
	s_waitcnt lgkmcnt(0)
	s_barrier
	buffer_gl0_inv
	v_mul_f64 v[12:13], v[6:7], v[10:11]
	v_mul_f64 v[14:15], v[4:5], v[10:11]
	s_delay_alu instid0(VALU_DEP_2) | instskip(NEXT) | instid1(VALU_DEP_2)
	v_fma_f64 v[12:13], v[4:5], v[8:9], -v[12:13]
	v_fma_f64 v[14:15], v[6:7], v[8:9], v[14:15]
	s_delay_alu instid0(VALU_DEP_2) | instskip(SKIP_1) | instid1(VALU_DEP_3)
	v_add_f64 v[16:17], v[34:35], v[12:13]
	v_mul_f64 v[12:13], v[6:7], v[28:29]
	v_add_f64 v[18:19], v[36:37], v[14:15]
	s_delay_alu instid0(VALU_DEP_2) | instskip(SKIP_1) | instid1(VALU_DEP_1)
	v_fma_f64 v[12:13], v[4:5], v[26:27], -v[12:13]
	v_mul_f64 v[4:5], v[4:5], v[28:29]
	v_fma_f64 v[6:7], v[6:7], v[26:27], v[4:5]
	s_delay_alu instid0(VALU_DEP_3) | instskip(SKIP_2) | instid1(VALU_DEP_4)
	v_add_f64 v[4:5], v[38:39], v[12:13]
	v_mul_f64 v[12:13], v[32:33], v[10:11]
	v_mul_f64 v[10:11], v[30:31], v[10:11]
	v_add_f64 v[6:7], v[40:41], v[6:7]
	s_delay_alu instid0(VALU_DEP_3) | instskip(NEXT) | instid1(VALU_DEP_3)
	v_fma_f64 v[12:13], v[30:31], v[8:9], -v[12:13]
	v_fma_f64 v[8:9], v[32:33], v[8:9], v[10:11]
	v_mul_f64 v[10:11], v[30:31], v[28:29]
	s_delay_alu instid0(VALU_DEP_3) | instskip(NEXT) | instid1(VALU_DEP_3)
	v_add_f64 v[12:13], v[42:43], v[12:13]
	v_add_f64 v[14:15], v[44:45], v[8:9]
	v_mul_f64 v[8:9], v[32:33], v[28:29]
	s_delay_alu instid0(VALU_DEP_1) | instskip(SKIP_1) | instid1(VALU_DEP_2)
	v_fma_f64 v[8:9], v[30:31], v[26:27], -v[8:9]
	v_fma_f64 v[26:27], v[32:33], v[26:27], v[10:11]
	v_add_f64 v[10:11], v[46:47], v[8:9]
	s_delay_alu instid0(VALU_DEP_2)
	v_add_f64 v[8:9], v[48:49], v[26:27]
	s_cbranch_scc0 .LBB415_2
.LBB415_3:
	s_clause 0x2
	s_load_b32 s3, s[0:1], 0x60
	s_load_b64 s[8:9], s[0:1], 0x68
	s_load_b64 s[10:11], s[0:1], 0x58
	v_add_nc_u32_e32 v21, s13, v21
	v_add_nc_u32_e32 v0, s12, v20
	s_delay_alu instid0(VALU_DEP_2)
	v_cmp_gt_i32_e32 vcc_lo, s2, v21
	s_waitcnt lgkmcnt(0)
	v_mad_i64_i32 v[1:2], null, v21, s3, 0
	s_mul_i32 s1, s15, s9
	s_mul_hi_u32 s9, s15, s8
	s_mul_i32 s0, s15, s8
	s_add_i32 s1, s9, s1
	s_delay_alu instid0(SALU_CYCLE_1) | instskip(NEXT) | instid1(VALU_DEP_1)
	s_lshl_b64 s[8:9], s[0:1], 4
	v_lshlrev_b64 v[1:2], 4, v[1:2]
	s_add_u32 s8, s10, s8
	v_cmp_le_i32_e64 s0, v0, v21
	s_addc_u32 s9, s11, s9
	s_delay_alu instid0(VALU_DEP_2) | instskip(NEXT) | instid1(VALU_DEP_1)
	v_add_co_u32 v20, s1, s8, v1
	v_add_co_ci_u32_e64 v22, s1, s9, v2, s1
	s_delay_alu instid0(VALU_DEP_3) | instskip(NEXT) | instid1(SALU_CYCLE_1)
	s_and_b32 s0, vcc_lo, s0
	s_and_saveexec_b32 s10, s0
	s_cbranch_execz .LBB415_5
; %bb.4:
	v_mul_f64 v[1:2], s[4:5], v[18:19]
	v_mul_f64 v[18:19], s[6:7], v[18:19]
	v_cmp_ne_u32_e64 s0, v21, v0
	s_delay_alu instid0(VALU_DEP_3) | instskip(NEXT) | instid1(VALU_DEP_3)
	v_fma_f64 v[2:3], s[6:7], v[16:17], v[1:2]
	v_fma_f64 v[16:17], s[4:5], v[16:17], -v[18:19]
	v_ashrrev_i32_e32 v1, 31, v0
	s_delay_alu instid0(VALU_DEP_1) | instskip(NEXT) | instid1(VALU_DEP_1)
	v_lshlrev_b64 v[18:19], 4, v[0:1]
	v_add_co_u32 v23, s1, v20, v18
	s_delay_alu instid0(VALU_DEP_1)
	v_add_co_ci_u32_e64 v24, s1, v22, v19, s1
	v_cndmask_b32_e64 v19, 0, v3, s0
	v_cndmask_b32_e64 v18, 0, v2, s0
	global_store_b128 v[23:24], v[16:19], off
.LBB415_5:
	s_or_b32 exec_lo, exec_lo, s10
	v_add_nc_u32_e32 v2, 16, v0
	s_delay_alu instid0(VALU_DEP_1) | instskip(NEXT) | instid1(VALU_DEP_1)
	v_cmp_le_i32_e64 s0, v2, v21
	s_and_b32 s0, vcc_lo, s0
	s_delay_alu instid0(SALU_CYCLE_1)
	s_and_saveexec_b32 s1, s0
	s_cbranch_execz .LBB415_7
; %bb.6:
	v_mul_f64 v[16:17], s[4:5], v[6:7]
	v_mul_f64 v[6:7], s[6:7], v[6:7]
	v_ashrrev_i32_e32 v3, 31, v2
	v_cmp_ne_u32_e32 vcc_lo, v21, v2
	s_delay_alu instid0(VALU_DEP_4) | instskip(NEXT) | instid1(VALU_DEP_4)
	v_fma_f64 v[16:17], s[6:7], v[4:5], v[16:17]
	v_fma_f64 v[4:5], s[4:5], v[4:5], -v[6:7]
	s_delay_alu instid0(VALU_DEP_4) | instskip(NEXT) | instid1(VALU_DEP_1)
	v_lshlrev_b64 v[6:7], 4, v[2:3]
	v_add_co_u32 v18, s0, v20, v6
	s_delay_alu instid0(VALU_DEP_1)
	v_add_co_ci_u32_e64 v19, s0, v22, v7, s0
	v_dual_cndmask_b32 v7, 0, v17 :: v_dual_cndmask_b32 v6, 0, v16
	global_store_b128 v[18:19], v[4:7], off
.LBB415_7:
	s_or_b32 exec_lo, exec_lo, s1
	v_add_nc_u32_e32 v3, 16, v21
	s_delay_alu instid0(VALU_DEP_1) | instskip(SKIP_2) | instid1(VALU_DEP_1)
	v_mad_i64_i32 v[4:5], null, v3, s3, 0
	v_cmp_gt_i32_e32 vcc_lo, s2, v3
	v_cmp_le_i32_e64 s0, v0, v3
	s_and_b32 s0, vcc_lo, s0
	s_delay_alu instid0(VALU_DEP_3) | instskip(NEXT) | instid1(VALU_DEP_1)
	v_lshlrev_b64 v[4:5], 4, v[4:5]
	v_add_co_u32 v4, s1, s8, v4
	s_delay_alu instid0(VALU_DEP_1)
	v_add_co_ci_u32_e64 v5, s1, s9, v5, s1
	s_and_saveexec_b32 s2, s0
	s_cbranch_execz .LBB415_9
; %bb.8:
	v_mul_f64 v[6:7], s[4:5], v[14:15]
	v_mul_f64 v[14:15], s[6:7], v[14:15]
	v_ashrrev_i32_e32 v1, 31, v0
	v_cmp_ne_u32_e64 s0, v3, v0
	s_delay_alu instid0(VALU_DEP_4) | instskip(NEXT) | instid1(VALU_DEP_4)
	v_fma_f64 v[6:7], s[6:7], v[12:13], v[6:7]
	v_fma_f64 v[12:13], s[4:5], v[12:13], -v[14:15]
	s_delay_alu instid0(VALU_DEP_4) | instskip(NEXT) | instid1(VALU_DEP_1)
	v_lshlrev_b64 v[14:15], 4, v[0:1]
	v_add_co_u32 v16, s1, v4, v14
	s_delay_alu instid0(VALU_DEP_1)
	v_add_co_ci_u32_e64 v17, s1, v5, v15, s1
	v_cndmask_b32_e64 v15, 0, v7, s0
	v_cndmask_b32_e64 v14, 0, v6, s0
	global_store_b128 v[16:17], v[12:15], off
.LBB415_9:
	s_or_b32 exec_lo, exec_lo, s2
	v_cmp_le_i32_e64 s0, v2, v3
	s_delay_alu instid0(VALU_DEP_1) | instskip(NEXT) | instid1(SALU_CYCLE_1)
	s_and_b32 s0, vcc_lo, s0
	s_and_saveexec_b32 s1, s0
	s_cbranch_execz .LBB415_11
; %bb.10:
	v_mul_f64 v[6:7], s[4:5], v[8:9]
	v_mul_f64 v[8:9], s[6:7], v[8:9]
	v_ashrrev_i32_e32 v3, 31, v2
	v_cmp_ne_u32_e32 vcc_lo, v21, v0
	s_delay_alu instid0(VALU_DEP_2) | instskip(NEXT) | instid1(VALU_DEP_1)
	v_lshlrev_b64 v[1:2], 4, v[2:3]
	v_add_co_u32 v0, s0, v4, v1
	s_delay_alu instid0(VALU_DEP_1) | instskip(SKIP_2) | instid1(VALU_DEP_2)
	v_add_co_ci_u32_e64 v1, s0, v5, v2, s0
	v_fma_f64 v[12:13], s[6:7], v[10:11], v[6:7]
	v_fma_f64 v[6:7], s[4:5], v[10:11], -v[8:9]
	v_dual_cndmask_b32 v9, 0, v13 :: v_dual_cndmask_b32 v8, 0, v12
	global_store_b128 v[0:1], v[6:9], off
.LBB415_11:
	s_nop 0
	s_sendmsg sendmsg(MSG_DEALLOC_VGPRS)
	s_endpgm
	.section	.rodata,"a",@progbits
	.p2align	6, 0x0
	.amdhsa_kernel _ZL37rocblas_syrkx_herkx_restricted_kernelIi19rocblas_complex_numIdELi16ELi32ELi8ELb1ELb1ELc67ELc85EKS1_S1_EviT_T0_PT8_S3_lS6_S3_lS4_PT9_S3_li
		.amdhsa_group_segment_fixed_size 8192
		.amdhsa_private_segment_fixed_size 0
		.amdhsa_kernarg_size 116
		.amdhsa_user_sgpr_count 13
		.amdhsa_user_sgpr_dispatch_ptr 0
		.amdhsa_user_sgpr_queue_ptr 0
		.amdhsa_user_sgpr_kernarg_segment_ptr 1
		.amdhsa_user_sgpr_dispatch_id 0
		.amdhsa_user_sgpr_private_segment_size 0
		.amdhsa_wavefront_size32 1
		.amdhsa_uses_dynamic_stack 0
		.amdhsa_enable_private_segment 0
		.amdhsa_system_sgpr_workgroup_id_x 1
		.amdhsa_system_sgpr_workgroup_id_y 1
		.amdhsa_system_sgpr_workgroup_id_z 1
		.amdhsa_system_sgpr_workgroup_info 0
		.amdhsa_system_vgpr_workitem_id 1
		.amdhsa_next_free_vgpr 52
		.amdhsa_next_free_sgpr 22
		.amdhsa_reserve_vcc 1
		.amdhsa_float_round_mode_32 0
		.amdhsa_float_round_mode_16_64 0
		.amdhsa_float_denorm_mode_32 3
		.amdhsa_float_denorm_mode_16_64 3
		.amdhsa_dx10_clamp 1
		.amdhsa_ieee_mode 1
		.amdhsa_fp16_overflow 0
		.amdhsa_workgroup_processor_mode 1
		.amdhsa_memory_ordered 1
		.amdhsa_forward_progress 0
		.amdhsa_shared_vgpr_count 0
		.amdhsa_exception_fp_ieee_invalid_op 0
		.amdhsa_exception_fp_denorm_src 0
		.amdhsa_exception_fp_ieee_div_zero 0
		.amdhsa_exception_fp_ieee_overflow 0
		.amdhsa_exception_fp_ieee_underflow 0
		.amdhsa_exception_fp_ieee_inexact 0
		.amdhsa_exception_int_div_zero 0
	.end_amdhsa_kernel
	.section	.text._ZL37rocblas_syrkx_herkx_restricted_kernelIi19rocblas_complex_numIdELi16ELi32ELi8ELb1ELb1ELc67ELc85EKS1_S1_EviT_T0_PT8_S3_lS6_S3_lS4_PT9_S3_li,"axG",@progbits,_ZL37rocblas_syrkx_herkx_restricted_kernelIi19rocblas_complex_numIdELi16ELi32ELi8ELb1ELb1ELc67ELc85EKS1_S1_EviT_T0_PT8_S3_lS6_S3_lS4_PT9_S3_li,comdat
.Lfunc_end415:
	.size	_ZL37rocblas_syrkx_herkx_restricted_kernelIi19rocblas_complex_numIdELi16ELi32ELi8ELb1ELb1ELc67ELc85EKS1_S1_EviT_T0_PT8_S3_lS6_S3_lS4_PT9_S3_li, .Lfunc_end415-_ZL37rocblas_syrkx_herkx_restricted_kernelIi19rocblas_complex_numIdELi16ELi32ELi8ELb1ELb1ELc67ELc85EKS1_S1_EviT_T0_PT8_S3_lS6_S3_lS4_PT9_S3_li
                                        ; -- End function
	.section	.AMDGPU.csdata,"",@progbits
; Kernel info:
; codeLenInByte = 3424
; NumSgprs: 24
; NumVgprs: 52
; ScratchSize: 0
; MemoryBound: 0
; FloatMode: 240
; IeeeMode: 1
; LDSByteSize: 8192 bytes/workgroup (compile time only)
; SGPRBlocks: 2
; VGPRBlocks: 6
; NumSGPRsForWavesPerEU: 24
; NumVGPRsForWavesPerEU: 52
; Occupancy: 16
; WaveLimiterHint : 0
; COMPUTE_PGM_RSRC2:SCRATCH_EN: 0
; COMPUTE_PGM_RSRC2:USER_SGPR: 13
; COMPUTE_PGM_RSRC2:TRAP_HANDLER: 0
; COMPUTE_PGM_RSRC2:TGID_X_EN: 1
; COMPUTE_PGM_RSRC2:TGID_Y_EN: 1
; COMPUTE_PGM_RSRC2:TGID_Z_EN: 1
; COMPUTE_PGM_RSRC2:TIDIG_COMP_CNT: 1
	.section	.text._ZL37rocblas_syrkx_herkx_restricted_kernelIi19rocblas_complex_numIdELi16ELi32ELi8ELb1ELb1ELc78ELc85EKS1_S1_EviT_T0_PT8_S3_lS6_S3_lS4_PT9_S3_li,"axG",@progbits,_ZL37rocblas_syrkx_herkx_restricted_kernelIi19rocblas_complex_numIdELi16ELi32ELi8ELb1ELb1ELc78ELc85EKS1_S1_EviT_T0_PT8_S3_lS6_S3_lS4_PT9_S3_li,comdat
	.globl	_ZL37rocblas_syrkx_herkx_restricted_kernelIi19rocblas_complex_numIdELi16ELi32ELi8ELb1ELb1ELc78ELc85EKS1_S1_EviT_T0_PT8_S3_lS6_S3_lS4_PT9_S3_li ; -- Begin function _ZL37rocblas_syrkx_herkx_restricted_kernelIi19rocblas_complex_numIdELi16ELi32ELi8ELb1ELb1ELc78ELc85EKS1_S1_EviT_T0_PT8_S3_lS6_S3_lS4_PT9_S3_li
	.p2align	8
	.type	_ZL37rocblas_syrkx_herkx_restricted_kernelIi19rocblas_complex_numIdELi16ELi32ELi8ELb1ELb1ELc78ELc85EKS1_S1_EviT_T0_PT8_S3_lS6_S3_lS4_PT9_S3_li,@function
_ZL37rocblas_syrkx_herkx_restricted_kernelIi19rocblas_complex_numIdELi16ELi32ELi8ELb1ELb1ELc78ELc85EKS1_S1_EviT_T0_PT8_S3_lS6_S3_lS4_PT9_S3_li: ; @_ZL37rocblas_syrkx_herkx_restricted_kernelIi19rocblas_complex_numIdELi16ELi32ELi8ELb1ELb1ELc78ELc85EKS1_S1_EviT_T0_PT8_S3_lS6_S3_lS4_PT9_S3_li
; %bb.0:
	s_clause 0x2
	s_load_b64 s[2:3], s[0:1], 0x0
	s_load_b128 s[4:7], s[0:1], 0x8
	s_load_b64 s[16:17], s[0:1], 0x18
	v_mov_b32_e32 v16, 0
	v_dual_mov_b32 v17, 0 :: v_dual_and_b32 v20, 0x3ff, v0
	v_bfe_u32 v21, v0, 10, 10
	s_delay_alu instid0(VALU_DEP_3) | instskip(NEXT) | instid1(VALU_DEP_3)
	v_mov_b32_e32 v4, v16
	v_dual_mov_b32 v6, v16 :: v_dual_mov_b32 v7, v17
	v_dual_mov_b32 v19, v17 :: v_dual_mov_b32 v18, v16
	;; [unrolled: 1-line block ×6, first 2 shown]
	v_mov_b32_e32 v9, v17
	s_lshl_b32 s12, s13, 5
	s_lshl_b32 s13, s14, 5
	s_waitcnt lgkmcnt(0)
	s_cmp_lt_i32 s3, 1
	s_mov_b32 s14, 0
	s_cbranch_scc1 .LBB416_3
; %bb.1:
	v_lshl_add_u32 v0, v21, 4, v20
	v_and_b32_e32 v6, 7, v20
	s_clause 0x3
	s_load_b32 s18, s[0:1], 0x20
	s_load_b32 s20, s[0:1], 0x38
	s_load_b128 s[8:11], s[0:1], 0x28
	s_load_b64 s[22:23], s[0:1], 0x40
	v_lshrrev_b32_e32 v1, 3, v0
	v_lshlrev_b32_e32 v3, 4, v6
	v_lshrrev_b32_e32 v7, 5, v0
	v_lshl_add_u32 v25, v21, 7, 0x1000
	s_delay_alu instid0(VALU_DEP_3) | instskip(NEXT) | instid1(VALU_DEP_1)
	v_lshl_or_b32 v8, v1, 7, v3
	v_dual_mov_b32 v8, 0 :: v_dual_add_nc_u32 v23, 0x1000, v8
	v_dual_mov_b32 v9, 0 :: v_dual_and_b32 v2, 31, v0
	v_add_nc_u32_e32 v0, s13, v1
	s_waitcnt lgkmcnt(0)
	s_ashr_i32 s19, s18, 31
	s_ashr_i32 s21, s20, 31
	v_mov_b32_e32 v15, v9
	v_dual_mov_b32 v11, v9 :: v_dual_lshlrev_b32 v4, 4, v2
	v_dual_mov_b32 v13, v9 :: v_dual_add_nc_u32 v2, s12, v2
	v_ashrrev_i32_e32 v1, 31, v0
	s_mul_i32 s9, s9, s15
	s_delay_alu instid0(VALU_DEP_3)
	v_lshl_or_b32 v22, v7, 9, v4
	s_mul_hi_u32 s24, s8, s15
	v_ashrrev_i32_e32 v3, 31, v2
	v_mad_i64_i32 v[4:5], null, s20, v6, v[0:1]
	s_add_i32 s9, s24, s9
	s_mul_i32 s8, s8, s15
	s_delay_alu instid0(VALU_DEP_2)
	v_mad_i64_i32 v[0:1], null, s18, v7, v[2:3]
	s_lshl_b64 s[8:9], s[8:9], 4
	v_dual_mov_b32 v14, v8 :: v_dual_mov_b32 v19, v9
	s_add_u32 s8, s16, s8
	s_addc_u32 s9, s17, s9
	s_mul_i32 s16, s23, s15
	s_delay_alu instid0(VALU_DEP_2) | instskip(SKIP_4) | instid1(VALU_DEP_4)
	v_lshlrev_b64 v[0:1], 4, v[0:1]
	s_mul_hi_u32 s17, s22, s15
	v_dual_mov_b32 v12, v8 :: v_dual_mov_b32 v17, v9
	v_mov_b32_e32 v6, v8
	v_lshlrev_b32_e32 v24, 4, v20
	v_add_co_u32 v2, vcc_lo, s8, v0
	v_add_co_ci_u32_e32 v3, vcc_lo, s9, v1, vcc_lo
	s_add_i32 s9, s17, s16
	s_mul_i32 s8, s22, s15
	v_lshlrev_b64 v[0:1], 4, v[4:5]
	s_lshl_b64 s[16:17], s[8:9], 4
	s_lshl_b64 s[8:9], s[18:19], 7
	s_add_u32 s10, s10, s16
	s_addc_u32 s11, s11, s17
	v_mov_b32_e32 v10, v8
	v_add_co_u32 v4, vcc_lo, s10, v0
	v_add_co_ci_u32_e32 v5, vcc_lo, s11, v1, vcc_lo
	v_add_co_u32 v0, vcc_lo, v2, 8
	v_add_co_ci_u32_e32 v1, vcc_lo, 0, v3, vcc_lo
	s_delay_alu instid0(VALU_DEP_4) | instskip(NEXT) | instid1(VALU_DEP_4)
	v_add_co_u32 v2, vcc_lo, v4, 8
	v_add_co_ci_u32_e32 v3, vcc_lo, 0, v5, vcc_lo
	v_dual_mov_b32 v4, v8 :: v_dual_mov_b32 v5, v9
	v_dual_mov_b32 v7, v9 :: v_dual_mov_b32 v18, v8
	v_mov_b32_e32 v16, v8
	s_lshl_b64 s[10:11], s[20:21], 7
.LBB416_2:                              ; =>This Inner Loop Header: Depth=1
	global_load_b128 v[26:29], v[0:1], off offset:-8
	v_add_co_u32 v0, vcc_lo, v0, s8
	v_add_co_ci_u32_e32 v1, vcc_lo, s9, v1, vcc_lo
	s_add_i32 s14, s14, 8
	s_delay_alu instid0(SALU_CYCLE_1)
	s_cmp_ge_i32 s14, s3
	s_waitcnt vmcnt(0)
	ds_store_b128 v22, v[26:29]
	global_load_b128 v[26:29], v[2:3], off offset:-8
	v_add_co_u32 v2, vcc_lo, v2, s10
	v_add_co_ci_u32_e32 v3, vcc_lo, s11, v3, vcc_lo
	s_waitcnt vmcnt(0)
	v_xor_b32_e32 v29, 0x80000000, v29
	ds_store_b128 v23, v[26:29]
	s_waitcnt lgkmcnt(0)
	s_barrier
	buffer_gl0_inv
	ds_load_b128 v[26:29], v25
	ds_load_b128 v[30:33], v25 offset:16
	ds_load_b128 v[34:37], v25 offset:32
	ds_load_b128 v[38:41], v25 offset:48
	ds_load_b128 v[42:45], v24
	s_waitcnt lgkmcnt(0)
	v_mul_f64 v[46:47], v[28:29], v[44:45]
	v_mul_f64 v[48:49], v[26:27], v[44:45]
	s_delay_alu instid0(VALU_DEP_2) | instskip(NEXT) | instid1(VALU_DEP_2)
	v_fma_f64 v[46:47], v[26:27], v[42:43], -v[46:47]
	v_fma_f64 v[48:49], v[28:29], v[42:43], v[48:49]
	s_delay_alu instid0(VALU_DEP_2) | instskip(NEXT) | instid1(VALU_DEP_2)
	v_add_f64 v[46:47], v[16:17], v[46:47]
	v_add_f64 v[48:49], v[18:19], v[48:49]
	ds_load_b128 v[16:19], v24 offset:256
	s_waitcnt lgkmcnt(0)
	v_mul_f64 v[50:51], v[28:29], v[18:19]
	s_delay_alu instid0(VALU_DEP_1) | instskip(SKIP_1) | instid1(VALU_DEP_1)
	v_fma_f64 v[50:51], v[26:27], v[16:17], -v[50:51]
	v_mul_f64 v[26:27], v[26:27], v[18:19]
	v_fma_f64 v[26:27], v[28:29], v[16:17], v[26:27]
	s_delay_alu instid0(VALU_DEP_3) | instskip(NEXT) | instid1(VALU_DEP_2)
	v_add_f64 v[28:29], v[4:5], v[50:51]
	v_add_f64 v[26:27], v[6:7], v[26:27]
	ds_load_b128 v[4:7], v25 offset:2048
	s_waitcnt lgkmcnt(0)
	v_mul_f64 v[50:51], v[6:7], v[44:45]
	v_mul_f64 v[44:45], v[4:5], v[44:45]
	s_delay_alu instid0(VALU_DEP_2) | instskip(NEXT) | instid1(VALU_DEP_2)
	v_fma_f64 v[50:51], v[4:5], v[42:43], -v[50:51]
	v_fma_f64 v[42:43], v[6:7], v[42:43], v[44:45]
	s_delay_alu instid0(VALU_DEP_2) | instskip(SKIP_1) | instid1(VALU_DEP_3)
	v_add_f64 v[44:45], v[12:13], v[50:51]
	v_mul_f64 v[12:13], v[6:7], v[18:19]
	v_add_f64 v[42:43], v[14:15], v[42:43]
	s_delay_alu instid0(VALU_DEP_2) | instskip(SKIP_1) | instid1(VALU_DEP_1)
	v_fma_f64 v[12:13], v[4:5], v[16:17], -v[12:13]
	v_mul_f64 v[4:5], v[4:5], v[18:19]
	v_fma_f64 v[4:5], v[6:7], v[16:17], v[4:5]
	s_delay_alu instid0(VALU_DEP_3) | instskip(NEXT) | instid1(VALU_DEP_2)
	v_add_f64 v[16:17], v[10:11], v[12:13]
	v_add_f64 v[18:19], v[8:9], v[4:5]
	ds_load_b128 v[4:7], v24 offset:512
	s_waitcnt lgkmcnt(0)
	v_mul_f64 v[8:9], v[32:33], v[6:7]
	v_mul_f64 v[10:11], v[30:31], v[6:7]
	s_delay_alu instid0(VALU_DEP_2) | instskip(NEXT) | instid1(VALU_DEP_2)
	v_fma_f64 v[8:9], v[30:31], v[4:5], -v[8:9]
	v_fma_f64 v[10:11], v[32:33], v[4:5], v[10:11]
	s_delay_alu instid0(VALU_DEP_2) | instskip(NEXT) | instid1(VALU_DEP_2)
	v_add_f64 v[46:47], v[46:47], v[8:9]
	v_add_f64 v[48:49], v[48:49], v[10:11]
	ds_load_b128 v[8:11], v24 offset:768
	s_waitcnt lgkmcnt(0)
	v_mul_f64 v[12:13], v[32:33], v[10:11]
	v_mul_f64 v[14:15], v[30:31], v[10:11]
	s_delay_alu instid0(VALU_DEP_2) | instskip(NEXT) | instid1(VALU_DEP_2)
	v_fma_f64 v[12:13], v[30:31], v[8:9], -v[12:13]
	v_fma_f64 v[14:15], v[32:33], v[8:9], v[14:15]
	s_delay_alu instid0(VALU_DEP_2) | instskip(NEXT) | instid1(VALU_DEP_2)
	v_add_f64 v[28:29], v[28:29], v[12:13]
	v_add_f64 v[26:27], v[26:27], v[14:15]
	ds_load_b128 v[12:15], v25 offset:2064
	s_waitcnt lgkmcnt(0)
	v_mul_f64 v[30:31], v[14:15], v[6:7]
	v_mul_f64 v[6:7], v[12:13], v[6:7]
	s_delay_alu instid0(VALU_DEP_2) | instskip(NEXT) | instid1(VALU_DEP_2)
	v_fma_f64 v[30:31], v[12:13], v[4:5], -v[30:31]
	v_fma_f64 v[4:5], v[14:15], v[4:5], v[6:7]
	v_mul_f64 v[6:7], v[12:13], v[10:11]
	s_delay_alu instid0(VALU_DEP_3) | instskip(NEXT) | instid1(VALU_DEP_3)
	v_add_f64 v[30:31], v[44:45], v[30:31]
	v_add_f64 v[32:33], v[42:43], v[4:5]
	v_mul_f64 v[4:5], v[14:15], v[10:11]
	s_delay_alu instid0(VALU_DEP_4) | instskip(NEXT) | instid1(VALU_DEP_2)
	v_fma_f64 v[6:7], v[14:15], v[8:9], v[6:7]
	v_fma_f64 v[4:5], v[12:13], v[8:9], -v[4:5]
	s_delay_alu instid0(VALU_DEP_2) | instskip(NEXT) | instid1(VALU_DEP_2)
	v_add_f64 v[18:19], v[18:19], v[6:7]
	v_add_f64 v[16:17], v[16:17], v[4:5]
	ds_load_b128 v[4:7], v24 offset:1024
	s_waitcnt lgkmcnt(0)
	v_mul_f64 v[8:9], v[36:37], v[6:7]
	v_mul_f64 v[10:11], v[34:35], v[6:7]
	s_delay_alu instid0(VALU_DEP_2) | instskip(NEXT) | instid1(VALU_DEP_2)
	v_fma_f64 v[8:9], v[34:35], v[4:5], -v[8:9]
	v_fma_f64 v[10:11], v[36:37], v[4:5], v[10:11]
	s_delay_alu instid0(VALU_DEP_2) | instskip(NEXT) | instid1(VALU_DEP_2)
	v_add_f64 v[42:43], v[46:47], v[8:9]
	v_add_f64 v[44:45], v[48:49], v[10:11]
	ds_load_b128 v[8:11], v24 offset:1280
	s_waitcnt lgkmcnt(0)
	v_mul_f64 v[12:13], v[36:37], v[10:11]
	v_mul_f64 v[14:15], v[34:35], v[10:11]
	s_delay_alu instid0(VALU_DEP_2) | instskip(NEXT) | instid1(VALU_DEP_2)
	v_fma_f64 v[12:13], v[34:35], v[8:9], -v[12:13]
	v_fma_f64 v[14:15], v[36:37], v[8:9], v[14:15]
	s_delay_alu instid0(VALU_DEP_2) | instskip(NEXT) | instid1(VALU_DEP_2)
	v_add_f64 v[28:29], v[28:29], v[12:13]
	v_add_f64 v[26:27], v[26:27], v[14:15]
	ds_load_b128 v[12:15], v25 offset:2080
	s_waitcnt lgkmcnt(0)
	v_mul_f64 v[34:35], v[14:15], v[6:7]
	v_mul_f64 v[6:7], v[12:13], v[6:7]
	s_delay_alu instid0(VALU_DEP_2) | instskip(NEXT) | instid1(VALU_DEP_2)
	v_fma_f64 v[34:35], v[12:13], v[4:5], -v[34:35]
	v_fma_f64 v[4:5], v[14:15], v[4:5], v[6:7]
	v_mul_f64 v[6:7], v[12:13], v[10:11]
	s_delay_alu instid0(VALU_DEP_3) | instskip(NEXT) | instid1(VALU_DEP_3)
	v_add_f64 v[30:31], v[30:31], v[34:35]
	v_add_f64 v[32:33], v[32:33], v[4:5]
	v_mul_f64 v[4:5], v[14:15], v[10:11]
	s_delay_alu instid0(VALU_DEP_4) | instskip(NEXT) | instid1(VALU_DEP_2)
	v_fma_f64 v[6:7], v[14:15], v[8:9], v[6:7]
	v_fma_f64 v[4:5], v[12:13], v[8:9], -v[4:5]
	s_delay_alu instid0(VALU_DEP_2) | instskip(NEXT) | instid1(VALU_DEP_2)
	;; [unrolled: 38-line block ×3, first 2 shown]
	v_add_f64 v[18:19], v[18:19], v[6:7]
	v_add_f64 v[16:17], v[16:17], v[4:5]
	ds_load_b128 v[4:7], v25 offset:64
	ds_load_b128 v[8:11], v24 offset:2048
	s_waitcnt lgkmcnt(0)
	v_mul_f64 v[12:13], v[6:7], v[10:11]
	v_mul_f64 v[14:15], v[4:5], v[10:11]
	s_delay_alu instid0(VALU_DEP_2) | instskip(NEXT) | instid1(VALU_DEP_2)
	v_fma_f64 v[12:13], v[4:5], v[8:9], -v[12:13]
	v_fma_f64 v[14:15], v[6:7], v[8:9], v[14:15]
	s_delay_alu instid0(VALU_DEP_2) | instskip(NEXT) | instid1(VALU_DEP_2)
	v_add_f64 v[34:35], v[34:35], v[12:13]
	v_add_f64 v[36:37], v[36:37], v[14:15]
	ds_load_b128 v[12:15], v24 offset:2304
	s_waitcnt lgkmcnt(0)
	v_mul_f64 v[38:39], v[6:7], v[14:15]
	s_delay_alu instid0(VALU_DEP_1) | instskip(SKIP_1) | instid1(VALU_DEP_2)
	v_fma_f64 v[38:39], v[4:5], v[12:13], -v[38:39]
	v_mul_f64 v[4:5], v[4:5], v[14:15]
	v_add_f64 v[28:29], v[28:29], v[38:39]
	s_delay_alu instid0(VALU_DEP_2) | instskip(NEXT) | instid1(VALU_DEP_1)
	v_fma_f64 v[4:5], v[6:7], v[12:13], v[4:5]
	v_add_f64 v[26:27], v[26:27], v[4:5]
	ds_load_b128 v[4:7], v25 offset:2112
	s_waitcnt lgkmcnt(0)
	v_mul_f64 v[38:39], v[6:7], v[10:11]
	v_mul_f64 v[10:11], v[4:5], v[10:11]
	s_delay_alu instid0(VALU_DEP_2) | instskip(NEXT) | instid1(VALU_DEP_2)
	v_fma_f64 v[38:39], v[4:5], v[8:9], -v[38:39]
	v_fma_f64 v[8:9], v[6:7], v[8:9], v[10:11]
	s_delay_alu instid0(VALU_DEP_2) | instskip(NEXT) | instid1(VALU_DEP_2)
	v_add_f64 v[30:31], v[30:31], v[38:39]
	v_add_f64 v[32:33], v[32:33], v[8:9]
	v_mul_f64 v[8:9], v[6:7], v[14:15]
	s_delay_alu instid0(VALU_DEP_1) | instskip(SKIP_1) | instid1(VALU_DEP_2)
	v_fma_f64 v[8:9], v[4:5], v[12:13], -v[8:9]
	v_mul_f64 v[4:5], v[4:5], v[14:15]
	v_add_f64 v[16:17], v[16:17], v[8:9]
	s_delay_alu instid0(VALU_DEP_2) | instskip(NEXT) | instid1(VALU_DEP_1)
	v_fma_f64 v[4:5], v[6:7], v[12:13], v[4:5]
	v_add_f64 v[18:19], v[18:19], v[4:5]
	ds_load_b128 v[4:7], v25 offset:80
	ds_load_b128 v[8:11], v24 offset:2560
	s_waitcnt lgkmcnt(0)
	v_mul_f64 v[12:13], v[6:7], v[10:11]
	v_mul_f64 v[14:15], v[4:5], v[10:11]
	s_delay_alu instid0(VALU_DEP_2) | instskip(NEXT) | instid1(VALU_DEP_2)
	v_fma_f64 v[12:13], v[4:5], v[8:9], -v[12:13]
	v_fma_f64 v[14:15], v[6:7], v[8:9], v[14:15]
	s_delay_alu instid0(VALU_DEP_2) | instskip(NEXT) | instid1(VALU_DEP_2)
	v_add_f64 v[34:35], v[34:35], v[12:13]
	v_add_f64 v[36:37], v[36:37], v[14:15]
	ds_load_b128 v[12:15], v24 offset:2816
	s_waitcnt lgkmcnt(0)
	v_mul_f64 v[38:39], v[6:7], v[14:15]
	s_delay_alu instid0(VALU_DEP_1) | instskip(SKIP_1) | instid1(VALU_DEP_2)
	v_fma_f64 v[38:39], v[4:5], v[12:13], -v[38:39]
	v_mul_f64 v[4:5], v[4:5], v[14:15]
	v_add_f64 v[28:29], v[28:29], v[38:39]
	s_delay_alu instid0(VALU_DEP_2) | instskip(NEXT) | instid1(VALU_DEP_1)
	v_fma_f64 v[4:5], v[6:7], v[12:13], v[4:5]
	v_add_f64 v[26:27], v[26:27], v[4:5]
	ds_load_b128 v[4:7], v25 offset:2128
	s_waitcnt lgkmcnt(0)
	v_mul_f64 v[38:39], v[6:7], v[10:11]
	v_mul_f64 v[10:11], v[4:5], v[10:11]
	s_delay_alu instid0(VALU_DEP_2) | instskip(NEXT) | instid1(VALU_DEP_2)
	v_fma_f64 v[38:39], v[4:5], v[8:9], -v[38:39]
	v_fma_f64 v[8:9], v[6:7], v[8:9], v[10:11]
	s_delay_alu instid0(VALU_DEP_2) | instskip(NEXT) | instid1(VALU_DEP_2)
	v_add_f64 v[30:31], v[30:31], v[38:39]
	v_add_f64 v[32:33], v[32:33], v[8:9]
	v_mul_f64 v[8:9], v[6:7], v[14:15]
	s_delay_alu instid0(VALU_DEP_1) | instskip(SKIP_1) | instid1(VALU_DEP_2)
	v_fma_f64 v[8:9], v[4:5], v[12:13], -v[8:9]
	v_mul_f64 v[4:5], v[4:5], v[14:15]
	v_add_f64 v[16:17], v[16:17], v[8:9]
	s_delay_alu instid0(VALU_DEP_2) | instskip(NEXT) | instid1(VALU_DEP_1)
	v_fma_f64 v[4:5], v[6:7], v[12:13], v[4:5]
	;; [unrolled: 39-line block ×3, first 2 shown]
	v_add_f64 v[48:49], v[18:19], v[4:5]
	ds_load_b128 v[4:7], v25 offset:112
	ds_load_b128 v[8:11], v24 offset:3584
	;; [unrolled: 1-line block ×4, first 2 shown]
	s_waitcnt lgkmcnt(0)
	s_barrier
	buffer_gl0_inv
	v_mul_f64 v[12:13], v[6:7], v[10:11]
	v_mul_f64 v[14:15], v[4:5], v[10:11]
	s_delay_alu instid0(VALU_DEP_2) | instskip(NEXT) | instid1(VALU_DEP_2)
	v_fma_f64 v[12:13], v[4:5], v[8:9], -v[12:13]
	v_fma_f64 v[14:15], v[6:7], v[8:9], v[14:15]
	s_delay_alu instid0(VALU_DEP_2) | instskip(SKIP_1) | instid1(VALU_DEP_3)
	v_add_f64 v[16:17], v[34:35], v[12:13]
	v_mul_f64 v[12:13], v[6:7], v[28:29]
	v_add_f64 v[18:19], v[36:37], v[14:15]
	s_delay_alu instid0(VALU_DEP_2) | instskip(SKIP_1) | instid1(VALU_DEP_1)
	v_fma_f64 v[12:13], v[4:5], v[26:27], -v[12:13]
	v_mul_f64 v[4:5], v[4:5], v[28:29]
	v_fma_f64 v[6:7], v[6:7], v[26:27], v[4:5]
	s_delay_alu instid0(VALU_DEP_3) | instskip(SKIP_2) | instid1(VALU_DEP_4)
	v_add_f64 v[4:5], v[38:39], v[12:13]
	v_mul_f64 v[12:13], v[32:33], v[10:11]
	v_mul_f64 v[10:11], v[30:31], v[10:11]
	v_add_f64 v[6:7], v[40:41], v[6:7]
	s_delay_alu instid0(VALU_DEP_3) | instskip(NEXT) | instid1(VALU_DEP_3)
	v_fma_f64 v[12:13], v[30:31], v[8:9], -v[12:13]
	v_fma_f64 v[8:9], v[32:33], v[8:9], v[10:11]
	v_mul_f64 v[10:11], v[30:31], v[28:29]
	s_delay_alu instid0(VALU_DEP_3) | instskip(NEXT) | instid1(VALU_DEP_3)
	v_add_f64 v[12:13], v[42:43], v[12:13]
	v_add_f64 v[14:15], v[44:45], v[8:9]
	v_mul_f64 v[8:9], v[32:33], v[28:29]
	s_delay_alu instid0(VALU_DEP_1) | instskip(SKIP_1) | instid1(VALU_DEP_2)
	v_fma_f64 v[8:9], v[30:31], v[26:27], -v[8:9]
	v_fma_f64 v[26:27], v[32:33], v[26:27], v[10:11]
	v_add_f64 v[10:11], v[46:47], v[8:9]
	s_delay_alu instid0(VALU_DEP_2)
	v_add_f64 v[8:9], v[48:49], v[26:27]
	s_cbranch_scc0 .LBB416_2
.LBB416_3:
	s_clause 0x2
	s_load_b32 s3, s[0:1], 0x60
	s_load_b64 s[8:9], s[0:1], 0x68
	s_load_b64 s[10:11], s[0:1], 0x58
	v_add_nc_u32_e32 v21, s13, v21
	v_add_nc_u32_e32 v0, s12, v20
	s_delay_alu instid0(VALU_DEP_2)
	v_cmp_gt_i32_e32 vcc_lo, s2, v21
	s_waitcnt lgkmcnt(0)
	v_mad_i64_i32 v[1:2], null, v21, s3, 0
	s_mul_i32 s1, s15, s9
	s_mul_hi_u32 s9, s15, s8
	s_mul_i32 s0, s15, s8
	s_add_i32 s1, s9, s1
	s_delay_alu instid0(SALU_CYCLE_1) | instskip(NEXT) | instid1(VALU_DEP_1)
	s_lshl_b64 s[8:9], s[0:1], 4
	v_lshlrev_b64 v[1:2], 4, v[1:2]
	s_add_u32 s8, s10, s8
	v_cmp_le_i32_e64 s0, v0, v21
	s_addc_u32 s9, s11, s9
	s_delay_alu instid0(VALU_DEP_2) | instskip(NEXT) | instid1(VALU_DEP_1)
	v_add_co_u32 v20, s1, s8, v1
	v_add_co_ci_u32_e64 v22, s1, s9, v2, s1
	s_delay_alu instid0(VALU_DEP_3) | instskip(NEXT) | instid1(SALU_CYCLE_1)
	s_and_b32 s0, vcc_lo, s0
	s_and_saveexec_b32 s10, s0
	s_cbranch_execz .LBB416_5
; %bb.4:
	v_mul_f64 v[1:2], s[4:5], v[18:19]
	v_mul_f64 v[18:19], s[6:7], v[18:19]
	v_cmp_ne_u32_e64 s0, v21, v0
	s_delay_alu instid0(VALU_DEP_3) | instskip(NEXT) | instid1(VALU_DEP_3)
	v_fma_f64 v[2:3], s[6:7], v[16:17], v[1:2]
	v_fma_f64 v[16:17], s[4:5], v[16:17], -v[18:19]
	v_ashrrev_i32_e32 v1, 31, v0
	s_delay_alu instid0(VALU_DEP_1) | instskip(NEXT) | instid1(VALU_DEP_1)
	v_lshlrev_b64 v[18:19], 4, v[0:1]
	v_add_co_u32 v23, s1, v20, v18
	s_delay_alu instid0(VALU_DEP_1)
	v_add_co_ci_u32_e64 v24, s1, v22, v19, s1
	v_cndmask_b32_e64 v19, 0, v3, s0
	v_cndmask_b32_e64 v18, 0, v2, s0
	global_store_b128 v[23:24], v[16:19], off
.LBB416_5:
	s_or_b32 exec_lo, exec_lo, s10
	v_add_nc_u32_e32 v2, 16, v0
	s_delay_alu instid0(VALU_DEP_1) | instskip(NEXT) | instid1(VALU_DEP_1)
	v_cmp_le_i32_e64 s0, v2, v21
	s_and_b32 s0, vcc_lo, s0
	s_delay_alu instid0(SALU_CYCLE_1)
	s_and_saveexec_b32 s1, s0
	s_cbranch_execz .LBB416_7
; %bb.6:
	v_mul_f64 v[16:17], s[4:5], v[6:7]
	v_mul_f64 v[6:7], s[6:7], v[6:7]
	v_ashrrev_i32_e32 v3, 31, v2
	v_cmp_ne_u32_e32 vcc_lo, v21, v2
	s_delay_alu instid0(VALU_DEP_4) | instskip(NEXT) | instid1(VALU_DEP_4)
	v_fma_f64 v[16:17], s[6:7], v[4:5], v[16:17]
	v_fma_f64 v[4:5], s[4:5], v[4:5], -v[6:7]
	s_delay_alu instid0(VALU_DEP_4) | instskip(NEXT) | instid1(VALU_DEP_1)
	v_lshlrev_b64 v[6:7], 4, v[2:3]
	v_add_co_u32 v18, s0, v20, v6
	s_delay_alu instid0(VALU_DEP_1)
	v_add_co_ci_u32_e64 v19, s0, v22, v7, s0
	v_dual_cndmask_b32 v7, 0, v17 :: v_dual_cndmask_b32 v6, 0, v16
	global_store_b128 v[18:19], v[4:7], off
.LBB416_7:
	s_or_b32 exec_lo, exec_lo, s1
	v_add_nc_u32_e32 v3, 16, v21
	s_delay_alu instid0(VALU_DEP_1) | instskip(SKIP_2) | instid1(VALU_DEP_1)
	v_mad_i64_i32 v[4:5], null, v3, s3, 0
	v_cmp_gt_i32_e32 vcc_lo, s2, v3
	v_cmp_le_i32_e64 s0, v0, v3
	s_and_b32 s0, vcc_lo, s0
	s_delay_alu instid0(VALU_DEP_3) | instskip(NEXT) | instid1(VALU_DEP_1)
	v_lshlrev_b64 v[4:5], 4, v[4:5]
	v_add_co_u32 v4, s1, s8, v4
	s_delay_alu instid0(VALU_DEP_1)
	v_add_co_ci_u32_e64 v5, s1, s9, v5, s1
	s_and_saveexec_b32 s2, s0
	s_cbranch_execz .LBB416_9
; %bb.8:
	v_mul_f64 v[6:7], s[4:5], v[14:15]
	v_mul_f64 v[14:15], s[6:7], v[14:15]
	v_ashrrev_i32_e32 v1, 31, v0
	v_cmp_ne_u32_e64 s0, v3, v0
	s_delay_alu instid0(VALU_DEP_4) | instskip(NEXT) | instid1(VALU_DEP_4)
	v_fma_f64 v[6:7], s[6:7], v[12:13], v[6:7]
	v_fma_f64 v[12:13], s[4:5], v[12:13], -v[14:15]
	s_delay_alu instid0(VALU_DEP_4) | instskip(NEXT) | instid1(VALU_DEP_1)
	v_lshlrev_b64 v[14:15], 4, v[0:1]
	v_add_co_u32 v16, s1, v4, v14
	s_delay_alu instid0(VALU_DEP_1)
	v_add_co_ci_u32_e64 v17, s1, v5, v15, s1
	v_cndmask_b32_e64 v15, 0, v7, s0
	v_cndmask_b32_e64 v14, 0, v6, s0
	global_store_b128 v[16:17], v[12:15], off
.LBB416_9:
	s_or_b32 exec_lo, exec_lo, s2
	v_cmp_le_i32_e64 s0, v2, v3
	s_delay_alu instid0(VALU_DEP_1) | instskip(NEXT) | instid1(SALU_CYCLE_1)
	s_and_b32 s0, vcc_lo, s0
	s_and_saveexec_b32 s1, s0
	s_cbranch_execz .LBB416_11
; %bb.10:
	v_mul_f64 v[6:7], s[4:5], v[8:9]
	v_mul_f64 v[8:9], s[6:7], v[8:9]
	v_ashrrev_i32_e32 v3, 31, v2
	v_cmp_ne_u32_e32 vcc_lo, v21, v0
	s_delay_alu instid0(VALU_DEP_2) | instskip(NEXT) | instid1(VALU_DEP_1)
	v_lshlrev_b64 v[1:2], 4, v[2:3]
	v_add_co_u32 v0, s0, v4, v1
	s_delay_alu instid0(VALU_DEP_1) | instskip(SKIP_2) | instid1(VALU_DEP_2)
	v_add_co_ci_u32_e64 v1, s0, v5, v2, s0
	v_fma_f64 v[12:13], s[6:7], v[10:11], v[6:7]
	v_fma_f64 v[6:7], s[4:5], v[10:11], -v[8:9]
	v_dual_cndmask_b32 v9, 0, v13 :: v_dual_cndmask_b32 v8, 0, v12
	global_store_b128 v[0:1], v[6:9], off
.LBB416_11:
	s_nop 0
	s_sendmsg sendmsg(MSG_DEALLOC_VGPRS)
	s_endpgm
	.section	.rodata,"a",@progbits
	.p2align	6, 0x0
	.amdhsa_kernel _ZL37rocblas_syrkx_herkx_restricted_kernelIi19rocblas_complex_numIdELi16ELi32ELi8ELb1ELb1ELc78ELc85EKS1_S1_EviT_T0_PT8_S3_lS6_S3_lS4_PT9_S3_li
		.amdhsa_group_segment_fixed_size 8192
		.amdhsa_private_segment_fixed_size 0
		.amdhsa_kernarg_size 116
		.amdhsa_user_sgpr_count 13
		.amdhsa_user_sgpr_dispatch_ptr 0
		.amdhsa_user_sgpr_queue_ptr 0
		.amdhsa_user_sgpr_kernarg_segment_ptr 1
		.amdhsa_user_sgpr_dispatch_id 0
		.amdhsa_user_sgpr_private_segment_size 0
		.amdhsa_wavefront_size32 1
		.amdhsa_uses_dynamic_stack 0
		.amdhsa_enable_private_segment 0
		.amdhsa_system_sgpr_workgroup_id_x 1
		.amdhsa_system_sgpr_workgroup_id_y 1
		.amdhsa_system_sgpr_workgroup_id_z 1
		.amdhsa_system_sgpr_workgroup_info 0
		.amdhsa_system_vgpr_workitem_id 1
		.amdhsa_next_free_vgpr 52
		.amdhsa_next_free_sgpr 25
		.amdhsa_reserve_vcc 1
		.amdhsa_float_round_mode_32 0
		.amdhsa_float_round_mode_16_64 0
		.amdhsa_float_denorm_mode_32 3
		.amdhsa_float_denorm_mode_16_64 3
		.amdhsa_dx10_clamp 1
		.amdhsa_ieee_mode 1
		.amdhsa_fp16_overflow 0
		.amdhsa_workgroup_processor_mode 1
		.amdhsa_memory_ordered 1
		.amdhsa_forward_progress 0
		.amdhsa_shared_vgpr_count 0
		.amdhsa_exception_fp_ieee_invalid_op 0
		.amdhsa_exception_fp_denorm_src 0
		.amdhsa_exception_fp_ieee_div_zero 0
		.amdhsa_exception_fp_ieee_overflow 0
		.amdhsa_exception_fp_ieee_underflow 0
		.amdhsa_exception_fp_ieee_inexact 0
		.amdhsa_exception_int_div_zero 0
	.end_amdhsa_kernel
	.section	.text._ZL37rocblas_syrkx_herkx_restricted_kernelIi19rocblas_complex_numIdELi16ELi32ELi8ELb1ELb1ELc78ELc85EKS1_S1_EviT_T0_PT8_S3_lS6_S3_lS4_PT9_S3_li,"axG",@progbits,_ZL37rocblas_syrkx_herkx_restricted_kernelIi19rocblas_complex_numIdELi16ELi32ELi8ELb1ELb1ELc78ELc85EKS1_S1_EviT_T0_PT8_S3_lS6_S3_lS4_PT9_S3_li,comdat
.Lfunc_end416:
	.size	_ZL37rocblas_syrkx_herkx_restricted_kernelIi19rocblas_complex_numIdELi16ELi32ELi8ELb1ELb1ELc78ELc85EKS1_S1_EviT_T0_PT8_S3_lS6_S3_lS4_PT9_S3_li, .Lfunc_end416-_ZL37rocblas_syrkx_herkx_restricted_kernelIi19rocblas_complex_numIdELi16ELi32ELi8ELb1ELb1ELc78ELc85EKS1_S1_EviT_T0_PT8_S3_lS6_S3_lS4_PT9_S3_li
                                        ; -- End function
	.section	.AMDGPU.csdata,"",@progbits
; Kernel info:
; codeLenInByte = 3432
; NumSgprs: 27
; NumVgprs: 52
; ScratchSize: 0
; MemoryBound: 0
; FloatMode: 240
; IeeeMode: 1
; LDSByteSize: 8192 bytes/workgroup (compile time only)
; SGPRBlocks: 3
; VGPRBlocks: 6
; NumSGPRsForWavesPerEU: 27
; NumVGPRsForWavesPerEU: 52
; Occupancy: 16
; WaveLimiterHint : 0
; COMPUTE_PGM_RSRC2:SCRATCH_EN: 0
; COMPUTE_PGM_RSRC2:USER_SGPR: 13
; COMPUTE_PGM_RSRC2:TRAP_HANDLER: 0
; COMPUTE_PGM_RSRC2:TGID_X_EN: 1
; COMPUTE_PGM_RSRC2:TGID_Y_EN: 1
; COMPUTE_PGM_RSRC2:TGID_Z_EN: 1
; COMPUTE_PGM_RSRC2:TIDIG_COMP_CNT: 1
	.section	.text._ZL37rocblas_syrkx_herkx_restricted_kernelIi19rocblas_complex_numIdELi16ELi32ELi8ELb0ELb1ELc84ELc76EKS1_S1_EviT_T0_PT8_S3_lS6_S3_lS4_PT9_S3_li,"axG",@progbits,_ZL37rocblas_syrkx_herkx_restricted_kernelIi19rocblas_complex_numIdELi16ELi32ELi8ELb0ELb1ELc84ELc76EKS1_S1_EviT_T0_PT8_S3_lS6_S3_lS4_PT9_S3_li,comdat
	.globl	_ZL37rocblas_syrkx_herkx_restricted_kernelIi19rocblas_complex_numIdELi16ELi32ELi8ELb0ELb1ELc84ELc76EKS1_S1_EviT_T0_PT8_S3_lS6_S3_lS4_PT9_S3_li ; -- Begin function _ZL37rocblas_syrkx_herkx_restricted_kernelIi19rocblas_complex_numIdELi16ELi32ELi8ELb0ELb1ELc84ELc76EKS1_S1_EviT_T0_PT8_S3_lS6_S3_lS4_PT9_S3_li
	.p2align	8
	.type	_ZL37rocblas_syrkx_herkx_restricted_kernelIi19rocblas_complex_numIdELi16ELi32ELi8ELb0ELb1ELc84ELc76EKS1_S1_EviT_T0_PT8_S3_lS6_S3_lS4_PT9_S3_li,@function
_ZL37rocblas_syrkx_herkx_restricted_kernelIi19rocblas_complex_numIdELi16ELi32ELi8ELb0ELb1ELc84ELc76EKS1_S1_EviT_T0_PT8_S3_lS6_S3_lS4_PT9_S3_li: ; @_ZL37rocblas_syrkx_herkx_restricted_kernelIi19rocblas_complex_numIdELi16ELi32ELi8ELb0ELb1ELc84ELc76EKS1_S1_EviT_T0_PT8_S3_lS6_S3_lS4_PT9_S3_li
; %bb.0:
	s_clause 0x3
	s_load_b64 s[2:3], s[0:1], 0x0
	s_load_b128 s[16:19], s[0:1], 0x8
	s_load_b64 s[24:25], s[0:1], 0x18
	s_load_b256 s[4:11], s[0:1], 0x40
	v_mov_b32_e32 v16, 0
	v_dual_mov_b32 v17, 0 :: v_dual_and_b32 v20, 0x3ff, v0
	v_bfe_u32 v21, v0, 10, 10
	s_delay_alu instid0(VALU_DEP_3) | instskip(NEXT) | instid1(VALU_DEP_3)
	v_mov_b32_e32 v6, v16
	v_dual_mov_b32 v10, v16 :: v_dual_mov_b32 v11, v17
	v_dual_mov_b32 v19, v17 :: v_dual_mov_b32 v18, v16
	;; [unrolled: 1-line block ×6, first 2 shown]
	v_mov_b32_e32 v5, v17
	s_lshl_b32 s12, s13, 5
	s_lshl_b32 s13, s14, 5
	s_waitcnt lgkmcnt(0)
	s_cmp_lt_i32 s3, 1
	s_mov_b32 s14, 0
	s_cbranch_scc1 .LBB417_3
; %bb.1:
	s_clause 0x2
	s_load_b128 s[20:23], s[0:1], 0x28
	s_load_b32 s26, s[0:1], 0x20
	s_load_b32 s27, s[0:1], 0x38
	v_lshl_add_u32 v2, v21, 4, v20
	v_dual_mov_b32 v1, 0 :: v_dual_and_b32 v0, 7, v20
	s_mul_i32 s5, s5, s15
	v_lshlrev_b32_e32 v22, 4, v20
	s_delay_alu instid0(VALU_DEP_3) | instskip(SKIP_3) | instid1(VALU_DEP_4)
	v_and_b32_e32 v4, 31, v2
	v_lshrrev_b32_e32 v5, 3, v2
	v_dual_mov_b32 v3, v1 :: v_dual_lshlrev_b32 v6, 4, v0
	v_lshrrev_b32_e32 v2, 5, v2
	v_add_nc_u32_e32 v9, s12, v4
	v_lshlrev_b32_e32 v7, 4, v4
	v_add_nc_u32_e32 v8, s13, v5
	v_lshl_or_b32 v6, v5, 7, v6
	v_lshl_add_u32 v25, v21, 7, 0x1000
	s_delay_alu instid0(VALU_DEP_4)
	v_lshl_or_b32 v23, v2, 9, v7
	s_waitcnt lgkmcnt(0)
	s_mul_i32 s21, s21, s15
	v_mad_i64_i32 v[4:5], null, s26, v9, v[2:3]
	s_mul_hi_u32 s28, s20, s15
	v_mad_i64_i32 v[2:3], null, s27, v8, v[0:1]
	s_mul_i32 s20, s20, s15
	s_add_i32 s21, s28, s21
	s_delay_alu instid0(SALU_CYCLE_1) | instskip(NEXT) | instid1(VALU_DEP_2)
	s_lshl_b64 s[20:21], s[20:21], 4
	v_lshlrev_b64 v[0:1], 4, v[4:5]
	s_add_u32 s20, s24, s20
	s_mul_hi_u32 s24, s4, s15
	s_addc_u32 s21, s25, s21
	s_add_i32 s5, s24, s5
	s_mul_i32 s4, s4, s15
	v_lshlrev_b64 v[2:3], 4, v[2:3]
	s_lshl_b64 s[4:5], s[4:5], 4
	v_add_co_u32 v0, vcc_lo, s20, v0
	s_add_u32 s4, s22, s4
	v_add_co_ci_u32_e32 v1, vcc_lo, s21, v1, vcc_lo
	v_mov_b32_e32 v4, 0
	s_addc_u32 s5, s23, s5
	v_add_co_u32 v2, vcc_lo, s4, v2
	v_mov_b32_e32 v5, 0
	v_add_co_ci_u32_e32 v3, vcc_lo, s5, v3, vcc_lo
	v_add_co_u32 v0, vcc_lo, v0, 8
	s_delay_alu instid0(VALU_DEP_3)
	v_dual_mov_b32 v15, v5 :: v_dual_add_nc_u32 v24, 0x1000, v6
	v_mov_b32_e32 v13, v5
	v_add_co_ci_u32_e32 v1, vcc_lo, 0, v1, vcc_lo
	v_add_co_u32 v2, vcc_lo, v2, 8
	v_dual_mov_b32 v14, v4 :: v_dual_mov_b32 v11, v5
	v_dual_mov_b32 v12, v4 :: v_dual_mov_b32 v7, v5
	;; [unrolled: 1-line block ×4, first 2 shown]
	v_mov_b32_e32 v17, v5
	v_add_co_ci_u32_e32 v3, vcc_lo, 0, v3, vcc_lo
	v_mov_b32_e32 v8, v4
	v_mov_b32_e32 v18, v4
	;; [unrolled: 1-line block ×3, first 2 shown]
.LBB417_2:                              ; =>This Inner Loop Header: Depth=1
	global_load_b128 v[26:29], v[0:1], off offset:-8
	v_add_co_u32 v0, vcc_lo, 0x80, v0
	v_add_co_ci_u32_e32 v1, vcc_lo, 0, v1, vcc_lo
	s_add_i32 s14, s14, 8
	s_delay_alu instid0(SALU_CYCLE_1)
	s_cmp_ge_i32 s14, s3
	s_waitcnt vmcnt(0)
	ds_store_b128 v23, v[26:29]
	global_load_b128 v[26:29], v[2:3], off offset:-8
	v_add_co_u32 v2, vcc_lo, 0x80, v2
	v_add_co_ci_u32_e32 v3, vcc_lo, 0, v3, vcc_lo
	s_waitcnt vmcnt(0)
	ds_store_b128 v24, v[26:29]
	s_waitcnt lgkmcnt(0)
	s_barrier
	buffer_gl0_inv
	ds_load_b128 v[26:29], v25
	ds_load_b128 v[30:33], v25 offset:16
	ds_load_b128 v[34:37], v25 offset:32
	;; [unrolled: 1-line block ×3, first 2 shown]
	ds_load_b128 v[42:45], v22
	s_waitcnt lgkmcnt(0)
	v_mul_f64 v[46:47], v[28:29], v[44:45]
	v_mul_f64 v[48:49], v[26:27], v[44:45]
	s_delay_alu instid0(VALU_DEP_2) | instskip(NEXT) | instid1(VALU_DEP_2)
	v_fma_f64 v[46:47], v[26:27], v[42:43], -v[46:47]
	v_fma_f64 v[48:49], v[28:29], v[42:43], v[48:49]
	s_delay_alu instid0(VALU_DEP_2) | instskip(NEXT) | instid1(VALU_DEP_2)
	v_add_f64 v[46:47], v[16:17], v[46:47]
	v_add_f64 v[48:49], v[18:19], v[48:49]
	ds_load_b128 v[16:19], v22 offset:256
	s_waitcnt lgkmcnt(0)
	v_mul_f64 v[50:51], v[28:29], v[18:19]
	s_delay_alu instid0(VALU_DEP_1) | instskip(SKIP_1) | instid1(VALU_DEP_2)
	v_fma_f64 v[50:51], v[26:27], v[16:17], -v[50:51]
	v_mul_f64 v[26:27], v[26:27], v[18:19]
	v_add_f64 v[50:51], v[6:7], v[50:51]
	s_delay_alu instid0(VALU_DEP_2) | instskip(NEXT) | instid1(VALU_DEP_1)
	v_fma_f64 v[26:27], v[28:29], v[16:17], v[26:27]
	v_add_f64 v[52:53], v[10:11], v[26:27]
	ds_load_b128 v[26:29], v25 offset:2048
	s_waitcnt lgkmcnt(0)
	v_mul_f64 v[6:7], v[28:29], v[44:45]
	v_mul_f64 v[10:11], v[26:27], v[44:45]
	s_delay_alu instid0(VALU_DEP_2) | instskip(NEXT) | instid1(VALU_DEP_2)
	v_fma_f64 v[6:7], v[26:27], v[42:43], -v[6:7]
	v_fma_f64 v[10:11], v[28:29], v[42:43], v[10:11]
	s_delay_alu instid0(VALU_DEP_2) | instskip(NEXT) | instid1(VALU_DEP_2)
	v_add_f64 v[42:43], v[12:13], v[6:7]
	v_add_f64 v[44:45], v[14:15], v[10:11]
	v_mul_f64 v[6:7], v[28:29], v[18:19]
	v_mul_f64 v[10:11], v[26:27], v[18:19]
	s_delay_alu instid0(VALU_DEP_2) | instskip(NEXT) | instid1(VALU_DEP_2)
	v_fma_f64 v[6:7], v[26:27], v[16:17], -v[6:7]
	v_fma_f64 v[10:11], v[28:29], v[16:17], v[10:11]
	s_delay_alu instid0(VALU_DEP_2) | instskip(NEXT) | instid1(VALU_DEP_2)
	v_add_f64 v[16:17], v[8:9], v[6:7]
	v_add_f64 v[18:19], v[4:5], v[10:11]
	ds_load_b128 v[4:7], v22 offset:512
	s_waitcnt lgkmcnt(0)
	v_mul_f64 v[8:9], v[32:33], v[6:7]
	v_mul_f64 v[10:11], v[30:31], v[6:7]
	s_delay_alu instid0(VALU_DEP_2) | instskip(NEXT) | instid1(VALU_DEP_2)
	v_fma_f64 v[8:9], v[30:31], v[4:5], -v[8:9]
	v_fma_f64 v[10:11], v[32:33], v[4:5], v[10:11]
	s_delay_alu instid0(VALU_DEP_2) | instskip(NEXT) | instid1(VALU_DEP_2)
	v_add_f64 v[26:27], v[46:47], v[8:9]
	v_add_f64 v[28:29], v[48:49], v[10:11]
	ds_load_b128 v[8:11], v22 offset:768
	s_waitcnt lgkmcnt(0)
	;; [unrolled: 10-line block ×3, first 2 shown]
	v_mul_f64 v[46:47], v[14:15], v[6:7]
	v_mul_f64 v[6:7], v[12:13], v[6:7]
	s_delay_alu instid0(VALU_DEP_2) | instskip(NEXT) | instid1(VALU_DEP_2)
	v_fma_f64 v[46:47], v[12:13], v[4:5], -v[46:47]
	v_fma_f64 v[4:5], v[14:15], v[4:5], v[6:7]
	v_mul_f64 v[6:7], v[12:13], v[10:11]
	s_delay_alu instid0(VALU_DEP_3) | instskip(NEXT) | instid1(VALU_DEP_3)
	v_add_f64 v[42:43], v[42:43], v[46:47]
	v_add_f64 v[44:45], v[44:45], v[4:5]
	v_mul_f64 v[4:5], v[14:15], v[10:11]
	s_delay_alu instid0(VALU_DEP_4) | instskip(NEXT) | instid1(VALU_DEP_2)
	v_fma_f64 v[6:7], v[14:15], v[8:9], v[6:7]
	v_fma_f64 v[4:5], v[12:13], v[8:9], -v[4:5]
	s_delay_alu instid0(VALU_DEP_2) | instskip(NEXT) | instid1(VALU_DEP_2)
	v_add_f64 v[18:19], v[18:19], v[6:7]
	v_add_f64 v[16:17], v[16:17], v[4:5]
	ds_load_b128 v[4:7], v22 offset:1024
	s_waitcnt lgkmcnt(0)
	v_mul_f64 v[8:9], v[36:37], v[6:7]
	v_mul_f64 v[10:11], v[34:35], v[6:7]
	s_delay_alu instid0(VALU_DEP_2) | instskip(NEXT) | instid1(VALU_DEP_2)
	v_fma_f64 v[8:9], v[34:35], v[4:5], -v[8:9]
	v_fma_f64 v[10:11], v[36:37], v[4:5], v[10:11]
	s_delay_alu instid0(VALU_DEP_2) | instskip(NEXT) | instid1(VALU_DEP_2)
	v_add_f64 v[26:27], v[26:27], v[8:9]
	v_add_f64 v[28:29], v[28:29], v[10:11]
	ds_load_b128 v[8:11], v22 offset:1280
	s_waitcnt lgkmcnt(0)
	v_mul_f64 v[12:13], v[36:37], v[10:11]
	v_mul_f64 v[14:15], v[34:35], v[10:11]
	s_delay_alu instid0(VALU_DEP_2) | instskip(NEXT) | instid1(VALU_DEP_2)
	v_fma_f64 v[12:13], v[34:35], v[8:9], -v[12:13]
	v_fma_f64 v[14:15], v[36:37], v[8:9], v[14:15]
	s_delay_alu instid0(VALU_DEP_2) | instskip(NEXT) | instid1(VALU_DEP_2)
	v_add_f64 v[30:31], v[30:31], v[12:13]
	v_add_f64 v[32:33], v[32:33], v[14:15]
	ds_load_b128 v[12:15], v25 offset:2080
	s_waitcnt lgkmcnt(0)
	v_mul_f64 v[34:35], v[14:15], v[6:7]
	v_mul_f64 v[6:7], v[12:13], v[6:7]
	s_delay_alu instid0(VALU_DEP_2) | instskip(NEXT) | instid1(VALU_DEP_2)
	v_fma_f64 v[34:35], v[12:13], v[4:5], -v[34:35]
	v_fma_f64 v[4:5], v[14:15], v[4:5], v[6:7]
	v_mul_f64 v[6:7], v[12:13], v[10:11]
	s_delay_alu instid0(VALU_DEP_3) | instskip(NEXT) | instid1(VALU_DEP_3)
	v_add_f64 v[34:35], v[42:43], v[34:35]
	v_add_f64 v[36:37], v[44:45], v[4:5]
	v_mul_f64 v[4:5], v[14:15], v[10:11]
	s_delay_alu instid0(VALU_DEP_4) | instskip(NEXT) | instid1(VALU_DEP_2)
	v_fma_f64 v[6:7], v[14:15], v[8:9], v[6:7]
	v_fma_f64 v[4:5], v[12:13], v[8:9], -v[4:5]
	s_delay_alu instid0(VALU_DEP_2) | instskip(NEXT) | instid1(VALU_DEP_2)
	v_add_f64 v[18:19], v[18:19], v[6:7]
	v_add_f64 v[16:17], v[16:17], v[4:5]
	ds_load_b128 v[4:7], v22 offset:1536
	s_waitcnt lgkmcnt(0)
	v_mul_f64 v[8:9], v[40:41], v[6:7]
	v_mul_f64 v[10:11], v[38:39], v[6:7]
	s_delay_alu instid0(VALU_DEP_2) | instskip(NEXT) | instid1(VALU_DEP_2)
	v_fma_f64 v[8:9], v[38:39], v[4:5], -v[8:9]
	v_fma_f64 v[10:11], v[40:41], v[4:5], v[10:11]
	s_delay_alu instid0(VALU_DEP_2) | instskip(NEXT) | instid1(VALU_DEP_2)
	v_add_f64 v[26:27], v[26:27], v[8:9]
	v_add_f64 v[28:29], v[28:29], v[10:11]
	ds_load_b128 v[8:11], v22 offset:1792
	s_waitcnt lgkmcnt(0)
	v_mul_f64 v[12:13], v[40:41], v[10:11]
	v_mul_f64 v[14:15], v[38:39], v[10:11]
	s_delay_alu instid0(VALU_DEP_2) | instskip(NEXT) | instid1(VALU_DEP_2)
	v_fma_f64 v[12:13], v[38:39], v[8:9], -v[12:13]
	v_fma_f64 v[14:15], v[40:41], v[8:9], v[14:15]
	;; [unrolled: 10-line block ×3, first 2 shown]
	v_mul_f64 v[6:7], v[12:13], v[10:11]
	s_delay_alu instid0(VALU_DEP_3) | instskip(NEXT) | instid1(VALU_DEP_3)
	v_add_f64 v[34:35], v[34:35], v[38:39]
	v_add_f64 v[36:37], v[36:37], v[4:5]
	v_mul_f64 v[4:5], v[14:15], v[10:11]
	s_delay_alu instid0(VALU_DEP_4) | instskip(NEXT) | instid1(VALU_DEP_2)
	v_fma_f64 v[6:7], v[14:15], v[8:9], v[6:7]
	v_fma_f64 v[4:5], v[12:13], v[8:9], -v[4:5]
	s_delay_alu instid0(VALU_DEP_2) | instskip(NEXT) | instid1(VALU_DEP_2)
	v_add_f64 v[18:19], v[18:19], v[6:7]
	v_add_f64 v[16:17], v[16:17], v[4:5]
	ds_load_b128 v[4:7], v25 offset:64
	ds_load_b128 v[8:11], v22 offset:2048
	s_waitcnt lgkmcnt(0)
	v_mul_f64 v[12:13], v[6:7], v[10:11]
	v_mul_f64 v[14:15], v[4:5], v[10:11]
	s_delay_alu instid0(VALU_DEP_2) | instskip(NEXT) | instid1(VALU_DEP_2)
	v_fma_f64 v[12:13], v[4:5], v[8:9], -v[12:13]
	v_fma_f64 v[14:15], v[6:7], v[8:9], v[14:15]
	s_delay_alu instid0(VALU_DEP_2) | instskip(NEXT) | instid1(VALU_DEP_2)
	v_add_f64 v[26:27], v[26:27], v[12:13]
	v_add_f64 v[28:29], v[28:29], v[14:15]
	ds_load_b128 v[12:15], v22 offset:2304
	s_waitcnt lgkmcnt(0)
	v_mul_f64 v[38:39], v[6:7], v[14:15]
	s_delay_alu instid0(VALU_DEP_1) | instskip(SKIP_1) | instid1(VALU_DEP_2)
	v_fma_f64 v[38:39], v[4:5], v[12:13], -v[38:39]
	v_mul_f64 v[4:5], v[4:5], v[14:15]
	v_add_f64 v[30:31], v[30:31], v[38:39]
	s_delay_alu instid0(VALU_DEP_2) | instskip(NEXT) | instid1(VALU_DEP_1)
	v_fma_f64 v[4:5], v[6:7], v[12:13], v[4:5]
	v_add_f64 v[32:33], v[32:33], v[4:5]
	ds_load_b128 v[4:7], v25 offset:2112
	s_waitcnt lgkmcnt(0)
	v_mul_f64 v[38:39], v[6:7], v[10:11]
	v_mul_f64 v[10:11], v[4:5], v[10:11]
	s_delay_alu instid0(VALU_DEP_2) | instskip(NEXT) | instid1(VALU_DEP_2)
	v_fma_f64 v[38:39], v[4:5], v[8:9], -v[38:39]
	v_fma_f64 v[8:9], v[6:7], v[8:9], v[10:11]
	s_delay_alu instid0(VALU_DEP_2) | instskip(NEXT) | instid1(VALU_DEP_2)
	v_add_f64 v[34:35], v[34:35], v[38:39]
	v_add_f64 v[36:37], v[36:37], v[8:9]
	v_mul_f64 v[8:9], v[6:7], v[14:15]
	s_delay_alu instid0(VALU_DEP_1) | instskip(SKIP_1) | instid1(VALU_DEP_2)
	v_fma_f64 v[8:9], v[4:5], v[12:13], -v[8:9]
	v_mul_f64 v[4:5], v[4:5], v[14:15]
	v_add_f64 v[16:17], v[16:17], v[8:9]
	s_delay_alu instid0(VALU_DEP_2) | instskip(NEXT) | instid1(VALU_DEP_1)
	v_fma_f64 v[4:5], v[6:7], v[12:13], v[4:5]
	v_add_f64 v[18:19], v[18:19], v[4:5]
	ds_load_b128 v[4:7], v25 offset:80
	ds_load_b128 v[8:11], v22 offset:2560
	s_waitcnt lgkmcnt(0)
	v_mul_f64 v[12:13], v[6:7], v[10:11]
	v_mul_f64 v[14:15], v[4:5], v[10:11]
	s_delay_alu instid0(VALU_DEP_2) | instskip(NEXT) | instid1(VALU_DEP_2)
	v_fma_f64 v[12:13], v[4:5], v[8:9], -v[12:13]
	v_fma_f64 v[14:15], v[6:7], v[8:9], v[14:15]
	s_delay_alu instid0(VALU_DEP_2) | instskip(NEXT) | instid1(VALU_DEP_2)
	v_add_f64 v[26:27], v[26:27], v[12:13]
	v_add_f64 v[28:29], v[28:29], v[14:15]
	ds_load_b128 v[12:15], v22 offset:2816
	s_waitcnt lgkmcnt(0)
	v_mul_f64 v[38:39], v[6:7], v[14:15]
	s_delay_alu instid0(VALU_DEP_1) | instskip(SKIP_1) | instid1(VALU_DEP_2)
	v_fma_f64 v[38:39], v[4:5], v[12:13], -v[38:39]
	v_mul_f64 v[4:5], v[4:5], v[14:15]
	v_add_f64 v[30:31], v[30:31], v[38:39]
	s_delay_alu instid0(VALU_DEP_2) | instskip(NEXT) | instid1(VALU_DEP_1)
	v_fma_f64 v[4:5], v[6:7], v[12:13], v[4:5]
	v_add_f64 v[32:33], v[32:33], v[4:5]
	ds_load_b128 v[4:7], v25 offset:2128
	s_waitcnt lgkmcnt(0)
	v_mul_f64 v[38:39], v[6:7], v[10:11]
	v_mul_f64 v[10:11], v[4:5], v[10:11]
	s_delay_alu instid0(VALU_DEP_2) | instskip(NEXT) | instid1(VALU_DEP_2)
	v_fma_f64 v[38:39], v[4:5], v[8:9], -v[38:39]
	v_fma_f64 v[8:9], v[6:7], v[8:9], v[10:11]
	s_delay_alu instid0(VALU_DEP_2) | instskip(NEXT) | instid1(VALU_DEP_2)
	v_add_f64 v[34:35], v[34:35], v[38:39]
	v_add_f64 v[36:37], v[36:37], v[8:9]
	v_mul_f64 v[8:9], v[6:7], v[14:15]
	s_delay_alu instid0(VALU_DEP_1) | instskip(SKIP_1) | instid1(VALU_DEP_2)
	v_fma_f64 v[8:9], v[4:5], v[12:13], -v[8:9]
	v_mul_f64 v[4:5], v[4:5], v[14:15]
	v_add_f64 v[16:17], v[16:17], v[8:9]
	s_delay_alu instid0(VALU_DEP_2) | instskip(NEXT) | instid1(VALU_DEP_1)
	v_fma_f64 v[4:5], v[6:7], v[12:13], v[4:5]
	v_add_f64 v[18:19], v[18:19], v[4:5]
	ds_load_b128 v[4:7], v25 offset:96
	ds_load_b128 v[8:11], v22 offset:3072
	s_waitcnt lgkmcnt(0)
	v_mul_f64 v[12:13], v[6:7], v[10:11]
	v_mul_f64 v[14:15], v[4:5], v[10:11]
	s_delay_alu instid0(VALU_DEP_2) | instskip(NEXT) | instid1(VALU_DEP_2)
	v_fma_f64 v[12:13], v[4:5], v[8:9], -v[12:13]
	v_fma_f64 v[14:15], v[6:7], v[8:9], v[14:15]
	s_delay_alu instid0(VALU_DEP_2) | instskip(NEXT) | instid1(VALU_DEP_2)
	v_add_f64 v[26:27], v[26:27], v[12:13]
	v_add_f64 v[28:29], v[28:29], v[14:15]
	ds_load_b128 v[12:15], v22 offset:3328
	s_waitcnt lgkmcnt(0)
	v_mul_f64 v[38:39], v[6:7], v[14:15]
	s_delay_alu instid0(VALU_DEP_1) | instskip(SKIP_1) | instid1(VALU_DEP_2)
	v_fma_f64 v[38:39], v[4:5], v[12:13], -v[38:39]
	v_mul_f64 v[4:5], v[4:5], v[14:15]
	v_add_f64 v[30:31], v[30:31], v[38:39]
	s_delay_alu instid0(VALU_DEP_2) | instskip(NEXT) | instid1(VALU_DEP_1)
	v_fma_f64 v[4:5], v[6:7], v[12:13], v[4:5]
	v_add_f64 v[32:33], v[32:33], v[4:5]
	ds_load_b128 v[4:7], v25 offset:2144
	s_waitcnt lgkmcnt(0)
	v_mul_f64 v[38:39], v[6:7], v[10:11]
	v_mul_f64 v[10:11], v[4:5], v[10:11]
	s_delay_alu instid0(VALU_DEP_2) | instskip(NEXT) | instid1(VALU_DEP_2)
	v_fma_f64 v[38:39], v[4:5], v[8:9], -v[38:39]
	v_fma_f64 v[8:9], v[6:7], v[8:9], v[10:11]
	v_mul_f64 v[10:11], v[6:7], v[14:15]
	s_delay_alu instid0(VALU_DEP_3) | instskip(NEXT) | instid1(VALU_DEP_3)
	v_add_f64 v[34:35], v[34:35], v[38:39]
	v_add_f64 v[8:9], v[36:37], v[8:9]
	s_delay_alu instid0(VALU_DEP_3) | instskip(SKIP_1) | instid1(VALU_DEP_2)
	v_fma_f64 v[10:11], v[4:5], v[12:13], -v[10:11]
	v_mul_f64 v[4:5], v[4:5], v[14:15]
	v_add_f64 v[36:37], v[16:17], v[10:11]
	s_delay_alu instid0(VALU_DEP_2) | instskip(NEXT) | instid1(VALU_DEP_1)
	v_fma_f64 v[4:5], v[6:7], v[12:13], v[4:5]
	v_add_f64 v[38:39], v[18:19], v[4:5]
	ds_load_b128 v[4:7], v25 offset:112
	ds_load_b128 v[12:15], v22 offset:3584
	s_waitcnt lgkmcnt(0)
	v_mul_f64 v[10:11], v[6:7], v[14:15]
	v_mul_f64 v[16:17], v[4:5], v[14:15]
	s_delay_alu instid0(VALU_DEP_2) | instskip(NEXT) | instid1(VALU_DEP_2)
	v_fma_f64 v[10:11], v[4:5], v[12:13], -v[10:11]
	v_fma_f64 v[18:19], v[6:7], v[12:13], v[16:17]
	s_delay_alu instid0(VALU_DEP_2) | instskip(NEXT) | instid1(VALU_DEP_2)
	v_add_f64 v[16:17], v[26:27], v[10:11]
	v_add_f64 v[18:19], v[28:29], v[18:19]
	ds_load_b128 v[26:29], v22 offset:3840
	s_waitcnt lgkmcnt(0)
	v_mul_f64 v[10:11], v[6:7], v[28:29]
	s_delay_alu instid0(VALU_DEP_1) | instskip(SKIP_1) | instid1(VALU_DEP_1)
	v_fma_f64 v[10:11], v[4:5], v[26:27], -v[10:11]
	v_mul_f64 v[4:5], v[4:5], v[28:29]
	v_fma_f64 v[4:5], v[6:7], v[26:27], v[4:5]
	s_delay_alu instid0(VALU_DEP_3) | instskip(NEXT) | instid1(VALU_DEP_2)
	v_add_f64 v[6:7], v[30:31], v[10:11]
	v_add_f64 v[10:11], v[32:33], v[4:5]
	ds_load_b128 v[30:33], v25 offset:2160
	s_waitcnt lgkmcnt(0)
	s_barrier
	buffer_gl0_inv
	v_mul_f64 v[4:5], v[32:33], v[14:15]
	v_mul_f64 v[14:15], v[30:31], v[14:15]
	s_delay_alu instid0(VALU_DEP_2) | instskip(NEXT) | instid1(VALU_DEP_2)
	v_fma_f64 v[4:5], v[30:31], v[12:13], -v[4:5]
	v_fma_f64 v[14:15], v[32:33], v[12:13], v[14:15]
	s_delay_alu instid0(VALU_DEP_2) | instskip(NEXT) | instid1(VALU_DEP_2)
	v_add_f64 v[12:13], v[34:35], v[4:5]
	v_add_f64 v[14:15], v[8:9], v[14:15]
	v_mul_f64 v[4:5], v[32:33], v[28:29]
	v_mul_f64 v[8:9], v[30:31], v[28:29]
	s_delay_alu instid0(VALU_DEP_2) | instskip(NEXT) | instid1(VALU_DEP_2)
	v_fma_f64 v[4:5], v[30:31], v[26:27], -v[4:5]
	v_fma_f64 v[26:27], v[32:33], v[26:27], v[8:9]
	s_delay_alu instid0(VALU_DEP_2) | instskip(NEXT) | instid1(VALU_DEP_2)
	v_add_f64 v[8:9], v[36:37], v[4:5]
	v_add_f64 v[4:5], v[38:39], v[26:27]
	s_cbranch_scc0 .LBB417_2
.LBB417_3:
	s_clause 0x1
	s_load_b32 s3, s[0:1], 0x60
	s_load_b64 s[4:5], s[0:1], 0x68
	v_add_nc_u32_e32 v21, s13, v21
	v_add_nc_u32_e32 v0, s12, v20
	s_delay_alu instid0(VALU_DEP_1)
	v_cmp_le_i32_e64 s0, v21, v0
	v_cmp_gt_i32_e32 vcc_lo, s2, v0
	s_waitcnt lgkmcnt(0)
	v_mad_i64_i32 v[1:2], null, v21, s3, 0
	s_mul_i32 s1, s15, s5
	s_mul_hi_u32 s5, s15, s4
	s_mul_i32 s4, s15, s4
	s_add_i32 s5, s5, s1
	s_delay_alu instid0(SALU_CYCLE_1) | instskip(NEXT) | instid1(VALU_DEP_1)
	s_lshl_b64 s[4:5], s[4:5], 4
	v_lshlrev_b64 v[1:2], 4, v[1:2]
	s_add_u32 s4, s10, s4
	s_addc_u32 s5, s11, s5
	s_and_b32 s0, s0, vcc_lo
	s_delay_alu instid0(VALU_DEP_1) | instskip(NEXT) | instid1(VALU_DEP_1)
	v_add_co_u32 v20, s1, s4, v1
	v_add_co_ci_u32_e64 v22, s1, s5, v2, s1
	s_and_saveexec_b32 s1, s0
	s_cbranch_execz .LBB417_5
; %bb.4:
	v_ashrrev_i32_e32 v1, 31, v0
	v_mul_f64 v[27:28], s[16:17], v[18:19]
	v_mul_f64 v[18:19], s[18:19], v[18:19]
	s_delay_alu instid0(VALU_DEP_3) | instskip(NEXT) | instid1(VALU_DEP_1)
	v_lshlrev_b64 v[1:2], 4, v[0:1]
	v_add_co_u32 v1, s0, v20, v1
	s_delay_alu instid0(VALU_DEP_1)
	v_add_co_ci_u32_e64 v2, s0, v22, v2, s0
	v_cmp_ne_u32_e64 s0, v21, v0
	global_load_b128 v[23:26], v[1:2], off
	v_fma_f64 v[27:28], s[18:19], v[16:17], v[27:28]
	v_fma_f64 v[16:17], s[16:17], v[16:17], -v[18:19]
	s_waitcnt vmcnt(0)
	v_mul_f64 v[29:30], s[6:7], v[25:26]
	v_mul_f64 v[25:26], s[8:9], v[25:26]
	s_delay_alu instid0(VALU_DEP_2) | instskip(NEXT) | instid1(VALU_DEP_2)
	v_fma_f64 v[29:30], s[8:9], v[23:24], v[29:30]
	v_fma_f64 v[18:19], s[6:7], v[23:24], -v[25:26]
	s_delay_alu instid0(VALU_DEP_2) | instskip(NEXT) | instid1(VALU_DEP_2)
	v_add_f64 v[23:24], v[27:28], v[29:30]
	v_add_f64 v[16:17], v[16:17], v[18:19]
	s_delay_alu instid0(VALU_DEP_2) | instskip(NEXT) | instid1(VALU_DEP_3)
	v_cndmask_b32_e64 v19, 0, v24, s0
	v_cndmask_b32_e64 v18, 0, v23, s0
	global_store_b128 v[1:2], v[16:19], off
.LBB417_5:
	s_or_b32 exec_lo, exec_lo, s1
	v_add_nc_u32_e32 v2, 16, v0
	s_delay_alu instid0(VALU_DEP_1) | instskip(SKIP_1) | instid1(VALU_DEP_1)
	v_cmp_le_i32_e64 s1, v21, v2
	v_cmp_gt_i32_e64 s0, s2, v2
	s_and_b32 s1, s1, s0
	s_delay_alu instid0(SALU_CYCLE_1)
	s_and_saveexec_b32 s2, s1
	s_cbranch_execz .LBB417_7
; %bb.6:
	v_ashrrev_i32_e32 v3, 31, v2
	v_mul_f64 v[25:26], s[16:17], v[10:11]
	v_mul_f64 v[10:11], s[18:19], v[10:11]
	s_delay_alu instid0(VALU_DEP_3) | instskip(NEXT) | instid1(VALU_DEP_1)
	v_lshlrev_b64 v[16:17], 4, v[2:3]
	v_add_co_u32 v23, s1, v20, v16
	s_delay_alu instid0(VALU_DEP_1)
	v_add_co_ci_u32_e64 v24, s1, v22, v17, s1
	v_cmp_ne_u32_e64 s1, v21, v2
	global_load_b128 v[16:19], v[23:24], off
	v_fma_f64 v[25:26], s[18:19], v[6:7], v[25:26]
	v_fma_f64 v[6:7], s[16:17], v[6:7], -v[10:11]
	s_waitcnt vmcnt(0)
	v_mul_f64 v[27:28], s[6:7], v[18:19]
	v_mul_f64 v[18:19], s[8:9], v[18:19]
	s_delay_alu instid0(VALU_DEP_2) | instskip(NEXT) | instid1(VALU_DEP_2)
	v_fma_f64 v[27:28], s[8:9], v[16:17], v[27:28]
	v_fma_f64 v[10:11], s[6:7], v[16:17], -v[18:19]
	s_delay_alu instid0(VALU_DEP_2) | instskip(NEXT) | instid1(VALU_DEP_2)
	v_add_f64 v[18:19], v[25:26], v[27:28]
	v_add_f64 v[16:17], v[6:7], v[10:11]
	s_delay_alu instid0(VALU_DEP_2) | instskip(NEXT) | instid1(VALU_DEP_3)
	v_cndmask_b32_e64 v19, 0, v19, s1
	v_cndmask_b32_e64 v18, 0, v18, s1
	global_store_b128 v[23:24], v[16:19], off
.LBB417_7:
	s_or_b32 exec_lo, exec_lo, s2
	v_add_nc_u32_e32 v3, 16, v21
	s_delay_alu instid0(VALU_DEP_1) | instskip(SKIP_1) | instid1(VALU_DEP_2)
	v_mad_i64_i32 v[6:7], null, v3, s3, 0
	v_cmp_le_i32_e64 s1, v3, v0
	v_lshlrev_b64 v[6:7], 4, v[6:7]
	s_delay_alu instid0(VALU_DEP_1) | instskip(NEXT) | instid1(VALU_DEP_1)
	v_add_co_u32 v6, s2, s4, v6
	v_add_co_ci_u32_e64 v7, s2, s5, v7, s2
	s_delay_alu instid0(VALU_DEP_4) | instskip(NEXT) | instid1(SALU_CYCLE_1)
	s_and_b32 s2, s1, vcc_lo
	s_and_saveexec_b32 s1, s2
	s_cbranch_execz .LBB417_9
; %bb.8:
	v_ashrrev_i32_e32 v1, 31, v0
	s_delay_alu instid0(VALU_DEP_1) | instskip(NEXT) | instid1(VALU_DEP_1)
	v_lshlrev_b64 v[10:11], 4, v[0:1]
	v_add_co_u32 v22, vcc_lo, v6, v10
	s_delay_alu instid0(VALU_DEP_2)
	v_add_co_ci_u32_e32 v23, vcc_lo, v7, v11, vcc_lo
	v_mul_f64 v[10:11], s[16:17], v[14:15]
	v_mul_f64 v[14:15], s[18:19], v[14:15]
	v_cmp_ne_u32_e32 vcc_lo, v3, v0
	global_load_b128 v[16:19], v[22:23], off
	v_fma_f64 v[10:11], s[18:19], v[12:13], v[10:11]
	v_fma_f64 v[12:13], s[16:17], v[12:13], -v[14:15]
	s_waitcnt vmcnt(0)
	v_mul_f64 v[24:25], s[6:7], v[18:19]
	v_mul_f64 v[18:19], s[8:9], v[18:19]
	s_delay_alu instid0(VALU_DEP_2) | instskip(NEXT) | instid1(VALU_DEP_2)
	v_fma_f64 v[24:25], s[8:9], v[16:17], v[24:25]
	v_fma_f64 v[14:15], s[6:7], v[16:17], -v[18:19]
	s_delay_alu instid0(VALU_DEP_2) | instskip(NEXT) | instid1(VALU_DEP_2)
	v_add_f64 v[16:17], v[10:11], v[24:25]
	v_add_f64 v[10:11], v[12:13], v[14:15]
	s_delay_alu instid0(VALU_DEP_2)
	v_dual_cndmask_b32 v13, 0, v17 :: v_dual_cndmask_b32 v12, 0, v16
	global_store_b128 v[22:23], v[10:13], off
.LBB417_9:
	s_or_b32 exec_lo, exec_lo, s1
	v_cmp_le_i32_e32 vcc_lo, v3, v2
	s_and_b32 s0, vcc_lo, s0
	s_delay_alu instid0(SALU_CYCLE_1)
	s_and_saveexec_b32 s1, s0
	s_cbranch_execz .LBB417_11
; %bb.10:
	v_ashrrev_i32_e32 v3, 31, v2
	s_delay_alu instid0(VALU_DEP_1) | instskip(NEXT) | instid1(VALU_DEP_1)
	v_lshlrev_b64 v[1:2], 4, v[2:3]
	v_add_co_u32 v6, vcc_lo, v6, v1
	s_delay_alu instid0(VALU_DEP_2)
	v_add_co_ci_u32_e32 v7, vcc_lo, v7, v2, vcc_lo
	v_mul_f64 v[1:2], s[16:17], v[4:5]
	v_mul_f64 v[3:4], s[18:19], v[4:5]
	v_cmp_ne_u32_e32 vcc_lo, v21, v0
	global_load_b128 v[10:13], v[6:7], off
	v_fma_f64 v[1:2], s[18:19], v[8:9], v[1:2]
	v_fma_f64 v[3:4], s[16:17], v[8:9], -v[3:4]
	s_waitcnt vmcnt(0)
	v_mul_f64 v[14:15], s[6:7], v[12:13]
	v_mul_f64 v[12:13], s[8:9], v[12:13]
	s_delay_alu instid0(VALU_DEP_2) | instskip(NEXT) | instid1(VALU_DEP_2)
	v_fma_f64 v[14:15], s[8:9], v[10:11], v[14:15]
	v_fma_f64 v[8:9], s[6:7], v[10:11], -v[12:13]
	s_delay_alu instid0(VALU_DEP_2) | instskip(NEXT) | instid1(VALU_DEP_2)
	v_add_f64 v[10:11], v[1:2], v[14:15]
	v_add_f64 v[1:2], v[3:4], v[8:9]
	s_delay_alu instid0(VALU_DEP_2)
	v_dual_cndmask_b32 v4, 0, v11 :: v_dual_cndmask_b32 v3, 0, v10
	global_store_b128 v[6:7], v[1:4], off
.LBB417_11:
	s_nop 0
	s_sendmsg sendmsg(MSG_DEALLOC_VGPRS)
	s_endpgm
	.section	.rodata,"a",@progbits
	.p2align	6, 0x0
	.amdhsa_kernel _ZL37rocblas_syrkx_herkx_restricted_kernelIi19rocblas_complex_numIdELi16ELi32ELi8ELb0ELb1ELc84ELc76EKS1_S1_EviT_T0_PT8_S3_lS6_S3_lS4_PT9_S3_li
		.amdhsa_group_segment_fixed_size 8192
		.amdhsa_private_segment_fixed_size 0
		.amdhsa_kernarg_size 116
		.amdhsa_user_sgpr_count 13
		.amdhsa_user_sgpr_dispatch_ptr 0
		.amdhsa_user_sgpr_queue_ptr 0
		.amdhsa_user_sgpr_kernarg_segment_ptr 1
		.amdhsa_user_sgpr_dispatch_id 0
		.amdhsa_user_sgpr_private_segment_size 0
		.amdhsa_wavefront_size32 1
		.amdhsa_uses_dynamic_stack 0
		.amdhsa_enable_private_segment 0
		.amdhsa_system_sgpr_workgroup_id_x 1
		.amdhsa_system_sgpr_workgroup_id_y 1
		.amdhsa_system_sgpr_workgroup_id_z 1
		.amdhsa_system_sgpr_workgroup_info 0
		.amdhsa_system_vgpr_workitem_id 1
		.amdhsa_next_free_vgpr 54
		.amdhsa_next_free_sgpr 29
		.amdhsa_reserve_vcc 1
		.amdhsa_float_round_mode_32 0
		.amdhsa_float_round_mode_16_64 0
		.amdhsa_float_denorm_mode_32 3
		.amdhsa_float_denorm_mode_16_64 3
		.amdhsa_dx10_clamp 1
		.amdhsa_ieee_mode 1
		.amdhsa_fp16_overflow 0
		.amdhsa_workgroup_processor_mode 1
		.amdhsa_memory_ordered 1
		.amdhsa_forward_progress 0
		.amdhsa_shared_vgpr_count 0
		.amdhsa_exception_fp_ieee_invalid_op 0
		.amdhsa_exception_fp_denorm_src 0
		.amdhsa_exception_fp_ieee_div_zero 0
		.amdhsa_exception_fp_ieee_overflow 0
		.amdhsa_exception_fp_ieee_underflow 0
		.amdhsa_exception_fp_ieee_inexact 0
		.amdhsa_exception_int_div_zero 0
	.end_amdhsa_kernel
	.section	.text._ZL37rocblas_syrkx_herkx_restricted_kernelIi19rocblas_complex_numIdELi16ELi32ELi8ELb0ELb1ELc84ELc76EKS1_S1_EviT_T0_PT8_S3_lS6_S3_lS4_PT9_S3_li,"axG",@progbits,_ZL37rocblas_syrkx_herkx_restricted_kernelIi19rocblas_complex_numIdELi16ELi32ELi8ELb0ELb1ELc84ELc76EKS1_S1_EviT_T0_PT8_S3_lS6_S3_lS4_PT9_S3_li,comdat
.Lfunc_end417:
	.size	_ZL37rocblas_syrkx_herkx_restricted_kernelIi19rocblas_complex_numIdELi16ELi32ELi8ELb0ELb1ELc84ELc76EKS1_S1_EviT_T0_PT8_S3_lS6_S3_lS4_PT9_S3_li, .Lfunc_end417-_ZL37rocblas_syrkx_herkx_restricted_kernelIi19rocblas_complex_numIdELi16ELi32ELi8ELb0ELb1ELc84ELc76EKS1_S1_EviT_T0_PT8_S3_lS6_S3_lS4_PT9_S3_li
                                        ; -- End function
	.section	.AMDGPU.csdata,"",@progbits
; Kernel info:
; codeLenInByte = 3676
; NumSgprs: 31
; NumVgprs: 54
; ScratchSize: 0
; MemoryBound: 0
; FloatMode: 240
; IeeeMode: 1
; LDSByteSize: 8192 bytes/workgroup (compile time only)
; SGPRBlocks: 3
; VGPRBlocks: 6
; NumSGPRsForWavesPerEU: 31
; NumVGPRsForWavesPerEU: 54
; Occupancy: 16
; WaveLimiterHint : 0
; COMPUTE_PGM_RSRC2:SCRATCH_EN: 0
; COMPUTE_PGM_RSRC2:USER_SGPR: 13
; COMPUTE_PGM_RSRC2:TRAP_HANDLER: 0
; COMPUTE_PGM_RSRC2:TGID_X_EN: 1
; COMPUTE_PGM_RSRC2:TGID_Y_EN: 1
; COMPUTE_PGM_RSRC2:TGID_Z_EN: 1
; COMPUTE_PGM_RSRC2:TIDIG_COMP_CNT: 1
	.section	.text._ZL37rocblas_syrkx_herkx_restricted_kernelIi19rocblas_complex_numIdELi16ELi32ELi8ELb0ELb1ELc67ELc76EKS1_S1_EviT_T0_PT8_S3_lS6_S3_lS4_PT9_S3_li,"axG",@progbits,_ZL37rocblas_syrkx_herkx_restricted_kernelIi19rocblas_complex_numIdELi16ELi32ELi8ELb0ELb1ELc67ELc76EKS1_S1_EviT_T0_PT8_S3_lS6_S3_lS4_PT9_S3_li,comdat
	.globl	_ZL37rocblas_syrkx_herkx_restricted_kernelIi19rocblas_complex_numIdELi16ELi32ELi8ELb0ELb1ELc67ELc76EKS1_S1_EviT_T0_PT8_S3_lS6_S3_lS4_PT9_S3_li ; -- Begin function _ZL37rocblas_syrkx_herkx_restricted_kernelIi19rocblas_complex_numIdELi16ELi32ELi8ELb0ELb1ELc67ELc76EKS1_S1_EviT_T0_PT8_S3_lS6_S3_lS4_PT9_S3_li
	.p2align	8
	.type	_ZL37rocblas_syrkx_herkx_restricted_kernelIi19rocblas_complex_numIdELi16ELi32ELi8ELb0ELb1ELc67ELc76EKS1_S1_EviT_T0_PT8_S3_lS6_S3_lS4_PT9_S3_li,@function
_ZL37rocblas_syrkx_herkx_restricted_kernelIi19rocblas_complex_numIdELi16ELi32ELi8ELb0ELb1ELc67ELc76EKS1_S1_EviT_T0_PT8_S3_lS6_S3_lS4_PT9_S3_li: ; @_ZL37rocblas_syrkx_herkx_restricted_kernelIi19rocblas_complex_numIdELi16ELi32ELi8ELb0ELb1ELc67ELc76EKS1_S1_EviT_T0_PT8_S3_lS6_S3_lS4_PT9_S3_li
; %bb.0:
	s_clause 0x3
	s_load_b64 s[2:3], s[0:1], 0x0
	s_load_b128 s[16:19], s[0:1], 0x8
	s_load_b64 s[24:25], s[0:1], 0x18
	s_load_b256 s[4:11], s[0:1], 0x40
	v_mov_b32_e32 v16, 0
	v_dual_mov_b32 v17, 0 :: v_dual_and_b32 v20, 0x3ff, v0
	v_bfe_u32 v21, v0, 10, 10
	s_delay_alu instid0(VALU_DEP_3) | instskip(NEXT) | instid1(VALU_DEP_3)
	v_mov_b32_e32 v6, v16
	v_dual_mov_b32 v10, v16 :: v_dual_mov_b32 v11, v17
	v_dual_mov_b32 v19, v17 :: v_dual_mov_b32 v18, v16
	;; [unrolled: 1-line block ×6, first 2 shown]
	v_mov_b32_e32 v5, v17
	s_lshl_b32 s12, s13, 5
	s_lshl_b32 s13, s14, 5
	s_waitcnt lgkmcnt(0)
	s_cmp_lt_i32 s3, 1
	s_mov_b32 s14, 0
	s_cbranch_scc1 .LBB418_3
; %bb.1:
	s_clause 0x2
	s_load_b128 s[20:23], s[0:1], 0x28
	s_load_b32 s26, s[0:1], 0x20
	s_load_b32 s27, s[0:1], 0x38
	v_lshl_add_u32 v2, v21, 4, v20
	v_dual_mov_b32 v1, 0 :: v_dual_and_b32 v0, 7, v20
	s_mul_i32 s5, s5, s15
	v_lshlrev_b32_e32 v22, 4, v20
	s_delay_alu instid0(VALU_DEP_3) | instskip(SKIP_3) | instid1(VALU_DEP_4)
	v_and_b32_e32 v4, 31, v2
	v_lshrrev_b32_e32 v5, 3, v2
	v_dual_mov_b32 v3, v1 :: v_dual_lshlrev_b32 v6, 4, v0
	v_lshrrev_b32_e32 v2, 5, v2
	v_add_nc_u32_e32 v9, s12, v4
	v_lshlrev_b32_e32 v7, 4, v4
	v_add_nc_u32_e32 v8, s13, v5
	v_lshl_or_b32 v6, v5, 7, v6
	v_lshl_add_u32 v25, v21, 7, 0x1000
	s_delay_alu instid0(VALU_DEP_4)
	v_lshl_or_b32 v23, v2, 9, v7
	s_waitcnt lgkmcnt(0)
	s_mul_i32 s21, s21, s15
	v_mad_i64_i32 v[4:5], null, s26, v9, v[2:3]
	s_mul_hi_u32 s28, s20, s15
	v_mad_i64_i32 v[2:3], null, s27, v8, v[0:1]
	s_mul_i32 s20, s20, s15
	s_add_i32 s21, s28, s21
	s_delay_alu instid0(SALU_CYCLE_1) | instskip(NEXT) | instid1(VALU_DEP_2)
	s_lshl_b64 s[20:21], s[20:21], 4
	v_lshlrev_b64 v[0:1], 4, v[4:5]
	s_add_u32 s20, s24, s20
	s_mul_hi_u32 s24, s4, s15
	s_addc_u32 s21, s25, s21
	s_add_i32 s5, s24, s5
	s_mul_i32 s4, s4, s15
	v_lshlrev_b64 v[2:3], 4, v[2:3]
	s_lshl_b64 s[4:5], s[4:5], 4
	v_add_co_u32 v0, vcc_lo, s20, v0
	s_add_u32 s4, s22, s4
	v_add_co_ci_u32_e32 v1, vcc_lo, s21, v1, vcc_lo
	v_mov_b32_e32 v4, 0
	s_addc_u32 s5, s23, s5
	v_add_co_u32 v2, vcc_lo, s4, v2
	v_mov_b32_e32 v5, 0
	v_add_co_ci_u32_e32 v3, vcc_lo, s5, v3, vcc_lo
	v_add_co_u32 v0, vcc_lo, v0, 8
	s_delay_alu instid0(VALU_DEP_3)
	v_dual_mov_b32 v15, v5 :: v_dual_add_nc_u32 v24, 0x1000, v6
	v_mov_b32_e32 v13, v5
	v_add_co_ci_u32_e32 v1, vcc_lo, 0, v1, vcc_lo
	v_add_co_u32 v2, vcc_lo, v2, 8
	v_dual_mov_b32 v14, v4 :: v_dual_mov_b32 v11, v5
	v_dual_mov_b32 v12, v4 :: v_dual_mov_b32 v7, v5
	;; [unrolled: 1-line block ×4, first 2 shown]
	v_mov_b32_e32 v17, v5
	v_add_co_ci_u32_e32 v3, vcc_lo, 0, v3, vcc_lo
	v_mov_b32_e32 v8, v4
	v_mov_b32_e32 v18, v4
	;; [unrolled: 1-line block ×3, first 2 shown]
.LBB418_2:                              ; =>This Inner Loop Header: Depth=1
	global_load_b128 v[26:29], v[0:1], off offset:-8
	v_add_co_u32 v0, vcc_lo, 0x80, v0
	v_add_co_ci_u32_e32 v1, vcc_lo, 0, v1, vcc_lo
	s_add_i32 s14, s14, 8
	s_delay_alu instid0(SALU_CYCLE_1)
	s_cmp_ge_i32 s14, s3
	s_waitcnt vmcnt(0)
	v_xor_b32_e32 v29, 0x80000000, v29
	ds_store_b128 v23, v[26:29]
	global_load_b128 v[26:29], v[2:3], off offset:-8
	v_add_co_u32 v2, vcc_lo, 0x80, v2
	v_add_co_ci_u32_e32 v3, vcc_lo, 0, v3, vcc_lo
	s_waitcnt vmcnt(0)
	ds_store_b128 v24, v[26:29]
	s_waitcnt lgkmcnt(0)
	s_barrier
	buffer_gl0_inv
	ds_load_b128 v[26:29], v25
	ds_load_b128 v[30:33], v25 offset:16
	ds_load_b128 v[34:37], v25 offset:32
	;; [unrolled: 1-line block ×3, first 2 shown]
	ds_load_b128 v[42:45], v22
	s_waitcnt lgkmcnt(0)
	v_mul_f64 v[46:47], v[28:29], v[44:45]
	v_mul_f64 v[48:49], v[26:27], v[44:45]
	s_delay_alu instid0(VALU_DEP_2) | instskip(NEXT) | instid1(VALU_DEP_2)
	v_fma_f64 v[46:47], v[26:27], v[42:43], -v[46:47]
	v_fma_f64 v[48:49], v[28:29], v[42:43], v[48:49]
	s_delay_alu instid0(VALU_DEP_2) | instskip(NEXT) | instid1(VALU_DEP_2)
	v_add_f64 v[46:47], v[16:17], v[46:47]
	v_add_f64 v[48:49], v[18:19], v[48:49]
	ds_load_b128 v[16:19], v22 offset:256
	s_waitcnt lgkmcnt(0)
	v_mul_f64 v[50:51], v[28:29], v[18:19]
	s_delay_alu instid0(VALU_DEP_1) | instskip(SKIP_1) | instid1(VALU_DEP_2)
	v_fma_f64 v[50:51], v[26:27], v[16:17], -v[50:51]
	v_mul_f64 v[26:27], v[26:27], v[18:19]
	v_add_f64 v[50:51], v[6:7], v[50:51]
	s_delay_alu instid0(VALU_DEP_2) | instskip(NEXT) | instid1(VALU_DEP_1)
	v_fma_f64 v[26:27], v[28:29], v[16:17], v[26:27]
	v_add_f64 v[52:53], v[10:11], v[26:27]
	ds_load_b128 v[26:29], v25 offset:2048
	s_waitcnt lgkmcnt(0)
	v_mul_f64 v[6:7], v[28:29], v[44:45]
	v_mul_f64 v[10:11], v[26:27], v[44:45]
	s_delay_alu instid0(VALU_DEP_2) | instskip(NEXT) | instid1(VALU_DEP_2)
	v_fma_f64 v[6:7], v[26:27], v[42:43], -v[6:7]
	v_fma_f64 v[10:11], v[28:29], v[42:43], v[10:11]
	s_delay_alu instid0(VALU_DEP_2) | instskip(NEXT) | instid1(VALU_DEP_2)
	v_add_f64 v[42:43], v[12:13], v[6:7]
	v_add_f64 v[44:45], v[14:15], v[10:11]
	v_mul_f64 v[6:7], v[28:29], v[18:19]
	v_mul_f64 v[10:11], v[26:27], v[18:19]
	s_delay_alu instid0(VALU_DEP_2) | instskip(NEXT) | instid1(VALU_DEP_2)
	v_fma_f64 v[6:7], v[26:27], v[16:17], -v[6:7]
	v_fma_f64 v[10:11], v[28:29], v[16:17], v[10:11]
	s_delay_alu instid0(VALU_DEP_2) | instskip(NEXT) | instid1(VALU_DEP_2)
	v_add_f64 v[16:17], v[8:9], v[6:7]
	v_add_f64 v[18:19], v[4:5], v[10:11]
	ds_load_b128 v[4:7], v22 offset:512
	s_waitcnt lgkmcnt(0)
	v_mul_f64 v[8:9], v[32:33], v[6:7]
	v_mul_f64 v[10:11], v[30:31], v[6:7]
	s_delay_alu instid0(VALU_DEP_2) | instskip(NEXT) | instid1(VALU_DEP_2)
	v_fma_f64 v[8:9], v[30:31], v[4:5], -v[8:9]
	v_fma_f64 v[10:11], v[32:33], v[4:5], v[10:11]
	s_delay_alu instid0(VALU_DEP_2) | instskip(NEXT) | instid1(VALU_DEP_2)
	v_add_f64 v[26:27], v[46:47], v[8:9]
	v_add_f64 v[28:29], v[48:49], v[10:11]
	ds_load_b128 v[8:11], v22 offset:768
	s_waitcnt lgkmcnt(0)
	;; [unrolled: 10-line block ×3, first 2 shown]
	v_mul_f64 v[46:47], v[14:15], v[6:7]
	v_mul_f64 v[6:7], v[12:13], v[6:7]
	s_delay_alu instid0(VALU_DEP_2) | instskip(NEXT) | instid1(VALU_DEP_2)
	v_fma_f64 v[46:47], v[12:13], v[4:5], -v[46:47]
	v_fma_f64 v[4:5], v[14:15], v[4:5], v[6:7]
	v_mul_f64 v[6:7], v[12:13], v[10:11]
	s_delay_alu instid0(VALU_DEP_3) | instskip(NEXT) | instid1(VALU_DEP_3)
	v_add_f64 v[42:43], v[42:43], v[46:47]
	v_add_f64 v[44:45], v[44:45], v[4:5]
	v_mul_f64 v[4:5], v[14:15], v[10:11]
	s_delay_alu instid0(VALU_DEP_4) | instskip(NEXT) | instid1(VALU_DEP_2)
	v_fma_f64 v[6:7], v[14:15], v[8:9], v[6:7]
	v_fma_f64 v[4:5], v[12:13], v[8:9], -v[4:5]
	s_delay_alu instid0(VALU_DEP_2) | instskip(NEXT) | instid1(VALU_DEP_2)
	v_add_f64 v[18:19], v[18:19], v[6:7]
	v_add_f64 v[16:17], v[16:17], v[4:5]
	ds_load_b128 v[4:7], v22 offset:1024
	s_waitcnt lgkmcnt(0)
	v_mul_f64 v[8:9], v[36:37], v[6:7]
	v_mul_f64 v[10:11], v[34:35], v[6:7]
	s_delay_alu instid0(VALU_DEP_2) | instskip(NEXT) | instid1(VALU_DEP_2)
	v_fma_f64 v[8:9], v[34:35], v[4:5], -v[8:9]
	v_fma_f64 v[10:11], v[36:37], v[4:5], v[10:11]
	s_delay_alu instid0(VALU_DEP_2) | instskip(NEXT) | instid1(VALU_DEP_2)
	v_add_f64 v[26:27], v[26:27], v[8:9]
	v_add_f64 v[28:29], v[28:29], v[10:11]
	ds_load_b128 v[8:11], v22 offset:1280
	s_waitcnt lgkmcnt(0)
	v_mul_f64 v[12:13], v[36:37], v[10:11]
	v_mul_f64 v[14:15], v[34:35], v[10:11]
	s_delay_alu instid0(VALU_DEP_2) | instskip(NEXT) | instid1(VALU_DEP_2)
	v_fma_f64 v[12:13], v[34:35], v[8:9], -v[12:13]
	v_fma_f64 v[14:15], v[36:37], v[8:9], v[14:15]
	;; [unrolled: 10-line block ×3, first 2 shown]
	v_mul_f64 v[6:7], v[12:13], v[10:11]
	s_delay_alu instid0(VALU_DEP_3) | instskip(NEXT) | instid1(VALU_DEP_3)
	v_add_f64 v[34:35], v[42:43], v[34:35]
	v_add_f64 v[36:37], v[44:45], v[4:5]
	v_mul_f64 v[4:5], v[14:15], v[10:11]
	s_delay_alu instid0(VALU_DEP_4) | instskip(NEXT) | instid1(VALU_DEP_2)
	v_fma_f64 v[6:7], v[14:15], v[8:9], v[6:7]
	v_fma_f64 v[4:5], v[12:13], v[8:9], -v[4:5]
	s_delay_alu instid0(VALU_DEP_2) | instskip(NEXT) | instid1(VALU_DEP_2)
	v_add_f64 v[18:19], v[18:19], v[6:7]
	v_add_f64 v[16:17], v[16:17], v[4:5]
	ds_load_b128 v[4:7], v22 offset:1536
	s_waitcnt lgkmcnt(0)
	v_mul_f64 v[8:9], v[40:41], v[6:7]
	v_mul_f64 v[10:11], v[38:39], v[6:7]
	s_delay_alu instid0(VALU_DEP_2) | instskip(NEXT) | instid1(VALU_DEP_2)
	v_fma_f64 v[8:9], v[38:39], v[4:5], -v[8:9]
	v_fma_f64 v[10:11], v[40:41], v[4:5], v[10:11]
	s_delay_alu instid0(VALU_DEP_2) | instskip(NEXT) | instid1(VALU_DEP_2)
	v_add_f64 v[26:27], v[26:27], v[8:9]
	v_add_f64 v[28:29], v[28:29], v[10:11]
	ds_load_b128 v[8:11], v22 offset:1792
	s_waitcnt lgkmcnt(0)
	v_mul_f64 v[12:13], v[40:41], v[10:11]
	v_mul_f64 v[14:15], v[38:39], v[10:11]
	s_delay_alu instid0(VALU_DEP_2) | instskip(NEXT) | instid1(VALU_DEP_2)
	v_fma_f64 v[12:13], v[38:39], v[8:9], -v[12:13]
	v_fma_f64 v[14:15], v[40:41], v[8:9], v[14:15]
	;; [unrolled: 10-line block ×3, first 2 shown]
	v_mul_f64 v[6:7], v[12:13], v[10:11]
	s_delay_alu instid0(VALU_DEP_3) | instskip(NEXT) | instid1(VALU_DEP_3)
	v_add_f64 v[34:35], v[34:35], v[38:39]
	v_add_f64 v[36:37], v[36:37], v[4:5]
	v_mul_f64 v[4:5], v[14:15], v[10:11]
	s_delay_alu instid0(VALU_DEP_4) | instskip(NEXT) | instid1(VALU_DEP_2)
	v_fma_f64 v[6:7], v[14:15], v[8:9], v[6:7]
	v_fma_f64 v[4:5], v[12:13], v[8:9], -v[4:5]
	s_delay_alu instid0(VALU_DEP_2) | instskip(NEXT) | instid1(VALU_DEP_2)
	v_add_f64 v[18:19], v[18:19], v[6:7]
	v_add_f64 v[16:17], v[16:17], v[4:5]
	ds_load_b128 v[4:7], v25 offset:64
	ds_load_b128 v[8:11], v22 offset:2048
	s_waitcnt lgkmcnt(0)
	v_mul_f64 v[12:13], v[6:7], v[10:11]
	v_mul_f64 v[14:15], v[4:5], v[10:11]
	s_delay_alu instid0(VALU_DEP_2) | instskip(NEXT) | instid1(VALU_DEP_2)
	v_fma_f64 v[12:13], v[4:5], v[8:9], -v[12:13]
	v_fma_f64 v[14:15], v[6:7], v[8:9], v[14:15]
	s_delay_alu instid0(VALU_DEP_2) | instskip(NEXT) | instid1(VALU_DEP_2)
	v_add_f64 v[26:27], v[26:27], v[12:13]
	v_add_f64 v[28:29], v[28:29], v[14:15]
	ds_load_b128 v[12:15], v22 offset:2304
	s_waitcnt lgkmcnt(0)
	v_mul_f64 v[38:39], v[6:7], v[14:15]
	s_delay_alu instid0(VALU_DEP_1) | instskip(SKIP_1) | instid1(VALU_DEP_2)
	v_fma_f64 v[38:39], v[4:5], v[12:13], -v[38:39]
	v_mul_f64 v[4:5], v[4:5], v[14:15]
	v_add_f64 v[30:31], v[30:31], v[38:39]
	s_delay_alu instid0(VALU_DEP_2) | instskip(NEXT) | instid1(VALU_DEP_1)
	v_fma_f64 v[4:5], v[6:7], v[12:13], v[4:5]
	v_add_f64 v[32:33], v[32:33], v[4:5]
	ds_load_b128 v[4:7], v25 offset:2112
	s_waitcnt lgkmcnt(0)
	v_mul_f64 v[38:39], v[6:7], v[10:11]
	v_mul_f64 v[10:11], v[4:5], v[10:11]
	s_delay_alu instid0(VALU_DEP_2) | instskip(NEXT) | instid1(VALU_DEP_2)
	v_fma_f64 v[38:39], v[4:5], v[8:9], -v[38:39]
	v_fma_f64 v[8:9], v[6:7], v[8:9], v[10:11]
	s_delay_alu instid0(VALU_DEP_2) | instskip(NEXT) | instid1(VALU_DEP_2)
	v_add_f64 v[34:35], v[34:35], v[38:39]
	v_add_f64 v[36:37], v[36:37], v[8:9]
	v_mul_f64 v[8:9], v[6:7], v[14:15]
	s_delay_alu instid0(VALU_DEP_1) | instskip(SKIP_1) | instid1(VALU_DEP_2)
	v_fma_f64 v[8:9], v[4:5], v[12:13], -v[8:9]
	v_mul_f64 v[4:5], v[4:5], v[14:15]
	v_add_f64 v[16:17], v[16:17], v[8:9]
	s_delay_alu instid0(VALU_DEP_2) | instskip(NEXT) | instid1(VALU_DEP_1)
	v_fma_f64 v[4:5], v[6:7], v[12:13], v[4:5]
	v_add_f64 v[18:19], v[18:19], v[4:5]
	ds_load_b128 v[4:7], v25 offset:80
	ds_load_b128 v[8:11], v22 offset:2560
	s_waitcnt lgkmcnt(0)
	v_mul_f64 v[12:13], v[6:7], v[10:11]
	v_mul_f64 v[14:15], v[4:5], v[10:11]
	s_delay_alu instid0(VALU_DEP_2) | instskip(NEXT) | instid1(VALU_DEP_2)
	v_fma_f64 v[12:13], v[4:5], v[8:9], -v[12:13]
	v_fma_f64 v[14:15], v[6:7], v[8:9], v[14:15]
	s_delay_alu instid0(VALU_DEP_2) | instskip(NEXT) | instid1(VALU_DEP_2)
	v_add_f64 v[26:27], v[26:27], v[12:13]
	v_add_f64 v[28:29], v[28:29], v[14:15]
	ds_load_b128 v[12:15], v22 offset:2816
	s_waitcnt lgkmcnt(0)
	v_mul_f64 v[38:39], v[6:7], v[14:15]
	s_delay_alu instid0(VALU_DEP_1) | instskip(SKIP_1) | instid1(VALU_DEP_2)
	v_fma_f64 v[38:39], v[4:5], v[12:13], -v[38:39]
	v_mul_f64 v[4:5], v[4:5], v[14:15]
	v_add_f64 v[30:31], v[30:31], v[38:39]
	s_delay_alu instid0(VALU_DEP_2) | instskip(NEXT) | instid1(VALU_DEP_1)
	v_fma_f64 v[4:5], v[6:7], v[12:13], v[4:5]
	v_add_f64 v[32:33], v[32:33], v[4:5]
	ds_load_b128 v[4:7], v25 offset:2128
	s_waitcnt lgkmcnt(0)
	v_mul_f64 v[38:39], v[6:7], v[10:11]
	v_mul_f64 v[10:11], v[4:5], v[10:11]
	s_delay_alu instid0(VALU_DEP_2) | instskip(NEXT) | instid1(VALU_DEP_2)
	v_fma_f64 v[38:39], v[4:5], v[8:9], -v[38:39]
	v_fma_f64 v[8:9], v[6:7], v[8:9], v[10:11]
	s_delay_alu instid0(VALU_DEP_2) | instskip(NEXT) | instid1(VALU_DEP_2)
	v_add_f64 v[34:35], v[34:35], v[38:39]
	v_add_f64 v[36:37], v[36:37], v[8:9]
	v_mul_f64 v[8:9], v[6:7], v[14:15]
	s_delay_alu instid0(VALU_DEP_1) | instskip(SKIP_1) | instid1(VALU_DEP_2)
	v_fma_f64 v[8:9], v[4:5], v[12:13], -v[8:9]
	v_mul_f64 v[4:5], v[4:5], v[14:15]
	v_add_f64 v[16:17], v[16:17], v[8:9]
	s_delay_alu instid0(VALU_DEP_2) | instskip(NEXT) | instid1(VALU_DEP_1)
	v_fma_f64 v[4:5], v[6:7], v[12:13], v[4:5]
	v_add_f64 v[18:19], v[18:19], v[4:5]
	ds_load_b128 v[4:7], v25 offset:96
	ds_load_b128 v[8:11], v22 offset:3072
	s_waitcnt lgkmcnt(0)
	v_mul_f64 v[12:13], v[6:7], v[10:11]
	v_mul_f64 v[14:15], v[4:5], v[10:11]
	s_delay_alu instid0(VALU_DEP_2) | instskip(NEXT) | instid1(VALU_DEP_2)
	v_fma_f64 v[12:13], v[4:5], v[8:9], -v[12:13]
	v_fma_f64 v[14:15], v[6:7], v[8:9], v[14:15]
	s_delay_alu instid0(VALU_DEP_2) | instskip(NEXT) | instid1(VALU_DEP_2)
	v_add_f64 v[26:27], v[26:27], v[12:13]
	v_add_f64 v[28:29], v[28:29], v[14:15]
	ds_load_b128 v[12:15], v22 offset:3328
	s_waitcnt lgkmcnt(0)
	v_mul_f64 v[38:39], v[6:7], v[14:15]
	s_delay_alu instid0(VALU_DEP_1) | instskip(SKIP_1) | instid1(VALU_DEP_2)
	v_fma_f64 v[38:39], v[4:5], v[12:13], -v[38:39]
	v_mul_f64 v[4:5], v[4:5], v[14:15]
	v_add_f64 v[30:31], v[30:31], v[38:39]
	s_delay_alu instid0(VALU_DEP_2) | instskip(NEXT) | instid1(VALU_DEP_1)
	v_fma_f64 v[4:5], v[6:7], v[12:13], v[4:5]
	v_add_f64 v[32:33], v[32:33], v[4:5]
	ds_load_b128 v[4:7], v25 offset:2144
	s_waitcnt lgkmcnt(0)
	v_mul_f64 v[38:39], v[6:7], v[10:11]
	v_mul_f64 v[10:11], v[4:5], v[10:11]
	s_delay_alu instid0(VALU_DEP_2) | instskip(NEXT) | instid1(VALU_DEP_2)
	v_fma_f64 v[38:39], v[4:5], v[8:9], -v[38:39]
	v_fma_f64 v[8:9], v[6:7], v[8:9], v[10:11]
	v_mul_f64 v[10:11], v[6:7], v[14:15]
	s_delay_alu instid0(VALU_DEP_3) | instskip(NEXT) | instid1(VALU_DEP_3)
	v_add_f64 v[34:35], v[34:35], v[38:39]
	v_add_f64 v[8:9], v[36:37], v[8:9]
	s_delay_alu instid0(VALU_DEP_3) | instskip(SKIP_1) | instid1(VALU_DEP_2)
	v_fma_f64 v[10:11], v[4:5], v[12:13], -v[10:11]
	v_mul_f64 v[4:5], v[4:5], v[14:15]
	v_add_f64 v[36:37], v[16:17], v[10:11]
	s_delay_alu instid0(VALU_DEP_2) | instskip(NEXT) | instid1(VALU_DEP_1)
	v_fma_f64 v[4:5], v[6:7], v[12:13], v[4:5]
	v_add_f64 v[38:39], v[18:19], v[4:5]
	ds_load_b128 v[4:7], v25 offset:112
	ds_load_b128 v[12:15], v22 offset:3584
	s_waitcnt lgkmcnt(0)
	v_mul_f64 v[10:11], v[6:7], v[14:15]
	v_mul_f64 v[16:17], v[4:5], v[14:15]
	s_delay_alu instid0(VALU_DEP_2) | instskip(NEXT) | instid1(VALU_DEP_2)
	v_fma_f64 v[10:11], v[4:5], v[12:13], -v[10:11]
	v_fma_f64 v[18:19], v[6:7], v[12:13], v[16:17]
	s_delay_alu instid0(VALU_DEP_2) | instskip(NEXT) | instid1(VALU_DEP_2)
	v_add_f64 v[16:17], v[26:27], v[10:11]
	v_add_f64 v[18:19], v[28:29], v[18:19]
	ds_load_b128 v[26:29], v22 offset:3840
	s_waitcnt lgkmcnt(0)
	v_mul_f64 v[10:11], v[6:7], v[28:29]
	s_delay_alu instid0(VALU_DEP_1) | instskip(SKIP_1) | instid1(VALU_DEP_1)
	v_fma_f64 v[10:11], v[4:5], v[26:27], -v[10:11]
	v_mul_f64 v[4:5], v[4:5], v[28:29]
	v_fma_f64 v[4:5], v[6:7], v[26:27], v[4:5]
	s_delay_alu instid0(VALU_DEP_3) | instskip(NEXT) | instid1(VALU_DEP_2)
	v_add_f64 v[6:7], v[30:31], v[10:11]
	v_add_f64 v[10:11], v[32:33], v[4:5]
	ds_load_b128 v[30:33], v25 offset:2160
	s_waitcnt lgkmcnt(0)
	s_barrier
	buffer_gl0_inv
	v_mul_f64 v[4:5], v[32:33], v[14:15]
	v_mul_f64 v[14:15], v[30:31], v[14:15]
	s_delay_alu instid0(VALU_DEP_2) | instskip(NEXT) | instid1(VALU_DEP_2)
	v_fma_f64 v[4:5], v[30:31], v[12:13], -v[4:5]
	v_fma_f64 v[14:15], v[32:33], v[12:13], v[14:15]
	s_delay_alu instid0(VALU_DEP_2) | instskip(NEXT) | instid1(VALU_DEP_2)
	v_add_f64 v[12:13], v[34:35], v[4:5]
	v_add_f64 v[14:15], v[8:9], v[14:15]
	v_mul_f64 v[4:5], v[32:33], v[28:29]
	v_mul_f64 v[8:9], v[30:31], v[28:29]
	s_delay_alu instid0(VALU_DEP_2) | instskip(NEXT) | instid1(VALU_DEP_2)
	v_fma_f64 v[4:5], v[30:31], v[26:27], -v[4:5]
	v_fma_f64 v[26:27], v[32:33], v[26:27], v[8:9]
	s_delay_alu instid0(VALU_DEP_2) | instskip(NEXT) | instid1(VALU_DEP_2)
	v_add_f64 v[8:9], v[36:37], v[4:5]
	v_add_f64 v[4:5], v[38:39], v[26:27]
	s_cbranch_scc0 .LBB418_2
.LBB418_3:
	s_clause 0x1
	s_load_b32 s3, s[0:1], 0x60
	s_load_b64 s[4:5], s[0:1], 0x68
	v_add_nc_u32_e32 v21, s13, v21
	v_add_nc_u32_e32 v0, s12, v20
	s_delay_alu instid0(VALU_DEP_1)
	v_cmp_le_i32_e64 s0, v21, v0
	v_cmp_gt_i32_e32 vcc_lo, s2, v0
	s_waitcnt lgkmcnt(0)
	v_mad_i64_i32 v[1:2], null, v21, s3, 0
	s_mul_i32 s1, s15, s5
	s_mul_hi_u32 s5, s15, s4
	s_mul_i32 s4, s15, s4
	s_add_i32 s5, s5, s1
	s_delay_alu instid0(SALU_CYCLE_1) | instskip(NEXT) | instid1(VALU_DEP_1)
	s_lshl_b64 s[4:5], s[4:5], 4
	v_lshlrev_b64 v[1:2], 4, v[1:2]
	s_add_u32 s4, s10, s4
	s_addc_u32 s5, s11, s5
	s_and_b32 s0, s0, vcc_lo
	s_delay_alu instid0(VALU_DEP_1) | instskip(NEXT) | instid1(VALU_DEP_1)
	v_add_co_u32 v20, s1, s4, v1
	v_add_co_ci_u32_e64 v22, s1, s5, v2, s1
	s_and_saveexec_b32 s1, s0
	s_cbranch_execz .LBB418_5
; %bb.4:
	v_ashrrev_i32_e32 v1, 31, v0
	v_mul_f64 v[27:28], s[16:17], v[18:19]
	v_mul_f64 v[18:19], s[18:19], v[18:19]
	s_delay_alu instid0(VALU_DEP_3) | instskip(NEXT) | instid1(VALU_DEP_1)
	v_lshlrev_b64 v[1:2], 4, v[0:1]
	v_add_co_u32 v1, s0, v20, v1
	s_delay_alu instid0(VALU_DEP_1)
	v_add_co_ci_u32_e64 v2, s0, v22, v2, s0
	v_cmp_ne_u32_e64 s0, v21, v0
	global_load_b128 v[23:26], v[1:2], off
	v_fma_f64 v[27:28], s[18:19], v[16:17], v[27:28]
	v_fma_f64 v[16:17], s[16:17], v[16:17], -v[18:19]
	s_waitcnt vmcnt(0)
	v_mul_f64 v[29:30], s[6:7], v[25:26]
	v_mul_f64 v[25:26], s[8:9], v[25:26]
	s_delay_alu instid0(VALU_DEP_2) | instskip(NEXT) | instid1(VALU_DEP_2)
	v_fma_f64 v[29:30], s[8:9], v[23:24], v[29:30]
	v_fma_f64 v[18:19], s[6:7], v[23:24], -v[25:26]
	s_delay_alu instid0(VALU_DEP_2) | instskip(NEXT) | instid1(VALU_DEP_2)
	v_add_f64 v[23:24], v[27:28], v[29:30]
	v_add_f64 v[16:17], v[16:17], v[18:19]
	s_delay_alu instid0(VALU_DEP_2) | instskip(NEXT) | instid1(VALU_DEP_3)
	v_cndmask_b32_e64 v19, 0, v24, s0
	v_cndmask_b32_e64 v18, 0, v23, s0
	global_store_b128 v[1:2], v[16:19], off
.LBB418_5:
	s_or_b32 exec_lo, exec_lo, s1
	v_add_nc_u32_e32 v2, 16, v0
	s_delay_alu instid0(VALU_DEP_1) | instskip(SKIP_1) | instid1(VALU_DEP_1)
	v_cmp_le_i32_e64 s1, v21, v2
	v_cmp_gt_i32_e64 s0, s2, v2
	s_and_b32 s1, s1, s0
	s_delay_alu instid0(SALU_CYCLE_1)
	s_and_saveexec_b32 s2, s1
	s_cbranch_execz .LBB418_7
; %bb.6:
	v_ashrrev_i32_e32 v3, 31, v2
	v_mul_f64 v[25:26], s[16:17], v[10:11]
	v_mul_f64 v[10:11], s[18:19], v[10:11]
	s_delay_alu instid0(VALU_DEP_3) | instskip(NEXT) | instid1(VALU_DEP_1)
	v_lshlrev_b64 v[16:17], 4, v[2:3]
	v_add_co_u32 v23, s1, v20, v16
	s_delay_alu instid0(VALU_DEP_1)
	v_add_co_ci_u32_e64 v24, s1, v22, v17, s1
	v_cmp_ne_u32_e64 s1, v21, v2
	global_load_b128 v[16:19], v[23:24], off
	v_fma_f64 v[25:26], s[18:19], v[6:7], v[25:26]
	v_fma_f64 v[6:7], s[16:17], v[6:7], -v[10:11]
	s_waitcnt vmcnt(0)
	v_mul_f64 v[27:28], s[6:7], v[18:19]
	v_mul_f64 v[18:19], s[8:9], v[18:19]
	s_delay_alu instid0(VALU_DEP_2) | instskip(NEXT) | instid1(VALU_DEP_2)
	v_fma_f64 v[27:28], s[8:9], v[16:17], v[27:28]
	v_fma_f64 v[10:11], s[6:7], v[16:17], -v[18:19]
	s_delay_alu instid0(VALU_DEP_2) | instskip(NEXT) | instid1(VALU_DEP_2)
	v_add_f64 v[18:19], v[25:26], v[27:28]
	v_add_f64 v[16:17], v[6:7], v[10:11]
	s_delay_alu instid0(VALU_DEP_2) | instskip(NEXT) | instid1(VALU_DEP_3)
	v_cndmask_b32_e64 v19, 0, v19, s1
	v_cndmask_b32_e64 v18, 0, v18, s1
	global_store_b128 v[23:24], v[16:19], off
.LBB418_7:
	s_or_b32 exec_lo, exec_lo, s2
	v_add_nc_u32_e32 v3, 16, v21
	s_delay_alu instid0(VALU_DEP_1) | instskip(SKIP_1) | instid1(VALU_DEP_2)
	v_mad_i64_i32 v[6:7], null, v3, s3, 0
	v_cmp_le_i32_e64 s1, v3, v0
	v_lshlrev_b64 v[6:7], 4, v[6:7]
	s_delay_alu instid0(VALU_DEP_1) | instskip(NEXT) | instid1(VALU_DEP_1)
	v_add_co_u32 v6, s2, s4, v6
	v_add_co_ci_u32_e64 v7, s2, s5, v7, s2
	s_delay_alu instid0(VALU_DEP_4) | instskip(NEXT) | instid1(SALU_CYCLE_1)
	s_and_b32 s2, s1, vcc_lo
	s_and_saveexec_b32 s1, s2
	s_cbranch_execz .LBB418_9
; %bb.8:
	v_ashrrev_i32_e32 v1, 31, v0
	s_delay_alu instid0(VALU_DEP_1) | instskip(NEXT) | instid1(VALU_DEP_1)
	v_lshlrev_b64 v[10:11], 4, v[0:1]
	v_add_co_u32 v22, vcc_lo, v6, v10
	s_delay_alu instid0(VALU_DEP_2)
	v_add_co_ci_u32_e32 v23, vcc_lo, v7, v11, vcc_lo
	v_mul_f64 v[10:11], s[16:17], v[14:15]
	v_mul_f64 v[14:15], s[18:19], v[14:15]
	v_cmp_ne_u32_e32 vcc_lo, v3, v0
	global_load_b128 v[16:19], v[22:23], off
	v_fma_f64 v[10:11], s[18:19], v[12:13], v[10:11]
	v_fma_f64 v[12:13], s[16:17], v[12:13], -v[14:15]
	s_waitcnt vmcnt(0)
	v_mul_f64 v[24:25], s[6:7], v[18:19]
	v_mul_f64 v[18:19], s[8:9], v[18:19]
	s_delay_alu instid0(VALU_DEP_2) | instskip(NEXT) | instid1(VALU_DEP_2)
	v_fma_f64 v[24:25], s[8:9], v[16:17], v[24:25]
	v_fma_f64 v[14:15], s[6:7], v[16:17], -v[18:19]
	s_delay_alu instid0(VALU_DEP_2) | instskip(NEXT) | instid1(VALU_DEP_2)
	v_add_f64 v[16:17], v[10:11], v[24:25]
	v_add_f64 v[10:11], v[12:13], v[14:15]
	s_delay_alu instid0(VALU_DEP_2)
	v_dual_cndmask_b32 v13, 0, v17 :: v_dual_cndmask_b32 v12, 0, v16
	global_store_b128 v[22:23], v[10:13], off
.LBB418_9:
	s_or_b32 exec_lo, exec_lo, s1
	v_cmp_le_i32_e32 vcc_lo, v3, v2
	s_and_b32 s0, vcc_lo, s0
	s_delay_alu instid0(SALU_CYCLE_1)
	s_and_saveexec_b32 s1, s0
	s_cbranch_execz .LBB418_11
; %bb.10:
	v_ashrrev_i32_e32 v3, 31, v2
	s_delay_alu instid0(VALU_DEP_1) | instskip(NEXT) | instid1(VALU_DEP_1)
	v_lshlrev_b64 v[1:2], 4, v[2:3]
	v_add_co_u32 v6, vcc_lo, v6, v1
	s_delay_alu instid0(VALU_DEP_2)
	v_add_co_ci_u32_e32 v7, vcc_lo, v7, v2, vcc_lo
	v_mul_f64 v[1:2], s[16:17], v[4:5]
	v_mul_f64 v[3:4], s[18:19], v[4:5]
	v_cmp_ne_u32_e32 vcc_lo, v21, v0
	global_load_b128 v[10:13], v[6:7], off
	v_fma_f64 v[1:2], s[18:19], v[8:9], v[1:2]
	v_fma_f64 v[3:4], s[16:17], v[8:9], -v[3:4]
	s_waitcnt vmcnt(0)
	v_mul_f64 v[14:15], s[6:7], v[12:13]
	v_mul_f64 v[12:13], s[8:9], v[12:13]
	s_delay_alu instid0(VALU_DEP_2) | instskip(NEXT) | instid1(VALU_DEP_2)
	v_fma_f64 v[14:15], s[8:9], v[10:11], v[14:15]
	v_fma_f64 v[8:9], s[6:7], v[10:11], -v[12:13]
	s_delay_alu instid0(VALU_DEP_2) | instskip(NEXT) | instid1(VALU_DEP_2)
	v_add_f64 v[10:11], v[1:2], v[14:15]
	v_add_f64 v[1:2], v[3:4], v[8:9]
	s_delay_alu instid0(VALU_DEP_2)
	v_dual_cndmask_b32 v4, 0, v11 :: v_dual_cndmask_b32 v3, 0, v10
	global_store_b128 v[6:7], v[1:4], off
.LBB418_11:
	s_nop 0
	s_sendmsg sendmsg(MSG_DEALLOC_VGPRS)
	s_endpgm
	.section	.rodata,"a",@progbits
	.p2align	6, 0x0
	.amdhsa_kernel _ZL37rocblas_syrkx_herkx_restricted_kernelIi19rocblas_complex_numIdELi16ELi32ELi8ELb0ELb1ELc67ELc76EKS1_S1_EviT_T0_PT8_S3_lS6_S3_lS4_PT9_S3_li
		.amdhsa_group_segment_fixed_size 8192
		.amdhsa_private_segment_fixed_size 0
		.amdhsa_kernarg_size 116
		.amdhsa_user_sgpr_count 13
		.amdhsa_user_sgpr_dispatch_ptr 0
		.amdhsa_user_sgpr_queue_ptr 0
		.amdhsa_user_sgpr_kernarg_segment_ptr 1
		.amdhsa_user_sgpr_dispatch_id 0
		.amdhsa_user_sgpr_private_segment_size 0
		.amdhsa_wavefront_size32 1
		.amdhsa_uses_dynamic_stack 0
		.amdhsa_enable_private_segment 0
		.amdhsa_system_sgpr_workgroup_id_x 1
		.amdhsa_system_sgpr_workgroup_id_y 1
		.amdhsa_system_sgpr_workgroup_id_z 1
		.amdhsa_system_sgpr_workgroup_info 0
		.amdhsa_system_vgpr_workitem_id 1
		.amdhsa_next_free_vgpr 54
		.amdhsa_next_free_sgpr 29
		.amdhsa_reserve_vcc 1
		.amdhsa_float_round_mode_32 0
		.amdhsa_float_round_mode_16_64 0
		.amdhsa_float_denorm_mode_32 3
		.amdhsa_float_denorm_mode_16_64 3
		.amdhsa_dx10_clamp 1
		.amdhsa_ieee_mode 1
		.amdhsa_fp16_overflow 0
		.amdhsa_workgroup_processor_mode 1
		.amdhsa_memory_ordered 1
		.amdhsa_forward_progress 0
		.amdhsa_shared_vgpr_count 0
		.amdhsa_exception_fp_ieee_invalid_op 0
		.amdhsa_exception_fp_denorm_src 0
		.amdhsa_exception_fp_ieee_div_zero 0
		.amdhsa_exception_fp_ieee_overflow 0
		.amdhsa_exception_fp_ieee_underflow 0
		.amdhsa_exception_fp_ieee_inexact 0
		.amdhsa_exception_int_div_zero 0
	.end_amdhsa_kernel
	.section	.text._ZL37rocblas_syrkx_herkx_restricted_kernelIi19rocblas_complex_numIdELi16ELi32ELi8ELb0ELb1ELc67ELc76EKS1_S1_EviT_T0_PT8_S3_lS6_S3_lS4_PT9_S3_li,"axG",@progbits,_ZL37rocblas_syrkx_herkx_restricted_kernelIi19rocblas_complex_numIdELi16ELi32ELi8ELb0ELb1ELc67ELc76EKS1_S1_EviT_T0_PT8_S3_lS6_S3_lS4_PT9_S3_li,comdat
.Lfunc_end418:
	.size	_ZL37rocblas_syrkx_herkx_restricted_kernelIi19rocblas_complex_numIdELi16ELi32ELi8ELb0ELb1ELc67ELc76EKS1_S1_EviT_T0_PT8_S3_lS6_S3_lS4_PT9_S3_li, .Lfunc_end418-_ZL37rocblas_syrkx_herkx_restricted_kernelIi19rocblas_complex_numIdELi16ELi32ELi8ELb0ELb1ELc67ELc76EKS1_S1_EviT_T0_PT8_S3_lS6_S3_lS4_PT9_S3_li
                                        ; -- End function
	.section	.AMDGPU.csdata,"",@progbits
; Kernel info:
; codeLenInByte = 3684
; NumSgprs: 31
; NumVgprs: 54
; ScratchSize: 0
; MemoryBound: 0
; FloatMode: 240
; IeeeMode: 1
; LDSByteSize: 8192 bytes/workgroup (compile time only)
; SGPRBlocks: 3
; VGPRBlocks: 6
; NumSGPRsForWavesPerEU: 31
; NumVGPRsForWavesPerEU: 54
; Occupancy: 16
; WaveLimiterHint : 0
; COMPUTE_PGM_RSRC2:SCRATCH_EN: 0
; COMPUTE_PGM_RSRC2:USER_SGPR: 13
; COMPUTE_PGM_RSRC2:TRAP_HANDLER: 0
; COMPUTE_PGM_RSRC2:TGID_X_EN: 1
; COMPUTE_PGM_RSRC2:TGID_Y_EN: 1
; COMPUTE_PGM_RSRC2:TGID_Z_EN: 1
; COMPUTE_PGM_RSRC2:TIDIG_COMP_CNT: 1
	.section	.text._ZL37rocblas_syrkx_herkx_restricted_kernelIi19rocblas_complex_numIdELi16ELi32ELi8ELb0ELb1ELc78ELc76EKS1_S1_EviT_T0_PT8_S3_lS6_S3_lS4_PT9_S3_li,"axG",@progbits,_ZL37rocblas_syrkx_herkx_restricted_kernelIi19rocblas_complex_numIdELi16ELi32ELi8ELb0ELb1ELc78ELc76EKS1_S1_EviT_T0_PT8_S3_lS6_S3_lS4_PT9_S3_li,comdat
	.globl	_ZL37rocblas_syrkx_herkx_restricted_kernelIi19rocblas_complex_numIdELi16ELi32ELi8ELb0ELb1ELc78ELc76EKS1_S1_EviT_T0_PT8_S3_lS6_S3_lS4_PT9_S3_li ; -- Begin function _ZL37rocblas_syrkx_herkx_restricted_kernelIi19rocblas_complex_numIdELi16ELi32ELi8ELb0ELb1ELc78ELc76EKS1_S1_EviT_T0_PT8_S3_lS6_S3_lS4_PT9_S3_li
	.p2align	8
	.type	_ZL37rocblas_syrkx_herkx_restricted_kernelIi19rocblas_complex_numIdELi16ELi32ELi8ELb0ELb1ELc78ELc76EKS1_S1_EviT_T0_PT8_S3_lS6_S3_lS4_PT9_S3_li,@function
_ZL37rocblas_syrkx_herkx_restricted_kernelIi19rocblas_complex_numIdELi16ELi32ELi8ELb0ELb1ELc78ELc76EKS1_S1_EviT_T0_PT8_S3_lS6_S3_lS4_PT9_S3_li: ; @_ZL37rocblas_syrkx_herkx_restricted_kernelIi19rocblas_complex_numIdELi16ELi32ELi8ELb0ELb1ELc78ELc76EKS1_S1_EviT_T0_PT8_S3_lS6_S3_lS4_PT9_S3_li
; %bb.0:
	s_clause 0x3
	s_load_b64 s[2:3], s[0:1], 0x0
	s_load_b128 s[16:19], s[0:1], 0x8
	s_load_b64 s[24:25], s[0:1], 0x18
	s_load_b256 s[4:11], s[0:1], 0x40
	v_mov_b32_e32 v16, 0
	v_dual_mov_b32 v17, 0 :: v_dual_and_b32 v20, 0x3ff, v0
	v_bfe_u32 v21, v0, 10, 10
	s_delay_alu instid0(VALU_DEP_3) | instskip(NEXT) | instid1(VALU_DEP_3)
	v_mov_b32_e32 v6, v16
	v_dual_mov_b32 v10, v16 :: v_dual_mov_b32 v11, v17
	v_dual_mov_b32 v19, v17 :: v_dual_mov_b32 v18, v16
	;; [unrolled: 1-line block ×6, first 2 shown]
	v_mov_b32_e32 v5, v17
	s_lshl_b32 s26, s13, 5
	s_lshl_b32 s14, s14, 5
	s_waitcnt lgkmcnt(0)
	s_cmp_lt_i32 s3, 1
	s_mov_b32 s27, 0
	s_cbranch_scc1 .LBB419_3
; %bb.1:
	s_clause 0x1
	s_load_b32 s12, s[0:1], 0x38
	s_load_b32 s28, s[0:1], 0x20
	v_lshl_add_u32 v0, v21, 4, v20
	v_and_b32_e32 v6, 7, v20
	s_load_b128 s[20:23], s[0:1], 0x28
	s_mul_i32 s5, s5, s15
	v_lshl_add_u32 v25, v21, 7, 0x1000
	v_lshrrev_b32_e32 v1, 3, v0
	v_and_b32_e32 v2, 31, v0
	v_lshlrev_b32_e32 v3, 4, v6
	v_lshrrev_b32_e32 v7, 5, v0
	s_delay_alu instid0(VALU_DEP_4) | instskip(NEXT) | instid1(VALU_DEP_4)
	v_add_nc_u32_e32 v0, s14, v1
	v_lshlrev_b32_e32 v4, 4, v2
	s_delay_alu instid0(VALU_DEP_4) | instskip(SKIP_1) | instid1(VALU_DEP_4)
	v_lshl_or_b32 v3, v1, 7, v3
	v_add_nc_u32_e32 v2, s26, v2
	v_ashrrev_i32_e32 v1, 31, v0
	s_delay_alu instid0(VALU_DEP_4) | instskip(NEXT) | instid1(VALU_DEP_4)
	v_lshl_or_b32 v22, v7, 9, v4
	v_add_nc_u32_e32 v23, 0x1000, v3
	s_delay_alu instid0(VALU_DEP_4)
	v_ashrrev_i32_e32 v3, 31, v2
	s_waitcnt lgkmcnt(0)
	s_ashr_i32 s29, s28, 31
	v_mad_i64_i32 v[4:5], null, s12, v6, v[0:1]
	s_mul_i32 s21, s21, s15
	v_mad_i64_i32 v[0:1], null, s28, v7, v[2:3]
	s_mul_hi_u32 s30, s20, s15
	s_mul_i32 s20, s20, s15
	s_add_i32 s21, s30, s21
	s_ashr_i32 s13, s12, 31
	s_lshl_b64 s[20:21], s[20:21], 4
	s_delay_alu instid0(VALU_DEP_1)
	v_lshlrev_b64 v[0:1], 4, v[0:1]
	s_add_u32 s20, s24, s20
	s_addc_u32 s21, s25, s21
	s_mul_hi_u32 s24, s4, s15
	s_mul_i32 s4, s4, s15
	s_add_i32 s5, s24, s5
	v_add_co_u32 v2, vcc_lo, s20, v0
	v_add_co_ci_u32_e32 v3, vcc_lo, s21, v1, vcc_lo
	v_lshlrev_b64 v[0:1], 4, v[4:5]
	s_lshl_b64 s[20:21], s[4:5], 4
	s_lshl_b64 s[4:5], s[28:29], 7
	s_add_u32 s20, s22, s20
	s_addc_u32 s21, s23, s21
	v_mov_b32_e32 v4, 0
	v_add_co_u32 v6, vcc_lo, s20, v0
	v_add_co_ci_u32_e32 v7, vcc_lo, s21, v1, vcc_lo
	v_mov_b32_e32 v5, 0
	v_add_co_u32 v0, vcc_lo, v2, 8
	v_add_co_ci_u32_e32 v1, vcc_lo, 0, v3, vcc_lo
	v_add_co_u32 v2, vcc_lo, v6, 8
	s_delay_alu instid0(VALU_DEP_4)
	v_dual_mov_b32 v11, v5 :: v_dual_lshlrev_b32 v24, 4, v20
	v_mov_b32_e32 v15, v5
	v_mov_b32_e32 v13, v5
	v_add_co_ci_u32_e32 v3, vcc_lo, 0, v7, vcc_lo
	v_dual_mov_b32 v9, v5 :: v_dual_mov_b32 v14, v4
	v_dual_mov_b32 v7, v5 :: v_dual_mov_b32 v12, v4
	;; [unrolled: 1-line block ×4, first 2 shown]
	v_mov_b32_e32 v6, v4
	v_mov_b32_e32 v18, v4
	;; [unrolled: 1-line block ×3, first 2 shown]
	s_lshl_b64 s[12:13], s[12:13], 7
.LBB419_2:                              ; =>This Inner Loop Header: Depth=1
	global_load_b128 v[26:29], v[0:1], off offset:-8
	v_add_co_u32 v0, vcc_lo, v0, s4
	v_add_co_ci_u32_e32 v1, vcc_lo, s5, v1, vcc_lo
	s_add_i32 s27, s27, 8
	s_delay_alu instid0(SALU_CYCLE_1)
	s_cmp_ge_i32 s27, s3
	s_waitcnt vmcnt(0)
	ds_store_b128 v22, v[26:29]
	global_load_b128 v[26:29], v[2:3], off offset:-8
	v_add_co_u32 v2, vcc_lo, v2, s12
	v_add_co_ci_u32_e32 v3, vcc_lo, s13, v3, vcc_lo
	s_waitcnt vmcnt(0)
	v_xor_b32_e32 v29, 0x80000000, v29
	ds_store_b128 v23, v[26:29]
	s_waitcnt lgkmcnt(0)
	s_barrier
	buffer_gl0_inv
	ds_load_b128 v[26:29], v25
	ds_load_b128 v[30:33], v25 offset:16
	ds_load_b128 v[34:37], v25 offset:32
	;; [unrolled: 1-line block ×3, first 2 shown]
	ds_load_b128 v[42:45], v24
	s_waitcnt lgkmcnt(0)
	v_mul_f64 v[46:47], v[28:29], v[44:45]
	v_mul_f64 v[48:49], v[26:27], v[44:45]
	s_delay_alu instid0(VALU_DEP_2) | instskip(NEXT) | instid1(VALU_DEP_2)
	v_fma_f64 v[46:47], v[26:27], v[42:43], -v[46:47]
	v_fma_f64 v[48:49], v[28:29], v[42:43], v[48:49]
	s_delay_alu instid0(VALU_DEP_2) | instskip(NEXT) | instid1(VALU_DEP_2)
	v_add_f64 v[46:47], v[16:17], v[46:47]
	v_add_f64 v[48:49], v[18:19], v[48:49]
	ds_load_b128 v[16:19], v24 offset:256
	s_waitcnt lgkmcnt(0)
	v_mul_f64 v[50:51], v[28:29], v[18:19]
	s_delay_alu instid0(VALU_DEP_1) | instskip(SKIP_1) | instid1(VALU_DEP_2)
	v_fma_f64 v[50:51], v[26:27], v[16:17], -v[50:51]
	v_mul_f64 v[26:27], v[26:27], v[18:19]
	v_add_f64 v[50:51], v[6:7], v[50:51]
	s_delay_alu instid0(VALU_DEP_2) | instskip(NEXT) | instid1(VALU_DEP_1)
	v_fma_f64 v[26:27], v[28:29], v[16:17], v[26:27]
	v_add_f64 v[52:53], v[10:11], v[26:27]
	ds_load_b128 v[26:29], v25 offset:2048
	s_waitcnt lgkmcnt(0)
	v_mul_f64 v[6:7], v[28:29], v[44:45]
	v_mul_f64 v[10:11], v[26:27], v[44:45]
	s_delay_alu instid0(VALU_DEP_2) | instskip(NEXT) | instid1(VALU_DEP_2)
	v_fma_f64 v[6:7], v[26:27], v[42:43], -v[6:7]
	v_fma_f64 v[10:11], v[28:29], v[42:43], v[10:11]
	s_delay_alu instid0(VALU_DEP_2) | instskip(NEXT) | instid1(VALU_DEP_2)
	v_add_f64 v[42:43], v[12:13], v[6:7]
	v_add_f64 v[44:45], v[14:15], v[10:11]
	v_mul_f64 v[6:7], v[28:29], v[18:19]
	v_mul_f64 v[10:11], v[26:27], v[18:19]
	s_delay_alu instid0(VALU_DEP_2) | instskip(NEXT) | instid1(VALU_DEP_2)
	v_fma_f64 v[6:7], v[26:27], v[16:17], -v[6:7]
	v_fma_f64 v[10:11], v[28:29], v[16:17], v[10:11]
	s_delay_alu instid0(VALU_DEP_2) | instskip(NEXT) | instid1(VALU_DEP_2)
	v_add_f64 v[16:17], v[8:9], v[6:7]
	v_add_f64 v[18:19], v[4:5], v[10:11]
	ds_load_b128 v[4:7], v24 offset:512
	s_waitcnt lgkmcnt(0)
	v_mul_f64 v[8:9], v[32:33], v[6:7]
	v_mul_f64 v[10:11], v[30:31], v[6:7]
	s_delay_alu instid0(VALU_DEP_2) | instskip(NEXT) | instid1(VALU_DEP_2)
	v_fma_f64 v[8:9], v[30:31], v[4:5], -v[8:9]
	v_fma_f64 v[10:11], v[32:33], v[4:5], v[10:11]
	s_delay_alu instid0(VALU_DEP_2) | instskip(NEXT) | instid1(VALU_DEP_2)
	v_add_f64 v[26:27], v[46:47], v[8:9]
	v_add_f64 v[28:29], v[48:49], v[10:11]
	ds_load_b128 v[8:11], v24 offset:768
	s_waitcnt lgkmcnt(0)
	;; [unrolled: 10-line block ×3, first 2 shown]
	v_mul_f64 v[46:47], v[14:15], v[6:7]
	v_mul_f64 v[6:7], v[12:13], v[6:7]
	s_delay_alu instid0(VALU_DEP_2) | instskip(NEXT) | instid1(VALU_DEP_2)
	v_fma_f64 v[46:47], v[12:13], v[4:5], -v[46:47]
	v_fma_f64 v[4:5], v[14:15], v[4:5], v[6:7]
	v_mul_f64 v[6:7], v[12:13], v[10:11]
	s_delay_alu instid0(VALU_DEP_3) | instskip(NEXT) | instid1(VALU_DEP_3)
	v_add_f64 v[42:43], v[42:43], v[46:47]
	v_add_f64 v[44:45], v[44:45], v[4:5]
	v_mul_f64 v[4:5], v[14:15], v[10:11]
	s_delay_alu instid0(VALU_DEP_4) | instskip(NEXT) | instid1(VALU_DEP_2)
	v_fma_f64 v[6:7], v[14:15], v[8:9], v[6:7]
	v_fma_f64 v[4:5], v[12:13], v[8:9], -v[4:5]
	s_delay_alu instid0(VALU_DEP_2) | instskip(NEXT) | instid1(VALU_DEP_2)
	v_add_f64 v[18:19], v[18:19], v[6:7]
	v_add_f64 v[16:17], v[16:17], v[4:5]
	ds_load_b128 v[4:7], v24 offset:1024
	s_waitcnt lgkmcnt(0)
	v_mul_f64 v[8:9], v[36:37], v[6:7]
	v_mul_f64 v[10:11], v[34:35], v[6:7]
	s_delay_alu instid0(VALU_DEP_2) | instskip(NEXT) | instid1(VALU_DEP_2)
	v_fma_f64 v[8:9], v[34:35], v[4:5], -v[8:9]
	v_fma_f64 v[10:11], v[36:37], v[4:5], v[10:11]
	s_delay_alu instid0(VALU_DEP_2) | instskip(NEXT) | instid1(VALU_DEP_2)
	v_add_f64 v[26:27], v[26:27], v[8:9]
	v_add_f64 v[28:29], v[28:29], v[10:11]
	ds_load_b128 v[8:11], v24 offset:1280
	s_waitcnt lgkmcnt(0)
	v_mul_f64 v[12:13], v[36:37], v[10:11]
	v_mul_f64 v[14:15], v[34:35], v[10:11]
	s_delay_alu instid0(VALU_DEP_2) | instskip(NEXT) | instid1(VALU_DEP_2)
	v_fma_f64 v[12:13], v[34:35], v[8:9], -v[12:13]
	v_fma_f64 v[14:15], v[36:37], v[8:9], v[14:15]
	;; [unrolled: 10-line block ×3, first 2 shown]
	v_mul_f64 v[6:7], v[12:13], v[10:11]
	s_delay_alu instid0(VALU_DEP_3) | instskip(NEXT) | instid1(VALU_DEP_3)
	v_add_f64 v[34:35], v[42:43], v[34:35]
	v_add_f64 v[36:37], v[44:45], v[4:5]
	v_mul_f64 v[4:5], v[14:15], v[10:11]
	s_delay_alu instid0(VALU_DEP_4) | instskip(NEXT) | instid1(VALU_DEP_2)
	v_fma_f64 v[6:7], v[14:15], v[8:9], v[6:7]
	v_fma_f64 v[4:5], v[12:13], v[8:9], -v[4:5]
	s_delay_alu instid0(VALU_DEP_2) | instskip(NEXT) | instid1(VALU_DEP_2)
	v_add_f64 v[18:19], v[18:19], v[6:7]
	v_add_f64 v[16:17], v[16:17], v[4:5]
	ds_load_b128 v[4:7], v24 offset:1536
	s_waitcnt lgkmcnt(0)
	v_mul_f64 v[8:9], v[40:41], v[6:7]
	v_mul_f64 v[10:11], v[38:39], v[6:7]
	s_delay_alu instid0(VALU_DEP_2) | instskip(NEXT) | instid1(VALU_DEP_2)
	v_fma_f64 v[8:9], v[38:39], v[4:5], -v[8:9]
	v_fma_f64 v[10:11], v[40:41], v[4:5], v[10:11]
	s_delay_alu instid0(VALU_DEP_2) | instskip(NEXT) | instid1(VALU_DEP_2)
	v_add_f64 v[26:27], v[26:27], v[8:9]
	v_add_f64 v[28:29], v[28:29], v[10:11]
	ds_load_b128 v[8:11], v24 offset:1792
	s_waitcnt lgkmcnt(0)
	v_mul_f64 v[12:13], v[40:41], v[10:11]
	v_mul_f64 v[14:15], v[38:39], v[10:11]
	s_delay_alu instid0(VALU_DEP_2) | instskip(NEXT) | instid1(VALU_DEP_2)
	v_fma_f64 v[12:13], v[38:39], v[8:9], -v[12:13]
	v_fma_f64 v[14:15], v[40:41], v[8:9], v[14:15]
	s_delay_alu instid0(VALU_DEP_2) | instskip(NEXT) | instid1(VALU_DEP_2)
	v_add_f64 v[30:31], v[30:31], v[12:13]
	v_add_f64 v[32:33], v[32:33], v[14:15]
	ds_load_b128 v[12:15], v25 offset:2096
	s_waitcnt lgkmcnt(0)
	v_mul_f64 v[38:39], v[14:15], v[6:7]
	v_mul_f64 v[6:7], v[12:13], v[6:7]
	s_delay_alu instid0(VALU_DEP_2) | instskip(NEXT) | instid1(VALU_DEP_2)
	v_fma_f64 v[38:39], v[12:13], v[4:5], -v[38:39]
	v_fma_f64 v[4:5], v[14:15], v[4:5], v[6:7]
	v_mul_f64 v[6:7], v[12:13], v[10:11]
	s_delay_alu instid0(VALU_DEP_3) | instskip(NEXT) | instid1(VALU_DEP_3)
	v_add_f64 v[34:35], v[34:35], v[38:39]
	v_add_f64 v[36:37], v[36:37], v[4:5]
	v_mul_f64 v[4:5], v[14:15], v[10:11]
	s_delay_alu instid0(VALU_DEP_4) | instskip(NEXT) | instid1(VALU_DEP_2)
	v_fma_f64 v[6:7], v[14:15], v[8:9], v[6:7]
	v_fma_f64 v[4:5], v[12:13], v[8:9], -v[4:5]
	s_delay_alu instid0(VALU_DEP_2) | instskip(NEXT) | instid1(VALU_DEP_2)
	v_add_f64 v[18:19], v[18:19], v[6:7]
	v_add_f64 v[16:17], v[16:17], v[4:5]
	ds_load_b128 v[4:7], v25 offset:64
	ds_load_b128 v[8:11], v24 offset:2048
	s_waitcnt lgkmcnt(0)
	v_mul_f64 v[12:13], v[6:7], v[10:11]
	v_mul_f64 v[14:15], v[4:5], v[10:11]
	s_delay_alu instid0(VALU_DEP_2) | instskip(NEXT) | instid1(VALU_DEP_2)
	v_fma_f64 v[12:13], v[4:5], v[8:9], -v[12:13]
	v_fma_f64 v[14:15], v[6:7], v[8:9], v[14:15]
	s_delay_alu instid0(VALU_DEP_2) | instskip(NEXT) | instid1(VALU_DEP_2)
	v_add_f64 v[26:27], v[26:27], v[12:13]
	v_add_f64 v[28:29], v[28:29], v[14:15]
	ds_load_b128 v[12:15], v24 offset:2304
	s_waitcnt lgkmcnt(0)
	v_mul_f64 v[38:39], v[6:7], v[14:15]
	s_delay_alu instid0(VALU_DEP_1) | instskip(SKIP_1) | instid1(VALU_DEP_2)
	v_fma_f64 v[38:39], v[4:5], v[12:13], -v[38:39]
	v_mul_f64 v[4:5], v[4:5], v[14:15]
	v_add_f64 v[30:31], v[30:31], v[38:39]
	s_delay_alu instid0(VALU_DEP_2) | instskip(NEXT) | instid1(VALU_DEP_1)
	v_fma_f64 v[4:5], v[6:7], v[12:13], v[4:5]
	v_add_f64 v[32:33], v[32:33], v[4:5]
	ds_load_b128 v[4:7], v25 offset:2112
	s_waitcnt lgkmcnt(0)
	v_mul_f64 v[38:39], v[6:7], v[10:11]
	v_mul_f64 v[10:11], v[4:5], v[10:11]
	s_delay_alu instid0(VALU_DEP_2) | instskip(NEXT) | instid1(VALU_DEP_2)
	v_fma_f64 v[38:39], v[4:5], v[8:9], -v[38:39]
	v_fma_f64 v[8:9], v[6:7], v[8:9], v[10:11]
	s_delay_alu instid0(VALU_DEP_2) | instskip(NEXT) | instid1(VALU_DEP_2)
	v_add_f64 v[34:35], v[34:35], v[38:39]
	v_add_f64 v[36:37], v[36:37], v[8:9]
	v_mul_f64 v[8:9], v[6:7], v[14:15]
	s_delay_alu instid0(VALU_DEP_1) | instskip(SKIP_1) | instid1(VALU_DEP_2)
	v_fma_f64 v[8:9], v[4:5], v[12:13], -v[8:9]
	v_mul_f64 v[4:5], v[4:5], v[14:15]
	v_add_f64 v[16:17], v[16:17], v[8:9]
	s_delay_alu instid0(VALU_DEP_2) | instskip(NEXT) | instid1(VALU_DEP_1)
	v_fma_f64 v[4:5], v[6:7], v[12:13], v[4:5]
	v_add_f64 v[18:19], v[18:19], v[4:5]
	ds_load_b128 v[4:7], v25 offset:80
	ds_load_b128 v[8:11], v24 offset:2560
	s_waitcnt lgkmcnt(0)
	v_mul_f64 v[12:13], v[6:7], v[10:11]
	v_mul_f64 v[14:15], v[4:5], v[10:11]
	s_delay_alu instid0(VALU_DEP_2) | instskip(NEXT) | instid1(VALU_DEP_2)
	v_fma_f64 v[12:13], v[4:5], v[8:9], -v[12:13]
	v_fma_f64 v[14:15], v[6:7], v[8:9], v[14:15]
	s_delay_alu instid0(VALU_DEP_2) | instskip(NEXT) | instid1(VALU_DEP_2)
	v_add_f64 v[26:27], v[26:27], v[12:13]
	v_add_f64 v[28:29], v[28:29], v[14:15]
	ds_load_b128 v[12:15], v24 offset:2816
	s_waitcnt lgkmcnt(0)
	v_mul_f64 v[38:39], v[6:7], v[14:15]
	s_delay_alu instid0(VALU_DEP_1) | instskip(SKIP_1) | instid1(VALU_DEP_2)
	v_fma_f64 v[38:39], v[4:5], v[12:13], -v[38:39]
	v_mul_f64 v[4:5], v[4:5], v[14:15]
	v_add_f64 v[30:31], v[30:31], v[38:39]
	s_delay_alu instid0(VALU_DEP_2) | instskip(NEXT) | instid1(VALU_DEP_1)
	v_fma_f64 v[4:5], v[6:7], v[12:13], v[4:5]
	v_add_f64 v[32:33], v[32:33], v[4:5]
	ds_load_b128 v[4:7], v25 offset:2128
	s_waitcnt lgkmcnt(0)
	v_mul_f64 v[38:39], v[6:7], v[10:11]
	v_mul_f64 v[10:11], v[4:5], v[10:11]
	s_delay_alu instid0(VALU_DEP_2) | instskip(NEXT) | instid1(VALU_DEP_2)
	v_fma_f64 v[38:39], v[4:5], v[8:9], -v[38:39]
	v_fma_f64 v[8:9], v[6:7], v[8:9], v[10:11]
	s_delay_alu instid0(VALU_DEP_2) | instskip(NEXT) | instid1(VALU_DEP_2)
	v_add_f64 v[34:35], v[34:35], v[38:39]
	v_add_f64 v[36:37], v[36:37], v[8:9]
	v_mul_f64 v[8:9], v[6:7], v[14:15]
	s_delay_alu instid0(VALU_DEP_1) | instskip(SKIP_1) | instid1(VALU_DEP_2)
	v_fma_f64 v[8:9], v[4:5], v[12:13], -v[8:9]
	v_mul_f64 v[4:5], v[4:5], v[14:15]
	v_add_f64 v[16:17], v[16:17], v[8:9]
	s_delay_alu instid0(VALU_DEP_2) | instskip(NEXT) | instid1(VALU_DEP_1)
	v_fma_f64 v[4:5], v[6:7], v[12:13], v[4:5]
	v_add_f64 v[18:19], v[18:19], v[4:5]
	ds_load_b128 v[4:7], v25 offset:96
	ds_load_b128 v[8:11], v24 offset:3072
	s_waitcnt lgkmcnt(0)
	v_mul_f64 v[12:13], v[6:7], v[10:11]
	v_mul_f64 v[14:15], v[4:5], v[10:11]
	s_delay_alu instid0(VALU_DEP_2) | instskip(NEXT) | instid1(VALU_DEP_2)
	v_fma_f64 v[12:13], v[4:5], v[8:9], -v[12:13]
	v_fma_f64 v[14:15], v[6:7], v[8:9], v[14:15]
	s_delay_alu instid0(VALU_DEP_2) | instskip(NEXT) | instid1(VALU_DEP_2)
	v_add_f64 v[26:27], v[26:27], v[12:13]
	v_add_f64 v[28:29], v[28:29], v[14:15]
	ds_load_b128 v[12:15], v24 offset:3328
	s_waitcnt lgkmcnt(0)
	v_mul_f64 v[38:39], v[6:7], v[14:15]
	s_delay_alu instid0(VALU_DEP_1) | instskip(SKIP_1) | instid1(VALU_DEP_2)
	v_fma_f64 v[38:39], v[4:5], v[12:13], -v[38:39]
	v_mul_f64 v[4:5], v[4:5], v[14:15]
	v_add_f64 v[30:31], v[30:31], v[38:39]
	s_delay_alu instid0(VALU_DEP_2) | instskip(NEXT) | instid1(VALU_DEP_1)
	v_fma_f64 v[4:5], v[6:7], v[12:13], v[4:5]
	v_add_f64 v[32:33], v[32:33], v[4:5]
	ds_load_b128 v[4:7], v25 offset:2144
	s_waitcnt lgkmcnt(0)
	v_mul_f64 v[38:39], v[6:7], v[10:11]
	v_mul_f64 v[10:11], v[4:5], v[10:11]
	s_delay_alu instid0(VALU_DEP_2) | instskip(NEXT) | instid1(VALU_DEP_2)
	v_fma_f64 v[38:39], v[4:5], v[8:9], -v[38:39]
	v_fma_f64 v[8:9], v[6:7], v[8:9], v[10:11]
	v_mul_f64 v[10:11], v[6:7], v[14:15]
	s_delay_alu instid0(VALU_DEP_3) | instskip(NEXT) | instid1(VALU_DEP_3)
	v_add_f64 v[34:35], v[34:35], v[38:39]
	v_add_f64 v[8:9], v[36:37], v[8:9]
	s_delay_alu instid0(VALU_DEP_3) | instskip(SKIP_1) | instid1(VALU_DEP_2)
	v_fma_f64 v[10:11], v[4:5], v[12:13], -v[10:11]
	v_mul_f64 v[4:5], v[4:5], v[14:15]
	v_add_f64 v[36:37], v[16:17], v[10:11]
	s_delay_alu instid0(VALU_DEP_2) | instskip(NEXT) | instid1(VALU_DEP_1)
	v_fma_f64 v[4:5], v[6:7], v[12:13], v[4:5]
	v_add_f64 v[38:39], v[18:19], v[4:5]
	ds_load_b128 v[4:7], v25 offset:112
	ds_load_b128 v[12:15], v24 offset:3584
	s_waitcnt lgkmcnt(0)
	v_mul_f64 v[10:11], v[6:7], v[14:15]
	v_mul_f64 v[16:17], v[4:5], v[14:15]
	s_delay_alu instid0(VALU_DEP_2) | instskip(NEXT) | instid1(VALU_DEP_2)
	v_fma_f64 v[10:11], v[4:5], v[12:13], -v[10:11]
	v_fma_f64 v[18:19], v[6:7], v[12:13], v[16:17]
	s_delay_alu instid0(VALU_DEP_2) | instskip(NEXT) | instid1(VALU_DEP_2)
	v_add_f64 v[16:17], v[26:27], v[10:11]
	v_add_f64 v[18:19], v[28:29], v[18:19]
	ds_load_b128 v[26:29], v24 offset:3840
	s_waitcnt lgkmcnt(0)
	v_mul_f64 v[10:11], v[6:7], v[28:29]
	s_delay_alu instid0(VALU_DEP_1) | instskip(SKIP_1) | instid1(VALU_DEP_1)
	v_fma_f64 v[10:11], v[4:5], v[26:27], -v[10:11]
	v_mul_f64 v[4:5], v[4:5], v[28:29]
	v_fma_f64 v[4:5], v[6:7], v[26:27], v[4:5]
	s_delay_alu instid0(VALU_DEP_3) | instskip(NEXT) | instid1(VALU_DEP_2)
	v_add_f64 v[6:7], v[30:31], v[10:11]
	v_add_f64 v[10:11], v[32:33], v[4:5]
	ds_load_b128 v[30:33], v25 offset:2160
	s_waitcnt lgkmcnt(0)
	s_barrier
	buffer_gl0_inv
	v_mul_f64 v[4:5], v[32:33], v[14:15]
	v_mul_f64 v[14:15], v[30:31], v[14:15]
	s_delay_alu instid0(VALU_DEP_2) | instskip(NEXT) | instid1(VALU_DEP_2)
	v_fma_f64 v[4:5], v[30:31], v[12:13], -v[4:5]
	v_fma_f64 v[14:15], v[32:33], v[12:13], v[14:15]
	s_delay_alu instid0(VALU_DEP_2) | instskip(NEXT) | instid1(VALU_DEP_2)
	v_add_f64 v[12:13], v[34:35], v[4:5]
	v_add_f64 v[14:15], v[8:9], v[14:15]
	v_mul_f64 v[4:5], v[32:33], v[28:29]
	v_mul_f64 v[8:9], v[30:31], v[28:29]
	s_delay_alu instid0(VALU_DEP_2) | instskip(NEXT) | instid1(VALU_DEP_2)
	v_fma_f64 v[4:5], v[30:31], v[26:27], -v[4:5]
	v_fma_f64 v[26:27], v[32:33], v[26:27], v[8:9]
	s_delay_alu instid0(VALU_DEP_2) | instskip(NEXT) | instid1(VALU_DEP_2)
	v_add_f64 v[8:9], v[36:37], v[4:5]
	v_add_f64 v[4:5], v[38:39], v[26:27]
	s_cbranch_scc0 .LBB419_2
.LBB419_3:
	s_clause 0x1
	s_load_b32 s3, s[0:1], 0x60
	s_load_b64 s[4:5], s[0:1], 0x68
	v_add_nc_u32_e32 v21, s14, v21
	v_add_nc_u32_e32 v0, s26, v20
	s_delay_alu instid0(VALU_DEP_1)
	v_cmp_le_i32_e64 s0, v21, v0
	v_cmp_gt_i32_e32 vcc_lo, s2, v0
	s_waitcnt lgkmcnt(0)
	v_mad_i64_i32 v[1:2], null, v21, s3, 0
	s_mul_i32 s1, s15, s5
	s_mul_hi_u32 s5, s15, s4
	s_mul_i32 s4, s15, s4
	s_add_i32 s5, s5, s1
	s_delay_alu instid0(SALU_CYCLE_1) | instskip(NEXT) | instid1(VALU_DEP_1)
	s_lshl_b64 s[4:5], s[4:5], 4
	v_lshlrev_b64 v[1:2], 4, v[1:2]
	s_add_u32 s4, s10, s4
	s_addc_u32 s5, s11, s5
	s_and_b32 s0, s0, vcc_lo
	s_delay_alu instid0(VALU_DEP_1) | instskip(NEXT) | instid1(VALU_DEP_1)
	v_add_co_u32 v20, s1, s4, v1
	v_add_co_ci_u32_e64 v22, s1, s5, v2, s1
	s_and_saveexec_b32 s1, s0
	s_cbranch_execz .LBB419_5
; %bb.4:
	v_ashrrev_i32_e32 v1, 31, v0
	v_mul_f64 v[27:28], s[16:17], v[18:19]
	v_mul_f64 v[18:19], s[18:19], v[18:19]
	s_delay_alu instid0(VALU_DEP_3) | instskip(NEXT) | instid1(VALU_DEP_1)
	v_lshlrev_b64 v[1:2], 4, v[0:1]
	v_add_co_u32 v1, s0, v20, v1
	s_delay_alu instid0(VALU_DEP_1)
	v_add_co_ci_u32_e64 v2, s0, v22, v2, s0
	v_cmp_ne_u32_e64 s0, v21, v0
	global_load_b128 v[23:26], v[1:2], off
	v_fma_f64 v[27:28], s[18:19], v[16:17], v[27:28]
	v_fma_f64 v[16:17], s[16:17], v[16:17], -v[18:19]
	s_waitcnt vmcnt(0)
	v_mul_f64 v[29:30], s[6:7], v[25:26]
	v_mul_f64 v[25:26], s[8:9], v[25:26]
	s_delay_alu instid0(VALU_DEP_2) | instskip(NEXT) | instid1(VALU_DEP_2)
	v_fma_f64 v[29:30], s[8:9], v[23:24], v[29:30]
	v_fma_f64 v[18:19], s[6:7], v[23:24], -v[25:26]
	s_delay_alu instid0(VALU_DEP_2) | instskip(NEXT) | instid1(VALU_DEP_2)
	v_add_f64 v[23:24], v[27:28], v[29:30]
	v_add_f64 v[16:17], v[16:17], v[18:19]
	s_delay_alu instid0(VALU_DEP_2) | instskip(NEXT) | instid1(VALU_DEP_3)
	v_cndmask_b32_e64 v19, 0, v24, s0
	v_cndmask_b32_e64 v18, 0, v23, s0
	global_store_b128 v[1:2], v[16:19], off
.LBB419_5:
	s_or_b32 exec_lo, exec_lo, s1
	v_add_nc_u32_e32 v2, 16, v0
	s_delay_alu instid0(VALU_DEP_1) | instskip(SKIP_1) | instid1(VALU_DEP_1)
	v_cmp_le_i32_e64 s1, v21, v2
	v_cmp_gt_i32_e64 s0, s2, v2
	s_and_b32 s1, s1, s0
	s_delay_alu instid0(SALU_CYCLE_1)
	s_and_saveexec_b32 s2, s1
	s_cbranch_execz .LBB419_7
; %bb.6:
	v_ashrrev_i32_e32 v3, 31, v2
	v_mul_f64 v[25:26], s[16:17], v[10:11]
	v_mul_f64 v[10:11], s[18:19], v[10:11]
	s_delay_alu instid0(VALU_DEP_3) | instskip(NEXT) | instid1(VALU_DEP_1)
	v_lshlrev_b64 v[16:17], 4, v[2:3]
	v_add_co_u32 v23, s1, v20, v16
	s_delay_alu instid0(VALU_DEP_1)
	v_add_co_ci_u32_e64 v24, s1, v22, v17, s1
	v_cmp_ne_u32_e64 s1, v21, v2
	global_load_b128 v[16:19], v[23:24], off
	v_fma_f64 v[25:26], s[18:19], v[6:7], v[25:26]
	v_fma_f64 v[6:7], s[16:17], v[6:7], -v[10:11]
	s_waitcnt vmcnt(0)
	v_mul_f64 v[27:28], s[6:7], v[18:19]
	v_mul_f64 v[18:19], s[8:9], v[18:19]
	s_delay_alu instid0(VALU_DEP_2) | instskip(NEXT) | instid1(VALU_DEP_2)
	v_fma_f64 v[27:28], s[8:9], v[16:17], v[27:28]
	v_fma_f64 v[10:11], s[6:7], v[16:17], -v[18:19]
	s_delay_alu instid0(VALU_DEP_2) | instskip(NEXT) | instid1(VALU_DEP_2)
	v_add_f64 v[18:19], v[25:26], v[27:28]
	v_add_f64 v[16:17], v[6:7], v[10:11]
	s_delay_alu instid0(VALU_DEP_2) | instskip(NEXT) | instid1(VALU_DEP_3)
	v_cndmask_b32_e64 v19, 0, v19, s1
	v_cndmask_b32_e64 v18, 0, v18, s1
	global_store_b128 v[23:24], v[16:19], off
.LBB419_7:
	s_or_b32 exec_lo, exec_lo, s2
	v_add_nc_u32_e32 v3, 16, v21
	s_delay_alu instid0(VALU_DEP_1) | instskip(SKIP_1) | instid1(VALU_DEP_2)
	v_mad_i64_i32 v[6:7], null, v3, s3, 0
	v_cmp_le_i32_e64 s1, v3, v0
	v_lshlrev_b64 v[6:7], 4, v[6:7]
	s_delay_alu instid0(VALU_DEP_1) | instskip(NEXT) | instid1(VALU_DEP_1)
	v_add_co_u32 v6, s2, s4, v6
	v_add_co_ci_u32_e64 v7, s2, s5, v7, s2
	s_delay_alu instid0(VALU_DEP_4) | instskip(NEXT) | instid1(SALU_CYCLE_1)
	s_and_b32 s2, s1, vcc_lo
	s_and_saveexec_b32 s1, s2
	s_cbranch_execz .LBB419_9
; %bb.8:
	v_ashrrev_i32_e32 v1, 31, v0
	s_delay_alu instid0(VALU_DEP_1) | instskip(NEXT) | instid1(VALU_DEP_1)
	v_lshlrev_b64 v[10:11], 4, v[0:1]
	v_add_co_u32 v22, vcc_lo, v6, v10
	s_delay_alu instid0(VALU_DEP_2)
	v_add_co_ci_u32_e32 v23, vcc_lo, v7, v11, vcc_lo
	v_mul_f64 v[10:11], s[16:17], v[14:15]
	v_mul_f64 v[14:15], s[18:19], v[14:15]
	v_cmp_ne_u32_e32 vcc_lo, v3, v0
	global_load_b128 v[16:19], v[22:23], off
	v_fma_f64 v[10:11], s[18:19], v[12:13], v[10:11]
	v_fma_f64 v[12:13], s[16:17], v[12:13], -v[14:15]
	s_waitcnt vmcnt(0)
	v_mul_f64 v[24:25], s[6:7], v[18:19]
	v_mul_f64 v[18:19], s[8:9], v[18:19]
	s_delay_alu instid0(VALU_DEP_2) | instskip(NEXT) | instid1(VALU_DEP_2)
	v_fma_f64 v[24:25], s[8:9], v[16:17], v[24:25]
	v_fma_f64 v[14:15], s[6:7], v[16:17], -v[18:19]
	s_delay_alu instid0(VALU_DEP_2) | instskip(NEXT) | instid1(VALU_DEP_2)
	v_add_f64 v[16:17], v[10:11], v[24:25]
	v_add_f64 v[10:11], v[12:13], v[14:15]
	s_delay_alu instid0(VALU_DEP_2)
	v_dual_cndmask_b32 v13, 0, v17 :: v_dual_cndmask_b32 v12, 0, v16
	global_store_b128 v[22:23], v[10:13], off
.LBB419_9:
	s_or_b32 exec_lo, exec_lo, s1
	v_cmp_le_i32_e32 vcc_lo, v3, v2
	s_and_b32 s0, vcc_lo, s0
	s_delay_alu instid0(SALU_CYCLE_1)
	s_and_saveexec_b32 s1, s0
	s_cbranch_execz .LBB419_11
; %bb.10:
	v_ashrrev_i32_e32 v3, 31, v2
	s_delay_alu instid0(VALU_DEP_1) | instskip(NEXT) | instid1(VALU_DEP_1)
	v_lshlrev_b64 v[1:2], 4, v[2:3]
	v_add_co_u32 v6, vcc_lo, v6, v1
	s_delay_alu instid0(VALU_DEP_2)
	v_add_co_ci_u32_e32 v7, vcc_lo, v7, v2, vcc_lo
	v_mul_f64 v[1:2], s[16:17], v[4:5]
	v_mul_f64 v[3:4], s[18:19], v[4:5]
	v_cmp_ne_u32_e32 vcc_lo, v21, v0
	global_load_b128 v[10:13], v[6:7], off
	v_fma_f64 v[1:2], s[18:19], v[8:9], v[1:2]
	v_fma_f64 v[3:4], s[16:17], v[8:9], -v[3:4]
	s_waitcnt vmcnt(0)
	v_mul_f64 v[14:15], s[6:7], v[12:13]
	v_mul_f64 v[12:13], s[8:9], v[12:13]
	s_delay_alu instid0(VALU_DEP_2) | instskip(NEXT) | instid1(VALU_DEP_2)
	v_fma_f64 v[14:15], s[8:9], v[10:11], v[14:15]
	v_fma_f64 v[8:9], s[6:7], v[10:11], -v[12:13]
	s_delay_alu instid0(VALU_DEP_2) | instskip(NEXT) | instid1(VALU_DEP_2)
	v_add_f64 v[10:11], v[1:2], v[14:15]
	v_add_f64 v[1:2], v[3:4], v[8:9]
	s_delay_alu instid0(VALU_DEP_2)
	v_dual_cndmask_b32 v4, 0, v11 :: v_dual_cndmask_b32 v3, 0, v10
	global_store_b128 v[6:7], v[1:4], off
.LBB419_11:
	s_nop 0
	s_sendmsg sendmsg(MSG_DEALLOC_VGPRS)
	s_endpgm
	.section	.rodata,"a",@progbits
	.p2align	6, 0x0
	.amdhsa_kernel _ZL37rocblas_syrkx_herkx_restricted_kernelIi19rocblas_complex_numIdELi16ELi32ELi8ELb0ELb1ELc78ELc76EKS1_S1_EviT_T0_PT8_S3_lS6_S3_lS4_PT9_S3_li
		.amdhsa_group_segment_fixed_size 8192
		.amdhsa_private_segment_fixed_size 0
		.amdhsa_kernarg_size 116
		.amdhsa_user_sgpr_count 13
		.amdhsa_user_sgpr_dispatch_ptr 0
		.amdhsa_user_sgpr_queue_ptr 0
		.amdhsa_user_sgpr_kernarg_segment_ptr 1
		.amdhsa_user_sgpr_dispatch_id 0
		.amdhsa_user_sgpr_private_segment_size 0
		.amdhsa_wavefront_size32 1
		.amdhsa_uses_dynamic_stack 0
		.amdhsa_enable_private_segment 0
		.amdhsa_system_sgpr_workgroup_id_x 1
		.amdhsa_system_sgpr_workgroup_id_y 1
		.amdhsa_system_sgpr_workgroup_id_z 1
		.amdhsa_system_sgpr_workgroup_info 0
		.amdhsa_system_vgpr_workitem_id 1
		.amdhsa_next_free_vgpr 54
		.amdhsa_next_free_sgpr 31
		.amdhsa_reserve_vcc 1
		.amdhsa_float_round_mode_32 0
		.amdhsa_float_round_mode_16_64 0
		.amdhsa_float_denorm_mode_32 3
		.amdhsa_float_denorm_mode_16_64 3
		.amdhsa_dx10_clamp 1
		.amdhsa_ieee_mode 1
		.amdhsa_fp16_overflow 0
		.amdhsa_workgroup_processor_mode 1
		.amdhsa_memory_ordered 1
		.amdhsa_forward_progress 0
		.amdhsa_shared_vgpr_count 0
		.amdhsa_exception_fp_ieee_invalid_op 0
		.amdhsa_exception_fp_denorm_src 0
		.amdhsa_exception_fp_ieee_div_zero 0
		.amdhsa_exception_fp_ieee_overflow 0
		.amdhsa_exception_fp_ieee_underflow 0
		.amdhsa_exception_fp_ieee_inexact 0
		.amdhsa_exception_int_div_zero 0
	.end_amdhsa_kernel
	.section	.text._ZL37rocblas_syrkx_herkx_restricted_kernelIi19rocblas_complex_numIdELi16ELi32ELi8ELb0ELb1ELc78ELc76EKS1_S1_EviT_T0_PT8_S3_lS6_S3_lS4_PT9_S3_li,"axG",@progbits,_ZL37rocblas_syrkx_herkx_restricted_kernelIi19rocblas_complex_numIdELi16ELi32ELi8ELb0ELb1ELc78ELc76EKS1_S1_EviT_T0_PT8_S3_lS6_S3_lS4_PT9_S3_li,comdat
.Lfunc_end419:
	.size	_ZL37rocblas_syrkx_herkx_restricted_kernelIi19rocblas_complex_numIdELi16ELi32ELi8ELb0ELb1ELc78ELc76EKS1_S1_EviT_T0_PT8_S3_lS6_S3_lS4_PT9_S3_li, .Lfunc_end419-_ZL37rocblas_syrkx_herkx_restricted_kernelIi19rocblas_complex_numIdELi16ELi32ELi8ELb0ELb1ELc78ELc76EKS1_S1_EviT_T0_PT8_S3_lS6_S3_lS4_PT9_S3_li
                                        ; -- End function
	.section	.AMDGPU.csdata,"",@progbits
; Kernel info:
; codeLenInByte = 3700
; NumSgprs: 33
; NumVgprs: 54
; ScratchSize: 0
; MemoryBound: 0
; FloatMode: 240
; IeeeMode: 1
; LDSByteSize: 8192 bytes/workgroup (compile time only)
; SGPRBlocks: 4
; VGPRBlocks: 6
; NumSGPRsForWavesPerEU: 33
; NumVGPRsForWavesPerEU: 54
; Occupancy: 16
; WaveLimiterHint : 0
; COMPUTE_PGM_RSRC2:SCRATCH_EN: 0
; COMPUTE_PGM_RSRC2:USER_SGPR: 13
; COMPUTE_PGM_RSRC2:TRAP_HANDLER: 0
; COMPUTE_PGM_RSRC2:TGID_X_EN: 1
; COMPUTE_PGM_RSRC2:TGID_Y_EN: 1
; COMPUTE_PGM_RSRC2:TGID_Z_EN: 1
; COMPUTE_PGM_RSRC2:TIDIG_COMP_CNT: 1
	.section	.text._ZL37rocblas_syrkx_herkx_restricted_kernelIi19rocblas_complex_numIdELi16ELi32ELi8ELb0ELb1ELc84ELc85EKS1_S1_EviT_T0_PT8_S3_lS6_S3_lS4_PT9_S3_li,"axG",@progbits,_ZL37rocblas_syrkx_herkx_restricted_kernelIi19rocblas_complex_numIdELi16ELi32ELi8ELb0ELb1ELc84ELc85EKS1_S1_EviT_T0_PT8_S3_lS6_S3_lS4_PT9_S3_li,comdat
	.globl	_ZL37rocblas_syrkx_herkx_restricted_kernelIi19rocblas_complex_numIdELi16ELi32ELi8ELb0ELb1ELc84ELc85EKS1_S1_EviT_T0_PT8_S3_lS6_S3_lS4_PT9_S3_li ; -- Begin function _ZL37rocblas_syrkx_herkx_restricted_kernelIi19rocblas_complex_numIdELi16ELi32ELi8ELb0ELb1ELc84ELc85EKS1_S1_EviT_T0_PT8_S3_lS6_S3_lS4_PT9_S3_li
	.p2align	8
	.type	_ZL37rocblas_syrkx_herkx_restricted_kernelIi19rocblas_complex_numIdELi16ELi32ELi8ELb0ELb1ELc84ELc85EKS1_S1_EviT_T0_PT8_S3_lS6_S3_lS4_PT9_S3_li,@function
_ZL37rocblas_syrkx_herkx_restricted_kernelIi19rocblas_complex_numIdELi16ELi32ELi8ELb0ELb1ELc84ELc85EKS1_S1_EviT_T0_PT8_S3_lS6_S3_lS4_PT9_S3_li: ; @_ZL37rocblas_syrkx_herkx_restricted_kernelIi19rocblas_complex_numIdELi16ELi32ELi8ELb0ELb1ELc84ELc85EKS1_S1_EviT_T0_PT8_S3_lS6_S3_lS4_PT9_S3_li
; %bb.0:
	s_clause 0x3
	s_load_b64 s[2:3], s[0:1], 0x0
	s_load_b128 s[16:19], s[0:1], 0x8
	s_load_b64 s[24:25], s[0:1], 0x18
	s_load_b256 s[4:11], s[0:1], 0x40
	v_mov_b32_e32 v16, 0
	v_dual_mov_b32 v17, 0 :: v_dual_and_b32 v20, 0x3ff, v0
	v_bfe_u32 v21, v0, 10, 10
	s_delay_alu instid0(VALU_DEP_3) | instskip(NEXT) | instid1(VALU_DEP_3)
	v_mov_b32_e32 v8, v16
	v_dual_mov_b32 v10, v16 :: v_dual_mov_b32 v11, v17
	v_dual_mov_b32 v19, v17 :: v_dual_mov_b32 v18, v16
	;; [unrolled: 1-line block ×6, first 2 shown]
	v_mov_b32_e32 v5, v17
	s_lshl_b32 s12, s13, 5
	s_lshl_b32 s13, s14, 5
	s_waitcnt lgkmcnt(0)
	s_cmp_lt_i32 s3, 1
	s_mov_b32 s14, 0
	s_cbranch_scc1 .LBB420_3
; %bb.1:
	s_clause 0x2
	s_load_b128 s[20:23], s[0:1], 0x28
	s_load_b32 s26, s[0:1], 0x20
	s_load_b32 s27, s[0:1], 0x38
	v_lshl_add_u32 v2, v21, 4, v20
	v_dual_mov_b32 v1, 0 :: v_dual_and_b32 v0, 7, v20
	s_mul_i32 s5, s5, s15
	v_lshlrev_b32_e32 v22, 4, v20
	s_delay_alu instid0(VALU_DEP_3) | instskip(SKIP_3) | instid1(VALU_DEP_4)
	v_and_b32_e32 v4, 31, v2
	v_lshrrev_b32_e32 v5, 3, v2
	v_dual_mov_b32 v3, v1 :: v_dual_lshlrev_b32 v6, 4, v0
	v_lshrrev_b32_e32 v2, 5, v2
	v_add_nc_u32_e32 v9, s12, v4
	v_lshlrev_b32_e32 v7, 4, v4
	v_add_nc_u32_e32 v8, s13, v5
	v_lshl_or_b32 v6, v5, 7, v6
	v_lshl_add_u32 v25, v21, 7, 0x1000
	s_delay_alu instid0(VALU_DEP_4)
	v_lshl_or_b32 v23, v2, 9, v7
	s_waitcnt lgkmcnt(0)
	s_mul_i32 s21, s21, s15
	v_mad_i64_i32 v[4:5], null, s26, v9, v[2:3]
	s_mul_hi_u32 s28, s20, s15
	v_mad_i64_i32 v[2:3], null, s27, v8, v[0:1]
	s_mul_i32 s20, s20, s15
	s_add_i32 s21, s28, s21
	s_delay_alu instid0(SALU_CYCLE_1) | instskip(NEXT) | instid1(VALU_DEP_2)
	s_lshl_b64 s[20:21], s[20:21], 4
	v_lshlrev_b64 v[0:1], 4, v[4:5]
	s_add_u32 s20, s24, s20
	s_mul_hi_u32 s24, s4, s15
	s_addc_u32 s21, s25, s21
	s_add_i32 s5, s24, s5
	s_mul_i32 s4, s4, s15
	v_lshlrev_b64 v[2:3], 4, v[2:3]
	s_lshl_b64 s[4:5], s[4:5], 4
	v_add_co_u32 v0, vcc_lo, s20, v0
	s_add_u32 s4, s22, s4
	v_add_co_ci_u32_e32 v1, vcc_lo, s21, v1, vcc_lo
	v_mov_b32_e32 v4, 0
	s_addc_u32 s5, s23, s5
	v_add_co_u32 v2, vcc_lo, s4, v2
	v_mov_b32_e32 v5, 0
	v_add_co_ci_u32_e32 v3, vcc_lo, s5, v3, vcc_lo
	v_add_co_u32 v0, vcc_lo, v0, 8
	s_delay_alu instid0(VALU_DEP_3)
	v_dual_mov_b32 v13, v5 :: v_dual_add_nc_u32 v24, 0x1000, v6
	v_add_co_ci_u32_e32 v1, vcc_lo, 0, v1, vcc_lo
	v_mov_b32_e32 v15, v5
	v_add_co_u32 v2, vcc_lo, v2, 8
	v_dual_mov_b32 v14, v4 :: v_dual_mov_b32 v11, v5
	v_dual_mov_b32 v12, v4 :: v_dual_mov_b32 v9, v5
	;; [unrolled: 1-line block ×4, first 2 shown]
	v_mov_b32_e32 v17, v5
	v_add_co_ci_u32_e32 v3, vcc_lo, 0, v3, vcc_lo
	v_mov_b32_e32 v6, v4
	v_mov_b32_e32 v18, v4
	;; [unrolled: 1-line block ×3, first 2 shown]
.LBB420_2:                              ; =>This Inner Loop Header: Depth=1
	global_load_b128 v[26:29], v[0:1], off offset:-8
	v_add_co_u32 v0, vcc_lo, 0x80, v0
	v_add_co_ci_u32_e32 v1, vcc_lo, 0, v1, vcc_lo
	s_add_i32 s14, s14, 8
	s_delay_alu instid0(SALU_CYCLE_1)
	s_cmp_ge_i32 s14, s3
	s_waitcnt vmcnt(0)
	ds_store_b128 v23, v[26:29]
	global_load_b128 v[26:29], v[2:3], off offset:-8
	v_add_co_u32 v2, vcc_lo, 0x80, v2
	v_add_co_ci_u32_e32 v3, vcc_lo, 0, v3, vcc_lo
	s_waitcnt vmcnt(0)
	ds_store_b128 v24, v[26:29]
	s_waitcnt lgkmcnt(0)
	s_barrier
	buffer_gl0_inv
	ds_load_b128 v[26:29], v25
	ds_load_b128 v[30:33], v25 offset:16
	ds_load_b128 v[34:37], v25 offset:32
	;; [unrolled: 1-line block ×3, first 2 shown]
	ds_load_b128 v[42:45], v22
	s_waitcnt lgkmcnt(0)
	v_mul_f64 v[46:47], v[28:29], v[44:45]
	v_mul_f64 v[48:49], v[26:27], v[44:45]
	s_delay_alu instid0(VALU_DEP_2) | instskip(NEXT) | instid1(VALU_DEP_2)
	v_fma_f64 v[46:47], v[26:27], v[42:43], -v[46:47]
	v_fma_f64 v[48:49], v[28:29], v[42:43], v[48:49]
	s_delay_alu instid0(VALU_DEP_2) | instskip(NEXT) | instid1(VALU_DEP_2)
	v_add_f64 v[46:47], v[16:17], v[46:47]
	v_add_f64 v[48:49], v[18:19], v[48:49]
	ds_load_b128 v[16:19], v22 offset:256
	s_waitcnt lgkmcnt(0)
	v_mul_f64 v[50:51], v[28:29], v[18:19]
	s_delay_alu instid0(VALU_DEP_1) | instskip(SKIP_1) | instid1(VALU_DEP_1)
	v_fma_f64 v[50:51], v[26:27], v[16:17], -v[50:51]
	v_mul_f64 v[26:27], v[26:27], v[18:19]
	v_fma_f64 v[26:27], v[28:29], v[16:17], v[26:27]
	s_delay_alu instid0(VALU_DEP_3) | instskip(NEXT) | instid1(VALU_DEP_2)
	v_add_f64 v[28:29], v[8:9], v[50:51]
	v_add_f64 v[26:27], v[10:11], v[26:27]
	ds_load_b128 v[8:11], v25 offset:2048
	s_waitcnt lgkmcnt(0)
	v_mul_f64 v[50:51], v[10:11], v[44:45]
	v_mul_f64 v[44:45], v[8:9], v[44:45]
	s_delay_alu instid0(VALU_DEP_2) | instskip(NEXT) | instid1(VALU_DEP_2)
	v_fma_f64 v[50:51], v[8:9], v[42:43], -v[50:51]
	v_fma_f64 v[42:43], v[10:11], v[42:43], v[44:45]
	s_delay_alu instid0(VALU_DEP_2) | instskip(SKIP_1) | instid1(VALU_DEP_3)
	v_add_f64 v[44:45], v[12:13], v[50:51]
	v_mul_f64 v[12:13], v[10:11], v[18:19]
	v_add_f64 v[42:43], v[14:15], v[42:43]
	s_delay_alu instid0(VALU_DEP_2) | instskip(SKIP_1) | instid1(VALU_DEP_1)
	v_fma_f64 v[12:13], v[8:9], v[16:17], -v[12:13]
	v_mul_f64 v[8:9], v[8:9], v[18:19]
	v_fma_f64 v[8:9], v[10:11], v[16:17], v[8:9]
	s_delay_alu instid0(VALU_DEP_3) | instskip(NEXT) | instid1(VALU_DEP_2)
	v_add_f64 v[16:17], v[6:7], v[12:13]
	v_add_f64 v[18:19], v[4:5], v[8:9]
	ds_load_b128 v[4:7], v22 offset:512
	s_waitcnt lgkmcnt(0)
	v_mul_f64 v[8:9], v[32:33], v[6:7]
	v_mul_f64 v[10:11], v[30:31], v[6:7]
	s_delay_alu instid0(VALU_DEP_2) | instskip(NEXT) | instid1(VALU_DEP_2)
	v_fma_f64 v[8:9], v[30:31], v[4:5], -v[8:9]
	v_fma_f64 v[10:11], v[32:33], v[4:5], v[10:11]
	s_delay_alu instid0(VALU_DEP_2) | instskip(NEXT) | instid1(VALU_DEP_2)
	v_add_f64 v[46:47], v[46:47], v[8:9]
	v_add_f64 v[48:49], v[48:49], v[10:11]
	ds_load_b128 v[8:11], v22 offset:768
	s_waitcnt lgkmcnt(0)
	v_mul_f64 v[12:13], v[32:33], v[10:11]
	v_mul_f64 v[14:15], v[30:31], v[10:11]
	s_delay_alu instid0(VALU_DEP_2) | instskip(NEXT) | instid1(VALU_DEP_2)
	v_fma_f64 v[12:13], v[30:31], v[8:9], -v[12:13]
	v_fma_f64 v[14:15], v[32:33], v[8:9], v[14:15]
	s_delay_alu instid0(VALU_DEP_2) | instskip(NEXT) | instid1(VALU_DEP_2)
	v_add_f64 v[28:29], v[28:29], v[12:13]
	v_add_f64 v[26:27], v[26:27], v[14:15]
	ds_load_b128 v[12:15], v25 offset:2064
	s_waitcnt lgkmcnt(0)
	v_mul_f64 v[30:31], v[14:15], v[6:7]
	v_mul_f64 v[6:7], v[12:13], v[6:7]
	s_delay_alu instid0(VALU_DEP_2) | instskip(NEXT) | instid1(VALU_DEP_2)
	v_fma_f64 v[30:31], v[12:13], v[4:5], -v[30:31]
	v_fma_f64 v[4:5], v[14:15], v[4:5], v[6:7]
	v_mul_f64 v[6:7], v[12:13], v[10:11]
	s_delay_alu instid0(VALU_DEP_3) | instskip(NEXT) | instid1(VALU_DEP_3)
	v_add_f64 v[30:31], v[44:45], v[30:31]
	v_add_f64 v[32:33], v[42:43], v[4:5]
	v_mul_f64 v[4:5], v[14:15], v[10:11]
	s_delay_alu instid0(VALU_DEP_4) | instskip(NEXT) | instid1(VALU_DEP_2)
	v_fma_f64 v[6:7], v[14:15], v[8:9], v[6:7]
	v_fma_f64 v[4:5], v[12:13], v[8:9], -v[4:5]
	s_delay_alu instid0(VALU_DEP_2) | instskip(NEXT) | instid1(VALU_DEP_2)
	v_add_f64 v[18:19], v[18:19], v[6:7]
	v_add_f64 v[16:17], v[16:17], v[4:5]
	ds_load_b128 v[4:7], v22 offset:1024
	s_waitcnt lgkmcnt(0)
	v_mul_f64 v[8:9], v[36:37], v[6:7]
	v_mul_f64 v[10:11], v[34:35], v[6:7]
	s_delay_alu instid0(VALU_DEP_2) | instskip(NEXT) | instid1(VALU_DEP_2)
	v_fma_f64 v[8:9], v[34:35], v[4:5], -v[8:9]
	v_fma_f64 v[10:11], v[36:37], v[4:5], v[10:11]
	s_delay_alu instid0(VALU_DEP_2) | instskip(NEXT) | instid1(VALU_DEP_2)
	v_add_f64 v[42:43], v[46:47], v[8:9]
	v_add_f64 v[44:45], v[48:49], v[10:11]
	ds_load_b128 v[8:11], v22 offset:1280
	s_waitcnt lgkmcnt(0)
	v_mul_f64 v[12:13], v[36:37], v[10:11]
	v_mul_f64 v[14:15], v[34:35], v[10:11]
	s_delay_alu instid0(VALU_DEP_2) | instskip(NEXT) | instid1(VALU_DEP_2)
	v_fma_f64 v[12:13], v[34:35], v[8:9], -v[12:13]
	v_fma_f64 v[14:15], v[36:37], v[8:9], v[14:15]
	s_delay_alu instid0(VALU_DEP_2) | instskip(NEXT) | instid1(VALU_DEP_2)
	v_add_f64 v[28:29], v[28:29], v[12:13]
	v_add_f64 v[26:27], v[26:27], v[14:15]
	ds_load_b128 v[12:15], v25 offset:2080
	s_waitcnt lgkmcnt(0)
	v_mul_f64 v[34:35], v[14:15], v[6:7]
	v_mul_f64 v[6:7], v[12:13], v[6:7]
	s_delay_alu instid0(VALU_DEP_2) | instskip(NEXT) | instid1(VALU_DEP_2)
	v_fma_f64 v[34:35], v[12:13], v[4:5], -v[34:35]
	v_fma_f64 v[4:5], v[14:15], v[4:5], v[6:7]
	v_mul_f64 v[6:7], v[12:13], v[10:11]
	s_delay_alu instid0(VALU_DEP_3) | instskip(NEXT) | instid1(VALU_DEP_3)
	v_add_f64 v[30:31], v[30:31], v[34:35]
	v_add_f64 v[32:33], v[32:33], v[4:5]
	v_mul_f64 v[4:5], v[14:15], v[10:11]
	s_delay_alu instid0(VALU_DEP_4) | instskip(NEXT) | instid1(VALU_DEP_2)
	v_fma_f64 v[6:7], v[14:15], v[8:9], v[6:7]
	v_fma_f64 v[4:5], v[12:13], v[8:9], -v[4:5]
	s_delay_alu instid0(VALU_DEP_2) | instskip(NEXT) | instid1(VALU_DEP_2)
	;; [unrolled: 38-line block ×3, first 2 shown]
	v_add_f64 v[18:19], v[18:19], v[6:7]
	v_add_f64 v[16:17], v[16:17], v[4:5]
	ds_load_b128 v[4:7], v25 offset:64
	ds_load_b128 v[8:11], v22 offset:2048
	s_waitcnt lgkmcnt(0)
	v_mul_f64 v[12:13], v[6:7], v[10:11]
	v_mul_f64 v[14:15], v[4:5], v[10:11]
	s_delay_alu instid0(VALU_DEP_2) | instskip(NEXT) | instid1(VALU_DEP_2)
	v_fma_f64 v[12:13], v[4:5], v[8:9], -v[12:13]
	v_fma_f64 v[14:15], v[6:7], v[8:9], v[14:15]
	s_delay_alu instid0(VALU_DEP_2) | instskip(NEXT) | instid1(VALU_DEP_2)
	v_add_f64 v[34:35], v[34:35], v[12:13]
	v_add_f64 v[36:37], v[36:37], v[14:15]
	ds_load_b128 v[12:15], v22 offset:2304
	s_waitcnt lgkmcnt(0)
	v_mul_f64 v[38:39], v[6:7], v[14:15]
	s_delay_alu instid0(VALU_DEP_1) | instskip(SKIP_1) | instid1(VALU_DEP_2)
	v_fma_f64 v[38:39], v[4:5], v[12:13], -v[38:39]
	v_mul_f64 v[4:5], v[4:5], v[14:15]
	v_add_f64 v[28:29], v[28:29], v[38:39]
	s_delay_alu instid0(VALU_DEP_2) | instskip(NEXT) | instid1(VALU_DEP_1)
	v_fma_f64 v[4:5], v[6:7], v[12:13], v[4:5]
	v_add_f64 v[26:27], v[26:27], v[4:5]
	ds_load_b128 v[4:7], v25 offset:2112
	s_waitcnt lgkmcnt(0)
	v_mul_f64 v[38:39], v[6:7], v[10:11]
	v_mul_f64 v[10:11], v[4:5], v[10:11]
	s_delay_alu instid0(VALU_DEP_2) | instskip(NEXT) | instid1(VALU_DEP_2)
	v_fma_f64 v[38:39], v[4:5], v[8:9], -v[38:39]
	v_fma_f64 v[8:9], v[6:7], v[8:9], v[10:11]
	s_delay_alu instid0(VALU_DEP_2) | instskip(NEXT) | instid1(VALU_DEP_2)
	v_add_f64 v[30:31], v[30:31], v[38:39]
	v_add_f64 v[32:33], v[32:33], v[8:9]
	v_mul_f64 v[8:9], v[6:7], v[14:15]
	s_delay_alu instid0(VALU_DEP_1) | instskip(SKIP_1) | instid1(VALU_DEP_2)
	v_fma_f64 v[8:9], v[4:5], v[12:13], -v[8:9]
	v_mul_f64 v[4:5], v[4:5], v[14:15]
	v_add_f64 v[16:17], v[16:17], v[8:9]
	s_delay_alu instid0(VALU_DEP_2) | instskip(NEXT) | instid1(VALU_DEP_1)
	v_fma_f64 v[4:5], v[6:7], v[12:13], v[4:5]
	v_add_f64 v[18:19], v[18:19], v[4:5]
	ds_load_b128 v[4:7], v25 offset:80
	ds_load_b128 v[8:11], v22 offset:2560
	s_waitcnt lgkmcnt(0)
	v_mul_f64 v[12:13], v[6:7], v[10:11]
	v_mul_f64 v[14:15], v[4:5], v[10:11]
	s_delay_alu instid0(VALU_DEP_2) | instskip(NEXT) | instid1(VALU_DEP_2)
	v_fma_f64 v[12:13], v[4:5], v[8:9], -v[12:13]
	v_fma_f64 v[14:15], v[6:7], v[8:9], v[14:15]
	s_delay_alu instid0(VALU_DEP_2) | instskip(NEXT) | instid1(VALU_DEP_2)
	v_add_f64 v[34:35], v[34:35], v[12:13]
	v_add_f64 v[36:37], v[36:37], v[14:15]
	ds_load_b128 v[12:15], v22 offset:2816
	s_waitcnt lgkmcnt(0)
	v_mul_f64 v[38:39], v[6:7], v[14:15]
	s_delay_alu instid0(VALU_DEP_1) | instskip(SKIP_1) | instid1(VALU_DEP_2)
	v_fma_f64 v[38:39], v[4:5], v[12:13], -v[38:39]
	v_mul_f64 v[4:5], v[4:5], v[14:15]
	v_add_f64 v[28:29], v[28:29], v[38:39]
	s_delay_alu instid0(VALU_DEP_2) | instskip(NEXT) | instid1(VALU_DEP_1)
	v_fma_f64 v[4:5], v[6:7], v[12:13], v[4:5]
	v_add_f64 v[26:27], v[26:27], v[4:5]
	ds_load_b128 v[4:7], v25 offset:2128
	s_waitcnt lgkmcnt(0)
	v_mul_f64 v[38:39], v[6:7], v[10:11]
	v_mul_f64 v[10:11], v[4:5], v[10:11]
	s_delay_alu instid0(VALU_DEP_2) | instskip(NEXT) | instid1(VALU_DEP_2)
	v_fma_f64 v[38:39], v[4:5], v[8:9], -v[38:39]
	v_fma_f64 v[8:9], v[6:7], v[8:9], v[10:11]
	s_delay_alu instid0(VALU_DEP_2) | instskip(NEXT) | instid1(VALU_DEP_2)
	v_add_f64 v[30:31], v[30:31], v[38:39]
	v_add_f64 v[32:33], v[32:33], v[8:9]
	v_mul_f64 v[8:9], v[6:7], v[14:15]
	s_delay_alu instid0(VALU_DEP_1) | instskip(SKIP_1) | instid1(VALU_DEP_2)
	v_fma_f64 v[8:9], v[4:5], v[12:13], -v[8:9]
	v_mul_f64 v[4:5], v[4:5], v[14:15]
	v_add_f64 v[16:17], v[16:17], v[8:9]
	s_delay_alu instid0(VALU_DEP_2) | instskip(NEXT) | instid1(VALU_DEP_1)
	v_fma_f64 v[4:5], v[6:7], v[12:13], v[4:5]
	;; [unrolled: 39-line block ×3, first 2 shown]
	v_add_f64 v[44:45], v[18:19], v[4:5]
	ds_load_b128 v[4:7], v25 offset:112
	ds_load_b128 v[12:15], v22 offset:3584
	;; [unrolled: 1-line block ×3, first 2 shown]
	s_waitcnt lgkmcnt(1)
	v_mul_f64 v[8:9], v[6:7], v[14:15]
	v_mul_f64 v[10:11], v[4:5], v[14:15]
	s_delay_alu instid0(VALU_DEP_2) | instskip(NEXT) | instid1(VALU_DEP_2)
	v_fma_f64 v[8:9], v[4:5], v[12:13], -v[8:9]
	v_fma_f64 v[10:11], v[6:7], v[12:13], v[10:11]
	s_delay_alu instid0(VALU_DEP_2) | instskip(SKIP_2) | instid1(VALU_DEP_3)
	v_add_f64 v[16:17], v[34:35], v[8:9]
	s_waitcnt lgkmcnt(0)
	v_mul_f64 v[8:9], v[6:7], v[28:29]
	v_add_f64 v[18:19], v[36:37], v[10:11]
	s_delay_alu instid0(VALU_DEP_2) | instskip(SKIP_1) | instid1(VALU_DEP_2)
	v_fma_f64 v[8:9], v[4:5], v[26:27], -v[8:9]
	v_mul_f64 v[4:5], v[4:5], v[28:29]
	v_add_f64 v[8:9], v[38:39], v[8:9]
	s_delay_alu instid0(VALU_DEP_2) | instskip(NEXT) | instid1(VALU_DEP_1)
	v_fma_f64 v[4:5], v[6:7], v[26:27], v[4:5]
	v_add_f64 v[10:11], v[40:41], v[4:5]
	ds_load_b128 v[4:7], v25 offset:2160
	s_waitcnt lgkmcnt(0)
	s_barrier
	buffer_gl0_inv
	v_mul_f64 v[34:35], v[6:7], v[14:15]
	v_mul_f64 v[14:15], v[4:5], v[14:15]
	s_delay_alu instid0(VALU_DEP_2) | instskip(NEXT) | instid1(VALU_DEP_2)
	v_fma_f64 v[34:35], v[4:5], v[12:13], -v[34:35]
	v_fma_f64 v[14:15], v[6:7], v[12:13], v[14:15]
	s_delay_alu instid0(VALU_DEP_2) | instskip(SKIP_1) | instid1(VALU_DEP_3)
	v_add_f64 v[12:13], v[30:31], v[34:35]
	v_mul_f64 v[30:31], v[6:7], v[28:29]
	v_add_f64 v[14:15], v[32:33], v[14:15]
	s_delay_alu instid0(VALU_DEP_2) | instskip(SKIP_1) | instid1(VALU_DEP_1)
	v_fma_f64 v[30:31], v[4:5], v[26:27], -v[30:31]
	v_mul_f64 v[4:5], v[4:5], v[28:29]
	v_fma_f64 v[4:5], v[6:7], v[26:27], v[4:5]
	s_delay_alu instid0(VALU_DEP_3) | instskip(NEXT) | instid1(VALU_DEP_2)
	v_add_f64 v[6:7], v[42:43], v[30:31]
	v_add_f64 v[4:5], v[44:45], v[4:5]
	s_cbranch_scc0 .LBB420_2
.LBB420_3:
	s_clause 0x1
	s_load_b32 s3, s[0:1], 0x60
	s_load_b64 s[0:1], s[0:1], 0x68
	v_add_nc_u32_e32 v21, s13, v21
	v_add_nc_u32_e32 v0, s12, v20
	s_delay_alu instid0(VALU_DEP_2)
	v_cmp_gt_i32_e32 vcc_lo, s2, v21
	s_waitcnt lgkmcnt(0)
	v_mad_i64_i32 v[1:2], null, v21, s3, 0
	s_mul_i32 s1, s15, s1
	s_mul_hi_u32 s4, s15, s0
	s_mul_i32 s0, s15, s0
	s_add_i32 s1, s4, s1
	s_delay_alu instid0(SALU_CYCLE_1) | instskip(NEXT) | instid1(VALU_DEP_1)
	s_lshl_b64 s[4:5], s[0:1], 4
	v_lshlrev_b64 v[1:2], 4, v[1:2]
	s_add_u32 s4, s10, s4
	v_cmp_le_i32_e64 s0, v0, v21
	s_addc_u32 s5, s11, s5
	s_delay_alu instid0(VALU_DEP_2) | instskip(NEXT) | instid1(VALU_DEP_1)
	v_add_co_u32 v20, s1, s4, v1
	v_add_co_ci_u32_e64 v22, s1, s5, v2, s1
	s_delay_alu instid0(VALU_DEP_3) | instskip(NEXT) | instid1(SALU_CYCLE_1)
	s_and_b32 s0, vcc_lo, s0
	s_and_saveexec_b32 s1, s0
	s_cbranch_execz .LBB420_5
; %bb.4:
	v_ashrrev_i32_e32 v1, 31, v0
	v_mul_f64 v[27:28], s[16:17], v[18:19]
	v_mul_f64 v[18:19], s[18:19], v[18:19]
	s_delay_alu instid0(VALU_DEP_3) | instskip(NEXT) | instid1(VALU_DEP_1)
	v_lshlrev_b64 v[1:2], 4, v[0:1]
	v_add_co_u32 v1, s0, v20, v1
	s_delay_alu instid0(VALU_DEP_1)
	v_add_co_ci_u32_e64 v2, s0, v22, v2, s0
	v_cmp_ne_u32_e64 s0, v21, v0
	global_load_b128 v[23:26], v[1:2], off
	v_fma_f64 v[27:28], s[18:19], v[16:17], v[27:28]
	v_fma_f64 v[16:17], s[16:17], v[16:17], -v[18:19]
	s_waitcnt vmcnt(0)
	v_mul_f64 v[29:30], s[6:7], v[25:26]
	v_mul_f64 v[25:26], s[8:9], v[25:26]
	s_delay_alu instid0(VALU_DEP_2) | instskip(NEXT) | instid1(VALU_DEP_2)
	v_fma_f64 v[29:30], s[8:9], v[23:24], v[29:30]
	v_fma_f64 v[18:19], s[6:7], v[23:24], -v[25:26]
	s_delay_alu instid0(VALU_DEP_2) | instskip(NEXT) | instid1(VALU_DEP_2)
	v_add_f64 v[23:24], v[27:28], v[29:30]
	v_add_f64 v[16:17], v[16:17], v[18:19]
	s_delay_alu instid0(VALU_DEP_2) | instskip(NEXT) | instid1(VALU_DEP_3)
	v_cndmask_b32_e64 v19, 0, v24, s0
	v_cndmask_b32_e64 v18, 0, v23, s0
	global_store_b128 v[1:2], v[16:19], off
.LBB420_5:
	s_or_b32 exec_lo, exec_lo, s1
	v_add_nc_u32_e32 v2, 16, v0
	s_delay_alu instid0(VALU_DEP_1) | instskip(NEXT) | instid1(VALU_DEP_1)
	v_cmp_le_i32_e64 s0, v2, v21
	s_and_b32 s1, vcc_lo, s0
	s_delay_alu instid0(SALU_CYCLE_1)
	s_and_saveexec_b32 s0, s1
	s_cbranch_execz .LBB420_7
; %bb.6:
	v_ashrrev_i32_e32 v3, 31, v2
	v_mul_f64 v[25:26], s[16:17], v[10:11]
	v_mul_f64 v[10:11], s[18:19], v[10:11]
	s_delay_alu instid0(VALU_DEP_3) | instskip(NEXT) | instid1(VALU_DEP_1)
	v_lshlrev_b64 v[16:17], 4, v[2:3]
	v_add_co_u32 v23, vcc_lo, v20, v16
	s_delay_alu instid0(VALU_DEP_2)
	v_add_co_ci_u32_e32 v24, vcc_lo, v22, v17, vcc_lo
	v_cmp_ne_u32_e32 vcc_lo, v21, v2
	global_load_b128 v[16:19], v[23:24], off
	v_fma_f64 v[25:26], s[18:19], v[8:9], v[25:26]
	v_fma_f64 v[8:9], s[16:17], v[8:9], -v[10:11]
	s_waitcnt vmcnt(0)
	v_mul_f64 v[27:28], s[6:7], v[18:19]
	v_mul_f64 v[18:19], s[8:9], v[18:19]
	s_delay_alu instid0(VALU_DEP_2) | instskip(NEXT) | instid1(VALU_DEP_2)
	v_fma_f64 v[27:28], s[8:9], v[16:17], v[27:28]
	v_fma_f64 v[10:11], s[6:7], v[16:17], -v[18:19]
	s_delay_alu instid0(VALU_DEP_2) | instskip(NEXT) | instid1(VALU_DEP_2)
	v_add_f64 v[16:17], v[25:26], v[27:28]
	v_add_f64 v[8:9], v[8:9], v[10:11]
	s_delay_alu instid0(VALU_DEP_2)
	v_dual_cndmask_b32 v11, 0, v17 :: v_dual_cndmask_b32 v10, 0, v16
	global_store_b128 v[23:24], v[8:11], off
.LBB420_7:
	s_or_b32 exec_lo, exec_lo, s0
	v_add_nc_u32_e32 v3, 16, v21
	s_delay_alu instid0(VALU_DEP_1) | instskip(SKIP_2) | instid1(VALU_DEP_1)
	v_mad_i64_i32 v[8:9], null, v3, s3, 0
	v_cmp_gt_i32_e32 vcc_lo, s2, v3
	v_cmp_le_i32_e64 s0, v0, v3
	s_and_b32 s0, vcc_lo, s0
	s_delay_alu instid0(VALU_DEP_3) | instskip(NEXT) | instid1(VALU_DEP_1)
	v_lshlrev_b64 v[8:9], 4, v[8:9]
	v_add_co_u32 v8, s1, s4, v8
	s_delay_alu instid0(VALU_DEP_1)
	v_add_co_ci_u32_e64 v9, s1, s5, v9, s1
	s_and_saveexec_b32 s1, s0
	s_cbranch_execz .LBB420_9
; %bb.8:
	v_ashrrev_i32_e32 v1, 31, v0
	s_delay_alu instid0(VALU_DEP_1) | instskip(NEXT) | instid1(VALU_DEP_1)
	v_lshlrev_b64 v[10:11], 4, v[0:1]
	v_add_co_u32 v22, s0, v8, v10
	s_delay_alu instid0(VALU_DEP_1)
	v_add_co_ci_u32_e64 v23, s0, v9, v11, s0
	v_mul_f64 v[10:11], s[16:17], v[14:15]
	v_mul_f64 v[14:15], s[18:19], v[14:15]
	v_cmp_ne_u32_e64 s0, v3, v0
	global_load_b128 v[16:19], v[22:23], off
	v_fma_f64 v[10:11], s[18:19], v[12:13], v[10:11]
	v_fma_f64 v[12:13], s[16:17], v[12:13], -v[14:15]
	s_waitcnt vmcnt(0)
	v_mul_f64 v[24:25], s[6:7], v[18:19]
	v_mul_f64 v[18:19], s[8:9], v[18:19]
	s_delay_alu instid0(VALU_DEP_2) | instskip(NEXT) | instid1(VALU_DEP_2)
	v_fma_f64 v[24:25], s[8:9], v[16:17], v[24:25]
	v_fma_f64 v[14:15], s[6:7], v[16:17], -v[18:19]
	s_delay_alu instid0(VALU_DEP_2) | instskip(NEXT) | instid1(VALU_DEP_2)
	v_add_f64 v[16:17], v[10:11], v[24:25]
	v_add_f64 v[10:11], v[12:13], v[14:15]
	s_delay_alu instid0(VALU_DEP_2) | instskip(NEXT) | instid1(VALU_DEP_3)
	v_cndmask_b32_e64 v13, 0, v17, s0
	v_cndmask_b32_e64 v12, 0, v16, s0
	global_store_b128 v[22:23], v[10:13], off
.LBB420_9:
	s_or_b32 exec_lo, exec_lo, s1
	v_cmp_le_i32_e64 s0, v2, v3
	s_delay_alu instid0(VALU_DEP_1) | instskip(NEXT) | instid1(SALU_CYCLE_1)
	s_and_b32 s0, vcc_lo, s0
	s_and_saveexec_b32 s1, s0
	s_cbranch_execz .LBB420_11
; %bb.10:
	v_ashrrev_i32_e32 v3, 31, v2
	s_delay_alu instid0(VALU_DEP_1) | instskip(NEXT) | instid1(VALU_DEP_1)
	v_lshlrev_b64 v[1:2], 4, v[2:3]
	v_add_co_u32 v12, vcc_lo, v8, v1
	s_delay_alu instid0(VALU_DEP_2)
	v_add_co_ci_u32_e32 v13, vcc_lo, v9, v2, vcc_lo
	v_mul_f64 v[1:2], s[16:17], v[4:5]
	v_mul_f64 v[3:4], s[18:19], v[4:5]
	v_cmp_ne_u32_e32 vcc_lo, v21, v0
	global_load_b128 v[8:11], v[12:13], off
	v_fma_f64 v[1:2], s[18:19], v[6:7], v[1:2]
	v_fma_f64 v[3:4], s[16:17], v[6:7], -v[3:4]
	s_waitcnt vmcnt(0)
	v_mul_f64 v[14:15], s[6:7], v[10:11]
	v_mul_f64 v[10:11], s[8:9], v[10:11]
	s_delay_alu instid0(VALU_DEP_2) | instskip(NEXT) | instid1(VALU_DEP_2)
	v_fma_f64 v[14:15], s[8:9], v[8:9], v[14:15]
	v_fma_f64 v[5:6], s[6:7], v[8:9], -v[10:11]
	s_delay_alu instid0(VALU_DEP_2) | instskip(NEXT) | instid1(VALU_DEP_2)
	v_add_f64 v[7:8], v[1:2], v[14:15]
	v_add_f64 v[1:2], v[3:4], v[5:6]
	s_delay_alu instid0(VALU_DEP_2)
	v_dual_cndmask_b32 v4, 0, v8 :: v_dual_cndmask_b32 v3, 0, v7
	global_store_b128 v[12:13], v[1:4], off
.LBB420_11:
	s_nop 0
	s_sendmsg sendmsg(MSG_DEALLOC_VGPRS)
	s_endpgm
	.section	.rodata,"a",@progbits
	.p2align	6, 0x0
	.amdhsa_kernel _ZL37rocblas_syrkx_herkx_restricted_kernelIi19rocblas_complex_numIdELi16ELi32ELi8ELb0ELb1ELc84ELc85EKS1_S1_EviT_T0_PT8_S3_lS6_S3_lS4_PT9_S3_li
		.amdhsa_group_segment_fixed_size 8192
		.amdhsa_private_segment_fixed_size 0
		.amdhsa_kernarg_size 116
		.amdhsa_user_sgpr_count 13
		.amdhsa_user_sgpr_dispatch_ptr 0
		.amdhsa_user_sgpr_queue_ptr 0
		.amdhsa_user_sgpr_kernarg_segment_ptr 1
		.amdhsa_user_sgpr_dispatch_id 0
		.amdhsa_user_sgpr_private_segment_size 0
		.amdhsa_wavefront_size32 1
		.amdhsa_uses_dynamic_stack 0
		.amdhsa_enable_private_segment 0
		.amdhsa_system_sgpr_workgroup_id_x 1
		.amdhsa_system_sgpr_workgroup_id_y 1
		.amdhsa_system_sgpr_workgroup_id_z 1
		.amdhsa_system_sgpr_workgroup_info 0
		.amdhsa_system_vgpr_workitem_id 1
		.amdhsa_next_free_vgpr 52
		.amdhsa_next_free_sgpr 29
		.amdhsa_reserve_vcc 1
		.amdhsa_float_round_mode_32 0
		.amdhsa_float_round_mode_16_64 0
		.amdhsa_float_denorm_mode_32 3
		.amdhsa_float_denorm_mode_16_64 3
		.amdhsa_dx10_clamp 1
		.amdhsa_ieee_mode 1
		.amdhsa_fp16_overflow 0
		.amdhsa_workgroup_processor_mode 1
		.amdhsa_memory_ordered 1
		.amdhsa_forward_progress 0
		.amdhsa_shared_vgpr_count 0
		.amdhsa_exception_fp_ieee_invalid_op 0
		.amdhsa_exception_fp_denorm_src 0
		.amdhsa_exception_fp_ieee_div_zero 0
		.amdhsa_exception_fp_ieee_overflow 0
		.amdhsa_exception_fp_ieee_underflow 0
		.amdhsa_exception_fp_ieee_inexact 0
		.amdhsa_exception_int_div_zero 0
	.end_amdhsa_kernel
	.section	.text._ZL37rocblas_syrkx_herkx_restricted_kernelIi19rocblas_complex_numIdELi16ELi32ELi8ELb0ELb1ELc84ELc85EKS1_S1_EviT_T0_PT8_S3_lS6_S3_lS4_PT9_S3_li,"axG",@progbits,_ZL37rocblas_syrkx_herkx_restricted_kernelIi19rocblas_complex_numIdELi16ELi32ELi8ELb0ELb1ELc84ELc85EKS1_S1_EviT_T0_PT8_S3_lS6_S3_lS4_PT9_S3_li,comdat
.Lfunc_end420:
	.size	_ZL37rocblas_syrkx_herkx_restricted_kernelIi19rocblas_complex_numIdELi16ELi32ELi8ELb0ELb1ELc84ELc85EKS1_S1_EviT_T0_PT8_S3_lS6_S3_lS4_PT9_S3_li, .Lfunc_end420-_ZL37rocblas_syrkx_herkx_restricted_kernelIi19rocblas_complex_numIdELi16ELi32ELi8ELb0ELb1ELc84ELc85EKS1_S1_EviT_T0_PT8_S3_lS6_S3_lS4_PT9_S3_li
                                        ; -- End function
	.section	.AMDGPU.csdata,"",@progbits
; Kernel info:
; codeLenInByte = 3680
; NumSgprs: 31
; NumVgprs: 52
; ScratchSize: 0
; MemoryBound: 0
; FloatMode: 240
; IeeeMode: 1
; LDSByteSize: 8192 bytes/workgroup (compile time only)
; SGPRBlocks: 3
; VGPRBlocks: 6
; NumSGPRsForWavesPerEU: 31
; NumVGPRsForWavesPerEU: 52
; Occupancy: 16
; WaveLimiterHint : 0
; COMPUTE_PGM_RSRC2:SCRATCH_EN: 0
; COMPUTE_PGM_RSRC2:USER_SGPR: 13
; COMPUTE_PGM_RSRC2:TRAP_HANDLER: 0
; COMPUTE_PGM_RSRC2:TGID_X_EN: 1
; COMPUTE_PGM_RSRC2:TGID_Y_EN: 1
; COMPUTE_PGM_RSRC2:TGID_Z_EN: 1
; COMPUTE_PGM_RSRC2:TIDIG_COMP_CNT: 1
	.section	.text._ZL37rocblas_syrkx_herkx_restricted_kernelIi19rocblas_complex_numIdELi16ELi32ELi8ELb0ELb1ELc67ELc85EKS1_S1_EviT_T0_PT8_S3_lS6_S3_lS4_PT9_S3_li,"axG",@progbits,_ZL37rocblas_syrkx_herkx_restricted_kernelIi19rocblas_complex_numIdELi16ELi32ELi8ELb0ELb1ELc67ELc85EKS1_S1_EviT_T0_PT8_S3_lS6_S3_lS4_PT9_S3_li,comdat
	.globl	_ZL37rocblas_syrkx_herkx_restricted_kernelIi19rocblas_complex_numIdELi16ELi32ELi8ELb0ELb1ELc67ELc85EKS1_S1_EviT_T0_PT8_S3_lS6_S3_lS4_PT9_S3_li ; -- Begin function _ZL37rocblas_syrkx_herkx_restricted_kernelIi19rocblas_complex_numIdELi16ELi32ELi8ELb0ELb1ELc67ELc85EKS1_S1_EviT_T0_PT8_S3_lS6_S3_lS4_PT9_S3_li
	.p2align	8
	.type	_ZL37rocblas_syrkx_herkx_restricted_kernelIi19rocblas_complex_numIdELi16ELi32ELi8ELb0ELb1ELc67ELc85EKS1_S1_EviT_T0_PT8_S3_lS6_S3_lS4_PT9_S3_li,@function
_ZL37rocblas_syrkx_herkx_restricted_kernelIi19rocblas_complex_numIdELi16ELi32ELi8ELb0ELb1ELc67ELc85EKS1_S1_EviT_T0_PT8_S3_lS6_S3_lS4_PT9_S3_li: ; @_ZL37rocblas_syrkx_herkx_restricted_kernelIi19rocblas_complex_numIdELi16ELi32ELi8ELb0ELb1ELc67ELc85EKS1_S1_EviT_T0_PT8_S3_lS6_S3_lS4_PT9_S3_li
; %bb.0:
	s_clause 0x3
	s_load_b64 s[2:3], s[0:1], 0x0
	s_load_b128 s[16:19], s[0:1], 0x8
	s_load_b64 s[24:25], s[0:1], 0x18
	s_load_b256 s[4:11], s[0:1], 0x40
	v_mov_b32_e32 v16, 0
	v_dual_mov_b32 v17, 0 :: v_dual_and_b32 v20, 0x3ff, v0
	v_bfe_u32 v21, v0, 10, 10
	s_delay_alu instid0(VALU_DEP_3) | instskip(NEXT) | instid1(VALU_DEP_3)
	v_mov_b32_e32 v8, v16
	v_dual_mov_b32 v10, v16 :: v_dual_mov_b32 v11, v17
	v_dual_mov_b32 v19, v17 :: v_dual_mov_b32 v18, v16
	;; [unrolled: 1-line block ×6, first 2 shown]
	v_mov_b32_e32 v5, v17
	s_lshl_b32 s12, s13, 5
	s_lshl_b32 s13, s14, 5
	s_waitcnt lgkmcnt(0)
	s_cmp_lt_i32 s3, 1
	s_mov_b32 s14, 0
	s_cbranch_scc1 .LBB421_3
; %bb.1:
	s_clause 0x2
	s_load_b128 s[20:23], s[0:1], 0x28
	s_load_b32 s26, s[0:1], 0x20
	s_load_b32 s27, s[0:1], 0x38
	v_lshl_add_u32 v2, v21, 4, v20
	v_dual_mov_b32 v1, 0 :: v_dual_and_b32 v0, 7, v20
	s_mul_i32 s5, s5, s15
	v_lshlrev_b32_e32 v22, 4, v20
	s_delay_alu instid0(VALU_DEP_3) | instskip(SKIP_3) | instid1(VALU_DEP_4)
	v_and_b32_e32 v4, 31, v2
	v_lshrrev_b32_e32 v5, 3, v2
	v_dual_mov_b32 v3, v1 :: v_dual_lshlrev_b32 v6, 4, v0
	v_lshrrev_b32_e32 v2, 5, v2
	v_add_nc_u32_e32 v9, s12, v4
	v_lshlrev_b32_e32 v7, 4, v4
	v_add_nc_u32_e32 v8, s13, v5
	v_lshl_or_b32 v6, v5, 7, v6
	v_lshl_add_u32 v25, v21, 7, 0x1000
	s_delay_alu instid0(VALU_DEP_4)
	v_lshl_or_b32 v23, v2, 9, v7
	s_waitcnt lgkmcnt(0)
	s_mul_i32 s21, s21, s15
	v_mad_i64_i32 v[4:5], null, s26, v9, v[2:3]
	s_mul_hi_u32 s28, s20, s15
	v_mad_i64_i32 v[2:3], null, s27, v8, v[0:1]
	s_mul_i32 s20, s20, s15
	s_add_i32 s21, s28, s21
	s_delay_alu instid0(SALU_CYCLE_1) | instskip(NEXT) | instid1(VALU_DEP_2)
	s_lshl_b64 s[20:21], s[20:21], 4
	v_lshlrev_b64 v[0:1], 4, v[4:5]
	s_add_u32 s20, s24, s20
	s_mul_hi_u32 s24, s4, s15
	s_addc_u32 s21, s25, s21
	s_add_i32 s5, s24, s5
	s_mul_i32 s4, s4, s15
	v_lshlrev_b64 v[2:3], 4, v[2:3]
	s_lshl_b64 s[4:5], s[4:5], 4
	v_add_co_u32 v0, vcc_lo, s20, v0
	s_add_u32 s4, s22, s4
	v_add_co_ci_u32_e32 v1, vcc_lo, s21, v1, vcc_lo
	v_mov_b32_e32 v4, 0
	s_addc_u32 s5, s23, s5
	v_add_co_u32 v2, vcc_lo, s4, v2
	v_mov_b32_e32 v5, 0
	v_add_co_ci_u32_e32 v3, vcc_lo, s5, v3, vcc_lo
	v_add_co_u32 v0, vcc_lo, v0, 8
	s_delay_alu instid0(VALU_DEP_3)
	v_dual_mov_b32 v13, v5 :: v_dual_add_nc_u32 v24, 0x1000, v6
	v_add_co_ci_u32_e32 v1, vcc_lo, 0, v1, vcc_lo
	v_mov_b32_e32 v15, v5
	v_add_co_u32 v2, vcc_lo, v2, 8
	v_dual_mov_b32 v14, v4 :: v_dual_mov_b32 v11, v5
	v_dual_mov_b32 v12, v4 :: v_dual_mov_b32 v9, v5
	;; [unrolled: 1-line block ×4, first 2 shown]
	v_mov_b32_e32 v17, v5
	v_add_co_ci_u32_e32 v3, vcc_lo, 0, v3, vcc_lo
	v_mov_b32_e32 v6, v4
	v_mov_b32_e32 v18, v4
	;; [unrolled: 1-line block ×3, first 2 shown]
.LBB421_2:                              ; =>This Inner Loop Header: Depth=1
	global_load_b128 v[26:29], v[0:1], off offset:-8
	v_add_co_u32 v0, vcc_lo, 0x80, v0
	v_add_co_ci_u32_e32 v1, vcc_lo, 0, v1, vcc_lo
	s_add_i32 s14, s14, 8
	s_delay_alu instid0(SALU_CYCLE_1)
	s_cmp_ge_i32 s14, s3
	s_waitcnt vmcnt(0)
	v_xor_b32_e32 v29, 0x80000000, v29
	ds_store_b128 v23, v[26:29]
	global_load_b128 v[26:29], v[2:3], off offset:-8
	v_add_co_u32 v2, vcc_lo, 0x80, v2
	v_add_co_ci_u32_e32 v3, vcc_lo, 0, v3, vcc_lo
	s_waitcnt vmcnt(0)
	ds_store_b128 v24, v[26:29]
	s_waitcnt lgkmcnt(0)
	s_barrier
	buffer_gl0_inv
	ds_load_b128 v[26:29], v25
	ds_load_b128 v[30:33], v25 offset:16
	ds_load_b128 v[34:37], v25 offset:32
	;; [unrolled: 1-line block ×3, first 2 shown]
	ds_load_b128 v[42:45], v22
	s_waitcnt lgkmcnt(0)
	v_mul_f64 v[46:47], v[28:29], v[44:45]
	v_mul_f64 v[48:49], v[26:27], v[44:45]
	s_delay_alu instid0(VALU_DEP_2) | instskip(NEXT) | instid1(VALU_DEP_2)
	v_fma_f64 v[46:47], v[26:27], v[42:43], -v[46:47]
	v_fma_f64 v[48:49], v[28:29], v[42:43], v[48:49]
	s_delay_alu instid0(VALU_DEP_2) | instskip(NEXT) | instid1(VALU_DEP_2)
	v_add_f64 v[46:47], v[16:17], v[46:47]
	v_add_f64 v[48:49], v[18:19], v[48:49]
	ds_load_b128 v[16:19], v22 offset:256
	s_waitcnt lgkmcnt(0)
	v_mul_f64 v[50:51], v[28:29], v[18:19]
	s_delay_alu instid0(VALU_DEP_1) | instskip(SKIP_1) | instid1(VALU_DEP_1)
	v_fma_f64 v[50:51], v[26:27], v[16:17], -v[50:51]
	v_mul_f64 v[26:27], v[26:27], v[18:19]
	v_fma_f64 v[26:27], v[28:29], v[16:17], v[26:27]
	s_delay_alu instid0(VALU_DEP_3) | instskip(NEXT) | instid1(VALU_DEP_2)
	v_add_f64 v[28:29], v[8:9], v[50:51]
	v_add_f64 v[26:27], v[10:11], v[26:27]
	ds_load_b128 v[8:11], v25 offset:2048
	s_waitcnt lgkmcnt(0)
	v_mul_f64 v[50:51], v[10:11], v[44:45]
	v_mul_f64 v[44:45], v[8:9], v[44:45]
	s_delay_alu instid0(VALU_DEP_2) | instskip(NEXT) | instid1(VALU_DEP_2)
	v_fma_f64 v[50:51], v[8:9], v[42:43], -v[50:51]
	v_fma_f64 v[42:43], v[10:11], v[42:43], v[44:45]
	s_delay_alu instid0(VALU_DEP_2) | instskip(SKIP_1) | instid1(VALU_DEP_3)
	v_add_f64 v[44:45], v[12:13], v[50:51]
	v_mul_f64 v[12:13], v[10:11], v[18:19]
	v_add_f64 v[42:43], v[14:15], v[42:43]
	s_delay_alu instid0(VALU_DEP_2) | instskip(SKIP_1) | instid1(VALU_DEP_1)
	v_fma_f64 v[12:13], v[8:9], v[16:17], -v[12:13]
	v_mul_f64 v[8:9], v[8:9], v[18:19]
	v_fma_f64 v[8:9], v[10:11], v[16:17], v[8:9]
	s_delay_alu instid0(VALU_DEP_3) | instskip(NEXT) | instid1(VALU_DEP_2)
	v_add_f64 v[16:17], v[6:7], v[12:13]
	v_add_f64 v[18:19], v[4:5], v[8:9]
	ds_load_b128 v[4:7], v22 offset:512
	s_waitcnt lgkmcnt(0)
	v_mul_f64 v[8:9], v[32:33], v[6:7]
	v_mul_f64 v[10:11], v[30:31], v[6:7]
	s_delay_alu instid0(VALU_DEP_2) | instskip(NEXT) | instid1(VALU_DEP_2)
	v_fma_f64 v[8:9], v[30:31], v[4:5], -v[8:9]
	v_fma_f64 v[10:11], v[32:33], v[4:5], v[10:11]
	s_delay_alu instid0(VALU_DEP_2) | instskip(NEXT) | instid1(VALU_DEP_2)
	v_add_f64 v[46:47], v[46:47], v[8:9]
	v_add_f64 v[48:49], v[48:49], v[10:11]
	ds_load_b128 v[8:11], v22 offset:768
	s_waitcnt lgkmcnt(0)
	v_mul_f64 v[12:13], v[32:33], v[10:11]
	v_mul_f64 v[14:15], v[30:31], v[10:11]
	s_delay_alu instid0(VALU_DEP_2) | instskip(NEXT) | instid1(VALU_DEP_2)
	v_fma_f64 v[12:13], v[30:31], v[8:9], -v[12:13]
	v_fma_f64 v[14:15], v[32:33], v[8:9], v[14:15]
	s_delay_alu instid0(VALU_DEP_2) | instskip(NEXT) | instid1(VALU_DEP_2)
	v_add_f64 v[28:29], v[28:29], v[12:13]
	v_add_f64 v[26:27], v[26:27], v[14:15]
	ds_load_b128 v[12:15], v25 offset:2064
	s_waitcnt lgkmcnt(0)
	v_mul_f64 v[30:31], v[14:15], v[6:7]
	v_mul_f64 v[6:7], v[12:13], v[6:7]
	s_delay_alu instid0(VALU_DEP_2) | instskip(NEXT) | instid1(VALU_DEP_2)
	v_fma_f64 v[30:31], v[12:13], v[4:5], -v[30:31]
	v_fma_f64 v[4:5], v[14:15], v[4:5], v[6:7]
	v_mul_f64 v[6:7], v[12:13], v[10:11]
	s_delay_alu instid0(VALU_DEP_3) | instskip(NEXT) | instid1(VALU_DEP_3)
	v_add_f64 v[30:31], v[44:45], v[30:31]
	v_add_f64 v[32:33], v[42:43], v[4:5]
	v_mul_f64 v[4:5], v[14:15], v[10:11]
	s_delay_alu instid0(VALU_DEP_4) | instskip(NEXT) | instid1(VALU_DEP_2)
	v_fma_f64 v[6:7], v[14:15], v[8:9], v[6:7]
	v_fma_f64 v[4:5], v[12:13], v[8:9], -v[4:5]
	s_delay_alu instid0(VALU_DEP_2) | instskip(NEXT) | instid1(VALU_DEP_2)
	v_add_f64 v[18:19], v[18:19], v[6:7]
	v_add_f64 v[16:17], v[16:17], v[4:5]
	ds_load_b128 v[4:7], v22 offset:1024
	s_waitcnt lgkmcnt(0)
	v_mul_f64 v[8:9], v[36:37], v[6:7]
	v_mul_f64 v[10:11], v[34:35], v[6:7]
	s_delay_alu instid0(VALU_DEP_2) | instskip(NEXT) | instid1(VALU_DEP_2)
	v_fma_f64 v[8:9], v[34:35], v[4:5], -v[8:9]
	v_fma_f64 v[10:11], v[36:37], v[4:5], v[10:11]
	s_delay_alu instid0(VALU_DEP_2) | instskip(NEXT) | instid1(VALU_DEP_2)
	v_add_f64 v[42:43], v[46:47], v[8:9]
	v_add_f64 v[44:45], v[48:49], v[10:11]
	ds_load_b128 v[8:11], v22 offset:1280
	s_waitcnt lgkmcnt(0)
	v_mul_f64 v[12:13], v[36:37], v[10:11]
	v_mul_f64 v[14:15], v[34:35], v[10:11]
	s_delay_alu instid0(VALU_DEP_2) | instskip(NEXT) | instid1(VALU_DEP_2)
	v_fma_f64 v[12:13], v[34:35], v[8:9], -v[12:13]
	v_fma_f64 v[14:15], v[36:37], v[8:9], v[14:15]
	s_delay_alu instid0(VALU_DEP_2) | instskip(NEXT) | instid1(VALU_DEP_2)
	v_add_f64 v[28:29], v[28:29], v[12:13]
	v_add_f64 v[26:27], v[26:27], v[14:15]
	ds_load_b128 v[12:15], v25 offset:2080
	s_waitcnt lgkmcnt(0)
	v_mul_f64 v[34:35], v[14:15], v[6:7]
	v_mul_f64 v[6:7], v[12:13], v[6:7]
	s_delay_alu instid0(VALU_DEP_2) | instskip(NEXT) | instid1(VALU_DEP_2)
	v_fma_f64 v[34:35], v[12:13], v[4:5], -v[34:35]
	v_fma_f64 v[4:5], v[14:15], v[4:5], v[6:7]
	v_mul_f64 v[6:7], v[12:13], v[10:11]
	s_delay_alu instid0(VALU_DEP_3) | instskip(NEXT) | instid1(VALU_DEP_3)
	v_add_f64 v[30:31], v[30:31], v[34:35]
	v_add_f64 v[32:33], v[32:33], v[4:5]
	v_mul_f64 v[4:5], v[14:15], v[10:11]
	s_delay_alu instid0(VALU_DEP_4) | instskip(NEXT) | instid1(VALU_DEP_2)
	v_fma_f64 v[6:7], v[14:15], v[8:9], v[6:7]
	v_fma_f64 v[4:5], v[12:13], v[8:9], -v[4:5]
	s_delay_alu instid0(VALU_DEP_2) | instskip(NEXT) | instid1(VALU_DEP_2)
	;; [unrolled: 38-line block ×3, first 2 shown]
	v_add_f64 v[18:19], v[18:19], v[6:7]
	v_add_f64 v[16:17], v[16:17], v[4:5]
	ds_load_b128 v[4:7], v25 offset:64
	ds_load_b128 v[8:11], v22 offset:2048
	s_waitcnt lgkmcnt(0)
	v_mul_f64 v[12:13], v[6:7], v[10:11]
	v_mul_f64 v[14:15], v[4:5], v[10:11]
	s_delay_alu instid0(VALU_DEP_2) | instskip(NEXT) | instid1(VALU_DEP_2)
	v_fma_f64 v[12:13], v[4:5], v[8:9], -v[12:13]
	v_fma_f64 v[14:15], v[6:7], v[8:9], v[14:15]
	s_delay_alu instid0(VALU_DEP_2) | instskip(NEXT) | instid1(VALU_DEP_2)
	v_add_f64 v[34:35], v[34:35], v[12:13]
	v_add_f64 v[36:37], v[36:37], v[14:15]
	ds_load_b128 v[12:15], v22 offset:2304
	s_waitcnt lgkmcnt(0)
	v_mul_f64 v[38:39], v[6:7], v[14:15]
	s_delay_alu instid0(VALU_DEP_1) | instskip(SKIP_1) | instid1(VALU_DEP_2)
	v_fma_f64 v[38:39], v[4:5], v[12:13], -v[38:39]
	v_mul_f64 v[4:5], v[4:5], v[14:15]
	v_add_f64 v[28:29], v[28:29], v[38:39]
	s_delay_alu instid0(VALU_DEP_2) | instskip(NEXT) | instid1(VALU_DEP_1)
	v_fma_f64 v[4:5], v[6:7], v[12:13], v[4:5]
	v_add_f64 v[26:27], v[26:27], v[4:5]
	ds_load_b128 v[4:7], v25 offset:2112
	s_waitcnt lgkmcnt(0)
	v_mul_f64 v[38:39], v[6:7], v[10:11]
	v_mul_f64 v[10:11], v[4:5], v[10:11]
	s_delay_alu instid0(VALU_DEP_2) | instskip(NEXT) | instid1(VALU_DEP_2)
	v_fma_f64 v[38:39], v[4:5], v[8:9], -v[38:39]
	v_fma_f64 v[8:9], v[6:7], v[8:9], v[10:11]
	s_delay_alu instid0(VALU_DEP_2) | instskip(NEXT) | instid1(VALU_DEP_2)
	v_add_f64 v[30:31], v[30:31], v[38:39]
	v_add_f64 v[32:33], v[32:33], v[8:9]
	v_mul_f64 v[8:9], v[6:7], v[14:15]
	s_delay_alu instid0(VALU_DEP_1) | instskip(SKIP_1) | instid1(VALU_DEP_2)
	v_fma_f64 v[8:9], v[4:5], v[12:13], -v[8:9]
	v_mul_f64 v[4:5], v[4:5], v[14:15]
	v_add_f64 v[16:17], v[16:17], v[8:9]
	s_delay_alu instid0(VALU_DEP_2) | instskip(NEXT) | instid1(VALU_DEP_1)
	v_fma_f64 v[4:5], v[6:7], v[12:13], v[4:5]
	v_add_f64 v[18:19], v[18:19], v[4:5]
	ds_load_b128 v[4:7], v25 offset:80
	ds_load_b128 v[8:11], v22 offset:2560
	s_waitcnt lgkmcnt(0)
	v_mul_f64 v[12:13], v[6:7], v[10:11]
	v_mul_f64 v[14:15], v[4:5], v[10:11]
	s_delay_alu instid0(VALU_DEP_2) | instskip(NEXT) | instid1(VALU_DEP_2)
	v_fma_f64 v[12:13], v[4:5], v[8:9], -v[12:13]
	v_fma_f64 v[14:15], v[6:7], v[8:9], v[14:15]
	s_delay_alu instid0(VALU_DEP_2) | instskip(NEXT) | instid1(VALU_DEP_2)
	v_add_f64 v[34:35], v[34:35], v[12:13]
	v_add_f64 v[36:37], v[36:37], v[14:15]
	ds_load_b128 v[12:15], v22 offset:2816
	s_waitcnt lgkmcnt(0)
	v_mul_f64 v[38:39], v[6:7], v[14:15]
	s_delay_alu instid0(VALU_DEP_1) | instskip(SKIP_1) | instid1(VALU_DEP_2)
	v_fma_f64 v[38:39], v[4:5], v[12:13], -v[38:39]
	v_mul_f64 v[4:5], v[4:5], v[14:15]
	v_add_f64 v[28:29], v[28:29], v[38:39]
	s_delay_alu instid0(VALU_DEP_2) | instskip(NEXT) | instid1(VALU_DEP_1)
	v_fma_f64 v[4:5], v[6:7], v[12:13], v[4:5]
	v_add_f64 v[26:27], v[26:27], v[4:5]
	ds_load_b128 v[4:7], v25 offset:2128
	s_waitcnt lgkmcnt(0)
	v_mul_f64 v[38:39], v[6:7], v[10:11]
	v_mul_f64 v[10:11], v[4:5], v[10:11]
	s_delay_alu instid0(VALU_DEP_2) | instskip(NEXT) | instid1(VALU_DEP_2)
	v_fma_f64 v[38:39], v[4:5], v[8:9], -v[38:39]
	v_fma_f64 v[8:9], v[6:7], v[8:9], v[10:11]
	s_delay_alu instid0(VALU_DEP_2) | instskip(NEXT) | instid1(VALU_DEP_2)
	v_add_f64 v[30:31], v[30:31], v[38:39]
	v_add_f64 v[32:33], v[32:33], v[8:9]
	v_mul_f64 v[8:9], v[6:7], v[14:15]
	s_delay_alu instid0(VALU_DEP_1) | instskip(SKIP_1) | instid1(VALU_DEP_2)
	v_fma_f64 v[8:9], v[4:5], v[12:13], -v[8:9]
	v_mul_f64 v[4:5], v[4:5], v[14:15]
	v_add_f64 v[16:17], v[16:17], v[8:9]
	s_delay_alu instid0(VALU_DEP_2) | instskip(NEXT) | instid1(VALU_DEP_1)
	v_fma_f64 v[4:5], v[6:7], v[12:13], v[4:5]
	v_add_f64 v[18:19], v[18:19], v[4:5]
	ds_load_b128 v[4:7], v25 offset:96
	ds_load_b128 v[8:11], v22 offset:3072
	s_waitcnt lgkmcnt(0)
	v_mul_f64 v[12:13], v[6:7], v[10:11]
	v_mul_f64 v[14:15], v[4:5], v[10:11]
	s_delay_alu instid0(VALU_DEP_2) | instskip(NEXT) | instid1(VALU_DEP_2)
	v_fma_f64 v[12:13], v[4:5], v[8:9], -v[12:13]
	v_fma_f64 v[14:15], v[6:7], v[8:9], v[14:15]
	s_delay_alu instid0(VALU_DEP_2) | instskip(NEXT) | instid1(VALU_DEP_2)
	v_add_f64 v[34:35], v[34:35], v[12:13]
	v_add_f64 v[36:37], v[36:37], v[14:15]
	ds_load_b128 v[12:15], v22 offset:3328
	s_waitcnt lgkmcnt(0)
	v_mul_f64 v[38:39], v[6:7], v[14:15]
	s_delay_alu instid0(VALU_DEP_1) | instskip(SKIP_1) | instid1(VALU_DEP_2)
	v_fma_f64 v[38:39], v[4:5], v[12:13], -v[38:39]
	v_mul_f64 v[4:5], v[4:5], v[14:15]
	v_add_f64 v[38:39], v[28:29], v[38:39]
	s_delay_alu instid0(VALU_DEP_2) | instskip(NEXT) | instid1(VALU_DEP_1)
	v_fma_f64 v[4:5], v[6:7], v[12:13], v[4:5]
	v_add_f64 v[40:41], v[26:27], v[4:5]
	ds_load_b128 v[4:7], v25 offset:2144
	s_waitcnt lgkmcnt(0)
	v_mul_f64 v[26:27], v[6:7], v[10:11]
	v_mul_f64 v[10:11], v[4:5], v[10:11]
	s_delay_alu instid0(VALU_DEP_2) | instskip(NEXT) | instid1(VALU_DEP_2)
	v_fma_f64 v[26:27], v[4:5], v[8:9], -v[26:27]
	v_fma_f64 v[8:9], v[6:7], v[8:9], v[10:11]
	s_delay_alu instid0(VALU_DEP_2) | instskip(NEXT) | instid1(VALU_DEP_2)
	v_add_f64 v[30:31], v[30:31], v[26:27]
	v_add_f64 v[32:33], v[32:33], v[8:9]
	v_mul_f64 v[8:9], v[6:7], v[14:15]
	s_delay_alu instid0(VALU_DEP_1) | instskip(SKIP_1) | instid1(VALU_DEP_2)
	v_fma_f64 v[8:9], v[4:5], v[12:13], -v[8:9]
	v_mul_f64 v[4:5], v[4:5], v[14:15]
	v_add_f64 v[42:43], v[16:17], v[8:9]
	s_delay_alu instid0(VALU_DEP_2) | instskip(NEXT) | instid1(VALU_DEP_1)
	v_fma_f64 v[4:5], v[6:7], v[12:13], v[4:5]
	v_add_f64 v[44:45], v[18:19], v[4:5]
	ds_load_b128 v[4:7], v25 offset:112
	ds_load_b128 v[12:15], v22 offset:3584
	;; [unrolled: 1-line block ×3, first 2 shown]
	s_waitcnt lgkmcnt(1)
	v_mul_f64 v[8:9], v[6:7], v[14:15]
	v_mul_f64 v[10:11], v[4:5], v[14:15]
	s_delay_alu instid0(VALU_DEP_2) | instskip(NEXT) | instid1(VALU_DEP_2)
	v_fma_f64 v[8:9], v[4:5], v[12:13], -v[8:9]
	v_fma_f64 v[10:11], v[6:7], v[12:13], v[10:11]
	s_delay_alu instid0(VALU_DEP_2) | instskip(SKIP_2) | instid1(VALU_DEP_3)
	v_add_f64 v[16:17], v[34:35], v[8:9]
	s_waitcnt lgkmcnt(0)
	v_mul_f64 v[8:9], v[6:7], v[28:29]
	v_add_f64 v[18:19], v[36:37], v[10:11]
	s_delay_alu instid0(VALU_DEP_2) | instskip(SKIP_1) | instid1(VALU_DEP_2)
	v_fma_f64 v[8:9], v[4:5], v[26:27], -v[8:9]
	v_mul_f64 v[4:5], v[4:5], v[28:29]
	v_add_f64 v[8:9], v[38:39], v[8:9]
	s_delay_alu instid0(VALU_DEP_2) | instskip(NEXT) | instid1(VALU_DEP_1)
	v_fma_f64 v[4:5], v[6:7], v[26:27], v[4:5]
	v_add_f64 v[10:11], v[40:41], v[4:5]
	ds_load_b128 v[4:7], v25 offset:2160
	s_waitcnt lgkmcnt(0)
	s_barrier
	buffer_gl0_inv
	v_mul_f64 v[34:35], v[6:7], v[14:15]
	v_mul_f64 v[14:15], v[4:5], v[14:15]
	s_delay_alu instid0(VALU_DEP_2) | instskip(NEXT) | instid1(VALU_DEP_2)
	v_fma_f64 v[34:35], v[4:5], v[12:13], -v[34:35]
	v_fma_f64 v[14:15], v[6:7], v[12:13], v[14:15]
	s_delay_alu instid0(VALU_DEP_2) | instskip(SKIP_1) | instid1(VALU_DEP_3)
	v_add_f64 v[12:13], v[30:31], v[34:35]
	v_mul_f64 v[30:31], v[6:7], v[28:29]
	v_add_f64 v[14:15], v[32:33], v[14:15]
	s_delay_alu instid0(VALU_DEP_2) | instskip(SKIP_1) | instid1(VALU_DEP_1)
	v_fma_f64 v[30:31], v[4:5], v[26:27], -v[30:31]
	v_mul_f64 v[4:5], v[4:5], v[28:29]
	v_fma_f64 v[4:5], v[6:7], v[26:27], v[4:5]
	s_delay_alu instid0(VALU_DEP_3) | instskip(NEXT) | instid1(VALU_DEP_2)
	v_add_f64 v[6:7], v[42:43], v[30:31]
	v_add_f64 v[4:5], v[44:45], v[4:5]
	s_cbranch_scc0 .LBB421_2
.LBB421_3:
	s_clause 0x1
	s_load_b32 s3, s[0:1], 0x60
	s_load_b64 s[0:1], s[0:1], 0x68
	v_add_nc_u32_e32 v21, s13, v21
	v_add_nc_u32_e32 v0, s12, v20
	s_delay_alu instid0(VALU_DEP_2)
	v_cmp_gt_i32_e32 vcc_lo, s2, v21
	s_waitcnt lgkmcnt(0)
	v_mad_i64_i32 v[1:2], null, v21, s3, 0
	s_mul_i32 s1, s15, s1
	s_mul_hi_u32 s4, s15, s0
	s_mul_i32 s0, s15, s0
	s_add_i32 s1, s4, s1
	s_delay_alu instid0(SALU_CYCLE_1) | instskip(NEXT) | instid1(VALU_DEP_1)
	s_lshl_b64 s[4:5], s[0:1], 4
	v_lshlrev_b64 v[1:2], 4, v[1:2]
	s_add_u32 s4, s10, s4
	v_cmp_le_i32_e64 s0, v0, v21
	s_addc_u32 s5, s11, s5
	s_delay_alu instid0(VALU_DEP_2) | instskip(NEXT) | instid1(VALU_DEP_1)
	v_add_co_u32 v20, s1, s4, v1
	v_add_co_ci_u32_e64 v22, s1, s5, v2, s1
	s_delay_alu instid0(VALU_DEP_3) | instskip(NEXT) | instid1(SALU_CYCLE_1)
	s_and_b32 s0, vcc_lo, s0
	s_and_saveexec_b32 s1, s0
	s_cbranch_execz .LBB421_5
; %bb.4:
	v_ashrrev_i32_e32 v1, 31, v0
	v_mul_f64 v[27:28], s[16:17], v[18:19]
	v_mul_f64 v[18:19], s[18:19], v[18:19]
	s_delay_alu instid0(VALU_DEP_3) | instskip(NEXT) | instid1(VALU_DEP_1)
	v_lshlrev_b64 v[1:2], 4, v[0:1]
	v_add_co_u32 v1, s0, v20, v1
	s_delay_alu instid0(VALU_DEP_1)
	v_add_co_ci_u32_e64 v2, s0, v22, v2, s0
	v_cmp_ne_u32_e64 s0, v21, v0
	global_load_b128 v[23:26], v[1:2], off
	v_fma_f64 v[27:28], s[18:19], v[16:17], v[27:28]
	v_fma_f64 v[16:17], s[16:17], v[16:17], -v[18:19]
	s_waitcnt vmcnt(0)
	v_mul_f64 v[29:30], s[6:7], v[25:26]
	v_mul_f64 v[25:26], s[8:9], v[25:26]
	s_delay_alu instid0(VALU_DEP_2) | instskip(NEXT) | instid1(VALU_DEP_2)
	v_fma_f64 v[29:30], s[8:9], v[23:24], v[29:30]
	v_fma_f64 v[18:19], s[6:7], v[23:24], -v[25:26]
	s_delay_alu instid0(VALU_DEP_2) | instskip(NEXT) | instid1(VALU_DEP_2)
	v_add_f64 v[23:24], v[27:28], v[29:30]
	v_add_f64 v[16:17], v[16:17], v[18:19]
	s_delay_alu instid0(VALU_DEP_2) | instskip(NEXT) | instid1(VALU_DEP_3)
	v_cndmask_b32_e64 v19, 0, v24, s0
	v_cndmask_b32_e64 v18, 0, v23, s0
	global_store_b128 v[1:2], v[16:19], off
.LBB421_5:
	s_or_b32 exec_lo, exec_lo, s1
	v_add_nc_u32_e32 v2, 16, v0
	s_delay_alu instid0(VALU_DEP_1) | instskip(NEXT) | instid1(VALU_DEP_1)
	v_cmp_le_i32_e64 s0, v2, v21
	s_and_b32 s1, vcc_lo, s0
	s_delay_alu instid0(SALU_CYCLE_1)
	s_and_saveexec_b32 s0, s1
	s_cbranch_execz .LBB421_7
; %bb.6:
	v_ashrrev_i32_e32 v3, 31, v2
	v_mul_f64 v[25:26], s[16:17], v[10:11]
	v_mul_f64 v[10:11], s[18:19], v[10:11]
	s_delay_alu instid0(VALU_DEP_3) | instskip(NEXT) | instid1(VALU_DEP_1)
	v_lshlrev_b64 v[16:17], 4, v[2:3]
	v_add_co_u32 v23, vcc_lo, v20, v16
	s_delay_alu instid0(VALU_DEP_2)
	v_add_co_ci_u32_e32 v24, vcc_lo, v22, v17, vcc_lo
	v_cmp_ne_u32_e32 vcc_lo, v21, v2
	global_load_b128 v[16:19], v[23:24], off
	v_fma_f64 v[25:26], s[18:19], v[8:9], v[25:26]
	v_fma_f64 v[8:9], s[16:17], v[8:9], -v[10:11]
	s_waitcnt vmcnt(0)
	v_mul_f64 v[27:28], s[6:7], v[18:19]
	v_mul_f64 v[18:19], s[8:9], v[18:19]
	s_delay_alu instid0(VALU_DEP_2) | instskip(NEXT) | instid1(VALU_DEP_2)
	v_fma_f64 v[27:28], s[8:9], v[16:17], v[27:28]
	v_fma_f64 v[10:11], s[6:7], v[16:17], -v[18:19]
	s_delay_alu instid0(VALU_DEP_2) | instskip(NEXT) | instid1(VALU_DEP_2)
	v_add_f64 v[16:17], v[25:26], v[27:28]
	v_add_f64 v[8:9], v[8:9], v[10:11]
	s_delay_alu instid0(VALU_DEP_2)
	v_dual_cndmask_b32 v11, 0, v17 :: v_dual_cndmask_b32 v10, 0, v16
	global_store_b128 v[23:24], v[8:11], off
.LBB421_7:
	s_or_b32 exec_lo, exec_lo, s0
	v_add_nc_u32_e32 v3, 16, v21
	s_delay_alu instid0(VALU_DEP_1) | instskip(SKIP_2) | instid1(VALU_DEP_1)
	v_mad_i64_i32 v[8:9], null, v3, s3, 0
	v_cmp_gt_i32_e32 vcc_lo, s2, v3
	v_cmp_le_i32_e64 s0, v0, v3
	s_and_b32 s0, vcc_lo, s0
	s_delay_alu instid0(VALU_DEP_3) | instskip(NEXT) | instid1(VALU_DEP_1)
	v_lshlrev_b64 v[8:9], 4, v[8:9]
	v_add_co_u32 v8, s1, s4, v8
	s_delay_alu instid0(VALU_DEP_1)
	v_add_co_ci_u32_e64 v9, s1, s5, v9, s1
	s_and_saveexec_b32 s1, s0
	s_cbranch_execz .LBB421_9
; %bb.8:
	v_ashrrev_i32_e32 v1, 31, v0
	s_delay_alu instid0(VALU_DEP_1) | instskip(NEXT) | instid1(VALU_DEP_1)
	v_lshlrev_b64 v[10:11], 4, v[0:1]
	v_add_co_u32 v22, s0, v8, v10
	s_delay_alu instid0(VALU_DEP_1)
	v_add_co_ci_u32_e64 v23, s0, v9, v11, s0
	v_mul_f64 v[10:11], s[16:17], v[14:15]
	v_mul_f64 v[14:15], s[18:19], v[14:15]
	v_cmp_ne_u32_e64 s0, v3, v0
	global_load_b128 v[16:19], v[22:23], off
	v_fma_f64 v[10:11], s[18:19], v[12:13], v[10:11]
	v_fma_f64 v[12:13], s[16:17], v[12:13], -v[14:15]
	s_waitcnt vmcnt(0)
	v_mul_f64 v[24:25], s[6:7], v[18:19]
	v_mul_f64 v[18:19], s[8:9], v[18:19]
	s_delay_alu instid0(VALU_DEP_2) | instskip(NEXT) | instid1(VALU_DEP_2)
	v_fma_f64 v[24:25], s[8:9], v[16:17], v[24:25]
	v_fma_f64 v[14:15], s[6:7], v[16:17], -v[18:19]
	s_delay_alu instid0(VALU_DEP_2) | instskip(NEXT) | instid1(VALU_DEP_2)
	v_add_f64 v[16:17], v[10:11], v[24:25]
	v_add_f64 v[10:11], v[12:13], v[14:15]
	s_delay_alu instid0(VALU_DEP_2) | instskip(NEXT) | instid1(VALU_DEP_3)
	v_cndmask_b32_e64 v13, 0, v17, s0
	v_cndmask_b32_e64 v12, 0, v16, s0
	global_store_b128 v[22:23], v[10:13], off
.LBB421_9:
	s_or_b32 exec_lo, exec_lo, s1
	v_cmp_le_i32_e64 s0, v2, v3
	s_delay_alu instid0(VALU_DEP_1) | instskip(NEXT) | instid1(SALU_CYCLE_1)
	s_and_b32 s0, vcc_lo, s0
	s_and_saveexec_b32 s1, s0
	s_cbranch_execz .LBB421_11
; %bb.10:
	v_ashrrev_i32_e32 v3, 31, v2
	s_delay_alu instid0(VALU_DEP_1) | instskip(NEXT) | instid1(VALU_DEP_1)
	v_lshlrev_b64 v[1:2], 4, v[2:3]
	v_add_co_u32 v12, vcc_lo, v8, v1
	s_delay_alu instid0(VALU_DEP_2)
	v_add_co_ci_u32_e32 v13, vcc_lo, v9, v2, vcc_lo
	v_mul_f64 v[1:2], s[16:17], v[4:5]
	v_mul_f64 v[3:4], s[18:19], v[4:5]
	v_cmp_ne_u32_e32 vcc_lo, v21, v0
	global_load_b128 v[8:11], v[12:13], off
	v_fma_f64 v[1:2], s[18:19], v[6:7], v[1:2]
	v_fma_f64 v[3:4], s[16:17], v[6:7], -v[3:4]
	s_waitcnt vmcnt(0)
	v_mul_f64 v[14:15], s[6:7], v[10:11]
	v_mul_f64 v[10:11], s[8:9], v[10:11]
	s_delay_alu instid0(VALU_DEP_2) | instskip(NEXT) | instid1(VALU_DEP_2)
	v_fma_f64 v[14:15], s[8:9], v[8:9], v[14:15]
	v_fma_f64 v[5:6], s[6:7], v[8:9], -v[10:11]
	s_delay_alu instid0(VALU_DEP_2) | instskip(NEXT) | instid1(VALU_DEP_2)
	v_add_f64 v[7:8], v[1:2], v[14:15]
	v_add_f64 v[1:2], v[3:4], v[5:6]
	s_delay_alu instid0(VALU_DEP_2)
	v_dual_cndmask_b32 v4, 0, v8 :: v_dual_cndmask_b32 v3, 0, v7
	global_store_b128 v[12:13], v[1:4], off
.LBB421_11:
	s_nop 0
	s_sendmsg sendmsg(MSG_DEALLOC_VGPRS)
	s_endpgm
	.section	.rodata,"a",@progbits
	.p2align	6, 0x0
	.amdhsa_kernel _ZL37rocblas_syrkx_herkx_restricted_kernelIi19rocblas_complex_numIdELi16ELi32ELi8ELb0ELb1ELc67ELc85EKS1_S1_EviT_T0_PT8_S3_lS6_S3_lS4_PT9_S3_li
		.amdhsa_group_segment_fixed_size 8192
		.amdhsa_private_segment_fixed_size 0
		.amdhsa_kernarg_size 116
		.amdhsa_user_sgpr_count 13
		.amdhsa_user_sgpr_dispatch_ptr 0
		.amdhsa_user_sgpr_queue_ptr 0
		.amdhsa_user_sgpr_kernarg_segment_ptr 1
		.amdhsa_user_sgpr_dispatch_id 0
		.amdhsa_user_sgpr_private_segment_size 0
		.amdhsa_wavefront_size32 1
		.amdhsa_uses_dynamic_stack 0
		.amdhsa_enable_private_segment 0
		.amdhsa_system_sgpr_workgroup_id_x 1
		.amdhsa_system_sgpr_workgroup_id_y 1
		.amdhsa_system_sgpr_workgroup_id_z 1
		.amdhsa_system_sgpr_workgroup_info 0
		.amdhsa_system_vgpr_workitem_id 1
		.amdhsa_next_free_vgpr 52
		.amdhsa_next_free_sgpr 29
		.amdhsa_reserve_vcc 1
		.amdhsa_float_round_mode_32 0
		.amdhsa_float_round_mode_16_64 0
		.amdhsa_float_denorm_mode_32 3
		.amdhsa_float_denorm_mode_16_64 3
		.amdhsa_dx10_clamp 1
		.amdhsa_ieee_mode 1
		.amdhsa_fp16_overflow 0
		.amdhsa_workgroup_processor_mode 1
		.amdhsa_memory_ordered 1
		.amdhsa_forward_progress 0
		.amdhsa_shared_vgpr_count 0
		.amdhsa_exception_fp_ieee_invalid_op 0
		.amdhsa_exception_fp_denorm_src 0
		.amdhsa_exception_fp_ieee_div_zero 0
		.amdhsa_exception_fp_ieee_overflow 0
		.amdhsa_exception_fp_ieee_underflow 0
		.amdhsa_exception_fp_ieee_inexact 0
		.amdhsa_exception_int_div_zero 0
	.end_amdhsa_kernel
	.section	.text._ZL37rocblas_syrkx_herkx_restricted_kernelIi19rocblas_complex_numIdELi16ELi32ELi8ELb0ELb1ELc67ELc85EKS1_S1_EviT_T0_PT8_S3_lS6_S3_lS4_PT9_S3_li,"axG",@progbits,_ZL37rocblas_syrkx_herkx_restricted_kernelIi19rocblas_complex_numIdELi16ELi32ELi8ELb0ELb1ELc67ELc85EKS1_S1_EviT_T0_PT8_S3_lS6_S3_lS4_PT9_S3_li,comdat
.Lfunc_end421:
	.size	_ZL37rocblas_syrkx_herkx_restricted_kernelIi19rocblas_complex_numIdELi16ELi32ELi8ELb0ELb1ELc67ELc85EKS1_S1_EviT_T0_PT8_S3_lS6_S3_lS4_PT9_S3_li, .Lfunc_end421-_ZL37rocblas_syrkx_herkx_restricted_kernelIi19rocblas_complex_numIdELi16ELi32ELi8ELb0ELb1ELc67ELc85EKS1_S1_EviT_T0_PT8_S3_lS6_S3_lS4_PT9_S3_li
                                        ; -- End function
	.section	.AMDGPU.csdata,"",@progbits
; Kernel info:
; codeLenInByte = 3688
; NumSgprs: 31
; NumVgprs: 52
; ScratchSize: 0
; MemoryBound: 0
; FloatMode: 240
; IeeeMode: 1
; LDSByteSize: 8192 bytes/workgroup (compile time only)
; SGPRBlocks: 3
; VGPRBlocks: 6
; NumSGPRsForWavesPerEU: 31
; NumVGPRsForWavesPerEU: 52
; Occupancy: 16
; WaveLimiterHint : 0
; COMPUTE_PGM_RSRC2:SCRATCH_EN: 0
; COMPUTE_PGM_RSRC2:USER_SGPR: 13
; COMPUTE_PGM_RSRC2:TRAP_HANDLER: 0
; COMPUTE_PGM_RSRC2:TGID_X_EN: 1
; COMPUTE_PGM_RSRC2:TGID_Y_EN: 1
; COMPUTE_PGM_RSRC2:TGID_Z_EN: 1
; COMPUTE_PGM_RSRC2:TIDIG_COMP_CNT: 1
	.section	.text._ZL37rocblas_syrkx_herkx_restricted_kernelIi19rocblas_complex_numIdELi16ELi32ELi8ELb0ELb1ELc78ELc85EKS1_S1_EviT_T0_PT8_S3_lS6_S3_lS4_PT9_S3_li,"axG",@progbits,_ZL37rocblas_syrkx_herkx_restricted_kernelIi19rocblas_complex_numIdELi16ELi32ELi8ELb0ELb1ELc78ELc85EKS1_S1_EviT_T0_PT8_S3_lS6_S3_lS4_PT9_S3_li,comdat
	.globl	_ZL37rocblas_syrkx_herkx_restricted_kernelIi19rocblas_complex_numIdELi16ELi32ELi8ELb0ELb1ELc78ELc85EKS1_S1_EviT_T0_PT8_S3_lS6_S3_lS4_PT9_S3_li ; -- Begin function _ZL37rocblas_syrkx_herkx_restricted_kernelIi19rocblas_complex_numIdELi16ELi32ELi8ELb0ELb1ELc78ELc85EKS1_S1_EviT_T0_PT8_S3_lS6_S3_lS4_PT9_S3_li
	.p2align	8
	.type	_ZL37rocblas_syrkx_herkx_restricted_kernelIi19rocblas_complex_numIdELi16ELi32ELi8ELb0ELb1ELc78ELc85EKS1_S1_EviT_T0_PT8_S3_lS6_S3_lS4_PT9_S3_li,@function
_ZL37rocblas_syrkx_herkx_restricted_kernelIi19rocblas_complex_numIdELi16ELi32ELi8ELb0ELb1ELc78ELc85EKS1_S1_EviT_T0_PT8_S3_lS6_S3_lS4_PT9_S3_li: ; @_ZL37rocblas_syrkx_herkx_restricted_kernelIi19rocblas_complex_numIdELi16ELi32ELi8ELb0ELb1ELc78ELc85EKS1_S1_EviT_T0_PT8_S3_lS6_S3_lS4_PT9_S3_li
; %bb.0:
	s_clause 0x3
	s_load_b64 s[2:3], s[0:1], 0x0
	s_load_b128 s[16:19], s[0:1], 0x8
	s_load_b64 s[24:25], s[0:1], 0x18
	s_load_b256 s[4:11], s[0:1], 0x40
	v_mov_b32_e32 v16, 0
	v_dual_mov_b32 v17, 0 :: v_dual_and_b32 v20, 0x3ff, v0
	v_bfe_u32 v21, v0, 10, 10
	s_delay_alu instid0(VALU_DEP_3) | instskip(NEXT) | instid1(VALU_DEP_3)
	v_mov_b32_e32 v8, v16
	v_dual_mov_b32 v10, v16 :: v_dual_mov_b32 v11, v17
	v_dual_mov_b32 v19, v17 :: v_dual_mov_b32 v18, v16
	;; [unrolled: 1-line block ×6, first 2 shown]
	v_mov_b32_e32 v5, v17
	s_lshl_b32 s26, s13, 5
	s_lshl_b32 s14, s14, 5
	s_waitcnt lgkmcnt(0)
	s_cmp_lt_i32 s3, 1
	s_mov_b32 s27, 0
	s_cbranch_scc1 .LBB422_3
; %bb.1:
	s_clause 0x1
	s_load_b32 s12, s[0:1], 0x38
	s_load_b32 s28, s[0:1], 0x20
	v_lshl_add_u32 v0, v21, 4, v20
	v_and_b32_e32 v6, 7, v20
	s_load_b128 s[20:23], s[0:1], 0x28
	s_mul_i32 s5, s5, s15
	v_lshl_add_u32 v25, v21, 7, 0x1000
	v_lshrrev_b32_e32 v1, 3, v0
	v_and_b32_e32 v2, 31, v0
	v_lshlrev_b32_e32 v3, 4, v6
	v_lshrrev_b32_e32 v7, 5, v0
	s_delay_alu instid0(VALU_DEP_4) | instskip(NEXT) | instid1(VALU_DEP_4)
	v_add_nc_u32_e32 v0, s14, v1
	v_lshlrev_b32_e32 v4, 4, v2
	s_delay_alu instid0(VALU_DEP_4) | instskip(SKIP_1) | instid1(VALU_DEP_4)
	v_lshl_or_b32 v3, v1, 7, v3
	v_add_nc_u32_e32 v2, s26, v2
	v_ashrrev_i32_e32 v1, 31, v0
	s_delay_alu instid0(VALU_DEP_4) | instskip(NEXT) | instid1(VALU_DEP_4)
	v_lshl_or_b32 v22, v7, 9, v4
	v_add_nc_u32_e32 v23, 0x1000, v3
	s_delay_alu instid0(VALU_DEP_4)
	v_ashrrev_i32_e32 v3, 31, v2
	s_waitcnt lgkmcnt(0)
	s_ashr_i32 s29, s28, 31
	v_mad_i64_i32 v[4:5], null, s12, v6, v[0:1]
	s_mul_i32 s21, s21, s15
	v_mad_i64_i32 v[0:1], null, s28, v7, v[2:3]
	s_mul_hi_u32 s30, s20, s15
	s_mul_i32 s20, s20, s15
	s_add_i32 s21, s30, s21
	s_ashr_i32 s13, s12, 31
	s_lshl_b64 s[20:21], s[20:21], 4
	s_delay_alu instid0(VALU_DEP_1)
	v_lshlrev_b64 v[0:1], 4, v[0:1]
	s_add_u32 s20, s24, s20
	s_addc_u32 s21, s25, s21
	s_mul_hi_u32 s24, s4, s15
	s_mul_i32 s4, s4, s15
	s_add_i32 s5, s24, s5
	v_add_co_u32 v2, vcc_lo, s20, v0
	v_add_co_ci_u32_e32 v3, vcc_lo, s21, v1, vcc_lo
	v_lshlrev_b64 v[0:1], 4, v[4:5]
	s_lshl_b64 s[20:21], s[4:5], 4
	s_lshl_b64 s[4:5], s[28:29], 7
	s_add_u32 s20, s22, s20
	s_addc_u32 s21, s23, s21
	v_mov_b32_e32 v4, 0
	v_add_co_u32 v6, vcc_lo, s20, v0
	v_add_co_ci_u32_e32 v7, vcc_lo, s21, v1, vcc_lo
	v_mov_b32_e32 v5, 0
	v_add_co_u32 v0, vcc_lo, v2, 8
	v_add_co_ci_u32_e32 v1, vcc_lo, 0, v3, vcc_lo
	v_add_co_u32 v2, vcc_lo, v6, 8
	s_delay_alu instid0(VALU_DEP_4)
	v_dual_mov_b32 v11, v5 :: v_dual_lshlrev_b32 v24, 4, v20
	v_mov_b32_e32 v15, v5
	v_mov_b32_e32 v13, v5
	v_add_co_ci_u32_e32 v3, vcc_lo, 0, v7, vcc_lo
	v_dual_mov_b32 v7, v5 :: v_dual_mov_b32 v14, v4
	v_dual_mov_b32 v9, v5 :: v_dual_mov_b32 v12, v4
	;; [unrolled: 1-line block ×4, first 2 shown]
	v_mov_b32_e32 v8, v4
	v_mov_b32_e32 v18, v4
	;; [unrolled: 1-line block ×3, first 2 shown]
	s_lshl_b64 s[12:13], s[12:13], 7
.LBB422_2:                              ; =>This Inner Loop Header: Depth=1
	global_load_b128 v[26:29], v[0:1], off offset:-8
	v_add_co_u32 v0, vcc_lo, v0, s4
	v_add_co_ci_u32_e32 v1, vcc_lo, s5, v1, vcc_lo
	s_add_i32 s27, s27, 8
	s_delay_alu instid0(SALU_CYCLE_1)
	s_cmp_ge_i32 s27, s3
	s_waitcnt vmcnt(0)
	ds_store_b128 v22, v[26:29]
	global_load_b128 v[26:29], v[2:3], off offset:-8
	v_add_co_u32 v2, vcc_lo, v2, s12
	v_add_co_ci_u32_e32 v3, vcc_lo, s13, v3, vcc_lo
	s_waitcnt vmcnt(0)
	v_xor_b32_e32 v29, 0x80000000, v29
	ds_store_b128 v23, v[26:29]
	s_waitcnt lgkmcnt(0)
	s_barrier
	buffer_gl0_inv
	ds_load_b128 v[26:29], v25
	ds_load_b128 v[30:33], v25 offset:16
	ds_load_b128 v[34:37], v25 offset:32
	;; [unrolled: 1-line block ×3, first 2 shown]
	ds_load_b128 v[42:45], v24
	s_waitcnt lgkmcnt(0)
	v_mul_f64 v[46:47], v[28:29], v[44:45]
	v_mul_f64 v[48:49], v[26:27], v[44:45]
	s_delay_alu instid0(VALU_DEP_2) | instskip(NEXT) | instid1(VALU_DEP_2)
	v_fma_f64 v[46:47], v[26:27], v[42:43], -v[46:47]
	v_fma_f64 v[48:49], v[28:29], v[42:43], v[48:49]
	s_delay_alu instid0(VALU_DEP_2) | instskip(NEXT) | instid1(VALU_DEP_2)
	v_add_f64 v[46:47], v[16:17], v[46:47]
	v_add_f64 v[48:49], v[18:19], v[48:49]
	ds_load_b128 v[16:19], v24 offset:256
	s_waitcnt lgkmcnt(0)
	v_mul_f64 v[50:51], v[28:29], v[18:19]
	s_delay_alu instid0(VALU_DEP_1) | instskip(SKIP_1) | instid1(VALU_DEP_1)
	v_fma_f64 v[50:51], v[26:27], v[16:17], -v[50:51]
	v_mul_f64 v[26:27], v[26:27], v[18:19]
	v_fma_f64 v[26:27], v[28:29], v[16:17], v[26:27]
	s_delay_alu instid0(VALU_DEP_3) | instskip(NEXT) | instid1(VALU_DEP_2)
	v_add_f64 v[28:29], v[8:9], v[50:51]
	v_add_f64 v[26:27], v[10:11], v[26:27]
	ds_load_b128 v[8:11], v25 offset:2048
	s_waitcnt lgkmcnt(0)
	v_mul_f64 v[50:51], v[10:11], v[44:45]
	v_mul_f64 v[44:45], v[8:9], v[44:45]
	s_delay_alu instid0(VALU_DEP_2) | instskip(NEXT) | instid1(VALU_DEP_2)
	v_fma_f64 v[50:51], v[8:9], v[42:43], -v[50:51]
	v_fma_f64 v[42:43], v[10:11], v[42:43], v[44:45]
	s_delay_alu instid0(VALU_DEP_2) | instskip(SKIP_1) | instid1(VALU_DEP_3)
	v_add_f64 v[44:45], v[12:13], v[50:51]
	v_mul_f64 v[12:13], v[10:11], v[18:19]
	v_add_f64 v[42:43], v[14:15], v[42:43]
	s_delay_alu instid0(VALU_DEP_2) | instskip(SKIP_1) | instid1(VALU_DEP_1)
	v_fma_f64 v[12:13], v[8:9], v[16:17], -v[12:13]
	v_mul_f64 v[8:9], v[8:9], v[18:19]
	v_fma_f64 v[8:9], v[10:11], v[16:17], v[8:9]
	s_delay_alu instid0(VALU_DEP_3) | instskip(NEXT) | instid1(VALU_DEP_2)
	v_add_f64 v[16:17], v[6:7], v[12:13]
	v_add_f64 v[18:19], v[4:5], v[8:9]
	ds_load_b128 v[4:7], v24 offset:512
	s_waitcnt lgkmcnt(0)
	v_mul_f64 v[8:9], v[32:33], v[6:7]
	v_mul_f64 v[10:11], v[30:31], v[6:7]
	s_delay_alu instid0(VALU_DEP_2) | instskip(NEXT) | instid1(VALU_DEP_2)
	v_fma_f64 v[8:9], v[30:31], v[4:5], -v[8:9]
	v_fma_f64 v[10:11], v[32:33], v[4:5], v[10:11]
	s_delay_alu instid0(VALU_DEP_2) | instskip(NEXT) | instid1(VALU_DEP_2)
	v_add_f64 v[46:47], v[46:47], v[8:9]
	v_add_f64 v[48:49], v[48:49], v[10:11]
	ds_load_b128 v[8:11], v24 offset:768
	s_waitcnt lgkmcnt(0)
	v_mul_f64 v[12:13], v[32:33], v[10:11]
	v_mul_f64 v[14:15], v[30:31], v[10:11]
	s_delay_alu instid0(VALU_DEP_2) | instskip(NEXT) | instid1(VALU_DEP_2)
	v_fma_f64 v[12:13], v[30:31], v[8:9], -v[12:13]
	v_fma_f64 v[14:15], v[32:33], v[8:9], v[14:15]
	s_delay_alu instid0(VALU_DEP_2) | instskip(NEXT) | instid1(VALU_DEP_2)
	v_add_f64 v[28:29], v[28:29], v[12:13]
	v_add_f64 v[26:27], v[26:27], v[14:15]
	ds_load_b128 v[12:15], v25 offset:2064
	s_waitcnt lgkmcnt(0)
	v_mul_f64 v[30:31], v[14:15], v[6:7]
	v_mul_f64 v[6:7], v[12:13], v[6:7]
	s_delay_alu instid0(VALU_DEP_2) | instskip(NEXT) | instid1(VALU_DEP_2)
	v_fma_f64 v[30:31], v[12:13], v[4:5], -v[30:31]
	v_fma_f64 v[4:5], v[14:15], v[4:5], v[6:7]
	v_mul_f64 v[6:7], v[12:13], v[10:11]
	s_delay_alu instid0(VALU_DEP_3) | instskip(NEXT) | instid1(VALU_DEP_3)
	v_add_f64 v[30:31], v[44:45], v[30:31]
	v_add_f64 v[32:33], v[42:43], v[4:5]
	v_mul_f64 v[4:5], v[14:15], v[10:11]
	s_delay_alu instid0(VALU_DEP_4) | instskip(NEXT) | instid1(VALU_DEP_2)
	v_fma_f64 v[6:7], v[14:15], v[8:9], v[6:7]
	v_fma_f64 v[4:5], v[12:13], v[8:9], -v[4:5]
	s_delay_alu instid0(VALU_DEP_2) | instskip(NEXT) | instid1(VALU_DEP_2)
	v_add_f64 v[18:19], v[18:19], v[6:7]
	v_add_f64 v[16:17], v[16:17], v[4:5]
	ds_load_b128 v[4:7], v24 offset:1024
	s_waitcnt lgkmcnt(0)
	v_mul_f64 v[8:9], v[36:37], v[6:7]
	v_mul_f64 v[10:11], v[34:35], v[6:7]
	s_delay_alu instid0(VALU_DEP_2) | instskip(NEXT) | instid1(VALU_DEP_2)
	v_fma_f64 v[8:9], v[34:35], v[4:5], -v[8:9]
	v_fma_f64 v[10:11], v[36:37], v[4:5], v[10:11]
	s_delay_alu instid0(VALU_DEP_2) | instskip(NEXT) | instid1(VALU_DEP_2)
	v_add_f64 v[42:43], v[46:47], v[8:9]
	v_add_f64 v[44:45], v[48:49], v[10:11]
	ds_load_b128 v[8:11], v24 offset:1280
	s_waitcnt lgkmcnt(0)
	v_mul_f64 v[12:13], v[36:37], v[10:11]
	v_mul_f64 v[14:15], v[34:35], v[10:11]
	s_delay_alu instid0(VALU_DEP_2) | instskip(NEXT) | instid1(VALU_DEP_2)
	v_fma_f64 v[12:13], v[34:35], v[8:9], -v[12:13]
	v_fma_f64 v[14:15], v[36:37], v[8:9], v[14:15]
	s_delay_alu instid0(VALU_DEP_2) | instskip(NEXT) | instid1(VALU_DEP_2)
	v_add_f64 v[28:29], v[28:29], v[12:13]
	v_add_f64 v[26:27], v[26:27], v[14:15]
	ds_load_b128 v[12:15], v25 offset:2080
	s_waitcnt lgkmcnt(0)
	v_mul_f64 v[34:35], v[14:15], v[6:7]
	v_mul_f64 v[6:7], v[12:13], v[6:7]
	s_delay_alu instid0(VALU_DEP_2) | instskip(NEXT) | instid1(VALU_DEP_2)
	v_fma_f64 v[34:35], v[12:13], v[4:5], -v[34:35]
	v_fma_f64 v[4:5], v[14:15], v[4:5], v[6:7]
	v_mul_f64 v[6:7], v[12:13], v[10:11]
	s_delay_alu instid0(VALU_DEP_3) | instskip(NEXT) | instid1(VALU_DEP_3)
	v_add_f64 v[30:31], v[30:31], v[34:35]
	v_add_f64 v[32:33], v[32:33], v[4:5]
	v_mul_f64 v[4:5], v[14:15], v[10:11]
	s_delay_alu instid0(VALU_DEP_4) | instskip(NEXT) | instid1(VALU_DEP_2)
	v_fma_f64 v[6:7], v[14:15], v[8:9], v[6:7]
	v_fma_f64 v[4:5], v[12:13], v[8:9], -v[4:5]
	s_delay_alu instid0(VALU_DEP_2) | instskip(NEXT) | instid1(VALU_DEP_2)
	v_add_f64 v[18:19], v[18:19], v[6:7]
	v_add_f64 v[16:17], v[16:17], v[4:5]
	ds_load_b128 v[4:7], v24 offset:1536
	s_waitcnt lgkmcnt(0)
	v_mul_f64 v[8:9], v[40:41], v[6:7]
	v_mul_f64 v[10:11], v[38:39], v[6:7]
	s_delay_alu instid0(VALU_DEP_2) | instskip(NEXT) | instid1(VALU_DEP_2)
	v_fma_f64 v[8:9], v[38:39], v[4:5], -v[8:9]
	v_fma_f64 v[10:11], v[40:41], v[4:5], v[10:11]
	s_delay_alu instid0(VALU_DEP_2) | instskip(NEXT) | instid1(VALU_DEP_2)
	v_add_f64 v[34:35], v[42:43], v[8:9]
	v_add_f64 v[36:37], v[44:45], v[10:11]
	ds_load_b128 v[8:11], v24 offset:1792
	s_waitcnt lgkmcnt(0)
	v_mul_f64 v[12:13], v[40:41], v[10:11]
	v_mul_f64 v[14:15], v[38:39], v[10:11]
	s_delay_alu instid0(VALU_DEP_2) | instskip(NEXT) | instid1(VALU_DEP_2)
	v_fma_f64 v[12:13], v[38:39], v[8:9], -v[12:13]
	v_fma_f64 v[14:15], v[40:41], v[8:9], v[14:15]
	s_delay_alu instid0(VALU_DEP_2) | instskip(NEXT) | instid1(VALU_DEP_2)
	v_add_f64 v[28:29], v[28:29], v[12:13]
	v_add_f64 v[26:27], v[26:27], v[14:15]
	ds_load_b128 v[12:15], v25 offset:2096
	s_waitcnt lgkmcnt(0)
	v_mul_f64 v[38:39], v[14:15], v[6:7]
	v_mul_f64 v[6:7], v[12:13], v[6:7]
	s_delay_alu instid0(VALU_DEP_2) | instskip(NEXT) | instid1(VALU_DEP_2)
	v_fma_f64 v[38:39], v[12:13], v[4:5], -v[38:39]
	v_fma_f64 v[4:5], v[14:15], v[4:5], v[6:7]
	v_mul_f64 v[6:7], v[12:13], v[10:11]
	s_delay_alu instid0(VALU_DEP_3) | instskip(NEXT) | instid1(VALU_DEP_3)
	v_add_f64 v[30:31], v[30:31], v[38:39]
	v_add_f64 v[32:33], v[32:33], v[4:5]
	v_mul_f64 v[4:5], v[14:15], v[10:11]
	s_delay_alu instid0(VALU_DEP_4) | instskip(NEXT) | instid1(VALU_DEP_2)
	v_fma_f64 v[6:7], v[14:15], v[8:9], v[6:7]
	v_fma_f64 v[4:5], v[12:13], v[8:9], -v[4:5]
	s_delay_alu instid0(VALU_DEP_2) | instskip(NEXT) | instid1(VALU_DEP_2)
	v_add_f64 v[18:19], v[18:19], v[6:7]
	v_add_f64 v[16:17], v[16:17], v[4:5]
	ds_load_b128 v[4:7], v25 offset:64
	ds_load_b128 v[8:11], v24 offset:2048
	s_waitcnt lgkmcnt(0)
	v_mul_f64 v[12:13], v[6:7], v[10:11]
	v_mul_f64 v[14:15], v[4:5], v[10:11]
	s_delay_alu instid0(VALU_DEP_2) | instskip(NEXT) | instid1(VALU_DEP_2)
	v_fma_f64 v[12:13], v[4:5], v[8:9], -v[12:13]
	v_fma_f64 v[14:15], v[6:7], v[8:9], v[14:15]
	s_delay_alu instid0(VALU_DEP_2) | instskip(NEXT) | instid1(VALU_DEP_2)
	v_add_f64 v[34:35], v[34:35], v[12:13]
	v_add_f64 v[36:37], v[36:37], v[14:15]
	ds_load_b128 v[12:15], v24 offset:2304
	s_waitcnt lgkmcnt(0)
	v_mul_f64 v[38:39], v[6:7], v[14:15]
	s_delay_alu instid0(VALU_DEP_1) | instskip(SKIP_1) | instid1(VALU_DEP_2)
	v_fma_f64 v[38:39], v[4:5], v[12:13], -v[38:39]
	v_mul_f64 v[4:5], v[4:5], v[14:15]
	v_add_f64 v[28:29], v[28:29], v[38:39]
	s_delay_alu instid0(VALU_DEP_2) | instskip(NEXT) | instid1(VALU_DEP_1)
	v_fma_f64 v[4:5], v[6:7], v[12:13], v[4:5]
	v_add_f64 v[26:27], v[26:27], v[4:5]
	ds_load_b128 v[4:7], v25 offset:2112
	s_waitcnt lgkmcnt(0)
	v_mul_f64 v[38:39], v[6:7], v[10:11]
	v_mul_f64 v[10:11], v[4:5], v[10:11]
	s_delay_alu instid0(VALU_DEP_2) | instskip(NEXT) | instid1(VALU_DEP_2)
	v_fma_f64 v[38:39], v[4:5], v[8:9], -v[38:39]
	v_fma_f64 v[8:9], v[6:7], v[8:9], v[10:11]
	s_delay_alu instid0(VALU_DEP_2) | instskip(NEXT) | instid1(VALU_DEP_2)
	v_add_f64 v[30:31], v[30:31], v[38:39]
	v_add_f64 v[32:33], v[32:33], v[8:9]
	v_mul_f64 v[8:9], v[6:7], v[14:15]
	s_delay_alu instid0(VALU_DEP_1) | instskip(SKIP_1) | instid1(VALU_DEP_2)
	v_fma_f64 v[8:9], v[4:5], v[12:13], -v[8:9]
	v_mul_f64 v[4:5], v[4:5], v[14:15]
	v_add_f64 v[16:17], v[16:17], v[8:9]
	s_delay_alu instid0(VALU_DEP_2) | instskip(NEXT) | instid1(VALU_DEP_1)
	v_fma_f64 v[4:5], v[6:7], v[12:13], v[4:5]
	v_add_f64 v[18:19], v[18:19], v[4:5]
	ds_load_b128 v[4:7], v25 offset:80
	ds_load_b128 v[8:11], v24 offset:2560
	s_waitcnt lgkmcnt(0)
	v_mul_f64 v[12:13], v[6:7], v[10:11]
	v_mul_f64 v[14:15], v[4:5], v[10:11]
	s_delay_alu instid0(VALU_DEP_2) | instskip(NEXT) | instid1(VALU_DEP_2)
	v_fma_f64 v[12:13], v[4:5], v[8:9], -v[12:13]
	v_fma_f64 v[14:15], v[6:7], v[8:9], v[14:15]
	s_delay_alu instid0(VALU_DEP_2) | instskip(NEXT) | instid1(VALU_DEP_2)
	v_add_f64 v[34:35], v[34:35], v[12:13]
	v_add_f64 v[36:37], v[36:37], v[14:15]
	ds_load_b128 v[12:15], v24 offset:2816
	s_waitcnt lgkmcnt(0)
	v_mul_f64 v[38:39], v[6:7], v[14:15]
	s_delay_alu instid0(VALU_DEP_1) | instskip(SKIP_1) | instid1(VALU_DEP_2)
	v_fma_f64 v[38:39], v[4:5], v[12:13], -v[38:39]
	v_mul_f64 v[4:5], v[4:5], v[14:15]
	v_add_f64 v[28:29], v[28:29], v[38:39]
	s_delay_alu instid0(VALU_DEP_2) | instskip(NEXT) | instid1(VALU_DEP_1)
	v_fma_f64 v[4:5], v[6:7], v[12:13], v[4:5]
	v_add_f64 v[26:27], v[26:27], v[4:5]
	ds_load_b128 v[4:7], v25 offset:2128
	s_waitcnt lgkmcnt(0)
	v_mul_f64 v[38:39], v[6:7], v[10:11]
	v_mul_f64 v[10:11], v[4:5], v[10:11]
	s_delay_alu instid0(VALU_DEP_2) | instskip(NEXT) | instid1(VALU_DEP_2)
	v_fma_f64 v[38:39], v[4:5], v[8:9], -v[38:39]
	v_fma_f64 v[8:9], v[6:7], v[8:9], v[10:11]
	s_delay_alu instid0(VALU_DEP_2) | instskip(NEXT) | instid1(VALU_DEP_2)
	v_add_f64 v[30:31], v[30:31], v[38:39]
	v_add_f64 v[32:33], v[32:33], v[8:9]
	v_mul_f64 v[8:9], v[6:7], v[14:15]
	s_delay_alu instid0(VALU_DEP_1) | instskip(SKIP_1) | instid1(VALU_DEP_2)
	v_fma_f64 v[8:9], v[4:5], v[12:13], -v[8:9]
	v_mul_f64 v[4:5], v[4:5], v[14:15]
	v_add_f64 v[16:17], v[16:17], v[8:9]
	s_delay_alu instid0(VALU_DEP_2) | instskip(NEXT) | instid1(VALU_DEP_1)
	v_fma_f64 v[4:5], v[6:7], v[12:13], v[4:5]
	;; [unrolled: 39-line block ×3, first 2 shown]
	v_add_f64 v[44:45], v[18:19], v[4:5]
	ds_load_b128 v[4:7], v25 offset:112
	ds_load_b128 v[12:15], v24 offset:3584
	;; [unrolled: 1-line block ×3, first 2 shown]
	s_waitcnt lgkmcnt(1)
	v_mul_f64 v[8:9], v[6:7], v[14:15]
	v_mul_f64 v[10:11], v[4:5], v[14:15]
	s_delay_alu instid0(VALU_DEP_2) | instskip(NEXT) | instid1(VALU_DEP_2)
	v_fma_f64 v[8:9], v[4:5], v[12:13], -v[8:9]
	v_fma_f64 v[10:11], v[6:7], v[12:13], v[10:11]
	s_delay_alu instid0(VALU_DEP_2) | instskip(SKIP_2) | instid1(VALU_DEP_3)
	v_add_f64 v[16:17], v[34:35], v[8:9]
	s_waitcnt lgkmcnt(0)
	v_mul_f64 v[8:9], v[6:7], v[28:29]
	v_add_f64 v[18:19], v[36:37], v[10:11]
	s_delay_alu instid0(VALU_DEP_2) | instskip(SKIP_1) | instid1(VALU_DEP_2)
	v_fma_f64 v[8:9], v[4:5], v[26:27], -v[8:9]
	v_mul_f64 v[4:5], v[4:5], v[28:29]
	v_add_f64 v[8:9], v[38:39], v[8:9]
	s_delay_alu instid0(VALU_DEP_2) | instskip(NEXT) | instid1(VALU_DEP_1)
	v_fma_f64 v[4:5], v[6:7], v[26:27], v[4:5]
	v_add_f64 v[10:11], v[40:41], v[4:5]
	ds_load_b128 v[4:7], v25 offset:2160
	s_waitcnt lgkmcnt(0)
	s_barrier
	buffer_gl0_inv
	v_mul_f64 v[34:35], v[6:7], v[14:15]
	v_mul_f64 v[14:15], v[4:5], v[14:15]
	s_delay_alu instid0(VALU_DEP_2) | instskip(NEXT) | instid1(VALU_DEP_2)
	v_fma_f64 v[34:35], v[4:5], v[12:13], -v[34:35]
	v_fma_f64 v[14:15], v[6:7], v[12:13], v[14:15]
	s_delay_alu instid0(VALU_DEP_2) | instskip(SKIP_1) | instid1(VALU_DEP_3)
	v_add_f64 v[12:13], v[30:31], v[34:35]
	v_mul_f64 v[30:31], v[6:7], v[28:29]
	v_add_f64 v[14:15], v[32:33], v[14:15]
	s_delay_alu instid0(VALU_DEP_2) | instskip(SKIP_1) | instid1(VALU_DEP_1)
	v_fma_f64 v[30:31], v[4:5], v[26:27], -v[30:31]
	v_mul_f64 v[4:5], v[4:5], v[28:29]
	v_fma_f64 v[4:5], v[6:7], v[26:27], v[4:5]
	s_delay_alu instid0(VALU_DEP_3) | instskip(NEXT) | instid1(VALU_DEP_2)
	v_add_f64 v[6:7], v[42:43], v[30:31]
	v_add_f64 v[4:5], v[44:45], v[4:5]
	s_cbranch_scc0 .LBB422_2
.LBB422_3:
	s_clause 0x1
	s_load_b32 s3, s[0:1], 0x60
	s_load_b64 s[0:1], s[0:1], 0x68
	v_add_nc_u32_e32 v21, s14, v21
	v_add_nc_u32_e32 v0, s26, v20
	s_delay_alu instid0(VALU_DEP_2)
	v_cmp_gt_i32_e32 vcc_lo, s2, v21
	s_waitcnt lgkmcnt(0)
	v_mad_i64_i32 v[1:2], null, v21, s3, 0
	s_mul_i32 s1, s15, s1
	s_mul_hi_u32 s4, s15, s0
	s_mul_i32 s0, s15, s0
	s_add_i32 s1, s4, s1
	s_delay_alu instid0(SALU_CYCLE_1) | instskip(NEXT) | instid1(VALU_DEP_1)
	s_lshl_b64 s[4:5], s[0:1], 4
	v_lshlrev_b64 v[1:2], 4, v[1:2]
	s_add_u32 s4, s10, s4
	v_cmp_le_i32_e64 s0, v0, v21
	s_addc_u32 s5, s11, s5
	s_delay_alu instid0(VALU_DEP_2) | instskip(NEXT) | instid1(VALU_DEP_1)
	v_add_co_u32 v20, s1, s4, v1
	v_add_co_ci_u32_e64 v22, s1, s5, v2, s1
	s_delay_alu instid0(VALU_DEP_3) | instskip(NEXT) | instid1(SALU_CYCLE_1)
	s_and_b32 s0, vcc_lo, s0
	s_and_saveexec_b32 s1, s0
	s_cbranch_execz .LBB422_5
; %bb.4:
	v_ashrrev_i32_e32 v1, 31, v0
	v_mul_f64 v[27:28], s[16:17], v[18:19]
	v_mul_f64 v[18:19], s[18:19], v[18:19]
	s_delay_alu instid0(VALU_DEP_3) | instskip(NEXT) | instid1(VALU_DEP_1)
	v_lshlrev_b64 v[1:2], 4, v[0:1]
	v_add_co_u32 v1, s0, v20, v1
	s_delay_alu instid0(VALU_DEP_1)
	v_add_co_ci_u32_e64 v2, s0, v22, v2, s0
	v_cmp_ne_u32_e64 s0, v21, v0
	global_load_b128 v[23:26], v[1:2], off
	v_fma_f64 v[27:28], s[18:19], v[16:17], v[27:28]
	v_fma_f64 v[16:17], s[16:17], v[16:17], -v[18:19]
	s_waitcnt vmcnt(0)
	v_mul_f64 v[29:30], s[6:7], v[25:26]
	v_mul_f64 v[25:26], s[8:9], v[25:26]
	s_delay_alu instid0(VALU_DEP_2) | instskip(NEXT) | instid1(VALU_DEP_2)
	v_fma_f64 v[29:30], s[8:9], v[23:24], v[29:30]
	v_fma_f64 v[18:19], s[6:7], v[23:24], -v[25:26]
	s_delay_alu instid0(VALU_DEP_2) | instskip(NEXT) | instid1(VALU_DEP_2)
	v_add_f64 v[23:24], v[27:28], v[29:30]
	v_add_f64 v[16:17], v[16:17], v[18:19]
	s_delay_alu instid0(VALU_DEP_2) | instskip(NEXT) | instid1(VALU_DEP_3)
	v_cndmask_b32_e64 v19, 0, v24, s0
	v_cndmask_b32_e64 v18, 0, v23, s0
	global_store_b128 v[1:2], v[16:19], off
.LBB422_5:
	s_or_b32 exec_lo, exec_lo, s1
	v_add_nc_u32_e32 v2, 16, v0
	s_delay_alu instid0(VALU_DEP_1) | instskip(NEXT) | instid1(VALU_DEP_1)
	v_cmp_le_i32_e64 s0, v2, v21
	s_and_b32 s1, vcc_lo, s0
	s_delay_alu instid0(SALU_CYCLE_1)
	s_and_saveexec_b32 s0, s1
	s_cbranch_execz .LBB422_7
; %bb.6:
	v_ashrrev_i32_e32 v3, 31, v2
	v_mul_f64 v[25:26], s[16:17], v[10:11]
	v_mul_f64 v[10:11], s[18:19], v[10:11]
	s_delay_alu instid0(VALU_DEP_3) | instskip(NEXT) | instid1(VALU_DEP_1)
	v_lshlrev_b64 v[16:17], 4, v[2:3]
	v_add_co_u32 v23, vcc_lo, v20, v16
	s_delay_alu instid0(VALU_DEP_2)
	v_add_co_ci_u32_e32 v24, vcc_lo, v22, v17, vcc_lo
	v_cmp_ne_u32_e32 vcc_lo, v21, v2
	global_load_b128 v[16:19], v[23:24], off
	v_fma_f64 v[25:26], s[18:19], v[8:9], v[25:26]
	v_fma_f64 v[8:9], s[16:17], v[8:9], -v[10:11]
	s_waitcnt vmcnt(0)
	v_mul_f64 v[27:28], s[6:7], v[18:19]
	v_mul_f64 v[18:19], s[8:9], v[18:19]
	s_delay_alu instid0(VALU_DEP_2) | instskip(NEXT) | instid1(VALU_DEP_2)
	v_fma_f64 v[27:28], s[8:9], v[16:17], v[27:28]
	v_fma_f64 v[10:11], s[6:7], v[16:17], -v[18:19]
	s_delay_alu instid0(VALU_DEP_2) | instskip(NEXT) | instid1(VALU_DEP_2)
	v_add_f64 v[16:17], v[25:26], v[27:28]
	v_add_f64 v[8:9], v[8:9], v[10:11]
	s_delay_alu instid0(VALU_DEP_2)
	v_dual_cndmask_b32 v11, 0, v17 :: v_dual_cndmask_b32 v10, 0, v16
	global_store_b128 v[23:24], v[8:11], off
.LBB422_7:
	s_or_b32 exec_lo, exec_lo, s0
	v_add_nc_u32_e32 v3, 16, v21
	s_delay_alu instid0(VALU_DEP_1) | instskip(SKIP_2) | instid1(VALU_DEP_1)
	v_mad_i64_i32 v[8:9], null, v3, s3, 0
	v_cmp_gt_i32_e32 vcc_lo, s2, v3
	v_cmp_le_i32_e64 s0, v0, v3
	s_and_b32 s0, vcc_lo, s0
	s_delay_alu instid0(VALU_DEP_3) | instskip(NEXT) | instid1(VALU_DEP_1)
	v_lshlrev_b64 v[8:9], 4, v[8:9]
	v_add_co_u32 v8, s1, s4, v8
	s_delay_alu instid0(VALU_DEP_1)
	v_add_co_ci_u32_e64 v9, s1, s5, v9, s1
	s_and_saveexec_b32 s1, s0
	s_cbranch_execz .LBB422_9
; %bb.8:
	v_ashrrev_i32_e32 v1, 31, v0
	s_delay_alu instid0(VALU_DEP_1) | instskip(NEXT) | instid1(VALU_DEP_1)
	v_lshlrev_b64 v[10:11], 4, v[0:1]
	v_add_co_u32 v22, s0, v8, v10
	s_delay_alu instid0(VALU_DEP_1)
	v_add_co_ci_u32_e64 v23, s0, v9, v11, s0
	v_mul_f64 v[10:11], s[16:17], v[14:15]
	v_mul_f64 v[14:15], s[18:19], v[14:15]
	v_cmp_ne_u32_e64 s0, v3, v0
	global_load_b128 v[16:19], v[22:23], off
	v_fma_f64 v[10:11], s[18:19], v[12:13], v[10:11]
	v_fma_f64 v[12:13], s[16:17], v[12:13], -v[14:15]
	s_waitcnt vmcnt(0)
	v_mul_f64 v[24:25], s[6:7], v[18:19]
	v_mul_f64 v[18:19], s[8:9], v[18:19]
	s_delay_alu instid0(VALU_DEP_2) | instskip(NEXT) | instid1(VALU_DEP_2)
	v_fma_f64 v[24:25], s[8:9], v[16:17], v[24:25]
	v_fma_f64 v[14:15], s[6:7], v[16:17], -v[18:19]
	s_delay_alu instid0(VALU_DEP_2) | instskip(NEXT) | instid1(VALU_DEP_2)
	v_add_f64 v[16:17], v[10:11], v[24:25]
	v_add_f64 v[10:11], v[12:13], v[14:15]
	s_delay_alu instid0(VALU_DEP_2) | instskip(NEXT) | instid1(VALU_DEP_3)
	v_cndmask_b32_e64 v13, 0, v17, s0
	v_cndmask_b32_e64 v12, 0, v16, s0
	global_store_b128 v[22:23], v[10:13], off
.LBB422_9:
	s_or_b32 exec_lo, exec_lo, s1
	v_cmp_le_i32_e64 s0, v2, v3
	s_delay_alu instid0(VALU_DEP_1) | instskip(NEXT) | instid1(SALU_CYCLE_1)
	s_and_b32 s0, vcc_lo, s0
	s_and_saveexec_b32 s1, s0
	s_cbranch_execz .LBB422_11
; %bb.10:
	v_ashrrev_i32_e32 v3, 31, v2
	s_delay_alu instid0(VALU_DEP_1) | instskip(NEXT) | instid1(VALU_DEP_1)
	v_lshlrev_b64 v[1:2], 4, v[2:3]
	v_add_co_u32 v12, vcc_lo, v8, v1
	s_delay_alu instid0(VALU_DEP_2)
	v_add_co_ci_u32_e32 v13, vcc_lo, v9, v2, vcc_lo
	v_mul_f64 v[1:2], s[16:17], v[4:5]
	v_mul_f64 v[3:4], s[18:19], v[4:5]
	v_cmp_ne_u32_e32 vcc_lo, v21, v0
	global_load_b128 v[8:11], v[12:13], off
	v_fma_f64 v[1:2], s[18:19], v[6:7], v[1:2]
	v_fma_f64 v[3:4], s[16:17], v[6:7], -v[3:4]
	s_waitcnt vmcnt(0)
	v_mul_f64 v[14:15], s[6:7], v[10:11]
	v_mul_f64 v[10:11], s[8:9], v[10:11]
	s_delay_alu instid0(VALU_DEP_2) | instskip(NEXT) | instid1(VALU_DEP_2)
	v_fma_f64 v[14:15], s[8:9], v[8:9], v[14:15]
	v_fma_f64 v[5:6], s[6:7], v[8:9], -v[10:11]
	s_delay_alu instid0(VALU_DEP_2) | instskip(NEXT) | instid1(VALU_DEP_2)
	v_add_f64 v[7:8], v[1:2], v[14:15]
	v_add_f64 v[1:2], v[3:4], v[5:6]
	s_delay_alu instid0(VALU_DEP_2)
	v_dual_cndmask_b32 v4, 0, v8 :: v_dual_cndmask_b32 v3, 0, v7
	global_store_b128 v[12:13], v[1:4], off
.LBB422_11:
	s_nop 0
	s_sendmsg sendmsg(MSG_DEALLOC_VGPRS)
	s_endpgm
	.section	.rodata,"a",@progbits
	.p2align	6, 0x0
	.amdhsa_kernel _ZL37rocblas_syrkx_herkx_restricted_kernelIi19rocblas_complex_numIdELi16ELi32ELi8ELb0ELb1ELc78ELc85EKS1_S1_EviT_T0_PT8_S3_lS6_S3_lS4_PT9_S3_li
		.amdhsa_group_segment_fixed_size 8192
		.amdhsa_private_segment_fixed_size 0
		.amdhsa_kernarg_size 116
		.amdhsa_user_sgpr_count 13
		.amdhsa_user_sgpr_dispatch_ptr 0
		.amdhsa_user_sgpr_queue_ptr 0
		.amdhsa_user_sgpr_kernarg_segment_ptr 1
		.amdhsa_user_sgpr_dispatch_id 0
		.amdhsa_user_sgpr_private_segment_size 0
		.amdhsa_wavefront_size32 1
		.amdhsa_uses_dynamic_stack 0
		.amdhsa_enable_private_segment 0
		.amdhsa_system_sgpr_workgroup_id_x 1
		.amdhsa_system_sgpr_workgroup_id_y 1
		.amdhsa_system_sgpr_workgroup_id_z 1
		.amdhsa_system_sgpr_workgroup_info 0
		.amdhsa_system_vgpr_workitem_id 1
		.amdhsa_next_free_vgpr 52
		.amdhsa_next_free_sgpr 31
		.amdhsa_reserve_vcc 1
		.amdhsa_float_round_mode_32 0
		.amdhsa_float_round_mode_16_64 0
		.amdhsa_float_denorm_mode_32 3
		.amdhsa_float_denorm_mode_16_64 3
		.amdhsa_dx10_clamp 1
		.amdhsa_ieee_mode 1
		.amdhsa_fp16_overflow 0
		.amdhsa_workgroup_processor_mode 1
		.amdhsa_memory_ordered 1
		.amdhsa_forward_progress 0
		.amdhsa_shared_vgpr_count 0
		.amdhsa_exception_fp_ieee_invalid_op 0
		.amdhsa_exception_fp_denorm_src 0
		.amdhsa_exception_fp_ieee_div_zero 0
		.amdhsa_exception_fp_ieee_overflow 0
		.amdhsa_exception_fp_ieee_underflow 0
		.amdhsa_exception_fp_ieee_inexact 0
		.amdhsa_exception_int_div_zero 0
	.end_amdhsa_kernel
	.section	.text._ZL37rocblas_syrkx_herkx_restricted_kernelIi19rocblas_complex_numIdELi16ELi32ELi8ELb0ELb1ELc78ELc85EKS1_S1_EviT_T0_PT8_S3_lS6_S3_lS4_PT9_S3_li,"axG",@progbits,_ZL37rocblas_syrkx_herkx_restricted_kernelIi19rocblas_complex_numIdELi16ELi32ELi8ELb0ELb1ELc78ELc85EKS1_S1_EviT_T0_PT8_S3_lS6_S3_lS4_PT9_S3_li,comdat
.Lfunc_end422:
	.size	_ZL37rocblas_syrkx_herkx_restricted_kernelIi19rocblas_complex_numIdELi16ELi32ELi8ELb0ELb1ELc78ELc85EKS1_S1_EviT_T0_PT8_S3_lS6_S3_lS4_PT9_S3_li, .Lfunc_end422-_ZL37rocblas_syrkx_herkx_restricted_kernelIi19rocblas_complex_numIdELi16ELi32ELi8ELb0ELb1ELc78ELc85EKS1_S1_EviT_T0_PT8_S3_lS6_S3_lS4_PT9_S3_li
                                        ; -- End function
	.section	.AMDGPU.csdata,"",@progbits
; Kernel info:
; codeLenInByte = 3704
; NumSgprs: 33
; NumVgprs: 52
; ScratchSize: 0
; MemoryBound: 0
; FloatMode: 240
; IeeeMode: 1
; LDSByteSize: 8192 bytes/workgroup (compile time only)
; SGPRBlocks: 4
; VGPRBlocks: 6
; NumSGPRsForWavesPerEU: 33
; NumVGPRsForWavesPerEU: 52
; Occupancy: 16
; WaveLimiterHint : 0
; COMPUTE_PGM_RSRC2:SCRATCH_EN: 0
; COMPUTE_PGM_RSRC2:USER_SGPR: 13
; COMPUTE_PGM_RSRC2:TRAP_HANDLER: 0
; COMPUTE_PGM_RSRC2:TGID_X_EN: 1
; COMPUTE_PGM_RSRC2:TGID_Y_EN: 1
; COMPUTE_PGM_RSRC2:TGID_Z_EN: 1
; COMPUTE_PGM_RSRC2:TIDIG_COMP_CNT: 1
	.section	.text._ZL41rocblas_syrkx_herkx_small_restrict_kernelIi19rocblas_complex_numIdELi16ELb1ELb1ELc84ELc76EKS1_S1_EviT_T0_PT6_S3_lS6_S3_lS4_PT7_S3_li,"axG",@progbits,_ZL41rocblas_syrkx_herkx_small_restrict_kernelIi19rocblas_complex_numIdELi16ELb1ELb1ELc84ELc76EKS1_S1_EviT_T0_PT6_S3_lS6_S3_lS4_PT7_S3_li,comdat
	.globl	_ZL41rocblas_syrkx_herkx_small_restrict_kernelIi19rocblas_complex_numIdELi16ELb1ELb1ELc84ELc76EKS1_S1_EviT_T0_PT6_S3_lS6_S3_lS4_PT7_S3_li ; -- Begin function _ZL41rocblas_syrkx_herkx_small_restrict_kernelIi19rocblas_complex_numIdELi16ELb1ELb1ELc84ELc76EKS1_S1_EviT_T0_PT6_S3_lS6_S3_lS4_PT7_S3_li
	.p2align	8
	.type	_ZL41rocblas_syrkx_herkx_small_restrict_kernelIi19rocblas_complex_numIdELi16ELb1ELb1ELc84ELc76EKS1_S1_EviT_T0_PT6_S3_lS6_S3_lS4_PT7_S3_li,@function
_ZL41rocblas_syrkx_herkx_small_restrict_kernelIi19rocblas_complex_numIdELi16ELb1ELb1ELc84ELc76EKS1_S1_EviT_T0_PT6_S3_lS6_S3_lS4_PT7_S3_li: ; @_ZL41rocblas_syrkx_herkx_small_restrict_kernelIi19rocblas_complex_numIdELi16ELb1ELb1ELc84ELc76EKS1_S1_EviT_T0_PT6_S3_lS6_S3_lS4_PT7_S3_li
; %bb.0:
	s_clause 0x2
	s_load_b32 s12, s[0:1], 0x4
	s_load_b128 s[4:7], s[0:1], 0x8
	s_load_b64 s[2:3], s[0:1], 0x18
	v_dual_mov_b32 v5, 0 :: v_dual_and_b32 v2, 0x3ff, v0
	v_bfe_u32 v1, v0, 10, 10
	v_mov_b32_e32 v6, 0
	s_delay_alu instid0(VALU_DEP_3) | instskip(SKIP_1) | instid1(VALU_DEP_3)
	v_lshl_add_u32 v0, s13, 4, v2
	s_mov_b32 s13, 0
	v_lshl_add_u32 v9, s14, 4, v1
	s_delay_alu instid0(VALU_DEP_3)
	v_dual_mov_b32 v8, v6 :: v_dual_mov_b32 v7, v5
	s_waitcnt lgkmcnt(0)
	s_cmp_lt_i32 s12, 1
	s_cbranch_scc1 .LBB423_3
; %bb.1:
	s_clause 0x3
	s_load_b32 s14, s[0:1], 0x38
	s_load_b64 s[16:17], s[0:1], 0x40
	s_load_b32 s18, s[0:1], 0x20
	s_load_b128 s[8:11], s[0:1], 0x28
	v_lshlrev_b32_e32 v3, 8, v1
	v_dual_mov_b32 v5, 0 :: v_dual_lshlrev_b32 v10, 4, v2
	v_dual_mov_b32 v6, 0 :: v_dual_lshlrev_b32 v7, 4, v1
	s_delay_alu instid0(VALU_DEP_3) | instskip(NEXT) | instid1(VALU_DEP_3)
	v_add_nc_u32_e32 v11, 0x1000, v3
	v_add_nc_u32_e32 v12, v10, v3
	s_waitcnt lgkmcnt(0)
	v_mad_i64_i32 v[1:2], null, s14, v9, 0
	v_mad_i64_i32 v[3:4], null, s18, v0, 0
	s_mul_i32 s14, s17, s15
	s_mul_hi_u32 s17, s16, s15
	s_mul_i32 s16, s16, s15
	s_add_i32 s17, s17, s14
	s_delay_alu instid0(VALU_DEP_2)
	v_lshlrev_b64 v[1:2], 4, v[1:2]
	s_mul_i32 s9, s9, s15
	s_mul_hi_u32 s18, s8, s15
	v_lshlrev_b64 v[3:4], 4, v[3:4]
	s_lshl_b64 s[16:17], s[16:17], 4
	s_mul_i32 s8, s8, s15
	s_add_i32 s9, s18, s9
	v_add_co_u32 v1, vcc_lo, v1, s16
	s_lshl_b64 s[8:9], s[8:9], 4
	v_add_co_ci_u32_e32 v2, vcc_lo, s17, v2, vcc_lo
	v_add_co_u32 v3, vcc_lo, v3, s8
	v_add_co_ci_u32_e32 v4, vcc_lo, s9, v4, vcc_lo
	v_add_co_u32 v1, vcc_lo, v1, v10
	s_delay_alu instid0(VALU_DEP_4) | instskip(NEXT) | instid1(VALU_DEP_4)
	v_add_co_ci_u32_e32 v2, vcc_lo, 0, v2, vcc_lo
	v_add_co_u32 v3, vcc_lo, v3, v7
	s_delay_alu instid0(VALU_DEP_4) | instskip(NEXT) | instid1(VALU_DEP_4)
	;; [unrolled: 3-line block ×3, first 2 shown]
	v_add_co_ci_u32_e32 v2, vcc_lo, s11, v2, vcc_lo
	v_add_co_u32 v3, vcc_lo, s2, v3
	v_dual_mov_b32 v8, v6 :: v_dual_mov_b32 v7, v5
	v_add_nc_u32_e32 v13, v11, v10
	v_add_co_ci_u32_e32 v4, vcc_lo, s3, v4, vcc_lo
.LBB423_2:                              ; =>This Inner Loop Header: Depth=1
	global_load_b128 v[14:17], v[3:4], off
	global_load_b128 v[18:21], v[1:2], off
	v_add_co_u32 v1, vcc_lo, 0x100, v1
	v_add_co_ci_u32_e32 v2, vcc_lo, 0, v2, vcc_lo
	v_add_co_u32 v3, vcc_lo, 0x100, v3
	v_add_co_ci_u32_e32 v4, vcc_lo, 0, v4, vcc_lo
	s_add_i32 s13, s13, 16
	s_waitcnt vmcnt(1)
	ds_store_2addr_b64 v12, v[14:15], v[16:17] offset1:1
	s_waitcnt vmcnt(0)
	ds_store_2addr_b64 v13, v[18:19], v[20:21] offset1:1
	s_waitcnt lgkmcnt(0)
	s_barrier
	buffer_gl0_inv
	ds_load_b128 v[14:17], v10
	ds_load_b128 v[18:21], v11
	ds_load_b128 v[22:25], v11 offset:16
	ds_load_b128 v[26:29], v10 offset:256
	s_cmp_lt_i32 s13, s12
	s_waitcnt lgkmcnt(2)
	v_mul_f64 v[30:31], v[20:21], v[16:17]
	v_mul_f64 v[16:17], v[18:19], v[16:17]
	s_waitcnt lgkmcnt(0)
	v_mul_f64 v[36:37], v[24:25], v[28:29]
	v_mul_f64 v[38:39], v[22:23], v[28:29]
	s_delay_alu instid0(VALU_DEP_4) | instskip(NEXT) | instid1(VALU_DEP_4)
	v_fma_f64 v[40:41], v[18:19], v[14:15], -v[30:31]
	v_fma_f64 v[42:43], v[20:21], v[14:15], v[16:17]
	ds_load_b128 v[14:17], v10 offset:512
	ds_load_b128 v[18:21], v11 offset:32
	;; [unrolled: 1-line block ×4, first 2 shown]
	v_fma_f64 v[22:23], v[22:23], v[26:27], -v[36:37]
	v_fma_f64 v[24:25], v[24:25], v[26:27], v[38:39]
	s_waitcnt lgkmcnt(2)
	v_mul_f64 v[44:45], v[20:21], v[16:17]
	v_mul_f64 v[16:17], v[18:19], v[16:17]
	s_waitcnt lgkmcnt(0)
	v_mul_f64 v[26:27], v[30:31], v[34:35]
	v_mul_f64 v[34:35], v[28:29], v[34:35]
	v_add_f64 v[7:8], v[7:8], v[40:41]
	v_add_f64 v[5:6], v[5:6], v[42:43]
	v_fma_f64 v[36:37], v[18:19], v[14:15], -v[44:45]
	v_fma_f64 v[38:39], v[20:21], v[14:15], v[16:17]
	v_fma_f64 v[26:27], v[28:29], v[32:33], -v[26:27]
	v_fma_f64 v[28:29], v[30:31], v[32:33], v[34:35]
	v_add_f64 v[40:41], v[7:8], v[22:23]
	v_add_f64 v[42:43], v[5:6], v[24:25]
	ds_load_b128 v[5:8], v10 offset:1024
	ds_load_b128 v[14:17], v11 offset:64
	ds_load_b128 v[18:21], v11 offset:80
	ds_load_b128 v[22:25], v10 offset:1280
	s_waitcnt lgkmcnt(2)
	v_mul_f64 v[44:45], v[16:17], v[7:8]
	v_mul_f64 v[7:8], v[14:15], v[7:8]
	s_waitcnt lgkmcnt(0)
	v_mul_f64 v[34:35], v[20:21], v[24:25]
	v_add_f64 v[30:31], v[40:41], v[36:37]
	v_add_f64 v[32:33], v[42:43], v[38:39]
	v_mul_f64 v[36:37], v[18:19], v[24:25]
	v_fma_f64 v[38:39], v[14:15], v[5:6], -v[44:45]
	v_fma_f64 v[40:41], v[16:17], v[5:6], v[7:8]
	v_fma_f64 v[18:19], v[18:19], v[22:23], -v[34:35]
	v_add_f64 v[42:43], v[30:31], v[26:27]
	v_add_f64 v[32:33], v[32:33], v[28:29]
	ds_load_b128 v[5:8], v10 offset:1536
	ds_load_b128 v[14:17], v11 offset:96
	ds_load_b128 v[24:27], v11 offset:112
	ds_load_b128 v[28:31], v10 offset:1792
	v_fma_f64 v[20:21], v[20:21], v[22:23], v[36:37]
	s_waitcnt lgkmcnt(2)
	v_mul_f64 v[44:45], v[16:17], v[7:8]
	v_mul_f64 v[7:8], v[14:15], v[7:8]
	s_waitcnt lgkmcnt(0)
	v_mul_f64 v[34:35], v[26:27], v[30:31]
	v_mul_f64 v[36:37], v[24:25], v[30:31]
	v_add_f64 v[22:23], v[42:43], v[38:39]
	v_add_f64 v[32:33], v[32:33], v[40:41]
	v_fma_f64 v[38:39], v[14:15], v[5:6], -v[44:45]
	v_fma_f64 v[40:41], v[16:17], v[5:6], v[7:8]
	v_fma_f64 v[24:25], v[24:25], v[28:29], -v[34:35]
	v_fma_f64 v[26:27], v[26:27], v[28:29], v[36:37]
	v_add_f64 v[22:23], v[22:23], v[18:19]
	v_add_f64 v[42:43], v[32:33], v[20:21]
	ds_load_b128 v[5:8], v10 offset:2048
	ds_load_b128 v[14:17], v11 offset:128
	;; [unrolled: 1-line block ×4, first 2 shown]
	s_waitcnt lgkmcnt(2)
	v_mul_f64 v[44:45], v[16:17], v[7:8]
	v_mul_f64 v[7:8], v[14:15], v[7:8]
	s_waitcnt lgkmcnt(0)
	v_mul_f64 v[34:35], v[20:21], v[32:33]
	v_mul_f64 v[32:33], v[18:19], v[32:33]
	v_add_f64 v[22:23], v[22:23], v[38:39]
	v_add_f64 v[28:29], v[42:43], v[40:41]
	v_fma_f64 v[36:37], v[14:15], v[5:6], -v[44:45]
	v_fma_f64 v[38:39], v[16:17], v[5:6], v[7:8]
	v_fma_f64 v[18:19], v[18:19], v[30:31], -v[34:35]
	v_fma_f64 v[20:21], v[20:21], v[30:31], v[32:33]
	v_add_f64 v[40:41], v[22:23], v[24:25]
	v_add_f64 v[42:43], v[28:29], v[26:27]
	ds_load_b128 v[5:8], v10 offset:2560
	ds_load_b128 v[14:17], v11 offset:160
	;; [unrolled: 1-line block ×4, first 2 shown]
	s_waitcnt lgkmcnt(2)
	v_mul_f64 v[44:45], v[16:17], v[7:8]
	v_mul_f64 v[7:8], v[14:15], v[7:8]
	s_waitcnt lgkmcnt(0)
	v_mul_f64 v[34:35], v[24:25], v[28:29]
	v_add_f64 v[30:31], v[40:41], v[36:37]
	v_add_f64 v[32:33], v[42:43], v[38:39]
	v_mul_f64 v[36:37], v[22:23], v[28:29]
	v_fma_f64 v[38:39], v[14:15], v[5:6], -v[44:45]
	v_fma_f64 v[40:41], v[16:17], v[5:6], v[7:8]
	v_fma_f64 v[22:23], v[22:23], v[26:27], -v[34:35]
	v_add_f64 v[42:43], v[30:31], v[18:19]
	v_add_f64 v[32:33], v[32:33], v[20:21]
	ds_load_b128 v[5:8], v10 offset:3072
	ds_load_b128 v[14:17], v11 offset:192
	;; [unrolled: 1-line block ×4, first 2 shown]
	v_fma_f64 v[24:25], v[24:25], v[26:27], v[36:37]
	s_waitcnt lgkmcnt(2)
	v_mul_f64 v[44:45], v[16:17], v[7:8]
	v_mul_f64 v[7:8], v[14:15], v[7:8]
	s_waitcnt lgkmcnt(0)
	v_mul_f64 v[34:35], v[20:21], v[30:31]
	v_mul_f64 v[36:37], v[18:19], v[30:31]
	v_add_f64 v[26:27], v[42:43], v[38:39]
	v_add_f64 v[32:33], v[32:33], v[40:41]
	v_fma_f64 v[38:39], v[14:15], v[5:6], -v[44:45]
	v_fma_f64 v[40:41], v[16:17], v[5:6], v[7:8]
	v_fma_f64 v[18:19], v[18:19], v[28:29], -v[34:35]
	v_fma_f64 v[20:21], v[20:21], v[28:29], v[36:37]
	v_add_f64 v[26:27], v[26:27], v[22:23]
	v_add_f64 v[42:43], v[32:33], v[24:25]
	ds_load_b128 v[5:8], v10 offset:3584
	ds_load_b128 v[14:17], v11 offset:224
	;; [unrolled: 1-line block ×4, first 2 shown]
	s_waitcnt lgkmcnt(0)
	s_barrier
	buffer_gl0_inv
	v_mul_f64 v[44:45], v[16:17], v[7:8]
	v_mul_f64 v[7:8], v[14:15], v[7:8]
	;; [unrolled: 1-line block ×4, first 2 shown]
	v_add_f64 v[26:27], v[26:27], v[38:39]
	v_add_f64 v[28:29], v[42:43], v[40:41]
	v_fma_f64 v[14:15], v[14:15], v[5:6], -v[44:45]
	v_fma_f64 v[5:6], v[16:17], v[5:6], v[7:8]
	s_delay_alu instid0(VALU_DEP_4) | instskip(NEXT) | instid1(VALU_DEP_4)
	v_add_f64 v[7:8], v[26:27], v[18:19]
	v_add_f64 v[16:17], v[28:29], v[20:21]
	v_fma_f64 v[18:19], v[22:23], v[30:31], -v[34:35]
	v_fma_f64 v[20:21], v[24:25], v[30:31], v[32:33]
	s_delay_alu instid0(VALU_DEP_4) | instskip(NEXT) | instid1(VALU_DEP_4)
	v_add_f64 v[7:8], v[7:8], v[14:15]
	v_add_f64 v[5:6], v[16:17], v[5:6]
	s_delay_alu instid0(VALU_DEP_2) | instskip(NEXT) | instid1(VALU_DEP_2)
	v_add_f64 v[7:8], v[7:8], v[18:19]
	v_add_f64 v[5:6], v[5:6], v[20:21]
	s_cbranch_scc1 .LBB423_2
.LBB423_3:
	s_mov_b32 s2, exec_lo
	v_cmpx_le_i32_e64 v9, v0
	s_cbranch_execz .LBB423_5
; %bb.4:
	s_delay_alu instid0(VALU_DEP_2)
	v_mul_f64 v[1:2], s[4:5], v[5:6]
	v_mul_f64 v[3:4], s[6:7], v[5:6]
	s_clause 0x2
	s_load_b32 s8, s[0:1], 0x60
	s_load_b64 s[2:3], s[0:1], 0x68
	s_load_b64 s[0:1], s[0:1], 0x58
	s_waitcnt lgkmcnt(0)
	s_mul_i32 s3, s15, s3
	s_delay_alu instid0(VALU_DEP_2) | instskip(NEXT) | instid1(VALU_DEP_2)
	v_fma_f64 v[10:11], s[6:7], v[7:8], v[1:2]
	v_fma_f64 v[2:3], s[4:5], v[7:8], -v[3:4]
	v_mad_i64_i32 v[4:5], null, s8, v9, 0
	s_mul_hi_u32 s4, s15, s2
	s_mul_i32 s2, s15, s2
	s_add_i32 s3, s4, s3
	v_ashrrev_i32_e32 v1, 31, v0
	s_lshl_b64 s[2:3], s[2:3], 4
	s_delay_alu instid0(VALU_DEP_2) | instskip(SKIP_1) | instid1(VALU_DEP_2)
	v_lshlrev_b64 v[4:5], 4, v[4:5]
	s_add_u32 s0, s0, s2
	v_lshlrev_b64 v[6:7], 4, v[0:1]
	s_addc_u32 s1, s1, s3
	s_delay_alu instid0(VALU_DEP_2) | instskip(NEXT) | instid1(VALU_DEP_3)
	v_add_co_u32 v1, vcc_lo, s0, v4
	v_add_co_ci_u32_e32 v4, vcc_lo, s1, v5, vcc_lo
	v_cmp_ne_u32_e32 vcc_lo, v0, v9
	s_delay_alu instid0(VALU_DEP_3) | instskip(NEXT) | instid1(VALU_DEP_1)
	v_add_co_u32 v0, s0, v1, v6
	v_add_co_ci_u32_e64 v1, s0, v4, v7, s0
	v_dual_cndmask_b32 v5, 0, v11 :: v_dual_cndmask_b32 v4, 0, v10
	global_store_b128 v[0:1], v[2:5], off
.LBB423_5:
	s_nop 0
	s_sendmsg sendmsg(MSG_DEALLOC_VGPRS)
	s_endpgm
	.section	.rodata,"a",@progbits
	.p2align	6, 0x0
	.amdhsa_kernel _ZL41rocblas_syrkx_herkx_small_restrict_kernelIi19rocblas_complex_numIdELi16ELb1ELb1ELc84ELc76EKS1_S1_EviT_T0_PT6_S3_lS6_S3_lS4_PT7_S3_li
		.amdhsa_group_segment_fixed_size 8192
		.amdhsa_private_segment_fixed_size 0
		.amdhsa_kernarg_size 116
		.amdhsa_user_sgpr_count 13
		.amdhsa_user_sgpr_dispatch_ptr 0
		.amdhsa_user_sgpr_queue_ptr 0
		.amdhsa_user_sgpr_kernarg_segment_ptr 1
		.amdhsa_user_sgpr_dispatch_id 0
		.amdhsa_user_sgpr_private_segment_size 0
		.amdhsa_wavefront_size32 1
		.amdhsa_uses_dynamic_stack 0
		.amdhsa_enable_private_segment 0
		.amdhsa_system_sgpr_workgroup_id_x 1
		.amdhsa_system_sgpr_workgroup_id_y 1
		.amdhsa_system_sgpr_workgroup_id_z 1
		.amdhsa_system_sgpr_workgroup_info 0
		.amdhsa_system_vgpr_workitem_id 1
		.amdhsa_next_free_vgpr 46
		.amdhsa_next_free_sgpr 19
		.amdhsa_reserve_vcc 1
		.amdhsa_float_round_mode_32 0
		.amdhsa_float_round_mode_16_64 0
		.amdhsa_float_denorm_mode_32 3
		.amdhsa_float_denorm_mode_16_64 3
		.amdhsa_dx10_clamp 1
		.amdhsa_ieee_mode 1
		.amdhsa_fp16_overflow 0
		.amdhsa_workgroup_processor_mode 1
		.amdhsa_memory_ordered 1
		.amdhsa_forward_progress 0
		.amdhsa_shared_vgpr_count 0
		.amdhsa_exception_fp_ieee_invalid_op 0
		.amdhsa_exception_fp_denorm_src 0
		.amdhsa_exception_fp_ieee_div_zero 0
		.amdhsa_exception_fp_ieee_overflow 0
		.amdhsa_exception_fp_ieee_underflow 0
		.amdhsa_exception_fp_ieee_inexact 0
		.amdhsa_exception_int_div_zero 0
	.end_amdhsa_kernel
	.section	.text._ZL41rocblas_syrkx_herkx_small_restrict_kernelIi19rocblas_complex_numIdELi16ELb1ELb1ELc84ELc76EKS1_S1_EviT_T0_PT6_S3_lS6_S3_lS4_PT7_S3_li,"axG",@progbits,_ZL41rocblas_syrkx_herkx_small_restrict_kernelIi19rocblas_complex_numIdELi16ELb1ELb1ELc84ELc76EKS1_S1_EviT_T0_PT6_S3_lS6_S3_lS4_PT7_S3_li,comdat
.Lfunc_end423:
	.size	_ZL41rocblas_syrkx_herkx_small_restrict_kernelIi19rocblas_complex_numIdELi16ELb1ELb1ELc84ELc76EKS1_S1_EviT_T0_PT6_S3_lS6_S3_lS4_PT7_S3_li, .Lfunc_end423-_ZL41rocblas_syrkx_herkx_small_restrict_kernelIi19rocblas_complex_numIdELi16ELb1ELb1ELc84ELc76EKS1_S1_EviT_T0_PT6_S3_lS6_S3_lS4_PT7_S3_li
                                        ; -- End function
	.section	.AMDGPU.csdata,"",@progbits
; Kernel info:
; codeLenInByte = 1776
; NumSgprs: 21
; NumVgprs: 46
; ScratchSize: 0
; MemoryBound: 0
; FloatMode: 240
; IeeeMode: 1
; LDSByteSize: 8192 bytes/workgroup (compile time only)
; SGPRBlocks: 2
; VGPRBlocks: 5
; NumSGPRsForWavesPerEU: 21
; NumVGPRsForWavesPerEU: 46
; Occupancy: 16
; WaveLimiterHint : 0
; COMPUTE_PGM_RSRC2:SCRATCH_EN: 0
; COMPUTE_PGM_RSRC2:USER_SGPR: 13
; COMPUTE_PGM_RSRC2:TRAP_HANDLER: 0
; COMPUTE_PGM_RSRC2:TGID_X_EN: 1
; COMPUTE_PGM_RSRC2:TGID_Y_EN: 1
; COMPUTE_PGM_RSRC2:TGID_Z_EN: 1
; COMPUTE_PGM_RSRC2:TIDIG_COMP_CNT: 1
	.section	.text._ZL41rocblas_syrkx_herkx_small_restrict_kernelIi19rocblas_complex_numIdELi16ELb1ELb1ELc67ELc76EKS1_S1_EviT_T0_PT6_S3_lS6_S3_lS4_PT7_S3_li,"axG",@progbits,_ZL41rocblas_syrkx_herkx_small_restrict_kernelIi19rocblas_complex_numIdELi16ELb1ELb1ELc67ELc76EKS1_S1_EviT_T0_PT6_S3_lS6_S3_lS4_PT7_S3_li,comdat
	.globl	_ZL41rocblas_syrkx_herkx_small_restrict_kernelIi19rocblas_complex_numIdELi16ELb1ELb1ELc67ELc76EKS1_S1_EviT_T0_PT6_S3_lS6_S3_lS4_PT7_S3_li ; -- Begin function _ZL41rocblas_syrkx_herkx_small_restrict_kernelIi19rocblas_complex_numIdELi16ELb1ELb1ELc67ELc76EKS1_S1_EviT_T0_PT6_S3_lS6_S3_lS4_PT7_S3_li
	.p2align	8
	.type	_ZL41rocblas_syrkx_herkx_small_restrict_kernelIi19rocblas_complex_numIdELi16ELb1ELb1ELc67ELc76EKS1_S1_EviT_T0_PT6_S3_lS6_S3_lS4_PT7_S3_li,@function
_ZL41rocblas_syrkx_herkx_small_restrict_kernelIi19rocblas_complex_numIdELi16ELb1ELb1ELc67ELc76EKS1_S1_EviT_T0_PT6_S3_lS6_S3_lS4_PT7_S3_li: ; @_ZL41rocblas_syrkx_herkx_small_restrict_kernelIi19rocblas_complex_numIdELi16ELb1ELb1ELc67ELc76EKS1_S1_EviT_T0_PT6_S3_lS6_S3_lS4_PT7_S3_li
; %bb.0:
	s_clause 0x2
	s_load_b32 s12, s[0:1], 0x4
	s_load_b128 s[4:7], s[0:1], 0x8
	s_load_b64 s[2:3], s[0:1], 0x18
	v_dual_mov_b32 v5, 0 :: v_dual_and_b32 v2, 0x3ff, v0
	v_bfe_u32 v1, v0, 10, 10
	v_mov_b32_e32 v6, 0
	s_delay_alu instid0(VALU_DEP_3) | instskip(SKIP_1) | instid1(VALU_DEP_3)
	v_lshl_add_u32 v0, s13, 4, v2
	s_mov_b32 s13, 0
	v_lshl_add_u32 v9, s14, 4, v1
	s_delay_alu instid0(VALU_DEP_3)
	v_dual_mov_b32 v8, v6 :: v_dual_mov_b32 v7, v5
	s_waitcnt lgkmcnt(0)
	s_cmp_lt_i32 s12, 1
	s_cbranch_scc1 .LBB424_3
; %bb.1:
	s_clause 0x3
	s_load_b32 s14, s[0:1], 0x38
	s_load_b32 s18, s[0:1], 0x20
	s_load_b64 s[16:17], s[0:1], 0x40
	s_load_b128 s[8:11], s[0:1], 0x28
	v_lshlrev_b32_e32 v3, 8, v1
	v_lshlrev_b32_e32 v10, 4, v2
	;; [unrolled: 1-line block ×3, first 2 shown]
	s_delay_alu instid0(VALU_DEP_3) | instskip(NEXT) | instid1(VALU_DEP_3)
	v_add_nc_u32_e32 v11, 0x1000, v3
	v_add_nc_u32_e32 v12, v10, v3
	s_waitcnt lgkmcnt(0)
	v_mad_i64_i32 v[1:2], null, s14, v9, 0
	v_mad_i64_i32 v[3:4], null, s18, v0, 0
	s_mul_i32 s9, s9, s15
	s_mul_hi_u32 s18, s8, s15
	s_mul_i32 s8, s8, s15
	s_add_i32 s9, s18, s9
	s_mul_i32 s14, s17, s15
	s_mul_hi_u32 s17, s16, s15
	s_delay_alu instid0(VALU_DEP_1) | instskip(SKIP_4) | instid1(VALU_DEP_2)
	v_lshlrev_b64 v[3:4], 4, v[3:4]
	v_lshlrev_b64 v[1:2], 4, v[1:2]
	s_lshl_b64 s[8:9], s[8:9], 4
	s_mul_i32 s16, s16, s15
	s_add_i32 s17, s17, s14
	v_add_co_u32 v3, vcc_lo, v3, s8
	s_lshl_b64 s[16:17], s[16:17], 4
	v_add_co_ci_u32_e32 v4, vcc_lo, s9, v4, vcc_lo
	v_add_co_u32 v1, vcc_lo, v1, s16
	v_add_co_ci_u32_e32 v2, vcc_lo, s17, v2, vcc_lo
	v_add_co_u32 v3, vcc_lo, v3, v5
	s_delay_alu instid0(VALU_DEP_4)
	v_add_co_ci_u32_e32 v4, vcc_lo, 0, v4, vcc_lo
	v_mov_b32_e32 v5, 0
	v_add_co_u32 v1, vcc_lo, v1, v10
	v_add_co_ci_u32_e32 v2, vcc_lo, 0, v2, vcc_lo
	v_add_co_u32 v3, vcc_lo, v3, s2
	v_add_co_ci_u32_e32 v4, vcc_lo, s3, v4, vcc_lo
	v_mov_b32_e32 v6, 0
	v_add_co_u32 v1, vcc_lo, s10, v1
	v_add_co_ci_u32_e32 v2, vcc_lo, s11, v2, vcc_lo
	v_add_co_u32 v3, vcc_lo, v3, 8
	s_delay_alu instid0(VALU_DEP_4)
	v_dual_mov_b32 v8, v6 :: v_dual_mov_b32 v7, v5
	v_add_nc_u32_e32 v13, v11, v10
	v_add_co_ci_u32_e32 v4, vcc_lo, 0, v4, vcc_lo
.LBB424_2:                              ; =>This Inner Loop Header: Depth=1
	global_load_b128 v[14:17], v[3:4], off offset:-8
	global_load_b128 v[18:21], v[1:2], off
	v_add_co_u32 v1, vcc_lo, 0x100, v1
	v_add_co_ci_u32_e32 v2, vcc_lo, 0, v2, vcc_lo
	v_add_co_u32 v3, vcc_lo, 0x100, v3
	v_add_co_ci_u32_e32 v4, vcc_lo, 0, v4, vcc_lo
	s_add_i32 s13, s13, 16
	s_delay_alu instid0(SALU_CYCLE_1)
	s_cmp_lt_i32 s13, s12
	s_waitcnt vmcnt(1)
	v_xor_b32_e32 v17, 0x80000000, v17
	ds_store_b128 v12, v[14:17]
	s_waitcnt vmcnt(0)
	ds_store_2addr_b64 v13, v[18:19], v[20:21] offset1:1
	s_waitcnt lgkmcnt(0)
	s_barrier
	buffer_gl0_inv
	ds_load_b128 v[14:17], v10
	ds_load_b128 v[18:21], v11
	ds_load_b128 v[22:25], v11 offset:16
	ds_load_b128 v[26:29], v10 offset:256
	s_waitcnt lgkmcnt(2)
	v_mul_f64 v[30:31], v[20:21], v[16:17]
	v_mul_f64 v[16:17], v[18:19], v[16:17]
	s_waitcnt lgkmcnt(0)
	v_mul_f64 v[36:37], v[24:25], v[28:29]
	v_mul_f64 v[38:39], v[22:23], v[28:29]
	s_delay_alu instid0(VALU_DEP_4) | instskip(NEXT) | instid1(VALU_DEP_4)
	v_fma_f64 v[40:41], v[18:19], v[14:15], -v[30:31]
	v_fma_f64 v[42:43], v[20:21], v[14:15], v[16:17]
	ds_load_b128 v[14:17], v10 offset:512
	ds_load_b128 v[18:21], v11 offset:32
	;; [unrolled: 1-line block ×4, first 2 shown]
	v_fma_f64 v[22:23], v[22:23], v[26:27], -v[36:37]
	v_fma_f64 v[24:25], v[24:25], v[26:27], v[38:39]
	s_waitcnt lgkmcnt(2)
	v_mul_f64 v[44:45], v[20:21], v[16:17]
	v_mul_f64 v[16:17], v[18:19], v[16:17]
	s_waitcnt lgkmcnt(0)
	v_mul_f64 v[26:27], v[30:31], v[34:35]
	v_mul_f64 v[34:35], v[28:29], v[34:35]
	v_add_f64 v[7:8], v[7:8], v[40:41]
	v_add_f64 v[5:6], v[5:6], v[42:43]
	v_fma_f64 v[36:37], v[18:19], v[14:15], -v[44:45]
	v_fma_f64 v[38:39], v[20:21], v[14:15], v[16:17]
	v_fma_f64 v[26:27], v[28:29], v[32:33], -v[26:27]
	v_fma_f64 v[28:29], v[30:31], v[32:33], v[34:35]
	v_add_f64 v[40:41], v[7:8], v[22:23]
	v_add_f64 v[42:43], v[5:6], v[24:25]
	ds_load_b128 v[5:8], v10 offset:1024
	ds_load_b128 v[14:17], v11 offset:64
	;; [unrolled: 1-line block ×4, first 2 shown]
	s_waitcnt lgkmcnt(2)
	v_mul_f64 v[44:45], v[16:17], v[7:8]
	v_mul_f64 v[7:8], v[14:15], v[7:8]
	s_waitcnt lgkmcnt(0)
	v_mul_f64 v[34:35], v[20:21], v[24:25]
	v_add_f64 v[30:31], v[40:41], v[36:37]
	v_add_f64 v[32:33], v[42:43], v[38:39]
	v_mul_f64 v[36:37], v[18:19], v[24:25]
	v_fma_f64 v[38:39], v[14:15], v[5:6], -v[44:45]
	v_fma_f64 v[40:41], v[16:17], v[5:6], v[7:8]
	v_fma_f64 v[18:19], v[18:19], v[22:23], -v[34:35]
	v_add_f64 v[42:43], v[30:31], v[26:27]
	v_add_f64 v[32:33], v[32:33], v[28:29]
	ds_load_b128 v[5:8], v10 offset:1536
	ds_load_b128 v[14:17], v11 offset:96
	;; [unrolled: 1-line block ×4, first 2 shown]
	v_fma_f64 v[20:21], v[20:21], v[22:23], v[36:37]
	s_waitcnt lgkmcnt(2)
	v_mul_f64 v[44:45], v[16:17], v[7:8]
	v_mul_f64 v[7:8], v[14:15], v[7:8]
	s_waitcnt lgkmcnt(0)
	v_mul_f64 v[34:35], v[26:27], v[30:31]
	v_mul_f64 v[36:37], v[24:25], v[30:31]
	v_add_f64 v[22:23], v[42:43], v[38:39]
	v_add_f64 v[32:33], v[32:33], v[40:41]
	v_fma_f64 v[38:39], v[14:15], v[5:6], -v[44:45]
	v_fma_f64 v[40:41], v[16:17], v[5:6], v[7:8]
	v_fma_f64 v[24:25], v[24:25], v[28:29], -v[34:35]
	v_fma_f64 v[26:27], v[26:27], v[28:29], v[36:37]
	v_add_f64 v[22:23], v[22:23], v[18:19]
	v_add_f64 v[42:43], v[32:33], v[20:21]
	ds_load_b128 v[5:8], v10 offset:2048
	ds_load_b128 v[14:17], v11 offset:128
	;; [unrolled: 1-line block ×4, first 2 shown]
	s_waitcnt lgkmcnt(2)
	v_mul_f64 v[44:45], v[16:17], v[7:8]
	v_mul_f64 v[7:8], v[14:15], v[7:8]
	s_waitcnt lgkmcnt(0)
	v_mul_f64 v[34:35], v[20:21], v[32:33]
	v_mul_f64 v[32:33], v[18:19], v[32:33]
	v_add_f64 v[22:23], v[22:23], v[38:39]
	v_add_f64 v[28:29], v[42:43], v[40:41]
	v_fma_f64 v[36:37], v[14:15], v[5:6], -v[44:45]
	v_fma_f64 v[38:39], v[16:17], v[5:6], v[7:8]
	v_fma_f64 v[18:19], v[18:19], v[30:31], -v[34:35]
	v_fma_f64 v[20:21], v[20:21], v[30:31], v[32:33]
	v_add_f64 v[40:41], v[22:23], v[24:25]
	v_add_f64 v[42:43], v[28:29], v[26:27]
	ds_load_b128 v[5:8], v10 offset:2560
	ds_load_b128 v[14:17], v11 offset:160
	;; [unrolled: 1-line block ×4, first 2 shown]
	s_waitcnt lgkmcnt(2)
	v_mul_f64 v[44:45], v[16:17], v[7:8]
	v_mul_f64 v[7:8], v[14:15], v[7:8]
	s_waitcnt lgkmcnt(0)
	v_mul_f64 v[34:35], v[24:25], v[28:29]
	v_add_f64 v[30:31], v[40:41], v[36:37]
	v_add_f64 v[32:33], v[42:43], v[38:39]
	v_mul_f64 v[36:37], v[22:23], v[28:29]
	v_fma_f64 v[38:39], v[14:15], v[5:6], -v[44:45]
	v_fma_f64 v[40:41], v[16:17], v[5:6], v[7:8]
	v_fma_f64 v[22:23], v[22:23], v[26:27], -v[34:35]
	v_add_f64 v[42:43], v[30:31], v[18:19]
	v_add_f64 v[32:33], v[32:33], v[20:21]
	ds_load_b128 v[5:8], v10 offset:3072
	ds_load_b128 v[14:17], v11 offset:192
	;; [unrolled: 1-line block ×4, first 2 shown]
	v_fma_f64 v[24:25], v[24:25], v[26:27], v[36:37]
	s_waitcnt lgkmcnt(2)
	v_mul_f64 v[44:45], v[16:17], v[7:8]
	v_mul_f64 v[7:8], v[14:15], v[7:8]
	s_waitcnt lgkmcnt(0)
	v_mul_f64 v[34:35], v[20:21], v[30:31]
	v_mul_f64 v[36:37], v[18:19], v[30:31]
	v_add_f64 v[26:27], v[42:43], v[38:39]
	v_add_f64 v[32:33], v[32:33], v[40:41]
	v_fma_f64 v[38:39], v[14:15], v[5:6], -v[44:45]
	v_fma_f64 v[40:41], v[16:17], v[5:6], v[7:8]
	v_fma_f64 v[18:19], v[18:19], v[28:29], -v[34:35]
	v_fma_f64 v[20:21], v[20:21], v[28:29], v[36:37]
	v_add_f64 v[26:27], v[26:27], v[22:23]
	v_add_f64 v[42:43], v[32:33], v[24:25]
	ds_load_b128 v[5:8], v10 offset:3584
	ds_load_b128 v[14:17], v11 offset:224
	;; [unrolled: 1-line block ×4, first 2 shown]
	s_waitcnt lgkmcnt(0)
	s_barrier
	buffer_gl0_inv
	v_mul_f64 v[44:45], v[16:17], v[7:8]
	v_mul_f64 v[7:8], v[14:15], v[7:8]
	;; [unrolled: 1-line block ×4, first 2 shown]
	v_add_f64 v[26:27], v[26:27], v[38:39]
	v_add_f64 v[28:29], v[42:43], v[40:41]
	v_fma_f64 v[14:15], v[14:15], v[5:6], -v[44:45]
	v_fma_f64 v[5:6], v[16:17], v[5:6], v[7:8]
	s_delay_alu instid0(VALU_DEP_4) | instskip(NEXT) | instid1(VALU_DEP_4)
	v_add_f64 v[7:8], v[26:27], v[18:19]
	v_add_f64 v[16:17], v[28:29], v[20:21]
	v_fma_f64 v[18:19], v[22:23], v[30:31], -v[34:35]
	v_fma_f64 v[20:21], v[24:25], v[30:31], v[32:33]
	s_delay_alu instid0(VALU_DEP_4) | instskip(NEXT) | instid1(VALU_DEP_4)
	v_add_f64 v[7:8], v[7:8], v[14:15]
	v_add_f64 v[5:6], v[16:17], v[5:6]
	s_delay_alu instid0(VALU_DEP_2) | instskip(NEXT) | instid1(VALU_DEP_2)
	v_add_f64 v[7:8], v[7:8], v[18:19]
	v_add_f64 v[5:6], v[5:6], v[20:21]
	s_cbranch_scc1 .LBB424_2
.LBB424_3:
	s_mov_b32 s2, exec_lo
	v_cmpx_le_i32_e64 v9, v0
	s_cbranch_execz .LBB424_5
; %bb.4:
	s_delay_alu instid0(VALU_DEP_2)
	v_mul_f64 v[1:2], s[4:5], v[5:6]
	v_mul_f64 v[3:4], s[6:7], v[5:6]
	s_clause 0x2
	s_load_b32 s8, s[0:1], 0x60
	s_load_b64 s[2:3], s[0:1], 0x68
	s_load_b64 s[0:1], s[0:1], 0x58
	s_waitcnt lgkmcnt(0)
	s_mul_i32 s3, s15, s3
	s_delay_alu instid0(VALU_DEP_2) | instskip(NEXT) | instid1(VALU_DEP_2)
	v_fma_f64 v[10:11], s[6:7], v[7:8], v[1:2]
	v_fma_f64 v[2:3], s[4:5], v[7:8], -v[3:4]
	v_mad_i64_i32 v[4:5], null, s8, v9, 0
	s_mul_hi_u32 s4, s15, s2
	s_mul_i32 s2, s15, s2
	s_add_i32 s3, s4, s3
	v_ashrrev_i32_e32 v1, 31, v0
	s_lshl_b64 s[2:3], s[2:3], 4
	s_delay_alu instid0(VALU_DEP_2) | instskip(SKIP_1) | instid1(VALU_DEP_2)
	v_lshlrev_b64 v[4:5], 4, v[4:5]
	s_add_u32 s0, s0, s2
	v_lshlrev_b64 v[6:7], 4, v[0:1]
	s_addc_u32 s1, s1, s3
	s_delay_alu instid0(VALU_DEP_2) | instskip(NEXT) | instid1(VALU_DEP_3)
	v_add_co_u32 v1, vcc_lo, s0, v4
	v_add_co_ci_u32_e32 v4, vcc_lo, s1, v5, vcc_lo
	v_cmp_ne_u32_e32 vcc_lo, v0, v9
	s_delay_alu instid0(VALU_DEP_3) | instskip(NEXT) | instid1(VALU_DEP_1)
	v_add_co_u32 v0, s0, v1, v6
	v_add_co_ci_u32_e64 v1, s0, v4, v7, s0
	v_dual_cndmask_b32 v5, 0, v11 :: v_dual_cndmask_b32 v4, 0, v10
	global_store_b128 v[0:1], v[2:5], off
.LBB424_5:
	s_nop 0
	s_sendmsg sendmsg(MSG_DEALLOC_VGPRS)
	s_endpgm
	.section	.rodata,"a",@progbits
	.p2align	6, 0x0
	.amdhsa_kernel _ZL41rocblas_syrkx_herkx_small_restrict_kernelIi19rocblas_complex_numIdELi16ELb1ELb1ELc67ELc76EKS1_S1_EviT_T0_PT6_S3_lS6_S3_lS4_PT7_S3_li
		.amdhsa_group_segment_fixed_size 8192
		.amdhsa_private_segment_fixed_size 0
		.amdhsa_kernarg_size 116
		.amdhsa_user_sgpr_count 13
		.amdhsa_user_sgpr_dispatch_ptr 0
		.amdhsa_user_sgpr_queue_ptr 0
		.amdhsa_user_sgpr_kernarg_segment_ptr 1
		.amdhsa_user_sgpr_dispatch_id 0
		.amdhsa_user_sgpr_private_segment_size 0
		.amdhsa_wavefront_size32 1
		.amdhsa_uses_dynamic_stack 0
		.amdhsa_enable_private_segment 0
		.amdhsa_system_sgpr_workgroup_id_x 1
		.amdhsa_system_sgpr_workgroup_id_y 1
		.amdhsa_system_sgpr_workgroup_id_z 1
		.amdhsa_system_sgpr_workgroup_info 0
		.amdhsa_system_vgpr_workitem_id 1
		.amdhsa_next_free_vgpr 46
		.amdhsa_next_free_sgpr 19
		.amdhsa_reserve_vcc 1
		.amdhsa_float_round_mode_32 0
		.amdhsa_float_round_mode_16_64 0
		.amdhsa_float_denorm_mode_32 3
		.amdhsa_float_denorm_mode_16_64 3
		.amdhsa_dx10_clamp 1
		.amdhsa_ieee_mode 1
		.amdhsa_fp16_overflow 0
		.amdhsa_workgroup_processor_mode 1
		.amdhsa_memory_ordered 1
		.amdhsa_forward_progress 0
		.amdhsa_shared_vgpr_count 0
		.amdhsa_exception_fp_ieee_invalid_op 0
		.amdhsa_exception_fp_denorm_src 0
		.amdhsa_exception_fp_ieee_div_zero 0
		.amdhsa_exception_fp_ieee_overflow 0
		.amdhsa_exception_fp_ieee_underflow 0
		.amdhsa_exception_fp_ieee_inexact 0
		.amdhsa_exception_int_div_zero 0
	.end_amdhsa_kernel
	.section	.text._ZL41rocblas_syrkx_herkx_small_restrict_kernelIi19rocblas_complex_numIdELi16ELb1ELb1ELc67ELc76EKS1_S1_EviT_T0_PT6_S3_lS6_S3_lS4_PT7_S3_li,"axG",@progbits,_ZL41rocblas_syrkx_herkx_small_restrict_kernelIi19rocblas_complex_numIdELi16ELb1ELb1ELc67ELc76EKS1_S1_EviT_T0_PT6_S3_lS6_S3_lS4_PT7_S3_li,comdat
.Lfunc_end424:
	.size	_ZL41rocblas_syrkx_herkx_small_restrict_kernelIi19rocblas_complex_numIdELi16ELb1ELb1ELc67ELc76EKS1_S1_EviT_T0_PT6_S3_lS6_S3_lS4_PT7_S3_li, .Lfunc_end424-_ZL41rocblas_syrkx_herkx_small_restrict_kernelIi19rocblas_complex_numIdELi16ELb1ELb1ELc67ELc76EKS1_S1_EviT_T0_PT6_S3_lS6_S3_lS4_PT7_S3_li
                                        ; -- End function
	.section	.AMDGPU.csdata,"",@progbits
; Kernel info:
; codeLenInByte = 1796
; NumSgprs: 21
; NumVgprs: 46
; ScratchSize: 0
; MemoryBound: 0
; FloatMode: 240
; IeeeMode: 1
; LDSByteSize: 8192 bytes/workgroup (compile time only)
; SGPRBlocks: 2
; VGPRBlocks: 5
; NumSGPRsForWavesPerEU: 21
; NumVGPRsForWavesPerEU: 46
; Occupancy: 16
; WaveLimiterHint : 0
; COMPUTE_PGM_RSRC2:SCRATCH_EN: 0
; COMPUTE_PGM_RSRC2:USER_SGPR: 13
; COMPUTE_PGM_RSRC2:TRAP_HANDLER: 0
; COMPUTE_PGM_RSRC2:TGID_X_EN: 1
; COMPUTE_PGM_RSRC2:TGID_Y_EN: 1
; COMPUTE_PGM_RSRC2:TGID_Z_EN: 1
; COMPUTE_PGM_RSRC2:TIDIG_COMP_CNT: 1
	.section	.text._ZL41rocblas_syrkx_herkx_small_restrict_kernelIi19rocblas_complex_numIdELi16ELb1ELb1ELc78ELc76EKS1_S1_EviT_T0_PT6_S3_lS6_S3_lS4_PT7_S3_li,"axG",@progbits,_ZL41rocblas_syrkx_herkx_small_restrict_kernelIi19rocblas_complex_numIdELi16ELb1ELb1ELc78ELc76EKS1_S1_EviT_T0_PT6_S3_lS6_S3_lS4_PT7_S3_li,comdat
	.globl	_ZL41rocblas_syrkx_herkx_small_restrict_kernelIi19rocblas_complex_numIdELi16ELb1ELb1ELc78ELc76EKS1_S1_EviT_T0_PT6_S3_lS6_S3_lS4_PT7_S3_li ; -- Begin function _ZL41rocblas_syrkx_herkx_small_restrict_kernelIi19rocblas_complex_numIdELi16ELb1ELb1ELc78ELc76EKS1_S1_EviT_T0_PT6_S3_lS6_S3_lS4_PT7_S3_li
	.p2align	8
	.type	_ZL41rocblas_syrkx_herkx_small_restrict_kernelIi19rocblas_complex_numIdELi16ELb1ELb1ELc78ELc76EKS1_S1_EviT_T0_PT6_S3_lS6_S3_lS4_PT7_S3_li,@function
_ZL41rocblas_syrkx_herkx_small_restrict_kernelIi19rocblas_complex_numIdELi16ELb1ELb1ELc78ELc76EKS1_S1_EviT_T0_PT6_S3_lS6_S3_lS4_PT7_S3_li: ; @_ZL41rocblas_syrkx_herkx_small_restrict_kernelIi19rocblas_complex_numIdELi16ELb1ELb1ELc78ELc76EKS1_S1_EviT_T0_PT6_S3_lS6_S3_lS4_PT7_S3_li
; %bb.0:
	s_clause 0x2
	s_load_b32 s12, s[0:1], 0x4
	s_load_b128 s[4:7], s[0:1], 0x8
	s_load_b64 s[2:3], s[0:1], 0x18
	v_and_b32_e32 v5, 0x3ff, v0
	v_mov_b32_e32 v7, 0
	v_mov_b32_e32 v8, 0
	v_bfe_u32 v4, v0, 10, 10
	s_delay_alu instid0(VALU_DEP_4) | instskip(SKIP_1) | instid1(VALU_DEP_3)
	v_lshl_add_u32 v0, s13, 4, v5
	s_mov_b32 s13, 0
	v_dual_mov_b32 v10, v8 :: v_dual_mov_b32 v9, v7
	s_delay_alu instid0(VALU_DEP_3) | instskip(NEXT) | instid1(VALU_DEP_3)
	v_lshl_add_u32 v2, s14, 4, v4
	v_ashrrev_i32_e32 v1, 31, v0
	s_waitcnt lgkmcnt(0)
	s_cmp_lt_i32 s12, 1
	s_cbranch_scc1 .LBB425_3
; %bb.1:
	s_clause 0x3
	s_load_b32 s16, s[0:1], 0x38
	s_load_b64 s[18:19], s[0:1], 0x40
	s_load_b128 s[8:11], s[0:1], 0x28
	s_load_b32 s20, s[0:1], 0x20
	v_lshlrev_b32_e32 v8, 8, v4
	v_lshlrev_b32_e32 v11, 4, v5
	v_ashrrev_i32_e32 v3, 31, v2
	v_lshlrev_b64 v[6:7], 4, v[0:1]
	s_delay_alu instid0(VALU_DEP_4) | instskip(NEXT) | instid1(VALU_DEP_4)
	v_add_nc_u32_e32 v12, 0x1000, v8
	v_add_nc_u32_e32 v13, v11, v8
	s_delay_alu instid0(VALU_DEP_4)
	v_lshlrev_b64 v[8:9], 4, v[2:3]
	s_waitcnt lgkmcnt(0)
	v_mad_i64_i32 v[15:16], null, s16, v5, 0
	s_mul_i32 s14, s19, s15
	s_mul_hi_u32 s19, s18, s15
	v_mad_i64_i32 v[17:18], null, s20, v4, 0
	s_mul_i32 s18, s18, s15
	s_add_i32 s19, s19, s14
	s_delay_alu instid0(VALU_DEP_2)
	v_lshlrev_b64 v[3:4], 4, v[15:16]
	s_lshl_b64 s[18:19], s[18:19], 4
	s_mul_i32 s9, s9, s15
	s_mul_hi_u32 s21, s8, s15
	s_mul_i32 s8, s8, s15
	s_add_i32 s9, s21, s9
	v_add_co_u32 v5, vcc_lo, s18, v3
	v_add_co_ci_u32_e32 v10, vcc_lo, s19, v4, vcc_lo
	v_lshlrev_b64 v[3:4], 4, v[17:18]
	s_delay_alu instid0(VALU_DEP_3) | instskip(SKIP_1) | instid1(VALU_DEP_3)
	v_add_co_u32 v5, vcc_lo, v5, v8
	s_lshl_b64 s[8:9], s[8:9], 4
	v_add_co_ci_u32_e32 v8, vcc_lo, v10, v9, vcc_lo
	s_delay_alu instid0(VALU_DEP_3) | instskip(NEXT) | instid1(VALU_DEP_4)
	v_add_co_u32 v3, vcc_lo, s8, v3
	v_add_co_ci_u32_e32 v4, vcc_lo, s9, v4, vcc_lo
	v_add_co_u32 v5, vcc_lo, v5, s10
	s_delay_alu instid0(VALU_DEP_4) | instskip(NEXT) | instid1(VALU_DEP_4)
	v_add_co_ci_u32_e32 v9, vcc_lo, s11, v8, vcc_lo
	v_add_co_u32 v6, vcc_lo, v3, v6
	s_delay_alu instid0(VALU_DEP_4)
	v_add_co_ci_u32_e32 v10, vcc_lo, v4, v7, vcc_lo
	v_mov_b32_e32 v7, 0
	v_mov_b32_e32 v8, 0
	v_add_co_u32 v3, vcc_lo, v5, 8
	v_add_co_ci_u32_e32 v4, vcc_lo, 0, v9, vcc_lo
	v_add_co_u32 v5, vcc_lo, s2, v6
	v_add_co_ci_u32_e32 v6, vcc_lo, s3, v10, vcc_lo
	v_mov_b32_e32 v10, v8
	v_dual_mov_b32 v9, v7 :: v_dual_add_nc_u32 v14, v12, v11
	s_ashr_i32 s17, s16, 31
	s_ashr_i32 s21, s20, 31
	s_lshl_b64 s[2:3], s[16:17], 8
	s_lshl_b64 s[8:9], s[20:21], 8
.LBB425_2:                              ; =>This Inner Loop Header: Depth=1
	global_load_b128 v[15:18], v[3:4], off offset:-8
	global_load_b128 v[19:22], v[5:6], off
	v_add_co_u32 v3, vcc_lo, v3, s2
	v_add_co_ci_u32_e32 v4, vcc_lo, s3, v4, vcc_lo
	v_add_co_u32 v5, vcc_lo, v5, s8
	v_add_co_ci_u32_e32 v6, vcc_lo, s9, v6, vcc_lo
	s_add_i32 s13, s13, 16
	s_delay_alu instid0(SALU_CYCLE_1)
	s_cmp_lt_i32 s13, s12
	s_waitcnt vmcnt(1)
	v_xor_b32_e32 v18, 0x80000000, v18
	s_waitcnt vmcnt(0)
	ds_store_2addr_b64 v13, v[19:20], v[21:22] offset1:1
	ds_store_b128 v14, v[15:18]
	s_waitcnt lgkmcnt(0)
	s_barrier
	buffer_gl0_inv
	ds_load_b128 v[15:18], v11
	ds_load_b128 v[19:22], v12
	ds_load_b128 v[23:26], v12 offset:16
	ds_load_b128 v[27:30], v11 offset:256
	s_waitcnt lgkmcnt(2)
	v_mul_f64 v[31:32], v[21:22], v[17:18]
	v_mul_f64 v[17:18], v[19:20], v[17:18]
	s_waitcnt lgkmcnt(0)
	v_mul_f64 v[37:38], v[25:26], v[29:30]
	v_mul_f64 v[39:40], v[23:24], v[29:30]
	s_delay_alu instid0(VALU_DEP_4) | instskip(NEXT) | instid1(VALU_DEP_4)
	v_fma_f64 v[41:42], v[19:20], v[15:16], -v[31:32]
	v_fma_f64 v[43:44], v[21:22], v[15:16], v[17:18]
	ds_load_b128 v[15:18], v11 offset:512
	ds_load_b128 v[19:22], v12 offset:32
	;; [unrolled: 1-line block ×4, first 2 shown]
	v_fma_f64 v[23:24], v[23:24], v[27:28], -v[37:38]
	v_fma_f64 v[25:26], v[25:26], v[27:28], v[39:40]
	s_waitcnt lgkmcnt(2)
	v_mul_f64 v[45:46], v[21:22], v[17:18]
	v_mul_f64 v[17:18], v[19:20], v[17:18]
	s_waitcnt lgkmcnt(0)
	v_mul_f64 v[27:28], v[31:32], v[35:36]
	v_mul_f64 v[35:36], v[29:30], v[35:36]
	v_add_f64 v[9:10], v[9:10], v[41:42]
	v_add_f64 v[7:8], v[7:8], v[43:44]
	v_fma_f64 v[37:38], v[19:20], v[15:16], -v[45:46]
	v_fma_f64 v[39:40], v[21:22], v[15:16], v[17:18]
	v_fma_f64 v[27:28], v[29:30], v[33:34], -v[27:28]
	v_fma_f64 v[29:30], v[31:32], v[33:34], v[35:36]
	v_add_f64 v[41:42], v[9:10], v[23:24]
	v_add_f64 v[43:44], v[7:8], v[25:26]
	ds_load_b128 v[7:10], v11 offset:1024
	ds_load_b128 v[15:18], v12 offset:64
	;; [unrolled: 1-line block ×4, first 2 shown]
	s_waitcnt lgkmcnt(2)
	v_mul_f64 v[45:46], v[17:18], v[9:10]
	v_mul_f64 v[9:10], v[15:16], v[9:10]
	s_waitcnt lgkmcnt(0)
	v_mul_f64 v[35:36], v[21:22], v[25:26]
	v_add_f64 v[31:32], v[41:42], v[37:38]
	v_add_f64 v[33:34], v[43:44], v[39:40]
	v_mul_f64 v[37:38], v[19:20], v[25:26]
	v_fma_f64 v[39:40], v[15:16], v[7:8], -v[45:46]
	v_fma_f64 v[41:42], v[17:18], v[7:8], v[9:10]
	v_fma_f64 v[19:20], v[19:20], v[23:24], -v[35:36]
	v_add_f64 v[43:44], v[31:32], v[27:28]
	v_add_f64 v[33:34], v[33:34], v[29:30]
	ds_load_b128 v[7:10], v11 offset:1536
	ds_load_b128 v[15:18], v12 offset:96
	;; [unrolled: 1-line block ×4, first 2 shown]
	v_fma_f64 v[21:22], v[21:22], v[23:24], v[37:38]
	s_waitcnt lgkmcnt(2)
	v_mul_f64 v[45:46], v[17:18], v[9:10]
	v_mul_f64 v[9:10], v[15:16], v[9:10]
	s_waitcnt lgkmcnt(0)
	v_mul_f64 v[35:36], v[27:28], v[31:32]
	v_mul_f64 v[37:38], v[25:26], v[31:32]
	v_add_f64 v[23:24], v[43:44], v[39:40]
	v_add_f64 v[33:34], v[33:34], v[41:42]
	v_fma_f64 v[39:40], v[15:16], v[7:8], -v[45:46]
	v_fma_f64 v[41:42], v[17:18], v[7:8], v[9:10]
	v_fma_f64 v[25:26], v[25:26], v[29:30], -v[35:36]
	v_fma_f64 v[27:28], v[27:28], v[29:30], v[37:38]
	v_add_f64 v[23:24], v[23:24], v[19:20]
	v_add_f64 v[43:44], v[33:34], v[21:22]
	ds_load_b128 v[7:10], v11 offset:2048
	ds_load_b128 v[15:18], v12 offset:128
	;; [unrolled: 1-line block ×4, first 2 shown]
	s_waitcnt lgkmcnt(2)
	v_mul_f64 v[45:46], v[17:18], v[9:10]
	v_mul_f64 v[9:10], v[15:16], v[9:10]
	s_waitcnt lgkmcnt(0)
	v_mul_f64 v[35:36], v[21:22], v[33:34]
	v_mul_f64 v[33:34], v[19:20], v[33:34]
	v_add_f64 v[23:24], v[23:24], v[39:40]
	v_add_f64 v[29:30], v[43:44], v[41:42]
	v_fma_f64 v[37:38], v[15:16], v[7:8], -v[45:46]
	v_fma_f64 v[39:40], v[17:18], v[7:8], v[9:10]
	v_fma_f64 v[19:20], v[19:20], v[31:32], -v[35:36]
	v_fma_f64 v[21:22], v[21:22], v[31:32], v[33:34]
	v_add_f64 v[41:42], v[23:24], v[25:26]
	v_add_f64 v[43:44], v[29:30], v[27:28]
	ds_load_b128 v[7:10], v11 offset:2560
	ds_load_b128 v[15:18], v12 offset:160
	;; [unrolled: 1-line block ×4, first 2 shown]
	s_waitcnt lgkmcnt(2)
	v_mul_f64 v[45:46], v[17:18], v[9:10]
	v_mul_f64 v[9:10], v[15:16], v[9:10]
	s_waitcnt lgkmcnt(0)
	v_mul_f64 v[35:36], v[25:26], v[29:30]
	v_add_f64 v[31:32], v[41:42], v[37:38]
	v_add_f64 v[33:34], v[43:44], v[39:40]
	v_mul_f64 v[37:38], v[23:24], v[29:30]
	v_fma_f64 v[39:40], v[15:16], v[7:8], -v[45:46]
	v_fma_f64 v[41:42], v[17:18], v[7:8], v[9:10]
	v_fma_f64 v[23:24], v[23:24], v[27:28], -v[35:36]
	v_add_f64 v[43:44], v[31:32], v[19:20]
	v_add_f64 v[33:34], v[33:34], v[21:22]
	ds_load_b128 v[7:10], v11 offset:3072
	ds_load_b128 v[15:18], v12 offset:192
	;; [unrolled: 1-line block ×4, first 2 shown]
	v_fma_f64 v[25:26], v[25:26], v[27:28], v[37:38]
	s_waitcnt lgkmcnt(2)
	v_mul_f64 v[45:46], v[17:18], v[9:10]
	v_mul_f64 v[9:10], v[15:16], v[9:10]
	s_waitcnt lgkmcnt(0)
	v_mul_f64 v[35:36], v[21:22], v[31:32]
	v_mul_f64 v[37:38], v[19:20], v[31:32]
	v_add_f64 v[27:28], v[43:44], v[39:40]
	v_add_f64 v[33:34], v[33:34], v[41:42]
	v_fma_f64 v[39:40], v[15:16], v[7:8], -v[45:46]
	v_fma_f64 v[41:42], v[17:18], v[7:8], v[9:10]
	v_fma_f64 v[19:20], v[19:20], v[29:30], -v[35:36]
	v_fma_f64 v[21:22], v[21:22], v[29:30], v[37:38]
	v_add_f64 v[27:28], v[27:28], v[23:24]
	v_add_f64 v[43:44], v[33:34], v[25:26]
	ds_load_b128 v[7:10], v11 offset:3584
	ds_load_b128 v[15:18], v12 offset:224
	;; [unrolled: 1-line block ×4, first 2 shown]
	s_waitcnt lgkmcnt(0)
	s_barrier
	buffer_gl0_inv
	v_mul_f64 v[45:46], v[17:18], v[9:10]
	v_mul_f64 v[9:10], v[15:16], v[9:10]
	;; [unrolled: 1-line block ×4, first 2 shown]
	v_add_f64 v[27:28], v[27:28], v[39:40]
	v_add_f64 v[29:30], v[43:44], v[41:42]
	v_fma_f64 v[15:16], v[15:16], v[7:8], -v[45:46]
	v_fma_f64 v[7:8], v[17:18], v[7:8], v[9:10]
	s_delay_alu instid0(VALU_DEP_4) | instskip(NEXT) | instid1(VALU_DEP_4)
	v_add_f64 v[9:10], v[27:28], v[19:20]
	v_add_f64 v[17:18], v[29:30], v[21:22]
	v_fma_f64 v[19:20], v[23:24], v[31:32], -v[35:36]
	v_fma_f64 v[21:22], v[25:26], v[31:32], v[33:34]
	s_delay_alu instid0(VALU_DEP_4) | instskip(NEXT) | instid1(VALU_DEP_4)
	v_add_f64 v[9:10], v[9:10], v[15:16]
	v_add_f64 v[7:8], v[17:18], v[7:8]
	s_delay_alu instid0(VALU_DEP_2) | instskip(NEXT) | instid1(VALU_DEP_2)
	v_add_f64 v[9:10], v[9:10], v[19:20]
	v_add_f64 v[7:8], v[7:8], v[21:22]
	s_cbranch_scc1 .LBB425_2
.LBB425_3:
	s_mov_b32 s2, exec_lo
	v_cmpx_le_i32_e64 v2, v0
	s_cbranch_execz .LBB425_5
; %bb.4:
	s_delay_alu instid0(VALU_DEP_2)
	v_mul_f64 v[3:4], s[4:5], v[7:8]
	v_mul_f64 v[5:6], s[6:7], v[7:8]
	s_clause 0x2
	s_load_b32 s8, s[0:1], 0x60
	s_load_b64 s[2:3], s[0:1], 0x68
	s_load_b64 s[0:1], s[0:1], 0x58
	s_waitcnt lgkmcnt(0)
	s_mul_i32 s3, s15, s3
	s_delay_alu instid0(VALU_DEP_2) | instskip(NEXT) | instid1(VALU_DEP_2)
	v_fma_f64 v[7:8], s[6:7], v[9:10], v[3:4]
	v_fma_f64 v[3:4], s[4:5], v[9:10], -v[5:6]
	v_mad_i64_i32 v[5:6], null, s8, v2, 0
	s_mul_hi_u32 s4, s15, s2
	s_mul_i32 s2, s15, s2
	s_add_i32 s3, s4, s3
	v_lshlrev_b64 v[9:10], 4, v[0:1]
	s_lshl_b64 s[2:3], s[2:3], 4
	s_delay_alu instid0(VALU_DEP_2) | instskip(SKIP_2) | instid1(VALU_DEP_1)
	v_lshlrev_b64 v[5:6], 4, v[5:6]
	s_add_u32 s0, s0, s2
	s_addc_u32 s1, s1, s3
	v_add_co_u32 v1, vcc_lo, s0, v5
	s_delay_alu instid0(VALU_DEP_2) | instskip(SKIP_1) | instid1(VALU_DEP_3)
	v_add_co_ci_u32_e32 v5, vcc_lo, s1, v6, vcc_lo
	v_cmp_ne_u32_e32 vcc_lo, v0, v2
	v_add_co_u32 v0, s0, v1, v9
	s_delay_alu instid0(VALU_DEP_1)
	v_add_co_ci_u32_e64 v1, s0, v5, v10, s0
	v_dual_cndmask_b32 v6, 0, v8 :: v_dual_cndmask_b32 v5, 0, v7
	global_store_b128 v[0:1], v[3:6], off
.LBB425_5:
	s_nop 0
	s_sendmsg sendmsg(MSG_DEALLOC_VGPRS)
	s_endpgm
	.section	.rodata,"a",@progbits
	.p2align	6, 0x0
	.amdhsa_kernel _ZL41rocblas_syrkx_herkx_small_restrict_kernelIi19rocblas_complex_numIdELi16ELb1ELb1ELc78ELc76EKS1_S1_EviT_T0_PT6_S3_lS6_S3_lS4_PT7_S3_li
		.amdhsa_group_segment_fixed_size 8192
		.amdhsa_private_segment_fixed_size 0
		.amdhsa_kernarg_size 116
		.amdhsa_user_sgpr_count 13
		.amdhsa_user_sgpr_dispatch_ptr 0
		.amdhsa_user_sgpr_queue_ptr 0
		.amdhsa_user_sgpr_kernarg_segment_ptr 1
		.amdhsa_user_sgpr_dispatch_id 0
		.amdhsa_user_sgpr_private_segment_size 0
		.amdhsa_wavefront_size32 1
		.amdhsa_uses_dynamic_stack 0
		.amdhsa_enable_private_segment 0
		.amdhsa_system_sgpr_workgroup_id_x 1
		.amdhsa_system_sgpr_workgroup_id_y 1
		.amdhsa_system_sgpr_workgroup_id_z 1
		.amdhsa_system_sgpr_workgroup_info 0
		.amdhsa_system_vgpr_workitem_id 1
		.amdhsa_next_free_vgpr 47
		.amdhsa_next_free_sgpr 22
		.amdhsa_reserve_vcc 1
		.amdhsa_float_round_mode_32 0
		.amdhsa_float_round_mode_16_64 0
		.amdhsa_float_denorm_mode_32 3
		.amdhsa_float_denorm_mode_16_64 3
		.amdhsa_dx10_clamp 1
		.amdhsa_ieee_mode 1
		.amdhsa_fp16_overflow 0
		.amdhsa_workgroup_processor_mode 1
		.amdhsa_memory_ordered 1
		.amdhsa_forward_progress 0
		.amdhsa_shared_vgpr_count 0
		.amdhsa_exception_fp_ieee_invalid_op 0
		.amdhsa_exception_fp_denorm_src 0
		.amdhsa_exception_fp_ieee_div_zero 0
		.amdhsa_exception_fp_ieee_overflow 0
		.amdhsa_exception_fp_ieee_underflow 0
		.amdhsa_exception_fp_ieee_inexact 0
		.amdhsa_exception_int_div_zero 0
	.end_amdhsa_kernel
	.section	.text._ZL41rocblas_syrkx_herkx_small_restrict_kernelIi19rocblas_complex_numIdELi16ELb1ELb1ELc78ELc76EKS1_S1_EviT_T0_PT6_S3_lS6_S3_lS4_PT7_S3_li,"axG",@progbits,_ZL41rocblas_syrkx_herkx_small_restrict_kernelIi19rocblas_complex_numIdELi16ELb1ELb1ELc78ELc76EKS1_S1_EviT_T0_PT6_S3_lS6_S3_lS4_PT7_S3_li,comdat
.Lfunc_end425:
	.size	_ZL41rocblas_syrkx_herkx_small_restrict_kernelIi19rocblas_complex_numIdELi16ELb1ELb1ELc78ELc76EKS1_S1_EviT_T0_PT6_S3_lS6_S3_lS4_PT7_S3_li, .Lfunc_end425-_ZL41rocblas_syrkx_herkx_small_restrict_kernelIi19rocblas_complex_numIdELi16ELb1ELb1ELc78ELc76EKS1_S1_EviT_T0_PT6_S3_lS6_S3_lS4_PT7_S3_li
                                        ; -- End function
	.section	.AMDGPU.csdata,"",@progbits
; Kernel info:
; codeLenInByte = 1832
; NumSgprs: 24
; NumVgprs: 47
; ScratchSize: 0
; MemoryBound: 0
; FloatMode: 240
; IeeeMode: 1
; LDSByteSize: 8192 bytes/workgroup (compile time only)
; SGPRBlocks: 2
; VGPRBlocks: 5
; NumSGPRsForWavesPerEU: 24
; NumVGPRsForWavesPerEU: 47
; Occupancy: 16
; WaveLimiterHint : 0
; COMPUTE_PGM_RSRC2:SCRATCH_EN: 0
; COMPUTE_PGM_RSRC2:USER_SGPR: 13
; COMPUTE_PGM_RSRC2:TRAP_HANDLER: 0
; COMPUTE_PGM_RSRC2:TGID_X_EN: 1
; COMPUTE_PGM_RSRC2:TGID_Y_EN: 1
; COMPUTE_PGM_RSRC2:TGID_Z_EN: 1
; COMPUTE_PGM_RSRC2:TIDIG_COMP_CNT: 1
	.section	.text._ZL41rocblas_syrkx_herkx_small_restrict_kernelIi19rocblas_complex_numIdELi16ELb1ELb1ELc84ELc85EKS1_S1_EviT_T0_PT6_S3_lS6_S3_lS4_PT7_S3_li,"axG",@progbits,_ZL41rocblas_syrkx_herkx_small_restrict_kernelIi19rocblas_complex_numIdELi16ELb1ELb1ELc84ELc85EKS1_S1_EviT_T0_PT6_S3_lS6_S3_lS4_PT7_S3_li,comdat
	.globl	_ZL41rocblas_syrkx_herkx_small_restrict_kernelIi19rocblas_complex_numIdELi16ELb1ELb1ELc84ELc85EKS1_S1_EviT_T0_PT6_S3_lS6_S3_lS4_PT7_S3_li ; -- Begin function _ZL41rocblas_syrkx_herkx_small_restrict_kernelIi19rocblas_complex_numIdELi16ELb1ELb1ELc84ELc85EKS1_S1_EviT_T0_PT6_S3_lS6_S3_lS4_PT7_S3_li
	.p2align	8
	.type	_ZL41rocblas_syrkx_herkx_small_restrict_kernelIi19rocblas_complex_numIdELi16ELb1ELb1ELc84ELc85EKS1_S1_EviT_T0_PT6_S3_lS6_S3_lS4_PT7_S3_li,@function
_ZL41rocblas_syrkx_herkx_small_restrict_kernelIi19rocblas_complex_numIdELi16ELb1ELb1ELc84ELc85EKS1_S1_EviT_T0_PT6_S3_lS6_S3_lS4_PT7_S3_li: ; @_ZL41rocblas_syrkx_herkx_small_restrict_kernelIi19rocblas_complex_numIdELi16ELb1ELb1ELc84ELc85EKS1_S1_EviT_T0_PT6_S3_lS6_S3_lS4_PT7_S3_li
; %bb.0:
	s_clause 0x2
	s_load_b32 s12, s[0:1], 0x4
	s_load_b128 s[4:7], s[0:1], 0x8
	s_load_b64 s[2:3], s[0:1], 0x18
	v_dual_mov_b32 v5, 0 :: v_dual_and_b32 v2, 0x3ff, v0
	v_bfe_u32 v1, v0, 10, 10
	v_mov_b32_e32 v6, 0
	s_delay_alu instid0(VALU_DEP_3) | instskip(SKIP_1) | instid1(VALU_DEP_3)
	v_lshl_add_u32 v0, s13, 4, v2
	s_mov_b32 s13, 0
	v_lshl_add_u32 v9, s14, 4, v1
	s_delay_alu instid0(VALU_DEP_3)
	v_dual_mov_b32 v8, v6 :: v_dual_mov_b32 v7, v5
	s_waitcnt lgkmcnt(0)
	s_cmp_lt_i32 s12, 1
	s_cbranch_scc1 .LBB426_3
; %bb.1:
	s_clause 0x3
	s_load_b32 s14, s[0:1], 0x38
	s_load_b64 s[16:17], s[0:1], 0x40
	s_load_b32 s18, s[0:1], 0x20
	s_load_b128 s[8:11], s[0:1], 0x28
	v_lshlrev_b32_e32 v3, 8, v1
	v_dual_mov_b32 v5, 0 :: v_dual_lshlrev_b32 v10, 4, v2
	v_dual_mov_b32 v6, 0 :: v_dual_lshlrev_b32 v7, 4, v1
	s_delay_alu instid0(VALU_DEP_3) | instskip(NEXT) | instid1(VALU_DEP_3)
	v_add_nc_u32_e32 v11, 0x1000, v3
	v_add_nc_u32_e32 v12, v10, v3
	s_waitcnt lgkmcnt(0)
	v_mad_i64_i32 v[1:2], null, s14, v9, 0
	v_mad_i64_i32 v[3:4], null, s18, v0, 0
	s_mul_i32 s14, s17, s15
	s_mul_hi_u32 s17, s16, s15
	s_mul_i32 s16, s16, s15
	s_add_i32 s17, s17, s14
	s_delay_alu instid0(VALU_DEP_2)
	v_lshlrev_b64 v[1:2], 4, v[1:2]
	s_mul_i32 s9, s9, s15
	s_mul_hi_u32 s18, s8, s15
	v_lshlrev_b64 v[3:4], 4, v[3:4]
	s_lshl_b64 s[16:17], s[16:17], 4
	s_mul_i32 s8, s8, s15
	s_add_i32 s9, s18, s9
	v_add_co_u32 v1, vcc_lo, v1, s16
	s_lshl_b64 s[8:9], s[8:9], 4
	v_add_co_ci_u32_e32 v2, vcc_lo, s17, v2, vcc_lo
	v_add_co_u32 v3, vcc_lo, v3, s8
	v_add_co_ci_u32_e32 v4, vcc_lo, s9, v4, vcc_lo
	v_add_co_u32 v1, vcc_lo, v1, v10
	s_delay_alu instid0(VALU_DEP_4) | instskip(NEXT) | instid1(VALU_DEP_4)
	v_add_co_ci_u32_e32 v2, vcc_lo, 0, v2, vcc_lo
	v_add_co_u32 v3, vcc_lo, v3, v7
	s_delay_alu instid0(VALU_DEP_4) | instskip(NEXT) | instid1(VALU_DEP_4)
	v_add_co_ci_u32_e32 v4, vcc_lo, 0, v4, vcc_lo
	v_add_co_u32 v1, vcc_lo, s10, v1
	s_delay_alu instid0(VALU_DEP_4) | instskip(NEXT) | instid1(VALU_DEP_4)
	v_add_co_ci_u32_e32 v2, vcc_lo, s11, v2, vcc_lo
	v_add_co_u32 v3, vcc_lo, s2, v3
	v_dual_mov_b32 v8, v6 :: v_dual_mov_b32 v7, v5
	v_add_nc_u32_e32 v13, v11, v10
	v_add_co_ci_u32_e32 v4, vcc_lo, s3, v4, vcc_lo
.LBB426_2:                              ; =>This Inner Loop Header: Depth=1
	global_load_b128 v[14:17], v[3:4], off
	global_load_b128 v[18:21], v[1:2], off
	v_add_co_u32 v1, vcc_lo, 0x100, v1
	v_add_co_ci_u32_e32 v2, vcc_lo, 0, v2, vcc_lo
	v_add_co_u32 v3, vcc_lo, 0x100, v3
	v_add_co_ci_u32_e32 v4, vcc_lo, 0, v4, vcc_lo
	s_add_i32 s13, s13, 16
	s_waitcnt vmcnt(1)
	ds_store_2addr_b64 v12, v[14:15], v[16:17] offset1:1
	s_waitcnt vmcnt(0)
	ds_store_2addr_b64 v13, v[18:19], v[20:21] offset1:1
	s_waitcnt lgkmcnt(0)
	s_barrier
	buffer_gl0_inv
	ds_load_b128 v[14:17], v10
	ds_load_b128 v[18:21], v11
	ds_load_b128 v[22:25], v11 offset:16
	ds_load_b128 v[26:29], v10 offset:256
	s_cmp_lt_i32 s13, s12
	s_waitcnt lgkmcnt(2)
	v_mul_f64 v[30:31], v[20:21], v[16:17]
	v_mul_f64 v[16:17], v[18:19], v[16:17]
	s_waitcnt lgkmcnt(0)
	v_mul_f64 v[36:37], v[24:25], v[28:29]
	v_mul_f64 v[38:39], v[22:23], v[28:29]
	s_delay_alu instid0(VALU_DEP_4) | instskip(NEXT) | instid1(VALU_DEP_4)
	v_fma_f64 v[40:41], v[18:19], v[14:15], -v[30:31]
	v_fma_f64 v[42:43], v[20:21], v[14:15], v[16:17]
	ds_load_b128 v[14:17], v10 offset:512
	ds_load_b128 v[18:21], v11 offset:32
	;; [unrolled: 1-line block ×4, first 2 shown]
	v_fma_f64 v[22:23], v[22:23], v[26:27], -v[36:37]
	v_fma_f64 v[24:25], v[24:25], v[26:27], v[38:39]
	s_waitcnt lgkmcnt(2)
	v_mul_f64 v[44:45], v[20:21], v[16:17]
	v_mul_f64 v[16:17], v[18:19], v[16:17]
	s_waitcnt lgkmcnt(0)
	v_mul_f64 v[26:27], v[30:31], v[34:35]
	v_mul_f64 v[34:35], v[28:29], v[34:35]
	v_add_f64 v[7:8], v[7:8], v[40:41]
	v_add_f64 v[5:6], v[5:6], v[42:43]
	v_fma_f64 v[36:37], v[18:19], v[14:15], -v[44:45]
	v_fma_f64 v[38:39], v[20:21], v[14:15], v[16:17]
	v_fma_f64 v[26:27], v[28:29], v[32:33], -v[26:27]
	v_fma_f64 v[28:29], v[30:31], v[32:33], v[34:35]
	v_add_f64 v[40:41], v[7:8], v[22:23]
	v_add_f64 v[42:43], v[5:6], v[24:25]
	ds_load_b128 v[5:8], v10 offset:1024
	ds_load_b128 v[14:17], v11 offset:64
	ds_load_b128 v[18:21], v11 offset:80
	ds_load_b128 v[22:25], v10 offset:1280
	s_waitcnt lgkmcnt(2)
	v_mul_f64 v[44:45], v[16:17], v[7:8]
	v_mul_f64 v[7:8], v[14:15], v[7:8]
	s_waitcnt lgkmcnt(0)
	v_mul_f64 v[34:35], v[20:21], v[24:25]
	v_add_f64 v[30:31], v[40:41], v[36:37]
	v_add_f64 v[32:33], v[42:43], v[38:39]
	v_mul_f64 v[36:37], v[18:19], v[24:25]
	v_fma_f64 v[38:39], v[14:15], v[5:6], -v[44:45]
	v_fma_f64 v[40:41], v[16:17], v[5:6], v[7:8]
	v_fma_f64 v[18:19], v[18:19], v[22:23], -v[34:35]
	v_add_f64 v[42:43], v[30:31], v[26:27]
	v_add_f64 v[32:33], v[32:33], v[28:29]
	ds_load_b128 v[5:8], v10 offset:1536
	ds_load_b128 v[14:17], v11 offset:96
	;; [unrolled: 1-line block ×4, first 2 shown]
	v_fma_f64 v[20:21], v[20:21], v[22:23], v[36:37]
	s_waitcnt lgkmcnt(2)
	v_mul_f64 v[44:45], v[16:17], v[7:8]
	v_mul_f64 v[7:8], v[14:15], v[7:8]
	s_waitcnt lgkmcnt(0)
	v_mul_f64 v[34:35], v[26:27], v[30:31]
	v_mul_f64 v[36:37], v[24:25], v[30:31]
	v_add_f64 v[22:23], v[42:43], v[38:39]
	v_add_f64 v[32:33], v[32:33], v[40:41]
	v_fma_f64 v[38:39], v[14:15], v[5:6], -v[44:45]
	v_fma_f64 v[40:41], v[16:17], v[5:6], v[7:8]
	v_fma_f64 v[24:25], v[24:25], v[28:29], -v[34:35]
	v_fma_f64 v[26:27], v[26:27], v[28:29], v[36:37]
	v_add_f64 v[22:23], v[22:23], v[18:19]
	v_add_f64 v[42:43], v[32:33], v[20:21]
	ds_load_b128 v[5:8], v10 offset:2048
	ds_load_b128 v[14:17], v11 offset:128
	;; [unrolled: 1-line block ×4, first 2 shown]
	s_waitcnt lgkmcnt(2)
	v_mul_f64 v[44:45], v[16:17], v[7:8]
	v_mul_f64 v[7:8], v[14:15], v[7:8]
	s_waitcnt lgkmcnt(0)
	v_mul_f64 v[34:35], v[20:21], v[32:33]
	v_mul_f64 v[32:33], v[18:19], v[32:33]
	v_add_f64 v[22:23], v[22:23], v[38:39]
	v_add_f64 v[28:29], v[42:43], v[40:41]
	v_fma_f64 v[36:37], v[14:15], v[5:6], -v[44:45]
	v_fma_f64 v[38:39], v[16:17], v[5:6], v[7:8]
	v_fma_f64 v[18:19], v[18:19], v[30:31], -v[34:35]
	v_fma_f64 v[20:21], v[20:21], v[30:31], v[32:33]
	v_add_f64 v[40:41], v[22:23], v[24:25]
	v_add_f64 v[42:43], v[28:29], v[26:27]
	ds_load_b128 v[5:8], v10 offset:2560
	ds_load_b128 v[14:17], v11 offset:160
	;; [unrolled: 1-line block ×4, first 2 shown]
	s_waitcnt lgkmcnt(2)
	v_mul_f64 v[44:45], v[16:17], v[7:8]
	v_mul_f64 v[7:8], v[14:15], v[7:8]
	s_waitcnt lgkmcnt(0)
	v_mul_f64 v[34:35], v[24:25], v[28:29]
	v_add_f64 v[30:31], v[40:41], v[36:37]
	v_add_f64 v[32:33], v[42:43], v[38:39]
	v_mul_f64 v[36:37], v[22:23], v[28:29]
	v_fma_f64 v[38:39], v[14:15], v[5:6], -v[44:45]
	v_fma_f64 v[40:41], v[16:17], v[5:6], v[7:8]
	v_fma_f64 v[22:23], v[22:23], v[26:27], -v[34:35]
	v_add_f64 v[42:43], v[30:31], v[18:19]
	v_add_f64 v[32:33], v[32:33], v[20:21]
	ds_load_b128 v[5:8], v10 offset:3072
	ds_load_b128 v[14:17], v11 offset:192
	;; [unrolled: 1-line block ×4, first 2 shown]
	v_fma_f64 v[24:25], v[24:25], v[26:27], v[36:37]
	s_waitcnt lgkmcnt(2)
	v_mul_f64 v[44:45], v[16:17], v[7:8]
	v_mul_f64 v[7:8], v[14:15], v[7:8]
	s_waitcnt lgkmcnt(0)
	v_mul_f64 v[34:35], v[20:21], v[30:31]
	v_mul_f64 v[36:37], v[18:19], v[30:31]
	v_add_f64 v[26:27], v[42:43], v[38:39]
	v_add_f64 v[32:33], v[32:33], v[40:41]
	v_fma_f64 v[38:39], v[14:15], v[5:6], -v[44:45]
	v_fma_f64 v[40:41], v[16:17], v[5:6], v[7:8]
	v_fma_f64 v[18:19], v[18:19], v[28:29], -v[34:35]
	v_fma_f64 v[20:21], v[20:21], v[28:29], v[36:37]
	v_add_f64 v[26:27], v[26:27], v[22:23]
	v_add_f64 v[42:43], v[32:33], v[24:25]
	ds_load_b128 v[5:8], v10 offset:3584
	ds_load_b128 v[14:17], v11 offset:224
	;; [unrolled: 1-line block ×4, first 2 shown]
	s_waitcnt lgkmcnt(0)
	s_barrier
	buffer_gl0_inv
	v_mul_f64 v[44:45], v[16:17], v[7:8]
	v_mul_f64 v[7:8], v[14:15], v[7:8]
	;; [unrolled: 1-line block ×4, first 2 shown]
	v_add_f64 v[26:27], v[26:27], v[38:39]
	v_add_f64 v[28:29], v[42:43], v[40:41]
	v_fma_f64 v[14:15], v[14:15], v[5:6], -v[44:45]
	v_fma_f64 v[5:6], v[16:17], v[5:6], v[7:8]
	s_delay_alu instid0(VALU_DEP_4) | instskip(NEXT) | instid1(VALU_DEP_4)
	v_add_f64 v[7:8], v[26:27], v[18:19]
	v_add_f64 v[16:17], v[28:29], v[20:21]
	v_fma_f64 v[18:19], v[22:23], v[30:31], -v[34:35]
	v_fma_f64 v[20:21], v[24:25], v[30:31], v[32:33]
	s_delay_alu instid0(VALU_DEP_4) | instskip(NEXT) | instid1(VALU_DEP_4)
	v_add_f64 v[7:8], v[7:8], v[14:15]
	v_add_f64 v[5:6], v[16:17], v[5:6]
	s_delay_alu instid0(VALU_DEP_2) | instskip(NEXT) | instid1(VALU_DEP_2)
	v_add_f64 v[7:8], v[7:8], v[18:19]
	v_add_f64 v[5:6], v[5:6], v[20:21]
	s_cbranch_scc1 .LBB426_2
.LBB426_3:
	s_mov_b32 s2, exec_lo
	v_cmpx_le_i32_e64 v0, v9
	s_cbranch_execz .LBB426_5
; %bb.4:
	s_delay_alu instid0(VALU_DEP_2)
	v_mul_f64 v[1:2], s[4:5], v[5:6]
	v_mul_f64 v[3:4], s[6:7], v[5:6]
	s_clause 0x2
	s_load_b32 s8, s[0:1], 0x60
	s_load_b64 s[2:3], s[0:1], 0x68
	s_load_b64 s[0:1], s[0:1], 0x58
	s_waitcnt lgkmcnt(0)
	s_mul_i32 s3, s15, s3
	s_delay_alu instid0(VALU_DEP_2) | instskip(NEXT) | instid1(VALU_DEP_2)
	v_fma_f64 v[10:11], s[6:7], v[7:8], v[1:2]
	v_fma_f64 v[2:3], s[4:5], v[7:8], -v[3:4]
	v_mad_i64_i32 v[4:5], null, s8, v9, 0
	s_mul_hi_u32 s4, s15, s2
	s_mul_i32 s2, s15, s2
	s_add_i32 s3, s4, s3
	v_ashrrev_i32_e32 v1, 31, v0
	s_lshl_b64 s[2:3], s[2:3], 4
	s_delay_alu instid0(VALU_DEP_2) | instskip(SKIP_1) | instid1(VALU_DEP_2)
	v_lshlrev_b64 v[4:5], 4, v[4:5]
	s_add_u32 s0, s0, s2
	v_lshlrev_b64 v[6:7], 4, v[0:1]
	s_addc_u32 s1, s1, s3
	s_delay_alu instid0(VALU_DEP_2) | instskip(NEXT) | instid1(VALU_DEP_3)
	v_add_co_u32 v1, vcc_lo, s0, v4
	v_add_co_ci_u32_e32 v4, vcc_lo, s1, v5, vcc_lo
	v_cmp_ne_u32_e32 vcc_lo, v0, v9
	s_delay_alu instid0(VALU_DEP_3) | instskip(NEXT) | instid1(VALU_DEP_1)
	v_add_co_u32 v0, s0, v1, v6
	v_add_co_ci_u32_e64 v1, s0, v4, v7, s0
	v_dual_cndmask_b32 v5, 0, v11 :: v_dual_cndmask_b32 v4, 0, v10
	global_store_b128 v[0:1], v[2:5], off
.LBB426_5:
	s_nop 0
	s_sendmsg sendmsg(MSG_DEALLOC_VGPRS)
	s_endpgm
	.section	.rodata,"a",@progbits
	.p2align	6, 0x0
	.amdhsa_kernel _ZL41rocblas_syrkx_herkx_small_restrict_kernelIi19rocblas_complex_numIdELi16ELb1ELb1ELc84ELc85EKS1_S1_EviT_T0_PT6_S3_lS6_S3_lS4_PT7_S3_li
		.amdhsa_group_segment_fixed_size 8192
		.amdhsa_private_segment_fixed_size 0
		.amdhsa_kernarg_size 116
		.amdhsa_user_sgpr_count 13
		.amdhsa_user_sgpr_dispatch_ptr 0
		.amdhsa_user_sgpr_queue_ptr 0
		.amdhsa_user_sgpr_kernarg_segment_ptr 1
		.amdhsa_user_sgpr_dispatch_id 0
		.amdhsa_user_sgpr_private_segment_size 0
		.amdhsa_wavefront_size32 1
		.amdhsa_uses_dynamic_stack 0
		.amdhsa_enable_private_segment 0
		.amdhsa_system_sgpr_workgroup_id_x 1
		.amdhsa_system_sgpr_workgroup_id_y 1
		.amdhsa_system_sgpr_workgroup_id_z 1
		.amdhsa_system_sgpr_workgroup_info 0
		.amdhsa_system_vgpr_workitem_id 1
		.amdhsa_next_free_vgpr 46
		.amdhsa_next_free_sgpr 19
		.amdhsa_reserve_vcc 1
		.amdhsa_float_round_mode_32 0
		.amdhsa_float_round_mode_16_64 0
		.amdhsa_float_denorm_mode_32 3
		.amdhsa_float_denorm_mode_16_64 3
		.amdhsa_dx10_clamp 1
		.amdhsa_ieee_mode 1
		.amdhsa_fp16_overflow 0
		.amdhsa_workgroup_processor_mode 1
		.amdhsa_memory_ordered 1
		.amdhsa_forward_progress 0
		.amdhsa_shared_vgpr_count 0
		.amdhsa_exception_fp_ieee_invalid_op 0
		.amdhsa_exception_fp_denorm_src 0
		.amdhsa_exception_fp_ieee_div_zero 0
		.amdhsa_exception_fp_ieee_overflow 0
		.amdhsa_exception_fp_ieee_underflow 0
		.amdhsa_exception_fp_ieee_inexact 0
		.amdhsa_exception_int_div_zero 0
	.end_amdhsa_kernel
	.section	.text._ZL41rocblas_syrkx_herkx_small_restrict_kernelIi19rocblas_complex_numIdELi16ELb1ELb1ELc84ELc85EKS1_S1_EviT_T0_PT6_S3_lS6_S3_lS4_PT7_S3_li,"axG",@progbits,_ZL41rocblas_syrkx_herkx_small_restrict_kernelIi19rocblas_complex_numIdELi16ELb1ELb1ELc84ELc85EKS1_S1_EviT_T0_PT6_S3_lS6_S3_lS4_PT7_S3_li,comdat
.Lfunc_end426:
	.size	_ZL41rocblas_syrkx_herkx_small_restrict_kernelIi19rocblas_complex_numIdELi16ELb1ELb1ELc84ELc85EKS1_S1_EviT_T0_PT6_S3_lS6_S3_lS4_PT7_S3_li, .Lfunc_end426-_ZL41rocblas_syrkx_herkx_small_restrict_kernelIi19rocblas_complex_numIdELi16ELb1ELb1ELc84ELc85EKS1_S1_EviT_T0_PT6_S3_lS6_S3_lS4_PT7_S3_li
                                        ; -- End function
	.section	.AMDGPU.csdata,"",@progbits
; Kernel info:
; codeLenInByte = 1776
; NumSgprs: 21
; NumVgprs: 46
; ScratchSize: 0
; MemoryBound: 0
; FloatMode: 240
; IeeeMode: 1
; LDSByteSize: 8192 bytes/workgroup (compile time only)
; SGPRBlocks: 2
; VGPRBlocks: 5
; NumSGPRsForWavesPerEU: 21
; NumVGPRsForWavesPerEU: 46
; Occupancy: 16
; WaveLimiterHint : 0
; COMPUTE_PGM_RSRC2:SCRATCH_EN: 0
; COMPUTE_PGM_RSRC2:USER_SGPR: 13
; COMPUTE_PGM_RSRC2:TRAP_HANDLER: 0
; COMPUTE_PGM_RSRC2:TGID_X_EN: 1
; COMPUTE_PGM_RSRC2:TGID_Y_EN: 1
; COMPUTE_PGM_RSRC2:TGID_Z_EN: 1
; COMPUTE_PGM_RSRC2:TIDIG_COMP_CNT: 1
	.section	.text._ZL41rocblas_syrkx_herkx_small_restrict_kernelIi19rocblas_complex_numIdELi16ELb1ELb1ELc67ELc85EKS1_S1_EviT_T0_PT6_S3_lS6_S3_lS4_PT7_S3_li,"axG",@progbits,_ZL41rocblas_syrkx_herkx_small_restrict_kernelIi19rocblas_complex_numIdELi16ELb1ELb1ELc67ELc85EKS1_S1_EviT_T0_PT6_S3_lS6_S3_lS4_PT7_S3_li,comdat
	.globl	_ZL41rocblas_syrkx_herkx_small_restrict_kernelIi19rocblas_complex_numIdELi16ELb1ELb1ELc67ELc85EKS1_S1_EviT_T0_PT6_S3_lS6_S3_lS4_PT7_S3_li ; -- Begin function _ZL41rocblas_syrkx_herkx_small_restrict_kernelIi19rocblas_complex_numIdELi16ELb1ELb1ELc67ELc85EKS1_S1_EviT_T0_PT6_S3_lS6_S3_lS4_PT7_S3_li
	.p2align	8
	.type	_ZL41rocblas_syrkx_herkx_small_restrict_kernelIi19rocblas_complex_numIdELi16ELb1ELb1ELc67ELc85EKS1_S1_EviT_T0_PT6_S3_lS6_S3_lS4_PT7_S3_li,@function
_ZL41rocblas_syrkx_herkx_small_restrict_kernelIi19rocblas_complex_numIdELi16ELb1ELb1ELc67ELc85EKS1_S1_EviT_T0_PT6_S3_lS6_S3_lS4_PT7_S3_li: ; @_ZL41rocblas_syrkx_herkx_small_restrict_kernelIi19rocblas_complex_numIdELi16ELb1ELb1ELc67ELc85EKS1_S1_EviT_T0_PT6_S3_lS6_S3_lS4_PT7_S3_li
; %bb.0:
	s_clause 0x2
	s_load_b32 s12, s[0:1], 0x4
	s_load_b128 s[4:7], s[0:1], 0x8
	s_load_b64 s[2:3], s[0:1], 0x18
	v_dual_mov_b32 v5, 0 :: v_dual_and_b32 v2, 0x3ff, v0
	v_bfe_u32 v1, v0, 10, 10
	v_mov_b32_e32 v6, 0
	s_delay_alu instid0(VALU_DEP_3) | instskip(SKIP_1) | instid1(VALU_DEP_3)
	v_lshl_add_u32 v0, s13, 4, v2
	s_mov_b32 s13, 0
	v_lshl_add_u32 v9, s14, 4, v1
	s_delay_alu instid0(VALU_DEP_3)
	v_dual_mov_b32 v8, v6 :: v_dual_mov_b32 v7, v5
	s_waitcnt lgkmcnt(0)
	s_cmp_lt_i32 s12, 1
	s_cbranch_scc1 .LBB427_3
; %bb.1:
	s_clause 0x3
	s_load_b32 s14, s[0:1], 0x38
	s_load_b32 s18, s[0:1], 0x20
	s_load_b64 s[16:17], s[0:1], 0x40
	s_load_b128 s[8:11], s[0:1], 0x28
	v_lshlrev_b32_e32 v3, 8, v1
	v_lshlrev_b32_e32 v10, 4, v2
	;; [unrolled: 1-line block ×3, first 2 shown]
	s_delay_alu instid0(VALU_DEP_3) | instskip(NEXT) | instid1(VALU_DEP_3)
	v_add_nc_u32_e32 v11, 0x1000, v3
	v_add_nc_u32_e32 v12, v10, v3
	s_waitcnt lgkmcnt(0)
	v_mad_i64_i32 v[1:2], null, s14, v9, 0
	v_mad_i64_i32 v[3:4], null, s18, v0, 0
	s_mul_i32 s9, s9, s15
	s_mul_hi_u32 s18, s8, s15
	s_mul_i32 s8, s8, s15
	s_add_i32 s9, s18, s9
	s_mul_i32 s14, s17, s15
	s_mul_hi_u32 s17, s16, s15
	s_delay_alu instid0(VALU_DEP_1) | instskip(SKIP_4) | instid1(VALU_DEP_2)
	v_lshlrev_b64 v[3:4], 4, v[3:4]
	v_lshlrev_b64 v[1:2], 4, v[1:2]
	s_lshl_b64 s[8:9], s[8:9], 4
	s_mul_i32 s16, s16, s15
	s_add_i32 s17, s17, s14
	v_add_co_u32 v3, vcc_lo, v3, s8
	s_lshl_b64 s[16:17], s[16:17], 4
	v_add_co_ci_u32_e32 v4, vcc_lo, s9, v4, vcc_lo
	v_add_co_u32 v1, vcc_lo, v1, s16
	v_add_co_ci_u32_e32 v2, vcc_lo, s17, v2, vcc_lo
	v_add_co_u32 v3, vcc_lo, v3, v5
	s_delay_alu instid0(VALU_DEP_4)
	v_add_co_ci_u32_e32 v4, vcc_lo, 0, v4, vcc_lo
	v_mov_b32_e32 v5, 0
	v_add_co_u32 v1, vcc_lo, v1, v10
	v_add_co_ci_u32_e32 v2, vcc_lo, 0, v2, vcc_lo
	v_add_co_u32 v3, vcc_lo, v3, s2
	v_add_co_ci_u32_e32 v4, vcc_lo, s3, v4, vcc_lo
	v_mov_b32_e32 v6, 0
	v_add_co_u32 v1, vcc_lo, s10, v1
	v_add_co_ci_u32_e32 v2, vcc_lo, s11, v2, vcc_lo
	v_add_co_u32 v3, vcc_lo, v3, 8
	s_delay_alu instid0(VALU_DEP_4)
	v_dual_mov_b32 v8, v6 :: v_dual_mov_b32 v7, v5
	v_add_nc_u32_e32 v13, v11, v10
	v_add_co_ci_u32_e32 v4, vcc_lo, 0, v4, vcc_lo
.LBB427_2:                              ; =>This Inner Loop Header: Depth=1
	global_load_b128 v[14:17], v[3:4], off offset:-8
	global_load_b128 v[18:21], v[1:2], off
	v_add_co_u32 v1, vcc_lo, 0x100, v1
	v_add_co_ci_u32_e32 v2, vcc_lo, 0, v2, vcc_lo
	v_add_co_u32 v3, vcc_lo, 0x100, v3
	v_add_co_ci_u32_e32 v4, vcc_lo, 0, v4, vcc_lo
	s_add_i32 s13, s13, 16
	s_delay_alu instid0(SALU_CYCLE_1)
	s_cmp_lt_i32 s13, s12
	s_waitcnt vmcnt(1)
	v_xor_b32_e32 v17, 0x80000000, v17
	ds_store_b128 v12, v[14:17]
	s_waitcnt vmcnt(0)
	ds_store_2addr_b64 v13, v[18:19], v[20:21] offset1:1
	s_waitcnt lgkmcnt(0)
	s_barrier
	buffer_gl0_inv
	ds_load_b128 v[14:17], v10
	ds_load_b128 v[18:21], v11
	ds_load_b128 v[22:25], v11 offset:16
	ds_load_b128 v[26:29], v10 offset:256
	s_waitcnt lgkmcnt(2)
	v_mul_f64 v[30:31], v[20:21], v[16:17]
	v_mul_f64 v[16:17], v[18:19], v[16:17]
	s_waitcnt lgkmcnt(0)
	v_mul_f64 v[36:37], v[24:25], v[28:29]
	v_mul_f64 v[38:39], v[22:23], v[28:29]
	s_delay_alu instid0(VALU_DEP_4) | instskip(NEXT) | instid1(VALU_DEP_4)
	v_fma_f64 v[40:41], v[18:19], v[14:15], -v[30:31]
	v_fma_f64 v[42:43], v[20:21], v[14:15], v[16:17]
	ds_load_b128 v[14:17], v10 offset:512
	ds_load_b128 v[18:21], v11 offset:32
	;; [unrolled: 1-line block ×4, first 2 shown]
	v_fma_f64 v[22:23], v[22:23], v[26:27], -v[36:37]
	v_fma_f64 v[24:25], v[24:25], v[26:27], v[38:39]
	s_waitcnt lgkmcnt(2)
	v_mul_f64 v[44:45], v[20:21], v[16:17]
	v_mul_f64 v[16:17], v[18:19], v[16:17]
	s_waitcnt lgkmcnt(0)
	v_mul_f64 v[26:27], v[30:31], v[34:35]
	v_mul_f64 v[34:35], v[28:29], v[34:35]
	v_add_f64 v[7:8], v[7:8], v[40:41]
	v_add_f64 v[5:6], v[5:6], v[42:43]
	v_fma_f64 v[36:37], v[18:19], v[14:15], -v[44:45]
	v_fma_f64 v[38:39], v[20:21], v[14:15], v[16:17]
	v_fma_f64 v[26:27], v[28:29], v[32:33], -v[26:27]
	v_fma_f64 v[28:29], v[30:31], v[32:33], v[34:35]
	v_add_f64 v[40:41], v[7:8], v[22:23]
	v_add_f64 v[42:43], v[5:6], v[24:25]
	ds_load_b128 v[5:8], v10 offset:1024
	ds_load_b128 v[14:17], v11 offset:64
	;; [unrolled: 1-line block ×4, first 2 shown]
	s_waitcnt lgkmcnt(2)
	v_mul_f64 v[44:45], v[16:17], v[7:8]
	v_mul_f64 v[7:8], v[14:15], v[7:8]
	s_waitcnt lgkmcnt(0)
	v_mul_f64 v[34:35], v[20:21], v[24:25]
	v_add_f64 v[30:31], v[40:41], v[36:37]
	v_add_f64 v[32:33], v[42:43], v[38:39]
	v_mul_f64 v[36:37], v[18:19], v[24:25]
	v_fma_f64 v[38:39], v[14:15], v[5:6], -v[44:45]
	v_fma_f64 v[40:41], v[16:17], v[5:6], v[7:8]
	v_fma_f64 v[18:19], v[18:19], v[22:23], -v[34:35]
	v_add_f64 v[42:43], v[30:31], v[26:27]
	v_add_f64 v[32:33], v[32:33], v[28:29]
	ds_load_b128 v[5:8], v10 offset:1536
	ds_load_b128 v[14:17], v11 offset:96
	;; [unrolled: 1-line block ×4, first 2 shown]
	v_fma_f64 v[20:21], v[20:21], v[22:23], v[36:37]
	s_waitcnt lgkmcnt(2)
	v_mul_f64 v[44:45], v[16:17], v[7:8]
	v_mul_f64 v[7:8], v[14:15], v[7:8]
	s_waitcnt lgkmcnt(0)
	v_mul_f64 v[34:35], v[26:27], v[30:31]
	v_mul_f64 v[36:37], v[24:25], v[30:31]
	v_add_f64 v[22:23], v[42:43], v[38:39]
	v_add_f64 v[32:33], v[32:33], v[40:41]
	v_fma_f64 v[38:39], v[14:15], v[5:6], -v[44:45]
	v_fma_f64 v[40:41], v[16:17], v[5:6], v[7:8]
	v_fma_f64 v[24:25], v[24:25], v[28:29], -v[34:35]
	v_fma_f64 v[26:27], v[26:27], v[28:29], v[36:37]
	v_add_f64 v[22:23], v[22:23], v[18:19]
	v_add_f64 v[42:43], v[32:33], v[20:21]
	ds_load_b128 v[5:8], v10 offset:2048
	ds_load_b128 v[14:17], v11 offset:128
	;; [unrolled: 1-line block ×4, first 2 shown]
	s_waitcnt lgkmcnt(2)
	v_mul_f64 v[44:45], v[16:17], v[7:8]
	v_mul_f64 v[7:8], v[14:15], v[7:8]
	s_waitcnt lgkmcnt(0)
	v_mul_f64 v[34:35], v[20:21], v[32:33]
	v_mul_f64 v[32:33], v[18:19], v[32:33]
	v_add_f64 v[22:23], v[22:23], v[38:39]
	v_add_f64 v[28:29], v[42:43], v[40:41]
	v_fma_f64 v[36:37], v[14:15], v[5:6], -v[44:45]
	v_fma_f64 v[38:39], v[16:17], v[5:6], v[7:8]
	v_fma_f64 v[18:19], v[18:19], v[30:31], -v[34:35]
	v_fma_f64 v[20:21], v[20:21], v[30:31], v[32:33]
	v_add_f64 v[40:41], v[22:23], v[24:25]
	v_add_f64 v[42:43], v[28:29], v[26:27]
	ds_load_b128 v[5:8], v10 offset:2560
	ds_load_b128 v[14:17], v11 offset:160
	;; [unrolled: 1-line block ×4, first 2 shown]
	s_waitcnt lgkmcnt(2)
	v_mul_f64 v[44:45], v[16:17], v[7:8]
	v_mul_f64 v[7:8], v[14:15], v[7:8]
	s_waitcnt lgkmcnt(0)
	v_mul_f64 v[34:35], v[24:25], v[28:29]
	v_add_f64 v[30:31], v[40:41], v[36:37]
	v_add_f64 v[32:33], v[42:43], v[38:39]
	v_mul_f64 v[36:37], v[22:23], v[28:29]
	v_fma_f64 v[38:39], v[14:15], v[5:6], -v[44:45]
	v_fma_f64 v[40:41], v[16:17], v[5:6], v[7:8]
	v_fma_f64 v[22:23], v[22:23], v[26:27], -v[34:35]
	v_add_f64 v[42:43], v[30:31], v[18:19]
	v_add_f64 v[32:33], v[32:33], v[20:21]
	ds_load_b128 v[5:8], v10 offset:3072
	ds_load_b128 v[14:17], v11 offset:192
	ds_load_b128 v[18:21], v11 offset:208
	ds_load_b128 v[28:31], v10 offset:3328
	v_fma_f64 v[24:25], v[24:25], v[26:27], v[36:37]
	s_waitcnt lgkmcnt(2)
	v_mul_f64 v[44:45], v[16:17], v[7:8]
	v_mul_f64 v[7:8], v[14:15], v[7:8]
	s_waitcnt lgkmcnt(0)
	v_mul_f64 v[34:35], v[20:21], v[30:31]
	v_mul_f64 v[36:37], v[18:19], v[30:31]
	v_add_f64 v[26:27], v[42:43], v[38:39]
	v_add_f64 v[32:33], v[32:33], v[40:41]
	v_fma_f64 v[38:39], v[14:15], v[5:6], -v[44:45]
	v_fma_f64 v[40:41], v[16:17], v[5:6], v[7:8]
	v_fma_f64 v[18:19], v[18:19], v[28:29], -v[34:35]
	v_fma_f64 v[20:21], v[20:21], v[28:29], v[36:37]
	v_add_f64 v[26:27], v[26:27], v[22:23]
	v_add_f64 v[42:43], v[32:33], v[24:25]
	ds_load_b128 v[5:8], v10 offset:3584
	ds_load_b128 v[14:17], v11 offset:224
	;; [unrolled: 1-line block ×4, first 2 shown]
	s_waitcnt lgkmcnt(0)
	s_barrier
	buffer_gl0_inv
	v_mul_f64 v[44:45], v[16:17], v[7:8]
	v_mul_f64 v[7:8], v[14:15], v[7:8]
	;; [unrolled: 1-line block ×4, first 2 shown]
	v_add_f64 v[26:27], v[26:27], v[38:39]
	v_add_f64 v[28:29], v[42:43], v[40:41]
	v_fma_f64 v[14:15], v[14:15], v[5:6], -v[44:45]
	v_fma_f64 v[5:6], v[16:17], v[5:6], v[7:8]
	s_delay_alu instid0(VALU_DEP_4) | instskip(NEXT) | instid1(VALU_DEP_4)
	v_add_f64 v[7:8], v[26:27], v[18:19]
	v_add_f64 v[16:17], v[28:29], v[20:21]
	v_fma_f64 v[18:19], v[22:23], v[30:31], -v[34:35]
	v_fma_f64 v[20:21], v[24:25], v[30:31], v[32:33]
	s_delay_alu instid0(VALU_DEP_4) | instskip(NEXT) | instid1(VALU_DEP_4)
	v_add_f64 v[7:8], v[7:8], v[14:15]
	v_add_f64 v[5:6], v[16:17], v[5:6]
	s_delay_alu instid0(VALU_DEP_2) | instskip(NEXT) | instid1(VALU_DEP_2)
	v_add_f64 v[7:8], v[7:8], v[18:19]
	v_add_f64 v[5:6], v[5:6], v[20:21]
	s_cbranch_scc1 .LBB427_2
.LBB427_3:
	s_mov_b32 s2, exec_lo
	v_cmpx_le_i32_e64 v0, v9
	s_cbranch_execz .LBB427_5
; %bb.4:
	s_delay_alu instid0(VALU_DEP_2)
	v_mul_f64 v[1:2], s[4:5], v[5:6]
	v_mul_f64 v[3:4], s[6:7], v[5:6]
	s_clause 0x2
	s_load_b32 s8, s[0:1], 0x60
	s_load_b64 s[2:3], s[0:1], 0x68
	s_load_b64 s[0:1], s[0:1], 0x58
	s_waitcnt lgkmcnt(0)
	s_mul_i32 s3, s15, s3
	s_delay_alu instid0(VALU_DEP_2) | instskip(NEXT) | instid1(VALU_DEP_2)
	v_fma_f64 v[10:11], s[6:7], v[7:8], v[1:2]
	v_fma_f64 v[2:3], s[4:5], v[7:8], -v[3:4]
	v_mad_i64_i32 v[4:5], null, s8, v9, 0
	s_mul_hi_u32 s4, s15, s2
	s_mul_i32 s2, s15, s2
	s_add_i32 s3, s4, s3
	v_ashrrev_i32_e32 v1, 31, v0
	s_lshl_b64 s[2:3], s[2:3], 4
	s_delay_alu instid0(VALU_DEP_2) | instskip(SKIP_1) | instid1(VALU_DEP_2)
	v_lshlrev_b64 v[4:5], 4, v[4:5]
	s_add_u32 s0, s0, s2
	v_lshlrev_b64 v[6:7], 4, v[0:1]
	s_addc_u32 s1, s1, s3
	s_delay_alu instid0(VALU_DEP_2) | instskip(NEXT) | instid1(VALU_DEP_3)
	v_add_co_u32 v1, vcc_lo, s0, v4
	v_add_co_ci_u32_e32 v4, vcc_lo, s1, v5, vcc_lo
	v_cmp_ne_u32_e32 vcc_lo, v0, v9
	s_delay_alu instid0(VALU_DEP_3) | instskip(NEXT) | instid1(VALU_DEP_1)
	v_add_co_u32 v0, s0, v1, v6
	v_add_co_ci_u32_e64 v1, s0, v4, v7, s0
	v_dual_cndmask_b32 v5, 0, v11 :: v_dual_cndmask_b32 v4, 0, v10
	global_store_b128 v[0:1], v[2:5], off
.LBB427_5:
	s_nop 0
	s_sendmsg sendmsg(MSG_DEALLOC_VGPRS)
	s_endpgm
	.section	.rodata,"a",@progbits
	.p2align	6, 0x0
	.amdhsa_kernel _ZL41rocblas_syrkx_herkx_small_restrict_kernelIi19rocblas_complex_numIdELi16ELb1ELb1ELc67ELc85EKS1_S1_EviT_T0_PT6_S3_lS6_S3_lS4_PT7_S3_li
		.amdhsa_group_segment_fixed_size 8192
		.amdhsa_private_segment_fixed_size 0
		.amdhsa_kernarg_size 116
		.amdhsa_user_sgpr_count 13
		.amdhsa_user_sgpr_dispatch_ptr 0
		.amdhsa_user_sgpr_queue_ptr 0
		.amdhsa_user_sgpr_kernarg_segment_ptr 1
		.amdhsa_user_sgpr_dispatch_id 0
		.amdhsa_user_sgpr_private_segment_size 0
		.amdhsa_wavefront_size32 1
		.amdhsa_uses_dynamic_stack 0
		.amdhsa_enable_private_segment 0
		.amdhsa_system_sgpr_workgroup_id_x 1
		.amdhsa_system_sgpr_workgroup_id_y 1
		.amdhsa_system_sgpr_workgroup_id_z 1
		.amdhsa_system_sgpr_workgroup_info 0
		.amdhsa_system_vgpr_workitem_id 1
		.amdhsa_next_free_vgpr 46
		.amdhsa_next_free_sgpr 19
		.amdhsa_reserve_vcc 1
		.amdhsa_float_round_mode_32 0
		.amdhsa_float_round_mode_16_64 0
		.amdhsa_float_denorm_mode_32 3
		.amdhsa_float_denorm_mode_16_64 3
		.amdhsa_dx10_clamp 1
		.amdhsa_ieee_mode 1
		.amdhsa_fp16_overflow 0
		.amdhsa_workgroup_processor_mode 1
		.amdhsa_memory_ordered 1
		.amdhsa_forward_progress 0
		.amdhsa_shared_vgpr_count 0
		.amdhsa_exception_fp_ieee_invalid_op 0
		.amdhsa_exception_fp_denorm_src 0
		.amdhsa_exception_fp_ieee_div_zero 0
		.amdhsa_exception_fp_ieee_overflow 0
		.amdhsa_exception_fp_ieee_underflow 0
		.amdhsa_exception_fp_ieee_inexact 0
		.amdhsa_exception_int_div_zero 0
	.end_amdhsa_kernel
	.section	.text._ZL41rocblas_syrkx_herkx_small_restrict_kernelIi19rocblas_complex_numIdELi16ELb1ELb1ELc67ELc85EKS1_S1_EviT_T0_PT6_S3_lS6_S3_lS4_PT7_S3_li,"axG",@progbits,_ZL41rocblas_syrkx_herkx_small_restrict_kernelIi19rocblas_complex_numIdELi16ELb1ELb1ELc67ELc85EKS1_S1_EviT_T0_PT6_S3_lS6_S3_lS4_PT7_S3_li,comdat
.Lfunc_end427:
	.size	_ZL41rocblas_syrkx_herkx_small_restrict_kernelIi19rocblas_complex_numIdELi16ELb1ELb1ELc67ELc85EKS1_S1_EviT_T0_PT6_S3_lS6_S3_lS4_PT7_S3_li, .Lfunc_end427-_ZL41rocblas_syrkx_herkx_small_restrict_kernelIi19rocblas_complex_numIdELi16ELb1ELb1ELc67ELc85EKS1_S1_EviT_T0_PT6_S3_lS6_S3_lS4_PT7_S3_li
                                        ; -- End function
	.section	.AMDGPU.csdata,"",@progbits
; Kernel info:
; codeLenInByte = 1796
; NumSgprs: 21
; NumVgprs: 46
; ScratchSize: 0
; MemoryBound: 0
; FloatMode: 240
; IeeeMode: 1
; LDSByteSize: 8192 bytes/workgroup (compile time only)
; SGPRBlocks: 2
; VGPRBlocks: 5
; NumSGPRsForWavesPerEU: 21
; NumVGPRsForWavesPerEU: 46
; Occupancy: 16
; WaveLimiterHint : 0
; COMPUTE_PGM_RSRC2:SCRATCH_EN: 0
; COMPUTE_PGM_RSRC2:USER_SGPR: 13
; COMPUTE_PGM_RSRC2:TRAP_HANDLER: 0
; COMPUTE_PGM_RSRC2:TGID_X_EN: 1
; COMPUTE_PGM_RSRC2:TGID_Y_EN: 1
; COMPUTE_PGM_RSRC2:TGID_Z_EN: 1
; COMPUTE_PGM_RSRC2:TIDIG_COMP_CNT: 1
	.section	.text._ZL41rocblas_syrkx_herkx_small_restrict_kernelIi19rocblas_complex_numIdELi16ELb1ELb1ELc78ELc85EKS1_S1_EviT_T0_PT6_S3_lS6_S3_lS4_PT7_S3_li,"axG",@progbits,_ZL41rocblas_syrkx_herkx_small_restrict_kernelIi19rocblas_complex_numIdELi16ELb1ELb1ELc78ELc85EKS1_S1_EviT_T0_PT6_S3_lS6_S3_lS4_PT7_S3_li,comdat
	.globl	_ZL41rocblas_syrkx_herkx_small_restrict_kernelIi19rocblas_complex_numIdELi16ELb1ELb1ELc78ELc85EKS1_S1_EviT_T0_PT6_S3_lS6_S3_lS4_PT7_S3_li ; -- Begin function _ZL41rocblas_syrkx_herkx_small_restrict_kernelIi19rocblas_complex_numIdELi16ELb1ELb1ELc78ELc85EKS1_S1_EviT_T0_PT6_S3_lS6_S3_lS4_PT7_S3_li
	.p2align	8
	.type	_ZL41rocblas_syrkx_herkx_small_restrict_kernelIi19rocblas_complex_numIdELi16ELb1ELb1ELc78ELc85EKS1_S1_EviT_T0_PT6_S3_lS6_S3_lS4_PT7_S3_li,@function
_ZL41rocblas_syrkx_herkx_small_restrict_kernelIi19rocblas_complex_numIdELi16ELb1ELb1ELc78ELc85EKS1_S1_EviT_T0_PT6_S3_lS6_S3_lS4_PT7_S3_li: ; @_ZL41rocblas_syrkx_herkx_small_restrict_kernelIi19rocblas_complex_numIdELi16ELb1ELb1ELc78ELc85EKS1_S1_EviT_T0_PT6_S3_lS6_S3_lS4_PT7_S3_li
; %bb.0:
	s_clause 0x2
	s_load_b32 s12, s[0:1], 0x4
	s_load_b128 s[4:7], s[0:1], 0x8
	s_load_b64 s[2:3], s[0:1], 0x18
	v_and_b32_e32 v5, 0x3ff, v0
	v_mov_b32_e32 v7, 0
	v_mov_b32_e32 v8, 0
	v_bfe_u32 v4, v0, 10, 10
	s_delay_alu instid0(VALU_DEP_4) | instskip(SKIP_1) | instid1(VALU_DEP_3)
	v_lshl_add_u32 v0, s13, 4, v5
	s_mov_b32 s13, 0
	v_dual_mov_b32 v10, v8 :: v_dual_mov_b32 v9, v7
	s_delay_alu instid0(VALU_DEP_3) | instskip(NEXT) | instid1(VALU_DEP_3)
	v_lshl_add_u32 v2, s14, 4, v4
	v_ashrrev_i32_e32 v1, 31, v0
	s_waitcnt lgkmcnt(0)
	s_cmp_lt_i32 s12, 1
	s_cbranch_scc1 .LBB428_3
; %bb.1:
	s_clause 0x3
	s_load_b32 s16, s[0:1], 0x38
	s_load_b64 s[18:19], s[0:1], 0x40
	s_load_b128 s[8:11], s[0:1], 0x28
	s_load_b32 s20, s[0:1], 0x20
	v_lshlrev_b32_e32 v8, 8, v4
	v_lshlrev_b32_e32 v11, 4, v5
	v_ashrrev_i32_e32 v3, 31, v2
	v_lshlrev_b64 v[6:7], 4, v[0:1]
	s_delay_alu instid0(VALU_DEP_4) | instskip(NEXT) | instid1(VALU_DEP_4)
	v_add_nc_u32_e32 v12, 0x1000, v8
	v_add_nc_u32_e32 v13, v11, v8
	s_delay_alu instid0(VALU_DEP_4)
	v_lshlrev_b64 v[8:9], 4, v[2:3]
	s_waitcnt lgkmcnt(0)
	v_mad_i64_i32 v[15:16], null, s16, v5, 0
	s_mul_i32 s14, s19, s15
	s_mul_hi_u32 s19, s18, s15
	v_mad_i64_i32 v[17:18], null, s20, v4, 0
	s_mul_i32 s18, s18, s15
	s_add_i32 s19, s19, s14
	s_delay_alu instid0(VALU_DEP_2)
	v_lshlrev_b64 v[3:4], 4, v[15:16]
	s_lshl_b64 s[18:19], s[18:19], 4
	s_mul_i32 s9, s9, s15
	s_mul_hi_u32 s21, s8, s15
	s_mul_i32 s8, s8, s15
	s_add_i32 s9, s21, s9
	v_add_co_u32 v5, vcc_lo, s18, v3
	v_add_co_ci_u32_e32 v10, vcc_lo, s19, v4, vcc_lo
	v_lshlrev_b64 v[3:4], 4, v[17:18]
	s_delay_alu instid0(VALU_DEP_3) | instskip(SKIP_1) | instid1(VALU_DEP_3)
	v_add_co_u32 v5, vcc_lo, v5, v8
	s_lshl_b64 s[8:9], s[8:9], 4
	v_add_co_ci_u32_e32 v8, vcc_lo, v10, v9, vcc_lo
	s_delay_alu instid0(VALU_DEP_3) | instskip(NEXT) | instid1(VALU_DEP_4)
	v_add_co_u32 v3, vcc_lo, s8, v3
	v_add_co_ci_u32_e32 v4, vcc_lo, s9, v4, vcc_lo
	v_add_co_u32 v5, vcc_lo, v5, s10
	s_delay_alu instid0(VALU_DEP_4) | instskip(NEXT) | instid1(VALU_DEP_4)
	v_add_co_ci_u32_e32 v9, vcc_lo, s11, v8, vcc_lo
	v_add_co_u32 v6, vcc_lo, v3, v6
	s_delay_alu instid0(VALU_DEP_4)
	v_add_co_ci_u32_e32 v10, vcc_lo, v4, v7, vcc_lo
	v_mov_b32_e32 v7, 0
	v_mov_b32_e32 v8, 0
	v_add_co_u32 v3, vcc_lo, v5, 8
	v_add_co_ci_u32_e32 v4, vcc_lo, 0, v9, vcc_lo
	v_add_co_u32 v5, vcc_lo, s2, v6
	v_add_co_ci_u32_e32 v6, vcc_lo, s3, v10, vcc_lo
	v_mov_b32_e32 v10, v8
	v_dual_mov_b32 v9, v7 :: v_dual_add_nc_u32 v14, v12, v11
	s_ashr_i32 s17, s16, 31
	s_ashr_i32 s21, s20, 31
	s_lshl_b64 s[2:3], s[16:17], 8
	s_lshl_b64 s[8:9], s[20:21], 8
.LBB428_2:                              ; =>This Inner Loop Header: Depth=1
	global_load_b128 v[15:18], v[3:4], off offset:-8
	global_load_b128 v[19:22], v[5:6], off
	v_add_co_u32 v3, vcc_lo, v3, s2
	v_add_co_ci_u32_e32 v4, vcc_lo, s3, v4, vcc_lo
	v_add_co_u32 v5, vcc_lo, v5, s8
	v_add_co_ci_u32_e32 v6, vcc_lo, s9, v6, vcc_lo
	s_add_i32 s13, s13, 16
	s_delay_alu instid0(SALU_CYCLE_1)
	s_cmp_lt_i32 s13, s12
	s_waitcnt vmcnt(1)
	v_xor_b32_e32 v18, 0x80000000, v18
	s_waitcnt vmcnt(0)
	ds_store_2addr_b64 v13, v[19:20], v[21:22] offset1:1
	ds_store_b128 v14, v[15:18]
	s_waitcnt lgkmcnt(0)
	s_barrier
	buffer_gl0_inv
	ds_load_b128 v[15:18], v11
	ds_load_b128 v[19:22], v12
	ds_load_b128 v[23:26], v12 offset:16
	ds_load_b128 v[27:30], v11 offset:256
	s_waitcnt lgkmcnt(2)
	v_mul_f64 v[31:32], v[21:22], v[17:18]
	v_mul_f64 v[17:18], v[19:20], v[17:18]
	s_waitcnt lgkmcnt(0)
	v_mul_f64 v[37:38], v[25:26], v[29:30]
	v_mul_f64 v[39:40], v[23:24], v[29:30]
	s_delay_alu instid0(VALU_DEP_4) | instskip(NEXT) | instid1(VALU_DEP_4)
	v_fma_f64 v[41:42], v[19:20], v[15:16], -v[31:32]
	v_fma_f64 v[43:44], v[21:22], v[15:16], v[17:18]
	ds_load_b128 v[15:18], v11 offset:512
	ds_load_b128 v[19:22], v12 offset:32
	;; [unrolled: 1-line block ×4, first 2 shown]
	v_fma_f64 v[23:24], v[23:24], v[27:28], -v[37:38]
	v_fma_f64 v[25:26], v[25:26], v[27:28], v[39:40]
	s_waitcnt lgkmcnt(2)
	v_mul_f64 v[45:46], v[21:22], v[17:18]
	v_mul_f64 v[17:18], v[19:20], v[17:18]
	s_waitcnt lgkmcnt(0)
	v_mul_f64 v[27:28], v[31:32], v[35:36]
	v_mul_f64 v[35:36], v[29:30], v[35:36]
	v_add_f64 v[9:10], v[9:10], v[41:42]
	v_add_f64 v[7:8], v[7:8], v[43:44]
	v_fma_f64 v[37:38], v[19:20], v[15:16], -v[45:46]
	v_fma_f64 v[39:40], v[21:22], v[15:16], v[17:18]
	v_fma_f64 v[27:28], v[29:30], v[33:34], -v[27:28]
	v_fma_f64 v[29:30], v[31:32], v[33:34], v[35:36]
	v_add_f64 v[41:42], v[9:10], v[23:24]
	v_add_f64 v[43:44], v[7:8], v[25:26]
	ds_load_b128 v[7:10], v11 offset:1024
	ds_load_b128 v[15:18], v12 offset:64
	;; [unrolled: 1-line block ×4, first 2 shown]
	s_waitcnt lgkmcnt(2)
	v_mul_f64 v[45:46], v[17:18], v[9:10]
	v_mul_f64 v[9:10], v[15:16], v[9:10]
	s_waitcnt lgkmcnt(0)
	v_mul_f64 v[35:36], v[21:22], v[25:26]
	v_add_f64 v[31:32], v[41:42], v[37:38]
	v_add_f64 v[33:34], v[43:44], v[39:40]
	v_mul_f64 v[37:38], v[19:20], v[25:26]
	v_fma_f64 v[39:40], v[15:16], v[7:8], -v[45:46]
	v_fma_f64 v[41:42], v[17:18], v[7:8], v[9:10]
	v_fma_f64 v[19:20], v[19:20], v[23:24], -v[35:36]
	v_add_f64 v[43:44], v[31:32], v[27:28]
	v_add_f64 v[33:34], v[33:34], v[29:30]
	ds_load_b128 v[7:10], v11 offset:1536
	ds_load_b128 v[15:18], v12 offset:96
	ds_load_b128 v[25:28], v12 offset:112
	ds_load_b128 v[29:32], v11 offset:1792
	v_fma_f64 v[21:22], v[21:22], v[23:24], v[37:38]
	s_waitcnt lgkmcnt(2)
	v_mul_f64 v[45:46], v[17:18], v[9:10]
	v_mul_f64 v[9:10], v[15:16], v[9:10]
	s_waitcnt lgkmcnt(0)
	v_mul_f64 v[35:36], v[27:28], v[31:32]
	v_mul_f64 v[37:38], v[25:26], v[31:32]
	v_add_f64 v[23:24], v[43:44], v[39:40]
	v_add_f64 v[33:34], v[33:34], v[41:42]
	v_fma_f64 v[39:40], v[15:16], v[7:8], -v[45:46]
	v_fma_f64 v[41:42], v[17:18], v[7:8], v[9:10]
	v_fma_f64 v[25:26], v[25:26], v[29:30], -v[35:36]
	v_fma_f64 v[27:28], v[27:28], v[29:30], v[37:38]
	v_add_f64 v[23:24], v[23:24], v[19:20]
	v_add_f64 v[43:44], v[33:34], v[21:22]
	ds_load_b128 v[7:10], v11 offset:2048
	ds_load_b128 v[15:18], v12 offset:128
	;; [unrolled: 1-line block ×4, first 2 shown]
	s_waitcnt lgkmcnt(2)
	v_mul_f64 v[45:46], v[17:18], v[9:10]
	v_mul_f64 v[9:10], v[15:16], v[9:10]
	s_waitcnt lgkmcnt(0)
	v_mul_f64 v[35:36], v[21:22], v[33:34]
	v_mul_f64 v[33:34], v[19:20], v[33:34]
	v_add_f64 v[23:24], v[23:24], v[39:40]
	v_add_f64 v[29:30], v[43:44], v[41:42]
	v_fma_f64 v[37:38], v[15:16], v[7:8], -v[45:46]
	v_fma_f64 v[39:40], v[17:18], v[7:8], v[9:10]
	v_fma_f64 v[19:20], v[19:20], v[31:32], -v[35:36]
	v_fma_f64 v[21:22], v[21:22], v[31:32], v[33:34]
	v_add_f64 v[41:42], v[23:24], v[25:26]
	v_add_f64 v[43:44], v[29:30], v[27:28]
	ds_load_b128 v[7:10], v11 offset:2560
	ds_load_b128 v[15:18], v12 offset:160
	;; [unrolled: 1-line block ×4, first 2 shown]
	s_waitcnt lgkmcnt(2)
	v_mul_f64 v[45:46], v[17:18], v[9:10]
	v_mul_f64 v[9:10], v[15:16], v[9:10]
	s_waitcnt lgkmcnt(0)
	v_mul_f64 v[35:36], v[25:26], v[29:30]
	v_add_f64 v[31:32], v[41:42], v[37:38]
	v_add_f64 v[33:34], v[43:44], v[39:40]
	v_mul_f64 v[37:38], v[23:24], v[29:30]
	v_fma_f64 v[39:40], v[15:16], v[7:8], -v[45:46]
	v_fma_f64 v[41:42], v[17:18], v[7:8], v[9:10]
	v_fma_f64 v[23:24], v[23:24], v[27:28], -v[35:36]
	v_add_f64 v[43:44], v[31:32], v[19:20]
	v_add_f64 v[33:34], v[33:34], v[21:22]
	ds_load_b128 v[7:10], v11 offset:3072
	ds_load_b128 v[15:18], v12 offset:192
	;; [unrolled: 1-line block ×4, first 2 shown]
	v_fma_f64 v[25:26], v[25:26], v[27:28], v[37:38]
	s_waitcnt lgkmcnt(2)
	v_mul_f64 v[45:46], v[17:18], v[9:10]
	v_mul_f64 v[9:10], v[15:16], v[9:10]
	s_waitcnt lgkmcnt(0)
	v_mul_f64 v[35:36], v[21:22], v[31:32]
	v_mul_f64 v[37:38], v[19:20], v[31:32]
	v_add_f64 v[27:28], v[43:44], v[39:40]
	v_add_f64 v[33:34], v[33:34], v[41:42]
	v_fma_f64 v[39:40], v[15:16], v[7:8], -v[45:46]
	v_fma_f64 v[41:42], v[17:18], v[7:8], v[9:10]
	v_fma_f64 v[19:20], v[19:20], v[29:30], -v[35:36]
	v_fma_f64 v[21:22], v[21:22], v[29:30], v[37:38]
	v_add_f64 v[27:28], v[27:28], v[23:24]
	v_add_f64 v[43:44], v[33:34], v[25:26]
	ds_load_b128 v[7:10], v11 offset:3584
	ds_load_b128 v[15:18], v12 offset:224
	;; [unrolled: 1-line block ×4, first 2 shown]
	s_waitcnt lgkmcnt(0)
	s_barrier
	buffer_gl0_inv
	v_mul_f64 v[45:46], v[17:18], v[9:10]
	v_mul_f64 v[9:10], v[15:16], v[9:10]
	;; [unrolled: 1-line block ×4, first 2 shown]
	v_add_f64 v[27:28], v[27:28], v[39:40]
	v_add_f64 v[29:30], v[43:44], v[41:42]
	v_fma_f64 v[15:16], v[15:16], v[7:8], -v[45:46]
	v_fma_f64 v[7:8], v[17:18], v[7:8], v[9:10]
	s_delay_alu instid0(VALU_DEP_4) | instskip(NEXT) | instid1(VALU_DEP_4)
	v_add_f64 v[9:10], v[27:28], v[19:20]
	v_add_f64 v[17:18], v[29:30], v[21:22]
	v_fma_f64 v[19:20], v[23:24], v[31:32], -v[35:36]
	v_fma_f64 v[21:22], v[25:26], v[31:32], v[33:34]
	s_delay_alu instid0(VALU_DEP_4) | instskip(NEXT) | instid1(VALU_DEP_4)
	v_add_f64 v[9:10], v[9:10], v[15:16]
	v_add_f64 v[7:8], v[17:18], v[7:8]
	s_delay_alu instid0(VALU_DEP_2) | instskip(NEXT) | instid1(VALU_DEP_2)
	v_add_f64 v[9:10], v[9:10], v[19:20]
	v_add_f64 v[7:8], v[7:8], v[21:22]
	s_cbranch_scc1 .LBB428_2
.LBB428_3:
	s_mov_b32 s2, exec_lo
	v_cmpx_le_i32_e64 v0, v2
	s_cbranch_execz .LBB428_5
; %bb.4:
	s_delay_alu instid0(VALU_DEP_2)
	v_mul_f64 v[3:4], s[4:5], v[7:8]
	v_mul_f64 v[5:6], s[6:7], v[7:8]
	s_clause 0x2
	s_load_b32 s8, s[0:1], 0x60
	s_load_b64 s[2:3], s[0:1], 0x68
	s_load_b64 s[0:1], s[0:1], 0x58
	s_waitcnt lgkmcnt(0)
	s_mul_i32 s3, s15, s3
	s_delay_alu instid0(VALU_DEP_2) | instskip(NEXT) | instid1(VALU_DEP_2)
	v_fma_f64 v[7:8], s[6:7], v[9:10], v[3:4]
	v_fma_f64 v[3:4], s[4:5], v[9:10], -v[5:6]
	v_mad_i64_i32 v[5:6], null, s8, v2, 0
	s_mul_hi_u32 s4, s15, s2
	s_mul_i32 s2, s15, s2
	s_add_i32 s3, s4, s3
	v_lshlrev_b64 v[9:10], 4, v[0:1]
	s_lshl_b64 s[2:3], s[2:3], 4
	s_delay_alu instid0(VALU_DEP_2) | instskip(SKIP_2) | instid1(VALU_DEP_1)
	v_lshlrev_b64 v[5:6], 4, v[5:6]
	s_add_u32 s0, s0, s2
	s_addc_u32 s1, s1, s3
	v_add_co_u32 v1, vcc_lo, s0, v5
	s_delay_alu instid0(VALU_DEP_2) | instskip(SKIP_1) | instid1(VALU_DEP_3)
	v_add_co_ci_u32_e32 v5, vcc_lo, s1, v6, vcc_lo
	v_cmp_ne_u32_e32 vcc_lo, v0, v2
	v_add_co_u32 v0, s0, v1, v9
	s_delay_alu instid0(VALU_DEP_1)
	v_add_co_ci_u32_e64 v1, s0, v5, v10, s0
	v_dual_cndmask_b32 v6, 0, v8 :: v_dual_cndmask_b32 v5, 0, v7
	global_store_b128 v[0:1], v[3:6], off
.LBB428_5:
	s_nop 0
	s_sendmsg sendmsg(MSG_DEALLOC_VGPRS)
	s_endpgm
	.section	.rodata,"a",@progbits
	.p2align	6, 0x0
	.amdhsa_kernel _ZL41rocblas_syrkx_herkx_small_restrict_kernelIi19rocblas_complex_numIdELi16ELb1ELb1ELc78ELc85EKS1_S1_EviT_T0_PT6_S3_lS6_S3_lS4_PT7_S3_li
		.amdhsa_group_segment_fixed_size 8192
		.amdhsa_private_segment_fixed_size 0
		.amdhsa_kernarg_size 116
		.amdhsa_user_sgpr_count 13
		.amdhsa_user_sgpr_dispatch_ptr 0
		.amdhsa_user_sgpr_queue_ptr 0
		.amdhsa_user_sgpr_kernarg_segment_ptr 1
		.amdhsa_user_sgpr_dispatch_id 0
		.amdhsa_user_sgpr_private_segment_size 0
		.amdhsa_wavefront_size32 1
		.amdhsa_uses_dynamic_stack 0
		.amdhsa_enable_private_segment 0
		.amdhsa_system_sgpr_workgroup_id_x 1
		.amdhsa_system_sgpr_workgroup_id_y 1
		.amdhsa_system_sgpr_workgroup_id_z 1
		.amdhsa_system_sgpr_workgroup_info 0
		.amdhsa_system_vgpr_workitem_id 1
		.amdhsa_next_free_vgpr 47
		.amdhsa_next_free_sgpr 22
		.amdhsa_reserve_vcc 1
		.amdhsa_float_round_mode_32 0
		.amdhsa_float_round_mode_16_64 0
		.amdhsa_float_denorm_mode_32 3
		.amdhsa_float_denorm_mode_16_64 3
		.amdhsa_dx10_clamp 1
		.amdhsa_ieee_mode 1
		.amdhsa_fp16_overflow 0
		.amdhsa_workgroup_processor_mode 1
		.amdhsa_memory_ordered 1
		.amdhsa_forward_progress 0
		.amdhsa_shared_vgpr_count 0
		.amdhsa_exception_fp_ieee_invalid_op 0
		.amdhsa_exception_fp_denorm_src 0
		.amdhsa_exception_fp_ieee_div_zero 0
		.amdhsa_exception_fp_ieee_overflow 0
		.amdhsa_exception_fp_ieee_underflow 0
		.amdhsa_exception_fp_ieee_inexact 0
		.amdhsa_exception_int_div_zero 0
	.end_amdhsa_kernel
	.section	.text._ZL41rocblas_syrkx_herkx_small_restrict_kernelIi19rocblas_complex_numIdELi16ELb1ELb1ELc78ELc85EKS1_S1_EviT_T0_PT6_S3_lS6_S3_lS4_PT7_S3_li,"axG",@progbits,_ZL41rocblas_syrkx_herkx_small_restrict_kernelIi19rocblas_complex_numIdELi16ELb1ELb1ELc78ELc85EKS1_S1_EviT_T0_PT6_S3_lS6_S3_lS4_PT7_S3_li,comdat
.Lfunc_end428:
	.size	_ZL41rocblas_syrkx_herkx_small_restrict_kernelIi19rocblas_complex_numIdELi16ELb1ELb1ELc78ELc85EKS1_S1_EviT_T0_PT6_S3_lS6_S3_lS4_PT7_S3_li, .Lfunc_end428-_ZL41rocblas_syrkx_herkx_small_restrict_kernelIi19rocblas_complex_numIdELi16ELb1ELb1ELc78ELc85EKS1_S1_EviT_T0_PT6_S3_lS6_S3_lS4_PT7_S3_li
                                        ; -- End function
	.section	.AMDGPU.csdata,"",@progbits
; Kernel info:
; codeLenInByte = 1832
; NumSgprs: 24
; NumVgprs: 47
; ScratchSize: 0
; MemoryBound: 0
; FloatMode: 240
; IeeeMode: 1
; LDSByteSize: 8192 bytes/workgroup (compile time only)
; SGPRBlocks: 2
; VGPRBlocks: 5
; NumSGPRsForWavesPerEU: 24
; NumVGPRsForWavesPerEU: 47
; Occupancy: 16
; WaveLimiterHint : 0
; COMPUTE_PGM_RSRC2:SCRATCH_EN: 0
; COMPUTE_PGM_RSRC2:USER_SGPR: 13
; COMPUTE_PGM_RSRC2:TRAP_HANDLER: 0
; COMPUTE_PGM_RSRC2:TGID_X_EN: 1
; COMPUTE_PGM_RSRC2:TGID_Y_EN: 1
; COMPUTE_PGM_RSRC2:TGID_Z_EN: 1
; COMPUTE_PGM_RSRC2:TIDIG_COMP_CNT: 1
	.section	.text._ZL41rocblas_syrkx_herkx_small_restrict_kernelIi19rocblas_complex_numIdELi16ELb0ELb1ELc84ELc76EKS1_S1_EviT_T0_PT6_S3_lS6_S3_lS4_PT7_S3_li,"axG",@progbits,_ZL41rocblas_syrkx_herkx_small_restrict_kernelIi19rocblas_complex_numIdELi16ELb0ELb1ELc84ELc76EKS1_S1_EviT_T0_PT6_S3_lS6_S3_lS4_PT7_S3_li,comdat
	.globl	_ZL41rocblas_syrkx_herkx_small_restrict_kernelIi19rocblas_complex_numIdELi16ELb0ELb1ELc84ELc76EKS1_S1_EviT_T0_PT6_S3_lS6_S3_lS4_PT7_S3_li ; -- Begin function _ZL41rocblas_syrkx_herkx_small_restrict_kernelIi19rocblas_complex_numIdELi16ELb0ELb1ELc84ELc76EKS1_S1_EviT_T0_PT6_S3_lS6_S3_lS4_PT7_S3_li
	.p2align	8
	.type	_ZL41rocblas_syrkx_herkx_small_restrict_kernelIi19rocblas_complex_numIdELi16ELb0ELb1ELc84ELc76EKS1_S1_EviT_T0_PT6_S3_lS6_S3_lS4_PT7_S3_li,@function
_ZL41rocblas_syrkx_herkx_small_restrict_kernelIi19rocblas_complex_numIdELi16ELb0ELb1ELc84ELc76EKS1_S1_EviT_T0_PT6_S3_lS6_S3_lS4_PT7_S3_li: ; @_ZL41rocblas_syrkx_herkx_small_restrict_kernelIi19rocblas_complex_numIdELi16ELb0ELb1ELc84ELc76EKS1_S1_EviT_T0_PT6_S3_lS6_S3_lS4_PT7_S3_li
; %bb.0:
	s_clause 0x3
	s_load_b32 s12, s[0:1], 0x4
	s_load_b128 s[16:19], s[0:1], 0x8
	s_load_b64 s[2:3], s[0:1], 0x18
	s_load_b256 s[4:11], s[0:1], 0x40
	v_dual_mov_b32 v5, 0 :: v_dual_and_b32 v2, 0x3ff, v0
	v_bfe_u32 v1, v0, 10, 10
	v_mov_b32_e32 v6, 0
	s_delay_alu instid0(VALU_DEP_3) | instskip(SKIP_1) | instid1(VALU_DEP_3)
	v_lshl_add_u32 v0, s13, 4, v2
	s_mov_b32 s13, 0
	v_lshl_add_u32 v9, s14, 4, v1
	s_delay_alu instid0(VALU_DEP_3)
	v_dual_mov_b32 v8, v6 :: v_dual_mov_b32 v7, v5
	s_waitcnt lgkmcnt(0)
	s_cmp_lt_i32 s12, 1
	s_cbranch_scc1 .LBB429_3
; %bb.1:
	s_clause 0x2
	s_load_b32 s14, s[0:1], 0x38
	s_load_b32 s24, s[0:1], 0x20
	s_load_b128 s[20:23], s[0:1], 0x28
	v_lshlrev_b32_e32 v3, 8, v1
	v_dual_mov_b32 v5, 0 :: v_dual_lshlrev_b32 v10, 4, v2
	v_dual_mov_b32 v6, 0 :: v_dual_lshlrev_b32 v7, 4, v1
	s_delay_alu instid0(VALU_DEP_3) | instskip(NEXT) | instid1(VALU_DEP_3)
	v_add_nc_u32_e32 v12, 0x1000, v3
	v_add_nc_u32_e32 v11, v10, v3
	s_mul_i32 s5, s5, s15
	s_mul_hi_u32 s25, s4, s15
	s_mul_i32 s4, s4, s15
	s_add_i32 s5, s25, s5
	s_delay_alu instid0(SALU_CYCLE_1)
	s_lshl_b64 s[4:5], s[4:5], 4
	s_waitcnt lgkmcnt(0)
	v_mad_i64_i32 v[1:2], null, s14, v9, 0
	v_mad_i64_i32 v[3:4], null, s24, v0, 0
	s_mul_i32 s14, s21, s15
	s_mul_hi_u32 s21, s20, s15
	s_mul_i32 s20, s20, s15
	s_add_i32 s21, s21, s14
	s_delay_alu instid0(VALU_DEP_2) | instskip(SKIP_1) | instid1(VALU_DEP_2)
	v_lshlrev_b64 v[1:2], 4, v[1:2]
	s_lshl_b64 s[20:21], s[20:21], 4
	v_lshlrev_b64 v[3:4], 4, v[3:4]
	s_delay_alu instid0(VALU_DEP_2) | instskip(NEXT) | instid1(VALU_DEP_3)
	v_add_co_u32 v1, vcc_lo, v1, s4
	v_add_co_ci_u32_e32 v2, vcc_lo, s5, v2, vcc_lo
	s_delay_alu instid0(VALU_DEP_3) | instskip(NEXT) | instid1(VALU_DEP_4)
	v_add_co_u32 v3, vcc_lo, v3, s20
	v_add_co_ci_u32_e32 v4, vcc_lo, s21, v4, vcc_lo
	s_delay_alu instid0(VALU_DEP_4) | instskip(NEXT) | instid1(VALU_DEP_4)
	v_add_co_u32 v1, vcc_lo, v1, v10
	v_add_co_ci_u32_e32 v2, vcc_lo, 0, v2, vcc_lo
	s_delay_alu instid0(VALU_DEP_4) | instskip(NEXT) | instid1(VALU_DEP_4)
	v_add_co_u32 v3, vcc_lo, v3, v7
	v_add_co_ci_u32_e32 v4, vcc_lo, 0, v4, vcc_lo
	s_delay_alu instid0(VALU_DEP_4) | instskip(NEXT) | instid1(VALU_DEP_4)
	v_add_co_u32 v1, vcc_lo, s22, v1
	v_add_co_ci_u32_e32 v2, vcc_lo, s23, v2, vcc_lo
	s_delay_alu instid0(VALU_DEP_4)
	v_add_co_u32 v3, vcc_lo, s2, v3
	v_dual_mov_b32 v8, v6 :: v_dual_mov_b32 v7, v5
	v_add_nc_u32_e32 v13, v12, v10
	v_add_co_ci_u32_e32 v4, vcc_lo, s3, v4, vcc_lo
.LBB429_2:                              ; =>This Inner Loop Header: Depth=1
	global_load_b128 v[14:17], v[3:4], off
	global_load_b128 v[18:21], v[1:2], off
	v_add_co_u32 v1, vcc_lo, 0x100, v1
	v_add_co_ci_u32_e32 v2, vcc_lo, 0, v2, vcc_lo
	v_add_co_u32 v3, vcc_lo, 0x100, v3
	v_add_co_ci_u32_e32 v4, vcc_lo, 0, v4, vcc_lo
	s_add_i32 s13, s13, 16
	s_waitcnt vmcnt(1)
	ds_store_2addr_b64 v11, v[14:15], v[16:17] offset1:1
	s_waitcnt vmcnt(0)
	ds_store_2addr_b64 v13, v[18:19], v[20:21] offset1:1
	s_waitcnt lgkmcnt(0)
	s_barrier
	buffer_gl0_inv
	ds_load_b128 v[14:17], v10
	ds_load_b128 v[18:21], v12
	ds_load_b128 v[22:25], v12 offset:16
	ds_load_b128 v[26:29], v10 offset:256
	s_cmp_lt_i32 s13, s12
	s_waitcnt lgkmcnt(2)
	v_mul_f64 v[30:31], v[20:21], v[16:17]
	v_mul_f64 v[16:17], v[18:19], v[16:17]
	s_waitcnt lgkmcnt(0)
	v_mul_f64 v[36:37], v[24:25], v[28:29]
	v_mul_f64 v[38:39], v[22:23], v[28:29]
	s_delay_alu instid0(VALU_DEP_4) | instskip(NEXT) | instid1(VALU_DEP_4)
	v_fma_f64 v[40:41], v[18:19], v[14:15], -v[30:31]
	v_fma_f64 v[42:43], v[20:21], v[14:15], v[16:17]
	ds_load_b128 v[14:17], v10 offset:512
	ds_load_b128 v[18:21], v12 offset:32
	;; [unrolled: 1-line block ×4, first 2 shown]
	v_fma_f64 v[22:23], v[22:23], v[26:27], -v[36:37]
	v_fma_f64 v[24:25], v[24:25], v[26:27], v[38:39]
	s_waitcnt lgkmcnt(2)
	v_mul_f64 v[44:45], v[20:21], v[16:17]
	v_mul_f64 v[16:17], v[18:19], v[16:17]
	s_waitcnt lgkmcnt(0)
	v_mul_f64 v[26:27], v[30:31], v[34:35]
	v_mul_f64 v[34:35], v[28:29], v[34:35]
	v_add_f64 v[7:8], v[7:8], v[40:41]
	v_add_f64 v[5:6], v[5:6], v[42:43]
	v_fma_f64 v[36:37], v[18:19], v[14:15], -v[44:45]
	v_fma_f64 v[38:39], v[20:21], v[14:15], v[16:17]
	v_fma_f64 v[26:27], v[28:29], v[32:33], -v[26:27]
	v_fma_f64 v[28:29], v[30:31], v[32:33], v[34:35]
	v_add_f64 v[40:41], v[7:8], v[22:23]
	v_add_f64 v[42:43], v[5:6], v[24:25]
	ds_load_b128 v[5:8], v10 offset:1024
	ds_load_b128 v[14:17], v12 offset:64
	;; [unrolled: 1-line block ×4, first 2 shown]
	s_waitcnt lgkmcnt(2)
	v_mul_f64 v[44:45], v[16:17], v[7:8]
	v_mul_f64 v[7:8], v[14:15], v[7:8]
	s_waitcnt lgkmcnt(0)
	v_mul_f64 v[34:35], v[20:21], v[24:25]
	v_add_f64 v[30:31], v[40:41], v[36:37]
	v_add_f64 v[32:33], v[42:43], v[38:39]
	v_mul_f64 v[36:37], v[18:19], v[24:25]
	v_fma_f64 v[38:39], v[14:15], v[5:6], -v[44:45]
	v_fma_f64 v[40:41], v[16:17], v[5:6], v[7:8]
	v_fma_f64 v[18:19], v[18:19], v[22:23], -v[34:35]
	v_add_f64 v[42:43], v[30:31], v[26:27]
	v_add_f64 v[32:33], v[32:33], v[28:29]
	ds_load_b128 v[5:8], v10 offset:1536
	ds_load_b128 v[14:17], v12 offset:96
	;; [unrolled: 1-line block ×4, first 2 shown]
	v_fma_f64 v[20:21], v[20:21], v[22:23], v[36:37]
	s_waitcnt lgkmcnt(2)
	v_mul_f64 v[44:45], v[16:17], v[7:8]
	v_mul_f64 v[7:8], v[14:15], v[7:8]
	s_waitcnt lgkmcnt(0)
	v_mul_f64 v[34:35], v[26:27], v[30:31]
	v_mul_f64 v[36:37], v[24:25], v[30:31]
	v_add_f64 v[22:23], v[42:43], v[38:39]
	v_add_f64 v[32:33], v[32:33], v[40:41]
	v_fma_f64 v[38:39], v[14:15], v[5:6], -v[44:45]
	v_fma_f64 v[40:41], v[16:17], v[5:6], v[7:8]
	v_fma_f64 v[24:25], v[24:25], v[28:29], -v[34:35]
	v_fma_f64 v[26:27], v[26:27], v[28:29], v[36:37]
	v_add_f64 v[22:23], v[22:23], v[18:19]
	v_add_f64 v[42:43], v[32:33], v[20:21]
	ds_load_b128 v[5:8], v10 offset:2048
	ds_load_b128 v[14:17], v12 offset:128
	;; [unrolled: 1-line block ×4, first 2 shown]
	s_waitcnt lgkmcnt(2)
	v_mul_f64 v[44:45], v[16:17], v[7:8]
	v_mul_f64 v[7:8], v[14:15], v[7:8]
	s_waitcnt lgkmcnt(0)
	v_mul_f64 v[34:35], v[20:21], v[32:33]
	v_mul_f64 v[32:33], v[18:19], v[32:33]
	v_add_f64 v[22:23], v[22:23], v[38:39]
	v_add_f64 v[28:29], v[42:43], v[40:41]
	v_fma_f64 v[36:37], v[14:15], v[5:6], -v[44:45]
	v_fma_f64 v[38:39], v[16:17], v[5:6], v[7:8]
	v_fma_f64 v[18:19], v[18:19], v[30:31], -v[34:35]
	v_fma_f64 v[20:21], v[20:21], v[30:31], v[32:33]
	v_add_f64 v[40:41], v[22:23], v[24:25]
	v_add_f64 v[42:43], v[28:29], v[26:27]
	ds_load_b128 v[5:8], v10 offset:2560
	ds_load_b128 v[14:17], v12 offset:160
	;; [unrolled: 1-line block ×4, first 2 shown]
	s_waitcnt lgkmcnt(2)
	v_mul_f64 v[44:45], v[16:17], v[7:8]
	v_mul_f64 v[7:8], v[14:15], v[7:8]
	s_waitcnt lgkmcnt(0)
	v_mul_f64 v[34:35], v[24:25], v[28:29]
	v_add_f64 v[30:31], v[40:41], v[36:37]
	v_add_f64 v[32:33], v[42:43], v[38:39]
	v_mul_f64 v[36:37], v[22:23], v[28:29]
	v_fma_f64 v[38:39], v[14:15], v[5:6], -v[44:45]
	v_fma_f64 v[40:41], v[16:17], v[5:6], v[7:8]
	v_fma_f64 v[22:23], v[22:23], v[26:27], -v[34:35]
	v_add_f64 v[42:43], v[30:31], v[18:19]
	v_add_f64 v[32:33], v[32:33], v[20:21]
	ds_load_b128 v[5:8], v10 offset:3072
	ds_load_b128 v[14:17], v12 offset:192
	;; [unrolled: 1-line block ×4, first 2 shown]
	v_fma_f64 v[24:25], v[24:25], v[26:27], v[36:37]
	s_waitcnt lgkmcnt(2)
	v_mul_f64 v[44:45], v[16:17], v[7:8]
	v_mul_f64 v[7:8], v[14:15], v[7:8]
	s_waitcnt lgkmcnt(0)
	v_mul_f64 v[34:35], v[20:21], v[30:31]
	v_mul_f64 v[36:37], v[18:19], v[30:31]
	v_add_f64 v[26:27], v[42:43], v[38:39]
	v_add_f64 v[32:33], v[32:33], v[40:41]
	v_fma_f64 v[38:39], v[14:15], v[5:6], -v[44:45]
	v_fma_f64 v[40:41], v[16:17], v[5:6], v[7:8]
	v_fma_f64 v[18:19], v[18:19], v[28:29], -v[34:35]
	v_fma_f64 v[20:21], v[20:21], v[28:29], v[36:37]
	v_add_f64 v[26:27], v[26:27], v[22:23]
	v_add_f64 v[42:43], v[32:33], v[24:25]
	ds_load_b128 v[5:8], v10 offset:3584
	ds_load_b128 v[14:17], v12 offset:224
	ds_load_b128 v[22:25], v12 offset:240
	ds_load_b128 v[30:33], v10 offset:3840
	s_waitcnt lgkmcnt(0)
	s_barrier
	buffer_gl0_inv
	v_mul_f64 v[44:45], v[16:17], v[7:8]
	v_mul_f64 v[7:8], v[14:15], v[7:8]
	;; [unrolled: 1-line block ×4, first 2 shown]
	v_add_f64 v[26:27], v[26:27], v[38:39]
	v_add_f64 v[28:29], v[42:43], v[40:41]
	v_fma_f64 v[14:15], v[14:15], v[5:6], -v[44:45]
	v_fma_f64 v[5:6], v[16:17], v[5:6], v[7:8]
	s_delay_alu instid0(VALU_DEP_4) | instskip(NEXT) | instid1(VALU_DEP_4)
	v_add_f64 v[7:8], v[26:27], v[18:19]
	v_add_f64 v[16:17], v[28:29], v[20:21]
	v_fma_f64 v[18:19], v[22:23], v[30:31], -v[34:35]
	v_fma_f64 v[20:21], v[24:25], v[30:31], v[32:33]
	s_delay_alu instid0(VALU_DEP_4) | instskip(NEXT) | instid1(VALU_DEP_4)
	v_add_f64 v[7:8], v[7:8], v[14:15]
	v_add_f64 v[5:6], v[16:17], v[5:6]
	s_delay_alu instid0(VALU_DEP_2) | instskip(NEXT) | instid1(VALU_DEP_2)
	v_add_f64 v[7:8], v[7:8], v[18:19]
	v_add_f64 v[5:6], v[5:6], v[20:21]
	s_cbranch_scc1 .LBB429_2
.LBB429_3:
	s_mov_b32 s2, exec_lo
	v_cmpx_le_i32_e64 v9, v0
	s_cbranch_execz .LBB429_5
; %bb.4:
	s_clause 0x1
	s_load_b32 s2, s[0:1], 0x60
	s_load_b64 s[0:1], s[0:1], 0x68
	v_ashrrev_i32_e32 v1, 31, v0
	s_delay_alu instid0(VALU_DEP_3) | instskip(SKIP_1) | instid1(VALU_DEP_3)
	v_mul_f64 v[12:13], s[16:17], v[5:6]
	v_mul_f64 v[5:6], s[18:19], v[5:6]
	v_lshlrev_b64 v[10:11], 4, v[0:1]
	s_waitcnt lgkmcnt(0)
	v_mad_i64_i32 v[2:3], null, s2, v9, 0
	s_mul_i32 s1, s15, s1
	s_mul_hi_u32 s2, s15, s0
	s_mul_i32 s0, s15, s0
	s_add_i32 s1, s2, s1
	s_delay_alu instid0(SALU_CYCLE_1) | instskip(NEXT) | instid1(VALU_DEP_1)
	s_lshl_b64 s[0:1], s[0:1], 4
	v_lshlrev_b64 v[2:3], 4, v[2:3]
	s_add_u32 s0, s10, s0
	s_addc_u32 s1, s11, s1
	s_delay_alu instid0(VALU_DEP_1) | instskip(NEXT) | instid1(VALU_DEP_2)
	v_add_co_u32 v1, vcc_lo, s0, v2
	v_add_co_ci_u32_e32 v2, vcc_lo, s1, v3, vcc_lo
	s_delay_alu instid0(VALU_DEP_2) | instskip(NEXT) | instid1(VALU_DEP_2)
	v_add_co_u32 v10, vcc_lo, v1, v10
	v_add_co_ci_u32_e32 v11, vcc_lo, v2, v11, vcc_lo
	v_fma_f64 v[12:13], s[18:19], v[7:8], v[12:13]
	v_fma_f64 v[5:6], s[16:17], v[7:8], -v[5:6]
	v_cmp_ne_u32_e32 vcc_lo, v0, v9
	global_load_b128 v[1:4], v[10:11], off
	s_waitcnt vmcnt(0)
	v_mul_f64 v[14:15], s[6:7], v[3:4]
	v_mul_f64 v[3:4], s[8:9], v[3:4]
	s_delay_alu instid0(VALU_DEP_2) | instskip(NEXT) | instid1(VALU_DEP_2)
	v_fma_f64 v[14:15], s[8:9], v[1:2], v[14:15]
	v_fma_f64 v[1:2], s[6:7], v[1:2], -v[3:4]
	s_delay_alu instid0(VALU_DEP_2) | instskip(NEXT) | instid1(VALU_DEP_2)
	v_add_f64 v[3:4], v[12:13], v[14:15]
	v_add_f64 v[1:2], v[5:6], v[1:2]
	s_delay_alu instid0(VALU_DEP_2)
	v_dual_cndmask_b32 v4, 0, v4 :: v_dual_cndmask_b32 v3, 0, v3
	global_store_b128 v[10:11], v[1:4], off
.LBB429_5:
	s_nop 0
	s_sendmsg sendmsg(MSG_DEALLOC_VGPRS)
	s_endpgm
	.section	.rodata,"a",@progbits
	.p2align	6, 0x0
	.amdhsa_kernel _ZL41rocblas_syrkx_herkx_small_restrict_kernelIi19rocblas_complex_numIdELi16ELb0ELb1ELc84ELc76EKS1_S1_EviT_T0_PT6_S3_lS6_S3_lS4_PT7_S3_li
		.amdhsa_group_segment_fixed_size 8192
		.amdhsa_private_segment_fixed_size 0
		.amdhsa_kernarg_size 116
		.amdhsa_user_sgpr_count 13
		.amdhsa_user_sgpr_dispatch_ptr 0
		.amdhsa_user_sgpr_queue_ptr 0
		.amdhsa_user_sgpr_kernarg_segment_ptr 1
		.amdhsa_user_sgpr_dispatch_id 0
		.amdhsa_user_sgpr_private_segment_size 0
		.amdhsa_wavefront_size32 1
		.amdhsa_uses_dynamic_stack 0
		.amdhsa_enable_private_segment 0
		.amdhsa_system_sgpr_workgroup_id_x 1
		.amdhsa_system_sgpr_workgroup_id_y 1
		.amdhsa_system_sgpr_workgroup_id_z 1
		.amdhsa_system_sgpr_workgroup_info 0
		.amdhsa_system_vgpr_workitem_id 1
		.amdhsa_next_free_vgpr 46
		.amdhsa_next_free_sgpr 26
		.amdhsa_reserve_vcc 1
		.amdhsa_float_round_mode_32 0
		.amdhsa_float_round_mode_16_64 0
		.amdhsa_float_denorm_mode_32 3
		.amdhsa_float_denorm_mode_16_64 3
		.amdhsa_dx10_clamp 1
		.amdhsa_ieee_mode 1
		.amdhsa_fp16_overflow 0
		.amdhsa_workgroup_processor_mode 1
		.amdhsa_memory_ordered 1
		.amdhsa_forward_progress 0
		.amdhsa_shared_vgpr_count 0
		.amdhsa_exception_fp_ieee_invalid_op 0
		.amdhsa_exception_fp_denorm_src 0
		.amdhsa_exception_fp_ieee_div_zero 0
		.amdhsa_exception_fp_ieee_overflow 0
		.amdhsa_exception_fp_ieee_underflow 0
		.amdhsa_exception_fp_ieee_inexact 0
		.amdhsa_exception_int_div_zero 0
	.end_amdhsa_kernel
	.section	.text._ZL41rocblas_syrkx_herkx_small_restrict_kernelIi19rocblas_complex_numIdELi16ELb0ELb1ELc84ELc76EKS1_S1_EviT_T0_PT6_S3_lS6_S3_lS4_PT7_S3_li,"axG",@progbits,_ZL41rocblas_syrkx_herkx_small_restrict_kernelIi19rocblas_complex_numIdELi16ELb0ELb1ELc84ELc76EKS1_S1_EviT_T0_PT6_S3_lS6_S3_lS4_PT7_S3_li,comdat
.Lfunc_end429:
	.size	_ZL41rocblas_syrkx_herkx_small_restrict_kernelIi19rocblas_complex_numIdELi16ELb0ELb1ELc84ELc76EKS1_S1_EviT_T0_PT6_S3_lS6_S3_lS4_PT7_S3_li, .Lfunc_end429-_ZL41rocblas_syrkx_herkx_small_restrict_kernelIi19rocblas_complex_numIdELi16ELb0ELb1ELc84ELc76EKS1_S1_EviT_T0_PT6_S3_lS6_S3_lS4_PT7_S3_li
                                        ; -- End function
	.section	.AMDGPU.csdata,"",@progbits
; Kernel info:
; codeLenInByte = 1848
; NumSgprs: 28
; NumVgprs: 46
; ScratchSize: 0
; MemoryBound: 0
; FloatMode: 240
; IeeeMode: 1
; LDSByteSize: 8192 bytes/workgroup (compile time only)
; SGPRBlocks: 3
; VGPRBlocks: 5
; NumSGPRsForWavesPerEU: 28
; NumVGPRsForWavesPerEU: 46
; Occupancy: 16
; WaveLimiterHint : 0
; COMPUTE_PGM_RSRC2:SCRATCH_EN: 0
; COMPUTE_PGM_RSRC2:USER_SGPR: 13
; COMPUTE_PGM_RSRC2:TRAP_HANDLER: 0
; COMPUTE_PGM_RSRC2:TGID_X_EN: 1
; COMPUTE_PGM_RSRC2:TGID_Y_EN: 1
; COMPUTE_PGM_RSRC2:TGID_Z_EN: 1
; COMPUTE_PGM_RSRC2:TIDIG_COMP_CNT: 1
	.section	.text._ZL41rocblas_syrkx_herkx_small_restrict_kernelIi19rocblas_complex_numIdELi16ELb0ELb1ELc67ELc76EKS1_S1_EviT_T0_PT6_S3_lS6_S3_lS4_PT7_S3_li,"axG",@progbits,_ZL41rocblas_syrkx_herkx_small_restrict_kernelIi19rocblas_complex_numIdELi16ELb0ELb1ELc67ELc76EKS1_S1_EviT_T0_PT6_S3_lS6_S3_lS4_PT7_S3_li,comdat
	.globl	_ZL41rocblas_syrkx_herkx_small_restrict_kernelIi19rocblas_complex_numIdELi16ELb0ELb1ELc67ELc76EKS1_S1_EviT_T0_PT6_S3_lS6_S3_lS4_PT7_S3_li ; -- Begin function _ZL41rocblas_syrkx_herkx_small_restrict_kernelIi19rocblas_complex_numIdELi16ELb0ELb1ELc67ELc76EKS1_S1_EviT_T0_PT6_S3_lS6_S3_lS4_PT7_S3_li
	.p2align	8
	.type	_ZL41rocblas_syrkx_herkx_small_restrict_kernelIi19rocblas_complex_numIdELi16ELb0ELb1ELc67ELc76EKS1_S1_EviT_T0_PT6_S3_lS6_S3_lS4_PT7_S3_li,@function
_ZL41rocblas_syrkx_herkx_small_restrict_kernelIi19rocblas_complex_numIdELi16ELb0ELb1ELc67ELc76EKS1_S1_EviT_T0_PT6_S3_lS6_S3_lS4_PT7_S3_li: ; @_ZL41rocblas_syrkx_herkx_small_restrict_kernelIi19rocblas_complex_numIdELi16ELb0ELb1ELc67ELc76EKS1_S1_EviT_T0_PT6_S3_lS6_S3_lS4_PT7_S3_li
; %bb.0:
	s_clause 0x3
	s_load_b32 s12, s[0:1], 0x4
	s_load_b128 s[16:19], s[0:1], 0x8
	s_load_b64 s[2:3], s[0:1], 0x18
	s_load_b256 s[4:11], s[0:1], 0x40
	v_dual_mov_b32 v5, 0 :: v_dual_and_b32 v2, 0x3ff, v0
	v_bfe_u32 v1, v0, 10, 10
	v_mov_b32_e32 v6, 0
	s_delay_alu instid0(VALU_DEP_3) | instskip(SKIP_1) | instid1(VALU_DEP_3)
	v_lshl_add_u32 v0, s13, 4, v2
	s_mov_b32 s13, 0
	v_lshl_add_u32 v9, s14, 4, v1
	s_delay_alu instid0(VALU_DEP_3)
	v_dual_mov_b32 v8, v6 :: v_dual_mov_b32 v7, v5
	s_waitcnt lgkmcnt(0)
	s_cmp_lt_i32 s12, 1
	s_cbranch_scc1 .LBB430_3
; %bb.1:
	s_clause 0x2
	s_load_b32 s14, s[0:1], 0x20
	s_load_b32 s24, s[0:1], 0x38
	s_load_b128 s[20:23], s[0:1], 0x28
	v_lshlrev_b32_e32 v3, 8, v1
	v_lshlrev_b32_e32 v10, 4, v2
	v_lshlrev_b32_e32 v5, 4, v1
	s_mul_i32 s5, s5, s15
	s_mul_hi_u32 s25, s4, s15
	v_add_nc_u32_e32 v12, 0x1000, v3
	v_add_nc_u32_e32 v11, v10, v3
	s_mul_i32 s4, s4, s15
	s_add_i32 s5, s25, s5
	s_delay_alu instid0(SALU_CYCLE_1)
	s_lshl_b64 s[4:5], s[4:5], 4
	s_waitcnt lgkmcnt(0)
	v_mad_i64_i32 v[1:2], null, s14, v0, 0
	v_mad_i64_i32 v[3:4], null, s24, v9, 0
	s_mul_i32 s14, s21, s15
	s_mul_hi_u32 s21, s20, s15
	s_mul_i32 s20, s20, s15
	s_add_i32 s21, s21, s14
	s_delay_alu instid0(VALU_DEP_2) | instskip(SKIP_1) | instid1(VALU_DEP_2)
	v_lshlrev_b64 v[1:2], 4, v[1:2]
	s_lshl_b64 s[20:21], s[20:21], 4
	v_lshlrev_b64 v[3:4], 4, v[3:4]
	s_delay_alu instid0(VALU_DEP_2) | instskip(NEXT) | instid1(VALU_DEP_3)
	v_add_co_u32 v1, vcc_lo, v1, s20
	v_add_co_ci_u32_e32 v2, vcc_lo, s21, v2, vcc_lo
	s_delay_alu instid0(VALU_DEP_3) | instskip(NEXT) | instid1(VALU_DEP_4)
	v_add_co_u32 v3, vcc_lo, v3, s4
	v_add_co_ci_u32_e32 v4, vcc_lo, s5, v4, vcc_lo
	s_delay_alu instid0(VALU_DEP_4) | instskip(NEXT) | instid1(VALU_DEP_4)
	v_add_co_u32 v1, vcc_lo, v1, v5
	v_add_co_ci_u32_e32 v2, vcc_lo, 0, v2, vcc_lo
	v_mov_b32_e32 v5, 0
	v_add_co_u32 v3, vcc_lo, v3, v10
	v_add_co_ci_u32_e32 v4, vcc_lo, 0, v4, vcc_lo
	v_add_co_u32 v7, vcc_lo, v1, s2
	v_add_co_ci_u32_e32 v8, vcc_lo, s3, v2, vcc_lo
	v_mov_b32_e32 v6, 0
	v_add_co_u32 v1, vcc_lo, s22, v3
	v_add_co_ci_u32_e32 v2, vcc_lo, s23, v4, vcc_lo
	v_add_co_u32 v3, vcc_lo, v7, 8
	v_add_co_ci_u32_e32 v4, vcc_lo, 0, v8, vcc_lo
	v_dual_mov_b32 v8, v6 :: v_dual_mov_b32 v7, v5
	v_add_nc_u32_e32 v13, v12, v10
.LBB430_2:                              ; =>This Inner Loop Header: Depth=1
	global_load_b128 v[14:17], v[3:4], off offset:-8
	global_load_b128 v[18:21], v[1:2], off
	v_add_co_u32 v1, vcc_lo, 0x100, v1
	v_add_co_ci_u32_e32 v2, vcc_lo, 0, v2, vcc_lo
	v_add_co_u32 v3, vcc_lo, 0x100, v3
	v_add_co_ci_u32_e32 v4, vcc_lo, 0, v4, vcc_lo
	s_add_i32 s13, s13, 16
	s_delay_alu instid0(SALU_CYCLE_1)
	s_cmp_lt_i32 s13, s12
	s_waitcnt vmcnt(1)
	v_xor_b32_e32 v17, 0x80000000, v17
	ds_store_b128 v11, v[14:17]
	s_waitcnt vmcnt(0)
	ds_store_2addr_b64 v13, v[18:19], v[20:21] offset1:1
	s_waitcnt lgkmcnt(0)
	s_barrier
	buffer_gl0_inv
	ds_load_b128 v[14:17], v10
	ds_load_b128 v[18:21], v12
	ds_load_b128 v[22:25], v12 offset:16
	ds_load_b128 v[26:29], v10 offset:256
	s_waitcnt lgkmcnt(2)
	v_mul_f64 v[30:31], v[20:21], v[16:17]
	v_mul_f64 v[16:17], v[18:19], v[16:17]
	s_waitcnt lgkmcnt(0)
	v_mul_f64 v[36:37], v[24:25], v[28:29]
	v_mul_f64 v[38:39], v[22:23], v[28:29]
	s_delay_alu instid0(VALU_DEP_4) | instskip(NEXT) | instid1(VALU_DEP_4)
	v_fma_f64 v[40:41], v[18:19], v[14:15], -v[30:31]
	v_fma_f64 v[42:43], v[20:21], v[14:15], v[16:17]
	ds_load_b128 v[14:17], v10 offset:512
	ds_load_b128 v[18:21], v12 offset:32
	;; [unrolled: 1-line block ×4, first 2 shown]
	v_fma_f64 v[22:23], v[22:23], v[26:27], -v[36:37]
	v_fma_f64 v[24:25], v[24:25], v[26:27], v[38:39]
	s_waitcnt lgkmcnt(2)
	v_mul_f64 v[44:45], v[20:21], v[16:17]
	v_mul_f64 v[16:17], v[18:19], v[16:17]
	s_waitcnt lgkmcnt(0)
	v_mul_f64 v[26:27], v[30:31], v[34:35]
	v_mul_f64 v[34:35], v[28:29], v[34:35]
	v_add_f64 v[7:8], v[7:8], v[40:41]
	v_add_f64 v[5:6], v[5:6], v[42:43]
	v_fma_f64 v[36:37], v[18:19], v[14:15], -v[44:45]
	v_fma_f64 v[38:39], v[20:21], v[14:15], v[16:17]
	v_fma_f64 v[26:27], v[28:29], v[32:33], -v[26:27]
	v_fma_f64 v[28:29], v[30:31], v[32:33], v[34:35]
	v_add_f64 v[40:41], v[7:8], v[22:23]
	v_add_f64 v[42:43], v[5:6], v[24:25]
	ds_load_b128 v[5:8], v10 offset:1024
	ds_load_b128 v[14:17], v12 offset:64
	;; [unrolled: 1-line block ×4, first 2 shown]
	s_waitcnt lgkmcnt(2)
	v_mul_f64 v[44:45], v[16:17], v[7:8]
	v_mul_f64 v[7:8], v[14:15], v[7:8]
	s_waitcnt lgkmcnt(0)
	v_mul_f64 v[34:35], v[20:21], v[24:25]
	v_add_f64 v[30:31], v[40:41], v[36:37]
	v_add_f64 v[32:33], v[42:43], v[38:39]
	v_mul_f64 v[36:37], v[18:19], v[24:25]
	v_fma_f64 v[38:39], v[14:15], v[5:6], -v[44:45]
	v_fma_f64 v[40:41], v[16:17], v[5:6], v[7:8]
	v_fma_f64 v[18:19], v[18:19], v[22:23], -v[34:35]
	v_add_f64 v[42:43], v[30:31], v[26:27]
	v_add_f64 v[32:33], v[32:33], v[28:29]
	ds_load_b128 v[5:8], v10 offset:1536
	ds_load_b128 v[14:17], v12 offset:96
	;; [unrolled: 1-line block ×4, first 2 shown]
	v_fma_f64 v[20:21], v[20:21], v[22:23], v[36:37]
	s_waitcnt lgkmcnt(2)
	v_mul_f64 v[44:45], v[16:17], v[7:8]
	v_mul_f64 v[7:8], v[14:15], v[7:8]
	s_waitcnt lgkmcnt(0)
	v_mul_f64 v[34:35], v[26:27], v[30:31]
	v_mul_f64 v[36:37], v[24:25], v[30:31]
	v_add_f64 v[22:23], v[42:43], v[38:39]
	v_add_f64 v[32:33], v[32:33], v[40:41]
	v_fma_f64 v[38:39], v[14:15], v[5:6], -v[44:45]
	v_fma_f64 v[40:41], v[16:17], v[5:6], v[7:8]
	v_fma_f64 v[24:25], v[24:25], v[28:29], -v[34:35]
	v_fma_f64 v[26:27], v[26:27], v[28:29], v[36:37]
	v_add_f64 v[22:23], v[22:23], v[18:19]
	v_add_f64 v[42:43], v[32:33], v[20:21]
	ds_load_b128 v[5:8], v10 offset:2048
	ds_load_b128 v[14:17], v12 offset:128
	;; [unrolled: 1-line block ×4, first 2 shown]
	s_waitcnt lgkmcnt(2)
	v_mul_f64 v[44:45], v[16:17], v[7:8]
	v_mul_f64 v[7:8], v[14:15], v[7:8]
	s_waitcnt lgkmcnt(0)
	v_mul_f64 v[34:35], v[20:21], v[32:33]
	v_mul_f64 v[32:33], v[18:19], v[32:33]
	v_add_f64 v[22:23], v[22:23], v[38:39]
	v_add_f64 v[28:29], v[42:43], v[40:41]
	v_fma_f64 v[36:37], v[14:15], v[5:6], -v[44:45]
	v_fma_f64 v[38:39], v[16:17], v[5:6], v[7:8]
	v_fma_f64 v[18:19], v[18:19], v[30:31], -v[34:35]
	v_fma_f64 v[20:21], v[20:21], v[30:31], v[32:33]
	v_add_f64 v[40:41], v[22:23], v[24:25]
	v_add_f64 v[42:43], v[28:29], v[26:27]
	ds_load_b128 v[5:8], v10 offset:2560
	ds_load_b128 v[14:17], v12 offset:160
	;; [unrolled: 1-line block ×4, first 2 shown]
	s_waitcnt lgkmcnt(2)
	v_mul_f64 v[44:45], v[16:17], v[7:8]
	v_mul_f64 v[7:8], v[14:15], v[7:8]
	s_waitcnt lgkmcnt(0)
	v_mul_f64 v[34:35], v[24:25], v[28:29]
	v_add_f64 v[30:31], v[40:41], v[36:37]
	v_add_f64 v[32:33], v[42:43], v[38:39]
	v_mul_f64 v[36:37], v[22:23], v[28:29]
	v_fma_f64 v[38:39], v[14:15], v[5:6], -v[44:45]
	v_fma_f64 v[40:41], v[16:17], v[5:6], v[7:8]
	v_fma_f64 v[22:23], v[22:23], v[26:27], -v[34:35]
	v_add_f64 v[42:43], v[30:31], v[18:19]
	v_add_f64 v[32:33], v[32:33], v[20:21]
	ds_load_b128 v[5:8], v10 offset:3072
	ds_load_b128 v[14:17], v12 offset:192
	;; [unrolled: 1-line block ×4, first 2 shown]
	v_fma_f64 v[24:25], v[24:25], v[26:27], v[36:37]
	s_waitcnt lgkmcnt(2)
	v_mul_f64 v[44:45], v[16:17], v[7:8]
	v_mul_f64 v[7:8], v[14:15], v[7:8]
	s_waitcnt lgkmcnt(0)
	v_mul_f64 v[34:35], v[20:21], v[30:31]
	v_mul_f64 v[36:37], v[18:19], v[30:31]
	v_add_f64 v[26:27], v[42:43], v[38:39]
	v_add_f64 v[32:33], v[32:33], v[40:41]
	v_fma_f64 v[38:39], v[14:15], v[5:6], -v[44:45]
	v_fma_f64 v[40:41], v[16:17], v[5:6], v[7:8]
	v_fma_f64 v[18:19], v[18:19], v[28:29], -v[34:35]
	v_fma_f64 v[20:21], v[20:21], v[28:29], v[36:37]
	v_add_f64 v[26:27], v[26:27], v[22:23]
	v_add_f64 v[42:43], v[32:33], v[24:25]
	ds_load_b128 v[5:8], v10 offset:3584
	ds_load_b128 v[14:17], v12 offset:224
	;; [unrolled: 1-line block ×4, first 2 shown]
	s_waitcnt lgkmcnt(0)
	s_barrier
	buffer_gl0_inv
	v_mul_f64 v[44:45], v[16:17], v[7:8]
	v_mul_f64 v[7:8], v[14:15], v[7:8]
	;; [unrolled: 1-line block ×4, first 2 shown]
	v_add_f64 v[26:27], v[26:27], v[38:39]
	v_add_f64 v[28:29], v[42:43], v[40:41]
	v_fma_f64 v[14:15], v[14:15], v[5:6], -v[44:45]
	v_fma_f64 v[5:6], v[16:17], v[5:6], v[7:8]
	s_delay_alu instid0(VALU_DEP_4) | instskip(NEXT) | instid1(VALU_DEP_4)
	v_add_f64 v[7:8], v[26:27], v[18:19]
	v_add_f64 v[16:17], v[28:29], v[20:21]
	v_fma_f64 v[18:19], v[22:23], v[30:31], -v[34:35]
	v_fma_f64 v[20:21], v[24:25], v[30:31], v[32:33]
	s_delay_alu instid0(VALU_DEP_4) | instskip(NEXT) | instid1(VALU_DEP_4)
	v_add_f64 v[7:8], v[7:8], v[14:15]
	v_add_f64 v[5:6], v[16:17], v[5:6]
	s_delay_alu instid0(VALU_DEP_2) | instskip(NEXT) | instid1(VALU_DEP_2)
	v_add_f64 v[7:8], v[7:8], v[18:19]
	v_add_f64 v[5:6], v[5:6], v[20:21]
	s_cbranch_scc1 .LBB430_2
.LBB430_3:
	s_mov_b32 s2, exec_lo
	v_cmpx_le_i32_e64 v9, v0
	s_cbranch_execz .LBB430_5
; %bb.4:
	s_clause 0x1
	s_load_b32 s2, s[0:1], 0x60
	s_load_b64 s[0:1], s[0:1], 0x68
	v_ashrrev_i32_e32 v1, 31, v0
	s_delay_alu instid0(VALU_DEP_3) | instskip(SKIP_1) | instid1(VALU_DEP_3)
	v_mul_f64 v[12:13], s[16:17], v[5:6]
	v_mul_f64 v[5:6], s[18:19], v[5:6]
	v_lshlrev_b64 v[10:11], 4, v[0:1]
	s_waitcnt lgkmcnt(0)
	v_mad_i64_i32 v[2:3], null, s2, v9, 0
	s_mul_i32 s1, s15, s1
	s_mul_hi_u32 s2, s15, s0
	s_mul_i32 s0, s15, s0
	s_add_i32 s1, s2, s1
	s_delay_alu instid0(SALU_CYCLE_1) | instskip(NEXT) | instid1(VALU_DEP_1)
	s_lshl_b64 s[0:1], s[0:1], 4
	v_lshlrev_b64 v[2:3], 4, v[2:3]
	s_add_u32 s0, s10, s0
	s_addc_u32 s1, s11, s1
	s_delay_alu instid0(VALU_DEP_1) | instskip(NEXT) | instid1(VALU_DEP_2)
	v_add_co_u32 v1, vcc_lo, s0, v2
	v_add_co_ci_u32_e32 v2, vcc_lo, s1, v3, vcc_lo
	s_delay_alu instid0(VALU_DEP_2) | instskip(NEXT) | instid1(VALU_DEP_2)
	v_add_co_u32 v10, vcc_lo, v1, v10
	v_add_co_ci_u32_e32 v11, vcc_lo, v2, v11, vcc_lo
	v_fma_f64 v[12:13], s[18:19], v[7:8], v[12:13]
	v_fma_f64 v[5:6], s[16:17], v[7:8], -v[5:6]
	v_cmp_ne_u32_e32 vcc_lo, v0, v9
	global_load_b128 v[1:4], v[10:11], off
	s_waitcnt vmcnt(0)
	v_mul_f64 v[14:15], s[6:7], v[3:4]
	v_mul_f64 v[3:4], s[8:9], v[3:4]
	s_delay_alu instid0(VALU_DEP_2) | instskip(NEXT) | instid1(VALU_DEP_2)
	v_fma_f64 v[14:15], s[8:9], v[1:2], v[14:15]
	v_fma_f64 v[1:2], s[6:7], v[1:2], -v[3:4]
	s_delay_alu instid0(VALU_DEP_2) | instskip(NEXT) | instid1(VALU_DEP_2)
	v_add_f64 v[3:4], v[12:13], v[14:15]
	v_add_f64 v[1:2], v[5:6], v[1:2]
	s_delay_alu instid0(VALU_DEP_2)
	v_dual_cndmask_b32 v4, 0, v4 :: v_dual_cndmask_b32 v3, 0, v3
	global_store_b128 v[10:11], v[1:4], off
.LBB430_5:
	s_nop 0
	s_sendmsg sendmsg(MSG_DEALLOC_VGPRS)
	s_endpgm
	.section	.rodata,"a",@progbits
	.p2align	6, 0x0
	.amdhsa_kernel _ZL41rocblas_syrkx_herkx_small_restrict_kernelIi19rocblas_complex_numIdELi16ELb0ELb1ELc67ELc76EKS1_S1_EviT_T0_PT6_S3_lS6_S3_lS4_PT7_S3_li
		.amdhsa_group_segment_fixed_size 8192
		.amdhsa_private_segment_fixed_size 0
		.amdhsa_kernarg_size 116
		.amdhsa_user_sgpr_count 13
		.amdhsa_user_sgpr_dispatch_ptr 0
		.amdhsa_user_sgpr_queue_ptr 0
		.amdhsa_user_sgpr_kernarg_segment_ptr 1
		.amdhsa_user_sgpr_dispatch_id 0
		.amdhsa_user_sgpr_private_segment_size 0
		.amdhsa_wavefront_size32 1
		.amdhsa_uses_dynamic_stack 0
		.amdhsa_enable_private_segment 0
		.amdhsa_system_sgpr_workgroup_id_x 1
		.amdhsa_system_sgpr_workgroup_id_y 1
		.amdhsa_system_sgpr_workgroup_id_z 1
		.amdhsa_system_sgpr_workgroup_info 0
		.amdhsa_system_vgpr_workitem_id 1
		.amdhsa_next_free_vgpr 46
		.amdhsa_next_free_sgpr 26
		.amdhsa_reserve_vcc 1
		.amdhsa_float_round_mode_32 0
		.amdhsa_float_round_mode_16_64 0
		.amdhsa_float_denorm_mode_32 3
		.amdhsa_float_denorm_mode_16_64 3
		.amdhsa_dx10_clamp 1
		.amdhsa_ieee_mode 1
		.amdhsa_fp16_overflow 0
		.amdhsa_workgroup_processor_mode 1
		.amdhsa_memory_ordered 1
		.amdhsa_forward_progress 0
		.amdhsa_shared_vgpr_count 0
		.amdhsa_exception_fp_ieee_invalid_op 0
		.amdhsa_exception_fp_denorm_src 0
		.amdhsa_exception_fp_ieee_div_zero 0
		.amdhsa_exception_fp_ieee_overflow 0
		.amdhsa_exception_fp_ieee_underflow 0
		.amdhsa_exception_fp_ieee_inexact 0
		.amdhsa_exception_int_div_zero 0
	.end_amdhsa_kernel
	.section	.text._ZL41rocblas_syrkx_herkx_small_restrict_kernelIi19rocblas_complex_numIdELi16ELb0ELb1ELc67ELc76EKS1_S1_EviT_T0_PT6_S3_lS6_S3_lS4_PT7_S3_li,"axG",@progbits,_ZL41rocblas_syrkx_herkx_small_restrict_kernelIi19rocblas_complex_numIdELi16ELb0ELb1ELc67ELc76EKS1_S1_EviT_T0_PT6_S3_lS6_S3_lS4_PT7_S3_li,comdat
.Lfunc_end430:
	.size	_ZL41rocblas_syrkx_herkx_small_restrict_kernelIi19rocblas_complex_numIdELi16ELb0ELb1ELc67ELc76EKS1_S1_EviT_T0_PT6_S3_lS6_S3_lS4_PT7_S3_li, .Lfunc_end430-_ZL41rocblas_syrkx_herkx_small_restrict_kernelIi19rocblas_complex_numIdELi16ELb0ELb1ELc67ELc76EKS1_S1_EviT_T0_PT6_S3_lS6_S3_lS4_PT7_S3_li
                                        ; -- End function
	.section	.AMDGPU.csdata,"",@progbits
; Kernel info:
; codeLenInByte = 1856
; NumSgprs: 28
; NumVgprs: 46
; ScratchSize: 0
; MemoryBound: 0
; FloatMode: 240
; IeeeMode: 1
; LDSByteSize: 8192 bytes/workgroup (compile time only)
; SGPRBlocks: 3
; VGPRBlocks: 5
; NumSGPRsForWavesPerEU: 28
; NumVGPRsForWavesPerEU: 46
; Occupancy: 16
; WaveLimiterHint : 0
; COMPUTE_PGM_RSRC2:SCRATCH_EN: 0
; COMPUTE_PGM_RSRC2:USER_SGPR: 13
; COMPUTE_PGM_RSRC2:TRAP_HANDLER: 0
; COMPUTE_PGM_RSRC2:TGID_X_EN: 1
; COMPUTE_PGM_RSRC2:TGID_Y_EN: 1
; COMPUTE_PGM_RSRC2:TGID_Z_EN: 1
; COMPUTE_PGM_RSRC2:TIDIG_COMP_CNT: 1
	.section	.text._ZL41rocblas_syrkx_herkx_small_restrict_kernelIi19rocblas_complex_numIdELi16ELb0ELb1ELc78ELc76EKS1_S1_EviT_T0_PT6_S3_lS6_S3_lS4_PT7_S3_li,"axG",@progbits,_ZL41rocblas_syrkx_herkx_small_restrict_kernelIi19rocblas_complex_numIdELi16ELb0ELb1ELc78ELc76EKS1_S1_EviT_T0_PT6_S3_lS6_S3_lS4_PT7_S3_li,comdat
	.globl	_ZL41rocblas_syrkx_herkx_small_restrict_kernelIi19rocblas_complex_numIdELi16ELb0ELb1ELc78ELc76EKS1_S1_EviT_T0_PT6_S3_lS6_S3_lS4_PT7_S3_li ; -- Begin function _ZL41rocblas_syrkx_herkx_small_restrict_kernelIi19rocblas_complex_numIdELi16ELb0ELb1ELc78ELc76EKS1_S1_EviT_T0_PT6_S3_lS6_S3_lS4_PT7_S3_li
	.p2align	8
	.type	_ZL41rocblas_syrkx_herkx_small_restrict_kernelIi19rocblas_complex_numIdELi16ELb0ELb1ELc78ELc76EKS1_S1_EviT_T0_PT6_S3_lS6_S3_lS4_PT7_S3_li,@function
_ZL41rocblas_syrkx_herkx_small_restrict_kernelIi19rocblas_complex_numIdELi16ELb0ELb1ELc78ELc76EKS1_S1_EviT_T0_PT6_S3_lS6_S3_lS4_PT7_S3_li: ; @_ZL41rocblas_syrkx_herkx_small_restrict_kernelIi19rocblas_complex_numIdELi16ELb0ELb1ELc78ELc76EKS1_S1_EviT_T0_PT6_S3_lS6_S3_lS4_PT7_S3_li
; %bb.0:
	s_clause 0x3
	s_load_b32 s12, s[0:1], 0x4
	s_load_b128 s[16:19], s[0:1], 0x8
	s_load_b64 s[2:3], s[0:1], 0x18
	s_load_b256 s[4:11], s[0:1], 0x40
	v_and_b32_e32 v5, 0x3ff, v0
	v_mov_b32_e32 v7, 0
	v_mov_b32_e32 v8, 0
	v_bfe_u32 v4, v0, 10, 10
	s_delay_alu instid0(VALU_DEP_4) | instskip(SKIP_1) | instid1(VALU_DEP_3)
	v_lshl_add_u32 v0, s13, 4, v5
	s_mov_b32 s13, 0
	v_dual_mov_b32 v10, v8 :: v_dual_mov_b32 v9, v7
	s_delay_alu instid0(VALU_DEP_3) | instskip(NEXT) | instid1(VALU_DEP_3)
	v_lshl_add_u32 v2, s14, 4, v4
	v_ashrrev_i32_e32 v1, 31, v0
	s_waitcnt lgkmcnt(0)
	s_cmp_lt_i32 s12, 1
	s_cbranch_scc1 .LBB431_3
; %bb.1:
	s_clause 0x2
	s_load_b32 s24, s[0:1], 0x38
	s_load_b128 s[20:23], s[0:1], 0x28
	s_load_b32 s26, s[0:1], 0x20
	v_ashrrev_i32_e32 v3, 31, v2
	s_mul_i32 s5, s5, s15
	s_mul_hi_u32 s14, s4, s15
	s_mul_i32 s4, s4, s15
	s_add_i32 s5, s14, s5
	v_lshlrev_b64 v[15:16], 4, v[2:3]
	s_lshl_b64 s[4:5], s[4:5], 4
	v_lshlrev_b32_e32 v11, 4, v5
	v_lshlrev_b32_e32 v10, 8, v4
	v_lshlrev_b64 v[6:7], 4, v[0:1]
	s_delay_alu instid0(VALU_DEP_2) | instskip(NEXT) | instid1(VALU_DEP_4)
	v_add_nc_u32_e32 v12, 0x1000, v10
	v_add_nc_u32_e32 v13, v11, v10
	s_waitcnt lgkmcnt(0)
	v_mad_i64_i32 v[8:9], null, s24, v5, 0
	v_mad_i64_i32 v[17:18], null, s26, v4, 0
	s_mul_i32 s14, s21, s15
	s_mul_hi_u32 s21, s20, s15
	s_mul_i32 s20, s20, s15
	s_add_i32 s21, s21, s14
	s_delay_alu instid0(VALU_DEP_2) | instskip(SKIP_1) | instid1(VALU_DEP_2)
	v_lshlrev_b64 v[8:9], 4, v[8:9]
	s_lshl_b64 s[20:21], s[20:21], 4
	v_lshlrev_b64 v[3:4], 4, v[17:18]
	s_ashr_i32 s25, s24, 31
	s_ashr_i32 s27, s26, 31
	s_delay_alu instid0(VALU_DEP_2) | instskip(SKIP_2) | instid1(VALU_DEP_2)
	v_add_co_u32 v5, vcc_lo, s4, v8
	v_add_co_ci_u32_e32 v8, vcc_lo, s5, v9, vcc_lo
	s_lshl_b64 s[4:5], s[26:27], 8
	v_add_co_u32 v5, vcc_lo, v5, v15
	s_delay_alu instid0(VALU_DEP_2) | instskip(SKIP_2) | instid1(VALU_DEP_4)
	v_add_co_ci_u32_e32 v8, vcc_lo, v8, v16, vcc_lo
	v_add_co_u32 v3, vcc_lo, s20, v3
	v_add_co_ci_u32_e32 v4, vcc_lo, s21, v4, vcc_lo
	v_add_co_u32 v5, vcc_lo, v5, s22
	s_delay_alu instid0(VALU_DEP_4) | instskip(NEXT) | instid1(VALU_DEP_4)
	v_add_co_ci_u32_e32 v9, vcc_lo, s23, v8, vcc_lo
	v_add_co_u32 v6, vcc_lo, v3, v6
	s_delay_alu instid0(VALU_DEP_4)
	v_add_co_ci_u32_e32 v10, vcc_lo, v4, v7, vcc_lo
	v_mov_b32_e32 v7, 0
	v_mov_b32_e32 v8, 0
	v_add_co_u32 v3, vcc_lo, v5, 8
	v_add_co_ci_u32_e32 v4, vcc_lo, 0, v9, vcc_lo
	v_add_co_u32 v5, vcc_lo, s2, v6
	v_add_co_ci_u32_e32 v6, vcc_lo, s3, v10, vcc_lo
	v_dual_mov_b32 v10, v8 :: v_dual_mov_b32 v9, v7
	v_add_nc_u32_e32 v14, v12, v11
	s_lshl_b64 s[2:3], s[24:25], 8
.LBB431_2:                              ; =>This Inner Loop Header: Depth=1
	global_load_b128 v[15:18], v[3:4], off offset:-8
	global_load_b128 v[19:22], v[5:6], off
	v_add_co_u32 v3, vcc_lo, v3, s2
	v_add_co_ci_u32_e32 v4, vcc_lo, s3, v4, vcc_lo
	v_add_co_u32 v5, vcc_lo, v5, s4
	v_add_co_ci_u32_e32 v6, vcc_lo, s5, v6, vcc_lo
	s_add_i32 s13, s13, 16
	s_delay_alu instid0(SALU_CYCLE_1)
	s_cmp_lt_i32 s13, s12
	s_waitcnt vmcnt(1)
	v_xor_b32_e32 v18, 0x80000000, v18
	s_waitcnt vmcnt(0)
	ds_store_2addr_b64 v13, v[19:20], v[21:22] offset1:1
	ds_store_b128 v14, v[15:18]
	s_waitcnt lgkmcnt(0)
	s_barrier
	buffer_gl0_inv
	ds_load_b128 v[15:18], v11
	ds_load_b128 v[19:22], v12
	ds_load_b128 v[23:26], v12 offset:16
	ds_load_b128 v[27:30], v11 offset:256
	s_waitcnt lgkmcnt(2)
	v_mul_f64 v[31:32], v[21:22], v[17:18]
	v_mul_f64 v[17:18], v[19:20], v[17:18]
	s_waitcnt lgkmcnt(0)
	v_mul_f64 v[37:38], v[25:26], v[29:30]
	v_mul_f64 v[39:40], v[23:24], v[29:30]
	s_delay_alu instid0(VALU_DEP_4) | instskip(NEXT) | instid1(VALU_DEP_4)
	v_fma_f64 v[41:42], v[19:20], v[15:16], -v[31:32]
	v_fma_f64 v[43:44], v[21:22], v[15:16], v[17:18]
	ds_load_b128 v[15:18], v11 offset:512
	ds_load_b128 v[19:22], v12 offset:32
	;; [unrolled: 1-line block ×4, first 2 shown]
	v_fma_f64 v[23:24], v[23:24], v[27:28], -v[37:38]
	v_fma_f64 v[25:26], v[25:26], v[27:28], v[39:40]
	s_waitcnt lgkmcnt(2)
	v_mul_f64 v[45:46], v[21:22], v[17:18]
	v_mul_f64 v[17:18], v[19:20], v[17:18]
	s_waitcnt lgkmcnt(0)
	v_mul_f64 v[27:28], v[31:32], v[35:36]
	v_mul_f64 v[35:36], v[29:30], v[35:36]
	v_add_f64 v[9:10], v[9:10], v[41:42]
	v_add_f64 v[7:8], v[7:8], v[43:44]
	v_fma_f64 v[37:38], v[19:20], v[15:16], -v[45:46]
	v_fma_f64 v[39:40], v[21:22], v[15:16], v[17:18]
	v_fma_f64 v[27:28], v[29:30], v[33:34], -v[27:28]
	v_fma_f64 v[29:30], v[31:32], v[33:34], v[35:36]
	v_add_f64 v[41:42], v[9:10], v[23:24]
	v_add_f64 v[43:44], v[7:8], v[25:26]
	ds_load_b128 v[7:10], v11 offset:1024
	ds_load_b128 v[15:18], v12 offset:64
	;; [unrolled: 1-line block ×4, first 2 shown]
	s_waitcnt lgkmcnt(2)
	v_mul_f64 v[45:46], v[17:18], v[9:10]
	v_mul_f64 v[9:10], v[15:16], v[9:10]
	s_waitcnt lgkmcnt(0)
	v_mul_f64 v[35:36], v[21:22], v[25:26]
	v_add_f64 v[31:32], v[41:42], v[37:38]
	v_add_f64 v[33:34], v[43:44], v[39:40]
	v_mul_f64 v[37:38], v[19:20], v[25:26]
	v_fma_f64 v[39:40], v[15:16], v[7:8], -v[45:46]
	v_fma_f64 v[41:42], v[17:18], v[7:8], v[9:10]
	v_fma_f64 v[19:20], v[19:20], v[23:24], -v[35:36]
	v_add_f64 v[43:44], v[31:32], v[27:28]
	v_add_f64 v[33:34], v[33:34], v[29:30]
	ds_load_b128 v[7:10], v11 offset:1536
	ds_load_b128 v[15:18], v12 offset:96
	;; [unrolled: 1-line block ×4, first 2 shown]
	v_fma_f64 v[21:22], v[21:22], v[23:24], v[37:38]
	s_waitcnt lgkmcnt(2)
	v_mul_f64 v[45:46], v[17:18], v[9:10]
	v_mul_f64 v[9:10], v[15:16], v[9:10]
	s_waitcnt lgkmcnt(0)
	v_mul_f64 v[35:36], v[27:28], v[31:32]
	v_mul_f64 v[37:38], v[25:26], v[31:32]
	v_add_f64 v[23:24], v[43:44], v[39:40]
	v_add_f64 v[33:34], v[33:34], v[41:42]
	v_fma_f64 v[39:40], v[15:16], v[7:8], -v[45:46]
	v_fma_f64 v[41:42], v[17:18], v[7:8], v[9:10]
	v_fma_f64 v[25:26], v[25:26], v[29:30], -v[35:36]
	v_fma_f64 v[27:28], v[27:28], v[29:30], v[37:38]
	v_add_f64 v[23:24], v[23:24], v[19:20]
	v_add_f64 v[43:44], v[33:34], v[21:22]
	ds_load_b128 v[7:10], v11 offset:2048
	ds_load_b128 v[15:18], v12 offset:128
	;; [unrolled: 1-line block ×4, first 2 shown]
	s_waitcnt lgkmcnt(2)
	v_mul_f64 v[45:46], v[17:18], v[9:10]
	v_mul_f64 v[9:10], v[15:16], v[9:10]
	s_waitcnt lgkmcnt(0)
	v_mul_f64 v[35:36], v[21:22], v[33:34]
	v_mul_f64 v[33:34], v[19:20], v[33:34]
	v_add_f64 v[23:24], v[23:24], v[39:40]
	v_add_f64 v[29:30], v[43:44], v[41:42]
	v_fma_f64 v[37:38], v[15:16], v[7:8], -v[45:46]
	v_fma_f64 v[39:40], v[17:18], v[7:8], v[9:10]
	v_fma_f64 v[19:20], v[19:20], v[31:32], -v[35:36]
	v_fma_f64 v[21:22], v[21:22], v[31:32], v[33:34]
	v_add_f64 v[41:42], v[23:24], v[25:26]
	v_add_f64 v[43:44], v[29:30], v[27:28]
	ds_load_b128 v[7:10], v11 offset:2560
	ds_load_b128 v[15:18], v12 offset:160
	;; [unrolled: 1-line block ×4, first 2 shown]
	s_waitcnt lgkmcnt(2)
	v_mul_f64 v[45:46], v[17:18], v[9:10]
	v_mul_f64 v[9:10], v[15:16], v[9:10]
	s_waitcnt lgkmcnt(0)
	v_mul_f64 v[35:36], v[25:26], v[29:30]
	v_add_f64 v[31:32], v[41:42], v[37:38]
	v_add_f64 v[33:34], v[43:44], v[39:40]
	v_mul_f64 v[37:38], v[23:24], v[29:30]
	v_fma_f64 v[39:40], v[15:16], v[7:8], -v[45:46]
	v_fma_f64 v[41:42], v[17:18], v[7:8], v[9:10]
	v_fma_f64 v[23:24], v[23:24], v[27:28], -v[35:36]
	v_add_f64 v[43:44], v[31:32], v[19:20]
	v_add_f64 v[33:34], v[33:34], v[21:22]
	ds_load_b128 v[7:10], v11 offset:3072
	ds_load_b128 v[15:18], v12 offset:192
	ds_load_b128 v[19:22], v12 offset:208
	ds_load_b128 v[29:32], v11 offset:3328
	v_fma_f64 v[25:26], v[25:26], v[27:28], v[37:38]
	s_waitcnt lgkmcnt(2)
	v_mul_f64 v[45:46], v[17:18], v[9:10]
	v_mul_f64 v[9:10], v[15:16], v[9:10]
	s_waitcnt lgkmcnt(0)
	v_mul_f64 v[35:36], v[21:22], v[31:32]
	v_mul_f64 v[37:38], v[19:20], v[31:32]
	v_add_f64 v[27:28], v[43:44], v[39:40]
	v_add_f64 v[33:34], v[33:34], v[41:42]
	v_fma_f64 v[39:40], v[15:16], v[7:8], -v[45:46]
	v_fma_f64 v[41:42], v[17:18], v[7:8], v[9:10]
	v_fma_f64 v[19:20], v[19:20], v[29:30], -v[35:36]
	v_fma_f64 v[21:22], v[21:22], v[29:30], v[37:38]
	v_add_f64 v[27:28], v[27:28], v[23:24]
	v_add_f64 v[43:44], v[33:34], v[25:26]
	ds_load_b128 v[7:10], v11 offset:3584
	ds_load_b128 v[15:18], v12 offset:224
	;; [unrolled: 1-line block ×4, first 2 shown]
	s_waitcnt lgkmcnt(0)
	s_barrier
	buffer_gl0_inv
	v_mul_f64 v[45:46], v[17:18], v[9:10]
	v_mul_f64 v[9:10], v[15:16], v[9:10]
	;; [unrolled: 1-line block ×4, first 2 shown]
	v_add_f64 v[27:28], v[27:28], v[39:40]
	v_add_f64 v[29:30], v[43:44], v[41:42]
	v_fma_f64 v[15:16], v[15:16], v[7:8], -v[45:46]
	v_fma_f64 v[7:8], v[17:18], v[7:8], v[9:10]
	s_delay_alu instid0(VALU_DEP_4) | instskip(NEXT) | instid1(VALU_DEP_4)
	v_add_f64 v[9:10], v[27:28], v[19:20]
	v_add_f64 v[17:18], v[29:30], v[21:22]
	v_fma_f64 v[19:20], v[23:24], v[31:32], -v[35:36]
	v_fma_f64 v[21:22], v[25:26], v[31:32], v[33:34]
	s_delay_alu instid0(VALU_DEP_4) | instskip(NEXT) | instid1(VALU_DEP_4)
	v_add_f64 v[9:10], v[9:10], v[15:16]
	v_add_f64 v[7:8], v[17:18], v[7:8]
	s_delay_alu instid0(VALU_DEP_2) | instskip(NEXT) | instid1(VALU_DEP_2)
	v_add_f64 v[9:10], v[9:10], v[19:20]
	v_add_f64 v[7:8], v[7:8], v[21:22]
	s_cbranch_scc1 .LBB431_2
.LBB431_3:
	s_mov_b32 s2, exec_lo
	v_cmpx_le_i32_e64 v2, v0
	s_cbranch_execz .LBB431_5
; %bb.4:
	s_clause 0x1
	s_load_b32 s2, s[0:1], 0x60
	s_load_b64 s[0:1], s[0:1], 0x68
	v_lshlrev_b64 v[5:6], 4, v[0:1]
	s_delay_alu instid0(VALU_DEP_3)
	v_mul_f64 v[13:14], s[16:17], v[7:8]
	v_mul_f64 v[7:8], s[18:19], v[7:8]
	s_waitcnt lgkmcnt(0)
	v_mad_i64_i32 v[3:4], null, s2, v2, 0
	s_mul_i32 s1, s15, s1
	s_mul_hi_u32 s2, s15, s0
	s_mul_i32 s0, s15, s0
	s_add_i32 s1, s2, s1
	s_delay_alu instid0(SALU_CYCLE_1) | instskip(NEXT) | instid1(VALU_DEP_1)
	s_lshl_b64 s[0:1], s[0:1], 4
	v_lshlrev_b64 v[3:4], 4, v[3:4]
	s_add_u32 s0, s10, s0
	s_addc_u32 s1, s11, s1
	s_delay_alu instid0(VALU_DEP_1) | instskip(NEXT) | instid1(VALU_DEP_2)
	v_add_co_u32 v1, vcc_lo, s0, v3
	v_add_co_ci_u32_e32 v3, vcc_lo, s1, v4, vcc_lo
	s_delay_alu instid0(VALU_DEP_2) | instskip(NEXT) | instid1(VALU_DEP_2)
	v_add_co_u32 v11, vcc_lo, v1, v5
	v_add_co_ci_u32_e32 v12, vcc_lo, v3, v6, vcc_lo
	v_fma_f64 v[13:14], s[18:19], v[9:10], v[13:14]
	v_fma_f64 v[7:8], s[16:17], v[9:10], -v[7:8]
	v_cmp_ne_u32_e32 vcc_lo, v0, v2
	global_load_b128 v[3:6], v[11:12], off
	s_waitcnt vmcnt(0)
	v_mul_f64 v[15:16], s[6:7], v[5:6]
	v_mul_f64 v[5:6], s[8:9], v[5:6]
	s_delay_alu instid0(VALU_DEP_2) | instskip(NEXT) | instid1(VALU_DEP_2)
	v_fma_f64 v[15:16], s[8:9], v[3:4], v[15:16]
	v_fma_f64 v[3:4], s[6:7], v[3:4], -v[5:6]
	s_delay_alu instid0(VALU_DEP_2) | instskip(NEXT) | instid1(VALU_DEP_2)
	v_add_f64 v[5:6], v[13:14], v[15:16]
	v_add_f64 v[3:4], v[7:8], v[3:4]
	s_delay_alu instid0(VALU_DEP_2)
	v_dual_cndmask_b32 v6, 0, v6 :: v_dual_cndmask_b32 v5, 0, v5
	global_store_b128 v[11:12], v[3:6], off
.LBB431_5:
	s_nop 0
	s_sendmsg sendmsg(MSG_DEALLOC_VGPRS)
	s_endpgm
	.section	.rodata,"a",@progbits
	.p2align	6, 0x0
	.amdhsa_kernel _ZL41rocblas_syrkx_herkx_small_restrict_kernelIi19rocblas_complex_numIdELi16ELb0ELb1ELc78ELc76EKS1_S1_EviT_T0_PT6_S3_lS6_S3_lS4_PT7_S3_li
		.amdhsa_group_segment_fixed_size 8192
		.amdhsa_private_segment_fixed_size 0
		.amdhsa_kernarg_size 116
		.amdhsa_user_sgpr_count 13
		.amdhsa_user_sgpr_dispatch_ptr 0
		.amdhsa_user_sgpr_queue_ptr 0
		.amdhsa_user_sgpr_kernarg_segment_ptr 1
		.amdhsa_user_sgpr_dispatch_id 0
		.amdhsa_user_sgpr_private_segment_size 0
		.amdhsa_wavefront_size32 1
		.amdhsa_uses_dynamic_stack 0
		.amdhsa_enable_private_segment 0
		.amdhsa_system_sgpr_workgroup_id_x 1
		.amdhsa_system_sgpr_workgroup_id_y 1
		.amdhsa_system_sgpr_workgroup_id_z 1
		.amdhsa_system_sgpr_workgroup_info 0
		.amdhsa_system_vgpr_workitem_id 1
		.amdhsa_next_free_vgpr 47
		.amdhsa_next_free_sgpr 28
		.amdhsa_reserve_vcc 1
		.amdhsa_float_round_mode_32 0
		.amdhsa_float_round_mode_16_64 0
		.amdhsa_float_denorm_mode_32 3
		.amdhsa_float_denorm_mode_16_64 3
		.amdhsa_dx10_clamp 1
		.amdhsa_ieee_mode 1
		.amdhsa_fp16_overflow 0
		.amdhsa_workgroup_processor_mode 1
		.amdhsa_memory_ordered 1
		.amdhsa_forward_progress 0
		.amdhsa_shared_vgpr_count 0
		.amdhsa_exception_fp_ieee_invalid_op 0
		.amdhsa_exception_fp_denorm_src 0
		.amdhsa_exception_fp_ieee_div_zero 0
		.amdhsa_exception_fp_ieee_overflow 0
		.amdhsa_exception_fp_ieee_underflow 0
		.amdhsa_exception_fp_ieee_inexact 0
		.amdhsa_exception_int_div_zero 0
	.end_amdhsa_kernel
	.section	.text._ZL41rocblas_syrkx_herkx_small_restrict_kernelIi19rocblas_complex_numIdELi16ELb0ELb1ELc78ELc76EKS1_S1_EviT_T0_PT6_S3_lS6_S3_lS4_PT7_S3_li,"axG",@progbits,_ZL41rocblas_syrkx_herkx_small_restrict_kernelIi19rocblas_complex_numIdELi16ELb0ELb1ELc78ELc76EKS1_S1_EviT_T0_PT6_S3_lS6_S3_lS4_PT7_S3_li,comdat
.Lfunc_end431:
	.size	_ZL41rocblas_syrkx_herkx_small_restrict_kernelIi19rocblas_complex_numIdELi16ELb0ELb1ELc78ELc76EKS1_S1_EviT_T0_PT6_S3_lS6_S3_lS4_PT7_S3_li, .Lfunc_end431-_ZL41rocblas_syrkx_herkx_small_restrict_kernelIi19rocblas_complex_numIdELi16ELb0ELb1ELc78ELc76EKS1_S1_EviT_T0_PT6_S3_lS6_S3_lS4_PT7_S3_li
                                        ; -- End function
	.section	.AMDGPU.csdata,"",@progbits
; Kernel info:
; codeLenInByte = 1884
; NumSgprs: 30
; NumVgprs: 47
; ScratchSize: 0
; MemoryBound: 0
; FloatMode: 240
; IeeeMode: 1
; LDSByteSize: 8192 bytes/workgroup (compile time only)
; SGPRBlocks: 3
; VGPRBlocks: 5
; NumSGPRsForWavesPerEU: 30
; NumVGPRsForWavesPerEU: 47
; Occupancy: 16
; WaveLimiterHint : 0
; COMPUTE_PGM_RSRC2:SCRATCH_EN: 0
; COMPUTE_PGM_RSRC2:USER_SGPR: 13
; COMPUTE_PGM_RSRC2:TRAP_HANDLER: 0
; COMPUTE_PGM_RSRC2:TGID_X_EN: 1
; COMPUTE_PGM_RSRC2:TGID_Y_EN: 1
; COMPUTE_PGM_RSRC2:TGID_Z_EN: 1
; COMPUTE_PGM_RSRC2:TIDIG_COMP_CNT: 1
	.section	.text._ZL41rocblas_syrkx_herkx_small_restrict_kernelIi19rocblas_complex_numIdELi16ELb0ELb1ELc84ELc85EKS1_S1_EviT_T0_PT6_S3_lS6_S3_lS4_PT7_S3_li,"axG",@progbits,_ZL41rocblas_syrkx_herkx_small_restrict_kernelIi19rocblas_complex_numIdELi16ELb0ELb1ELc84ELc85EKS1_S1_EviT_T0_PT6_S3_lS6_S3_lS4_PT7_S3_li,comdat
	.globl	_ZL41rocblas_syrkx_herkx_small_restrict_kernelIi19rocblas_complex_numIdELi16ELb0ELb1ELc84ELc85EKS1_S1_EviT_T0_PT6_S3_lS6_S3_lS4_PT7_S3_li ; -- Begin function _ZL41rocblas_syrkx_herkx_small_restrict_kernelIi19rocblas_complex_numIdELi16ELb0ELb1ELc84ELc85EKS1_S1_EviT_T0_PT6_S3_lS6_S3_lS4_PT7_S3_li
	.p2align	8
	.type	_ZL41rocblas_syrkx_herkx_small_restrict_kernelIi19rocblas_complex_numIdELi16ELb0ELb1ELc84ELc85EKS1_S1_EviT_T0_PT6_S3_lS6_S3_lS4_PT7_S3_li,@function
_ZL41rocblas_syrkx_herkx_small_restrict_kernelIi19rocblas_complex_numIdELi16ELb0ELb1ELc84ELc85EKS1_S1_EviT_T0_PT6_S3_lS6_S3_lS4_PT7_S3_li: ; @_ZL41rocblas_syrkx_herkx_small_restrict_kernelIi19rocblas_complex_numIdELi16ELb0ELb1ELc84ELc85EKS1_S1_EviT_T0_PT6_S3_lS6_S3_lS4_PT7_S3_li
; %bb.0:
	s_clause 0x3
	s_load_b32 s12, s[0:1], 0x4
	s_load_b128 s[16:19], s[0:1], 0x8
	s_load_b64 s[2:3], s[0:1], 0x18
	s_load_b256 s[4:11], s[0:1], 0x40
	v_dual_mov_b32 v5, 0 :: v_dual_and_b32 v2, 0x3ff, v0
	v_bfe_u32 v1, v0, 10, 10
	v_mov_b32_e32 v6, 0
	s_delay_alu instid0(VALU_DEP_3) | instskip(SKIP_1) | instid1(VALU_DEP_3)
	v_lshl_add_u32 v0, s13, 4, v2
	s_mov_b32 s13, 0
	v_lshl_add_u32 v9, s14, 4, v1
	s_delay_alu instid0(VALU_DEP_3)
	v_dual_mov_b32 v8, v6 :: v_dual_mov_b32 v7, v5
	s_waitcnt lgkmcnt(0)
	s_cmp_lt_i32 s12, 1
	s_cbranch_scc1 .LBB432_3
; %bb.1:
	s_clause 0x2
	s_load_b32 s14, s[0:1], 0x38
	s_load_b32 s24, s[0:1], 0x20
	s_load_b128 s[20:23], s[0:1], 0x28
	v_lshlrev_b32_e32 v3, 8, v1
	v_dual_mov_b32 v5, 0 :: v_dual_lshlrev_b32 v10, 4, v2
	v_dual_mov_b32 v6, 0 :: v_dual_lshlrev_b32 v7, 4, v1
	s_delay_alu instid0(VALU_DEP_3) | instskip(NEXT) | instid1(VALU_DEP_3)
	v_add_nc_u32_e32 v12, 0x1000, v3
	v_add_nc_u32_e32 v11, v10, v3
	s_mul_i32 s5, s5, s15
	s_mul_hi_u32 s25, s4, s15
	s_mul_i32 s4, s4, s15
	s_add_i32 s5, s25, s5
	s_delay_alu instid0(SALU_CYCLE_1)
	s_lshl_b64 s[4:5], s[4:5], 4
	s_waitcnt lgkmcnt(0)
	v_mad_i64_i32 v[1:2], null, s14, v9, 0
	v_mad_i64_i32 v[3:4], null, s24, v0, 0
	s_mul_i32 s14, s21, s15
	s_mul_hi_u32 s21, s20, s15
	s_mul_i32 s20, s20, s15
	s_add_i32 s21, s21, s14
	s_delay_alu instid0(VALU_DEP_2) | instskip(SKIP_1) | instid1(VALU_DEP_2)
	v_lshlrev_b64 v[1:2], 4, v[1:2]
	s_lshl_b64 s[20:21], s[20:21], 4
	v_lshlrev_b64 v[3:4], 4, v[3:4]
	s_delay_alu instid0(VALU_DEP_2) | instskip(NEXT) | instid1(VALU_DEP_3)
	v_add_co_u32 v1, vcc_lo, v1, s4
	v_add_co_ci_u32_e32 v2, vcc_lo, s5, v2, vcc_lo
	s_delay_alu instid0(VALU_DEP_3) | instskip(NEXT) | instid1(VALU_DEP_4)
	v_add_co_u32 v3, vcc_lo, v3, s20
	v_add_co_ci_u32_e32 v4, vcc_lo, s21, v4, vcc_lo
	s_delay_alu instid0(VALU_DEP_4) | instskip(NEXT) | instid1(VALU_DEP_4)
	v_add_co_u32 v1, vcc_lo, v1, v10
	v_add_co_ci_u32_e32 v2, vcc_lo, 0, v2, vcc_lo
	s_delay_alu instid0(VALU_DEP_4) | instskip(NEXT) | instid1(VALU_DEP_4)
	;; [unrolled: 3-line block ×3, first 2 shown]
	v_add_co_u32 v1, vcc_lo, s22, v1
	v_add_co_ci_u32_e32 v2, vcc_lo, s23, v2, vcc_lo
	s_delay_alu instid0(VALU_DEP_4)
	v_add_co_u32 v3, vcc_lo, s2, v3
	v_dual_mov_b32 v8, v6 :: v_dual_mov_b32 v7, v5
	v_add_nc_u32_e32 v13, v12, v10
	v_add_co_ci_u32_e32 v4, vcc_lo, s3, v4, vcc_lo
.LBB432_2:                              ; =>This Inner Loop Header: Depth=1
	global_load_b128 v[14:17], v[3:4], off
	global_load_b128 v[18:21], v[1:2], off
	v_add_co_u32 v1, vcc_lo, 0x100, v1
	v_add_co_ci_u32_e32 v2, vcc_lo, 0, v2, vcc_lo
	v_add_co_u32 v3, vcc_lo, 0x100, v3
	v_add_co_ci_u32_e32 v4, vcc_lo, 0, v4, vcc_lo
	s_add_i32 s13, s13, 16
	s_waitcnt vmcnt(1)
	ds_store_2addr_b64 v11, v[14:15], v[16:17] offset1:1
	s_waitcnt vmcnt(0)
	ds_store_2addr_b64 v13, v[18:19], v[20:21] offset1:1
	s_waitcnt lgkmcnt(0)
	s_barrier
	buffer_gl0_inv
	ds_load_b128 v[14:17], v10
	ds_load_b128 v[18:21], v12
	ds_load_b128 v[22:25], v12 offset:16
	ds_load_b128 v[26:29], v10 offset:256
	s_cmp_lt_i32 s13, s12
	s_waitcnt lgkmcnt(2)
	v_mul_f64 v[30:31], v[20:21], v[16:17]
	v_mul_f64 v[16:17], v[18:19], v[16:17]
	s_waitcnt lgkmcnt(0)
	v_mul_f64 v[36:37], v[24:25], v[28:29]
	v_mul_f64 v[38:39], v[22:23], v[28:29]
	s_delay_alu instid0(VALU_DEP_4) | instskip(NEXT) | instid1(VALU_DEP_4)
	v_fma_f64 v[40:41], v[18:19], v[14:15], -v[30:31]
	v_fma_f64 v[42:43], v[20:21], v[14:15], v[16:17]
	ds_load_b128 v[14:17], v10 offset:512
	ds_load_b128 v[18:21], v12 offset:32
	;; [unrolled: 1-line block ×4, first 2 shown]
	v_fma_f64 v[22:23], v[22:23], v[26:27], -v[36:37]
	v_fma_f64 v[24:25], v[24:25], v[26:27], v[38:39]
	s_waitcnt lgkmcnt(2)
	v_mul_f64 v[44:45], v[20:21], v[16:17]
	v_mul_f64 v[16:17], v[18:19], v[16:17]
	s_waitcnt lgkmcnt(0)
	v_mul_f64 v[26:27], v[30:31], v[34:35]
	v_mul_f64 v[34:35], v[28:29], v[34:35]
	v_add_f64 v[7:8], v[7:8], v[40:41]
	v_add_f64 v[5:6], v[5:6], v[42:43]
	v_fma_f64 v[36:37], v[18:19], v[14:15], -v[44:45]
	v_fma_f64 v[38:39], v[20:21], v[14:15], v[16:17]
	v_fma_f64 v[26:27], v[28:29], v[32:33], -v[26:27]
	v_fma_f64 v[28:29], v[30:31], v[32:33], v[34:35]
	v_add_f64 v[40:41], v[7:8], v[22:23]
	v_add_f64 v[42:43], v[5:6], v[24:25]
	ds_load_b128 v[5:8], v10 offset:1024
	ds_load_b128 v[14:17], v12 offset:64
	;; [unrolled: 1-line block ×4, first 2 shown]
	s_waitcnt lgkmcnt(2)
	v_mul_f64 v[44:45], v[16:17], v[7:8]
	v_mul_f64 v[7:8], v[14:15], v[7:8]
	s_waitcnt lgkmcnt(0)
	v_mul_f64 v[34:35], v[20:21], v[24:25]
	v_add_f64 v[30:31], v[40:41], v[36:37]
	v_add_f64 v[32:33], v[42:43], v[38:39]
	v_mul_f64 v[36:37], v[18:19], v[24:25]
	v_fma_f64 v[38:39], v[14:15], v[5:6], -v[44:45]
	v_fma_f64 v[40:41], v[16:17], v[5:6], v[7:8]
	v_fma_f64 v[18:19], v[18:19], v[22:23], -v[34:35]
	v_add_f64 v[42:43], v[30:31], v[26:27]
	v_add_f64 v[32:33], v[32:33], v[28:29]
	ds_load_b128 v[5:8], v10 offset:1536
	ds_load_b128 v[14:17], v12 offset:96
	;; [unrolled: 1-line block ×4, first 2 shown]
	v_fma_f64 v[20:21], v[20:21], v[22:23], v[36:37]
	s_waitcnt lgkmcnt(2)
	v_mul_f64 v[44:45], v[16:17], v[7:8]
	v_mul_f64 v[7:8], v[14:15], v[7:8]
	s_waitcnt lgkmcnt(0)
	v_mul_f64 v[34:35], v[26:27], v[30:31]
	v_mul_f64 v[36:37], v[24:25], v[30:31]
	v_add_f64 v[22:23], v[42:43], v[38:39]
	v_add_f64 v[32:33], v[32:33], v[40:41]
	v_fma_f64 v[38:39], v[14:15], v[5:6], -v[44:45]
	v_fma_f64 v[40:41], v[16:17], v[5:6], v[7:8]
	v_fma_f64 v[24:25], v[24:25], v[28:29], -v[34:35]
	v_fma_f64 v[26:27], v[26:27], v[28:29], v[36:37]
	v_add_f64 v[22:23], v[22:23], v[18:19]
	v_add_f64 v[42:43], v[32:33], v[20:21]
	ds_load_b128 v[5:8], v10 offset:2048
	ds_load_b128 v[14:17], v12 offset:128
	;; [unrolled: 1-line block ×4, first 2 shown]
	s_waitcnt lgkmcnt(2)
	v_mul_f64 v[44:45], v[16:17], v[7:8]
	v_mul_f64 v[7:8], v[14:15], v[7:8]
	s_waitcnt lgkmcnt(0)
	v_mul_f64 v[34:35], v[20:21], v[32:33]
	v_mul_f64 v[32:33], v[18:19], v[32:33]
	v_add_f64 v[22:23], v[22:23], v[38:39]
	v_add_f64 v[28:29], v[42:43], v[40:41]
	v_fma_f64 v[36:37], v[14:15], v[5:6], -v[44:45]
	v_fma_f64 v[38:39], v[16:17], v[5:6], v[7:8]
	v_fma_f64 v[18:19], v[18:19], v[30:31], -v[34:35]
	v_fma_f64 v[20:21], v[20:21], v[30:31], v[32:33]
	v_add_f64 v[40:41], v[22:23], v[24:25]
	v_add_f64 v[42:43], v[28:29], v[26:27]
	ds_load_b128 v[5:8], v10 offset:2560
	ds_load_b128 v[14:17], v12 offset:160
	;; [unrolled: 1-line block ×4, first 2 shown]
	s_waitcnt lgkmcnt(2)
	v_mul_f64 v[44:45], v[16:17], v[7:8]
	v_mul_f64 v[7:8], v[14:15], v[7:8]
	s_waitcnt lgkmcnt(0)
	v_mul_f64 v[34:35], v[24:25], v[28:29]
	v_add_f64 v[30:31], v[40:41], v[36:37]
	v_add_f64 v[32:33], v[42:43], v[38:39]
	v_mul_f64 v[36:37], v[22:23], v[28:29]
	v_fma_f64 v[38:39], v[14:15], v[5:6], -v[44:45]
	v_fma_f64 v[40:41], v[16:17], v[5:6], v[7:8]
	v_fma_f64 v[22:23], v[22:23], v[26:27], -v[34:35]
	v_add_f64 v[42:43], v[30:31], v[18:19]
	v_add_f64 v[32:33], v[32:33], v[20:21]
	ds_load_b128 v[5:8], v10 offset:3072
	ds_load_b128 v[14:17], v12 offset:192
	;; [unrolled: 1-line block ×4, first 2 shown]
	v_fma_f64 v[24:25], v[24:25], v[26:27], v[36:37]
	s_waitcnt lgkmcnt(2)
	v_mul_f64 v[44:45], v[16:17], v[7:8]
	v_mul_f64 v[7:8], v[14:15], v[7:8]
	s_waitcnt lgkmcnt(0)
	v_mul_f64 v[34:35], v[20:21], v[30:31]
	v_mul_f64 v[36:37], v[18:19], v[30:31]
	v_add_f64 v[26:27], v[42:43], v[38:39]
	v_add_f64 v[32:33], v[32:33], v[40:41]
	v_fma_f64 v[38:39], v[14:15], v[5:6], -v[44:45]
	v_fma_f64 v[40:41], v[16:17], v[5:6], v[7:8]
	v_fma_f64 v[18:19], v[18:19], v[28:29], -v[34:35]
	v_fma_f64 v[20:21], v[20:21], v[28:29], v[36:37]
	v_add_f64 v[26:27], v[26:27], v[22:23]
	v_add_f64 v[42:43], v[32:33], v[24:25]
	ds_load_b128 v[5:8], v10 offset:3584
	ds_load_b128 v[14:17], v12 offset:224
	ds_load_b128 v[22:25], v12 offset:240
	ds_load_b128 v[30:33], v10 offset:3840
	s_waitcnt lgkmcnt(0)
	s_barrier
	buffer_gl0_inv
	v_mul_f64 v[44:45], v[16:17], v[7:8]
	v_mul_f64 v[7:8], v[14:15], v[7:8]
	;; [unrolled: 1-line block ×4, first 2 shown]
	v_add_f64 v[26:27], v[26:27], v[38:39]
	v_add_f64 v[28:29], v[42:43], v[40:41]
	v_fma_f64 v[14:15], v[14:15], v[5:6], -v[44:45]
	v_fma_f64 v[5:6], v[16:17], v[5:6], v[7:8]
	s_delay_alu instid0(VALU_DEP_4) | instskip(NEXT) | instid1(VALU_DEP_4)
	v_add_f64 v[7:8], v[26:27], v[18:19]
	v_add_f64 v[16:17], v[28:29], v[20:21]
	v_fma_f64 v[18:19], v[22:23], v[30:31], -v[34:35]
	v_fma_f64 v[20:21], v[24:25], v[30:31], v[32:33]
	s_delay_alu instid0(VALU_DEP_4) | instskip(NEXT) | instid1(VALU_DEP_4)
	v_add_f64 v[7:8], v[7:8], v[14:15]
	v_add_f64 v[5:6], v[16:17], v[5:6]
	s_delay_alu instid0(VALU_DEP_2) | instskip(NEXT) | instid1(VALU_DEP_2)
	v_add_f64 v[7:8], v[7:8], v[18:19]
	v_add_f64 v[5:6], v[5:6], v[20:21]
	s_cbranch_scc1 .LBB432_2
.LBB432_3:
	s_mov_b32 s2, exec_lo
	v_cmpx_le_i32_e64 v0, v9
	s_cbranch_execz .LBB432_5
; %bb.4:
	s_clause 0x1
	s_load_b32 s2, s[0:1], 0x60
	s_load_b64 s[0:1], s[0:1], 0x68
	v_ashrrev_i32_e32 v1, 31, v0
	s_delay_alu instid0(VALU_DEP_3) | instskip(SKIP_1) | instid1(VALU_DEP_3)
	v_mul_f64 v[12:13], s[16:17], v[5:6]
	v_mul_f64 v[5:6], s[18:19], v[5:6]
	v_lshlrev_b64 v[10:11], 4, v[0:1]
	s_waitcnt lgkmcnt(0)
	v_mad_i64_i32 v[2:3], null, s2, v9, 0
	s_mul_i32 s1, s15, s1
	s_mul_hi_u32 s2, s15, s0
	s_mul_i32 s0, s15, s0
	s_add_i32 s1, s2, s1
	s_delay_alu instid0(SALU_CYCLE_1) | instskip(NEXT) | instid1(VALU_DEP_1)
	s_lshl_b64 s[0:1], s[0:1], 4
	v_lshlrev_b64 v[2:3], 4, v[2:3]
	s_add_u32 s0, s10, s0
	s_addc_u32 s1, s11, s1
	s_delay_alu instid0(VALU_DEP_1) | instskip(NEXT) | instid1(VALU_DEP_2)
	v_add_co_u32 v1, vcc_lo, s0, v2
	v_add_co_ci_u32_e32 v2, vcc_lo, s1, v3, vcc_lo
	s_delay_alu instid0(VALU_DEP_2) | instskip(NEXT) | instid1(VALU_DEP_2)
	v_add_co_u32 v10, vcc_lo, v1, v10
	v_add_co_ci_u32_e32 v11, vcc_lo, v2, v11, vcc_lo
	v_fma_f64 v[12:13], s[18:19], v[7:8], v[12:13]
	v_fma_f64 v[5:6], s[16:17], v[7:8], -v[5:6]
	v_cmp_ne_u32_e32 vcc_lo, v0, v9
	global_load_b128 v[1:4], v[10:11], off
	s_waitcnt vmcnt(0)
	v_mul_f64 v[14:15], s[6:7], v[3:4]
	v_mul_f64 v[3:4], s[8:9], v[3:4]
	s_delay_alu instid0(VALU_DEP_2) | instskip(NEXT) | instid1(VALU_DEP_2)
	v_fma_f64 v[14:15], s[8:9], v[1:2], v[14:15]
	v_fma_f64 v[1:2], s[6:7], v[1:2], -v[3:4]
	s_delay_alu instid0(VALU_DEP_2) | instskip(NEXT) | instid1(VALU_DEP_2)
	v_add_f64 v[3:4], v[12:13], v[14:15]
	v_add_f64 v[1:2], v[5:6], v[1:2]
	s_delay_alu instid0(VALU_DEP_2)
	v_dual_cndmask_b32 v4, 0, v4 :: v_dual_cndmask_b32 v3, 0, v3
	global_store_b128 v[10:11], v[1:4], off
.LBB432_5:
	s_nop 0
	s_sendmsg sendmsg(MSG_DEALLOC_VGPRS)
	s_endpgm
	.section	.rodata,"a",@progbits
	.p2align	6, 0x0
	.amdhsa_kernel _ZL41rocblas_syrkx_herkx_small_restrict_kernelIi19rocblas_complex_numIdELi16ELb0ELb1ELc84ELc85EKS1_S1_EviT_T0_PT6_S3_lS6_S3_lS4_PT7_S3_li
		.amdhsa_group_segment_fixed_size 8192
		.amdhsa_private_segment_fixed_size 0
		.amdhsa_kernarg_size 116
		.amdhsa_user_sgpr_count 13
		.amdhsa_user_sgpr_dispatch_ptr 0
		.amdhsa_user_sgpr_queue_ptr 0
		.amdhsa_user_sgpr_kernarg_segment_ptr 1
		.amdhsa_user_sgpr_dispatch_id 0
		.amdhsa_user_sgpr_private_segment_size 0
		.amdhsa_wavefront_size32 1
		.amdhsa_uses_dynamic_stack 0
		.amdhsa_enable_private_segment 0
		.amdhsa_system_sgpr_workgroup_id_x 1
		.amdhsa_system_sgpr_workgroup_id_y 1
		.amdhsa_system_sgpr_workgroup_id_z 1
		.amdhsa_system_sgpr_workgroup_info 0
		.amdhsa_system_vgpr_workitem_id 1
		.amdhsa_next_free_vgpr 46
		.amdhsa_next_free_sgpr 26
		.amdhsa_reserve_vcc 1
		.amdhsa_float_round_mode_32 0
		.amdhsa_float_round_mode_16_64 0
		.amdhsa_float_denorm_mode_32 3
		.amdhsa_float_denorm_mode_16_64 3
		.amdhsa_dx10_clamp 1
		.amdhsa_ieee_mode 1
		.amdhsa_fp16_overflow 0
		.amdhsa_workgroup_processor_mode 1
		.amdhsa_memory_ordered 1
		.amdhsa_forward_progress 0
		.amdhsa_shared_vgpr_count 0
		.amdhsa_exception_fp_ieee_invalid_op 0
		.amdhsa_exception_fp_denorm_src 0
		.amdhsa_exception_fp_ieee_div_zero 0
		.amdhsa_exception_fp_ieee_overflow 0
		.amdhsa_exception_fp_ieee_underflow 0
		.amdhsa_exception_fp_ieee_inexact 0
		.amdhsa_exception_int_div_zero 0
	.end_amdhsa_kernel
	.section	.text._ZL41rocblas_syrkx_herkx_small_restrict_kernelIi19rocblas_complex_numIdELi16ELb0ELb1ELc84ELc85EKS1_S1_EviT_T0_PT6_S3_lS6_S3_lS4_PT7_S3_li,"axG",@progbits,_ZL41rocblas_syrkx_herkx_small_restrict_kernelIi19rocblas_complex_numIdELi16ELb0ELb1ELc84ELc85EKS1_S1_EviT_T0_PT6_S3_lS6_S3_lS4_PT7_S3_li,comdat
.Lfunc_end432:
	.size	_ZL41rocblas_syrkx_herkx_small_restrict_kernelIi19rocblas_complex_numIdELi16ELb0ELb1ELc84ELc85EKS1_S1_EviT_T0_PT6_S3_lS6_S3_lS4_PT7_S3_li, .Lfunc_end432-_ZL41rocblas_syrkx_herkx_small_restrict_kernelIi19rocblas_complex_numIdELi16ELb0ELb1ELc84ELc85EKS1_S1_EviT_T0_PT6_S3_lS6_S3_lS4_PT7_S3_li
                                        ; -- End function
	.section	.AMDGPU.csdata,"",@progbits
; Kernel info:
; codeLenInByte = 1848
; NumSgprs: 28
; NumVgprs: 46
; ScratchSize: 0
; MemoryBound: 0
; FloatMode: 240
; IeeeMode: 1
; LDSByteSize: 8192 bytes/workgroup (compile time only)
; SGPRBlocks: 3
; VGPRBlocks: 5
; NumSGPRsForWavesPerEU: 28
; NumVGPRsForWavesPerEU: 46
; Occupancy: 16
; WaveLimiterHint : 0
; COMPUTE_PGM_RSRC2:SCRATCH_EN: 0
; COMPUTE_PGM_RSRC2:USER_SGPR: 13
; COMPUTE_PGM_RSRC2:TRAP_HANDLER: 0
; COMPUTE_PGM_RSRC2:TGID_X_EN: 1
; COMPUTE_PGM_RSRC2:TGID_Y_EN: 1
; COMPUTE_PGM_RSRC2:TGID_Z_EN: 1
; COMPUTE_PGM_RSRC2:TIDIG_COMP_CNT: 1
	.section	.text._ZL41rocblas_syrkx_herkx_small_restrict_kernelIi19rocblas_complex_numIdELi16ELb0ELb1ELc67ELc85EKS1_S1_EviT_T0_PT6_S3_lS6_S3_lS4_PT7_S3_li,"axG",@progbits,_ZL41rocblas_syrkx_herkx_small_restrict_kernelIi19rocblas_complex_numIdELi16ELb0ELb1ELc67ELc85EKS1_S1_EviT_T0_PT6_S3_lS6_S3_lS4_PT7_S3_li,comdat
	.globl	_ZL41rocblas_syrkx_herkx_small_restrict_kernelIi19rocblas_complex_numIdELi16ELb0ELb1ELc67ELc85EKS1_S1_EviT_T0_PT6_S3_lS6_S3_lS4_PT7_S3_li ; -- Begin function _ZL41rocblas_syrkx_herkx_small_restrict_kernelIi19rocblas_complex_numIdELi16ELb0ELb1ELc67ELc85EKS1_S1_EviT_T0_PT6_S3_lS6_S3_lS4_PT7_S3_li
	.p2align	8
	.type	_ZL41rocblas_syrkx_herkx_small_restrict_kernelIi19rocblas_complex_numIdELi16ELb0ELb1ELc67ELc85EKS1_S1_EviT_T0_PT6_S3_lS6_S3_lS4_PT7_S3_li,@function
_ZL41rocblas_syrkx_herkx_small_restrict_kernelIi19rocblas_complex_numIdELi16ELb0ELb1ELc67ELc85EKS1_S1_EviT_T0_PT6_S3_lS6_S3_lS4_PT7_S3_li: ; @_ZL41rocblas_syrkx_herkx_small_restrict_kernelIi19rocblas_complex_numIdELi16ELb0ELb1ELc67ELc85EKS1_S1_EviT_T0_PT6_S3_lS6_S3_lS4_PT7_S3_li
; %bb.0:
	s_clause 0x3
	s_load_b32 s12, s[0:1], 0x4
	s_load_b128 s[16:19], s[0:1], 0x8
	s_load_b64 s[2:3], s[0:1], 0x18
	s_load_b256 s[4:11], s[0:1], 0x40
	v_dual_mov_b32 v5, 0 :: v_dual_and_b32 v2, 0x3ff, v0
	v_bfe_u32 v1, v0, 10, 10
	v_mov_b32_e32 v6, 0
	s_delay_alu instid0(VALU_DEP_3) | instskip(SKIP_1) | instid1(VALU_DEP_3)
	v_lshl_add_u32 v0, s13, 4, v2
	s_mov_b32 s13, 0
	v_lshl_add_u32 v9, s14, 4, v1
	s_delay_alu instid0(VALU_DEP_3)
	v_dual_mov_b32 v8, v6 :: v_dual_mov_b32 v7, v5
	s_waitcnt lgkmcnt(0)
	s_cmp_lt_i32 s12, 1
	s_cbranch_scc1 .LBB433_3
; %bb.1:
	s_clause 0x2
	s_load_b32 s14, s[0:1], 0x20
	s_load_b32 s24, s[0:1], 0x38
	s_load_b128 s[20:23], s[0:1], 0x28
	v_lshlrev_b32_e32 v3, 8, v1
	v_lshlrev_b32_e32 v10, 4, v2
	;; [unrolled: 1-line block ×3, first 2 shown]
	s_mul_i32 s5, s5, s15
	s_mul_hi_u32 s25, s4, s15
	v_add_nc_u32_e32 v12, 0x1000, v3
	v_add_nc_u32_e32 v11, v10, v3
	s_mul_i32 s4, s4, s15
	s_add_i32 s5, s25, s5
	s_delay_alu instid0(SALU_CYCLE_1)
	s_lshl_b64 s[4:5], s[4:5], 4
	s_waitcnt lgkmcnt(0)
	v_mad_i64_i32 v[1:2], null, s14, v0, 0
	v_mad_i64_i32 v[3:4], null, s24, v9, 0
	s_mul_i32 s14, s21, s15
	s_mul_hi_u32 s21, s20, s15
	s_mul_i32 s20, s20, s15
	s_add_i32 s21, s21, s14
	s_delay_alu instid0(VALU_DEP_2) | instskip(SKIP_1) | instid1(VALU_DEP_2)
	v_lshlrev_b64 v[1:2], 4, v[1:2]
	s_lshl_b64 s[20:21], s[20:21], 4
	v_lshlrev_b64 v[3:4], 4, v[3:4]
	s_delay_alu instid0(VALU_DEP_2) | instskip(NEXT) | instid1(VALU_DEP_3)
	v_add_co_u32 v1, vcc_lo, v1, s20
	v_add_co_ci_u32_e32 v2, vcc_lo, s21, v2, vcc_lo
	s_delay_alu instid0(VALU_DEP_3) | instskip(NEXT) | instid1(VALU_DEP_4)
	v_add_co_u32 v3, vcc_lo, v3, s4
	v_add_co_ci_u32_e32 v4, vcc_lo, s5, v4, vcc_lo
	s_delay_alu instid0(VALU_DEP_4) | instskip(NEXT) | instid1(VALU_DEP_4)
	v_add_co_u32 v1, vcc_lo, v1, v5
	v_add_co_ci_u32_e32 v2, vcc_lo, 0, v2, vcc_lo
	v_mov_b32_e32 v5, 0
	v_add_co_u32 v3, vcc_lo, v3, v10
	v_add_co_ci_u32_e32 v4, vcc_lo, 0, v4, vcc_lo
	v_add_co_u32 v7, vcc_lo, v1, s2
	v_add_co_ci_u32_e32 v8, vcc_lo, s3, v2, vcc_lo
	v_mov_b32_e32 v6, 0
	v_add_co_u32 v1, vcc_lo, s22, v3
	v_add_co_ci_u32_e32 v2, vcc_lo, s23, v4, vcc_lo
	v_add_co_u32 v3, vcc_lo, v7, 8
	v_add_co_ci_u32_e32 v4, vcc_lo, 0, v8, vcc_lo
	v_dual_mov_b32 v8, v6 :: v_dual_mov_b32 v7, v5
	v_add_nc_u32_e32 v13, v12, v10
.LBB433_2:                              ; =>This Inner Loop Header: Depth=1
	global_load_b128 v[14:17], v[3:4], off offset:-8
	global_load_b128 v[18:21], v[1:2], off
	v_add_co_u32 v1, vcc_lo, 0x100, v1
	v_add_co_ci_u32_e32 v2, vcc_lo, 0, v2, vcc_lo
	v_add_co_u32 v3, vcc_lo, 0x100, v3
	v_add_co_ci_u32_e32 v4, vcc_lo, 0, v4, vcc_lo
	s_add_i32 s13, s13, 16
	s_delay_alu instid0(SALU_CYCLE_1)
	s_cmp_lt_i32 s13, s12
	s_waitcnt vmcnt(1)
	v_xor_b32_e32 v17, 0x80000000, v17
	ds_store_b128 v11, v[14:17]
	s_waitcnt vmcnt(0)
	ds_store_2addr_b64 v13, v[18:19], v[20:21] offset1:1
	s_waitcnt lgkmcnt(0)
	s_barrier
	buffer_gl0_inv
	ds_load_b128 v[14:17], v10
	ds_load_b128 v[18:21], v12
	ds_load_b128 v[22:25], v12 offset:16
	ds_load_b128 v[26:29], v10 offset:256
	s_waitcnt lgkmcnt(2)
	v_mul_f64 v[30:31], v[20:21], v[16:17]
	v_mul_f64 v[16:17], v[18:19], v[16:17]
	s_waitcnt lgkmcnt(0)
	v_mul_f64 v[36:37], v[24:25], v[28:29]
	v_mul_f64 v[38:39], v[22:23], v[28:29]
	s_delay_alu instid0(VALU_DEP_4) | instskip(NEXT) | instid1(VALU_DEP_4)
	v_fma_f64 v[40:41], v[18:19], v[14:15], -v[30:31]
	v_fma_f64 v[42:43], v[20:21], v[14:15], v[16:17]
	ds_load_b128 v[14:17], v10 offset:512
	ds_load_b128 v[18:21], v12 offset:32
	;; [unrolled: 1-line block ×4, first 2 shown]
	v_fma_f64 v[22:23], v[22:23], v[26:27], -v[36:37]
	v_fma_f64 v[24:25], v[24:25], v[26:27], v[38:39]
	s_waitcnt lgkmcnt(2)
	v_mul_f64 v[44:45], v[20:21], v[16:17]
	v_mul_f64 v[16:17], v[18:19], v[16:17]
	s_waitcnt lgkmcnt(0)
	v_mul_f64 v[26:27], v[30:31], v[34:35]
	v_mul_f64 v[34:35], v[28:29], v[34:35]
	v_add_f64 v[7:8], v[7:8], v[40:41]
	v_add_f64 v[5:6], v[5:6], v[42:43]
	v_fma_f64 v[36:37], v[18:19], v[14:15], -v[44:45]
	v_fma_f64 v[38:39], v[20:21], v[14:15], v[16:17]
	v_fma_f64 v[26:27], v[28:29], v[32:33], -v[26:27]
	v_fma_f64 v[28:29], v[30:31], v[32:33], v[34:35]
	v_add_f64 v[40:41], v[7:8], v[22:23]
	v_add_f64 v[42:43], v[5:6], v[24:25]
	ds_load_b128 v[5:8], v10 offset:1024
	ds_load_b128 v[14:17], v12 offset:64
	;; [unrolled: 1-line block ×4, first 2 shown]
	s_waitcnt lgkmcnt(2)
	v_mul_f64 v[44:45], v[16:17], v[7:8]
	v_mul_f64 v[7:8], v[14:15], v[7:8]
	s_waitcnt lgkmcnt(0)
	v_mul_f64 v[34:35], v[20:21], v[24:25]
	v_add_f64 v[30:31], v[40:41], v[36:37]
	v_add_f64 v[32:33], v[42:43], v[38:39]
	v_mul_f64 v[36:37], v[18:19], v[24:25]
	v_fma_f64 v[38:39], v[14:15], v[5:6], -v[44:45]
	v_fma_f64 v[40:41], v[16:17], v[5:6], v[7:8]
	v_fma_f64 v[18:19], v[18:19], v[22:23], -v[34:35]
	v_add_f64 v[42:43], v[30:31], v[26:27]
	v_add_f64 v[32:33], v[32:33], v[28:29]
	ds_load_b128 v[5:8], v10 offset:1536
	ds_load_b128 v[14:17], v12 offset:96
	;; [unrolled: 1-line block ×4, first 2 shown]
	v_fma_f64 v[20:21], v[20:21], v[22:23], v[36:37]
	s_waitcnt lgkmcnt(2)
	v_mul_f64 v[44:45], v[16:17], v[7:8]
	v_mul_f64 v[7:8], v[14:15], v[7:8]
	s_waitcnt lgkmcnt(0)
	v_mul_f64 v[34:35], v[26:27], v[30:31]
	v_mul_f64 v[36:37], v[24:25], v[30:31]
	v_add_f64 v[22:23], v[42:43], v[38:39]
	v_add_f64 v[32:33], v[32:33], v[40:41]
	v_fma_f64 v[38:39], v[14:15], v[5:6], -v[44:45]
	v_fma_f64 v[40:41], v[16:17], v[5:6], v[7:8]
	v_fma_f64 v[24:25], v[24:25], v[28:29], -v[34:35]
	v_fma_f64 v[26:27], v[26:27], v[28:29], v[36:37]
	v_add_f64 v[22:23], v[22:23], v[18:19]
	v_add_f64 v[42:43], v[32:33], v[20:21]
	ds_load_b128 v[5:8], v10 offset:2048
	ds_load_b128 v[14:17], v12 offset:128
	;; [unrolled: 1-line block ×4, first 2 shown]
	s_waitcnt lgkmcnt(2)
	v_mul_f64 v[44:45], v[16:17], v[7:8]
	v_mul_f64 v[7:8], v[14:15], v[7:8]
	s_waitcnt lgkmcnt(0)
	v_mul_f64 v[34:35], v[20:21], v[32:33]
	v_mul_f64 v[32:33], v[18:19], v[32:33]
	v_add_f64 v[22:23], v[22:23], v[38:39]
	v_add_f64 v[28:29], v[42:43], v[40:41]
	v_fma_f64 v[36:37], v[14:15], v[5:6], -v[44:45]
	v_fma_f64 v[38:39], v[16:17], v[5:6], v[7:8]
	v_fma_f64 v[18:19], v[18:19], v[30:31], -v[34:35]
	v_fma_f64 v[20:21], v[20:21], v[30:31], v[32:33]
	v_add_f64 v[40:41], v[22:23], v[24:25]
	v_add_f64 v[42:43], v[28:29], v[26:27]
	ds_load_b128 v[5:8], v10 offset:2560
	ds_load_b128 v[14:17], v12 offset:160
	;; [unrolled: 1-line block ×4, first 2 shown]
	s_waitcnt lgkmcnt(2)
	v_mul_f64 v[44:45], v[16:17], v[7:8]
	v_mul_f64 v[7:8], v[14:15], v[7:8]
	s_waitcnt lgkmcnt(0)
	v_mul_f64 v[34:35], v[24:25], v[28:29]
	v_add_f64 v[30:31], v[40:41], v[36:37]
	v_add_f64 v[32:33], v[42:43], v[38:39]
	v_mul_f64 v[36:37], v[22:23], v[28:29]
	v_fma_f64 v[38:39], v[14:15], v[5:6], -v[44:45]
	v_fma_f64 v[40:41], v[16:17], v[5:6], v[7:8]
	v_fma_f64 v[22:23], v[22:23], v[26:27], -v[34:35]
	v_add_f64 v[42:43], v[30:31], v[18:19]
	v_add_f64 v[32:33], v[32:33], v[20:21]
	ds_load_b128 v[5:8], v10 offset:3072
	ds_load_b128 v[14:17], v12 offset:192
	;; [unrolled: 1-line block ×4, first 2 shown]
	v_fma_f64 v[24:25], v[24:25], v[26:27], v[36:37]
	s_waitcnt lgkmcnt(2)
	v_mul_f64 v[44:45], v[16:17], v[7:8]
	v_mul_f64 v[7:8], v[14:15], v[7:8]
	s_waitcnt lgkmcnt(0)
	v_mul_f64 v[34:35], v[20:21], v[30:31]
	v_mul_f64 v[36:37], v[18:19], v[30:31]
	v_add_f64 v[26:27], v[42:43], v[38:39]
	v_add_f64 v[32:33], v[32:33], v[40:41]
	v_fma_f64 v[38:39], v[14:15], v[5:6], -v[44:45]
	v_fma_f64 v[40:41], v[16:17], v[5:6], v[7:8]
	v_fma_f64 v[18:19], v[18:19], v[28:29], -v[34:35]
	v_fma_f64 v[20:21], v[20:21], v[28:29], v[36:37]
	v_add_f64 v[26:27], v[26:27], v[22:23]
	v_add_f64 v[42:43], v[32:33], v[24:25]
	ds_load_b128 v[5:8], v10 offset:3584
	ds_load_b128 v[14:17], v12 offset:224
	;; [unrolled: 1-line block ×4, first 2 shown]
	s_waitcnt lgkmcnt(0)
	s_barrier
	buffer_gl0_inv
	v_mul_f64 v[44:45], v[16:17], v[7:8]
	v_mul_f64 v[7:8], v[14:15], v[7:8]
	;; [unrolled: 1-line block ×4, first 2 shown]
	v_add_f64 v[26:27], v[26:27], v[38:39]
	v_add_f64 v[28:29], v[42:43], v[40:41]
	v_fma_f64 v[14:15], v[14:15], v[5:6], -v[44:45]
	v_fma_f64 v[5:6], v[16:17], v[5:6], v[7:8]
	s_delay_alu instid0(VALU_DEP_4) | instskip(NEXT) | instid1(VALU_DEP_4)
	v_add_f64 v[7:8], v[26:27], v[18:19]
	v_add_f64 v[16:17], v[28:29], v[20:21]
	v_fma_f64 v[18:19], v[22:23], v[30:31], -v[34:35]
	v_fma_f64 v[20:21], v[24:25], v[30:31], v[32:33]
	s_delay_alu instid0(VALU_DEP_4) | instskip(NEXT) | instid1(VALU_DEP_4)
	v_add_f64 v[7:8], v[7:8], v[14:15]
	v_add_f64 v[5:6], v[16:17], v[5:6]
	s_delay_alu instid0(VALU_DEP_2) | instskip(NEXT) | instid1(VALU_DEP_2)
	v_add_f64 v[7:8], v[7:8], v[18:19]
	v_add_f64 v[5:6], v[5:6], v[20:21]
	s_cbranch_scc1 .LBB433_2
.LBB433_3:
	s_mov_b32 s2, exec_lo
	v_cmpx_le_i32_e64 v0, v9
	s_cbranch_execz .LBB433_5
; %bb.4:
	s_clause 0x1
	s_load_b32 s2, s[0:1], 0x60
	s_load_b64 s[0:1], s[0:1], 0x68
	v_ashrrev_i32_e32 v1, 31, v0
	s_delay_alu instid0(VALU_DEP_3) | instskip(SKIP_1) | instid1(VALU_DEP_3)
	v_mul_f64 v[12:13], s[16:17], v[5:6]
	v_mul_f64 v[5:6], s[18:19], v[5:6]
	v_lshlrev_b64 v[10:11], 4, v[0:1]
	s_waitcnt lgkmcnt(0)
	v_mad_i64_i32 v[2:3], null, s2, v9, 0
	s_mul_i32 s1, s15, s1
	s_mul_hi_u32 s2, s15, s0
	s_mul_i32 s0, s15, s0
	s_add_i32 s1, s2, s1
	s_delay_alu instid0(SALU_CYCLE_1) | instskip(NEXT) | instid1(VALU_DEP_1)
	s_lshl_b64 s[0:1], s[0:1], 4
	v_lshlrev_b64 v[2:3], 4, v[2:3]
	s_add_u32 s0, s10, s0
	s_addc_u32 s1, s11, s1
	s_delay_alu instid0(VALU_DEP_1) | instskip(NEXT) | instid1(VALU_DEP_2)
	v_add_co_u32 v1, vcc_lo, s0, v2
	v_add_co_ci_u32_e32 v2, vcc_lo, s1, v3, vcc_lo
	s_delay_alu instid0(VALU_DEP_2) | instskip(NEXT) | instid1(VALU_DEP_2)
	v_add_co_u32 v10, vcc_lo, v1, v10
	v_add_co_ci_u32_e32 v11, vcc_lo, v2, v11, vcc_lo
	v_fma_f64 v[12:13], s[18:19], v[7:8], v[12:13]
	v_fma_f64 v[5:6], s[16:17], v[7:8], -v[5:6]
	v_cmp_ne_u32_e32 vcc_lo, v0, v9
	global_load_b128 v[1:4], v[10:11], off
	s_waitcnt vmcnt(0)
	v_mul_f64 v[14:15], s[6:7], v[3:4]
	v_mul_f64 v[3:4], s[8:9], v[3:4]
	s_delay_alu instid0(VALU_DEP_2) | instskip(NEXT) | instid1(VALU_DEP_2)
	v_fma_f64 v[14:15], s[8:9], v[1:2], v[14:15]
	v_fma_f64 v[1:2], s[6:7], v[1:2], -v[3:4]
	s_delay_alu instid0(VALU_DEP_2) | instskip(NEXT) | instid1(VALU_DEP_2)
	v_add_f64 v[3:4], v[12:13], v[14:15]
	v_add_f64 v[1:2], v[5:6], v[1:2]
	s_delay_alu instid0(VALU_DEP_2)
	v_dual_cndmask_b32 v4, 0, v4 :: v_dual_cndmask_b32 v3, 0, v3
	global_store_b128 v[10:11], v[1:4], off
.LBB433_5:
	s_nop 0
	s_sendmsg sendmsg(MSG_DEALLOC_VGPRS)
	s_endpgm
	.section	.rodata,"a",@progbits
	.p2align	6, 0x0
	.amdhsa_kernel _ZL41rocblas_syrkx_herkx_small_restrict_kernelIi19rocblas_complex_numIdELi16ELb0ELb1ELc67ELc85EKS1_S1_EviT_T0_PT6_S3_lS6_S3_lS4_PT7_S3_li
		.amdhsa_group_segment_fixed_size 8192
		.amdhsa_private_segment_fixed_size 0
		.amdhsa_kernarg_size 116
		.amdhsa_user_sgpr_count 13
		.amdhsa_user_sgpr_dispatch_ptr 0
		.amdhsa_user_sgpr_queue_ptr 0
		.amdhsa_user_sgpr_kernarg_segment_ptr 1
		.amdhsa_user_sgpr_dispatch_id 0
		.amdhsa_user_sgpr_private_segment_size 0
		.amdhsa_wavefront_size32 1
		.amdhsa_uses_dynamic_stack 0
		.amdhsa_enable_private_segment 0
		.amdhsa_system_sgpr_workgroup_id_x 1
		.amdhsa_system_sgpr_workgroup_id_y 1
		.amdhsa_system_sgpr_workgroup_id_z 1
		.amdhsa_system_sgpr_workgroup_info 0
		.amdhsa_system_vgpr_workitem_id 1
		.amdhsa_next_free_vgpr 46
		.amdhsa_next_free_sgpr 26
		.amdhsa_reserve_vcc 1
		.amdhsa_float_round_mode_32 0
		.amdhsa_float_round_mode_16_64 0
		.amdhsa_float_denorm_mode_32 3
		.amdhsa_float_denorm_mode_16_64 3
		.amdhsa_dx10_clamp 1
		.amdhsa_ieee_mode 1
		.amdhsa_fp16_overflow 0
		.amdhsa_workgroup_processor_mode 1
		.amdhsa_memory_ordered 1
		.amdhsa_forward_progress 0
		.amdhsa_shared_vgpr_count 0
		.amdhsa_exception_fp_ieee_invalid_op 0
		.amdhsa_exception_fp_denorm_src 0
		.amdhsa_exception_fp_ieee_div_zero 0
		.amdhsa_exception_fp_ieee_overflow 0
		.amdhsa_exception_fp_ieee_underflow 0
		.amdhsa_exception_fp_ieee_inexact 0
		.amdhsa_exception_int_div_zero 0
	.end_amdhsa_kernel
	.section	.text._ZL41rocblas_syrkx_herkx_small_restrict_kernelIi19rocblas_complex_numIdELi16ELb0ELb1ELc67ELc85EKS1_S1_EviT_T0_PT6_S3_lS6_S3_lS4_PT7_S3_li,"axG",@progbits,_ZL41rocblas_syrkx_herkx_small_restrict_kernelIi19rocblas_complex_numIdELi16ELb0ELb1ELc67ELc85EKS1_S1_EviT_T0_PT6_S3_lS6_S3_lS4_PT7_S3_li,comdat
.Lfunc_end433:
	.size	_ZL41rocblas_syrkx_herkx_small_restrict_kernelIi19rocblas_complex_numIdELi16ELb0ELb1ELc67ELc85EKS1_S1_EviT_T0_PT6_S3_lS6_S3_lS4_PT7_S3_li, .Lfunc_end433-_ZL41rocblas_syrkx_herkx_small_restrict_kernelIi19rocblas_complex_numIdELi16ELb0ELb1ELc67ELc85EKS1_S1_EviT_T0_PT6_S3_lS6_S3_lS4_PT7_S3_li
                                        ; -- End function
	.section	.AMDGPU.csdata,"",@progbits
; Kernel info:
; codeLenInByte = 1856
; NumSgprs: 28
; NumVgprs: 46
; ScratchSize: 0
; MemoryBound: 0
; FloatMode: 240
; IeeeMode: 1
; LDSByteSize: 8192 bytes/workgroup (compile time only)
; SGPRBlocks: 3
; VGPRBlocks: 5
; NumSGPRsForWavesPerEU: 28
; NumVGPRsForWavesPerEU: 46
; Occupancy: 16
; WaveLimiterHint : 0
; COMPUTE_PGM_RSRC2:SCRATCH_EN: 0
; COMPUTE_PGM_RSRC2:USER_SGPR: 13
; COMPUTE_PGM_RSRC2:TRAP_HANDLER: 0
; COMPUTE_PGM_RSRC2:TGID_X_EN: 1
; COMPUTE_PGM_RSRC2:TGID_Y_EN: 1
; COMPUTE_PGM_RSRC2:TGID_Z_EN: 1
; COMPUTE_PGM_RSRC2:TIDIG_COMP_CNT: 1
	.section	.text._ZL41rocblas_syrkx_herkx_small_restrict_kernelIi19rocblas_complex_numIdELi16ELb0ELb1ELc78ELc85EKS1_S1_EviT_T0_PT6_S3_lS6_S3_lS4_PT7_S3_li,"axG",@progbits,_ZL41rocblas_syrkx_herkx_small_restrict_kernelIi19rocblas_complex_numIdELi16ELb0ELb1ELc78ELc85EKS1_S1_EviT_T0_PT6_S3_lS6_S3_lS4_PT7_S3_li,comdat
	.globl	_ZL41rocblas_syrkx_herkx_small_restrict_kernelIi19rocblas_complex_numIdELi16ELb0ELb1ELc78ELc85EKS1_S1_EviT_T0_PT6_S3_lS6_S3_lS4_PT7_S3_li ; -- Begin function _ZL41rocblas_syrkx_herkx_small_restrict_kernelIi19rocblas_complex_numIdELi16ELb0ELb1ELc78ELc85EKS1_S1_EviT_T0_PT6_S3_lS6_S3_lS4_PT7_S3_li
	.p2align	8
	.type	_ZL41rocblas_syrkx_herkx_small_restrict_kernelIi19rocblas_complex_numIdELi16ELb0ELb1ELc78ELc85EKS1_S1_EviT_T0_PT6_S3_lS6_S3_lS4_PT7_S3_li,@function
_ZL41rocblas_syrkx_herkx_small_restrict_kernelIi19rocblas_complex_numIdELi16ELb0ELb1ELc78ELc85EKS1_S1_EviT_T0_PT6_S3_lS6_S3_lS4_PT7_S3_li: ; @_ZL41rocblas_syrkx_herkx_small_restrict_kernelIi19rocblas_complex_numIdELi16ELb0ELb1ELc78ELc85EKS1_S1_EviT_T0_PT6_S3_lS6_S3_lS4_PT7_S3_li
; %bb.0:
	s_clause 0x3
	s_load_b32 s12, s[0:1], 0x4
	s_load_b128 s[16:19], s[0:1], 0x8
	s_load_b64 s[2:3], s[0:1], 0x18
	s_load_b256 s[4:11], s[0:1], 0x40
	v_and_b32_e32 v5, 0x3ff, v0
	v_mov_b32_e32 v7, 0
	v_mov_b32_e32 v8, 0
	v_bfe_u32 v4, v0, 10, 10
	s_delay_alu instid0(VALU_DEP_4) | instskip(SKIP_1) | instid1(VALU_DEP_3)
	v_lshl_add_u32 v0, s13, 4, v5
	s_mov_b32 s13, 0
	v_dual_mov_b32 v10, v8 :: v_dual_mov_b32 v9, v7
	s_delay_alu instid0(VALU_DEP_3) | instskip(NEXT) | instid1(VALU_DEP_3)
	v_lshl_add_u32 v2, s14, 4, v4
	v_ashrrev_i32_e32 v1, 31, v0
	s_waitcnt lgkmcnt(0)
	s_cmp_lt_i32 s12, 1
	s_cbranch_scc1 .LBB434_3
; %bb.1:
	s_clause 0x2
	s_load_b32 s24, s[0:1], 0x38
	s_load_b128 s[20:23], s[0:1], 0x28
	s_load_b32 s26, s[0:1], 0x20
	v_ashrrev_i32_e32 v3, 31, v2
	s_mul_i32 s5, s5, s15
	s_mul_hi_u32 s14, s4, s15
	s_mul_i32 s4, s4, s15
	s_add_i32 s5, s14, s5
	v_lshlrev_b64 v[15:16], 4, v[2:3]
	s_lshl_b64 s[4:5], s[4:5], 4
	v_lshlrev_b32_e32 v11, 4, v5
	v_lshlrev_b32_e32 v10, 8, v4
	v_lshlrev_b64 v[6:7], 4, v[0:1]
	s_delay_alu instid0(VALU_DEP_2) | instskip(NEXT) | instid1(VALU_DEP_4)
	v_add_nc_u32_e32 v12, 0x1000, v10
	v_add_nc_u32_e32 v13, v11, v10
	s_waitcnt lgkmcnt(0)
	v_mad_i64_i32 v[8:9], null, s24, v5, 0
	v_mad_i64_i32 v[17:18], null, s26, v4, 0
	s_mul_i32 s14, s21, s15
	s_mul_hi_u32 s21, s20, s15
	s_mul_i32 s20, s20, s15
	s_add_i32 s21, s21, s14
	s_delay_alu instid0(VALU_DEP_2) | instskip(SKIP_1) | instid1(VALU_DEP_2)
	v_lshlrev_b64 v[8:9], 4, v[8:9]
	s_lshl_b64 s[20:21], s[20:21], 4
	v_lshlrev_b64 v[3:4], 4, v[17:18]
	s_ashr_i32 s25, s24, 31
	s_ashr_i32 s27, s26, 31
	s_delay_alu instid0(VALU_DEP_2) | instskip(SKIP_2) | instid1(VALU_DEP_2)
	v_add_co_u32 v5, vcc_lo, s4, v8
	v_add_co_ci_u32_e32 v8, vcc_lo, s5, v9, vcc_lo
	s_lshl_b64 s[4:5], s[26:27], 8
	v_add_co_u32 v5, vcc_lo, v5, v15
	s_delay_alu instid0(VALU_DEP_2) | instskip(SKIP_2) | instid1(VALU_DEP_4)
	v_add_co_ci_u32_e32 v8, vcc_lo, v8, v16, vcc_lo
	v_add_co_u32 v3, vcc_lo, s20, v3
	v_add_co_ci_u32_e32 v4, vcc_lo, s21, v4, vcc_lo
	v_add_co_u32 v5, vcc_lo, v5, s22
	s_delay_alu instid0(VALU_DEP_4) | instskip(NEXT) | instid1(VALU_DEP_4)
	v_add_co_ci_u32_e32 v9, vcc_lo, s23, v8, vcc_lo
	v_add_co_u32 v6, vcc_lo, v3, v6
	s_delay_alu instid0(VALU_DEP_4)
	v_add_co_ci_u32_e32 v10, vcc_lo, v4, v7, vcc_lo
	v_mov_b32_e32 v7, 0
	v_mov_b32_e32 v8, 0
	v_add_co_u32 v3, vcc_lo, v5, 8
	v_add_co_ci_u32_e32 v4, vcc_lo, 0, v9, vcc_lo
	v_add_co_u32 v5, vcc_lo, s2, v6
	v_add_co_ci_u32_e32 v6, vcc_lo, s3, v10, vcc_lo
	v_dual_mov_b32 v10, v8 :: v_dual_mov_b32 v9, v7
	v_add_nc_u32_e32 v14, v12, v11
	s_lshl_b64 s[2:3], s[24:25], 8
.LBB434_2:                              ; =>This Inner Loop Header: Depth=1
	global_load_b128 v[15:18], v[3:4], off offset:-8
	global_load_b128 v[19:22], v[5:6], off
	v_add_co_u32 v3, vcc_lo, v3, s2
	v_add_co_ci_u32_e32 v4, vcc_lo, s3, v4, vcc_lo
	v_add_co_u32 v5, vcc_lo, v5, s4
	v_add_co_ci_u32_e32 v6, vcc_lo, s5, v6, vcc_lo
	s_add_i32 s13, s13, 16
	s_delay_alu instid0(SALU_CYCLE_1)
	s_cmp_lt_i32 s13, s12
	s_waitcnt vmcnt(1)
	v_xor_b32_e32 v18, 0x80000000, v18
	s_waitcnt vmcnt(0)
	ds_store_2addr_b64 v13, v[19:20], v[21:22] offset1:1
	ds_store_b128 v14, v[15:18]
	s_waitcnt lgkmcnt(0)
	s_barrier
	buffer_gl0_inv
	ds_load_b128 v[15:18], v11
	ds_load_b128 v[19:22], v12
	ds_load_b128 v[23:26], v12 offset:16
	ds_load_b128 v[27:30], v11 offset:256
	s_waitcnt lgkmcnt(2)
	v_mul_f64 v[31:32], v[21:22], v[17:18]
	v_mul_f64 v[17:18], v[19:20], v[17:18]
	s_waitcnt lgkmcnt(0)
	v_mul_f64 v[37:38], v[25:26], v[29:30]
	v_mul_f64 v[39:40], v[23:24], v[29:30]
	s_delay_alu instid0(VALU_DEP_4) | instskip(NEXT) | instid1(VALU_DEP_4)
	v_fma_f64 v[41:42], v[19:20], v[15:16], -v[31:32]
	v_fma_f64 v[43:44], v[21:22], v[15:16], v[17:18]
	ds_load_b128 v[15:18], v11 offset:512
	ds_load_b128 v[19:22], v12 offset:32
	;; [unrolled: 1-line block ×4, first 2 shown]
	v_fma_f64 v[23:24], v[23:24], v[27:28], -v[37:38]
	v_fma_f64 v[25:26], v[25:26], v[27:28], v[39:40]
	s_waitcnt lgkmcnt(2)
	v_mul_f64 v[45:46], v[21:22], v[17:18]
	v_mul_f64 v[17:18], v[19:20], v[17:18]
	s_waitcnt lgkmcnt(0)
	v_mul_f64 v[27:28], v[31:32], v[35:36]
	v_mul_f64 v[35:36], v[29:30], v[35:36]
	v_add_f64 v[9:10], v[9:10], v[41:42]
	v_add_f64 v[7:8], v[7:8], v[43:44]
	v_fma_f64 v[37:38], v[19:20], v[15:16], -v[45:46]
	v_fma_f64 v[39:40], v[21:22], v[15:16], v[17:18]
	v_fma_f64 v[27:28], v[29:30], v[33:34], -v[27:28]
	v_fma_f64 v[29:30], v[31:32], v[33:34], v[35:36]
	v_add_f64 v[41:42], v[9:10], v[23:24]
	v_add_f64 v[43:44], v[7:8], v[25:26]
	ds_load_b128 v[7:10], v11 offset:1024
	ds_load_b128 v[15:18], v12 offset:64
	;; [unrolled: 1-line block ×4, first 2 shown]
	s_waitcnt lgkmcnt(2)
	v_mul_f64 v[45:46], v[17:18], v[9:10]
	v_mul_f64 v[9:10], v[15:16], v[9:10]
	s_waitcnt lgkmcnt(0)
	v_mul_f64 v[35:36], v[21:22], v[25:26]
	v_add_f64 v[31:32], v[41:42], v[37:38]
	v_add_f64 v[33:34], v[43:44], v[39:40]
	v_mul_f64 v[37:38], v[19:20], v[25:26]
	v_fma_f64 v[39:40], v[15:16], v[7:8], -v[45:46]
	v_fma_f64 v[41:42], v[17:18], v[7:8], v[9:10]
	v_fma_f64 v[19:20], v[19:20], v[23:24], -v[35:36]
	v_add_f64 v[43:44], v[31:32], v[27:28]
	v_add_f64 v[33:34], v[33:34], v[29:30]
	ds_load_b128 v[7:10], v11 offset:1536
	ds_load_b128 v[15:18], v12 offset:96
	;; [unrolled: 1-line block ×4, first 2 shown]
	v_fma_f64 v[21:22], v[21:22], v[23:24], v[37:38]
	s_waitcnt lgkmcnt(2)
	v_mul_f64 v[45:46], v[17:18], v[9:10]
	v_mul_f64 v[9:10], v[15:16], v[9:10]
	s_waitcnt lgkmcnt(0)
	v_mul_f64 v[35:36], v[27:28], v[31:32]
	v_mul_f64 v[37:38], v[25:26], v[31:32]
	v_add_f64 v[23:24], v[43:44], v[39:40]
	v_add_f64 v[33:34], v[33:34], v[41:42]
	v_fma_f64 v[39:40], v[15:16], v[7:8], -v[45:46]
	v_fma_f64 v[41:42], v[17:18], v[7:8], v[9:10]
	v_fma_f64 v[25:26], v[25:26], v[29:30], -v[35:36]
	v_fma_f64 v[27:28], v[27:28], v[29:30], v[37:38]
	v_add_f64 v[23:24], v[23:24], v[19:20]
	v_add_f64 v[43:44], v[33:34], v[21:22]
	ds_load_b128 v[7:10], v11 offset:2048
	ds_load_b128 v[15:18], v12 offset:128
	;; [unrolled: 1-line block ×4, first 2 shown]
	s_waitcnt lgkmcnt(2)
	v_mul_f64 v[45:46], v[17:18], v[9:10]
	v_mul_f64 v[9:10], v[15:16], v[9:10]
	s_waitcnt lgkmcnt(0)
	v_mul_f64 v[35:36], v[21:22], v[33:34]
	v_mul_f64 v[33:34], v[19:20], v[33:34]
	v_add_f64 v[23:24], v[23:24], v[39:40]
	v_add_f64 v[29:30], v[43:44], v[41:42]
	v_fma_f64 v[37:38], v[15:16], v[7:8], -v[45:46]
	v_fma_f64 v[39:40], v[17:18], v[7:8], v[9:10]
	v_fma_f64 v[19:20], v[19:20], v[31:32], -v[35:36]
	v_fma_f64 v[21:22], v[21:22], v[31:32], v[33:34]
	v_add_f64 v[41:42], v[23:24], v[25:26]
	v_add_f64 v[43:44], v[29:30], v[27:28]
	ds_load_b128 v[7:10], v11 offset:2560
	ds_load_b128 v[15:18], v12 offset:160
	;; [unrolled: 1-line block ×4, first 2 shown]
	s_waitcnt lgkmcnt(2)
	v_mul_f64 v[45:46], v[17:18], v[9:10]
	v_mul_f64 v[9:10], v[15:16], v[9:10]
	s_waitcnt lgkmcnt(0)
	v_mul_f64 v[35:36], v[25:26], v[29:30]
	v_add_f64 v[31:32], v[41:42], v[37:38]
	v_add_f64 v[33:34], v[43:44], v[39:40]
	v_mul_f64 v[37:38], v[23:24], v[29:30]
	v_fma_f64 v[39:40], v[15:16], v[7:8], -v[45:46]
	v_fma_f64 v[41:42], v[17:18], v[7:8], v[9:10]
	v_fma_f64 v[23:24], v[23:24], v[27:28], -v[35:36]
	v_add_f64 v[43:44], v[31:32], v[19:20]
	v_add_f64 v[33:34], v[33:34], v[21:22]
	ds_load_b128 v[7:10], v11 offset:3072
	ds_load_b128 v[15:18], v12 offset:192
	;; [unrolled: 1-line block ×4, first 2 shown]
	v_fma_f64 v[25:26], v[25:26], v[27:28], v[37:38]
	s_waitcnt lgkmcnt(2)
	v_mul_f64 v[45:46], v[17:18], v[9:10]
	v_mul_f64 v[9:10], v[15:16], v[9:10]
	s_waitcnt lgkmcnt(0)
	v_mul_f64 v[35:36], v[21:22], v[31:32]
	v_mul_f64 v[37:38], v[19:20], v[31:32]
	v_add_f64 v[27:28], v[43:44], v[39:40]
	v_add_f64 v[33:34], v[33:34], v[41:42]
	v_fma_f64 v[39:40], v[15:16], v[7:8], -v[45:46]
	v_fma_f64 v[41:42], v[17:18], v[7:8], v[9:10]
	v_fma_f64 v[19:20], v[19:20], v[29:30], -v[35:36]
	v_fma_f64 v[21:22], v[21:22], v[29:30], v[37:38]
	v_add_f64 v[27:28], v[27:28], v[23:24]
	v_add_f64 v[43:44], v[33:34], v[25:26]
	ds_load_b128 v[7:10], v11 offset:3584
	ds_load_b128 v[15:18], v12 offset:224
	;; [unrolled: 1-line block ×4, first 2 shown]
	s_waitcnt lgkmcnt(0)
	s_barrier
	buffer_gl0_inv
	v_mul_f64 v[45:46], v[17:18], v[9:10]
	v_mul_f64 v[9:10], v[15:16], v[9:10]
	;; [unrolled: 1-line block ×4, first 2 shown]
	v_add_f64 v[27:28], v[27:28], v[39:40]
	v_add_f64 v[29:30], v[43:44], v[41:42]
	v_fma_f64 v[15:16], v[15:16], v[7:8], -v[45:46]
	v_fma_f64 v[7:8], v[17:18], v[7:8], v[9:10]
	s_delay_alu instid0(VALU_DEP_4) | instskip(NEXT) | instid1(VALU_DEP_4)
	v_add_f64 v[9:10], v[27:28], v[19:20]
	v_add_f64 v[17:18], v[29:30], v[21:22]
	v_fma_f64 v[19:20], v[23:24], v[31:32], -v[35:36]
	v_fma_f64 v[21:22], v[25:26], v[31:32], v[33:34]
	s_delay_alu instid0(VALU_DEP_4) | instskip(NEXT) | instid1(VALU_DEP_4)
	v_add_f64 v[9:10], v[9:10], v[15:16]
	v_add_f64 v[7:8], v[17:18], v[7:8]
	s_delay_alu instid0(VALU_DEP_2) | instskip(NEXT) | instid1(VALU_DEP_2)
	v_add_f64 v[9:10], v[9:10], v[19:20]
	v_add_f64 v[7:8], v[7:8], v[21:22]
	s_cbranch_scc1 .LBB434_2
.LBB434_3:
	s_mov_b32 s2, exec_lo
	v_cmpx_le_i32_e64 v0, v2
	s_cbranch_execz .LBB434_5
; %bb.4:
	s_clause 0x1
	s_load_b32 s2, s[0:1], 0x60
	s_load_b64 s[0:1], s[0:1], 0x68
	v_lshlrev_b64 v[5:6], 4, v[0:1]
	s_delay_alu instid0(VALU_DEP_3)
	v_mul_f64 v[13:14], s[16:17], v[7:8]
	v_mul_f64 v[7:8], s[18:19], v[7:8]
	s_waitcnt lgkmcnt(0)
	v_mad_i64_i32 v[3:4], null, s2, v2, 0
	s_mul_i32 s1, s15, s1
	s_mul_hi_u32 s2, s15, s0
	s_mul_i32 s0, s15, s0
	s_add_i32 s1, s2, s1
	s_delay_alu instid0(SALU_CYCLE_1) | instskip(NEXT) | instid1(VALU_DEP_1)
	s_lshl_b64 s[0:1], s[0:1], 4
	v_lshlrev_b64 v[3:4], 4, v[3:4]
	s_add_u32 s0, s10, s0
	s_addc_u32 s1, s11, s1
	s_delay_alu instid0(VALU_DEP_1) | instskip(NEXT) | instid1(VALU_DEP_2)
	v_add_co_u32 v1, vcc_lo, s0, v3
	v_add_co_ci_u32_e32 v3, vcc_lo, s1, v4, vcc_lo
	s_delay_alu instid0(VALU_DEP_2) | instskip(NEXT) | instid1(VALU_DEP_2)
	v_add_co_u32 v11, vcc_lo, v1, v5
	v_add_co_ci_u32_e32 v12, vcc_lo, v3, v6, vcc_lo
	v_fma_f64 v[13:14], s[18:19], v[9:10], v[13:14]
	v_fma_f64 v[7:8], s[16:17], v[9:10], -v[7:8]
	v_cmp_ne_u32_e32 vcc_lo, v0, v2
	global_load_b128 v[3:6], v[11:12], off
	s_waitcnt vmcnt(0)
	v_mul_f64 v[15:16], s[6:7], v[5:6]
	v_mul_f64 v[5:6], s[8:9], v[5:6]
	s_delay_alu instid0(VALU_DEP_2) | instskip(NEXT) | instid1(VALU_DEP_2)
	v_fma_f64 v[15:16], s[8:9], v[3:4], v[15:16]
	v_fma_f64 v[3:4], s[6:7], v[3:4], -v[5:6]
	s_delay_alu instid0(VALU_DEP_2) | instskip(NEXT) | instid1(VALU_DEP_2)
	v_add_f64 v[5:6], v[13:14], v[15:16]
	v_add_f64 v[3:4], v[7:8], v[3:4]
	s_delay_alu instid0(VALU_DEP_2)
	v_dual_cndmask_b32 v6, 0, v6 :: v_dual_cndmask_b32 v5, 0, v5
	global_store_b128 v[11:12], v[3:6], off
.LBB434_5:
	s_nop 0
	s_sendmsg sendmsg(MSG_DEALLOC_VGPRS)
	s_endpgm
	.section	.rodata,"a",@progbits
	.p2align	6, 0x0
	.amdhsa_kernel _ZL41rocblas_syrkx_herkx_small_restrict_kernelIi19rocblas_complex_numIdELi16ELb0ELb1ELc78ELc85EKS1_S1_EviT_T0_PT6_S3_lS6_S3_lS4_PT7_S3_li
		.amdhsa_group_segment_fixed_size 8192
		.amdhsa_private_segment_fixed_size 0
		.amdhsa_kernarg_size 116
		.amdhsa_user_sgpr_count 13
		.amdhsa_user_sgpr_dispatch_ptr 0
		.amdhsa_user_sgpr_queue_ptr 0
		.amdhsa_user_sgpr_kernarg_segment_ptr 1
		.amdhsa_user_sgpr_dispatch_id 0
		.amdhsa_user_sgpr_private_segment_size 0
		.amdhsa_wavefront_size32 1
		.amdhsa_uses_dynamic_stack 0
		.amdhsa_enable_private_segment 0
		.amdhsa_system_sgpr_workgroup_id_x 1
		.amdhsa_system_sgpr_workgroup_id_y 1
		.amdhsa_system_sgpr_workgroup_id_z 1
		.amdhsa_system_sgpr_workgroup_info 0
		.amdhsa_system_vgpr_workitem_id 1
		.amdhsa_next_free_vgpr 47
		.amdhsa_next_free_sgpr 28
		.amdhsa_reserve_vcc 1
		.amdhsa_float_round_mode_32 0
		.amdhsa_float_round_mode_16_64 0
		.amdhsa_float_denorm_mode_32 3
		.amdhsa_float_denorm_mode_16_64 3
		.amdhsa_dx10_clamp 1
		.amdhsa_ieee_mode 1
		.amdhsa_fp16_overflow 0
		.amdhsa_workgroup_processor_mode 1
		.amdhsa_memory_ordered 1
		.amdhsa_forward_progress 0
		.amdhsa_shared_vgpr_count 0
		.amdhsa_exception_fp_ieee_invalid_op 0
		.amdhsa_exception_fp_denorm_src 0
		.amdhsa_exception_fp_ieee_div_zero 0
		.amdhsa_exception_fp_ieee_overflow 0
		.amdhsa_exception_fp_ieee_underflow 0
		.amdhsa_exception_fp_ieee_inexact 0
		.amdhsa_exception_int_div_zero 0
	.end_amdhsa_kernel
	.section	.text._ZL41rocblas_syrkx_herkx_small_restrict_kernelIi19rocblas_complex_numIdELi16ELb0ELb1ELc78ELc85EKS1_S1_EviT_T0_PT6_S3_lS6_S3_lS4_PT7_S3_li,"axG",@progbits,_ZL41rocblas_syrkx_herkx_small_restrict_kernelIi19rocblas_complex_numIdELi16ELb0ELb1ELc78ELc85EKS1_S1_EviT_T0_PT6_S3_lS6_S3_lS4_PT7_S3_li,comdat
.Lfunc_end434:
	.size	_ZL41rocblas_syrkx_herkx_small_restrict_kernelIi19rocblas_complex_numIdELi16ELb0ELb1ELc78ELc85EKS1_S1_EviT_T0_PT6_S3_lS6_S3_lS4_PT7_S3_li, .Lfunc_end434-_ZL41rocblas_syrkx_herkx_small_restrict_kernelIi19rocblas_complex_numIdELi16ELb0ELb1ELc78ELc85EKS1_S1_EviT_T0_PT6_S3_lS6_S3_lS4_PT7_S3_li
                                        ; -- End function
	.section	.AMDGPU.csdata,"",@progbits
; Kernel info:
; codeLenInByte = 1884
; NumSgprs: 30
; NumVgprs: 47
; ScratchSize: 0
; MemoryBound: 0
; FloatMode: 240
; IeeeMode: 1
; LDSByteSize: 8192 bytes/workgroup (compile time only)
; SGPRBlocks: 3
; VGPRBlocks: 5
; NumSGPRsForWavesPerEU: 30
; NumVGPRsForWavesPerEU: 47
; Occupancy: 16
; WaveLimiterHint : 0
; COMPUTE_PGM_RSRC2:SCRATCH_EN: 0
; COMPUTE_PGM_RSRC2:USER_SGPR: 13
; COMPUTE_PGM_RSRC2:TRAP_HANDLER: 0
; COMPUTE_PGM_RSRC2:TGID_X_EN: 1
; COMPUTE_PGM_RSRC2:TGID_Y_EN: 1
; COMPUTE_PGM_RSRC2:TGID_Z_EN: 1
; COMPUTE_PGM_RSRC2:TIDIG_COMP_CNT: 1
	.section	.text._ZL32rocblas_syrkx_herkx_small_kernelIi19rocblas_complex_numIdELi16ELb1ELb1ELc84ELc76EKS1_S1_EviT_T0_PT6_S3_lS6_S3_lS4_PT7_S3_li,"axG",@progbits,_ZL32rocblas_syrkx_herkx_small_kernelIi19rocblas_complex_numIdELi16ELb1ELb1ELc84ELc76EKS1_S1_EviT_T0_PT6_S3_lS6_S3_lS4_PT7_S3_li,comdat
	.globl	_ZL32rocblas_syrkx_herkx_small_kernelIi19rocblas_complex_numIdELi16ELb1ELb1ELc84ELc76EKS1_S1_EviT_T0_PT6_S3_lS6_S3_lS4_PT7_S3_li ; -- Begin function _ZL32rocblas_syrkx_herkx_small_kernelIi19rocblas_complex_numIdELi16ELb1ELb1ELc84ELc76EKS1_S1_EviT_T0_PT6_S3_lS6_S3_lS4_PT7_S3_li
	.p2align	8
	.type	_ZL32rocblas_syrkx_herkx_small_kernelIi19rocblas_complex_numIdELi16ELb1ELb1ELc84ELc76EKS1_S1_EviT_T0_PT6_S3_lS6_S3_lS4_PT7_S3_li,@function
_ZL32rocblas_syrkx_herkx_small_kernelIi19rocblas_complex_numIdELi16ELb1ELb1ELc84ELc76EKS1_S1_EviT_T0_PT6_S3_lS6_S3_lS4_PT7_S3_li: ; @_ZL32rocblas_syrkx_herkx_small_kernelIi19rocblas_complex_numIdELi16ELb1ELb1ELc84ELc76EKS1_S1_EviT_T0_PT6_S3_lS6_S3_lS4_PT7_S3_li
; %bb.0:
	s_clause 0x2
	s_load_b64 s[16:17], s[0:1], 0x0
	s_load_b128 s[4:7], s[0:1], 0x8
	s_load_b64 s[18:19], s[0:1], 0x18
	v_dual_mov_b32 v9, 0 :: v_dual_and_b32 v14, 0x3ff, v0
	v_mov_b32_e32 v10, 0
	v_bfe_u32 v15, v0, 10, 10
	s_mov_b32 s12, 0
	s_delay_alu instid0(VALU_DEP_3) | instskip(NEXT) | instid1(VALU_DEP_3)
	v_lshl_add_u32 v4, s13, 4, v14
	v_dual_mov_b32 v12, v10 :: v_dual_mov_b32 v11, v9
	s_delay_alu instid0(VALU_DEP_3) | instskip(SKIP_1) | instid1(VALU_DEP_3)
	v_lshl_add_u32 v13, s14, 4, v15
	s_waitcnt lgkmcnt(0)
	v_cmp_gt_i32_e32 vcc_lo, s16, v4
	s_cmp_lt_i32 s17, 1
	s_cbranch_scc1 .LBB435_11
; %bb.1:
	s_clause 0x3
	s_load_b32 s3, s[0:1], 0x38
	s_load_b64 s[20:21], s[0:1], 0x40
	s_load_b32 s13, s[0:1], 0x20
	s_load_b128 s[8:11], s[0:1], 0x28
	v_dual_mov_b32 v9, 0 :: v_dual_lshlrev_b32 v0, 8, v15
	v_lshlrev_b32_e32 v7, 4, v15
	v_cmp_gt_i32_e64 s2, s16, v13
	s_delay_alu instid0(VALU_DEP_3) | instskip(SKIP_1) | instid1(VALU_DEP_3)
	v_dual_mov_b32 v10, 0 :: v_dual_add_nc_u32 v17, 0x1000, v0
	v_lshlrev_b32_e32 v16, 4, v14
	s_xor_b32 s2, s2, -1
	s_delay_alu instid0(VALU_DEP_2) | instskip(NEXT) | instid1(VALU_DEP_2)
	v_dual_mov_b32 v12, v10 :: v_dual_mov_b32 v11, v9
	v_add_nc_u32_e32 v18, v16, v0
	v_add_nc_u32_e32 v19, v17, v16
	s_waitcnt lgkmcnt(0)
	v_mad_i64_i32 v[0:1], null, s3, v13, 0
	s_mul_i32 s3, s21, s15
	s_mul_hi_u32 s14, s20, s15
	v_mad_i64_i32 v[2:3], null, s13, v4, 0
	s_mul_i32 s20, s20, s15
	s_add_i32 s21, s14, s3
	s_delay_alu instid0(VALU_DEP_2)
	v_lshlrev_b64 v[0:1], 4, v[0:1]
	s_lshl_b64 s[20:21], s[20:21], 4
	s_mul_i32 s9, s9, s15
	s_mul_hi_u32 s13, s8, s15
	s_mul_i32 s8, s8, s15
	s_add_i32 s9, s13, s9
	v_add_co_u32 v5, s3, v0, s20
	s_delay_alu instid0(VALU_DEP_1) | instskip(SKIP_1) | instid1(VALU_DEP_3)
	v_add_co_ci_u32_e64 v6, s3, s21, v1, s3
	v_lshlrev_b64 v[0:1], 4, v[2:3]
	v_add_co_u32 v2, s3, v5, v16
	s_lshl_b64 s[8:9], s[8:9], 4
	s_delay_alu instid0(VALU_DEP_3) | instskip(NEXT) | instid1(VALU_DEP_3)
	v_add_co_ci_u32_e64 v3, s3, 0, v6, s3
	v_add_co_u32 v0, s3, v0, s8
	s_delay_alu instid0(VALU_DEP_1) | instskip(SKIP_1) | instid1(VALU_DEP_1)
	v_add_co_ci_u32_e64 v1, s3, s9, v1, s3
	v_add_co_u32 v5, s3, s10, v2
	v_add_co_ci_u32_e64 v6, s3, s11, v3, s3
	s_delay_alu instid0(VALU_DEP_4) | instskip(NEXT) | instid1(VALU_DEP_1)
	v_add_co_u32 v0, s3, v0, v7
	v_add_co_ci_u32_e64 v1, s3, 0, v1, s3
	s_delay_alu instid0(VALU_DEP_2) | instskip(NEXT) | instid1(VALU_DEP_1)
	v_add_co_u32 v7, s3, s18, v0
	v_add_co_ci_u32_e64 v8, s3, s19, v1, s3
	v_mov_b32_e32 v0, 0
	s_xor_b32 s3, vcc_lo, -1
	s_branch .LBB435_3
.LBB435_2:                              ;   in Loop: Header=BB435_3 Depth=1
	s_or_b32 exec_lo, exec_lo, s8
	s_waitcnt lgkmcnt(0)
	s_barrier
	buffer_gl0_inv
	ds_load_b128 v[20:23], v16
	ds_load_b128 v[24:27], v17
	ds_load_b128 v[28:31], v17 offset:16
	ds_load_b128 v[32:35], v16 offset:256
	v_add_co_u32 v5, vcc_lo, 0x100, v5
	v_add_co_ci_u32_e32 v6, vcc_lo, 0, v6, vcc_lo
	v_add_co_u32 v7, vcc_lo, 0x100, v7
	v_add_co_ci_u32_e32 v8, vcc_lo, 0, v8, vcc_lo
	s_add_i32 s12, s12, 16
	s_delay_alu instid0(SALU_CYCLE_1)
	s_cmp_ge_i32 s12, s17
	s_waitcnt lgkmcnt(2)
	v_mul_f64 v[1:2], v[26:27], v[22:23]
	v_mul_f64 v[22:23], v[24:25], v[22:23]
	s_waitcnt lgkmcnt(0)
	v_mul_f64 v[42:43], v[30:31], v[34:35]
	v_mul_f64 v[44:45], v[28:29], v[34:35]
	s_delay_alu instid0(VALU_DEP_4) | instskip(NEXT) | instid1(VALU_DEP_4)
	v_fma_f64 v[1:2], v[24:25], v[20:21], -v[1:2]
	v_fma_f64 v[46:47], v[26:27], v[20:21], v[22:23]
	ds_load_b128 v[20:23], v16 offset:512
	ds_load_b128 v[24:27], v17 offset:32
	;; [unrolled: 1-line block ×4, first 2 shown]
	v_fma_f64 v[28:29], v[28:29], v[32:33], -v[42:43]
	v_fma_f64 v[30:31], v[30:31], v[32:33], v[44:45]
	s_waitcnt lgkmcnt(2)
	v_mul_f64 v[48:49], v[26:27], v[22:23]
	v_mul_f64 v[22:23], v[24:25], v[22:23]
	s_waitcnt lgkmcnt(0)
	v_mul_f64 v[32:33], v[36:37], v[40:41]
	v_mul_f64 v[40:41], v[34:35], v[40:41]
	v_add_f64 v[1:2], v[11:12], v[1:2]
	v_add_f64 v[9:10], v[9:10], v[46:47]
	v_fma_f64 v[42:43], v[24:25], v[20:21], -v[48:49]
	v_fma_f64 v[44:45], v[26:27], v[20:21], v[22:23]
	v_fma_f64 v[32:33], v[34:35], v[38:39], -v[32:33]
	v_fma_f64 v[34:35], v[36:37], v[38:39], v[40:41]
	v_add_f64 v[1:2], v[1:2], v[28:29]
	v_add_f64 v[46:47], v[9:10], v[30:31]
	ds_load_b128 v[9:12], v16 offset:1024
	ds_load_b128 v[20:23], v17 offset:64
	;; [unrolled: 1-line block ×4, first 2 shown]
	s_waitcnt lgkmcnt(2)
	v_mul_f64 v[48:49], v[22:23], v[11:12]
	v_mul_f64 v[11:12], v[20:21], v[11:12]
	s_waitcnt lgkmcnt(0)
	v_mul_f64 v[38:39], v[26:27], v[30:31]
	v_mul_f64 v[40:41], v[24:25], v[30:31]
	v_add_f64 v[1:2], v[1:2], v[42:43]
	v_add_f64 v[36:37], v[46:47], v[44:45]
	v_fma_f64 v[42:43], v[20:21], v[9:10], -v[48:49]
	v_fma_f64 v[44:45], v[22:23], v[9:10], v[11:12]
	v_fma_f64 v[24:25], v[24:25], v[28:29], -v[38:39]
	v_fma_f64 v[26:27], v[26:27], v[28:29], v[40:41]
	v_add_f64 v[1:2], v[1:2], v[32:33]
	v_add_f64 v[46:47], v[36:37], v[34:35]
	ds_load_b128 v[9:12], v16 offset:1536
	ds_load_b128 v[20:23], v17 offset:96
	;; [unrolled: 1-line block ×4, first 2 shown]
	s_waitcnt lgkmcnt(2)
	v_mul_f64 v[48:49], v[22:23], v[11:12]
	v_mul_f64 v[11:12], v[20:21], v[11:12]
	s_waitcnt lgkmcnt(0)
	v_mul_f64 v[40:41], v[32:33], v[36:37]
	v_add_f64 v[1:2], v[1:2], v[42:43]
	v_add_f64 v[28:29], v[46:47], v[44:45]
	v_mul_f64 v[42:43], v[30:31], v[36:37]
	v_fma_f64 v[44:45], v[20:21], v[9:10], -v[48:49]
	v_fma_f64 v[46:47], v[22:23], v[9:10], v[11:12]
	v_fma_f64 v[30:31], v[30:31], v[34:35], -v[40:41]
	v_add_f64 v[1:2], v[1:2], v[24:25]
	v_add_f64 v[28:29], v[28:29], v[26:27]
	ds_load_b128 v[9:12], v16 offset:2048
	ds_load_b128 v[20:23], v17 offset:128
	;; [unrolled: 1-line block ×4, first 2 shown]
	v_fma_f64 v[32:33], v[32:33], v[34:35], v[42:43]
	s_waitcnt lgkmcnt(2)
	v_mul_f64 v[48:49], v[22:23], v[11:12]
	v_mul_f64 v[11:12], v[20:21], v[11:12]
	s_waitcnt lgkmcnt(0)
	v_mul_f64 v[40:41], v[26:27], v[38:39]
	v_mul_f64 v[38:39], v[24:25], v[38:39]
	v_add_f64 v[1:2], v[1:2], v[44:45]
	v_add_f64 v[28:29], v[28:29], v[46:47]
	v_fma_f64 v[42:43], v[20:21], v[9:10], -v[48:49]
	v_fma_f64 v[44:45], v[22:23], v[9:10], v[11:12]
	v_fma_f64 v[24:25], v[24:25], v[36:37], -v[40:41]
	v_fma_f64 v[26:27], v[26:27], v[36:37], v[38:39]
	v_add_f64 v[1:2], v[1:2], v[30:31]
	v_add_f64 v[46:47], v[28:29], v[32:33]
	ds_load_b128 v[9:12], v16 offset:2560
	ds_load_b128 v[20:23], v17 offset:160
	;; [unrolled: 1-line block ×4, first 2 shown]
	s_waitcnt lgkmcnt(2)
	v_mul_f64 v[48:49], v[22:23], v[11:12]
	v_mul_f64 v[11:12], v[20:21], v[11:12]
	s_waitcnt lgkmcnt(0)
	v_mul_f64 v[38:39], v[30:31], v[34:35]
	v_mul_f64 v[40:41], v[28:29], v[34:35]
	v_add_f64 v[1:2], v[1:2], v[42:43]
	v_add_f64 v[36:37], v[46:47], v[44:45]
	v_fma_f64 v[42:43], v[20:21], v[9:10], -v[48:49]
	v_fma_f64 v[44:45], v[22:23], v[9:10], v[11:12]
	v_fma_f64 v[28:29], v[28:29], v[32:33], -v[38:39]
	v_fma_f64 v[30:31], v[30:31], v[32:33], v[40:41]
	v_add_f64 v[1:2], v[1:2], v[24:25]
	v_add_f64 v[46:47], v[36:37], v[26:27]
	ds_load_b128 v[9:12], v16 offset:3072
	ds_load_b128 v[20:23], v17 offset:192
	;; [unrolled: 1-line block ×4, first 2 shown]
	s_waitcnt lgkmcnt(2)
	v_mul_f64 v[48:49], v[22:23], v[11:12]
	v_mul_f64 v[11:12], v[20:21], v[11:12]
	s_waitcnt lgkmcnt(0)
	v_mul_f64 v[40:41], v[26:27], v[36:37]
	v_add_f64 v[1:2], v[1:2], v[42:43]
	v_add_f64 v[32:33], v[46:47], v[44:45]
	v_mul_f64 v[42:43], v[24:25], v[36:37]
	v_fma_f64 v[44:45], v[20:21], v[9:10], -v[48:49]
	v_fma_f64 v[46:47], v[22:23], v[9:10], v[11:12]
	v_fma_f64 v[24:25], v[24:25], v[34:35], -v[40:41]
	v_add_f64 v[1:2], v[1:2], v[28:29]
	v_add_f64 v[32:33], v[32:33], v[30:31]
	ds_load_b128 v[9:12], v16 offset:3584
	ds_load_b128 v[20:23], v17 offset:224
	;; [unrolled: 1-line block ×4, first 2 shown]
	v_fma_f64 v[26:27], v[26:27], v[34:35], v[42:43]
	s_waitcnt lgkmcnt(0)
	s_barrier
	buffer_gl0_inv
	v_mul_f64 v[48:49], v[22:23], v[11:12]
	v_mul_f64 v[11:12], v[20:21], v[11:12]
	;; [unrolled: 1-line block ×4, first 2 shown]
	v_add_f64 v[1:2], v[1:2], v[44:45]
	v_add_f64 v[32:33], v[32:33], v[46:47]
	v_fma_f64 v[20:21], v[20:21], v[9:10], -v[48:49]
	v_fma_f64 v[9:10], v[22:23], v[9:10], v[11:12]
	v_fma_f64 v[22:23], v[28:29], v[36:37], -v[34:35]
	v_add_f64 v[1:2], v[1:2], v[24:25]
	v_add_f64 v[11:12], v[32:33], v[26:27]
	v_fma_f64 v[24:25], v[30:31], v[36:37], v[38:39]
	s_delay_alu instid0(VALU_DEP_3) | instskip(NEXT) | instid1(VALU_DEP_3)
	v_add_f64 v[1:2], v[1:2], v[20:21]
	v_add_f64 v[9:10], v[11:12], v[9:10]
	s_delay_alu instid0(VALU_DEP_2) | instskip(NEXT) | instid1(VALU_DEP_2)
	v_add_f64 v[11:12], v[1:2], v[22:23]
	v_add_f64 v[9:10], v[9:10], v[24:25]
	s_cbranch_scc1 .LBB435_11
.LBB435_3:                              ; =>This Inner Loop Header: Depth=1
	v_add_nc_u32_e32 v1, s12, v15
	s_delay_alu instid0(VALU_DEP_1) | instskip(SKIP_1) | instid1(SALU_CYCLE_1)
	v_cmp_le_i32_e32 vcc_lo, s17, v1
	s_or_b32 s8, s3, vcc_lo
	s_and_saveexec_b32 s9, s8
	s_delay_alu instid0(SALU_CYCLE_1)
	s_xor_b32 s8, exec_lo, s9
	s_cbranch_execz .LBB435_5
; %bb.4:                                ;   in Loop: Header=BB435_3 Depth=1
	v_mov_b32_e32 v1, v0
	v_mov_b32_e32 v2, v0
	v_mov_b32_e32 v3, v0
	ds_store_b128 v18, v[0:3]
.LBB435_5:                              ;   in Loop: Header=BB435_3 Depth=1
	s_and_not1_saveexec_b32 s8, s8
	s_cbranch_execz .LBB435_7
; %bb.6:                                ;   in Loop: Header=BB435_3 Depth=1
	global_load_b128 v[20:23], v[7:8], off
	s_waitcnt vmcnt(0)
	ds_store_2addr_b64 v18, v[20:21], v[22:23] offset1:1
.LBB435_7:                              ;   in Loop: Header=BB435_3 Depth=1
	s_or_b32 exec_lo, exec_lo, s8
	v_add_nc_u32_e32 v1, s12, v14
	s_delay_alu instid0(VALU_DEP_1) | instskip(SKIP_1) | instid1(SALU_CYCLE_1)
	v_cmp_le_i32_e32 vcc_lo, s17, v1
	s_or_b32 s8, s2, vcc_lo
	s_and_saveexec_b32 s9, s8
	s_delay_alu instid0(SALU_CYCLE_1)
	s_xor_b32 s8, exec_lo, s9
	s_cbranch_execz .LBB435_9
; %bb.8:                                ;   in Loop: Header=BB435_3 Depth=1
	v_mov_b32_e32 v1, v0
	v_mov_b32_e32 v2, v0
	;; [unrolled: 1-line block ×3, first 2 shown]
	ds_store_b128 v19, v[0:3]
.LBB435_9:                              ;   in Loop: Header=BB435_3 Depth=1
	s_and_not1_saveexec_b32 s8, s8
	s_cbranch_execz .LBB435_2
; %bb.10:                               ;   in Loop: Header=BB435_3 Depth=1
	global_load_b128 v[20:23], v[5:6], off
	s_waitcnt vmcnt(0)
	ds_store_2addr_b64 v19, v[20:21], v[22:23] offset1:1
	s_branch .LBB435_2
.LBB435_11:
	v_cmp_le_i32_e32 vcc_lo, v13, v4
	v_cmp_gt_i32_e64 s2, s16, v4
	s_delay_alu instid0(VALU_DEP_1) | instskip(NEXT) | instid1(SALU_CYCLE_1)
	s_and_b32 s2, vcc_lo, s2
	s_and_saveexec_b32 s3, s2
	s_cbranch_execz .LBB435_13
; %bb.12:
	s_delay_alu instid0(VALU_DEP_3)
	v_mul_f64 v[0:1], s[4:5], v[9:10]
	v_mul_f64 v[2:3], s[6:7], v[9:10]
	s_clause 0x2
	s_load_b32 s8, s[0:1], 0x60
	s_load_b64 s[2:3], s[0:1], 0x68
	s_load_b64 s[0:1], s[0:1], 0x58
	v_ashrrev_i32_e32 v5, 31, v4
	s_delay_alu instid0(VALU_DEP_1) | instskip(SKIP_2) | instid1(VALU_DEP_4)
	v_lshlrev_b64 v[8:9], 4, v[4:5]
	s_waitcnt lgkmcnt(0)
	s_mul_i32 s3, s15, s3
	v_fma_f64 v[6:7], s[6:7], v[11:12], v[0:1]
	s_delay_alu instid0(VALU_DEP_4) | instskip(SKIP_4) | instid1(SALU_CYCLE_1)
	v_fma_f64 v[0:1], s[4:5], v[11:12], -v[2:3]
	v_mad_i64_i32 v[2:3], null, s8, v13, 0
	s_mul_hi_u32 s4, s15, s2
	s_mul_i32 s2, s15, s2
	s_add_i32 s3, s4, s3
	s_lshl_b64 s[2:3], s[2:3], 4
	s_delay_alu instid0(VALU_DEP_1) | instskip(SKIP_2) | instid1(VALU_DEP_1)
	v_lshlrev_b64 v[2:3], 4, v[2:3]
	s_add_u32 s0, s0, s2
	s_addc_u32 s1, s1, s3
	v_add_co_u32 v2, vcc_lo, s0, v2
	s_delay_alu instid0(VALU_DEP_2) | instskip(SKIP_1) | instid1(VALU_DEP_3)
	v_add_co_ci_u32_e32 v3, vcc_lo, s1, v3, vcc_lo
	v_cmp_ne_u32_e32 vcc_lo, v4, v13
	v_add_co_u32 v4, s0, v2, v8
	s_delay_alu instid0(VALU_DEP_1)
	v_add_co_ci_u32_e64 v5, s0, v3, v9, s0
	v_dual_cndmask_b32 v3, 0, v7 :: v_dual_cndmask_b32 v2, 0, v6
	global_store_b128 v[4:5], v[0:3], off
.LBB435_13:
	s_nop 0
	s_sendmsg sendmsg(MSG_DEALLOC_VGPRS)
	s_endpgm
	.section	.rodata,"a",@progbits
	.p2align	6, 0x0
	.amdhsa_kernel _ZL32rocblas_syrkx_herkx_small_kernelIi19rocblas_complex_numIdELi16ELb1ELb1ELc84ELc76EKS1_S1_EviT_T0_PT6_S3_lS6_S3_lS4_PT7_S3_li
		.amdhsa_group_segment_fixed_size 8192
		.amdhsa_private_segment_fixed_size 0
		.amdhsa_kernarg_size 116
		.amdhsa_user_sgpr_count 13
		.amdhsa_user_sgpr_dispatch_ptr 0
		.amdhsa_user_sgpr_queue_ptr 0
		.amdhsa_user_sgpr_kernarg_segment_ptr 1
		.amdhsa_user_sgpr_dispatch_id 0
		.amdhsa_user_sgpr_private_segment_size 0
		.amdhsa_wavefront_size32 1
		.amdhsa_uses_dynamic_stack 0
		.amdhsa_enable_private_segment 0
		.amdhsa_system_sgpr_workgroup_id_x 1
		.amdhsa_system_sgpr_workgroup_id_y 1
		.amdhsa_system_sgpr_workgroup_id_z 1
		.amdhsa_system_sgpr_workgroup_info 0
		.amdhsa_system_vgpr_workitem_id 1
		.amdhsa_next_free_vgpr 50
		.amdhsa_next_free_sgpr 22
		.amdhsa_reserve_vcc 1
		.amdhsa_float_round_mode_32 0
		.amdhsa_float_round_mode_16_64 0
		.amdhsa_float_denorm_mode_32 3
		.amdhsa_float_denorm_mode_16_64 3
		.amdhsa_dx10_clamp 1
		.amdhsa_ieee_mode 1
		.amdhsa_fp16_overflow 0
		.amdhsa_workgroup_processor_mode 1
		.amdhsa_memory_ordered 1
		.amdhsa_forward_progress 0
		.amdhsa_shared_vgpr_count 0
		.amdhsa_exception_fp_ieee_invalid_op 0
		.amdhsa_exception_fp_denorm_src 0
		.amdhsa_exception_fp_ieee_div_zero 0
		.amdhsa_exception_fp_ieee_overflow 0
		.amdhsa_exception_fp_ieee_underflow 0
		.amdhsa_exception_fp_ieee_inexact 0
		.amdhsa_exception_int_div_zero 0
	.end_amdhsa_kernel
	.section	.text._ZL32rocblas_syrkx_herkx_small_kernelIi19rocblas_complex_numIdELi16ELb1ELb1ELc84ELc76EKS1_S1_EviT_T0_PT6_S3_lS6_S3_lS4_PT7_S3_li,"axG",@progbits,_ZL32rocblas_syrkx_herkx_small_kernelIi19rocblas_complex_numIdELi16ELb1ELb1ELc84ELc76EKS1_S1_EviT_T0_PT6_S3_lS6_S3_lS4_PT7_S3_li,comdat
.Lfunc_end435:
	.size	_ZL32rocblas_syrkx_herkx_small_kernelIi19rocblas_complex_numIdELi16ELb1ELb1ELc84ELc76EKS1_S1_EviT_T0_PT6_S3_lS6_S3_lS4_PT7_S3_li, .Lfunc_end435-_ZL32rocblas_syrkx_herkx_small_kernelIi19rocblas_complex_numIdELi16ELb1ELb1ELc84ELc76EKS1_S1_EviT_T0_PT6_S3_lS6_S3_lS4_PT7_S3_li
                                        ; -- End function
	.section	.AMDGPU.csdata,"",@progbits
; Kernel info:
; codeLenInByte = 1988
; NumSgprs: 24
; NumVgprs: 50
; ScratchSize: 0
; MemoryBound: 0
; FloatMode: 240
; IeeeMode: 1
; LDSByteSize: 8192 bytes/workgroup (compile time only)
; SGPRBlocks: 2
; VGPRBlocks: 6
; NumSGPRsForWavesPerEU: 24
; NumVGPRsForWavesPerEU: 50
; Occupancy: 16
; WaveLimiterHint : 0
; COMPUTE_PGM_RSRC2:SCRATCH_EN: 0
; COMPUTE_PGM_RSRC2:USER_SGPR: 13
; COMPUTE_PGM_RSRC2:TRAP_HANDLER: 0
; COMPUTE_PGM_RSRC2:TGID_X_EN: 1
; COMPUTE_PGM_RSRC2:TGID_Y_EN: 1
; COMPUTE_PGM_RSRC2:TGID_Z_EN: 1
; COMPUTE_PGM_RSRC2:TIDIG_COMP_CNT: 1
	.section	.text._ZL32rocblas_syrkx_herkx_small_kernelIi19rocblas_complex_numIdELi16ELb1ELb1ELc67ELc76EKS1_S1_EviT_T0_PT6_S3_lS6_S3_lS4_PT7_S3_li,"axG",@progbits,_ZL32rocblas_syrkx_herkx_small_kernelIi19rocblas_complex_numIdELi16ELb1ELb1ELc67ELc76EKS1_S1_EviT_T0_PT6_S3_lS6_S3_lS4_PT7_S3_li,comdat
	.globl	_ZL32rocblas_syrkx_herkx_small_kernelIi19rocblas_complex_numIdELi16ELb1ELb1ELc67ELc76EKS1_S1_EviT_T0_PT6_S3_lS6_S3_lS4_PT7_S3_li ; -- Begin function _ZL32rocblas_syrkx_herkx_small_kernelIi19rocblas_complex_numIdELi16ELb1ELb1ELc67ELc76EKS1_S1_EviT_T0_PT6_S3_lS6_S3_lS4_PT7_S3_li
	.p2align	8
	.type	_ZL32rocblas_syrkx_herkx_small_kernelIi19rocblas_complex_numIdELi16ELb1ELb1ELc67ELc76EKS1_S1_EviT_T0_PT6_S3_lS6_S3_lS4_PT7_S3_li,@function
_ZL32rocblas_syrkx_herkx_small_kernelIi19rocblas_complex_numIdELi16ELb1ELb1ELc67ELc76EKS1_S1_EviT_T0_PT6_S3_lS6_S3_lS4_PT7_S3_li: ; @_ZL32rocblas_syrkx_herkx_small_kernelIi19rocblas_complex_numIdELi16ELb1ELb1ELc67ELc76EKS1_S1_EviT_T0_PT6_S3_lS6_S3_lS4_PT7_S3_li
; %bb.0:
	s_clause 0x2
	s_load_b64 s[16:17], s[0:1], 0x0
	s_load_b128 s[4:7], s[0:1], 0x8
	s_load_b64 s[18:19], s[0:1], 0x18
	v_dual_mov_b32 v12, 0 :: v_dual_and_b32 v17, 0x3ff, v0
	v_mov_b32_e32 v13, 0
	v_bfe_u32 v18, v0, 10, 10
	s_mov_b32 s12, 0
	s_delay_alu instid0(VALU_DEP_3) | instskip(NEXT) | instid1(VALU_DEP_3)
	v_lshl_add_u32 v5, s13, 4, v17
	v_dual_mov_b32 v15, v13 :: v_dual_mov_b32 v14, v12
	s_delay_alu instid0(VALU_DEP_3) | instskip(SKIP_1) | instid1(VALU_DEP_3)
	v_lshl_add_u32 v16, s14, 4, v18
	s_waitcnt lgkmcnt(0)
	v_cmp_gt_i32_e32 vcc_lo, s16, v5
	s_cmp_lt_i32 s17, 1
	s_cbranch_scc1 .LBB436_9
; %bb.1:
	s_clause 0x3
	s_load_b32 s3, s[0:1], 0x38
	s_load_b64 s[20:21], s[0:1], 0x40
	s_load_b32 s13, s[0:1], 0x20
	s_load_b128 s[8:11], s[0:1], 0x28
	v_lshlrev_b32_e32 v0, 8, v18
	v_dual_mov_b32 v8, 0 :: v_dual_lshlrev_b32 v19, 4, v17
	v_dual_mov_b32 v9, 0 :: v_dual_lshlrev_b32 v4, 4, v18
	s_delay_alu instid0(VALU_DEP_3) | instskip(NEXT) | instid1(VALU_DEP_3)
	v_add_nc_u32_e32 v20, 0x1000, v0
	v_add_nc_u32_e32 v21, v19, v0
	v_cmp_gt_i32_e64 s2, s16, v16
	s_delay_alu instid0(VALU_DEP_4) | instskip(NEXT) | instid1(VALU_DEP_4)
	v_mov_b32_e32 v15, v9
	v_dual_mov_b32 v13, v9 :: v_dual_add_nc_u32 v22, v20, v19
	v_mov_b32_e32 v12, v8
	v_mov_b32_e32 v14, v8
	s_waitcnt lgkmcnt(0)
	v_mad_i64_i32 v[0:1], null, s3, v16, 0
	v_mad_i64_i32 v[2:3], null, s13, v5, 0
	s_mul_i32 s3, s21, s15
	s_mul_hi_u32 s14, s20, s15
	s_mul_i32 s20, s20, s15
	s_add_i32 s21, s14, s3
	s_delay_alu instid0(VALU_DEP_2)
	v_lshlrev_b64 v[0:1], 4, v[0:1]
	s_mul_i32 s9, s9, s15
	s_mul_hi_u32 s13, s8, s15
	v_lshlrev_b64 v[2:3], 4, v[2:3]
	s_lshl_b64 s[20:21], s[20:21], 4
	s_mul_i32 s8, s8, s15
	s_add_i32 s9, s13, s9
	v_add_co_u32 v0, s3, v0, s20
	s_lshl_b64 s[8:9], s[8:9], 4
	v_add_co_ci_u32_e64 v1, s3, s21, v1, s3
	v_add_co_u32 v2, s3, v2, s8
	s_delay_alu instid0(VALU_DEP_1) | instskip(SKIP_1) | instid1(VALU_DEP_1)
	v_add_co_ci_u32_e64 v3, s3, s9, v3, s3
	v_add_co_u32 v0, s3, v0, v19
	v_add_co_ci_u32_e64 v1, s3, 0, v1, s3
	s_delay_alu instid0(VALU_DEP_4) | instskip(NEXT) | instid1(VALU_DEP_1)
	v_add_co_u32 v2, s3, v2, v4
	v_add_co_ci_u32_e64 v3, s3, 0, v3, s3
	s_delay_alu instid0(VALU_DEP_4) | instskip(NEXT) | instid1(VALU_DEP_1)
	;; [unrolled: 3-line block ×3, first 2 shown]
	v_add_co_u32 v0, s3, v2, s18
	v_add_co_ci_u32_e64 v1, s3, s19, v3, s3
	s_delay_alu instid0(VALU_DEP_2) | instskip(SKIP_1) | instid1(VALU_DEP_3)
	v_add_co_u32 v10, s3, v0, 8
	v_mov_b32_e32 v0, 0
	v_add_co_ci_u32_e64 v11, s3, 0, v1, s3
	s_xor_b32 s3, s2, -1
	s_branch .LBB436_3
.LBB436_2:                              ;   in Loop: Header=BB436_3 Depth=1
	s_or_b32 exec_lo, exec_lo, s2
	s_waitcnt lgkmcnt(0)
	s_barrier
	buffer_gl0_inv
	ds_load_b128 v[1:4], v19
	ds_load_b128 v[23:26], v20
	ds_load_b128 v[27:30], v20 offset:16
	ds_load_b128 v[31:34], v19 offset:256
	v_add_co_u32 v6, s2, 0x100, v6
	s_delay_alu instid0(VALU_DEP_1) | instskip(SKIP_1) | instid1(VALU_DEP_1)
	v_add_co_ci_u32_e64 v7, s2, 0, v7, s2
	v_add_co_u32 v10, s2, 0x100, v10
	v_add_co_ci_u32_e64 v11, s2, 0, v11, s2
	s_add_i32 s12, s12, 16
	s_delay_alu instid0(SALU_CYCLE_1)
	s_cmp_ge_i32 s12, s17
	s_waitcnt lgkmcnt(2)
	v_mul_f64 v[35:36], v[25:26], v[3:4]
	v_mul_f64 v[3:4], v[23:24], v[3:4]
	s_waitcnt lgkmcnt(0)
	v_mul_f64 v[41:42], v[29:30], v[33:34]
	v_mul_f64 v[43:44], v[27:28], v[33:34]
	s_delay_alu instid0(VALU_DEP_4) | instskip(NEXT) | instid1(VALU_DEP_4)
	v_fma_f64 v[45:46], v[23:24], v[1:2], -v[35:36]
	v_fma_f64 v[47:48], v[25:26], v[1:2], v[3:4]
	ds_load_b128 v[1:4], v19 offset:512
	ds_load_b128 v[23:26], v20 offset:32
	ds_load_b128 v[33:36], v20 offset:48
	ds_load_b128 v[37:40], v19 offset:768
	v_fma_f64 v[27:28], v[27:28], v[31:32], -v[41:42]
	v_fma_f64 v[29:30], v[29:30], v[31:32], v[43:44]
	s_waitcnt lgkmcnt(2)
	v_mul_f64 v[49:50], v[25:26], v[3:4]
	v_mul_f64 v[3:4], v[23:24], v[3:4]
	s_waitcnt lgkmcnt(0)
	v_mul_f64 v[31:32], v[35:36], v[39:40]
	v_mul_f64 v[39:40], v[33:34], v[39:40]
	v_add_f64 v[14:15], v[14:15], v[45:46]
	v_add_f64 v[12:13], v[12:13], v[47:48]
	v_fma_f64 v[41:42], v[23:24], v[1:2], -v[49:50]
	v_fma_f64 v[43:44], v[25:26], v[1:2], v[3:4]
	v_fma_f64 v[31:32], v[33:34], v[37:38], -v[31:32]
	v_fma_f64 v[33:34], v[35:36], v[37:38], v[39:40]
	v_add_f64 v[45:46], v[14:15], v[27:28]
	v_add_f64 v[47:48], v[12:13], v[29:30]
	ds_load_b128 v[1:4], v19 offset:1024
	ds_load_b128 v[12:15], v20 offset:64
	;; [unrolled: 1-line block ×4, first 2 shown]
	s_waitcnt lgkmcnt(2)
	v_mul_f64 v[49:50], v[14:15], v[3:4]
	v_mul_f64 v[3:4], v[12:13], v[3:4]
	s_waitcnt lgkmcnt(0)
	v_mul_f64 v[39:40], v[25:26], v[29:30]
	v_add_f64 v[35:36], v[45:46], v[41:42]
	v_add_f64 v[37:38], v[47:48], v[43:44]
	v_mul_f64 v[41:42], v[23:24], v[29:30]
	v_fma_f64 v[43:44], v[12:13], v[1:2], -v[49:50]
	v_fma_f64 v[45:46], v[14:15], v[1:2], v[3:4]
	v_fma_f64 v[23:24], v[23:24], v[27:28], -v[39:40]
	v_add_f64 v[47:48], v[35:36], v[31:32]
	v_add_f64 v[37:38], v[37:38], v[33:34]
	ds_load_b128 v[1:4], v19 offset:1536
	ds_load_b128 v[12:15], v20 offset:96
	;; [unrolled: 1-line block ×4, first 2 shown]
	v_fma_f64 v[25:26], v[25:26], v[27:28], v[41:42]
	s_waitcnt lgkmcnt(2)
	v_mul_f64 v[49:50], v[14:15], v[3:4]
	v_mul_f64 v[3:4], v[12:13], v[3:4]
	s_waitcnt lgkmcnt(0)
	v_mul_f64 v[39:40], v[31:32], v[35:36]
	v_mul_f64 v[41:42], v[29:30], v[35:36]
	v_add_f64 v[27:28], v[47:48], v[43:44]
	v_add_f64 v[37:38], v[37:38], v[45:46]
	v_fma_f64 v[43:44], v[12:13], v[1:2], -v[49:50]
	v_fma_f64 v[45:46], v[14:15], v[1:2], v[3:4]
	v_fma_f64 v[29:30], v[29:30], v[33:34], -v[39:40]
	v_fma_f64 v[31:32], v[31:32], v[33:34], v[41:42]
	v_add_f64 v[27:28], v[27:28], v[23:24]
	v_add_f64 v[47:48], v[37:38], v[25:26]
	ds_load_b128 v[1:4], v19 offset:2048
	ds_load_b128 v[12:15], v20 offset:128
	;; [unrolled: 1-line block ×4, first 2 shown]
	s_waitcnt lgkmcnt(2)
	v_mul_f64 v[49:50], v[14:15], v[3:4]
	v_mul_f64 v[3:4], v[12:13], v[3:4]
	s_waitcnt lgkmcnt(0)
	v_mul_f64 v[39:40], v[25:26], v[37:38]
	v_mul_f64 v[37:38], v[23:24], v[37:38]
	v_add_f64 v[27:28], v[27:28], v[43:44]
	v_add_f64 v[33:34], v[47:48], v[45:46]
	v_fma_f64 v[41:42], v[12:13], v[1:2], -v[49:50]
	v_fma_f64 v[43:44], v[14:15], v[1:2], v[3:4]
	v_fma_f64 v[23:24], v[23:24], v[35:36], -v[39:40]
	v_fma_f64 v[25:26], v[25:26], v[35:36], v[37:38]
	v_add_f64 v[45:46], v[27:28], v[29:30]
	v_add_f64 v[47:48], v[33:34], v[31:32]
	ds_load_b128 v[1:4], v19 offset:2560
	ds_load_b128 v[12:15], v20 offset:160
	;; [unrolled: 1-line block ×4, first 2 shown]
	s_waitcnt lgkmcnt(2)
	v_mul_f64 v[49:50], v[14:15], v[3:4]
	v_mul_f64 v[3:4], v[12:13], v[3:4]
	s_waitcnt lgkmcnt(0)
	v_mul_f64 v[39:40], v[29:30], v[33:34]
	v_add_f64 v[35:36], v[45:46], v[41:42]
	v_add_f64 v[37:38], v[47:48], v[43:44]
	v_mul_f64 v[41:42], v[27:28], v[33:34]
	v_fma_f64 v[43:44], v[12:13], v[1:2], -v[49:50]
	v_fma_f64 v[45:46], v[14:15], v[1:2], v[3:4]
	v_fma_f64 v[27:28], v[27:28], v[31:32], -v[39:40]
	v_add_f64 v[47:48], v[35:36], v[23:24]
	v_add_f64 v[37:38], v[37:38], v[25:26]
	ds_load_b128 v[1:4], v19 offset:3072
	ds_load_b128 v[12:15], v20 offset:192
	ds_load_b128 v[23:26], v20 offset:208
	ds_load_b128 v[33:36], v19 offset:3328
	v_fma_f64 v[29:30], v[29:30], v[31:32], v[41:42]
	s_waitcnt lgkmcnt(2)
	v_mul_f64 v[49:50], v[14:15], v[3:4]
	v_mul_f64 v[3:4], v[12:13], v[3:4]
	s_waitcnt lgkmcnt(0)
	v_mul_f64 v[39:40], v[25:26], v[35:36]
	v_mul_f64 v[41:42], v[23:24], v[35:36]
	v_add_f64 v[31:32], v[47:48], v[43:44]
	v_add_f64 v[37:38], v[37:38], v[45:46]
	v_fma_f64 v[43:44], v[12:13], v[1:2], -v[49:50]
	v_fma_f64 v[45:46], v[14:15], v[1:2], v[3:4]
	v_fma_f64 v[23:24], v[23:24], v[33:34], -v[39:40]
	v_fma_f64 v[25:26], v[25:26], v[33:34], v[41:42]
	v_add_f64 v[31:32], v[31:32], v[27:28]
	v_add_f64 v[47:48], v[37:38], v[29:30]
	ds_load_b128 v[1:4], v19 offset:3584
	ds_load_b128 v[12:15], v20 offset:224
	;; [unrolled: 1-line block ×4, first 2 shown]
	s_waitcnt lgkmcnt(0)
	s_barrier
	buffer_gl0_inv
	v_mul_f64 v[49:50], v[14:15], v[3:4]
	v_mul_f64 v[3:4], v[12:13], v[3:4]
	;; [unrolled: 1-line block ×4, first 2 shown]
	v_add_f64 v[31:32], v[31:32], v[43:44]
	v_add_f64 v[33:34], v[47:48], v[45:46]
	v_fma_f64 v[12:13], v[12:13], v[1:2], -v[49:50]
	v_fma_f64 v[1:2], v[14:15], v[1:2], v[3:4]
	s_delay_alu instid0(VALU_DEP_4) | instskip(NEXT) | instid1(VALU_DEP_4)
	v_add_f64 v[3:4], v[31:32], v[23:24]
	v_add_f64 v[14:15], v[33:34], v[25:26]
	v_fma_f64 v[23:24], v[27:28], v[35:36], -v[39:40]
	v_fma_f64 v[25:26], v[29:30], v[35:36], v[37:38]
	s_delay_alu instid0(VALU_DEP_4) | instskip(NEXT) | instid1(VALU_DEP_4)
	v_add_f64 v[3:4], v[3:4], v[12:13]
	v_add_f64 v[1:2], v[14:15], v[1:2]
	s_delay_alu instid0(VALU_DEP_2) | instskip(NEXT) | instid1(VALU_DEP_2)
	v_add_f64 v[14:15], v[3:4], v[23:24]
	v_add_f64 v[12:13], v[1:2], v[25:26]
	s_cbranch_scc1 .LBB436_9
.LBB436_3:                              ; =>This Inner Loop Header: Depth=1
	v_add_nc_u32_e32 v1, s12, v18
	v_dual_mov_b32 v3, v8 :: v_dual_mov_b32 v4, v9
	s_delay_alu instid0(VALU_DEP_2) | instskip(SKIP_1) | instid1(VALU_DEP_2)
	v_cmp_gt_i32_e64 s2, s17, v1
	v_dual_mov_b32 v1, v8 :: v_dual_mov_b32 v2, v9
	s_and_b32 s8, vcc_lo, s2
	s_delay_alu instid0(SALU_CYCLE_1)
	s_and_saveexec_b32 s2, s8
	s_cbranch_execz .LBB436_5
; %bb.4:                                ;   in Loop: Header=BB436_3 Depth=1
	global_load_b128 v[1:4], v[10:11], off offset:-8
	s_waitcnt vmcnt(0)
	v_xor_b32_e32 v4, 0x80000000, v4
.LBB436_5:                              ;   in Loop: Header=BB436_3 Depth=1
	s_or_b32 exec_lo, exec_lo, s2
	v_add_nc_u32_e32 v23, s12, v17
	ds_store_b128 v21, v[1:4]
	v_cmp_le_i32_e64 s2, s17, v23
	s_delay_alu instid0(VALU_DEP_1) | instskip(NEXT) | instid1(SALU_CYCLE_1)
	s_or_b32 s2, s3, s2
	s_and_saveexec_b32 s8, s2
	s_delay_alu instid0(SALU_CYCLE_1)
	s_xor_b32 s2, exec_lo, s8
	s_cbranch_execz .LBB436_7
; %bb.6:                                ;   in Loop: Header=BB436_3 Depth=1
	v_mov_b32_e32 v1, v0
	v_mov_b32_e32 v2, v0
	;; [unrolled: 1-line block ×3, first 2 shown]
	ds_store_b128 v22, v[0:3]
.LBB436_7:                              ;   in Loop: Header=BB436_3 Depth=1
	s_and_not1_saveexec_b32 s2, s2
	s_cbranch_execz .LBB436_2
; %bb.8:                                ;   in Loop: Header=BB436_3 Depth=1
	global_load_b128 v[1:4], v[6:7], off
	s_waitcnt vmcnt(0)
	ds_store_2addr_b64 v22, v[1:2], v[3:4] offset1:1
	s_branch .LBB436_2
.LBB436_9:
	v_cmp_le_i32_e32 vcc_lo, v16, v5
	v_cmp_gt_i32_e64 s2, s16, v5
	s_delay_alu instid0(VALU_DEP_1) | instskip(NEXT) | instid1(SALU_CYCLE_1)
	s_and_b32 s2, vcc_lo, s2
	s_and_saveexec_b32 s3, s2
	s_cbranch_execz .LBB436_11
; %bb.10:
	s_delay_alu instid0(VALU_DEP_3)
	v_mul_f64 v[0:1], s[4:5], v[12:13]
	v_mul_f64 v[2:3], s[6:7], v[12:13]
	s_clause 0x2
	s_load_b32 s8, s[0:1], 0x60
	s_load_b64 s[2:3], s[0:1], 0x68
	s_load_b64 s[0:1], s[0:1], 0x58
	v_ashrrev_i32_e32 v6, 31, v5
	s_delay_alu instid0(VALU_DEP_1) | instskip(SKIP_2) | instid1(VALU_DEP_4)
	v_lshlrev_b64 v[9:10], 4, v[5:6]
	s_waitcnt lgkmcnt(0)
	s_mul_i32 s3, s15, s3
	v_fma_f64 v[7:8], s[6:7], v[14:15], v[0:1]
	s_delay_alu instid0(VALU_DEP_4) | instskip(SKIP_4) | instid1(SALU_CYCLE_1)
	v_fma_f64 v[0:1], s[4:5], v[14:15], -v[2:3]
	v_mad_i64_i32 v[2:3], null, s8, v16, 0
	s_mul_hi_u32 s4, s15, s2
	s_mul_i32 s2, s15, s2
	s_add_i32 s3, s4, s3
	s_lshl_b64 s[2:3], s[2:3], 4
	s_delay_alu instid0(VALU_DEP_1) | instskip(SKIP_2) | instid1(VALU_DEP_1)
	v_lshlrev_b64 v[2:3], 4, v[2:3]
	s_add_u32 s0, s0, s2
	s_addc_u32 s1, s1, s3
	v_add_co_u32 v2, vcc_lo, s0, v2
	s_delay_alu instid0(VALU_DEP_2) | instskip(SKIP_1) | instid1(VALU_DEP_3)
	v_add_co_ci_u32_e32 v3, vcc_lo, s1, v3, vcc_lo
	v_cmp_ne_u32_e32 vcc_lo, v5, v16
	v_add_co_u32 v4, s0, v2, v9
	s_delay_alu instid0(VALU_DEP_1)
	v_add_co_ci_u32_e64 v5, s0, v3, v10, s0
	v_dual_cndmask_b32 v3, 0, v8 :: v_dual_cndmask_b32 v2, 0, v7
	global_store_b128 v[4:5], v[0:3], off
.LBB436_11:
	s_nop 0
	s_sendmsg sendmsg(MSG_DEALLOC_VGPRS)
	s_endpgm
	.section	.rodata,"a",@progbits
	.p2align	6, 0x0
	.amdhsa_kernel _ZL32rocblas_syrkx_herkx_small_kernelIi19rocblas_complex_numIdELi16ELb1ELb1ELc67ELc76EKS1_S1_EviT_T0_PT6_S3_lS6_S3_lS4_PT7_S3_li
		.amdhsa_group_segment_fixed_size 8192
		.amdhsa_private_segment_fixed_size 0
		.amdhsa_kernarg_size 116
		.amdhsa_user_sgpr_count 13
		.amdhsa_user_sgpr_dispatch_ptr 0
		.amdhsa_user_sgpr_queue_ptr 0
		.amdhsa_user_sgpr_kernarg_segment_ptr 1
		.amdhsa_user_sgpr_dispatch_id 0
		.amdhsa_user_sgpr_private_segment_size 0
		.amdhsa_wavefront_size32 1
		.amdhsa_uses_dynamic_stack 0
		.amdhsa_enable_private_segment 0
		.amdhsa_system_sgpr_workgroup_id_x 1
		.amdhsa_system_sgpr_workgroup_id_y 1
		.amdhsa_system_sgpr_workgroup_id_z 1
		.amdhsa_system_sgpr_workgroup_info 0
		.amdhsa_system_vgpr_workitem_id 1
		.amdhsa_next_free_vgpr 51
		.amdhsa_next_free_sgpr 22
		.amdhsa_reserve_vcc 1
		.amdhsa_float_round_mode_32 0
		.amdhsa_float_round_mode_16_64 0
		.amdhsa_float_denorm_mode_32 3
		.amdhsa_float_denorm_mode_16_64 3
		.amdhsa_dx10_clamp 1
		.amdhsa_ieee_mode 1
		.amdhsa_fp16_overflow 0
		.amdhsa_workgroup_processor_mode 1
		.amdhsa_memory_ordered 1
		.amdhsa_forward_progress 0
		.amdhsa_shared_vgpr_count 0
		.amdhsa_exception_fp_ieee_invalid_op 0
		.amdhsa_exception_fp_denorm_src 0
		.amdhsa_exception_fp_ieee_div_zero 0
		.amdhsa_exception_fp_ieee_overflow 0
		.amdhsa_exception_fp_ieee_underflow 0
		.amdhsa_exception_fp_ieee_inexact 0
		.amdhsa_exception_int_div_zero 0
	.end_amdhsa_kernel
	.section	.text._ZL32rocblas_syrkx_herkx_small_kernelIi19rocblas_complex_numIdELi16ELb1ELb1ELc67ELc76EKS1_S1_EviT_T0_PT6_S3_lS6_S3_lS4_PT7_S3_li,"axG",@progbits,_ZL32rocblas_syrkx_herkx_small_kernelIi19rocblas_complex_numIdELi16ELb1ELb1ELc67ELc76EKS1_S1_EviT_T0_PT6_S3_lS6_S3_lS4_PT7_S3_li,comdat
.Lfunc_end436:
	.size	_ZL32rocblas_syrkx_herkx_small_kernelIi19rocblas_complex_numIdELi16ELb1ELb1ELc67ELc76EKS1_S1_EviT_T0_PT6_S3_lS6_S3_lS4_PT7_S3_li, .Lfunc_end436-_ZL32rocblas_syrkx_herkx_small_kernelIi19rocblas_complex_numIdELi16ELb1ELb1ELc67ELc76EKS1_S1_EviT_T0_PT6_S3_lS6_S3_lS4_PT7_S3_li
                                        ; -- End function
	.section	.AMDGPU.csdata,"",@progbits
; Kernel info:
; codeLenInByte = 2024
; NumSgprs: 24
; NumVgprs: 51
; ScratchSize: 0
; MemoryBound: 1
; FloatMode: 240
; IeeeMode: 1
; LDSByteSize: 8192 bytes/workgroup (compile time only)
; SGPRBlocks: 2
; VGPRBlocks: 6
; NumSGPRsForWavesPerEU: 24
; NumVGPRsForWavesPerEU: 51
; Occupancy: 16
; WaveLimiterHint : 0
; COMPUTE_PGM_RSRC2:SCRATCH_EN: 0
; COMPUTE_PGM_RSRC2:USER_SGPR: 13
; COMPUTE_PGM_RSRC2:TRAP_HANDLER: 0
; COMPUTE_PGM_RSRC2:TGID_X_EN: 1
; COMPUTE_PGM_RSRC2:TGID_Y_EN: 1
; COMPUTE_PGM_RSRC2:TGID_Z_EN: 1
; COMPUTE_PGM_RSRC2:TIDIG_COMP_CNT: 1
	.section	.text._ZL32rocblas_syrkx_herkx_small_kernelIi19rocblas_complex_numIdELi16ELb1ELb1ELc78ELc76EKS1_S1_EviT_T0_PT6_S3_lS6_S3_lS4_PT7_S3_li,"axG",@progbits,_ZL32rocblas_syrkx_herkx_small_kernelIi19rocblas_complex_numIdELi16ELb1ELb1ELc78ELc76EKS1_S1_EviT_T0_PT6_S3_lS6_S3_lS4_PT7_S3_li,comdat
	.globl	_ZL32rocblas_syrkx_herkx_small_kernelIi19rocblas_complex_numIdELi16ELb1ELb1ELc78ELc76EKS1_S1_EviT_T0_PT6_S3_lS6_S3_lS4_PT7_S3_li ; -- Begin function _ZL32rocblas_syrkx_herkx_small_kernelIi19rocblas_complex_numIdELi16ELb1ELb1ELc78ELc76EKS1_S1_EviT_T0_PT6_S3_lS6_S3_lS4_PT7_S3_li
	.p2align	8
	.type	_ZL32rocblas_syrkx_herkx_small_kernelIi19rocblas_complex_numIdELi16ELb1ELb1ELc78ELc76EKS1_S1_EviT_T0_PT6_S3_lS6_S3_lS4_PT7_S3_li,@function
_ZL32rocblas_syrkx_herkx_small_kernelIi19rocblas_complex_numIdELi16ELb1ELb1ELc78ELc76EKS1_S1_EviT_T0_PT6_S3_lS6_S3_lS4_PT7_S3_li: ; @_ZL32rocblas_syrkx_herkx_small_kernelIi19rocblas_complex_numIdELi16ELb1ELb1ELc78ELc76EKS1_S1_EviT_T0_PT6_S3_lS6_S3_lS4_PT7_S3_li
; %bb.0:
	s_clause 0x2
	s_load_b64 s[16:17], s[0:1], 0x0
	s_load_b128 s[4:7], s[0:1], 0x8
	s_load_b64 s[18:19], s[0:1], 0x18
	v_and_b32_e32 v16, 0x3ff, v0
	v_mov_b32_e32 v12, 0
	v_mov_b32_e32 v13, 0
	v_bfe_u32 v17, v0, 10, 10
	s_delay_alu instid0(VALU_DEP_4) | instskip(NEXT) | instid1(VALU_DEP_3)
	v_lshl_add_u32 v5, s13, 4, v16
	v_dual_mov_b32 v15, v13 :: v_dual_mov_b32 v14, v12
	s_delay_alu instid0(VALU_DEP_3) | instskip(NEXT) | instid1(VALU_DEP_3)
	v_lshl_add_u32 v7, s14, 4, v17
	v_ashrrev_i32_e32 v6, 31, v5
	s_mov_b32 s14, 0
	s_waitcnt lgkmcnt(0)
	v_cmp_gt_i32_e64 s2, s16, v5
	s_cmp_lt_i32 s17, 1
	s_cbranch_scc1 .LBB437_9
; %bb.1:
	s_clause 0x3
	s_load_b32 s12, s[0:1], 0x20
	s_load_b32 s20, s[0:1], 0x38
	s_load_b64 s[22:23], s[0:1], 0x40
	s_load_b128 s[8:11], s[0:1], 0x28
	v_mov_b32_e32 v12, 0
	v_dual_mov_b32 v13, 0 :: v_dual_lshlrev_b32 v2, 8, v17
	v_lshlrev_b32_e32 v18, 4, v16
	v_ashrrev_i32_e32 v8, 31, v7
	v_lshlrev_b64 v[0:1], 4, v[5:6]
	s_delay_alu instid0(VALU_DEP_4) | instskip(NEXT) | instid1(VALU_DEP_4)
	v_add_nc_u32_e32 v19, 0x1000, v2
	v_dual_mov_b32 v15, v13 :: v_dual_add_nc_u32 v20, v18, v2
	s_delay_alu instid0(VALU_DEP_4)
	v_lshlrev_b64 v[2:3], 4, v[7:8]
	v_cmp_gt_i32_e32 vcc_lo, s16, v7
	v_mov_b32_e32 v14, v12
	s_waitcnt lgkmcnt(0)
	v_mad_i64_i32 v[10:11], null, s12, v17, 0
	v_mad_i64_i32 v[8:9], null, s20, v16, 0
	s_mul_i32 s3, s23, s15
	s_mul_hi_u32 s23, s22, s15
	s_mul_i32 s22, s22, s15
	s_add_i32 s23, s23, s3
	s_mul_i32 s9, s9, s15
	s_lshl_b64 s[22:23], s[22:23], 4
	s_delay_alu instid0(VALU_DEP_1)
	v_lshlrev_b64 v[8:9], 4, v[8:9]
	s_mul_hi_u32 s24, s8, s15
	s_mul_i32 s8, s8, s15
	s_add_i32 s9, s24, s9
	s_ashr_i32 s13, s12, 31
	s_lshl_b64 s[8:9], s[8:9], 4
	v_add_co_u32 v4, s3, s22, v8
	s_delay_alu instid0(VALU_DEP_1) | instskip(SKIP_1) | instid1(VALU_DEP_2)
	v_add_co_ci_u32_e64 v8, s3, s23, v9, s3
	s_ashr_i32 s21, s20, 31
	v_add_co_u32 v4, s3, v4, v2
	s_delay_alu instid0(VALU_DEP_1) | instskip(SKIP_1) | instid1(VALU_DEP_3)
	v_add_co_ci_u32_e64 v8, s3, v8, v3, s3
	v_lshlrev_b64 v[2:3], 4, v[10:11]
	v_add_co_u32 v4, s3, v4, s10
	s_delay_alu instid0(VALU_DEP_1) | instskip(SKIP_1) | instid1(VALU_DEP_3)
	v_add_co_ci_u32_e64 v9, s3, s11, v8, s3
	s_lshl_b64 s[10:11], s[12:13], 8
	v_add_co_u32 v2, s3, s8, v2
	s_delay_alu instid0(VALU_DEP_1) | instskip(SKIP_1) | instid1(VALU_DEP_1)
	v_add_co_ci_u32_e64 v3, s3, s9, v3, s3
	v_add_co_u32 v8, s3, v4, 8
	v_add_co_ci_u32_e64 v9, s3, 0, v9, s3
	s_delay_alu instid0(VALU_DEP_4) | instskip(NEXT) | instid1(VALU_DEP_1)
	v_add_co_u32 v0, s3, v2, v0
	v_add_co_ci_u32_e64 v1, s3, v3, v1, s3
	s_lshl_b64 s[8:9], s[20:21], 8
	s_delay_alu instid0(VALU_DEP_2) | instskip(SKIP_1) | instid1(VALU_DEP_3)
	v_add_co_u32 v10, s3, s18, v0
	v_dual_mov_b32 v0, 0 :: v_dual_add_nc_u32 v21, v19, v18
	v_add_co_ci_u32_e64 v11, s3, s19, v1, s3
	s_xor_b32 s3, s2, -1
	s_branch .LBB437_3
.LBB437_2:                              ;   in Loop: Header=BB437_3 Depth=1
	s_or_b32 exec_lo, exec_lo, s2
	ds_store_b128 v21, v[1:4]
	s_waitcnt lgkmcnt(0)
	s_barrier
	buffer_gl0_inv
	ds_load_b128 v[1:4], v18
	ds_load_b128 v[22:25], v19
	ds_load_b128 v[26:29], v19 offset:16
	ds_load_b128 v[30:33], v18 offset:256
	v_add_co_u32 v8, s2, v8, s8
	s_delay_alu instid0(VALU_DEP_1) | instskip(SKIP_1) | instid1(VALU_DEP_1)
	v_add_co_ci_u32_e64 v9, s2, s9, v9, s2
	v_add_co_u32 v10, s2, v10, s10
	v_add_co_ci_u32_e64 v11, s2, s11, v11, s2
	s_add_i32 s14, s14, 16
	s_delay_alu instid0(SALU_CYCLE_1)
	s_cmp_ge_i32 s14, s17
	s_waitcnt lgkmcnt(2)
	v_mul_f64 v[34:35], v[24:25], v[3:4]
	v_mul_f64 v[3:4], v[22:23], v[3:4]
	s_waitcnt lgkmcnt(0)
	v_mul_f64 v[40:41], v[28:29], v[32:33]
	v_mul_f64 v[42:43], v[26:27], v[32:33]
	s_delay_alu instid0(VALU_DEP_4) | instskip(NEXT) | instid1(VALU_DEP_4)
	v_fma_f64 v[44:45], v[22:23], v[1:2], -v[34:35]
	v_fma_f64 v[46:47], v[24:25], v[1:2], v[3:4]
	ds_load_b128 v[1:4], v18 offset:512
	ds_load_b128 v[22:25], v19 offset:32
	;; [unrolled: 1-line block ×4, first 2 shown]
	v_fma_f64 v[26:27], v[26:27], v[30:31], -v[40:41]
	v_fma_f64 v[28:29], v[28:29], v[30:31], v[42:43]
	s_waitcnt lgkmcnt(2)
	v_mul_f64 v[48:49], v[24:25], v[3:4]
	v_mul_f64 v[3:4], v[22:23], v[3:4]
	s_waitcnt lgkmcnt(0)
	v_mul_f64 v[30:31], v[34:35], v[38:39]
	v_mul_f64 v[38:39], v[32:33], v[38:39]
	v_add_f64 v[14:15], v[14:15], v[44:45]
	v_add_f64 v[12:13], v[12:13], v[46:47]
	v_fma_f64 v[40:41], v[22:23], v[1:2], -v[48:49]
	v_fma_f64 v[42:43], v[24:25], v[1:2], v[3:4]
	v_fma_f64 v[30:31], v[32:33], v[36:37], -v[30:31]
	v_fma_f64 v[32:33], v[34:35], v[36:37], v[38:39]
	v_add_f64 v[44:45], v[14:15], v[26:27]
	v_add_f64 v[46:47], v[12:13], v[28:29]
	ds_load_b128 v[1:4], v18 offset:1024
	ds_load_b128 v[12:15], v19 offset:64
	;; [unrolled: 1-line block ×4, first 2 shown]
	s_waitcnt lgkmcnt(2)
	v_mul_f64 v[48:49], v[14:15], v[3:4]
	v_mul_f64 v[3:4], v[12:13], v[3:4]
	s_waitcnt lgkmcnt(0)
	v_mul_f64 v[38:39], v[24:25], v[28:29]
	v_add_f64 v[34:35], v[44:45], v[40:41]
	v_add_f64 v[36:37], v[46:47], v[42:43]
	v_mul_f64 v[40:41], v[22:23], v[28:29]
	v_fma_f64 v[42:43], v[12:13], v[1:2], -v[48:49]
	v_fma_f64 v[44:45], v[14:15], v[1:2], v[3:4]
	v_fma_f64 v[22:23], v[22:23], v[26:27], -v[38:39]
	v_add_f64 v[46:47], v[34:35], v[30:31]
	v_add_f64 v[36:37], v[36:37], v[32:33]
	ds_load_b128 v[1:4], v18 offset:1536
	ds_load_b128 v[12:15], v19 offset:96
	;; [unrolled: 1-line block ×4, first 2 shown]
	v_fma_f64 v[24:25], v[24:25], v[26:27], v[40:41]
	s_waitcnt lgkmcnt(2)
	v_mul_f64 v[48:49], v[14:15], v[3:4]
	v_mul_f64 v[3:4], v[12:13], v[3:4]
	s_waitcnt lgkmcnt(0)
	v_mul_f64 v[38:39], v[30:31], v[34:35]
	v_mul_f64 v[40:41], v[28:29], v[34:35]
	v_add_f64 v[26:27], v[46:47], v[42:43]
	v_add_f64 v[36:37], v[36:37], v[44:45]
	v_fma_f64 v[42:43], v[12:13], v[1:2], -v[48:49]
	v_fma_f64 v[44:45], v[14:15], v[1:2], v[3:4]
	v_fma_f64 v[28:29], v[28:29], v[32:33], -v[38:39]
	v_fma_f64 v[30:31], v[30:31], v[32:33], v[40:41]
	v_add_f64 v[26:27], v[26:27], v[22:23]
	v_add_f64 v[46:47], v[36:37], v[24:25]
	ds_load_b128 v[1:4], v18 offset:2048
	ds_load_b128 v[12:15], v19 offset:128
	;; [unrolled: 1-line block ×4, first 2 shown]
	s_waitcnt lgkmcnt(2)
	v_mul_f64 v[48:49], v[14:15], v[3:4]
	v_mul_f64 v[3:4], v[12:13], v[3:4]
	s_waitcnt lgkmcnt(0)
	v_mul_f64 v[38:39], v[24:25], v[36:37]
	v_mul_f64 v[36:37], v[22:23], v[36:37]
	v_add_f64 v[26:27], v[26:27], v[42:43]
	v_add_f64 v[32:33], v[46:47], v[44:45]
	v_fma_f64 v[40:41], v[12:13], v[1:2], -v[48:49]
	v_fma_f64 v[42:43], v[14:15], v[1:2], v[3:4]
	v_fma_f64 v[22:23], v[22:23], v[34:35], -v[38:39]
	v_fma_f64 v[24:25], v[24:25], v[34:35], v[36:37]
	v_add_f64 v[44:45], v[26:27], v[28:29]
	v_add_f64 v[46:47], v[32:33], v[30:31]
	ds_load_b128 v[1:4], v18 offset:2560
	ds_load_b128 v[12:15], v19 offset:160
	;; [unrolled: 1-line block ×4, first 2 shown]
	s_waitcnt lgkmcnt(2)
	v_mul_f64 v[48:49], v[14:15], v[3:4]
	v_mul_f64 v[3:4], v[12:13], v[3:4]
	s_waitcnt lgkmcnt(0)
	v_mul_f64 v[38:39], v[28:29], v[32:33]
	v_add_f64 v[34:35], v[44:45], v[40:41]
	v_add_f64 v[36:37], v[46:47], v[42:43]
	v_mul_f64 v[40:41], v[26:27], v[32:33]
	v_fma_f64 v[42:43], v[12:13], v[1:2], -v[48:49]
	v_fma_f64 v[44:45], v[14:15], v[1:2], v[3:4]
	v_fma_f64 v[26:27], v[26:27], v[30:31], -v[38:39]
	v_add_f64 v[46:47], v[34:35], v[22:23]
	v_add_f64 v[36:37], v[36:37], v[24:25]
	ds_load_b128 v[1:4], v18 offset:3072
	ds_load_b128 v[12:15], v19 offset:192
	;; [unrolled: 1-line block ×4, first 2 shown]
	v_fma_f64 v[28:29], v[28:29], v[30:31], v[40:41]
	s_waitcnt lgkmcnt(2)
	v_mul_f64 v[48:49], v[14:15], v[3:4]
	v_mul_f64 v[3:4], v[12:13], v[3:4]
	s_waitcnt lgkmcnt(0)
	v_mul_f64 v[38:39], v[24:25], v[34:35]
	v_mul_f64 v[40:41], v[22:23], v[34:35]
	v_add_f64 v[30:31], v[46:47], v[42:43]
	v_add_f64 v[36:37], v[36:37], v[44:45]
	v_fma_f64 v[42:43], v[12:13], v[1:2], -v[48:49]
	v_fma_f64 v[44:45], v[14:15], v[1:2], v[3:4]
	v_fma_f64 v[22:23], v[22:23], v[32:33], -v[38:39]
	v_fma_f64 v[24:25], v[24:25], v[32:33], v[40:41]
	v_add_f64 v[30:31], v[30:31], v[26:27]
	v_add_f64 v[46:47], v[36:37], v[28:29]
	ds_load_b128 v[1:4], v18 offset:3584
	ds_load_b128 v[12:15], v19 offset:224
	;; [unrolled: 1-line block ×4, first 2 shown]
	s_waitcnt lgkmcnt(0)
	s_barrier
	buffer_gl0_inv
	v_mul_f64 v[48:49], v[14:15], v[3:4]
	v_mul_f64 v[3:4], v[12:13], v[3:4]
	;; [unrolled: 1-line block ×4, first 2 shown]
	v_add_f64 v[30:31], v[30:31], v[42:43]
	v_add_f64 v[32:33], v[46:47], v[44:45]
	v_fma_f64 v[12:13], v[12:13], v[1:2], -v[48:49]
	v_fma_f64 v[1:2], v[14:15], v[1:2], v[3:4]
	s_delay_alu instid0(VALU_DEP_4) | instskip(NEXT) | instid1(VALU_DEP_4)
	v_add_f64 v[3:4], v[30:31], v[22:23]
	v_add_f64 v[14:15], v[32:33], v[24:25]
	v_fma_f64 v[22:23], v[26:27], v[34:35], -v[38:39]
	v_fma_f64 v[24:25], v[28:29], v[34:35], v[36:37]
	s_delay_alu instid0(VALU_DEP_4) | instskip(NEXT) | instid1(VALU_DEP_4)
	v_add_f64 v[3:4], v[3:4], v[12:13]
	v_add_f64 v[1:2], v[14:15], v[1:2]
	s_delay_alu instid0(VALU_DEP_2) | instskip(NEXT) | instid1(VALU_DEP_2)
	v_add_f64 v[14:15], v[3:4], v[22:23]
	v_add_f64 v[12:13], v[1:2], v[24:25]
	s_cbranch_scc1 .LBB437_9
.LBB437_3:                              ; =>This Inner Loop Header: Depth=1
	v_add_nc_u32_e32 v1, s14, v17
	s_delay_alu instid0(VALU_DEP_1) | instskip(NEXT) | instid1(VALU_DEP_1)
	v_cmp_le_i32_e64 s2, s17, v1
	s_or_b32 s2, s3, s2
	s_delay_alu instid0(SALU_CYCLE_1) | instskip(NEXT) | instid1(SALU_CYCLE_1)
	s_and_saveexec_b32 s12, s2
	s_xor_b32 s2, exec_lo, s12
	s_cbranch_execz .LBB437_5
; %bb.4:                                ;   in Loop: Header=BB437_3 Depth=1
	v_mov_b32_e32 v1, v0
	v_mov_b32_e32 v2, v0
	v_mov_b32_e32 v3, v0
	ds_store_b128 v20, v[0:3]
.LBB437_5:                              ;   in Loop: Header=BB437_3 Depth=1
	s_and_not1_saveexec_b32 s2, s2
	s_cbranch_execz .LBB437_7
; %bb.6:                                ;   in Loop: Header=BB437_3 Depth=1
	global_load_b128 v[1:4], v[10:11], off
	s_waitcnt vmcnt(0)
	ds_store_2addr_b64 v20, v[1:2], v[3:4] offset1:1
.LBB437_7:                              ;   in Loop: Header=BB437_3 Depth=1
	s_or_b32 exec_lo, exec_lo, s2
	v_add_nc_u32_e32 v3, s14, v16
	v_mov_b32_e32 v1, 0
	v_mov_b32_e32 v2, 0
	s_delay_alu instid0(VALU_DEP_3) | instskip(NEXT) | instid1(VALU_DEP_2)
	v_cmp_gt_i32_e64 s2, s17, v3
	v_dual_mov_b32 v4, v2 :: v_dual_mov_b32 v3, v1
	s_delay_alu instid0(VALU_DEP_2) | instskip(NEXT) | instid1(SALU_CYCLE_1)
	s_and_b32 s12, vcc_lo, s2
	s_and_saveexec_b32 s2, s12
	s_cbranch_execz .LBB437_2
; %bb.8:                                ;   in Loop: Header=BB437_3 Depth=1
	global_load_b128 v[1:4], v[8:9], off offset:-8
	s_waitcnt vmcnt(0)
	v_xor_b32_e32 v4, 0x80000000, v4
	s_branch .LBB437_2
.LBB437_9:
	v_cmp_le_i32_e32 vcc_lo, v7, v5
	v_cmp_gt_i32_e64 s2, s16, v5
	s_delay_alu instid0(VALU_DEP_1) | instskip(NEXT) | instid1(SALU_CYCLE_1)
	s_and_b32 s2, vcc_lo, s2
	s_and_saveexec_b32 s3, s2
	s_cbranch_execz .LBB437_11
; %bb.10:
	s_delay_alu instid0(VALU_DEP_3)
	v_mul_f64 v[0:1], s[4:5], v[12:13]
	v_mul_f64 v[2:3], s[6:7], v[12:13]
	s_clause 0x2
	s_load_b32 s8, s[0:1], 0x60
	s_load_b64 s[2:3], s[0:1], 0x68
	s_load_b64 s[0:1], s[0:1], 0x58
	v_lshlrev_b64 v[10:11], 4, v[5:6]
	s_waitcnt lgkmcnt(0)
	s_mul_i32 s3, s15, s3
	s_delay_alu instid0(VALU_DEP_3) | instskip(NEXT) | instid1(VALU_DEP_3)
	v_fma_f64 v[8:9], s[6:7], v[14:15], v[0:1]
	v_fma_f64 v[0:1], s[4:5], v[14:15], -v[2:3]
	v_mad_i64_i32 v[2:3], null, s8, v7, 0
	s_mul_hi_u32 s4, s15, s2
	s_mul_i32 s2, s15, s2
	s_add_i32 s3, s4, s3
	s_delay_alu instid0(SALU_CYCLE_1) | instskip(NEXT) | instid1(VALU_DEP_1)
	s_lshl_b64 s[2:3], s[2:3], 4
	v_lshlrev_b64 v[2:3], 4, v[2:3]
	s_add_u32 s0, s0, s2
	s_addc_u32 s1, s1, s3
	s_delay_alu instid0(VALU_DEP_1) | instskip(NEXT) | instid1(VALU_DEP_2)
	v_add_co_u32 v2, vcc_lo, s0, v2
	v_add_co_ci_u32_e32 v3, vcc_lo, s1, v3, vcc_lo
	v_cmp_ne_u32_e32 vcc_lo, v5, v7
	s_delay_alu instid0(VALU_DEP_3) | instskip(NEXT) | instid1(VALU_DEP_1)
	v_add_co_u32 v4, s0, v2, v10
	v_add_co_ci_u32_e64 v5, s0, v3, v11, s0
	v_dual_cndmask_b32 v3, 0, v9 :: v_dual_cndmask_b32 v2, 0, v8
	global_store_b128 v[4:5], v[0:3], off
.LBB437_11:
	s_nop 0
	s_sendmsg sendmsg(MSG_DEALLOC_VGPRS)
	s_endpgm
	.section	.rodata,"a",@progbits
	.p2align	6, 0x0
	.amdhsa_kernel _ZL32rocblas_syrkx_herkx_small_kernelIi19rocblas_complex_numIdELi16ELb1ELb1ELc78ELc76EKS1_S1_EviT_T0_PT6_S3_lS6_S3_lS4_PT7_S3_li
		.amdhsa_group_segment_fixed_size 8192
		.amdhsa_private_segment_fixed_size 0
		.amdhsa_kernarg_size 116
		.amdhsa_user_sgpr_count 13
		.amdhsa_user_sgpr_dispatch_ptr 0
		.amdhsa_user_sgpr_queue_ptr 0
		.amdhsa_user_sgpr_kernarg_segment_ptr 1
		.amdhsa_user_sgpr_dispatch_id 0
		.amdhsa_user_sgpr_private_segment_size 0
		.amdhsa_wavefront_size32 1
		.amdhsa_uses_dynamic_stack 0
		.amdhsa_enable_private_segment 0
		.amdhsa_system_sgpr_workgroup_id_x 1
		.amdhsa_system_sgpr_workgroup_id_y 1
		.amdhsa_system_sgpr_workgroup_id_z 1
		.amdhsa_system_sgpr_workgroup_info 0
		.amdhsa_system_vgpr_workitem_id 1
		.amdhsa_next_free_vgpr 50
		.amdhsa_next_free_sgpr 25
		.amdhsa_reserve_vcc 1
		.amdhsa_float_round_mode_32 0
		.amdhsa_float_round_mode_16_64 0
		.amdhsa_float_denorm_mode_32 3
		.amdhsa_float_denorm_mode_16_64 3
		.amdhsa_dx10_clamp 1
		.amdhsa_ieee_mode 1
		.amdhsa_fp16_overflow 0
		.amdhsa_workgroup_processor_mode 1
		.amdhsa_memory_ordered 1
		.amdhsa_forward_progress 0
		.amdhsa_shared_vgpr_count 0
		.amdhsa_exception_fp_ieee_invalid_op 0
		.amdhsa_exception_fp_denorm_src 0
		.amdhsa_exception_fp_ieee_div_zero 0
		.amdhsa_exception_fp_ieee_overflow 0
		.amdhsa_exception_fp_ieee_underflow 0
		.amdhsa_exception_fp_ieee_inexact 0
		.amdhsa_exception_int_div_zero 0
	.end_amdhsa_kernel
	.section	.text._ZL32rocblas_syrkx_herkx_small_kernelIi19rocblas_complex_numIdELi16ELb1ELb1ELc78ELc76EKS1_S1_EviT_T0_PT6_S3_lS6_S3_lS4_PT7_S3_li,"axG",@progbits,_ZL32rocblas_syrkx_herkx_small_kernelIi19rocblas_complex_numIdELi16ELb1ELb1ELc78ELc76EKS1_S1_EviT_T0_PT6_S3_lS6_S3_lS4_PT7_S3_li,comdat
.Lfunc_end437:
	.size	_ZL32rocblas_syrkx_herkx_small_kernelIi19rocblas_complex_numIdELi16ELb1ELb1ELc78ELc76EKS1_S1_EviT_T0_PT6_S3_lS6_S3_lS4_PT7_S3_li, .Lfunc_end437-_ZL32rocblas_syrkx_herkx_small_kernelIi19rocblas_complex_numIdELi16ELb1ELb1ELc78ELc76EKS1_S1_EviT_T0_PT6_S3_lS6_S3_lS4_PT7_S3_li
                                        ; -- End function
	.section	.AMDGPU.csdata,"",@progbits
; Kernel info:
; codeLenInByte = 2040
; NumSgprs: 27
; NumVgprs: 50
; ScratchSize: 0
; MemoryBound: 1
; FloatMode: 240
; IeeeMode: 1
; LDSByteSize: 8192 bytes/workgroup (compile time only)
; SGPRBlocks: 3
; VGPRBlocks: 6
; NumSGPRsForWavesPerEU: 27
; NumVGPRsForWavesPerEU: 50
; Occupancy: 16
; WaveLimiterHint : 0
; COMPUTE_PGM_RSRC2:SCRATCH_EN: 0
; COMPUTE_PGM_RSRC2:USER_SGPR: 13
; COMPUTE_PGM_RSRC2:TRAP_HANDLER: 0
; COMPUTE_PGM_RSRC2:TGID_X_EN: 1
; COMPUTE_PGM_RSRC2:TGID_Y_EN: 1
; COMPUTE_PGM_RSRC2:TGID_Z_EN: 1
; COMPUTE_PGM_RSRC2:TIDIG_COMP_CNT: 1
	.section	.text._ZL32rocblas_syrkx_herkx_small_kernelIi19rocblas_complex_numIdELi16ELb1ELb1ELc84ELc85EKS1_S1_EviT_T0_PT6_S3_lS6_S3_lS4_PT7_S3_li,"axG",@progbits,_ZL32rocblas_syrkx_herkx_small_kernelIi19rocblas_complex_numIdELi16ELb1ELb1ELc84ELc85EKS1_S1_EviT_T0_PT6_S3_lS6_S3_lS4_PT7_S3_li,comdat
	.globl	_ZL32rocblas_syrkx_herkx_small_kernelIi19rocblas_complex_numIdELi16ELb1ELb1ELc84ELc85EKS1_S1_EviT_T0_PT6_S3_lS6_S3_lS4_PT7_S3_li ; -- Begin function _ZL32rocblas_syrkx_herkx_small_kernelIi19rocblas_complex_numIdELi16ELb1ELb1ELc84ELc85EKS1_S1_EviT_T0_PT6_S3_lS6_S3_lS4_PT7_S3_li
	.p2align	8
	.type	_ZL32rocblas_syrkx_herkx_small_kernelIi19rocblas_complex_numIdELi16ELb1ELb1ELc84ELc85EKS1_S1_EviT_T0_PT6_S3_lS6_S3_lS4_PT7_S3_li,@function
_ZL32rocblas_syrkx_herkx_small_kernelIi19rocblas_complex_numIdELi16ELb1ELb1ELc84ELc85EKS1_S1_EviT_T0_PT6_S3_lS6_S3_lS4_PT7_S3_li: ; @_ZL32rocblas_syrkx_herkx_small_kernelIi19rocblas_complex_numIdELi16ELb1ELb1ELc84ELc85EKS1_S1_EviT_T0_PT6_S3_lS6_S3_lS4_PT7_S3_li
; %bb.0:
	s_clause 0x2
	s_load_b64 s[16:17], s[0:1], 0x0
	s_load_b128 s[4:7], s[0:1], 0x8
	s_load_b64 s[18:19], s[0:1], 0x18
	v_bfe_u32 v14, v0, 10, 10
	v_mov_b32_e32 v9, 0
	v_dual_mov_b32 v10, 0 :: v_dual_and_b32 v15, 0x3ff, v0
	s_mov_b32 s12, 0
	s_delay_alu instid0(VALU_DEP_3) | instskip(NEXT) | instid1(VALU_DEP_2)
	v_lshl_add_u32 v13, s14, 4, v14
	v_dual_mov_b32 v12, v10 :: v_dual_mov_b32 v11, v9
	s_delay_alu instid0(VALU_DEP_3) | instskip(SKIP_1) | instid1(VALU_DEP_3)
	v_lshl_add_u32 v4, s13, 4, v15
	s_waitcnt lgkmcnt(0)
	v_cmp_gt_i32_e32 vcc_lo, s16, v13
	s_cmp_lt_i32 s17, 1
	s_cbranch_scc1 .LBB438_11
; %bb.1:
	s_clause 0x3
	s_load_b32 s3, s[0:1], 0x38
	s_load_b64 s[20:21], s[0:1], 0x40
	s_load_b32 s13, s[0:1], 0x20
	s_load_b128 s[8:11], s[0:1], 0x28
	v_dual_mov_b32 v9, 0 :: v_dual_lshlrev_b32 v0, 8, v14
	v_lshlrev_b32_e32 v7, 4, v14
	v_cmp_gt_i32_e64 s2, s16, v4
	s_delay_alu instid0(VALU_DEP_3) | instskip(SKIP_1) | instid1(VALU_DEP_3)
	v_dual_mov_b32 v10, 0 :: v_dual_add_nc_u32 v17, 0x1000, v0
	v_lshlrev_b32_e32 v16, 4, v15
	s_xor_b32 s2, s2, -1
	s_delay_alu instid0(VALU_DEP_2) | instskip(NEXT) | instid1(VALU_DEP_2)
	v_dual_mov_b32 v12, v10 :: v_dual_mov_b32 v11, v9
	v_add_nc_u32_e32 v18, v16, v0
	v_add_nc_u32_e32 v19, v17, v16
	s_waitcnt lgkmcnt(0)
	v_mad_i64_i32 v[0:1], null, s3, v13, 0
	s_mul_i32 s3, s21, s15
	s_mul_hi_u32 s14, s20, s15
	v_mad_i64_i32 v[2:3], null, s13, v4, 0
	s_mul_i32 s20, s20, s15
	s_add_i32 s21, s14, s3
	s_delay_alu instid0(VALU_DEP_2)
	v_lshlrev_b64 v[0:1], 4, v[0:1]
	s_lshl_b64 s[20:21], s[20:21], 4
	s_mul_i32 s9, s9, s15
	s_mul_hi_u32 s13, s8, s15
	s_mul_i32 s8, s8, s15
	s_add_i32 s9, s13, s9
	v_add_co_u32 v5, s3, v0, s20
	s_delay_alu instid0(VALU_DEP_1) | instskip(SKIP_1) | instid1(VALU_DEP_3)
	v_add_co_ci_u32_e64 v6, s3, s21, v1, s3
	v_lshlrev_b64 v[0:1], 4, v[2:3]
	v_add_co_u32 v2, s3, v5, v16
	s_lshl_b64 s[8:9], s[8:9], 4
	s_delay_alu instid0(VALU_DEP_3) | instskip(NEXT) | instid1(VALU_DEP_3)
	v_add_co_ci_u32_e64 v3, s3, 0, v6, s3
	v_add_co_u32 v0, s3, v0, s8
	s_delay_alu instid0(VALU_DEP_1) | instskip(SKIP_1) | instid1(VALU_DEP_1)
	v_add_co_ci_u32_e64 v1, s3, s9, v1, s3
	v_add_co_u32 v5, s3, s10, v2
	v_add_co_ci_u32_e64 v6, s3, s11, v3, s3
	s_delay_alu instid0(VALU_DEP_4) | instskip(NEXT) | instid1(VALU_DEP_1)
	v_add_co_u32 v0, s3, v0, v7
	v_add_co_ci_u32_e64 v1, s3, 0, v1, s3
	s_delay_alu instid0(VALU_DEP_2) | instskip(NEXT) | instid1(VALU_DEP_1)
	v_add_co_u32 v7, s3, s18, v0
	v_add_co_ci_u32_e64 v8, s3, s19, v1, s3
	v_mov_b32_e32 v0, 0
	s_xor_b32 s3, vcc_lo, -1
	s_branch .LBB438_3
.LBB438_2:                              ;   in Loop: Header=BB438_3 Depth=1
	s_or_b32 exec_lo, exec_lo, s8
	s_waitcnt lgkmcnt(0)
	s_barrier
	buffer_gl0_inv
	ds_load_b128 v[20:23], v16
	ds_load_b128 v[24:27], v17
	ds_load_b128 v[28:31], v17 offset:16
	ds_load_b128 v[32:35], v16 offset:256
	v_add_co_u32 v5, vcc_lo, 0x100, v5
	v_add_co_ci_u32_e32 v6, vcc_lo, 0, v6, vcc_lo
	v_add_co_u32 v7, vcc_lo, 0x100, v7
	v_add_co_ci_u32_e32 v8, vcc_lo, 0, v8, vcc_lo
	s_add_i32 s12, s12, 16
	s_delay_alu instid0(SALU_CYCLE_1)
	s_cmp_ge_i32 s12, s17
	s_waitcnt lgkmcnt(2)
	v_mul_f64 v[1:2], v[26:27], v[22:23]
	v_mul_f64 v[22:23], v[24:25], v[22:23]
	s_waitcnt lgkmcnt(0)
	v_mul_f64 v[42:43], v[30:31], v[34:35]
	v_mul_f64 v[44:45], v[28:29], v[34:35]
	s_delay_alu instid0(VALU_DEP_4) | instskip(NEXT) | instid1(VALU_DEP_4)
	v_fma_f64 v[1:2], v[24:25], v[20:21], -v[1:2]
	v_fma_f64 v[46:47], v[26:27], v[20:21], v[22:23]
	ds_load_b128 v[20:23], v16 offset:512
	ds_load_b128 v[24:27], v17 offset:32
	;; [unrolled: 1-line block ×4, first 2 shown]
	v_fma_f64 v[28:29], v[28:29], v[32:33], -v[42:43]
	v_fma_f64 v[30:31], v[30:31], v[32:33], v[44:45]
	s_waitcnt lgkmcnt(2)
	v_mul_f64 v[48:49], v[26:27], v[22:23]
	v_mul_f64 v[22:23], v[24:25], v[22:23]
	s_waitcnt lgkmcnt(0)
	v_mul_f64 v[32:33], v[36:37], v[40:41]
	v_mul_f64 v[40:41], v[34:35], v[40:41]
	v_add_f64 v[1:2], v[11:12], v[1:2]
	v_add_f64 v[9:10], v[9:10], v[46:47]
	v_fma_f64 v[42:43], v[24:25], v[20:21], -v[48:49]
	v_fma_f64 v[44:45], v[26:27], v[20:21], v[22:23]
	v_fma_f64 v[32:33], v[34:35], v[38:39], -v[32:33]
	v_fma_f64 v[34:35], v[36:37], v[38:39], v[40:41]
	v_add_f64 v[1:2], v[1:2], v[28:29]
	v_add_f64 v[46:47], v[9:10], v[30:31]
	ds_load_b128 v[9:12], v16 offset:1024
	ds_load_b128 v[20:23], v17 offset:64
	;; [unrolled: 1-line block ×4, first 2 shown]
	s_waitcnt lgkmcnt(2)
	v_mul_f64 v[48:49], v[22:23], v[11:12]
	v_mul_f64 v[11:12], v[20:21], v[11:12]
	s_waitcnt lgkmcnt(0)
	v_mul_f64 v[38:39], v[26:27], v[30:31]
	v_mul_f64 v[40:41], v[24:25], v[30:31]
	v_add_f64 v[1:2], v[1:2], v[42:43]
	v_add_f64 v[36:37], v[46:47], v[44:45]
	v_fma_f64 v[42:43], v[20:21], v[9:10], -v[48:49]
	v_fma_f64 v[44:45], v[22:23], v[9:10], v[11:12]
	v_fma_f64 v[24:25], v[24:25], v[28:29], -v[38:39]
	v_fma_f64 v[26:27], v[26:27], v[28:29], v[40:41]
	v_add_f64 v[1:2], v[1:2], v[32:33]
	v_add_f64 v[46:47], v[36:37], v[34:35]
	ds_load_b128 v[9:12], v16 offset:1536
	ds_load_b128 v[20:23], v17 offset:96
	ds_load_b128 v[30:33], v17 offset:112
	ds_load_b128 v[34:37], v16 offset:1792
	s_waitcnt lgkmcnt(2)
	v_mul_f64 v[48:49], v[22:23], v[11:12]
	v_mul_f64 v[11:12], v[20:21], v[11:12]
	s_waitcnt lgkmcnt(0)
	v_mul_f64 v[40:41], v[32:33], v[36:37]
	v_add_f64 v[1:2], v[1:2], v[42:43]
	v_add_f64 v[28:29], v[46:47], v[44:45]
	v_mul_f64 v[42:43], v[30:31], v[36:37]
	v_fma_f64 v[44:45], v[20:21], v[9:10], -v[48:49]
	v_fma_f64 v[46:47], v[22:23], v[9:10], v[11:12]
	v_fma_f64 v[30:31], v[30:31], v[34:35], -v[40:41]
	v_add_f64 v[1:2], v[1:2], v[24:25]
	v_add_f64 v[28:29], v[28:29], v[26:27]
	ds_load_b128 v[9:12], v16 offset:2048
	ds_load_b128 v[20:23], v17 offset:128
	;; [unrolled: 1-line block ×4, first 2 shown]
	v_fma_f64 v[32:33], v[32:33], v[34:35], v[42:43]
	s_waitcnt lgkmcnt(2)
	v_mul_f64 v[48:49], v[22:23], v[11:12]
	v_mul_f64 v[11:12], v[20:21], v[11:12]
	s_waitcnt lgkmcnt(0)
	v_mul_f64 v[40:41], v[26:27], v[38:39]
	v_mul_f64 v[38:39], v[24:25], v[38:39]
	v_add_f64 v[1:2], v[1:2], v[44:45]
	v_add_f64 v[28:29], v[28:29], v[46:47]
	v_fma_f64 v[42:43], v[20:21], v[9:10], -v[48:49]
	v_fma_f64 v[44:45], v[22:23], v[9:10], v[11:12]
	v_fma_f64 v[24:25], v[24:25], v[36:37], -v[40:41]
	v_fma_f64 v[26:27], v[26:27], v[36:37], v[38:39]
	v_add_f64 v[1:2], v[1:2], v[30:31]
	v_add_f64 v[46:47], v[28:29], v[32:33]
	ds_load_b128 v[9:12], v16 offset:2560
	ds_load_b128 v[20:23], v17 offset:160
	;; [unrolled: 1-line block ×4, first 2 shown]
	s_waitcnt lgkmcnt(2)
	v_mul_f64 v[48:49], v[22:23], v[11:12]
	v_mul_f64 v[11:12], v[20:21], v[11:12]
	s_waitcnt lgkmcnt(0)
	v_mul_f64 v[38:39], v[30:31], v[34:35]
	v_mul_f64 v[40:41], v[28:29], v[34:35]
	v_add_f64 v[1:2], v[1:2], v[42:43]
	v_add_f64 v[36:37], v[46:47], v[44:45]
	v_fma_f64 v[42:43], v[20:21], v[9:10], -v[48:49]
	v_fma_f64 v[44:45], v[22:23], v[9:10], v[11:12]
	v_fma_f64 v[28:29], v[28:29], v[32:33], -v[38:39]
	v_fma_f64 v[30:31], v[30:31], v[32:33], v[40:41]
	v_add_f64 v[1:2], v[1:2], v[24:25]
	v_add_f64 v[46:47], v[36:37], v[26:27]
	ds_load_b128 v[9:12], v16 offset:3072
	ds_load_b128 v[20:23], v17 offset:192
	;; [unrolled: 1-line block ×4, first 2 shown]
	s_waitcnt lgkmcnt(2)
	v_mul_f64 v[48:49], v[22:23], v[11:12]
	v_mul_f64 v[11:12], v[20:21], v[11:12]
	s_waitcnt lgkmcnt(0)
	v_mul_f64 v[40:41], v[26:27], v[36:37]
	v_add_f64 v[1:2], v[1:2], v[42:43]
	v_add_f64 v[32:33], v[46:47], v[44:45]
	v_mul_f64 v[42:43], v[24:25], v[36:37]
	v_fma_f64 v[44:45], v[20:21], v[9:10], -v[48:49]
	v_fma_f64 v[46:47], v[22:23], v[9:10], v[11:12]
	v_fma_f64 v[24:25], v[24:25], v[34:35], -v[40:41]
	v_add_f64 v[1:2], v[1:2], v[28:29]
	v_add_f64 v[32:33], v[32:33], v[30:31]
	ds_load_b128 v[9:12], v16 offset:3584
	ds_load_b128 v[20:23], v17 offset:224
	;; [unrolled: 1-line block ×4, first 2 shown]
	v_fma_f64 v[26:27], v[26:27], v[34:35], v[42:43]
	s_waitcnt lgkmcnt(0)
	s_barrier
	buffer_gl0_inv
	v_mul_f64 v[48:49], v[22:23], v[11:12]
	v_mul_f64 v[11:12], v[20:21], v[11:12]
	v_mul_f64 v[34:35], v[30:31], v[38:39]
	v_mul_f64 v[38:39], v[28:29], v[38:39]
	v_add_f64 v[1:2], v[1:2], v[44:45]
	v_add_f64 v[32:33], v[32:33], v[46:47]
	v_fma_f64 v[20:21], v[20:21], v[9:10], -v[48:49]
	v_fma_f64 v[9:10], v[22:23], v[9:10], v[11:12]
	v_fma_f64 v[22:23], v[28:29], v[36:37], -v[34:35]
	v_add_f64 v[1:2], v[1:2], v[24:25]
	v_add_f64 v[11:12], v[32:33], v[26:27]
	v_fma_f64 v[24:25], v[30:31], v[36:37], v[38:39]
	s_delay_alu instid0(VALU_DEP_3) | instskip(NEXT) | instid1(VALU_DEP_3)
	v_add_f64 v[1:2], v[1:2], v[20:21]
	v_add_f64 v[9:10], v[11:12], v[9:10]
	s_delay_alu instid0(VALU_DEP_2) | instskip(NEXT) | instid1(VALU_DEP_2)
	v_add_f64 v[11:12], v[1:2], v[22:23]
	v_add_f64 v[9:10], v[9:10], v[24:25]
	s_cbranch_scc1 .LBB438_11
.LBB438_3:                              ; =>This Inner Loop Header: Depth=1
	v_add_nc_u32_e32 v1, s12, v14
	s_delay_alu instid0(VALU_DEP_1) | instskip(SKIP_1) | instid1(SALU_CYCLE_1)
	v_cmp_le_i32_e32 vcc_lo, s17, v1
	s_or_b32 s8, s2, vcc_lo
	s_and_saveexec_b32 s9, s8
	s_delay_alu instid0(SALU_CYCLE_1)
	s_xor_b32 s8, exec_lo, s9
	s_cbranch_execz .LBB438_5
; %bb.4:                                ;   in Loop: Header=BB438_3 Depth=1
	v_mov_b32_e32 v1, v0
	v_mov_b32_e32 v2, v0
	;; [unrolled: 1-line block ×3, first 2 shown]
	ds_store_b128 v18, v[0:3]
.LBB438_5:                              ;   in Loop: Header=BB438_3 Depth=1
	s_and_not1_saveexec_b32 s8, s8
	s_cbranch_execz .LBB438_7
; %bb.6:                                ;   in Loop: Header=BB438_3 Depth=1
	global_load_b128 v[20:23], v[7:8], off
	s_waitcnt vmcnt(0)
	ds_store_2addr_b64 v18, v[20:21], v[22:23] offset1:1
.LBB438_7:                              ;   in Loop: Header=BB438_3 Depth=1
	s_or_b32 exec_lo, exec_lo, s8
	v_add_nc_u32_e32 v1, s12, v15
	s_delay_alu instid0(VALU_DEP_1) | instskip(SKIP_1) | instid1(SALU_CYCLE_1)
	v_cmp_le_i32_e32 vcc_lo, s17, v1
	s_or_b32 s8, s3, vcc_lo
	s_and_saveexec_b32 s9, s8
	s_delay_alu instid0(SALU_CYCLE_1)
	s_xor_b32 s8, exec_lo, s9
	s_cbranch_execz .LBB438_9
; %bb.8:                                ;   in Loop: Header=BB438_3 Depth=1
	v_mov_b32_e32 v1, v0
	v_mov_b32_e32 v2, v0
	;; [unrolled: 1-line block ×3, first 2 shown]
	ds_store_b128 v19, v[0:3]
.LBB438_9:                              ;   in Loop: Header=BB438_3 Depth=1
	s_and_not1_saveexec_b32 s8, s8
	s_cbranch_execz .LBB438_2
; %bb.10:                               ;   in Loop: Header=BB438_3 Depth=1
	global_load_b128 v[20:23], v[5:6], off
	s_waitcnt vmcnt(0)
	ds_store_2addr_b64 v19, v[20:21], v[22:23] offset1:1
	s_branch .LBB438_2
.LBB438_11:
	v_cmp_le_i32_e32 vcc_lo, v4, v13
	v_cmp_gt_i32_e64 s2, s16, v13
	s_delay_alu instid0(VALU_DEP_1) | instskip(NEXT) | instid1(SALU_CYCLE_1)
	s_and_b32 s2, vcc_lo, s2
	s_and_saveexec_b32 s3, s2
	s_cbranch_execz .LBB438_13
; %bb.12:
	s_delay_alu instid0(VALU_DEP_3)
	v_mul_f64 v[0:1], s[4:5], v[9:10]
	v_mul_f64 v[2:3], s[6:7], v[9:10]
	s_clause 0x2
	s_load_b32 s8, s[0:1], 0x60
	s_load_b64 s[2:3], s[0:1], 0x68
	s_load_b64 s[0:1], s[0:1], 0x58
	v_ashrrev_i32_e32 v5, 31, v4
	s_delay_alu instid0(VALU_DEP_1) | instskip(SKIP_2) | instid1(VALU_DEP_4)
	v_lshlrev_b64 v[8:9], 4, v[4:5]
	s_waitcnt lgkmcnt(0)
	s_mul_i32 s3, s15, s3
	v_fma_f64 v[6:7], s[6:7], v[11:12], v[0:1]
	s_delay_alu instid0(VALU_DEP_4) | instskip(SKIP_4) | instid1(SALU_CYCLE_1)
	v_fma_f64 v[0:1], s[4:5], v[11:12], -v[2:3]
	v_mad_i64_i32 v[2:3], null, s8, v13, 0
	s_mul_hi_u32 s4, s15, s2
	s_mul_i32 s2, s15, s2
	s_add_i32 s3, s4, s3
	s_lshl_b64 s[2:3], s[2:3], 4
	s_delay_alu instid0(VALU_DEP_1) | instskip(SKIP_2) | instid1(VALU_DEP_1)
	v_lshlrev_b64 v[2:3], 4, v[2:3]
	s_add_u32 s0, s0, s2
	s_addc_u32 s1, s1, s3
	v_add_co_u32 v2, vcc_lo, s0, v2
	s_delay_alu instid0(VALU_DEP_2) | instskip(SKIP_1) | instid1(VALU_DEP_3)
	v_add_co_ci_u32_e32 v3, vcc_lo, s1, v3, vcc_lo
	v_cmp_ne_u32_e32 vcc_lo, v4, v13
	v_add_co_u32 v4, s0, v2, v8
	s_delay_alu instid0(VALU_DEP_1)
	v_add_co_ci_u32_e64 v5, s0, v3, v9, s0
	v_dual_cndmask_b32 v3, 0, v7 :: v_dual_cndmask_b32 v2, 0, v6
	global_store_b128 v[4:5], v[0:3], off
.LBB438_13:
	s_nop 0
	s_sendmsg sendmsg(MSG_DEALLOC_VGPRS)
	s_endpgm
	.section	.rodata,"a",@progbits
	.p2align	6, 0x0
	.amdhsa_kernel _ZL32rocblas_syrkx_herkx_small_kernelIi19rocblas_complex_numIdELi16ELb1ELb1ELc84ELc85EKS1_S1_EviT_T0_PT6_S3_lS6_S3_lS4_PT7_S3_li
		.amdhsa_group_segment_fixed_size 8192
		.amdhsa_private_segment_fixed_size 0
		.amdhsa_kernarg_size 116
		.amdhsa_user_sgpr_count 13
		.amdhsa_user_sgpr_dispatch_ptr 0
		.amdhsa_user_sgpr_queue_ptr 0
		.amdhsa_user_sgpr_kernarg_segment_ptr 1
		.amdhsa_user_sgpr_dispatch_id 0
		.amdhsa_user_sgpr_private_segment_size 0
		.amdhsa_wavefront_size32 1
		.amdhsa_uses_dynamic_stack 0
		.amdhsa_enable_private_segment 0
		.amdhsa_system_sgpr_workgroup_id_x 1
		.amdhsa_system_sgpr_workgroup_id_y 1
		.amdhsa_system_sgpr_workgroup_id_z 1
		.amdhsa_system_sgpr_workgroup_info 0
		.amdhsa_system_vgpr_workitem_id 1
		.amdhsa_next_free_vgpr 50
		.amdhsa_next_free_sgpr 22
		.amdhsa_reserve_vcc 1
		.amdhsa_float_round_mode_32 0
		.amdhsa_float_round_mode_16_64 0
		.amdhsa_float_denorm_mode_32 3
		.amdhsa_float_denorm_mode_16_64 3
		.amdhsa_dx10_clamp 1
		.amdhsa_ieee_mode 1
		.amdhsa_fp16_overflow 0
		.amdhsa_workgroup_processor_mode 1
		.amdhsa_memory_ordered 1
		.amdhsa_forward_progress 0
		.amdhsa_shared_vgpr_count 0
		.amdhsa_exception_fp_ieee_invalid_op 0
		.amdhsa_exception_fp_denorm_src 0
		.amdhsa_exception_fp_ieee_div_zero 0
		.amdhsa_exception_fp_ieee_overflow 0
		.amdhsa_exception_fp_ieee_underflow 0
		.amdhsa_exception_fp_ieee_inexact 0
		.amdhsa_exception_int_div_zero 0
	.end_amdhsa_kernel
	.section	.text._ZL32rocblas_syrkx_herkx_small_kernelIi19rocblas_complex_numIdELi16ELb1ELb1ELc84ELc85EKS1_S1_EviT_T0_PT6_S3_lS6_S3_lS4_PT7_S3_li,"axG",@progbits,_ZL32rocblas_syrkx_herkx_small_kernelIi19rocblas_complex_numIdELi16ELb1ELb1ELc84ELc85EKS1_S1_EviT_T0_PT6_S3_lS6_S3_lS4_PT7_S3_li,comdat
.Lfunc_end438:
	.size	_ZL32rocblas_syrkx_herkx_small_kernelIi19rocblas_complex_numIdELi16ELb1ELb1ELc84ELc85EKS1_S1_EviT_T0_PT6_S3_lS6_S3_lS4_PT7_S3_li, .Lfunc_end438-_ZL32rocblas_syrkx_herkx_small_kernelIi19rocblas_complex_numIdELi16ELb1ELb1ELc84ELc85EKS1_S1_EviT_T0_PT6_S3_lS6_S3_lS4_PT7_S3_li
                                        ; -- End function
	.section	.AMDGPU.csdata,"",@progbits
; Kernel info:
; codeLenInByte = 1988
; NumSgprs: 24
; NumVgprs: 50
; ScratchSize: 0
; MemoryBound: 0
; FloatMode: 240
; IeeeMode: 1
; LDSByteSize: 8192 bytes/workgroup (compile time only)
; SGPRBlocks: 2
; VGPRBlocks: 6
; NumSGPRsForWavesPerEU: 24
; NumVGPRsForWavesPerEU: 50
; Occupancy: 16
; WaveLimiterHint : 0
; COMPUTE_PGM_RSRC2:SCRATCH_EN: 0
; COMPUTE_PGM_RSRC2:USER_SGPR: 13
; COMPUTE_PGM_RSRC2:TRAP_HANDLER: 0
; COMPUTE_PGM_RSRC2:TGID_X_EN: 1
; COMPUTE_PGM_RSRC2:TGID_Y_EN: 1
; COMPUTE_PGM_RSRC2:TGID_Z_EN: 1
; COMPUTE_PGM_RSRC2:TIDIG_COMP_CNT: 1
	.section	.text._ZL32rocblas_syrkx_herkx_small_kernelIi19rocblas_complex_numIdELi16ELb1ELb1ELc67ELc85EKS1_S1_EviT_T0_PT6_S3_lS6_S3_lS4_PT7_S3_li,"axG",@progbits,_ZL32rocblas_syrkx_herkx_small_kernelIi19rocblas_complex_numIdELi16ELb1ELb1ELc67ELc85EKS1_S1_EviT_T0_PT6_S3_lS6_S3_lS4_PT7_S3_li,comdat
	.globl	_ZL32rocblas_syrkx_herkx_small_kernelIi19rocblas_complex_numIdELi16ELb1ELb1ELc67ELc85EKS1_S1_EviT_T0_PT6_S3_lS6_S3_lS4_PT7_S3_li ; -- Begin function _ZL32rocblas_syrkx_herkx_small_kernelIi19rocblas_complex_numIdELi16ELb1ELb1ELc67ELc85EKS1_S1_EviT_T0_PT6_S3_lS6_S3_lS4_PT7_S3_li
	.p2align	8
	.type	_ZL32rocblas_syrkx_herkx_small_kernelIi19rocblas_complex_numIdELi16ELb1ELb1ELc67ELc85EKS1_S1_EviT_T0_PT6_S3_lS6_S3_lS4_PT7_S3_li,@function
_ZL32rocblas_syrkx_herkx_small_kernelIi19rocblas_complex_numIdELi16ELb1ELb1ELc67ELc85EKS1_S1_EviT_T0_PT6_S3_lS6_S3_lS4_PT7_S3_li: ; @_ZL32rocblas_syrkx_herkx_small_kernelIi19rocblas_complex_numIdELi16ELb1ELb1ELc67ELc85EKS1_S1_EviT_T0_PT6_S3_lS6_S3_lS4_PT7_S3_li
; %bb.0:
	s_clause 0x2
	s_load_b64 s[16:17], s[0:1], 0x0
	s_load_b128 s[4:7], s[0:1], 0x8
	s_load_b64 s[18:19], s[0:1], 0x18
	v_bfe_u32 v17, v0, 10, 10
	v_mov_b32_e32 v12, 0
	v_dual_mov_b32 v13, 0 :: v_dual_and_b32 v18, 0x3ff, v0
	s_mov_b32 s12, 0
	s_delay_alu instid0(VALU_DEP_3) | instskip(NEXT) | instid1(VALU_DEP_2)
	v_lshl_add_u32 v16, s14, 4, v17
	v_dual_mov_b32 v15, v13 :: v_dual_mov_b32 v14, v12
	s_delay_alu instid0(VALU_DEP_3) | instskip(SKIP_1) | instid1(VALU_DEP_3)
	v_lshl_add_u32 v5, s13, 4, v18
	s_waitcnt lgkmcnt(0)
	v_cmp_gt_i32_e64 s2, s16, v16
	s_cmp_lt_i32 s17, 1
	s_cbranch_scc1 .LBB439_9
; %bb.1:
	s_clause 0x3
	s_load_b32 s3, s[0:1], 0x38
	s_load_b64 s[20:21], s[0:1], 0x40
	s_load_b32 s13, s[0:1], 0x20
	s_load_b128 s[8:11], s[0:1], 0x28
	v_lshlrev_b32_e32 v0, 8, v17
	v_dual_mov_b32 v8, 0 :: v_dual_lshlrev_b32 v19, 4, v18
	v_dual_mov_b32 v9, 0 :: v_dual_lshlrev_b32 v4, 4, v17
	s_delay_alu instid0(VALU_DEP_3) | instskip(NEXT) | instid1(VALU_DEP_3)
	v_add_nc_u32_e32 v20, 0x1000, v0
	v_add_nc_u32_e32 v21, v19, v0
	v_cmp_gt_i32_e32 vcc_lo, s16, v5
	s_delay_alu instid0(VALU_DEP_4) | instskip(NEXT) | instid1(VALU_DEP_4)
	v_mov_b32_e32 v15, v9
	v_dual_mov_b32 v13, v9 :: v_dual_add_nc_u32 v22, v20, v19
	v_mov_b32_e32 v12, v8
	v_mov_b32_e32 v14, v8
	s_waitcnt lgkmcnt(0)
	v_mad_i64_i32 v[0:1], null, s3, v16, 0
	v_mad_i64_i32 v[2:3], null, s13, v5, 0
	s_mul_i32 s3, s21, s15
	s_mul_hi_u32 s14, s20, s15
	s_mul_i32 s20, s20, s15
	s_add_i32 s21, s14, s3
	s_delay_alu instid0(VALU_DEP_2)
	v_lshlrev_b64 v[0:1], 4, v[0:1]
	s_mul_i32 s9, s9, s15
	s_mul_hi_u32 s13, s8, s15
	v_lshlrev_b64 v[2:3], 4, v[2:3]
	s_lshl_b64 s[20:21], s[20:21], 4
	s_mul_i32 s8, s8, s15
	s_add_i32 s9, s13, s9
	v_add_co_u32 v0, s3, v0, s20
	s_lshl_b64 s[8:9], s[8:9], 4
	v_add_co_ci_u32_e64 v1, s3, s21, v1, s3
	v_add_co_u32 v2, s3, v2, s8
	s_delay_alu instid0(VALU_DEP_1) | instskip(SKIP_1) | instid1(VALU_DEP_1)
	v_add_co_ci_u32_e64 v3, s3, s9, v3, s3
	v_add_co_u32 v0, s3, v0, v19
	v_add_co_ci_u32_e64 v1, s3, 0, v1, s3
	s_delay_alu instid0(VALU_DEP_4) | instskip(NEXT) | instid1(VALU_DEP_1)
	v_add_co_u32 v2, s3, v2, v4
	v_add_co_ci_u32_e64 v3, s3, 0, v3, s3
	s_delay_alu instid0(VALU_DEP_4) | instskip(NEXT) | instid1(VALU_DEP_1)
	;; [unrolled: 3-line block ×3, first 2 shown]
	v_add_co_u32 v0, s3, v2, s18
	v_add_co_ci_u32_e64 v1, s3, s19, v3, s3
	s_delay_alu instid0(VALU_DEP_2) | instskip(SKIP_1) | instid1(VALU_DEP_3)
	v_add_co_u32 v10, s3, v0, 8
	v_mov_b32_e32 v0, 0
	v_add_co_ci_u32_e64 v11, s3, 0, v1, s3
	s_xor_b32 s3, s2, -1
	s_branch .LBB439_3
.LBB439_2:                              ;   in Loop: Header=BB439_3 Depth=1
	s_or_b32 exec_lo, exec_lo, s2
	s_waitcnt lgkmcnt(0)
	s_barrier
	buffer_gl0_inv
	ds_load_b128 v[1:4], v19
	ds_load_b128 v[23:26], v20
	ds_load_b128 v[27:30], v20 offset:16
	ds_load_b128 v[31:34], v19 offset:256
	v_add_co_u32 v6, s2, 0x100, v6
	s_delay_alu instid0(VALU_DEP_1) | instskip(SKIP_1) | instid1(VALU_DEP_1)
	v_add_co_ci_u32_e64 v7, s2, 0, v7, s2
	v_add_co_u32 v10, s2, 0x100, v10
	v_add_co_ci_u32_e64 v11, s2, 0, v11, s2
	s_add_i32 s12, s12, 16
	s_delay_alu instid0(SALU_CYCLE_1)
	s_cmp_ge_i32 s12, s17
	s_waitcnt lgkmcnt(2)
	v_mul_f64 v[35:36], v[25:26], v[3:4]
	v_mul_f64 v[3:4], v[23:24], v[3:4]
	s_waitcnt lgkmcnt(0)
	v_mul_f64 v[41:42], v[29:30], v[33:34]
	v_mul_f64 v[43:44], v[27:28], v[33:34]
	s_delay_alu instid0(VALU_DEP_4) | instskip(NEXT) | instid1(VALU_DEP_4)
	v_fma_f64 v[45:46], v[23:24], v[1:2], -v[35:36]
	v_fma_f64 v[47:48], v[25:26], v[1:2], v[3:4]
	ds_load_b128 v[1:4], v19 offset:512
	ds_load_b128 v[23:26], v20 offset:32
	ds_load_b128 v[33:36], v20 offset:48
	ds_load_b128 v[37:40], v19 offset:768
	v_fma_f64 v[27:28], v[27:28], v[31:32], -v[41:42]
	v_fma_f64 v[29:30], v[29:30], v[31:32], v[43:44]
	s_waitcnt lgkmcnt(2)
	v_mul_f64 v[49:50], v[25:26], v[3:4]
	v_mul_f64 v[3:4], v[23:24], v[3:4]
	s_waitcnt lgkmcnt(0)
	v_mul_f64 v[31:32], v[35:36], v[39:40]
	v_mul_f64 v[39:40], v[33:34], v[39:40]
	v_add_f64 v[14:15], v[14:15], v[45:46]
	v_add_f64 v[12:13], v[12:13], v[47:48]
	v_fma_f64 v[41:42], v[23:24], v[1:2], -v[49:50]
	v_fma_f64 v[43:44], v[25:26], v[1:2], v[3:4]
	v_fma_f64 v[31:32], v[33:34], v[37:38], -v[31:32]
	v_fma_f64 v[33:34], v[35:36], v[37:38], v[39:40]
	v_add_f64 v[45:46], v[14:15], v[27:28]
	v_add_f64 v[47:48], v[12:13], v[29:30]
	ds_load_b128 v[1:4], v19 offset:1024
	ds_load_b128 v[12:15], v20 offset:64
	;; [unrolled: 1-line block ×4, first 2 shown]
	s_waitcnt lgkmcnt(2)
	v_mul_f64 v[49:50], v[14:15], v[3:4]
	v_mul_f64 v[3:4], v[12:13], v[3:4]
	s_waitcnt lgkmcnt(0)
	v_mul_f64 v[39:40], v[25:26], v[29:30]
	v_add_f64 v[35:36], v[45:46], v[41:42]
	v_add_f64 v[37:38], v[47:48], v[43:44]
	v_mul_f64 v[41:42], v[23:24], v[29:30]
	v_fma_f64 v[43:44], v[12:13], v[1:2], -v[49:50]
	v_fma_f64 v[45:46], v[14:15], v[1:2], v[3:4]
	v_fma_f64 v[23:24], v[23:24], v[27:28], -v[39:40]
	v_add_f64 v[47:48], v[35:36], v[31:32]
	v_add_f64 v[37:38], v[37:38], v[33:34]
	ds_load_b128 v[1:4], v19 offset:1536
	ds_load_b128 v[12:15], v20 offset:96
	;; [unrolled: 1-line block ×4, first 2 shown]
	v_fma_f64 v[25:26], v[25:26], v[27:28], v[41:42]
	s_waitcnt lgkmcnt(2)
	v_mul_f64 v[49:50], v[14:15], v[3:4]
	v_mul_f64 v[3:4], v[12:13], v[3:4]
	s_waitcnt lgkmcnt(0)
	v_mul_f64 v[39:40], v[31:32], v[35:36]
	v_mul_f64 v[41:42], v[29:30], v[35:36]
	v_add_f64 v[27:28], v[47:48], v[43:44]
	v_add_f64 v[37:38], v[37:38], v[45:46]
	v_fma_f64 v[43:44], v[12:13], v[1:2], -v[49:50]
	v_fma_f64 v[45:46], v[14:15], v[1:2], v[3:4]
	v_fma_f64 v[29:30], v[29:30], v[33:34], -v[39:40]
	v_fma_f64 v[31:32], v[31:32], v[33:34], v[41:42]
	v_add_f64 v[27:28], v[27:28], v[23:24]
	v_add_f64 v[47:48], v[37:38], v[25:26]
	ds_load_b128 v[1:4], v19 offset:2048
	ds_load_b128 v[12:15], v20 offset:128
	;; [unrolled: 1-line block ×4, first 2 shown]
	s_waitcnt lgkmcnt(2)
	v_mul_f64 v[49:50], v[14:15], v[3:4]
	v_mul_f64 v[3:4], v[12:13], v[3:4]
	s_waitcnt lgkmcnt(0)
	v_mul_f64 v[39:40], v[25:26], v[37:38]
	v_mul_f64 v[37:38], v[23:24], v[37:38]
	v_add_f64 v[27:28], v[27:28], v[43:44]
	v_add_f64 v[33:34], v[47:48], v[45:46]
	v_fma_f64 v[41:42], v[12:13], v[1:2], -v[49:50]
	v_fma_f64 v[43:44], v[14:15], v[1:2], v[3:4]
	v_fma_f64 v[23:24], v[23:24], v[35:36], -v[39:40]
	v_fma_f64 v[25:26], v[25:26], v[35:36], v[37:38]
	v_add_f64 v[45:46], v[27:28], v[29:30]
	v_add_f64 v[47:48], v[33:34], v[31:32]
	ds_load_b128 v[1:4], v19 offset:2560
	ds_load_b128 v[12:15], v20 offset:160
	;; [unrolled: 1-line block ×4, first 2 shown]
	s_waitcnt lgkmcnt(2)
	v_mul_f64 v[49:50], v[14:15], v[3:4]
	v_mul_f64 v[3:4], v[12:13], v[3:4]
	s_waitcnt lgkmcnt(0)
	v_mul_f64 v[39:40], v[29:30], v[33:34]
	v_add_f64 v[35:36], v[45:46], v[41:42]
	v_add_f64 v[37:38], v[47:48], v[43:44]
	v_mul_f64 v[41:42], v[27:28], v[33:34]
	v_fma_f64 v[43:44], v[12:13], v[1:2], -v[49:50]
	v_fma_f64 v[45:46], v[14:15], v[1:2], v[3:4]
	v_fma_f64 v[27:28], v[27:28], v[31:32], -v[39:40]
	v_add_f64 v[47:48], v[35:36], v[23:24]
	v_add_f64 v[37:38], v[37:38], v[25:26]
	ds_load_b128 v[1:4], v19 offset:3072
	ds_load_b128 v[12:15], v20 offset:192
	;; [unrolled: 1-line block ×4, first 2 shown]
	v_fma_f64 v[29:30], v[29:30], v[31:32], v[41:42]
	s_waitcnt lgkmcnt(2)
	v_mul_f64 v[49:50], v[14:15], v[3:4]
	v_mul_f64 v[3:4], v[12:13], v[3:4]
	s_waitcnt lgkmcnt(0)
	v_mul_f64 v[39:40], v[25:26], v[35:36]
	v_mul_f64 v[41:42], v[23:24], v[35:36]
	v_add_f64 v[31:32], v[47:48], v[43:44]
	v_add_f64 v[37:38], v[37:38], v[45:46]
	v_fma_f64 v[43:44], v[12:13], v[1:2], -v[49:50]
	v_fma_f64 v[45:46], v[14:15], v[1:2], v[3:4]
	v_fma_f64 v[23:24], v[23:24], v[33:34], -v[39:40]
	v_fma_f64 v[25:26], v[25:26], v[33:34], v[41:42]
	v_add_f64 v[31:32], v[31:32], v[27:28]
	v_add_f64 v[47:48], v[37:38], v[29:30]
	ds_load_b128 v[1:4], v19 offset:3584
	ds_load_b128 v[12:15], v20 offset:224
	;; [unrolled: 1-line block ×4, first 2 shown]
	s_waitcnt lgkmcnt(0)
	s_barrier
	buffer_gl0_inv
	v_mul_f64 v[49:50], v[14:15], v[3:4]
	v_mul_f64 v[3:4], v[12:13], v[3:4]
	;; [unrolled: 1-line block ×4, first 2 shown]
	v_add_f64 v[31:32], v[31:32], v[43:44]
	v_add_f64 v[33:34], v[47:48], v[45:46]
	v_fma_f64 v[12:13], v[12:13], v[1:2], -v[49:50]
	v_fma_f64 v[1:2], v[14:15], v[1:2], v[3:4]
	s_delay_alu instid0(VALU_DEP_4) | instskip(NEXT) | instid1(VALU_DEP_4)
	v_add_f64 v[3:4], v[31:32], v[23:24]
	v_add_f64 v[14:15], v[33:34], v[25:26]
	v_fma_f64 v[23:24], v[27:28], v[35:36], -v[39:40]
	v_fma_f64 v[25:26], v[29:30], v[35:36], v[37:38]
	s_delay_alu instid0(VALU_DEP_4) | instskip(NEXT) | instid1(VALU_DEP_4)
	v_add_f64 v[3:4], v[3:4], v[12:13]
	v_add_f64 v[1:2], v[14:15], v[1:2]
	s_delay_alu instid0(VALU_DEP_2) | instskip(NEXT) | instid1(VALU_DEP_2)
	v_add_f64 v[14:15], v[3:4], v[23:24]
	v_add_f64 v[12:13], v[1:2], v[25:26]
	s_cbranch_scc1 .LBB439_9
.LBB439_3:                              ; =>This Inner Loop Header: Depth=1
	v_add_nc_u32_e32 v1, s12, v17
	v_dual_mov_b32 v3, v8 :: v_dual_mov_b32 v4, v9
	s_delay_alu instid0(VALU_DEP_2) | instskip(SKIP_1) | instid1(VALU_DEP_2)
	v_cmp_gt_i32_e64 s2, s17, v1
	v_dual_mov_b32 v1, v8 :: v_dual_mov_b32 v2, v9
	s_and_b32 s8, vcc_lo, s2
	s_delay_alu instid0(SALU_CYCLE_1)
	s_and_saveexec_b32 s2, s8
	s_cbranch_execz .LBB439_5
; %bb.4:                                ;   in Loop: Header=BB439_3 Depth=1
	global_load_b128 v[1:4], v[10:11], off offset:-8
	s_waitcnt vmcnt(0)
	v_xor_b32_e32 v4, 0x80000000, v4
.LBB439_5:                              ;   in Loop: Header=BB439_3 Depth=1
	s_or_b32 exec_lo, exec_lo, s2
	v_add_nc_u32_e32 v23, s12, v18
	ds_store_b128 v21, v[1:4]
	v_cmp_le_i32_e64 s2, s17, v23
	s_delay_alu instid0(VALU_DEP_1) | instskip(NEXT) | instid1(SALU_CYCLE_1)
	s_or_b32 s2, s3, s2
	s_and_saveexec_b32 s8, s2
	s_delay_alu instid0(SALU_CYCLE_1)
	s_xor_b32 s2, exec_lo, s8
	s_cbranch_execz .LBB439_7
; %bb.6:                                ;   in Loop: Header=BB439_3 Depth=1
	v_mov_b32_e32 v1, v0
	v_mov_b32_e32 v2, v0
	;; [unrolled: 1-line block ×3, first 2 shown]
	ds_store_b128 v22, v[0:3]
.LBB439_7:                              ;   in Loop: Header=BB439_3 Depth=1
	s_and_not1_saveexec_b32 s2, s2
	s_cbranch_execz .LBB439_2
; %bb.8:                                ;   in Loop: Header=BB439_3 Depth=1
	global_load_b128 v[1:4], v[6:7], off
	s_waitcnt vmcnt(0)
	ds_store_2addr_b64 v22, v[1:2], v[3:4] offset1:1
	s_branch .LBB439_2
.LBB439_9:
	v_cmp_le_i32_e32 vcc_lo, v5, v16
	v_cmp_gt_i32_e64 s2, s16, v16
	s_delay_alu instid0(VALU_DEP_1) | instskip(NEXT) | instid1(SALU_CYCLE_1)
	s_and_b32 s2, vcc_lo, s2
	s_and_saveexec_b32 s3, s2
	s_cbranch_execz .LBB439_11
; %bb.10:
	s_delay_alu instid0(VALU_DEP_3)
	v_mul_f64 v[0:1], s[4:5], v[12:13]
	v_mul_f64 v[2:3], s[6:7], v[12:13]
	s_clause 0x2
	s_load_b32 s8, s[0:1], 0x60
	s_load_b64 s[2:3], s[0:1], 0x68
	s_load_b64 s[0:1], s[0:1], 0x58
	v_ashrrev_i32_e32 v6, 31, v5
	s_delay_alu instid0(VALU_DEP_1) | instskip(SKIP_2) | instid1(VALU_DEP_4)
	v_lshlrev_b64 v[9:10], 4, v[5:6]
	s_waitcnt lgkmcnt(0)
	s_mul_i32 s3, s15, s3
	v_fma_f64 v[7:8], s[6:7], v[14:15], v[0:1]
	s_delay_alu instid0(VALU_DEP_4) | instskip(SKIP_4) | instid1(SALU_CYCLE_1)
	v_fma_f64 v[0:1], s[4:5], v[14:15], -v[2:3]
	v_mad_i64_i32 v[2:3], null, s8, v16, 0
	s_mul_hi_u32 s4, s15, s2
	s_mul_i32 s2, s15, s2
	s_add_i32 s3, s4, s3
	s_lshl_b64 s[2:3], s[2:3], 4
	s_delay_alu instid0(VALU_DEP_1) | instskip(SKIP_2) | instid1(VALU_DEP_1)
	v_lshlrev_b64 v[2:3], 4, v[2:3]
	s_add_u32 s0, s0, s2
	s_addc_u32 s1, s1, s3
	v_add_co_u32 v2, vcc_lo, s0, v2
	s_delay_alu instid0(VALU_DEP_2) | instskip(SKIP_1) | instid1(VALU_DEP_3)
	v_add_co_ci_u32_e32 v3, vcc_lo, s1, v3, vcc_lo
	v_cmp_ne_u32_e32 vcc_lo, v5, v16
	v_add_co_u32 v4, s0, v2, v9
	s_delay_alu instid0(VALU_DEP_1)
	v_add_co_ci_u32_e64 v5, s0, v3, v10, s0
	v_dual_cndmask_b32 v3, 0, v8 :: v_dual_cndmask_b32 v2, 0, v7
	global_store_b128 v[4:5], v[0:3], off
.LBB439_11:
	s_nop 0
	s_sendmsg sendmsg(MSG_DEALLOC_VGPRS)
	s_endpgm
	.section	.rodata,"a",@progbits
	.p2align	6, 0x0
	.amdhsa_kernel _ZL32rocblas_syrkx_herkx_small_kernelIi19rocblas_complex_numIdELi16ELb1ELb1ELc67ELc85EKS1_S1_EviT_T0_PT6_S3_lS6_S3_lS4_PT7_S3_li
		.amdhsa_group_segment_fixed_size 8192
		.amdhsa_private_segment_fixed_size 0
		.amdhsa_kernarg_size 116
		.amdhsa_user_sgpr_count 13
		.amdhsa_user_sgpr_dispatch_ptr 0
		.amdhsa_user_sgpr_queue_ptr 0
		.amdhsa_user_sgpr_kernarg_segment_ptr 1
		.amdhsa_user_sgpr_dispatch_id 0
		.amdhsa_user_sgpr_private_segment_size 0
		.amdhsa_wavefront_size32 1
		.amdhsa_uses_dynamic_stack 0
		.amdhsa_enable_private_segment 0
		.amdhsa_system_sgpr_workgroup_id_x 1
		.amdhsa_system_sgpr_workgroup_id_y 1
		.amdhsa_system_sgpr_workgroup_id_z 1
		.amdhsa_system_sgpr_workgroup_info 0
		.amdhsa_system_vgpr_workitem_id 1
		.amdhsa_next_free_vgpr 51
		.amdhsa_next_free_sgpr 22
		.amdhsa_reserve_vcc 1
		.amdhsa_float_round_mode_32 0
		.amdhsa_float_round_mode_16_64 0
		.amdhsa_float_denorm_mode_32 3
		.amdhsa_float_denorm_mode_16_64 3
		.amdhsa_dx10_clamp 1
		.amdhsa_ieee_mode 1
		.amdhsa_fp16_overflow 0
		.amdhsa_workgroup_processor_mode 1
		.amdhsa_memory_ordered 1
		.amdhsa_forward_progress 0
		.amdhsa_shared_vgpr_count 0
		.amdhsa_exception_fp_ieee_invalid_op 0
		.amdhsa_exception_fp_denorm_src 0
		.amdhsa_exception_fp_ieee_div_zero 0
		.amdhsa_exception_fp_ieee_overflow 0
		.amdhsa_exception_fp_ieee_underflow 0
		.amdhsa_exception_fp_ieee_inexact 0
		.amdhsa_exception_int_div_zero 0
	.end_amdhsa_kernel
	.section	.text._ZL32rocblas_syrkx_herkx_small_kernelIi19rocblas_complex_numIdELi16ELb1ELb1ELc67ELc85EKS1_S1_EviT_T0_PT6_S3_lS6_S3_lS4_PT7_S3_li,"axG",@progbits,_ZL32rocblas_syrkx_herkx_small_kernelIi19rocblas_complex_numIdELi16ELb1ELb1ELc67ELc85EKS1_S1_EviT_T0_PT6_S3_lS6_S3_lS4_PT7_S3_li,comdat
.Lfunc_end439:
	.size	_ZL32rocblas_syrkx_herkx_small_kernelIi19rocblas_complex_numIdELi16ELb1ELb1ELc67ELc85EKS1_S1_EviT_T0_PT6_S3_lS6_S3_lS4_PT7_S3_li, .Lfunc_end439-_ZL32rocblas_syrkx_herkx_small_kernelIi19rocblas_complex_numIdELi16ELb1ELb1ELc67ELc85EKS1_S1_EviT_T0_PT6_S3_lS6_S3_lS4_PT7_S3_li
                                        ; -- End function
	.section	.AMDGPU.csdata,"",@progbits
; Kernel info:
; codeLenInByte = 2024
; NumSgprs: 24
; NumVgprs: 51
; ScratchSize: 0
; MemoryBound: 1
; FloatMode: 240
; IeeeMode: 1
; LDSByteSize: 8192 bytes/workgroup (compile time only)
; SGPRBlocks: 2
; VGPRBlocks: 6
; NumSGPRsForWavesPerEU: 24
; NumVGPRsForWavesPerEU: 51
; Occupancy: 16
; WaveLimiterHint : 0
; COMPUTE_PGM_RSRC2:SCRATCH_EN: 0
; COMPUTE_PGM_RSRC2:USER_SGPR: 13
; COMPUTE_PGM_RSRC2:TRAP_HANDLER: 0
; COMPUTE_PGM_RSRC2:TGID_X_EN: 1
; COMPUTE_PGM_RSRC2:TGID_Y_EN: 1
; COMPUTE_PGM_RSRC2:TGID_Z_EN: 1
; COMPUTE_PGM_RSRC2:TIDIG_COMP_CNT: 1
	.section	.text._ZL32rocblas_syrkx_herkx_small_kernelIi19rocblas_complex_numIdELi16ELb1ELb1ELc78ELc85EKS1_S1_EviT_T0_PT6_S3_lS6_S3_lS4_PT7_S3_li,"axG",@progbits,_ZL32rocblas_syrkx_herkx_small_kernelIi19rocblas_complex_numIdELi16ELb1ELb1ELc78ELc85EKS1_S1_EviT_T0_PT6_S3_lS6_S3_lS4_PT7_S3_li,comdat
	.globl	_ZL32rocblas_syrkx_herkx_small_kernelIi19rocblas_complex_numIdELi16ELb1ELb1ELc78ELc85EKS1_S1_EviT_T0_PT6_S3_lS6_S3_lS4_PT7_S3_li ; -- Begin function _ZL32rocblas_syrkx_herkx_small_kernelIi19rocblas_complex_numIdELi16ELb1ELb1ELc78ELc85EKS1_S1_EviT_T0_PT6_S3_lS6_S3_lS4_PT7_S3_li
	.p2align	8
	.type	_ZL32rocblas_syrkx_herkx_small_kernelIi19rocblas_complex_numIdELi16ELb1ELb1ELc78ELc85EKS1_S1_EviT_T0_PT6_S3_lS6_S3_lS4_PT7_S3_li,@function
_ZL32rocblas_syrkx_herkx_small_kernelIi19rocblas_complex_numIdELi16ELb1ELb1ELc78ELc85EKS1_S1_EviT_T0_PT6_S3_lS6_S3_lS4_PT7_S3_li: ; @_ZL32rocblas_syrkx_herkx_small_kernelIi19rocblas_complex_numIdELi16ELb1ELb1ELc78ELc85EKS1_S1_EviT_T0_PT6_S3_lS6_S3_lS4_PT7_S3_li
; %bb.0:
	s_clause 0x2
	s_load_b64 s[16:17], s[0:1], 0x0
	s_load_b128 s[4:7], s[0:1], 0x8
	s_load_b64 s[18:19], s[0:1], 0x18
	v_and_b32_e32 v16, 0x3ff, v0
	v_bfe_u32 v17, v0, 10, 10
	v_mov_b32_e32 v12, 0
	v_mov_b32_e32 v13, 0
	s_delay_alu instid0(VALU_DEP_4) | instskip(NEXT) | instid1(VALU_DEP_4)
	v_lshl_add_u32 v5, s13, 4, v16
	v_lshl_add_u32 v7, s14, 4, v17
	s_mov_b32 s14, 0
	s_delay_alu instid0(VALU_DEP_3) | instskip(NEXT) | instid1(VALU_DEP_3)
	v_dual_mov_b32 v15, v13 :: v_dual_mov_b32 v14, v12
	v_ashrrev_i32_e32 v6, 31, v5
	s_waitcnt lgkmcnt(0)
	v_cmp_gt_i32_e32 vcc_lo, s16, v7
	s_cmp_lt_i32 s17, 1
	s_cbranch_scc1 .LBB440_9
; %bb.1:
	s_clause 0x3
	s_load_b32 s12, s[0:1], 0x20
	s_load_b32 s20, s[0:1], 0x38
	s_load_b64 s[22:23], s[0:1], 0x40
	s_load_b128 s[8:11], s[0:1], 0x28
	v_mov_b32_e32 v12, 0
	v_dual_mov_b32 v13, 0 :: v_dual_lshlrev_b32 v2, 8, v17
	v_lshlrev_b32_e32 v18, 4, v16
	v_ashrrev_i32_e32 v8, 31, v7
	v_lshlrev_b64 v[0:1], 4, v[5:6]
	s_delay_alu instid0(VALU_DEP_4) | instskip(NEXT) | instid1(VALU_DEP_4)
	v_add_nc_u32_e32 v19, 0x1000, v2
	v_dual_mov_b32 v15, v13 :: v_dual_add_nc_u32 v20, v18, v2
	s_delay_alu instid0(VALU_DEP_4)
	v_lshlrev_b64 v[2:3], 4, v[7:8]
	v_cmp_gt_i32_e64 s2, s16, v5
	v_mov_b32_e32 v14, v12
	s_waitcnt lgkmcnt(0)
	v_mad_i64_i32 v[10:11], null, s12, v17, 0
	v_mad_i64_i32 v[8:9], null, s20, v16, 0
	s_mul_i32 s3, s23, s15
	s_mul_hi_u32 s23, s22, s15
	s_mul_i32 s22, s22, s15
	s_add_i32 s23, s23, s3
	s_mul_i32 s9, s9, s15
	s_lshl_b64 s[22:23], s[22:23], 4
	s_delay_alu instid0(VALU_DEP_1)
	v_lshlrev_b64 v[8:9], 4, v[8:9]
	s_mul_hi_u32 s24, s8, s15
	s_mul_i32 s8, s8, s15
	s_add_i32 s9, s24, s9
	s_ashr_i32 s13, s12, 31
	s_lshl_b64 s[8:9], s[8:9], 4
	v_add_co_u32 v4, s3, s22, v8
	s_delay_alu instid0(VALU_DEP_1) | instskip(SKIP_1) | instid1(VALU_DEP_2)
	v_add_co_ci_u32_e64 v8, s3, s23, v9, s3
	s_ashr_i32 s21, s20, 31
	v_add_co_u32 v4, s3, v4, v2
	s_delay_alu instid0(VALU_DEP_1) | instskip(SKIP_1) | instid1(VALU_DEP_3)
	v_add_co_ci_u32_e64 v8, s3, v8, v3, s3
	v_lshlrev_b64 v[2:3], 4, v[10:11]
	v_add_co_u32 v4, s3, v4, s10
	s_delay_alu instid0(VALU_DEP_1) | instskip(SKIP_1) | instid1(VALU_DEP_3)
	v_add_co_ci_u32_e64 v9, s3, s11, v8, s3
	s_lshl_b64 s[10:11], s[12:13], 8
	v_add_co_u32 v2, s3, s8, v2
	s_delay_alu instid0(VALU_DEP_1) | instskip(SKIP_1) | instid1(VALU_DEP_1)
	v_add_co_ci_u32_e64 v3, s3, s9, v3, s3
	v_add_co_u32 v8, s3, v4, 8
	v_add_co_ci_u32_e64 v9, s3, 0, v9, s3
	s_delay_alu instid0(VALU_DEP_4) | instskip(NEXT) | instid1(VALU_DEP_1)
	v_add_co_u32 v0, s3, v2, v0
	v_add_co_ci_u32_e64 v1, s3, v3, v1, s3
	s_lshl_b64 s[8:9], s[20:21], 8
	s_delay_alu instid0(VALU_DEP_2) | instskip(SKIP_1) | instid1(VALU_DEP_3)
	v_add_co_u32 v10, s3, s18, v0
	v_dual_mov_b32 v0, 0 :: v_dual_add_nc_u32 v21, v19, v18
	v_add_co_ci_u32_e64 v11, s3, s19, v1, s3
	s_xor_b32 s3, s2, -1
	s_branch .LBB440_3
.LBB440_2:                              ;   in Loop: Header=BB440_3 Depth=1
	s_or_b32 exec_lo, exec_lo, s2
	ds_store_b128 v21, v[1:4]
	s_waitcnt lgkmcnt(0)
	s_barrier
	buffer_gl0_inv
	ds_load_b128 v[1:4], v18
	ds_load_b128 v[22:25], v19
	ds_load_b128 v[26:29], v19 offset:16
	ds_load_b128 v[30:33], v18 offset:256
	v_add_co_u32 v8, s2, v8, s8
	s_delay_alu instid0(VALU_DEP_1) | instskip(SKIP_1) | instid1(VALU_DEP_1)
	v_add_co_ci_u32_e64 v9, s2, s9, v9, s2
	v_add_co_u32 v10, s2, v10, s10
	v_add_co_ci_u32_e64 v11, s2, s11, v11, s2
	s_add_i32 s14, s14, 16
	s_delay_alu instid0(SALU_CYCLE_1)
	s_cmp_ge_i32 s14, s17
	s_waitcnt lgkmcnt(2)
	v_mul_f64 v[34:35], v[24:25], v[3:4]
	v_mul_f64 v[3:4], v[22:23], v[3:4]
	s_waitcnt lgkmcnt(0)
	v_mul_f64 v[40:41], v[28:29], v[32:33]
	v_mul_f64 v[42:43], v[26:27], v[32:33]
	s_delay_alu instid0(VALU_DEP_4) | instskip(NEXT) | instid1(VALU_DEP_4)
	v_fma_f64 v[44:45], v[22:23], v[1:2], -v[34:35]
	v_fma_f64 v[46:47], v[24:25], v[1:2], v[3:4]
	ds_load_b128 v[1:4], v18 offset:512
	ds_load_b128 v[22:25], v19 offset:32
	;; [unrolled: 1-line block ×4, first 2 shown]
	v_fma_f64 v[26:27], v[26:27], v[30:31], -v[40:41]
	v_fma_f64 v[28:29], v[28:29], v[30:31], v[42:43]
	s_waitcnt lgkmcnt(2)
	v_mul_f64 v[48:49], v[24:25], v[3:4]
	v_mul_f64 v[3:4], v[22:23], v[3:4]
	s_waitcnt lgkmcnt(0)
	v_mul_f64 v[30:31], v[34:35], v[38:39]
	v_mul_f64 v[38:39], v[32:33], v[38:39]
	v_add_f64 v[14:15], v[14:15], v[44:45]
	v_add_f64 v[12:13], v[12:13], v[46:47]
	v_fma_f64 v[40:41], v[22:23], v[1:2], -v[48:49]
	v_fma_f64 v[42:43], v[24:25], v[1:2], v[3:4]
	v_fma_f64 v[30:31], v[32:33], v[36:37], -v[30:31]
	v_fma_f64 v[32:33], v[34:35], v[36:37], v[38:39]
	v_add_f64 v[44:45], v[14:15], v[26:27]
	v_add_f64 v[46:47], v[12:13], v[28:29]
	ds_load_b128 v[1:4], v18 offset:1024
	ds_load_b128 v[12:15], v19 offset:64
	;; [unrolled: 1-line block ×4, first 2 shown]
	s_waitcnt lgkmcnt(2)
	v_mul_f64 v[48:49], v[14:15], v[3:4]
	v_mul_f64 v[3:4], v[12:13], v[3:4]
	s_waitcnt lgkmcnt(0)
	v_mul_f64 v[38:39], v[24:25], v[28:29]
	v_add_f64 v[34:35], v[44:45], v[40:41]
	v_add_f64 v[36:37], v[46:47], v[42:43]
	v_mul_f64 v[40:41], v[22:23], v[28:29]
	v_fma_f64 v[42:43], v[12:13], v[1:2], -v[48:49]
	v_fma_f64 v[44:45], v[14:15], v[1:2], v[3:4]
	v_fma_f64 v[22:23], v[22:23], v[26:27], -v[38:39]
	v_add_f64 v[46:47], v[34:35], v[30:31]
	v_add_f64 v[36:37], v[36:37], v[32:33]
	ds_load_b128 v[1:4], v18 offset:1536
	ds_load_b128 v[12:15], v19 offset:96
	;; [unrolled: 1-line block ×4, first 2 shown]
	v_fma_f64 v[24:25], v[24:25], v[26:27], v[40:41]
	s_waitcnt lgkmcnt(2)
	v_mul_f64 v[48:49], v[14:15], v[3:4]
	v_mul_f64 v[3:4], v[12:13], v[3:4]
	s_waitcnt lgkmcnt(0)
	v_mul_f64 v[38:39], v[30:31], v[34:35]
	v_mul_f64 v[40:41], v[28:29], v[34:35]
	v_add_f64 v[26:27], v[46:47], v[42:43]
	v_add_f64 v[36:37], v[36:37], v[44:45]
	v_fma_f64 v[42:43], v[12:13], v[1:2], -v[48:49]
	v_fma_f64 v[44:45], v[14:15], v[1:2], v[3:4]
	v_fma_f64 v[28:29], v[28:29], v[32:33], -v[38:39]
	v_fma_f64 v[30:31], v[30:31], v[32:33], v[40:41]
	v_add_f64 v[26:27], v[26:27], v[22:23]
	v_add_f64 v[46:47], v[36:37], v[24:25]
	ds_load_b128 v[1:4], v18 offset:2048
	ds_load_b128 v[12:15], v19 offset:128
	;; [unrolled: 1-line block ×4, first 2 shown]
	s_waitcnt lgkmcnt(2)
	v_mul_f64 v[48:49], v[14:15], v[3:4]
	v_mul_f64 v[3:4], v[12:13], v[3:4]
	s_waitcnt lgkmcnt(0)
	v_mul_f64 v[38:39], v[24:25], v[36:37]
	v_mul_f64 v[36:37], v[22:23], v[36:37]
	v_add_f64 v[26:27], v[26:27], v[42:43]
	v_add_f64 v[32:33], v[46:47], v[44:45]
	v_fma_f64 v[40:41], v[12:13], v[1:2], -v[48:49]
	v_fma_f64 v[42:43], v[14:15], v[1:2], v[3:4]
	v_fma_f64 v[22:23], v[22:23], v[34:35], -v[38:39]
	v_fma_f64 v[24:25], v[24:25], v[34:35], v[36:37]
	v_add_f64 v[44:45], v[26:27], v[28:29]
	v_add_f64 v[46:47], v[32:33], v[30:31]
	ds_load_b128 v[1:4], v18 offset:2560
	ds_load_b128 v[12:15], v19 offset:160
	;; [unrolled: 1-line block ×4, first 2 shown]
	s_waitcnt lgkmcnt(2)
	v_mul_f64 v[48:49], v[14:15], v[3:4]
	v_mul_f64 v[3:4], v[12:13], v[3:4]
	s_waitcnt lgkmcnt(0)
	v_mul_f64 v[38:39], v[28:29], v[32:33]
	v_add_f64 v[34:35], v[44:45], v[40:41]
	v_add_f64 v[36:37], v[46:47], v[42:43]
	v_mul_f64 v[40:41], v[26:27], v[32:33]
	v_fma_f64 v[42:43], v[12:13], v[1:2], -v[48:49]
	v_fma_f64 v[44:45], v[14:15], v[1:2], v[3:4]
	v_fma_f64 v[26:27], v[26:27], v[30:31], -v[38:39]
	v_add_f64 v[46:47], v[34:35], v[22:23]
	v_add_f64 v[36:37], v[36:37], v[24:25]
	ds_load_b128 v[1:4], v18 offset:3072
	ds_load_b128 v[12:15], v19 offset:192
	;; [unrolled: 1-line block ×4, first 2 shown]
	v_fma_f64 v[28:29], v[28:29], v[30:31], v[40:41]
	s_waitcnt lgkmcnt(2)
	v_mul_f64 v[48:49], v[14:15], v[3:4]
	v_mul_f64 v[3:4], v[12:13], v[3:4]
	s_waitcnt lgkmcnt(0)
	v_mul_f64 v[38:39], v[24:25], v[34:35]
	v_mul_f64 v[40:41], v[22:23], v[34:35]
	v_add_f64 v[30:31], v[46:47], v[42:43]
	v_add_f64 v[36:37], v[36:37], v[44:45]
	v_fma_f64 v[42:43], v[12:13], v[1:2], -v[48:49]
	v_fma_f64 v[44:45], v[14:15], v[1:2], v[3:4]
	v_fma_f64 v[22:23], v[22:23], v[32:33], -v[38:39]
	v_fma_f64 v[24:25], v[24:25], v[32:33], v[40:41]
	v_add_f64 v[30:31], v[30:31], v[26:27]
	v_add_f64 v[46:47], v[36:37], v[28:29]
	ds_load_b128 v[1:4], v18 offset:3584
	ds_load_b128 v[12:15], v19 offset:224
	;; [unrolled: 1-line block ×4, first 2 shown]
	s_waitcnt lgkmcnt(0)
	s_barrier
	buffer_gl0_inv
	v_mul_f64 v[48:49], v[14:15], v[3:4]
	v_mul_f64 v[3:4], v[12:13], v[3:4]
	;; [unrolled: 1-line block ×4, first 2 shown]
	v_add_f64 v[30:31], v[30:31], v[42:43]
	v_add_f64 v[32:33], v[46:47], v[44:45]
	v_fma_f64 v[12:13], v[12:13], v[1:2], -v[48:49]
	v_fma_f64 v[1:2], v[14:15], v[1:2], v[3:4]
	s_delay_alu instid0(VALU_DEP_4) | instskip(NEXT) | instid1(VALU_DEP_4)
	v_add_f64 v[3:4], v[30:31], v[22:23]
	v_add_f64 v[14:15], v[32:33], v[24:25]
	v_fma_f64 v[22:23], v[26:27], v[34:35], -v[38:39]
	v_fma_f64 v[24:25], v[28:29], v[34:35], v[36:37]
	s_delay_alu instid0(VALU_DEP_4) | instskip(NEXT) | instid1(VALU_DEP_4)
	v_add_f64 v[3:4], v[3:4], v[12:13]
	v_add_f64 v[1:2], v[14:15], v[1:2]
	s_delay_alu instid0(VALU_DEP_2) | instskip(NEXT) | instid1(VALU_DEP_2)
	v_add_f64 v[14:15], v[3:4], v[22:23]
	v_add_f64 v[12:13], v[1:2], v[24:25]
	s_cbranch_scc1 .LBB440_9
.LBB440_3:                              ; =>This Inner Loop Header: Depth=1
	v_add_nc_u32_e32 v1, s14, v17
	s_delay_alu instid0(VALU_DEP_1) | instskip(NEXT) | instid1(VALU_DEP_1)
	v_cmp_le_i32_e64 s2, s17, v1
	s_or_b32 s2, s3, s2
	s_delay_alu instid0(SALU_CYCLE_1) | instskip(NEXT) | instid1(SALU_CYCLE_1)
	s_and_saveexec_b32 s12, s2
	s_xor_b32 s2, exec_lo, s12
	s_cbranch_execz .LBB440_5
; %bb.4:                                ;   in Loop: Header=BB440_3 Depth=1
	v_mov_b32_e32 v1, v0
	v_mov_b32_e32 v2, v0
	;; [unrolled: 1-line block ×3, first 2 shown]
	ds_store_b128 v20, v[0:3]
.LBB440_5:                              ;   in Loop: Header=BB440_3 Depth=1
	s_and_not1_saveexec_b32 s2, s2
	s_cbranch_execz .LBB440_7
; %bb.6:                                ;   in Loop: Header=BB440_3 Depth=1
	global_load_b128 v[1:4], v[10:11], off
	s_waitcnt vmcnt(0)
	ds_store_2addr_b64 v20, v[1:2], v[3:4] offset1:1
.LBB440_7:                              ;   in Loop: Header=BB440_3 Depth=1
	s_or_b32 exec_lo, exec_lo, s2
	v_add_nc_u32_e32 v3, s14, v16
	v_mov_b32_e32 v1, 0
	v_mov_b32_e32 v2, 0
	s_delay_alu instid0(VALU_DEP_3) | instskip(NEXT) | instid1(VALU_DEP_2)
	v_cmp_gt_i32_e64 s2, s17, v3
	v_dual_mov_b32 v4, v2 :: v_dual_mov_b32 v3, v1
	s_delay_alu instid0(VALU_DEP_2) | instskip(NEXT) | instid1(SALU_CYCLE_1)
	s_and_b32 s12, vcc_lo, s2
	s_and_saveexec_b32 s2, s12
	s_cbranch_execz .LBB440_2
; %bb.8:                                ;   in Loop: Header=BB440_3 Depth=1
	global_load_b128 v[1:4], v[8:9], off offset:-8
	s_waitcnt vmcnt(0)
	v_xor_b32_e32 v4, 0x80000000, v4
	s_branch .LBB440_2
.LBB440_9:
	v_cmp_le_i32_e32 vcc_lo, v5, v7
	v_cmp_gt_i32_e64 s2, s16, v7
	s_delay_alu instid0(VALU_DEP_1) | instskip(NEXT) | instid1(SALU_CYCLE_1)
	s_and_b32 s2, vcc_lo, s2
	s_and_saveexec_b32 s3, s2
	s_cbranch_execz .LBB440_11
; %bb.10:
	s_delay_alu instid0(VALU_DEP_3)
	v_mul_f64 v[0:1], s[4:5], v[12:13]
	v_mul_f64 v[2:3], s[6:7], v[12:13]
	s_clause 0x2
	s_load_b32 s8, s[0:1], 0x60
	s_load_b64 s[2:3], s[0:1], 0x68
	s_load_b64 s[0:1], s[0:1], 0x58
	v_lshlrev_b64 v[10:11], 4, v[5:6]
	s_waitcnt lgkmcnt(0)
	s_mul_i32 s3, s15, s3
	s_delay_alu instid0(VALU_DEP_3) | instskip(NEXT) | instid1(VALU_DEP_3)
	v_fma_f64 v[8:9], s[6:7], v[14:15], v[0:1]
	v_fma_f64 v[0:1], s[4:5], v[14:15], -v[2:3]
	v_mad_i64_i32 v[2:3], null, s8, v7, 0
	s_mul_hi_u32 s4, s15, s2
	s_mul_i32 s2, s15, s2
	s_add_i32 s3, s4, s3
	s_delay_alu instid0(SALU_CYCLE_1) | instskip(NEXT) | instid1(VALU_DEP_1)
	s_lshl_b64 s[2:3], s[2:3], 4
	v_lshlrev_b64 v[2:3], 4, v[2:3]
	s_add_u32 s0, s0, s2
	s_addc_u32 s1, s1, s3
	s_delay_alu instid0(VALU_DEP_1) | instskip(NEXT) | instid1(VALU_DEP_2)
	v_add_co_u32 v2, vcc_lo, s0, v2
	v_add_co_ci_u32_e32 v3, vcc_lo, s1, v3, vcc_lo
	v_cmp_ne_u32_e32 vcc_lo, v5, v7
	s_delay_alu instid0(VALU_DEP_3) | instskip(NEXT) | instid1(VALU_DEP_1)
	v_add_co_u32 v4, s0, v2, v10
	v_add_co_ci_u32_e64 v5, s0, v3, v11, s0
	v_dual_cndmask_b32 v3, 0, v9 :: v_dual_cndmask_b32 v2, 0, v8
	global_store_b128 v[4:5], v[0:3], off
.LBB440_11:
	s_nop 0
	s_sendmsg sendmsg(MSG_DEALLOC_VGPRS)
	s_endpgm
	.section	.rodata,"a",@progbits
	.p2align	6, 0x0
	.amdhsa_kernel _ZL32rocblas_syrkx_herkx_small_kernelIi19rocblas_complex_numIdELi16ELb1ELb1ELc78ELc85EKS1_S1_EviT_T0_PT6_S3_lS6_S3_lS4_PT7_S3_li
		.amdhsa_group_segment_fixed_size 8192
		.amdhsa_private_segment_fixed_size 0
		.amdhsa_kernarg_size 116
		.amdhsa_user_sgpr_count 13
		.amdhsa_user_sgpr_dispatch_ptr 0
		.amdhsa_user_sgpr_queue_ptr 0
		.amdhsa_user_sgpr_kernarg_segment_ptr 1
		.amdhsa_user_sgpr_dispatch_id 0
		.amdhsa_user_sgpr_private_segment_size 0
		.amdhsa_wavefront_size32 1
		.amdhsa_uses_dynamic_stack 0
		.amdhsa_enable_private_segment 0
		.amdhsa_system_sgpr_workgroup_id_x 1
		.amdhsa_system_sgpr_workgroup_id_y 1
		.amdhsa_system_sgpr_workgroup_id_z 1
		.amdhsa_system_sgpr_workgroup_info 0
		.amdhsa_system_vgpr_workitem_id 1
		.amdhsa_next_free_vgpr 50
		.amdhsa_next_free_sgpr 25
		.amdhsa_reserve_vcc 1
		.amdhsa_float_round_mode_32 0
		.amdhsa_float_round_mode_16_64 0
		.amdhsa_float_denorm_mode_32 3
		.amdhsa_float_denorm_mode_16_64 3
		.amdhsa_dx10_clamp 1
		.amdhsa_ieee_mode 1
		.amdhsa_fp16_overflow 0
		.amdhsa_workgroup_processor_mode 1
		.amdhsa_memory_ordered 1
		.amdhsa_forward_progress 0
		.amdhsa_shared_vgpr_count 0
		.amdhsa_exception_fp_ieee_invalid_op 0
		.amdhsa_exception_fp_denorm_src 0
		.amdhsa_exception_fp_ieee_div_zero 0
		.amdhsa_exception_fp_ieee_overflow 0
		.amdhsa_exception_fp_ieee_underflow 0
		.amdhsa_exception_fp_ieee_inexact 0
		.amdhsa_exception_int_div_zero 0
	.end_amdhsa_kernel
	.section	.text._ZL32rocblas_syrkx_herkx_small_kernelIi19rocblas_complex_numIdELi16ELb1ELb1ELc78ELc85EKS1_S1_EviT_T0_PT6_S3_lS6_S3_lS4_PT7_S3_li,"axG",@progbits,_ZL32rocblas_syrkx_herkx_small_kernelIi19rocblas_complex_numIdELi16ELb1ELb1ELc78ELc85EKS1_S1_EviT_T0_PT6_S3_lS6_S3_lS4_PT7_S3_li,comdat
.Lfunc_end440:
	.size	_ZL32rocblas_syrkx_herkx_small_kernelIi19rocblas_complex_numIdELi16ELb1ELb1ELc78ELc85EKS1_S1_EviT_T0_PT6_S3_lS6_S3_lS4_PT7_S3_li, .Lfunc_end440-_ZL32rocblas_syrkx_herkx_small_kernelIi19rocblas_complex_numIdELi16ELb1ELb1ELc78ELc85EKS1_S1_EviT_T0_PT6_S3_lS6_S3_lS4_PT7_S3_li
                                        ; -- End function
	.section	.AMDGPU.csdata,"",@progbits
; Kernel info:
; codeLenInByte = 2040
; NumSgprs: 27
; NumVgprs: 50
; ScratchSize: 0
; MemoryBound: 1
; FloatMode: 240
; IeeeMode: 1
; LDSByteSize: 8192 bytes/workgroup (compile time only)
; SGPRBlocks: 3
; VGPRBlocks: 6
; NumSGPRsForWavesPerEU: 27
; NumVGPRsForWavesPerEU: 50
; Occupancy: 16
; WaveLimiterHint : 0
; COMPUTE_PGM_RSRC2:SCRATCH_EN: 0
; COMPUTE_PGM_RSRC2:USER_SGPR: 13
; COMPUTE_PGM_RSRC2:TRAP_HANDLER: 0
; COMPUTE_PGM_RSRC2:TGID_X_EN: 1
; COMPUTE_PGM_RSRC2:TGID_Y_EN: 1
; COMPUTE_PGM_RSRC2:TGID_Z_EN: 1
; COMPUTE_PGM_RSRC2:TIDIG_COMP_CNT: 1
	.section	.text._ZL32rocblas_syrkx_herkx_small_kernelIi19rocblas_complex_numIdELi16ELb0ELb1ELc84ELc76EKS1_S1_EviT_T0_PT6_S3_lS6_S3_lS4_PT7_S3_li,"axG",@progbits,_ZL32rocblas_syrkx_herkx_small_kernelIi19rocblas_complex_numIdELi16ELb0ELb1ELc84ELc76EKS1_S1_EviT_T0_PT6_S3_lS6_S3_lS4_PT7_S3_li,comdat
	.globl	_ZL32rocblas_syrkx_herkx_small_kernelIi19rocblas_complex_numIdELi16ELb0ELb1ELc84ELc76EKS1_S1_EviT_T0_PT6_S3_lS6_S3_lS4_PT7_S3_li ; -- Begin function _ZL32rocblas_syrkx_herkx_small_kernelIi19rocblas_complex_numIdELi16ELb0ELb1ELc84ELc76EKS1_S1_EviT_T0_PT6_S3_lS6_S3_lS4_PT7_S3_li
	.p2align	8
	.type	_ZL32rocblas_syrkx_herkx_small_kernelIi19rocblas_complex_numIdELi16ELb0ELb1ELc84ELc76EKS1_S1_EviT_T0_PT6_S3_lS6_S3_lS4_PT7_S3_li,@function
_ZL32rocblas_syrkx_herkx_small_kernelIi19rocblas_complex_numIdELi16ELb0ELb1ELc84ELc76EKS1_S1_EviT_T0_PT6_S3_lS6_S3_lS4_PT7_S3_li: ; @_ZL32rocblas_syrkx_herkx_small_kernelIi19rocblas_complex_numIdELi16ELb0ELb1ELc84ELc76EKS1_S1_EviT_T0_PT6_S3_lS6_S3_lS4_PT7_S3_li
; %bb.0:
	s_clause 0x3
	s_load_b64 s[24:25], s[0:1], 0x0
	s_load_b128 s[16:19], s[0:1], 0x8
	s_load_b64 s[26:27], s[0:1], 0x18
	s_load_b256 s[4:11], s[0:1], 0x40
	v_dual_mov_b32 v9, 0 :: v_dual_and_b32 v14, 0x3ff, v0
	v_mov_b32_e32 v10, 0
	v_bfe_u32 v15, v0, 10, 10
	s_mov_b32 s12, 0
	s_delay_alu instid0(VALU_DEP_3) | instskip(NEXT) | instid1(VALU_DEP_3)
	v_lshl_add_u32 v4, s13, 4, v14
	v_dual_mov_b32 v12, v10 :: v_dual_mov_b32 v11, v9
	s_delay_alu instid0(VALU_DEP_3) | instskip(SKIP_1) | instid1(VALU_DEP_3)
	v_lshl_add_u32 v13, s14, 4, v15
	s_waitcnt lgkmcnt(0)
	v_cmp_gt_i32_e32 vcc_lo, s24, v4
	s_cmp_lt_i32 s25, 1
	s_cbranch_scc1 .LBB441_11
; %bb.1:
	s_clause 0x2
	s_load_b32 s3, s[0:1], 0x38
	s_load_b32 s13, s[0:1], 0x20
	s_load_b128 s[20:23], s[0:1], 0x28
	v_dual_mov_b32 v9, 0 :: v_dual_lshlrev_b32 v2, 8, v15
	v_dual_mov_b32 v10, 0 :: v_dual_lshlrev_b32 v7, 4, v15
	v_lshlrev_b32_e32 v16, 4, v14
	s_mul_i32 s5, s5, s15
	s_mul_hi_u32 s14, s4, s15
	v_add_nc_u32_e32 v18, 0x1000, v2
	v_dual_mov_b32 v12, v10 :: v_dual_mov_b32 v11, v9
	v_add_nc_u32_e32 v17, v16, v2
	s_mul_i32 s4, s4, s15
	s_add_i32 s5, s14, s5
	v_cmp_gt_i32_e64 s2, s24, v13
	s_lshl_b64 s[4:5], s[4:5], 4
	v_add_nc_u32_e32 v19, v18, v16
	s_waitcnt lgkmcnt(0)
	v_mad_i64_i32 v[0:1], null, s3, v13, 0
	v_mad_i64_i32 v[2:3], null, s13, v4, 0
	s_mul_i32 s3, s21, s15
	s_mul_hi_u32 s13, s20, s15
	s_mul_i32 s20, s20, s15
	s_add_i32 s21, s13, s3
	s_delay_alu instid0(VALU_DEP_2) | instskip(SKIP_2) | instid1(VALU_DEP_1)
	v_lshlrev_b64 v[0:1], 4, v[0:1]
	s_lshl_b64 s[20:21], s[20:21], 4
	s_xor_b32 s2, s2, -1
	v_add_co_u32 v5, s3, v0, s4
	s_delay_alu instid0(VALU_DEP_1) | instskip(SKIP_1) | instid1(VALU_DEP_3)
	v_add_co_ci_u32_e64 v6, s3, s5, v1, s3
	v_lshlrev_b64 v[0:1], 4, v[2:3]
	v_add_co_u32 v2, s3, v5, v16
	s_delay_alu instid0(VALU_DEP_1) | instskip(NEXT) | instid1(VALU_DEP_3)
	v_add_co_ci_u32_e64 v3, s3, 0, v6, s3
	v_add_co_u32 v0, s3, v0, s20
	s_delay_alu instid0(VALU_DEP_1) | instskip(NEXT) | instid1(VALU_DEP_4)
	v_add_co_ci_u32_e64 v1, s3, s21, v1, s3
	v_add_co_u32 v5, s3, s22, v2
	s_delay_alu instid0(VALU_DEP_1) | instskip(NEXT) | instid1(VALU_DEP_4)
	v_add_co_ci_u32_e64 v6, s3, s23, v3, s3
	v_add_co_u32 v0, s3, v0, v7
	s_delay_alu instid0(VALU_DEP_1) | instskip(NEXT) | instid1(VALU_DEP_2)
	v_add_co_ci_u32_e64 v1, s3, 0, v1, s3
	v_add_co_u32 v7, s3, s26, v0
	v_mov_b32_e32 v0, 0
	s_delay_alu instid0(VALU_DEP_3)
	v_add_co_ci_u32_e64 v8, s3, s27, v1, s3
	s_xor_b32 s3, vcc_lo, -1
	s_branch .LBB441_3
.LBB441_2:                              ;   in Loop: Header=BB441_3 Depth=1
	s_or_b32 exec_lo, exec_lo, s4
	s_waitcnt lgkmcnt(0)
	s_barrier
	buffer_gl0_inv
	ds_load_b128 v[20:23], v16
	ds_load_b128 v[24:27], v18
	ds_load_b128 v[28:31], v18 offset:16
	ds_load_b128 v[32:35], v16 offset:256
	v_add_co_u32 v5, vcc_lo, 0x100, v5
	v_add_co_ci_u32_e32 v6, vcc_lo, 0, v6, vcc_lo
	v_add_co_u32 v7, vcc_lo, 0x100, v7
	v_add_co_ci_u32_e32 v8, vcc_lo, 0, v8, vcc_lo
	s_add_i32 s12, s12, 16
	s_delay_alu instid0(SALU_CYCLE_1)
	s_cmp_ge_i32 s12, s25
	s_waitcnt lgkmcnt(2)
	v_mul_f64 v[1:2], v[26:27], v[22:23]
	v_mul_f64 v[22:23], v[24:25], v[22:23]
	s_waitcnt lgkmcnt(0)
	v_mul_f64 v[42:43], v[30:31], v[34:35]
	v_mul_f64 v[44:45], v[28:29], v[34:35]
	s_delay_alu instid0(VALU_DEP_4) | instskip(NEXT) | instid1(VALU_DEP_4)
	v_fma_f64 v[1:2], v[24:25], v[20:21], -v[1:2]
	v_fma_f64 v[46:47], v[26:27], v[20:21], v[22:23]
	ds_load_b128 v[20:23], v16 offset:512
	ds_load_b128 v[24:27], v18 offset:32
	;; [unrolled: 1-line block ×4, first 2 shown]
	v_fma_f64 v[28:29], v[28:29], v[32:33], -v[42:43]
	v_fma_f64 v[30:31], v[30:31], v[32:33], v[44:45]
	s_waitcnt lgkmcnt(2)
	v_mul_f64 v[48:49], v[26:27], v[22:23]
	v_mul_f64 v[22:23], v[24:25], v[22:23]
	s_waitcnt lgkmcnt(0)
	v_mul_f64 v[32:33], v[36:37], v[40:41]
	v_mul_f64 v[40:41], v[34:35], v[40:41]
	v_add_f64 v[1:2], v[11:12], v[1:2]
	v_add_f64 v[9:10], v[9:10], v[46:47]
	v_fma_f64 v[42:43], v[24:25], v[20:21], -v[48:49]
	v_fma_f64 v[44:45], v[26:27], v[20:21], v[22:23]
	v_fma_f64 v[32:33], v[34:35], v[38:39], -v[32:33]
	v_fma_f64 v[34:35], v[36:37], v[38:39], v[40:41]
	v_add_f64 v[1:2], v[1:2], v[28:29]
	v_add_f64 v[46:47], v[9:10], v[30:31]
	ds_load_b128 v[9:12], v16 offset:1024
	ds_load_b128 v[20:23], v18 offset:64
	;; [unrolled: 1-line block ×4, first 2 shown]
	s_waitcnt lgkmcnt(2)
	v_mul_f64 v[48:49], v[22:23], v[11:12]
	v_mul_f64 v[11:12], v[20:21], v[11:12]
	s_waitcnt lgkmcnt(0)
	v_mul_f64 v[38:39], v[26:27], v[30:31]
	v_mul_f64 v[40:41], v[24:25], v[30:31]
	v_add_f64 v[1:2], v[1:2], v[42:43]
	v_add_f64 v[36:37], v[46:47], v[44:45]
	v_fma_f64 v[42:43], v[20:21], v[9:10], -v[48:49]
	v_fma_f64 v[44:45], v[22:23], v[9:10], v[11:12]
	v_fma_f64 v[24:25], v[24:25], v[28:29], -v[38:39]
	v_fma_f64 v[26:27], v[26:27], v[28:29], v[40:41]
	v_add_f64 v[1:2], v[1:2], v[32:33]
	v_add_f64 v[46:47], v[36:37], v[34:35]
	ds_load_b128 v[9:12], v16 offset:1536
	ds_load_b128 v[20:23], v18 offset:96
	;; [unrolled: 1-line block ×4, first 2 shown]
	s_waitcnt lgkmcnt(2)
	v_mul_f64 v[48:49], v[22:23], v[11:12]
	v_mul_f64 v[11:12], v[20:21], v[11:12]
	s_waitcnt lgkmcnt(0)
	v_mul_f64 v[40:41], v[32:33], v[36:37]
	v_add_f64 v[1:2], v[1:2], v[42:43]
	v_add_f64 v[28:29], v[46:47], v[44:45]
	v_mul_f64 v[42:43], v[30:31], v[36:37]
	v_fma_f64 v[44:45], v[20:21], v[9:10], -v[48:49]
	v_fma_f64 v[46:47], v[22:23], v[9:10], v[11:12]
	v_fma_f64 v[30:31], v[30:31], v[34:35], -v[40:41]
	v_add_f64 v[1:2], v[1:2], v[24:25]
	v_add_f64 v[28:29], v[28:29], v[26:27]
	ds_load_b128 v[9:12], v16 offset:2048
	ds_load_b128 v[20:23], v18 offset:128
	;; [unrolled: 1-line block ×4, first 2 shown]
	v_fma_f64 v[32:33], v[32:33], v[34:35], v[42:43]
	s_waitcnt lgkmcnt(2)
	v_mul_f64 v[48:49], v[22:23], v[11:12]
	v_mul_f64 v[11:12], v[20:21], v[11:12]
	s_waitcnt lgkmcnt(0)
	v_mul_f64 v[40:41], v[26:27], v[38:39]
	v_mul_f64 v[38:39], v[24:25], v[38:39]
	v_add_f64 v[1:2], v[1:2], v[44:45]
	v_add_f64 v[28:29], v[28:29], v[46:47]
	v_fma_f64 v[42:43], v[20:21], v[9:10], -v[48:49]
	v_fma_f64 v[44:45], v[22:23], v[9:10], v[11:12]
	v_fma_f64 v[24:25], v[24:25], v[36:37], -v[40:41]
	v_fma_f64 v[26:27], v[26:27], v[36:37], v[38:39]
	v_add_f64 v[1:2], v[1:2], v[30:31]
	v_add_f64 v[46:47], v[28:29], v[32:33]
	ds_load_b128 v[9:12], v16 offset:2560
	ds_load_b128 v[20:23], v18 offset:160
	;; [unrolled: 1-line block ×4, first 2 shown]
	s_waitcnt lgkmcnt(2)
	v_mul_f64 v[48:49], v[22:23], v[11:12]
	v_mul_f64 v[11:12], v[20:21], v[11:12]
	s_waitcnt lgkmcnt(0)
	v_mul_f64 v[38:39], v[30:31], v[34:35]
	v_mul_f64 v[40:41], v[28:29], v[34:35]
	v_add_f64 v[1:2], v[1:2], v[42:43]
	v_add_f64 v[36:37], v[46:47], v[44:45]
	v_fma_f64 v[42:43], v[20:21], v[9:10], -v[48:49]
	v_fma_f64 v[44:45], v[22:23], v[9:10], v[11:12]
	v_fma_f64 v[28:29], v[28:29], v[32:33], -v[38:39]
	v_fma_f64 v[30:31], v[30:31], v[32:33], v[40:41]
	v_add_f64 v[1:2], v[1:2], v[24:25]
	v_add_f64 v[46:47], v[36:37], v[26:27]
	ds_load_b128 v[9:12], v16 offset:3072
	ds_load_b128 v[20:23], v18 offset:192
	;; [unrolled: 1-line block ×4, first 2 shown]
	s_waitcnt lgkmcnt(2)
	v_mul_f64 v[48:49], v[22:23], v[11:12]
	v_mul_f64 v[11:12], v[20:21], v[11:12]
	s_waitcnt lgkmcnt(0)
	v_mul_f64 v[40:41], v[26:27], v[36:37]
	v_add_f64 v[1:2], v[1:2], v[42:43]
	v_add_f64 v[32:33], v[46:47], v[44:45]
	v_mul_f64 v[42:43], v[24:25], v[36:37]
	v_fma_f64 v[44:45], v[20:21], v[9:10], -v[48:49]
	v_fma_f64 v[46:47], v[22:23], v[9:10], v[11:12]
	v_fma_f64 v[24:25], v[24:25], v[34:35], -v[40:41]
	v_add_f64 v[1:2], v[1:2], v[28:29]
	v_add_f64 v[32:33], v[32:33], v[30:31]
	ds_load_b128 v[9:12], v16 offset:3584
	ds_load_b128 v[20:23], v18 offset:224
	;; [unrolled: 1-line block ×4, first 2 shown]
	v_fma_f64 v[26:27], v[26:27], v[34:35], v[42:43]
	s_waitcnt lgkmcnt(0)
	s_barrier
	buffer_gl0_inv
	v_mul_f64 v[48:49], v[22:23], v[11:12]
	v_mul_f64 v[11:12], v[20:21], v[11:12]
	;; [unrolled: 1-line block ×4, first 2 shown]
	v_add_f64 v[1:2], v[1:2], v[44:45]
	v_add_f64 v[32:33], v[32:33], v[46:47]
	v_fma_f64 v[20:21], v[20:21], v[9:10], -v[48:49]
	v_fma_f64 v[9:10], v[22:23], v[9:10], v[11:12]
	v_fma_f64 v[22:23], v[28:29], v[36:37], -v[34:35]
	v_add_f64 v[1:2], v[1:2], v[24:25]
	v_add_f64 v[11:12], v[32:33], v[26:27]
	v_fma_f64 v[24:25], v[30:31], v[36:37], v[38:39]
	s_delay_alu instid0(VALU_DEP_3) | instskip(NEXT) | instid1(VALU_DEP_3)
	v_add_f64 v[1:2], v[1:2], v[20:21]
	v_add_f64 v[9:10], v[11:12], v[9:10]
	s_delay_alu instid0(VALU_DEP_2) | instskip(NEXT) | instid1(VALU_DEP_2)
	v_add_f64 v[11:12], v[1:2], v[22:23]
	v_add_f64 v[9:10], v[9:10], v[24:25]
	s_cbranch_scc1 .LBB441_11
.LBB441_3:                              ; =>This Inner Loop Header: Depth=1
	v_add_nc_u32_e32 v1, s12, v15
	s_delay_alu instid0(VALU_DEP_1) | instskip(SKIP_1) | instid1(SALU_CYCLE_1)
	v_cmp_le_i32_e32 vcc_lo, s25, v1
	s_or_b32 s4, s3, vcc_lo
	s_and_saveexec_b32 s5, s4
	s_delay_alu instid0(SALU_CYCLE_1)
	s_xor_b32 s4, exec_lo, s5
	s_cbranch_execz .LBB441_5
; %bb.4:                                ;   in Loop: Header=BB441_3 Depth=1
	v_mov_b32_e32 v1, v0
	v_mov_b32_e32 v2, v0
	;; [unrolled: 1-line block ×3, first 2 shown]
	ds_store_b128 v17, v[0:3]
.LBB441_5:                              ;   in Loop: Header=BB441_3 Depth=1
	s_and_not1_saveexec_b32 s4, s4
	s_cbranch_execz .LBB441_7
; %bb.6:                                ;   in Loop: Header=BB441_3 Depth=1
	global_load_b128 v[20:23], v[7:8], off
	s_waitcnt vmcnt(0)
	ds_store_2addr_b64 v17, v[20:21], v[22:23] offset1:1
.LBB441_7:                              ;   in Loop: Header=BB441_3 Depth=1
	s_or_b32 exec_lo, exec_lo, s4
	v_add_nc_u32_e32 v1, s12, v14
	s_delay_alu instid0(VALU_DEP_1) | instskip(SKIP_1) | instid1(SALU_CYCLE_1)
	v_cmp_le_i32_e32 vcc_lo, s25, v1
	s_or_b32 s4, s2, vcc_lo
	s_and_saveexec_b32 s5, s4
	s_delay_alu instid0(SALU_CYCLE_1)
	s_xor_b32 s4, exec_lo, s5
	s_cbranch_execz .LBB441_9
; %bb.8:                                ;   in Loop: Header=BB441_3 Depth=1
	v_mov_b32_e32 v1, v0
	v_mov_b32_e32 v2, v0
	;; [unrolled: 1-line block ×3, first 2 shown]
	ds_store_b128 v19, v[0:3]
.LBB441_9:                              ;   in Loop: Header=BB441_3 Depth=1
	s_and_not1_saveexec_b32 s4, s4
	s_cbranch_execz .LBB441_2
; %bb.10:                               ;   in Loop: Header=BB441_3 Depth=1
	global_load_b128 v[20:23], v[5:6], off
	s_waitcnt vmcnt(0)
	ds_store_2addr_b64 v19, v[20:21], v[22:23] offset1:1
	s_branch .LBB441_2
.LBB441_11:
	v_cmp_le_i32_e32 vcc_lo, v13, v4
	v_cmp_gt_i32_e64 s2, s24, v4
	s_delay_alu instid0(VALU_DEP_1) | instskip(NEXT) | instid1(SALU_CYCLE_1)
	s_and_b32 s2, vcc_lo, s2
	s_and_saveexec_b32 s3, s2
	s_cbranch_execz .LBB441_13
; %bb.12:
	s_clause 0x1
	s_load_b32 s2, s[0:1], 0x60
	s_load_b64 s[0:1], s[0:1], 0x68
	v_ashrrev_i32_e32 v5, 31, v4
	s_delay_alu instid0(VALU_DEP_4) | instskip(SKIP_1) | instid1(VALU_DEP_3)
	v_mul_f64 v[7:8], s[16:17], v[9:10]
	v_mul_f64 v[9:10], s[18:19], v[9:10]
	v_lshlrev_b64 v[2:3], 4, v[4:5]
	s_waitcnt lgkmcnt(0)
	v_mad_i64_i32 v[0:1], null, s2, v13, 0
	s_mul_i32 s1, s15, s1
	s_mul_hi_u32 s2, s15, s0
	s_mul_i32 s0, s15, s0
	s_add_i32 s1, s2, s1
	s_delay_alu instid0(SALU_CYCLE_1) | instskip(NEXT) | instid1(VALU_DEP_1)
	s_lshl_b64 s[0:1], s[0:1], 4
	v_lshlrev_b64 v[0:1], 4, v[0:1]
	s_add_u32 s0, s10, s0
	s_addc_u32 s1, s11, s1
	s_delay_alu instid0(VALU_DEP_1) | instskip(NEXT) | instid1(VALU_DEP_2)
	v_add_co_u32 v0, vcc_lo, s0, v0
	v_add_co_ci_u32_e32 v1, vcc_lo, s1, v1, vcc_lo
	s_delay_alu instid0(VALU_DEP_2) | instskip(NEXT) | instid1(VALU_DEP_2)
	v_add_co_u32 v5, vcc_lo, v0, v2
	v_add_co_ci_u32_e32 v6, vcc_lo, v1, v3, vcc_lo
	v_fma_f64 v[7:8], s[18:19], v[11:12], v[7:8]
	v_fma_f64 v[9:10], s[16:17], v[11:12], -v[9:10]
	v_cmp_ne_u32_e32 vcc_lo, v4, v13
	global_load_b128 v[0:3], v[5:6], off
	s_waitcnt vmcnt(0)
	v_mul_f64 v[14:15], s[6:7], v[2:3]
	v_mul_f64 v[2:3], s[8:9], v[2:3]
	s_delay_alu instid0(VALU_DEP_2) | instskip(NEXT) | instid1(VALU_DEP_2)
	v_fma_f64 v[14:15], s[8:9], v[0:1], v[14:15]
	v_fma_f64 v[0:1], s[6:7], v[0:1], -v[2:3]
	s_delay_alu instid0(VALU_DEP_2) | instskip(NEXT) | instid1(VALU_DEP_2)
	v_add_f64 v[2:3], v[7:8], v[14:15]
	v_add_f64 v[0:1], v[9:10], v[0:1]
	s_delay_alu instid0(VALU_DEP_2)
	v_dual_cndmask_b32 v3, 0, v3 :: v_dual_cndmask_b32 v2, 0, v2
	global_store_b128 v[5:6], v[0:3], off
.LBB441_13:
	s_nop 0
	s_sendmsg sendmsg(MSG_DEALLOC_VGPRS)
	s_endpgm
	.section	.rodata,"a",@progbits
	.p2align	6, 0x0
	.amdhsa_kernel _ZL32rocblas_syrkx_herkx_small_kernelIi19rocblas_complex_numIdELi16ELb0ELb1ELc84ELc76EKS1_S1_EviT_T0_PT6_S3_lS6_S3_lS4_PT7_S3_li
		.amdhsa_group_segment_fixed_size 8192
		.amdhsa_private_segment_fixed_size 0
		.amdhsa_kernarg_size 116
		.amdhsa_user_sgpr_count 13
		.amdhsa_user_sgpr_dispatch_ptr 0
		.amdhsa_user_sgpr_queue_ptr 0
		.amdhsa_user_sgpr_kernarg_segment_ptr 1
		.amdhsa_user_sgpr_dispatch_id 0
		.amdhsa_user_sgpr_private_segment_size 0
		.amdhsa_wavefront_size32 1
		.amdhsa_uses_dynamic_stack 0
		.amdhsa_enable_private_segment 0
		.amdhsa_system_sgpr_workgroup_id_x 1
		.amdhsa_system_sgpr_workgroup_id_y 1
		.amdhsa_system_sgpr_workgroup_id_z 1
		.amdhsa_system_sgpr_workgroup_info 0
		.amdhsa_system_vgpr_workitem_id 1
		.amdhsa_next_free_vgpr 50
		.amdhsa_next_free_sgpr 28
		.amdhsa_reserve_vcc 1
		.amdhsa_float_round_mode_32 0
		.amdhsa_float_round_mode_16_64 0
		.amdhsa_float_denorm_mode_32 3
		.amdhsa_float_denorm_mode_16_64 3
		.amdhsa_dx10_clamp 1
		.amdhsa_ieee_mode 1
		.amdhsa_fp16_overflow 0
		.amdhsa_workgroup_processor_mode 1
		.amdhsa_memory_ordered 1
		.amdhsa_forward_progress 0
		.amdhsa_shared_vgpr_count 0
		.amdhsa_exception_fp_ieee_invalid_op 0
		.amdhsa_exception_fp_denorm_src 0
		.amdhsa_exception_fp_ieee_div_zero 0
		.amdhsa_exception_fp_ieee_overflow 0
		.amdhsa_exception_fp_ieee_underflow 0
		.amdhsa_exception_fp_ieee_inexact 0
		.amdhsa_exception_int_div_zero 0
	.end_amdhsa_kernel
	.section	.text._ZL32rocblas_syrkx_herkx_small_kernelIi19rocblas_complex_numIdELi16ELb0ELb1ELc84ELc76EKS1_S1_EviT_T0_PT6_S3_lS6_S3_lS4_PT7_S3_li,"axG",@progbits,_ZL32rocblas_syrkx_herkx_small_kernelIi19rocblas_complex_numIdELi16ELb0ELb1ELc84ELc76EKS1_S1_EviT_T0_PT6_S3_lS6_S3_lS4_PT7_S3_li,comdat
.Lfunc_end441:
	.size	_ZL32rocblas_syrkx_herkx_small_kernelIi19rocblas_complex_numIdELi16ELb0ELb1ELc84ELc76EKS1_S1_EviT_T0_PT6_S3_lS6_S3_lS4_PT7_S3_li, .Lfunc_end441-_ZL32rocblas_syrkx_herkx_small_kernelIi19rocblas_complex_numIdELi16ELb0ELb1ELc84ELc76EKS1_S1_EviT_T0_PT6_S3_lS6_S3_lS4_PT7_S3_li
                                        ; -- End function
	.section	.AMDGPU.csdata,"",@progbits
; Kernel info:
; codeLenInByte = 2036
; NumSgprs: 30
; NumVgprs: 50
; ScratchSize: 0
; MemoryBound: 0
; FloatMode: 240
; IeeeMode: 1
; LDSByteSize: 8192 bytes/workgroup (compile time only)
; SGPRBlocks: 3
; VGPRBlocks: 6
; NumSGPRsForWavesPerEU: 30
; NumVGPRsForWavesPerEU: 50
; Occupancy: 16
; WaveLimiterHint : 0
; COMPUTE_PGM_RSRC2:SCRATCH_EN: 0
; COMPUTE_PGM_RSRC2:USER_SGPR: 13
; COMPUTE_PGM_RSRC2:TRAP_HANDLER: 0
; COMPUTE_PGM_RSRC2:TGID_X_EN: 1
; COMPUTE_PGM_RSRC2:TGID_Y_EN: 1
; COMPUTE_PGM_RSRC2:TGID_Z_EN: 1
; COMPUTE_PGM_RSRC2:TIDIG_COMP_CNT: 1
	.section	.text._ZL32rocblas_syrkx_herkx_small_kernelIi19rocblas_complex_numIdELi16ELb0ELb1ELc67ELc76EKS1_S1_EviT_T0_PT6_S3_lS6_S3_lS4_PT7_S3_li,"axG",@progbits,_ZL32rocblas_syrkx_herkx_small_kernelIi19rocblas_complex_numIdELi16ELb0ELb1ELc67ELc76EKS1_S1_EviT_T0_PT6_S3_lS6_S3_lS4_PT7_S3_li,comdat
	.globl	_ZL32rocblas_syrkx_herkx_small_kernelIi19rocblas_complex_numIdELi16ELb0ELb1ELc67ELc76EKS1_S1_EviT_T0_PT6_S3_lS6_S3_lS4_PT7_S3_li ; -- Begin function _ZL32rocblas_syrkx_herkx_small_kernelIi19rocblas_complex_numIdELi16ELb0ELb1ELc67ELc76EKS1_S1_EviT_T0_PT6_S3_lS6_S3_lS4_PT7_S3_li
	.p2align	8
	.type	_ZL32rocblas_syrkx_herkx_small_kernelIi19rocblas_complex_numIdELi16ELb0ELb1ELc67ELc76EKS1_S1_EviT_T0_PT6_S3_lS6_S3_lS4_PT7_S3_li,@function
_ZL32rocblas_syrkx_herkx_small_kernelIi19rocblas_complex_numIdELi16ELb0ELb1ELc67ELc76EKS1_S1_EviT_T0_PT6_S3_lS6_S3_lS4_PT7_S3_li: ; @_ZL32rocblas_syrkx_herkx_small_kernelIi19rocblas_complex_numIdELi16ELb0ELb1ELc67ELc76EKS1_S1_EviT_T0_PT6_S3_lS6_S3_lS4_PT7_S3_li
; %bb.0:
	s_clause 0x3
	s_load_b64 s[24:25], s[0:1], 0x0
	s_load_b128 s[16:19], s[0:1], 0x8
	s_load_b64 s[26:27], s[0:1], 0x18
	s_load_b256 s[4:11], s[0:1], 0x40
	v_dual_mov_b32 v12, 0 :: v_dual_and_b32 v17, 0x3ff, v0
	v_mov_b32_e32 v13, 0
	v_bfe_u32 v18, v0, 10, 10
	s_mov_b32 s12, 0
	s_delay_alu instid0(VALU_DEP_3) | instskip(NEXT) | instid1(VALU_DEP_3)
	v_lshl_add_u32 v5, s13, 4, v17
	v_dual_mov_b32 v15, v13 :: v_dual_mov_b32 v14, v12
	s_delay_alu instid0(VALU_DEP_3) | instskip(SKIP_1) | instid1(VALU_DEP_3)
	v_lshl_add_u32 v16, s14, 4, v18
	s_waitcnt lgkmcnt(0)
	v_cmp_gt_i32_e32 vcc_lo, s24, v5
	s_cmp_lt_i32 s25, 1
	s_cbranch_scc1 .LBB442_9
; %bb.1:
	s_clause 0x2
	s_load_b32 s3, s[0:1], 0x38
	s_load_b32 s13, s[0:1], 0x20
	s_load_b128 s[20:23], s[0:1], 0x28
	v_lshlrev_b32_e32 v2, 8, v18
	v_dual_mov_b32 v8, 0 :: v_dual_lshlrev_b32 v19, 4, v17
	v_mov_b32_e32 v9, 0
	s_mul_i32 s5, s5, s15
	s_delay_alu instid0(VALU_DEP_3) | instskip(NEXT) | instid1(VALU_DEP_3)
	v_add_nc_u32_e32 v21, 0x1000, v2
	v_add_nc_u32_e32 v20, v19, v2
	s_mul_hi_u32 s14, s4, s15
	v_mov_b32_e32 v15, v9
	s_mul_i32 s4, s4, s15
	s_add_i32 s5, s14, s5
	v_dual_mov_b32 v13, v9 :: v_dual_lshlrev_b32 v4, 4, v18
	s_lshl_b64 s[4:5], s[4:5], 4
	v_cmp_gt_i32_e64 s2, s24, v16
	v_mov_b32_e32 v12, v8
	v_mov_b32_e32 v14, v8
	s_waitcnt lgkmcnt(0)
	v_mad_i64_i32 v[0:1], null, s3, v16, 0
	v_mad_i64_i32 v[2:3], null, s13, v5, 0
	s_mul_i32 s3, s21, s15
	s_mul_hi_u32 s13, s20, s15
	s_mul_i32 s20, s20, s15
	s_add_i32 s21, s13, s3
	s_delay_alu instid0(VALU_DEP_2) | instskip(SKIP_1) | instid1(VALU_DEP_2)
	v_lshlrev_b64 v[0:1], 4, v[0:1]
	s_lshl_b64 s[20:21], s[20:21], 4
	v_lshlrev_b64 v[2:3], 4, v[2:3]
	s_delay_alu instid0(VALU_DEP_2) | instskip(NEXT) | instid1(VALU_DEP_1)
	v_add_co_u32 v0, s3, v0, s4
	v_add_co_ci_u32_e64 v1, s3, s5, v1, s3
	s_delay_alu instid0(VALU_DEP_3) | instskip(NEXT) | instid1(VALU_DEP_1)
	v_add_co_u32 v2, s3, v2, s20
	v_add_co_ci_u32_e64 v3, s3, s21, v3, s3
	s_delay_alu instid0(VALU_DEP_4) | instskip(NEXT) | instid1(VALU_DEP_1)
	v_add_co_u32 v0, s3, v0, v19
	v_add_co_ci_u32_e64 v1, s3, 0, v1, s3
	s_delay_alu instid0(VALU_DEP_4) | instskip(NEXT) | instid1(VALU_DEP_1)
	v_add_co_u32 v2, s3, v2, v4
	v_add_co_ci_u32_e64 v3, s3, 0, v3, s3
	s_delay_alu instid0(VALU_DEP_4) | instskip(NEXT) | instid1(VALU_DEP_1)
	v_add_co_u32 v6, s3, s22, v0
	v_add_co_ci_u32_e64 v7, s3, s23, v1, s3
	s_delay_alu instid0(VALU_DEP_4) | instskip(NEXT) | instid1(VALU_DEP_1)
	v_add_co_u32 v0, s3, v2, s26
	v_add_co_ci_u32_e64 v1, s3, s27, v3, s3
	s_delay_alu instid0(VALU_DEP_2) | instskip(NEXT) | instid1(VALU_DEP_1)
	v_add_co_u32 v10, s3, v0, 8
	v_add_co_ci_u32_e64 v11, s3, 0, v1, s3
	v_mov_b32_e32 v0, 0
	v_add_nc_u32_e32 v22, v21, v19
	s_xor_b32 s3, s2, -1
	s_branch .LBB442_3
.LBB442_2:                              ;   in Loop: Header=BB442_3 Depth=1
	s_or_b32 exec_lo, exec_lo, s2
	s_waitcnt lgkmcnt(0)
	s_barrier
	buffer_gl0_inv
	ds_load_b128 v[1:4], v19
	ds_load_b128 v[23:26], v21
	ds_load_b128 v[27:30], v21 offset:16
	ds_load_b128 v[31:34], v19 offset:256
	v_add_co_u32 v6, s2, 0x100, v6
	s_delay_alu instid0(VALU_DEP_1) | instskip(SKIP_1) | instid1(VALU_DEP_1)
	v_add_co_ci_u32_e64 v7, s2, 0, v7, s2
	v_add_co_u32 v10, s2, 0x100, v10
	v_add_co_ci_u32_e64 v11, s2, 0, v11, s2
	s_add_i32 s12, s12, 16
	s_delay_alu instid0(SALU_CYCLE_1)
	s_cmp_ge_i32 s12, s25
	s_waitcnt lgkmcnt(2)
	v_mul_f64 v[35:36], v[25:26], v[3:4]
	v_mul_f64 v[3:4], v[23:24], v[3:4]
	s_waitcnt lgkmcnt(0)
	v_mul_f64 v[41:42], v[29:30], v[33:34]
	v_mul_f64 v[43:44], v[27:28], v[33:34]
	s_delay_alu instid0(VALU_DEP_4) | instskip(NEXT) | instid1(VALU_DEP_4)
	v_fma_f64 v[45:46], v[23:24], v[1:2], -v[35:36]
	v_fma_f64 v[47:48], v[25:26], v[1:2], v[3:4]
	ds_load_b128 v[1:4], v19 offset:512
	ds_load_b128 v[23:26], v21 offset:32
	;; [unrolled: 1-line block ×4, first 2 shown]
	v_fma_f64 v[27:28], v[27:28], v[31:32], -v[41:42]
	v_fma_f64 v[29:30], v[29:30], v[31:32], v[43:44]
	s_waitcnt lgkmcnt(2)
	v_mul_f64 v[49:50], v[25:26], v[3:4]
	v_mul_f64 v[3:4], v[23:24], v[3:4]
	s_waitcnt lgkmcnt(0)
	v_mul_f64 v[31:32], v[35:36], v[39:40]
	v_mul_f64 v[39:40], v[33:34], v[39:40]
	v_add_f64 v[14:15], v[14:15], v[45:46]
	v_add_f64 v[12:13], v[12:13], v[47:48]
	v_fma_f64 v[41:42], v[23:24], v[1:2], -v[49:50]
	v_fma_f64 v[43:44], v[25:26], v[1:2], v[3:4]
	v_fma_f64 v[31:32], v[33:34], v[37:38], -v[31:32]
	v_fma_f64 v[33:34], v[35:36], v[37:38], v[39:40]
	v_add_f64 v[45:46], v[14:15], v[27:28]
	v_add_f64 v[47:48], v[12:13], v[29:30]
	ds_load_b128 v[1:4], v19 offset:1024
	ds_load_b128 v[12:15], v21 offset:64
	;; [unrolled: 1-line block ×4, first 2 shown]
	s_waitcnt lgkmcnt(2)
	v_mul_f64 v[49:50], v[14:15], v[3:4]
	v_mul_f64 v[3:4], v[12:13], v[3:4]
	s_waitcnt lgkmcnt(0)
	v_mul_f64 v[39:40], v[25:26], v[29:30]
	v_add_f64 v[35:36], v[45:46], v[41:42]
	v_add_f64 v[37:38], v[47:48], v[43:44]
	v_mul_f64 v[41:42], v[23:24], v[29:30]
	v_fma_f64 v[43:44], v[12:13], v[1:2], -v[49:50]
	v_fma_f64 v[45:46], v[14:15], v[1:2], v[3:4]
	v_fma_f64 v[23:24], v[23:24], v[27:28], -v[39:40]
	v_add_f64 v[47:48], v[35:36], v[31:32]
	v_add_f64 v[37:38], v[37:38], v[33:34]
	ds_load_b128 v[1:4], v19 offset:1536
	ds_load_b128 v[12:15], v21 offset:96
	;; [unrolled: 1-line block ×4, first 2 shown]
	v_fma_f64 v[25:26], v[25:26], v[27:28], v[41:42]
	s_waitcnt lgkmcnt(2)
	v_mul_f64 v[49:50], v[14:15], v[3:4]
	v_mul_f64 v[3:4], v[12:13], v[3:4]
	s_waitcnt lgkmcnt(0)
	v_mul_f64 v[39:40], v[31:32], v[35:36]
	v_mul_f64 v[41:42], v[29:30], v[35:36]
	v_add_f64 v[27:28], v[47:48], v[43:44]
	v_add_f64 v[37:38], v[37:38], v[45:46]
	v_fma_f64 v[43:44], v[12:13], v[1:2], -v[49:50]
	v_fma_f64 v[45:46], v[14:15], v[1:2], v[3:4]
	v_fma_f64 v[29:30], v[29:30], v[33:34], -v[39:40]
	v_fma_f64 v[31:32], v[31:32], v[33:34], v[41:42]
	v_add_f64 v[27:28], v[27:28], v[23:24]
	v_add_f64 v[47:48], v[37:38], v[25:26]
	ds_load_b128 v[1:4], v19 offset:2048
	ds_load_b128 v[12:15], v21 offset:128
	;; [unrolled: 1-line block ×4, first 2 shown]
	s_waitcnt lgkmcnt(2)
	v_mul_f64 v[49:50], v[14:15], v[3:4]
	v_mul_f64 v[3:4], v[12:13], v[3:4]
	s_waitcnt lgkmcnt(0)
	v_mul_f64 v[39:40], v[25:26], v[37:38]
	v_mul_f64 v[37:38], v[23:24], v[37:38]
	v_add_f64 v[27:28], v[27:28], v[43:44]
	v_add_f64 v[33:34], v[47:48], v[45:46]
	v_fma_f64 v[41:42], v[12:13], v[1:2], -v[49:50]
	v_fma_f64 v[43:44], v[14:15], v[1:2], v[3:4]
	v_fma_f64 v[23:24], v[23:24], v[35:36], -v[39:40]
	v_fma_f64 v[25:26], v[25:26], v[35:36], v[37:38]
	v_add_f64 v[45:46], v[27:28], v[29:30]
	v_add_f64 v[47:48], v[33:34], v[31:32]
	ds_load_b128 v[1:4], v19 offset:2560
	ds_load_b128 v[12:15], v21 offset:160
	;; [unrolled: 1-line block ×4, first 2 shown]
	s_waitcnt lgkmcnt(2)
	v_mul_f64 v[49:50], v[14:15], v[3:4]
	v_mul_f64 v[3:4], v[12:13], v[3:4]
	s_waitcnt lgkmcnt(0)
	v_mul_f64 v[39:40], v[29:30], v[33:34]
	v_add_f64 v[35:36], v[45:46], v[41:42]
	v_add_f64 v[37:38], v[47:48], v[43:44]
	v_mul_f64 v[41:42], v[27:28], v[33:34]
	v_fma_f64 v[43:44], v[12:13], v[1:2], -v[49:50]
	v_fma_f64 v[45:46], v[14:15], v[1:2], v[3:4]
	v_fma_f64 v[27:28], v[27:28], v[31:32], -v[39:40]
	v_add_f64 v[47:48], v[35:36], v[23:24]
	v_add_f64 v[37:38], v[37:38], v[25:26]
	ds_load_b128 v[1:4], v19 offset:3072
	ds_load_b128 v[12:15], v21 offset:192
	;; [unrolled: 1-line block ×4, first 2 shown]
	v_fma_f64 v[29:30], v[29:30], v[31:32], v[41:42]
	s_waitcnt lgkmcnt(2)
	v_mul_f64 v[49:50], v[14:15], v[3:4]
	v_mul_f64 v[3:4], v[12:13], v[3:4]
	s_waitcnt lgkmcnt(0)
	v_mul_f64 v[39:40], v[25:26], v[35:36]
	v_mul_f64 v[41:42], v[23:24], v[35:36]
	v_add_f64 v[31:32], v[47:48], v[43:44]
	v_add_f64 v[37:38], v[37:38], v[45:46]
	v_fma_f64 v[43:44], v[12:13], v[1:2], -v[49:50]
	v_fma_f64 v[45:46], v[14:15], v[1:2], v[3:4]
	v_fma_f64 v[23:24], v[23:24], v[33:34], -v[39:40]
	v_fma_f64 v[25:26], v[25:26], v[33:34], v[41:42]
	v_add_f64 v[31:32], v[31:32], v[27:28]
	v_add_f64 v[47:48], v[37:38], v[29:30]
	ds_load_b128 v[1:4], v19 offset:3584
	ds_load_b128 v[12:15], v21 offset:224
	;; [unrolled: 1-line block ×4, first 2 shown]
	s_waitcnt lgkmcnt(0)
	s_barrier
	buffer_gl0_inv
	v_mul_f64 v[49:50], v[14:15], v[3:4]
	v_mul_f64 v[3:4], v[12:13], v[3:4]
	;; [unrolled: 1-line block ×4, first 2 shown]
	v_add_f64 v[31:32], v[31:32], v[43:44]
	v_add_f64 v[33:34], v[47:48], v[45:46]
	v_fma_f64 v[12:13], v[12:13], v[1:2], -v[49:50]
	v_fma_f64 v[1:2], v[14:15], v[1:2], v[3:4]
	s_delay_alu instid0(VALU_DEP_4) | instskip(NEXT) | instid1(VALU_DEP_4)
	v_add_f64 v[3:4], v[31:32], v[23:24]
	v_add_f64 v[14:15], v[33:34], v[25:26]
	v_fma_f64 v[23:24], v[27:28], v[35:36], -v[39:40]
	v_fma_f64 v[25:26], v[29:30], v[35:36], v[37:38]
	s_delay_alu instid0(VALU_DEP_4) | instskip(NEXT) | instid1(VALU_DEP_4)
	v_add_f64 v[3:4], v[3:4], v[12:13]
	v_add_f64 v[1:2], v[14:15], v[1:2]
	s_delay_alu instid0(VALU_DEP_2) | instskip(NEXT) | instid1(VALU_DEP_2)
	v_add_f64 v[14:15], v[3:4], v[23:24]
	v_add_f64 v[12:13], v[1:2], v[25:26]
	s_cbranch_scc1 .LBB442_9
.LBB442_3:                              ; =>This Inner Loop Header: Depth=1
	v_add_nc_u32_e32 v1, s12, v18
	v_dual_mov_b32 v3, v8 :: v_dual_mov_b32 v4, v9
	s_delay_alu instid0(VALU_DEP_2) | instskip(SKIP_1) | instid1(VALU_DEP_2)
	v_cmp_gt_i32_e64 s2, s25, v1
	v_dual_mov_b32 v1, v8 :: v_dual_mov_b32 v2, v9
	s_and_b32 s4, vcc_lo, s2
	s_delay_alu instid0(SALU_CYCLE_1)
	s_and_saveexec_b32 s2, s4
	s_cbranch_execz .LBB442_5
; %bb.4:                                ;   in Loop: Header=BB442_3 Depth=1
	global_load_b128 v[1:4], v[10:11], off offset:-8
	s_waitcnt vmcnt(0)
	v_xor_b32_e32 v4, 0x80000000, v4
.LBB442_5:                              ;   in Loop: Header=BB442_3 Depth=1
	s_or_b32 exec_lo, exec_lo, s2
	v_add_nc_u32_e32 v23, s12, v17
	ds_store_b128 v20, v[1:4]
	v_cmp_le_i32_e64 s2, s25, v23
	s_delay_alu instid0(VALU_DEP_1) | instskip(NEXT) | instid1(SALU_CYCLE_1)
	s_or_b32 s2, s3, s2
	s_and_saveexec_b32 s4, s2
	s_delay_alu instid0(SALU_CYCLE_1)
	s_xor_b32 s2, exec_lo, s4
	s_cbranch_execz .LBB442_7
; %bb.6:                                ;   in Loop: Header=BB442_3 Depth=1
	v_mov_b32_e32 v1, v0
	v_mov_b32_e32 v2, v0
	;; [unrolled: 1-line block ×3, first 2 shown]
	ds_store_b128 v22, v[0:3]
.LBB442_7:                              ;   in Loop: Header=BB442_3 Depth=1
	s_and_not1_saveexec_b32 s2, s2
	s_cbranch_execz .LBB442_2
; %bb.8:                                ;   in Loop: Header=BB442_3 Depth=1
	global_load_b128 v[1:4], v[6:7], off
	s_waitcnt vmcnt(0)
	ds_store_2addr_b64 v22, v[1:2], v[3:4] offset1:1
	s_branch .LBB442_2
.LBB442_9:
	v_cmp_le_i32_e32 vcc_lo, v16, v5
	v_cmp_gt_i32_e64 s2, s24, v5
	s_delay_alu instid0(VALU_DEP_1) | instskip(NEXT) | instid1(SALU_CYCLE_1)
	s_and_b32 s2, vcc_lo, s2
	s_and_saveexec_b32 s3, s2
	s_cbranch_execz .LBB442_11
; %bb.10:
	s_clause 0x1
	s_load_b32 s2, s[0:1], 0x60
	s_load_b64 s[0:1], s[0:1], 0x68
	v_ashrrev_i32_e32 v6, 31, v5
	s_delay_alu instid0(VALU_DEP_4) | instskip(SKIP_1) | instid1(VALU_DEP_3)
	v_mul_f64 v[8:9], s[16:17], v[12:13]
	v_mul_f64 v[12:13], s[18:19], v[12:13]
	v_lshlrev_b64 v[2:3], 4, v[5:6]
	s_waitcnt lgkmcnt(0)
	v_mad_i64_i32 v[0:1], null, s2, v16, 0
	s_mul_i32 s1, s15, s1
	s_mul_hi_u32 s2, s15, s0
	s_mul_i32 s0, s15, s0
	s_add_i32 s1, s2, s1
	s_delay_alu instid0(SALU_CYCLE_1) | instskip(NEXT) | instid1(VALU_DEP_1)
	s_lshl_b64 s[0:1], s[0:1], 4
	v_lshlrev_b64 v[0:1], 4, v[0:1]
	s_add_u32 s0, s10, s0
	s_addc_u32 s1, s11, s1
	s_delay_alu instid0(VALU_DEP_1) | instskip(NEXT) | instid1(VALU_DEP_2)
	v_add_co_u32 v0, vcc_lo, s0, v0
	v_add_co_ci_u32_e32 v1, vcc_lo, s1, v1, vcc_lo
	s_delay_alu instid0(VALU_DEP_2) | instskip(NEXT) | instid1(VALU_DEP_2)
	v_add_co_u32 v6, vcc_lo, v0, v2
	v_add_co_ci_u32_e32 v7, vcc_lo, v1, v3, vcc_lo
	v_fma_f64 v[8:9], s[18:19], v[14:15], v[8:9]
	v_fma_f64 v[12:13], s[16:17], v[14:15], -v[12:13]
	v_cmp_ne_u32_e32 vcc_lo, v5, v16
	global_load_b128 v[0:3], v[6:7], off
	s_waitcnt vmcnt(0)
	v_mul_f64 v[10:11], s[6:7], v[2:3]
	v_mul_f64 v[2:3], s[8:9], v[2:3]
	s_delay_alu instid0(VALU_DEP_2) | instskip(NEXT) | instid1(VALU_DEP_2)
	v_fma_f64 v[10:11], s[8:9], v[0:1], v[10:11]
	v_fma_f64 v[0:1], s[6:7], v[0:1], -v[2:3]
	s_delay_alu instid0(VALU_DEP_2) | instskip(NEXT) | instid1(VALU_DEP_2)
	v_add_f64 v[2:3], v[8:9], v[10:11]
	v_add_f64 v[0:1], v[12:13], v[0:1]
	s_delay_alu instid0(VALU_DEP_2)
	v_dual_cndmask_b32 v3, 0, v3 :: v_dual_cndmask_b32 v2, 0, v2
	global_store_b128 v[6:7], v[0:3], off
.LBB442_11:
	s_nop 0
	s_sendmsg sendmsg(MSG_DEALLOC_VGPRS)
	s_endpgm
	.section	.rodata,"a",@progbits
	.p2align	6, 0x0
	.amdhsa_kernel _ZL32rocblas_syrkx_herkx_small_kernelIi19rocblas_complex_numIdELi16ELb0ELb1ELc67ELc76EKS1_S1_EviT_T0_PT6_S3_lS6_S3_lS4_PT7_S3_li
		.amdhsa_group_segment_fixed_size 8192
		.amdhsa_private_segment_fixed_size 0
		.amdhsa_kernarg_size 116
		.amdhsa_user_sgpr_count 13
		.amdhsa_user_sgpr_dispatch_ptr 0
		.amdhsa_user_sgpr_queue_ptr 0
		.amdhsa_user_sgpr_kernarg_segment_ptr 1
		.amdhsa_user_sgpr_dispatch_id 0
		.amdhsa_user_sgpr_private_segment_size 0
		.amdhsa_wavefront_size32 1
		.amdhsa_uses_dynamic_stack 0
		.amdhsa_enable_private_segment 0
		.amdhsa_system_sgpr_workgroup_id_x 1
		.amdhsa_system_sgpr_workgroup_id_y 1
		.amdhsa_system_sgpr_workgroup_id_z 1
		.amdhsa_system_sgpr_workgroup_info 0
		.amdhsa_system_vgpr_workitem_id 1
		.amdhsa_next_free_vgpr 51
		.amdhsa_next_free_sgpr 28
		.amdhsa_reserve_vcc 1
		.amdhsa_float_round_mode_32 0
		.amdhsa_float_round_mode_16_64 0
		.amdhsa_float_denorm_mode_32 3
		.amdhsa_float_denorm_mode_16_64 3
		.amdhsa_dx10_clamp 1
		.amdhsa_ieee_mode 1
		.amdhsa_fp16_overflow 0
		.amdhsa_workgroup_processor_mode 1
		.amdhsa_memory_ordered 1
		.amdhsa_forward_progress 0
		.amdhsa_shared_vgpr_count 0
		.amdhsa_exception_fp_ieee_invalid_op 0
		.amdhsa_exception_fp_denorm_src 0
		.amdhsa_exception_fp_ieee_div_zero 0
		.amdhsa_exception_fp_ieee_overflow 0
		.amdhsa_exception_fp_ieee_underflow 0
		.amdhsa_exception_fp_ieee_inexact 0
		.amdhsa_exception_int_div_zero 0
	.end_amdhsa_kernel
	.section	.text._ZL32rocblas_syrkx_herkx_small_kernelIi19rocblas_complex_numIdELi16ELb0ELb1ELc67ELc76EKS1_S1_EviT_T0_PT6_S3_lS6_S3_lS4_PT7_S3_li,"axG",@progbits,_ZL32rocblas_syrkx_herkx_small_kernelIi19rocblas_complex_numIdELi16ELb0ELb1ELc67ELc76EKS1_S1_EviT_T0_PT6_S3_lS6_S3_lS4_PT7_S3_li,comdat
.Lfunc_end442:
	.size	_ZL32rocblas_syrkx_herkx_small_kernelIi19rocblas_complex_numIdELi16ELb0ELb1ELc67ELc76EKS1_S1_EviT_T0_PT6_S3_lS6_S3_lS4_PT7_S3_li, .Lfunc_end442-_ZL32rocblas_syrkx_herkx_small_kernelIi19rocblas_complex_numIdELi16ELb0ELb1ELc67ELc76EKS1_S1_EviT_T0_PT6_S3_lS6_S3_lS4_PT7_S3_li
                                        ; -- End function
	.section	.AMDGPU.csdata,"",@progbits
; Kernel info:
; codeLenInByte = 2080
; NumSgprs: 30
; NumVgprs: 51
; ScratchSize: 0
; MemoryBound: 1
; FloatMode: 240
; IeeeMode: 1
; LDSByteSize: 8192 bytes/workgroup (compile time only)
; SGPRBlocks: 3
; VGPRBlocks: 6
; NumSGPRsForWavesPerEU: 30
; NumVGPRsForWavesPerEU: 51
; Occupancy: 16
; WaveLimiterHint : 0
; COMPUTE_PGM_RSRC2:SCRATCH_EN: 0
; COMPUTE_PGM_RSRC2:USER_SGPR: 13
; COMPUTE_PGM_RSRC2:TRAP_HANDLER: 0
; COMPUTE_PGM_RSRC2:TGID_X_EN: 1
; COMPUTE_PGM_RSRC2:TGID_Y_EN: 1
; COMPUTE_PGM_RSRC2:TGID_Z_EN: 1
; COMPUTE_PGM_RSRC2:TIDIG_COMP_CNT: 1
	.section	.text._ZL32rocblas_syrkx_herkx_small_kernelIi19rocblas_complex_numIdELi16ELb0ELb1ELc78ELc76EKS1_S1_EviT_T0_PT6_S3_lS6_S3_lS4_PT7_S3_li,"axG",@progbits,_ZL32rocblas_syrkx_herkx_small_kernelIi19rocblas_complex_numIdELi16ELb0ELb1ELc78ELc76EKS1_S1_EviT_T0_PT6_S3_lS6_S3_lS4_PT7_S3_li,comdat
	.globl	_ZL32rocblas_syrkx_herkx_small_kernelIi19rocblas_complex_numIdELi16ELb0ELb1ELc78ELc76EKS1_S1_EviT_T0_PT6_S3_lS6_S3_lS4_PT7_S3_li ; -- Begin function _ZL32rocblas_syrkx_herkx_small_kernelIi19rocblas_complex_numIdELi16ELb0ELb1ELc78ELc76EKS1_S1_EviT_T0_PT6_S3_lS6_S3_lS4_PT7_S3_li
	.p2align	8
	.type	_ZL32rocblas_syrkx_herkx_small_kernelIi19rocblas_complex_numIdELi16ELb0ELb1ELc78ELc76EKS1_S1_EviT_T0_PT6_S3_lS6_S3_lS4_PT7_S3_li,@function
_ZL32rocblas_syrkx_herkx_small_kernelIi19rocblas_complex_numIdELi16ELb0ELb1ELc78ELc76EKS1_S1_EviT_T0_PT6_S3_lS6_S3_lS4_PT7_S3_li: ; @_ZL32rocblas_syrkx_herkx_small_kernelIi19rocblas_complex_numIdELi16ELb0ELb1ELc78ELc76EKS1_S1_EviT_T0_PT6_S3_lS6_S3_lS4_PT7_S3_li
; %bb.0:
	s_clause 0x3
	s_load_b64 s[24:25], s[0:1], 0x0
	s_load_b128 s[16:19], s[0:1], 0x8
	s_load_b64 s[26:27], s[0:1], 0x18
	s_load_b256 s[4:11], s[0:1], 0x40
	v_and_b32_e32 v16, 0x3ff, v0
	v_mov_b32_e32 v12, 0
	v_mov_b32_e32 v13, 0
	v_bfe_u32 v17, v0, 10, 10
	s_delay_alu instid0(VALU_DEP_4) | instskip(NEXT) | instid1(VALU_DEP_3)
	v_lshl_add_u32 v5, s13, 4, v16
	v_dual_mov_b32 v15, v13 :: v_dual_mov_b32 v14, v12
	s_delay_alu instid0(VALU_DEP_3) | instskip(NEXT) | instid1(VALU_DEP_3)
	v_lshl_add_u32 v7, s14, 4, v17
	v_ashrrev_i32_e32 v6, 31, v5
	s_mov_b32 s14, 0
	s_waitcnt lgkmcnt(0)
	v_cmp_gt_i32_e64 s2, s24, v5
	s_cmp_lt_i32 s25, 1
	s_cbranch_scc1 .LBB443_9
; %bb.1:
	s_clause 0x2
	s_load_b32 s12, s[0:1], 0x38
	s_load_b32 s28, s[0:1], 0x20
	s_load_b128 s[20:23], s[0:1], 0x28
	v_ashrrev_i32_e32 v8, 31, v7
	s_mul_i32 s3, s5, s15
	s_mul_hi_u32 s5, s4, s15
	s_mul_i32 s4, s4, s15
	s_add_i32 s5, s5, s3
	v_lshlrev_b64 v[8:9], 4, v[7:8]
	s_lshl_b64 s[4:5], s[4:5], 4
	v_mov_b32_e32 v12, 0
	v_dual_mov_b32 v13, 0 :: v_dual_lshlrev_b32 v4, 8, v17
	v_lshlrev_b32_e32 v18, 4, v16
	v_lshlrev_b64 v[0:1], 4, v[5:6]
	v_cmp_gt_i32_e32 vcc_lo, s24, v7
	s_delay_alu instid0(VALU_DEP_4) | instskip(NEXT) | instid1(VALU_DEP_4)
	v_add_nc_u32_e32 v19, 0x1000, v4
	v_dual_mov_b32 v15, v13 :: v_dual_add_nc_u32 v20, v18, v4
	v_mov_b32_e32 v14, v12
	s_waitcnt lgkmcnt(0)
	v_mad_i64_i32 v[2:3], null, s12, v16, 0
	s_mul_i32 s3, s21, s15
	s_mul_hi_u32 s21, s20, s15
	v_mad_i64_i32 v[10:11], null, s28, v17, 0
	s_add_i32 s21, s21, s3
	s_mul_i32 s20, s20, s15
	s_delay_alu instid0(VALU_DEP_2) | instskip(SKIP_2) | instid1(VALU_DEP_1)
	v_lshlrev_b64 v[2:3], 4, v[2:3]
	s_ashr_i32 s29, s28, 31
	s_ashr_i32 s13, s12, 31
	v_add_co_u32 v2, s3, s4, v2
	s_delay_alu instid0(VALU_DEP_1) | instskip(SKIP_1) | instid1(VALU_DEP_2)
	v_add_co_ci_u32_e64 v3, s3, s5, v3, s3
	s_lshl_b64 s[4:5], s[20:21], 4
	v_add_co_u32 v4, s3, v2, v8
	s_delay_alu instid0(VALU_DEP_1) | instskip(SKIP_1) | instid1(VALU_DEP_3)
	v_add_co_ci_u32_e64 v8, s3, v3, v9, s3
	v_lshlrev_b64 v[2:3], 4, v[10:11]
	v_add_co_u32 v4, s3, v4, s22
	s_delay_alu instid0(VALU_DEP_1) | instskip(NEXT) | instid1(VALU_DEP_3)
	v_add_co_ci_u32_e64 v9, s3, s23, v8, s3
	v_add_co_u32 v2, s3, s4, v2
	s_delay_alu instid0(VALU_DEP_1) | instskip(NEXT) | instid1(VALU_DEP_4)
	v_add_co_ci_u32_e64 v3, s3, s5, v3, s3
	v_add_co_u32 v8, s3, v4, 8
	s_delay_alu instid0(VALU_DEP_1) | instskip(NEXT) | instid1(VALU_DEP_4)
	v_add_co_ci_u32_e64 v9, s3, 0, v9, s3
	v_add_co_u32 v0, s3, v2, v0
	s_delay_alu instid0(VALU_DEP_1) | instskip(SKIP_1) | instid1(VALU_DEP_2)
	v_add_co_ci_u32_e64 v1, s3, v3, v1, s3
	s_lshl_b64 s[4:5], s[12:13], 8
	v_add_co_u32 v10, s3, s26, v0
	v_dual_mov_b32 v0, 0 :: v_dual_add_nc_u32 v21, v19, v18
	s_delay_alu instid0(VALU_DEP_3)
	v_add_co_ci_u32_e64 v11, s3, s27, v1, s3
	s_lshl_b64 s[12:13], s[28:29], 8
	s_xor_b32 s3, s2, -1
	s_branch .LBB443_3
.LBB443_2:                              ;   in Loop: Header=BB443_3 Depth=1
	s_or_b32 exec_lo, exec_lo, s2
	ds_store_b128 v21, v[1:4]
	s_waitcnt lgkmcnt(0)
	s_barrier
	buffer_gl0_inv
	ds_load_b128 v[1:4], v18
	ds_load_b128 v[22:25], v19
	ds_load_b128 v[26:29], v19 offset:16
	ds_load_b128 v[30:33], v18 offset:256
	v_add_co_u32 v8, s2, v8, s4
	s_delay_alu instid0(VALU_DEP_1) | instskip(SKIP_1) | instid1(VALU_DEP_1)
	v_add_co_ci_u32_e64 v9, s2, s5, v9, s2
	v_add_co_u32 v10, s2, v10, s12
	v_add_co_ci_u32_e64 v11, s2, s13, v11, s2
	s_add_i32 s14, s14, 16
	s_delay_alu instid0(SALU_CYCLE_1)
	s_cmp_ge_i32 s14, s25
	s_waitcnt lgkmcnt(2)
	v_mul_f64 v[34:35], v[24:25], v[3:4]
	v_mul_f64 v[3:4], v[22:23], v[3:4]
	s_waitcnt lgkmcnt(0)
	v_mul_f64 v[40:41], v[28:29], v[32:33]
	v_mul_f64 v[42:43], v[26:27], v[32:33]
	s_delay_alu instid0(VALU_DEP_4) | instskip(NEXT) | instid1(VALU_DEP_4)
	v_fma_f64 v[44:45], v[22:23], v[1:2], -v[34:35]
	v_fma_f64 v[46:47], v[24:25], v[1:2], v[3:4]
	ds_load_b128 v[1:4], v18 offset:512
	ds_load_b128 v[22:25], v19 offset:32
	;; [unrolled: 1-line block ×4, first 2 shown]
	v_fma_f64 v[26:27], v[26:27], v[30:31], -v[40:41]
	v_fma_f64 v[28:29], v[28:29], v[30:31], v[42:43]
	s_waitcnt lgkmcnt(2)
	v_mul_f64 v[48:49], v[24:25], v[3:4]
	v_mul_f64 v[3:4], v[22:23], v[3:4]
	s_waitcnt lgkmcnt(0)
	v_mul_f64 v[30:31], v[34:35], v[38:39]
	v_mul_f64 v[38:39], v[32:33], v[38:39]
	v_add_f64 v[14:15], v[14:15], v[44:45]
	v_add_f64 v[12:13], v[12:13], v[46:47]
	v_fma_f64 v[40:41], v[22:23], v[1:2], -v[48:49]
	v_fma_f64 v[42:43], v[24:25], v[1:2], v[3:4]
	v_fma_f64 v[30:31], v[32:33], v[36:37], -v[30:31]
	v_fma_f64 v[32:33], v[34:35], v[36:37], v[38:39]
	v_add_f64 v[44:45], v[14:15], v[26:27]
	v_add_f64 v[46:47], v[12:13], v[28:29]
	ds_load_b128 v[1:4], v18 offset:1024
	ds_load_b128 v[12:15], v19 offset:64
	ds_load_b128 v[22:25], v19 offset:80
	ds_load_b128 v[26:29], v18 offset:1280
	s_waitcnt lgkmcnt(2)
	v_mul_f64 v[48:49], v[14:15], v[3:4]
	v_mul_f64 v[3:4], v[12:13], v[3:4]
	s_waitcnt lgkmcnt(0)
	v_mul_f64 v[38:39], v[24:25], v[28:29]
	v_add_f64 v[34:35], v[44:45], v[40:41]
	v_add_f64 v[36:37], v[46:47], v[42:43]
	v_mul_f64 v[40:41], v[22:23], v[28:29]
	v_fma_f64 v[42:43], v[12:13], v[1:2], -v[48:49]
	v_fma_f64 v[44:45], v[14:15], v[1:2], v[3:4]
	v_fma_f64 v[22:23], v[22:23], v[26:27], -v[38:39]
	v_add_f64 v[46:47], v[34:35], v[30:31]
	v_add_f64 v[36:37], v[36:37], v[32:33]
	ds_load_b128 v[1:4], v18 offset:1536
	ds_load_b128 v[12:15], v19 offset:96
	;; [unrolled: 1-line block ×4, first 2 shown]
	v_fma_f64 v[24:25], v[24:25], v[26:27], v[40:41]
	s_waitcnt lgkmcnt(2)
	v_mul_f64 v[48:49], v[14:15], v[3:4]
	v_mul_f64 v[3:4], v[12:13], v[3:4]
	s_waitcnt lgkmcnt(0)
	v_mul_f64 v[38:39], v[30:31], v[34:35]
	v_mul_f64 v[40:41], v[28:29], v[34:35]
	v_add_f64 v[26:27], v[46:47], v[42:43]
	v_add_f64 v[36:37], v[36:37], v[44:45]
	v_fma_f64 v[42:43], v[12:13], v[1:2], -v[48:49]
	v_fma_f64 v[44:45], v[14:15], v[1:2], v[3:4]
	v_fma_f64 v[28:29], v[28:29], v[32:33], -v[38:39]
	v_fma_f64 v[30:31], v[30:31], v[32:33], v[40:41]
	v_add_f64 v[26:27], v[26:27], v[22:23]
	v_add_f64 v[46:47], v[36:37], v[24:25]
	ds_load_b128 v[1:4], v18 offset:2048
	ds_load_b128 v[12:15], v19 offset:128
	ds_load_b128 v[22:25], v19 offset:144
	ds_load_b128 v[34:37], v18 offset:2304
	s_waitcnt lgkmcnt(2)
	v_mul_f64 v[48:49], v[14:15], v[3:4]
	v_mul_f64 v[3:4], v[12:13], v[3:4]
	s_waitcnt lgkmcnt(0)
	v_mul_f64 v[38:39], v[24:25], v[36:37]
	v_mul_f64 v[36:37], v[22:23], v[36:37]
	v_add_f64 v[26:27], v[26:27], v[42:43]
	v_add_f64 v[32:33], v[46:47], v[44:45]
	v_fma_f64 v[40:41], v[12:13], v[1:2], -v[48:49]
	v_fma_f64 v[42:43], v[14:15], v[1:2], v[3:4]
	v_fma_f64 v[22:23], v[22:23], v[34:35], -v[38:39]
	v_fma_f64 v[24:25], v[24:25], v[34:35], v[36:37]
	v_add_f64 v[44:45], v[26:27], v[28:29]
	v_add_f64 v[46:47], v[32:33], v[30:31]
	ds_load_b128 v[1:4], v18 offset:2560
	ds_load_b128 v[12:15], v19 offset:160
	;; [unrolled: 1-line block ×4, first 2 shown]
	s_waitcnt lgkmcnt(2)
	v_mul_f64 v[48:49], v[14:15], v[3:4]
	v_mul_f64 v[3:4], v[12:13], v[3:4]
	s_waitcnt lgkmcnt(0)
	v_mul_f64 v[38:39], v[28:29], v[32:33]
	v_add_f64 v[34:35], v[44:45], v[40:41]
	v_add_f64 v[36:37], v[46:47], v[42:43]
	v_mul_f64 v[40:41], v[26:27], v[32:33]
	v_fma_f64 v[42:43], v[12:13], v[1:2], -v[48:49]
	v_fma_f64 v[44:45], v[14:15], v[1:2], v[3:4]
	v_fma_f64 v[26:27], v[26:27], v[30:31], -v[38:39]
	v_add_f64 v[46:47], v[34:35], v[22:23]
	v_add_f64 v[36:37], v[36:37], v[24:25]
	ds_load_b128 v[1:4], v18 offset:3072
	ds_load_b128 v[12:15], v19 offset:192
	;; [unrolled: 1-line block ×4, first 2 shown]
	v_fma_f64 v[28:29], v[28:29], v[30:31], v[40:41]
	s_waitcnt lgkmcnt(2)
	v_mul_f64 v[48:49], v[14:15], v[3:4]
	v_mul_f64 v[3:4], v[12:13], v[3:4]
	s_waitcnt lgkmcnt(0)
	v_mul_f64 v[38:39], v[24:25], v[34:35]
	v_mul_f64 v[40:41], v[22:23], v[34:35]
	v_add_f64 v[30:31], v[46:47], v[42:43]
	v_add_f64 v[36:37], v[36:37], v[44:45]
	v_fma_f64 v[42:43], v[12:13], v[1:2], -v[48:49]
	v_fma_f64 v[44:45], v[14:15], v[1:2], v[3:4]
	v_fma_f64 v[22:23], v[22:23], v[32:33], -v[38:39]
	v_fma_f64 v[24:25], v[24:25], v[32:33], v[40:41]
	v_add_f64 v[30:31], v[30:31], v[26:27]
	v_add_f64 v[46:47], v[36:37], v[28:29]
	ds_load_b128 v[1:4], v18 offset:3584
	ds_load_b128 v[12:15], v19 offset:224
	;; [unrolled: 1-line block ×4, first 2 shown]
	s_waitcnt lgkmcnt(0)
	s_barrier
	buffer_gl0_inv
	v_mul_f64 v[48:49], v[14:15], v[3:4]
	v_mul_f64 v[3:4], v[12:13], v[3:4]
	;; [unrolled: 1-line block ×4, first 2 shown]
	v_add_f64 v[30:31], v[30:31], v[42:43]
	v_add_f64 v[32:33], v[46:47], v[44:45]
	v_fma_f64 v[12:13], v[12:13], v[1:2], -v[48:49]
	v_fma_f64 v[1:2], v[14:15], v[1:2], v[3:4]
	s_delay_alu instid0(VALU_DEP_4) | instskip(NEXT) | instid1(VALU_DEP_4)
	v_add_f64 v[3:4], v[30:31], v[22:23]
	v_add_f64 v[14:15], v[32:33], v[24:25]
	v_fma_f64 v[22:23], v[26:27], v[34:35], -v[38:39]
	v_fma_f64 v[24:25], v[28:29], v[34:35], v[36:37]
	s_delay_alu instid0(VALU_DEP_4) | instskip(NEXT) | instid1(VALU_DEP_4)
	v_add_f64 v[3:4], v[3:4], v[12:13]
	v_add_f64 v[1:2], v[14:15], v[1:2]
	s_delay_alu instid0(VALU_DEP_2) | instskip(NEXT) | instid1(VALU_DEP_2)
	v_add_f64 v[14:15], v[3:4], v[22:23]
	v_add_f64 v[12:13], v[1:2], v[24:25]
	s_cbranch_scc1 .LBB443_9
.LBB443_3:                              ; =>This Inner Loop Header: Depth=1
	v_add_nc_u32_e32 v1, s14, v17
	s_delay_alu instid0(VALU_DEP_1) | instskip(NEXT) | instid1(VALU_DEP_1)
	v_cmp_le_i32_e64 s2, s25, v1
	s_or_b32 s2, s3, s2
	s_delay_alu instid0(SALU_CYCLE_1) | instskip(NEXT) | instid1(SALU_CYCLE_1)
	s_and_saveexec_b32 s20, s2
	s_xor_b32 s2, exec_lo, s20
	s_cbranch_execz .LBB443_5
; %bb.4:                                ;   in Loop: Header=BB443_3 Depth=1
	v_mov_b32_e32 v1, v0
	v_mov_b32_e32 v2, v0
	;; [unrolled: 1-line block ×3, first 2 shown]
	ds_store_b128 v20, v[0:3]
.LBB443_5:                              ;   in Loop: Header=BB443_3 Depth=1
	s_and_not1_saveexec_b32 s2, s2
	s_cbranch_execz .LBB443_7
; %bb.6:                                ;   in Loop: Header=BB443_3 Depth=1
	global_load_b128 v[1:4], v[10:11], off
	s_waitcnt vmcnt(0)
	ds_store_2addr_b64 v20, v[1:2], v[3:4] offset1:1
.LBB443_7:                              ;   in Loop: Header=BB443_3 Depth=1
	s_or_b32 exec_lo, exec_lo, s2
	v_add_nc_u32_e32 v3, s14, v16
	v_mov_b32_e32 v1, 0
	v_mov_b32_e32 v2, 0
	s_delay_alu instid0(VALU_DEP_3) | instskip(NEXT) | instid1(VALU_DEP_2)
	v_cmp_gt_i32_e64 s2, s25, v3
	v_dual_mov_b32 v4, v2 :: v_dual_mov_b32 v3, v1
	s_delay_alu instid0(VALU_DEP_2) | instskip(NEXT) | instid1(SALU_CYCLE_1)
	s_and_b32 s20, vcc_lo, s2
	s_and_saveexec_b32 s2, s20
	s_cbranch_execz .LBB443_2
; %bb.8:                                ;   in Loop: Header=BB443_3 Depth=1
	global_load_b128 v[1:4], v[8:9], off offset:-8
	s_waitcnt vmcnt(0)
	v_xor_b32_e32 v4, 0x80000000, v4
	s_branch .LBB443_2
.LBB443_9:
	v_cmp_le_i32_e32 vcc_lo, v7, v5
	v_cmp_gt_i32_e64 s2, s24, v5
	s_delay_alu instid0(VALU_DEP_1) | instskip(NEXT) | instid1(SALU_CYCLE_1)
	s_and_b32 s2, vcc_lo, s2
	s_and_saveexec_b32 s3, s2
	s_cbranch_execz .LBB443_11
; %bb.10:
	s_clause 0x1
	s_load_b32 s2, s[0:1], 0x60
	s_load_b64 s[0:1], s[0:1], 0x68
	v_lshlrev_b64 v[2:3], 4, v[5:6]
	s_delay_alu instid0(VALU_DEP_4)
	v_mul_f64 v[10:11], s[16:17], v[12:13]
	v_mul_f64 v[12:13], s[18:19], v[12:13]
	s_waitcnt lgkmcnt(0)
	v_mad_i64_i32 v[0:1], null, s2, v7, 0
	s_mul_i32 s1, s15, s1
	s_mul_hi_u32 s2, s15, s0
	s_mul_i32 s0, s15, s0
	s_add_i32 s1, s2, s1
	s_delay_alu instid0(SALU_CYCLE_1) | instskip(NEXT) | instid1(VALU_DEP_1)
	s_lshl_b64 s[0:1], s[0:1], 4
	v_lshlrev_b64 v[0:1], 4, v[0:1]
	s_add_u32 s0, s10, s0
	s_addc_u32 s1, s11, s1
	s_delay_alu instid0(VALU_DEP_1) | instskip(NEXT) | instid1(VALU_DEP_2)
	v_add_co_u32 v0, vcc_lo, s0, v0
	v_add_co_ci_u32_e32 v1, vcc_lo, s1, v1, vcc_lo
	s_delay_alu instid0(VALU_DEP_2) | instskip(NEXT) | instid1(VALU_DEP_2)
	v_add_co_u32 v8, vcc_lo, v0, v2
	v_add_co_ci_u32_e32 v9, vcc_lo, v1, v3, vcc_lo
	v_fma_f64 v[10:11], s[18:19], v[14:15], v[10:11]
	v_fma_f64 v[12:13], s[16:17], v[14:15], -v[12:13]
	v_cmp_ne_u32_e32 vcc_lo, v5, v7
	global_load_b128 v[0:3], v[8:9], off
	s_waitcnt vmcnt(0)
	v_mul_f64 v[16:17], s[6:7], v[2:3]
	v_mul_f64 v[2:3], s[8:9], v[2:3]
	s_delay_alu instid0(VALU_DEP_2) | instskip(NEXT) | instid1(VALU_DEP_2)
	v_fma_f64 v[16:17], s[8:9], v[0:1], v[16:17]
	v_fma_f64 v[0:1], s[6:7], v[0:1], -v[2:3]
	s_delay_alu instid0(VALU_DEP_2) | instskip(NEXT) | instid1(VALU_DEP_2)
	v_add_f64 v[2:3], v[10:11], v[16:17]
	v_add_f64 v[0:1], v[12:13], v[0:1]
	s_delay_alu instid0(VALU_DEP_2)
	v_dual_cndmask_b32 v3, 0, v3 :: v_dual_cndmask_b32 v2, 0, v2
	global_store_b128 v[8:9], v[0:3], off
.LBB443_11:
	s_nop 0
	s_sendmsg sendmsg(MSG_DEALLOC_VGPRS)
	s_endpgm
	.section	.rodata,"a",@progbits
	.p2align	6, 0x0
	.amdhsa_kernel _ZL32rocblas_syrkx_herkx_small_kernelIi19rocblas_complex_numIdELi16ELb0ELb1ELc78ELc76EKS1_S1_EviT_T0_PT6_S3_lS6_S3_lS4_PT7_S3_li
		.amdhsa_group_segment_fixed_size 8192
		.amdhsa_private_segment_fixed_size 0
		.amdhsa_kernarg_size 116
		.amdhsa_user_sgpr_count 13
		.amdhsa_user_sgpr_dispatch_ptr 0
		.amdhsa_user_sgpr_queue_ptr 0
		.amdhsa_user_sgpr_kernarg_segment_ptr 1
		.amdhsa_user_sgpr_dispatch_id 0
		.amdhsa_user_sgpr_private_segment_size 0
		.amdhsa_wavefront_size32 1
		.amdhsa_uses_dynamic_stack 0
		.amdhsa_enable_private_segment 0
		.amdhsa_system_sgpr_workgroup_id_x 1
		.amdhsa_system_sgpr_workgroup_id_y 1
		.amdhsa_system_sgpr_workgroup_id_z 1
		.amdhsa_system_sgpr_workgroup_info 0
		.amdhsa_system_vgpr_workitem_id 1
		.amdhsa_next_free_vgpr 50
		.amdhsa_next_free_sgpr 30
		.amdhsa_reserve_vcc 1
		.amdhsa_float_round_mode_32 0
		.amdhsa_float_round_mode_16_64 0
		.amdhsa_float_denorm_mode_32 3
		.amdhsa_float_denorm_mode_16_64 3
		.amdhsa_dx10_clamp 1
		.amdhsa_ieee_mode 1
		.amdhsa_fp16_overflow 0
		.amdhsa_workgroup_processor_mode 1
		.amdhsa_memory_ordered 1
		.amdhsa_forward_progress 0
		.amdhsa_shared_vgpr_count 0
		.amdhsa_exception_fp_ieee_invalid_op 0
		.amdhsa_exception_fp_denorm_src 0
		.amdhsa_exception_fp_ieee_div_zero 0
		.amdhsa_exception_fp_ieee_overflow 0
		.amdhsa_exception_fp_ieee_underflow 0
		.amdhsa_exception_fp_ieee_inexact 0
		.amdhsa_exception_int_div_zero 0
	.end_amdhsa_kernel
	.section	.text._ZL32rocblas_syrkx_herkx_small_kernelIi19rocblas_complex_numIdELi16ELb0ELb1ELc78ELc76EKS1_S1_EviT_T0_PT6_S3_lS6_S3_lS4_PT7_S3_li,"axG",@progbits,_ZL32rocblas_syrkx_herkx_small_kernelIi19rocblas_complex_numIdELi16ELb0ELb1ELc78ELc76EKS1_S1_EviT_T0_PT6_S3_lS6_S3_lS4_PT7_S3_li,comdat
.Lfunc_end443:
	.size	_ZL32rocblas_syrkx_herkx_small_kernelIi19rocblas_complex_numIdELi16ELb0ELb1ELc78ELc76EKS1_S1_EviT_T0_PT6_S3_lS6_S3_lS4_PT7_S3_li, .Lfunc_end443-_ZL32rocblas_syrkx_herkx_small_kernelIi19rocblas_complex_numIdELi16ELb0ELb1ELc78ELc76EKS1_S1_EviT_T0_PT6_S3_lS6_S3_lS4_PT7_S3_li
                                        ; -- End function
	.section	.AMDGPU.csdata,"",@progbits
; Kernel info:
; codeLenInByte = 2096
; NumSgprs: 32
; NumVgprs: 50
; ScratchSize: 0
; MemoryBound: 1
; FloatMode: 240
; IeeeMode: 1
; LDSByteSize: 8192 bytes/workgroup (compile time only)
; SGPRBlocks: 3
; VGPRBlocks: 6
; NumSGPRsForWavesPerEU: 32
; NumVGPRsForWavesPerEU: 50
; Occupancy: 16
; WaveLimiterHint : 0
; COMPUTE_PGM_RSRC2:SCRATCH_EN: 0
; COMPUTE_PGM_RSRC2:USER_SGPR: 13
; COMPUTE_PGM_RSRC2:TRAP_HANDLER: 0
; COMPUTE_PGM_RSRC2:TGID_X_EN: 1
; COMPUTE_PGM_RSRC2:TGID_Y_EN: 1
; COMPUTE_PGM_RSRC2:TGID_Z_EN: 1
; COMPUTE_PGM_RSRC2:TIDIG_COMP_CNT: 1
	.section	.text._ZL32rocblas_syrkx_herkx_small_kernelIi19rocblas_complex_numIdELi16ELb0ELb1ELc84ELc85EKS1_S1_EviT_T0_PT6_S3_lS6_S3_lS4_PT7_S3_li,"axG",@progbits,_ZL32rocblas_syrkx_herkx_small_kernelIi19rocblas_complex_numIdELi16ELb0ELb1ELc84ELc85EKS1_S1_EviT_T0_PT6_S3_lS6_S3_lS4_PT7_S3_li,comdat
	.globl	_ZL32rocblas_syrkx_herkx_small_kernelIi19rocblas_complex_numIdELi16ELb0ELb1ELc84ELc85EKS1_S1_EviT_T0_PT6_S3_lS6_S3_lS4_PT7_S3_li ; -- Begin function _ZL32rocblas_syrkx_herkx_small_kernelIi19rocblas_complex_numIdELi16ELb0ELb1ELc84ELc85EKS1_S1_EviT_T0_PT6_S3_lS6_S3_lS4_PT7_S3_li
	.p2align	8
	.type	_ZL32rocblas_syrkx_herkx_small_kernelIi19rocblas_complex_numIdELi16ELb0ELb1ELc84ELc85EKS1_S1_EviT_T0_PT6_S3_lS6_S3_lS4_PT7_S3_li,@function
_ZL32rocblas_syrkx_herkx_small_kernelIi19rocblas_complex_numIdELi16ELb0ELb1ELc84ELc85EKS1_S1_EviT_T0_PT6_S3_lS6_S3_lS4_PT7_S3_li: ; @_ZL32rocblas_syrkx_herkx_small_kernelIi19rocblas_complex_numIdELi16ELb0ELb1ELc84ELc85EKS1_S1_EviT_T0_PT6_S3_lS6_S3_lS4_PT7_S3_li
; %bb.0:
	s_clause 0x3
	s_load_b64 s[24:25], s[0:1], 0x0
	s_load_b128 s[16:19], s[0:1], 0x8
	s_load_b64 s[26:27], s[0:1], 0x18
	s_load_b256 s[4:11], s[0:1], 0x40
	v_bfe_u32 v14, v0, 10, 10
	v_mov_b32_e32 v9, 0
	v_dual_mov_b32 v10, 0 :: v_dual_and_b32 v15, 0x3ff, v0
	s_mov_b32 s12, 0
	s_delay_alu instid0(VALU_DEP_3) | instskip(NEXT) | instid1(VALU_DEP_2)
	v_lshl_add_u32 v13, s14, 4, v14
	v_dual_mov_b32 v12, v10 :: v_dual_mov_b32 v11, v9
	s_delay_alu instid0(VALU_DEP_3) | instskip(SKIP_1) | instid1(VALU_DEP_3)
	v_lshl_add_u32 v4, s13, 4, v15
	s_waitcnt lgkmcnt(0)
	v_cmp_gt_i32_e32 vcc_lo, s24, v13
	s_cmp_lt_i32 s25, 1
	s_cbranch_scc1 .LBB444_11
; %bb.1:
	s_clause 0x2
	s_load_b32 s3, s[0:1], 0x38
	s_load_b32 s13, s[0:1], 0x20
	s_load_b128 s[20:23], s[0:1], 0x28
	v_dual_mov_b32 v9, 0 :: v_dual_lshlrev_b32 v2, 8, v14
	v_dual_mov_b32 v10, 0 :: v_dual_lshlrev_b32 v7, 4, v14
	v_lshlrev_b32_e32 v16, 4, v15
	s_mul_i32 s5, s5, s15
	s_mul_hi_u32 s14, s4, s15
	v_add_nc_u32_e32 v18, 0x1000, v2
	v_dual_mov_b32 v12, v10 :: v_dual_mov_b32 v11, v9
	v_add_nc_u32_e32 v17, v16, v2
	s_mul_i32 s4, s4, s15
	s_add_i32 s5, s14, s5
	v_cmp_gt_i32_e64 s2, s24, v4
	s_lshl_b64 s[4:5], s[4:5], 4
	v_add_nc_u32_e32 v19, v18, v16
	s_waitcnt lgkmcnt(0)
	v_mad_i64_i32 v[0:1], null, s3, v13, 0
	v_mad_i64_i32 v[2:3], null, s13, v4, 0
	s_mul_i32 s3, s21, s15
	s_mul_hi_u32 s13, s20, s15
	s_mul_i32 s20, s20, s15
	s_add_i32 s21, s13, s3
	s_delay_alu instid0(VALU_DEP_2) | instskip(SKIP_2) | instid1(VALU_DEP_1)
	v_lshlrev_b64 v[0:1], 4, v[0:1]
	s_lshl_b64 s[20:21], s[20:21], 4
	s_xor_b32 s2, s2, -1
	v_add_co_u32 v5, s3, v0, s4
	s_delay_alu instid0(VALU_DEP_1) | instskip(SKIP_1) | instid1(VALU_DEP_3)
	v_add_co_ci_u32_e64 v6, s3, s5, v1, s3
	v_lshlrev_b64 v[0:1], 4, v[2:3]
	v_add_co_u32 v2, s3, v5, v16
	s_delay_alu instid0(VALU_DEP_1) | instskip(NEXT) | instid1(VALU_DEP_3)
	v_add_co_ci_u32_e64 v3, s3, 0, v6, s3
	v_add_co_u32 v0, s3, v0, s20
	s_delay_alu instid0(VALU_DEP_1) | instskip(NEXT) | instid1(VALU_DEP_4)
	v_add_co_ci_u32_e64 v1, s3, s21, v1, s3
	v_add_co_u32 v5, s3, s22, v2
	s_delay_alu instid0(VALU_DEP_1) | instskip(NEXT) | instid1(VALU_DEP_4)
	v_add_co_ci_u32_e64 v6, s3, s23, v3, s3
	v_add_co_u32 v0, s3, v0, v7
	s_delay_alu instid0(VALU_DEP_1) | instskip(NEXT) | instid1(VALU_DEP_2)
	v_add_co_ci_u32_e64 v1, s3, 0, v1, s3
	v_add_co_u32 v7, s3, s26, v0
	v_mov_b32_e32 v0, 0
	s_delay_alu instid0(VALU_DEP_3)
	v_add_co_ci_u32_e64 v8, s3, s27, v1, s3
	s_xor_b32 s3, vcc_lo, -1
	s_branch .LBB444_3
.LBB444_2:                              ;   in Loop: Header=BB444_3 Depth=1
	s_or_b32 exec_lo, exec_lo, s4
	s_waitcnt lgkmcnt(0)
	s_barrier
	buffer_gl0_inv
	ds_load_b128 v[20:23], v16
	ds_load_b128 v[24:27], v18
	ds_load_b128 v[28:31], v18 offset:16
	ds_load_b128 v[32:35], v16 offset:256
	v_add_co_u32 v5, vcc_lo, 0x100, v5
	v_add_co_ci_u32_e32 v6, vcc_lo, 0, v6, vcc_lo
	v_add_co_u32 v7, vcc_lo, 0x100, v7
	v_add_co_ci_u32_e32 v8, vcc_lo, 0, v8, vcc_lo
	s_add_i32 s12, s12, 16
	s_delay_alu instid0(SALU_CYCLE_1)
	s_cmp_ge_i32 s12, s25
	s_waitcnt lgkmcnt(2)
	v_mul_f64 v[1:2], v[26:27], v[22:23]
	v_mul_f64 v[22:23], v[24:25], v[22:23]
	s_waitcnt lgkmcnt(0)
	v_mul_f64 v[42:43], v[30:31], v[34:35]
	v_mul_f64 v[44:45], v[28:29], v[34:35]
	s_delay_alu instid0(VALU_DEP_4) | instskip(NEXT) | instid1(VALU_DEP_4)
	v_fma_f64 v[1:2], v[24:25], v[20:21], -v[1:2]
	v_fma_f64 v[46:47], v[26:27], v[20:21], v[22:23]
	ds_load_b128 v[20:23], v16 offset:512
	ds_load_b128 v[24:27], v18 offset:32
	;; [unrolled: 1-line block ×4, first 2 shown]
	v_fma_f64 v[28:29], v[28:29], v[32:33], -v[42:43]
	v_fma_f64 v[30:31], v[30:31], v[32:33], v[44:45]
	s_waitcnt lgkmcnt(2)
	v_mul_f64 v[48:49], v[26:27], v[22:23]
	v_mul_f64 v[22:23], v[24:25], v[22:23]
	s_waitcnt lgkmcnt(0)
	v_mul_f64 v[32:33], v[36:37], v[40:41]
	v_mul_f64 v[40:41], v[34:35], v[40:41]
	v_add_f64 v[1:2], v[11:12], v[1:2]
	v_add_f64 v[9:10], v[9:10], v[46:47]
	v_fma_f64 v[42:43], v[24:25], v[20:21], -v[48:49]
	v_fma_f64 v[44:45], v[26:27], v[20:21], v[22:23]
	v_fma_f64 v[32:33], v[34:35], v[38:39], -v[32:33]
	v_fma_f64 v[34:35], v[36:37], v[38:39], v[40:41]
	v_add_f64 v[1:2], v[1:2], v[28:29]
	v_add_f64 v[46:47], v[9:10], v[30:31]
	ds_load_b128 v[9:12], v16 offset:1024
	ds_load_b128 v[20:23], v18 offset:64
	;; [unrolled: 1-line block ×4, first 2 shown]
	s_waitcnt lgkmcnt(2)
	v_mul_f64 v[48:49], v[22:23], v[11:12]
	v_mul_f64 v[11:12], v[20:21], v[11:12]
	s_waitcnt lgkmcnt(0)
	v_mul_f64 v[38:39], v[26:27], v[30:31]
	v_mul_f64 v[40:41], v[24:25], v[30:31]
	v_add_f64 v[1:2], v[1:2], v[42:43]
	v_add_f64 v[36:37], v[46:47], v[44:45]
	v_fma_f64 v[42:43], v[20:21], v[9:10], -v[48:49]
	v_fma_f64 v[44:45], v[22:23], v[9:10], v[11:12]
	v_fma_f64 v[24:25], v[24:25], v[28:29], -v[38:39]
	v_fma_f64 v[26:27], v[26:27], v[28:29], v[40:41]
	v_add_f64 v[1:2], v[1:2], v[32:33]
	v_add_f64 v[46:47], v[36:37], v[34:35]
	ds_load_b128 v[9:12], v16 offset:1536
	ds_load_b128 v[20:23], v18 offset:96
	;; [unrolled: 1-line block ×4, first 2 shown]
	s_waitcnt lgkmcnt(2)
	v_mul_f64 v[48:49], v[22:23], v[11:12]
	v_mul_f64 v[11:12], v[20:21], v[11:12]
	s_waitcnt lgkmcnt(0)
	v_mul_f64 v[40:41], v[32:33], v[36:37]
	v_add_f64 v[1:2], v[1:2], v[42:43]
	v_add_f64 v[28:29], v[46:47], v[44:45]
	v_mul_f64 v[42:43], v[30:31], v[36:37]
	v_fma_f64 v[44:45], v[20:21], v[9:10], -v[48:49]
	v_fma_f64 v[46:47], v[22:23], v[9:10], v[11:12]
	v_fma_f64 v[30:31], v[30:31], v[34:35], -v[40:41]
	v_add_f64 v[1:2], v[1:2], v[24:25]
	v_add_f64 v[28:29], v[28:29], v[26:27]
	ds_load_b128 v[9:12], v16 offset:2048
	ds_load_b128 v[20:23], v18 offset:128
	;; [unrolled: 1-line block ×4, first 2 shown]
	v_fma_f64 v[32:33], v[32:33], v[34:35], v[42:43]
	s_waitcnt lgkmcnt(2)
	v_mul_f64 v[48:49], v[22:23], v[11:12]
	v_mul_f64 v[11:12], v[20:21], v[11:12]
	s_waitcnt lgkmcnt(0)
	v_mul_f64 v[40:41], v[26:27], v[38:39]
	v_mul_f64 v[38:39], v[24:25], v[38:39]
	v_add_f64 v[1:2], v[1:2], v[44:45]
	v_add_f64 v[28:29], v[28:29], v[46:47]
	v_fma_f64 v[42:43], v[20:21], v[9:10], -v[48:49]
	v_fma_f64 v[44:45], v[22:23], v[9:10], v[11:12]
	v_fma_f64 v[24:25], v[24:25], v[36:37], -v[40:41]
	v_fma_f64 v[26:27], v[26:27], v[36:37], v[38:39]
	v_add_f64 v[1:2], v[1:2], v[30:31]
	v_add_f64 v[46:47], v[28:29], v[32:33]
	ds_load_b128 v[9:12], v16 offset:2560
	ds_load_b128 v[20:23], v18 offset:160
	;; [unrolled: 1-line block ×4, first 2 shown]
	s_waitcnt lgkmcnt(2)
	v_mul_f64 v[48:49], v[22:23], v[11:12]
	v_mul_f64 v[11:12], v[20:21], v[11:12]
	s_waitcnt lgkmcnt(0)
	v_mul_f64 v[38:39], v[30:31], v[34:35]
	v_mul_f64 v[40:41], v[28:29], v[34:35]
	v_add_f64 v[1:2], v[1:2], v[42:43]
	v_add_f64 v[36:37], v[46:47], v[44:45]
	v_fma_f64 v[42:43], v[20:21], v[9:10], -v[48:49]
	v_fma_f64 v[44:45], v[22:23], v[9:10], v[11:12]
	v_fma_f64 v[28:29], v[28:29], v[32:33], -v[38:39]
	v_fma_f64 v[30:31], v[30:31], v[32:33], v[40:41]
	v_add_f64 v[1:2], v[1:2], v[24:25]
	v_add_f64 v[46:47], v[36:37], v[26:27]
	ds_load_b128 v[9:12], v16 offset:3072
	ds_load_b128 v[20:23], v18 offset:192
	;; [unrolled: 1-line block ×4, first 2 shown]
	s_waitcnt lgkmcnt(2)
	v_mul_f64 v[48:49], v[22:23], v[11:12]
	v_mul_f64 v[11:12], v[20:21], v[11:12]
	s_waitcnt lgkmcnt(0)
	v_mul_f64 v[40:41], v[26:27], v[36:37]
	v_add_f64 v[1:2], v[1:2], v[42:43]
	v_add_f64 v[32:33], v[46:47], v[44:45]
	v_mul_f64 v[42:43], v[24:25], v[36:37]
	v_fma_f64 v[44:45], v[20:21], v[9:10], -v[48:49]
	v_fma_f64 v[46:47], v[22:23], v[9:10], v[11:12]
	v_fma_f64 v[24:25], v[24:25], v[34:35], -v[40:41]
	v_add_f64 v[1:2], v[1:2], v[28:29]
	v_add_f64 v[32:33], v[32:33], v[30:31]
	ds_load_b128 v[9:12], v16 offset:3584
	ds_load_b128 v[20:23], v18 offset:224
	;; [unrolled: 1-line block ×4, first 2 shown]
	v_fma_f64 v[26:27], v[26:27], v[34:35], v[42:43]
	s_waitcnt lgkmcnt(0)
	s_barrier
	buffer_gl0_inv
	v_mul_f64 v[48:49], v[22:23], v[11:12]
	v_mul_f64 v[11:12], v[20:21], v[11:12]
	;; [unrolled: 1-line block ×4, first 2 shown]
	v_add_f64 v[1:2], v[1:2], v[44:45]
	v_add_f64 v[32:33], v[32:33], v[46:47]
	v_fma_f64 v[20:21], v[20:21], v[9:10], -v[48:49]
	v_fma_f64 v[9:10], v[22:23], v[9:10], v[11:12]
	v_fma_f64 v[22:23], v[28:29], v[36:37], -v[34:35]
	v_add_f64 v[1:2], v[1:2], v[24:25]
	v_add_f64 v[11:12], v[32:33], v[26:27]
	v_fma_f64 v[24:25], v[30:31], v[36:37], v[38:39]
	s_delay_alu instid0(VALU_DEP_3) | instskip(NEXT) | instid1(VALU_DEP_3)
	v_add_f64 v[1:2], v[1:2], v[20:21]
	v_add_f64 v[9:10], v[11:12], v[9:10]
	s_delay_alu instid0(VALU_DEP_2) | instskip(NEXT) | instid1(VALU_DEP_2)
	v_add_f64 v[11:12], v[1:2], v[22:23]
	v_add_f64 v[9:10], v[9:10], v[24:25]
	s_cbranch_scc1 .LBB444_11
.LBB444_3:                              ; =>This Inner Loop Header: Depth=1
	v_add_nc_u32_e32 v1, s12, v14
	s_delay_alu instid0(VALU_DEP_1) | instskip(SKIP_1) | instid1(SALU_CYCLE_1)
	v_cmp_le_i32_e32 vcc_lo, s25, v1
	s_or_b32 s4, s2, vcc_lo
	s_and_saveexec_b32 s5, s4
	s_delay_alu instid0(SALU_CYCLE_1)
	s_xor_b32 s4, exec_lo, s5
	s_cbranch_execz .LBB444_5
; %bb.4:                                ;   in Loop: Header=BB444_3 Depth=1
	v_mov_b32_e32 v1, v0
	v_mov_b32_e32 v2, v0
	;; [unrolled: 1-line block ×3, first 2 shown]
	ds_store_b128 v17, v[0:3]
.LBB444_5:                              ;   in Loop: Header=BB444_3 Depth=1
	s_and_not1_saveexec_b32 s4, s4
	s_cbranch_execz .LBB444_7
; %bb.6:                                ;   in Loop: Header=BB444_3 Depth=1
	global_load_b128 v[20:23], v[7:8], off
	s_waitcnt vmcnt(0)
	ds_store_2addr_b64 v17, v[20:21], v[22:23] offset1:1
.LBB444_7:                              ;   in Loop: Header=BB444_3 Depth=1
	s_or_b32 exec_lo, exec_lo, s4
	v_add_nc_u32_e32 v1, s12, v15
	s_delay_alu instid0(VALU_DEP_1) | instskip(SKIP_1) | instid1(SALU_CYCLE_1)
	v_cmp_le_i32_e32 vcc_lo, s25, v1
	s_or_b32 s4, s3, vcc_lo
	s_and_saveexec_b32 s5, s4
	s_delay_alu instid0(SALU_CYCLE_1)
	s_xor_b32 s4, exec_lo, s5
	s_cbranch_execz .LBB444_9
; %bb.8:                                ;   in Loop: Header=BB444_3 Depth=1
	v_mov_b32_e32 v1, v0
	v_mov_b32_e32 v2, v0
	;; [unrolled: 1-line block ×3, first 2 shown]
	ds_store_b128 v19, v[0:3]
.LBB444_9:                              ;   in Loop: Header=BB444_3 Depth=1
	s_and_not1_saveexec_b32 s4, s4
	s_cbranch_execz .LBB444_2
; %bb.10:                               ;   in Loop: Header=BB444_3 Depth=1
	global_load_b128 v[20:23], v[5:6], off
	s_waitcnt vmcnt(0)
	ds_store_2addr_b64 v19, v[20:21], v[22:23] offset1:1
	s_branch .LBB444_2
.LBB444_11:
	v_cmp_le_i32_e32 vcc_lo, v4, v13
	v_cmp_gt_i32_e64 s2, s24, v13
	s_delay_alu instid0(VALU_DEP_1) | instskip(NEXT) | instid1(SALU_CYCLE_1)
	s_and_b32 s2, vcc_lo, s2
	s_and_saveexec_b32 s3, s2
	s_cbranch_execz .LBB444_13
; %bb.12:
	s_clause 0x1
	s_load_b32 s2, s[0:1], 0x60
	s_load_b64 s[0:1], s[0:1], 0x68
	v_ashrrev_i32_e32 v5, 31, v4
	s_delay_alu instid0(VALU_DEP_4) | instskip(SKIP_1) | instid1(VALU_DEP_3)
	v_mul_f64 v[7:8], s[16:17], v[9:10]
	v_mul_f64 v[9:10], s[18:19], v[9:10]
	v_lshlrev_b64 v[2:3], 4, v[4:5]
	s_waitcnt lgkmcnt(0)
	v_mad_i64_i32 v[0:1], null, s2, v13, 0
	s_mul_i32 s1, s15, s1
	s_mul_hi_u32 s2, s15, s0
	s_mul_i32 s0, s15, s0
	s_add_i32 s1, s2, s1
	s_delay_alu instid0(SALU_CYCLE_1) | instskip(NEXT) | instid1(VALU_DEP_1)
	s_lshl_b64 s[0:1], s[0:1], 4
	v_lshlrev_b64 v[0:1], 4, v[0:1]
	s_add_u32 s0, s10, s0
	s_addc_u32 s1, s11, s1
	s_delay_alu instid0(VALU_DEP_1) | instskip(NEXT) | instid1(VALU_DEP_2)
	v_add_co_u32 v0, vcc_lo, s0, v0
	v_add_co_ci_u32_e32 v1, vcc_lo, s1, v1, vcc_lo
	s_delay_alu instid0(VALU_DEP_2) | instskip(NEXT) | instid1(VALU_DEP_2)
	v_add_co_u32 v5, vcc_lo, v0, v2
	v_add_co_ci_u32_e32 v6, vcc_lo, v1, v3, vcc_lo
	v_fma_f64 v[7:8], s[18:19], v[11:12], v[7:8]
	v_fma_f64 v[9:10], s[16:17], v[11:12], -v[9:10]
	v_cmp_ne_u32_e32 vcc_lo, v4, v13
	global_load_b128 v[0:3], v[5:6], off
	s_waitcnt vmcnt(0)
	v_mul_f64 v[14:15], s[6:7], v[2:3]
	v_mul_f64 v[2:3], s[8:9], v[2:3]
	s_delay_alu instid0(VALU_DEP_2) | instskip(NEXT) | instid1(VALU_DEP_2)
	v_fma_f64 v[14:15], s[8:9], v[0:1], v[14:15]
	v_fma_f64 v[0:1], s[6:7], v[0:1], -v[2:3]
	s_delay_alu instid0(VALU_DEP_2) | instskip(NEXT) | instid1(VALU_DEP_2)
	v_add_f64 v[2:3], v[7:8], v[14:15]
	v_add_f64 v[0:1], v[9:10], v[0:1]
	s_delay_alu instid0(VALU_DEP_2)
	v_dual_cndmask_b32 v3, 0, v3 :: v_dual_cndmask_b32 v2, 0, v2
	global_store_b128 v[5:6], v[0:3], off
.LBB444_13:
	s_nop 0
	s_sendmsg sendmsg(MSG_DEALLOC_VGPRS)
	s_endpgm
	.section	.rodata,"a",@progbits
	.p2align	6, 0x0
	.amdhsa_kernel _ZL32rocblas_syrkx_herkx_small_kernelIi19rocblas_complex_numIdELi16ELb0ELb1ELc84ELc85EKS1_S1_EviT_T0_PT6_S3_lS6_S3_lS4_PT7_S3_li
		.amdhsa_group_segment_fixed_size 8192
		.amdhsa_private_segment_fixed_size 0
		.amdhsa_kernarg_size 116
		.amdhsa_user_sgpr_count 13
		.amdhsa_user_sgpr_dispatch_ptr 0
		.amdhsa_user_sgpr_queue_ptr 0
		.amdhsa_user_sgpr_kernarg_segment_ptr 1
		.amdhsa_user_sgpr_dispatch_id 0
		.amdhsa_user_sgpr_private_segment_size 0
		.amdhsa_wavefront_size32 1
		.amdhsa_uses_dynamic_stack 0
		.amdhsa_enable_private_segment 0
		.amdhsa_system_sgpr_workgroup_id_x 1
		.amdhsa_system_sgpr_workgroup_id_y 1
		.amdhsa_system_sgpr_workgroup_id_z 1
		.amdhsa_system_sgpr_workgroup_info 0
		.amdhsa_system_vgpr_workitem_id 1
		.amdhsa_next_free_vgpr 50
		.amdhsa_next_free_sgpr 28
		.amdhsa_reserve_vcc 1
		.amdhsa_float_round_mode_32 0
		.amdhsa_float_round_mode_16_64 0
		.amdhsa_float_denorm_mode_32 3
		.amdhsa_float_denorm_mode_16_64 3
		.amdhsa_dx10_clamp 1
		.amdhsa_ieee_mode 1
		.amdhsa_fp16_overflow 0
		.amdhsa_workgroup_processor_mode 1
		.amdhsa_memory_ordered 1
		.amdhsa_forward_progress 0
		.amdhsa_shared_vgpr_count 0
		.amdhsa_exception_fp_ieee_invalid_op 0
		.amdhsa_exception_fp_denorm_src 0
		.amdhsa_exception_fp_ieee_div_zero 0
		.amdhsa_exception_fp_ieee_overflow 0
		.amdhsa_exception_fp_ieee_underflow 0
		.amdhsa_exception_fp_ieee_inexact 0
		.amdhsa_exception_int_div_zero 0
	.end_amdhsa_kernel
	.section	.text._ZL32rocblas_syrkx_herkx_small_kernelIi19rocblas_complex_numIdELi16ELb0ELb1ELc84ELc85EKS1_S1_EviT_T0_PT6_S3_lS6_S3_lS4_PT7_S3_li,"axG",@progbits,_ZL32rocblas_syrkx_herkx_small_kernelIi19rocblas_complex_numIdELi16ELb0ELb1ELc84ELc85EKS1_S1_EviT_T0_PT6_S3_lS6_S3_lS4_PT7_S3_li,comdat
.Lfunc_end444:
	.size	_ZL32rocblas_syrkx_herkx_small_kernelIi19rocblas_complex_numIdELi16ELb0ELb1ELc84ELc85EKS1_S1_EviT_T0_PT6_S3_lS6_S3_lS4_PT7_S3_li, .Lfunc_end444-_ZL32rocblas_syrkx_herkx_small_kernelIi19rocblas_complex_numIdELi16ELb0ELb1ELc84ELc85EKS1_S1_EviT_T0_PT6_S3_lS6_S3_lS4_PT7_S3_li
                                        ; -- End function
	.section	.AMDGPU.csdata,"",@progbits
; Kernel info:
; codeLenInByte = 2036
; NumSgprs: 30
; NumVgprs: 50
; ScratchSize: 0
; MemoryBound: 0
; FloatMode: 240
; IeeeMode: 1
; LDSByteSize: 8192 bytes/workgroup (compile time only)
; SGPRBlocks: 3
; VGPRBlocks: 6
; NumSGPRsForWavesPerEU: 30
; NumVGPRsForWavesPerEU: 50
; Occupancy: 16
; WaveLimiterHint : 0
; COMPUTE_PGM_RSRC2:SCRATCH_EN: 0
; COMPUTE_PGM_RSRC2:USER_SGPR: 13
; COMPUTE_PGM_RSRC2:TRAP_HANDLER: 0
; COMPUTE_PGM_RSRC2:TGID_X_EN: 1
; COMPUTE_PGM_RSRC2:TGID_Y_EN: 1
; COMPUTE_PGM_RSRC2:TGID_Z_EN: 1
; COMPUTE_PGM_RSRC2:TIDIG_COMP_CNT: 1
	.section	.text._ZL32rocblas_syrkx_herkx_small_kernelIi19rocblas_complex_numIdELi16ELb0ELb1ELc67ELc85EKS1_S1_EviT_T0_PT6_S3_lS6_S3_lS4_PT7_S3_li,"axG",@progbits,_ZL32rocblas_syrkx_herkx_small_kernelIi19rocblas_complex_numIdELi16ELb0ELb1ELc67ELc85EKS1_S1_EviT_T0_PT6_S3_lS6_S3_lS4_PT7_S3_li,comdat
	.globl	_ZL32rocblas_syrkx_herkx_small_kernelIi19rocblas_complex_numIdELi16ELb0ELb1ELc67ELc85EKS1_S1_EviT_T0_PT6_S3_lS6_S3_lS4_PT7_S3_li ; -- Begin function _ZL32rocblas_syrkx_herkx_small_kernelIi19rocblas_complex_numIdELi16ELb0ELb1ELc67ELc85EKS1_S1_EviT_T0_PT6_S3_lS6_S3_lS4_PT7_S3_li
	.p2align	8
	.type	_ZL32rocblas_syrkx_herkx_small_kernelIi19rocblas_complex_numIdELi16ELb0ELb1ELc67ELc85EKS1_S1_EviT_T0_PT6_S3_lS6_S3_lS4_PT7_S3_li,@function
_ZL32rocblas_syrkx_herkx_small_kernelIi19rocblas_complex_numIdELi16ELb0ELb1ELc67ELc85EKS1_S1_EviT_T0_PT6_S3_lS6_S3_lS4_PT7_S3_li: ; @_ZL32rocblas_syrkx_herkx_small_kernelIi19rocblas_complex_numIdELi16ELb0ELb1ELc67ELc85EKS1_S1_EviT_T0_PT6_S3_lS6_S3_lS4_PT7_S3_li
; %bb.0:
	s_clause 0x3
	s_load_b64 s[24:25], s[0:1], 0x0
	s_load_b128 s[16:19], s[0:1], 0x8
	s_load_b64 s[26:27], s[0:1], 0x18
	s_load_b256 s[4:11], s[0:1], 0x40
	v_bfe_u32 v17, v0, 10, 10
	v_mov_b32_e32 v12, 0
	v_dual_mov_b32 v13, 0 :: v_dual_and_b32 v18, 0x3ff, v0
	s_mov_b32 s12, 0
	s_delay_alu instid0(VALU_DEP_3) | instskip(NEXT) | instid1(VALU_DEP_2)
	v_lshl_add_u32 v16, s14, 4, v17
	v_dual_mov_b32 v15, v13 :: v_dual_mov_b32 v14, v12
	s_delay_alu instid0(VALU_DEP_3) | instskip(SKIP_1) | instid1(VALU_DEP_3)
	v_lshl_add_u32 v5, s13, 4, v18
	s_waitcnt lgkmcnt(0)
	v_cmp_gt_i32_e64 s2, s24, v16
	s_cmp_lt_i32 s25, 1
	s_cbranch_scc1 .LBB445_9
; %bb.1:
	s_clause 0x2
	s_load_b32 s3, s[0:1], 0x38
	s_load_b32 s13, s[0:1], 0x20
	s_load_b128 s[20:23], s[0:1], 0x28
	v_lshlrev_b32_e32 v2, 8, v17
	v_dual_mov_b32 v8, 0 :: v_dual_lshlrev_b32 v19, 4, v18
	v_mov_b32_e32 v9, 0
	s_mul_i32 s5, s5, s15
	s_delay_alu instid0(VALU_DEP_3) | instskip(NEXT) | instid1(VALU_DEP_3)
	v_add_nc_u32_e32 v21, 0x1000, v2
	v_add_nc_u32_e32 v20, v19, v2
	s_mul_hi_u32 s14, s4, s15
	v_mov_b32_e32 v15, v9
	s_mul_i32 s4, s4, s15
	s_add_i32 s5, s14, s5
	v_dual_mov_b32 v13, v9 :: v_dual_lshlrev_b32 v4, 4, v17
	s_lshl_b64 s[4:5], s[4:5], 4
	v_cmp_gt_i32_e32 vcc_lo, s24, v5
	v_mov_b32_e32 v12, v8
	v_mov_b32_e32 v14, v8
	s_waitcnt lgkmcnt(0)
	v_mad_i64_i32 v[0:1], null, s3, v16, 0
	v_mad_i64_i32 v[2:3], null, s13, v5, 0
	s_mul_i32 s3, s21, s15
	s_mul_hi_u32 s13, s20, s15
	s_mul_i32 s20, s20, s15
	s_add_i32 s21, s13, s3
	s_delay_alu instid0(VALU_DEP_2) | instskip(SKIP_1) | instid1(VALU_DEP_2)
	v_lshlrev_b64 v[0:1], 4, v[0:1]
	s_lshl_b64 s[20:21], s[20:21], 4
	v_lshlrev_b64 v[2:3], 4, v[2:3]
	s_delay_alu instid0(VALU_DEP_2) | instskip(NEXT) | instid1(VALU_DEP_1)
	v_add_co_u32 v0, s3, v0, s4
	v_add_co_ci_u32_e64 v1, s3, s5, v1, s3
	s_delay_alu instid0(VALU_DEP_3) | instskip(NEXT) | instid1(VALU_DEP_1)
	v_add_co_u32 v2, s3, v2, s20
	v_add_co_ci_u32_e64 v3, s3, s21, v3, s3
	s_delay_alu instid0(VALU_DEP_4) | instskip(NEXT) | instid1(VALU_DEP_1)
	v_add_co_u32 v0, s3, v0, v19
	v_add_co_ci_u32_e64 v1, s3, 0, v1, s3
	s_delay_alu instid0(VALU_DEP_4) | instskip(NEXT) | instid1(VALU_DEP_1)
	;; [unrolled: 3-line block ×4, first 2 shown]
	v_add_co_u32 v0, s3, v2, s26
	v_add_co_ci_u32_e64 v1, s3, s27, v3, s3
	s_delay_alu instid0(VALU_DEP_2) | instskip(NEXT) | instid1(VALU_DEP_1)
	v_add_co_u32 v10, s3, v0, 8
	v_add_co_ci_u32_e64 v11, s3, 0, v1, s3
	v_mov_b32_e32 v0, 0
	v_add_nc_u32_e32 v22, v21, v19
	s_xor_b32 s3, s2, -1
	s_branch .LBB445_3
.LBB445_2:                              ;   in Loop: Header=BB445_3 Depth=1
	s_or_b32 exec_lo, exec_lo, s2
	s_waitcnt lgkmcnt(0)
	s_barrier
	buffer_gl0_inv
	ds_load_b128 v[1:4], v19
	ds_load_b128 v[23:26], v21
	ds_load_b128 v[27:30], v21 offset:16
	ds_load_b128 v[31:34], v19 offset:256
	v_add_co_u32 v6, s2, 0x100, v6
	s_delay_alu instid0(VALU_DEP_1) | instskip(SKIP_1) | instid1(VALU_DEP_1)
	v_add_co_ci_u32_e64 v7, s2, 0, v7, s2
	v_add_co_u32 v10, s2, 0x100, v10
	v_add_co_ci_u32_e64 v11, s2, 0, v11, s2
	s_add_i32 s12, s12, 16
	s_delay_alu instid0(SALU_CYCLE_1)
	s_cmp_ge_i32 s12, s25
	s_waitcnt lgkmcnt(2)
	v_mul_f64 v[35:36], v[25:26], v[3:4]
	v_mul_f64 v[3:4], v[23:24], v[3:4]
	s_waitcnt lgkmcnt(0)
	v_mul_f64 v[41:42], v[29:30], v[33:34]
	v_mul_f64 v[43:44], v[27:28], v[33:34]
	s_delay_alu instid0(VALU_DEP_4) | instskip(NEXT) | instid1(VALU_DEP_4)
	v_fma_f64 v[45:46], v[23:24], v[1:2], -v[35:36]
	v_fma_f64 v[47:48], v[25:26], v[1:2], v[3:4]
	ds_load_b128 v[1:4], v19 offset:512
	ds_load_b128 v[23:26], v21 offset:32
	;; [unrolled: 1-line block ×4, first 2 shown]
	v_fma_f64 v[27:28], v[27:28], v[31:32], -v[41:42]
	v_fma_f64 v[29:30], v[29:30], v[31:32], v[43:44]
	s_waitcnt lgkmcnt(2)
	v_mul_f64 v[49:50], v[25:26], v[3:4]
	v_mul_f64 v[3:4], v[23:24], v[3:4]
	s_waitcnt lgkmcnt(0)
	v_mul_f64 v[31:32], v[35:36], v[39:40]
	v_mul_f64 v[39:40], v[33:34], v[39:40]
	v_add_f64 v[14:15], v[14:15], v[45:46]
	v_add_f64 v[12:13], v[12:13], v[47:48]
	v_fma_f64 v[41:42], v[23:24], v[1:2], -v[49:50]
	v_fma_f64 v[43:44], v[25:26], v[1:2], v[3:4]
	v_fma_f64 v[31:32], v[33:34], v[37:38], -v[31:32]
	v_fma_f64 v[33:34], v[35:36], v[37:38], v[39:40]
	v_add_f64 v[45:46], v[14:15], v[27:28]
	v_add_f64 v[47:48], v[12:13], v[29:30]
	ds_load_b128 v[1:4], v19 offset:1024
	ds_load_b128 v[12:15], v21 offset:64
	;; [unrolled: 1-line block ×4, first 2 shown]
	s_waitcnt lgkmcnt(2)
	v_mul_f64 v[49:50], v[14:15], v[3:4]
	v_mul_f64 v[3:4], v[12:13], v[3:4]
	s_waitcnt lgkmcnt(0)
	v_mul_f64 v[39:40], v[25:26], v[29:30]
	v_add_f64 v[35:36], v[45:46], v[41:42]
	v_add_f64 v[37:38], v[47:48], v[43:44]
	v_mul_f64 v[41:42], v[23:24], v[29:30]
	v_fma_f64 v[43:44], v[12:13], v[1:2], -v[49:50]
	v_fma_f64 v[45:46], v[14:15], v[1:2], v[3:4]
	v_fma_f64 v[23:24], v[23:24], v[27:28], -v[39:40]
	v_add_f64 v[47:48], v[35:36], v[31:32]
	v_add_f64 v[37:38], v[37:38], v[33:34]
	ds_load_b128 v[1:4], v19 offset:1536
	ds_load_b128 v[12:15], v21 offset:96
	;; [unrolled: 1-line block ×4, first 2 shown]
	v_fma_f64 v[25:26], v[25:26], v[27:28], v[41:42]
	s_waitcnt lgkmcnt(2)
	v_mul_f64 v[49:50], v[14:15], v[3:4]
	v_mul_f64 v[3:4], v[12:13], v[3:4]
	s_waitcnt lgkmcnt(0)
	v_mul_f64 v[39:40], v[31:32], v[35:36]
	v_mul_f64 v[41:42], v[29:30], v[35:36]
	v_add_f64 v[27:28], v[47:48], v[43:44]
	v_add_f64 v[37:38], v[37:38], v[45:46]
	v_fma_f64 v[43:44], v[12:13], v[1:2], -v[49:50]
	v_fma_f64 v[45:46], v[14:15], v[1:2], v[3:4]
	v_fma_f64 v[29:30], v[29:30], v[33:34], -v[39:40]
	v_fma_f64 v[31:32], v[31:32], v[33:34], v[41:42]
	v_add_f64 v[27:28], v[27:28], v[23:24]
	v_add_f64 v[47:48], v[37:38], v[25:26]
	ds_load_b128 v[1:4], v19 offset:2048
	ds_load_b128 v[12:15], v21 offset:128
	;; [unrolled: 1-line block ×4, first 2 shown]
	s_waitcnt lgkmcnt(2)
	v_mul_f64 v[49:50], v[14:15], v[3:4]
	v_mul_f64 v[3:4], v[12:13], v[3:4]
	s_waitcnt lgkmcnt(0)
	v_mul_f64 v[39:40], v[25:26], v[37:38]
	v_mul_f64 v[37:38], v[23:24], v[37:38]
	v_add_f64 v[27:28], v[27:28], v[43:44]
	v_add_f64 v[33:34], v[47:48], v[45:46]
	v_fma_f64 v[41:42], v[12:13], v[1:2], -v[49:50]
	v_fma_f64 v[43:44], v[14:15], v[1:2], v[3:4]
	v_fma_f64 v[23:24], v[23:24], v[35:36], -v[39:40]
	v_fma_f64 v[25:26], v[25:26], v[35:36], v[37:38]
	v_add_f64 v[45:46], v[27:28], v[29:30]
	v_add_f64 v[47:48], v[33:34], v[31:32]
	ds_load_b128 v[1:4], v19 offset:2560
	ds_load_b128 v[12:15], v21 offset:160
	;; [unrolled: 1-line block ×4, first 2 shown]
	s_waitcnt lgkmcnt(2)
	v_mul_f64 v[49:50], v[14:15], v[3:4]
	v_mul_f64 v[3:4], v[12:13], v[3:4]
	s_waitcnt lgkmcnt(0)
	v_mul_f64 v[39:40], v[29:30], v[33:34]
	v_add_f64 v[35:36], v[45:46], v[41:42]
	v_add_f64 v[37:38], v[47:48], v[43:44]
	v_mul_f64 v[41:42], v[27:28], v[33:34]
	v_fma_f64 v[43:44], v[12:13], v[1:2], -v[49:50]
	v_fma_f64 v[45:46], v[14:15], v[1:2], v[3:4]
	v_fma_f64 v[27:28], v[27:28], v[31:32], -v[39:40]
	v_add_f64 v[47:48], v[35:36], v[23:24]
	v_add_f64 v[37:38], v[37:38], v[25:26]
	ds_load_b128 v[1:4], v19 offset:3072
	ds_load_b128 v[12:15], v21 offset:192
	;; [unrolled: 1-line block ×4, first 2 shown]
	v_fma_f64 v[29:30], v[29:30], v[31:32], v[41:42]
	s_waitcnt lgkmcnt(2)
	v_mul_f64 v[49:50], v[14:15], v[3:4]
	v_mul_f64 v[3:4], v[12:13], v[3:4]
	s_waitcnt lgkmcnt(0)
	v_mul_f64 v[39:40], v[25:26], v[35:36]
	v_mul_f64 v[41:42], v[23:24], v[35:36]
	v_add_f64 v[31:32], v[47:48], v[43:44]
	v_add_f64 v[37:38], v[37:38], v[45:46]
	v_fma_f64 v[43:44], v[12:13], v[1:2], -v[49:50]
	v_fma_f64 v[45:46], v[14:15], v[1:2], v[3:4]
	v_fma_f64 v[23:24], v[23:24], v[33:34], -v[39:40]
	v_fma_f64 v[25:26], v[25:26], v[33:34], v[41:42]
	v_add_f64 v[31:32], v[31:32], v[27:28]
	v_add_f64 v[47:48], v[37:38], v[29:30]
	ds_load_b128 v[1:4], v19 offset:3584
	ds_load_b128 v[12:15], v21 offset:224
	;; [unrolled: 1-line block ×4, first 2 shown]
	s_waitcnt lgkmcnt(0)
	s_barrier
	buffer_gl0_inv
	v_mul_f64 v[49:50], v[14:15], v[3:4]
	v_mul_f64 v[3:4], v[12:13], v[3:4]
	;; [unrolled: 1-line block ×4, first 2 shown]
	v_add_f64 v[31:32], v[31:32], v[43:44]
	v_add_f64 v[33:34], v[47:48], v[45:46]
	v_fma_f64 v[12:13], v[12:13], v[1:2], -v[49:50]
	v_fma_f64 v[1:2], v[14:15], v[1:2], v[3:4]
	s_delay_alu instid0(VALU_DEP_4) | instskip(NEXT) | instid1(VALU_DEP_4)
	v_add_f64 v[3:4], v[31:32], v[23:24]
	v_add_f64 v[14:15], v[33:34], v[25:26]
	v_fma_f64 v[23:24], v[27:28], v[35:36], -v[39:40]
	v_fma_f64 v[25:26], v[29:30], v[35:36], v[37:38]
	s_delay_alu instid0(VALU_DEP_4) | instskip(NEXT) | instid1(VALU_DEP_4)
	v_add_f64 v[3:4], v[3:4], v[12:13]
	v_add_f64 v[1:2], v[14:15], v[1:2]
	s_delay_alu instid0(VALU_DEP_2) | instskip(NEXT) | instid1(VALU_DEP_2)
	v_add_f64 v[14:15], v[3:4], v[23:24]
	v_add_f64 v[12:13], v[1:2], v[25:26]
	s_cbranch_scc1 .LBB445_9
.LBB445_3:                              ; =>This Inner Loop Header: Depth=1
	v_add_nc_u32_e32 v1, s12, v17
	v_dual_mov_b32 v3, v8 :: v_dual_mov_b32 v4, v9
	s_delay_alu instid0(VALU_DEP_2) | instskip(SKIP_1) | instid1(VALU_DEP_2)
	v_cmp_gt_i32_e64 s2, s25, v1
	v_dual_mov_b32 v1, v8 :: v_dual_mov_b32 v2, v9
	s_and_b32 s4, vcc_lo, s2
	s_delay_alu instid0(SALU_CYCLE_1)
	s_and_saveexec_b32 s2, s4
	s_cbranch_execz .LBB445_5
; %bb.4:                                ;   in Loop: Header=BB445_3 Depth=1
	global_load_b128 v[1:4], v[10:11], off offset:-8
	s_waitcnt vmcnt(0)
	v_xor_b32_e32 v4, 0x80000000, v4
.LBB445_5:                              ;   in Loop: Header=BB445_3 Depth=1
	s_or_b32 exec_lo, exec_lo, s2
	v_add_nc_u32_e32 v23, s12, v18
	ds_store_b128 v20, v[1:4]
	v_cmp_le_i32_e64 s2, s25, v23
	s_delay_alu instid0(VALU_DEP_1) | instskip(NEXT) | instid1(SALU_CYCLE_1)
	s_or_b32 s2, s3, s2
	s_and_saveexec_b32 s4, s2
	s_delay_alu instid0(SALU_CYCLE_1)
	s_xor_b32 s2, exec_lo, s4
	s_cbranch_execz .LBB445_7
; %bb.6:                                ;   in Loop: Header=BB445_3 Depth=1
	v_mov_b32_e32 v1, v0
	v_mov_b32_e32 v2, v0
	;; [unrolled: 1-line block ×3, first 2 shown]
	ds_store_b128 v22, v[0:3]
.LBB445_7:                              ;   in Loop: Header=BB445_3 Depth=1
	s_and_not1_saveexec_b32 s2, s2
	s_cbranch_execz .LBB445_2
; %bb.8:                                ;   in Loop: Header=BB445_3 Depth=1
	global_load_b128 v[1:4], v[6:7], off
	s_waitcnt vmcnt(0)
	ds_store_2addr_b64 v22, v[1:2], v[3:4] offset1:1
	s_branch .LBB445_2
.LBB445_9:
	v_cmp_le_i32_e32 vcc_lo, v5, v16
	v_cmp_gt_i32_e64 s2, s24, v16
	s_delay_alu instid0(VALU_DEP_1) | instskip(NEXT) | instid1(SALU_CYCLE_1)
	s_and_b32 s2, vcc_lo, s2
	s_and_saveexec_b32 s3, s2
	s_cbranch_execz .LBB445_11
; %bb.10:
	s_clause 0x1
	s_load_b32 s2, s[0:1], 0x60
	s_load_b64 s[0:1], s[0:1], 0x68
	v_ashrrev_i32_e32 v6, 31, v5
	s_delay_alu instid0(VALU_DEP_4) | instskip(SKIP_1) | instid1(VALU_DEP_3)
	v_mul_f64 v[8:9], s[16:17], v[12:13]
	v_mul_f64 v[12:13], s[18:19], v[12:13]
	v_lshlrev_b64 v[2:3], 4, v[5:6]
	s_waitcnt lgkmcnt(0)
	v_mad_i64_i32 v[0:1], null, s2, v16, 0
	s_mul_i32 s1, s15, s1
	s_mul_hi_u32 s2, s15, s0
	s_mul_i32 s0, s15, s0
	s_add_i32 s1, s2, s1
	s_delay_alu instid0(SALU_CYCLE_1) | instskip(NEXT) | instid1(VALU_DEP_1)
	s_lshl_b64 s[0:1], s[0:1], 4
	v_lshlrev_b64 v[0:1], 4, v[0:1]
	s_add_u32 s0, s10, s0
	s_addc_u32 s1, s11, s1
	s_delay_alu instid0(VALU_DEP_1) | instskip(NEXT) | instid1(VALU_DEP_2)
	v_add_co_u32 v0, vcc_lo, s0, v0
	v_add_co_ci_u32_e32 v1, vcc_lo, s1, v1, vcc_lo
	s_delay_alu instid0(VALU_DEP_2) | instskip(NEXT) | instid1(VALU_DEP_2)
	v_add_co_u32 v6, vcc_lo, v0, v2
	v_add_co_ci_u32_e32 v7, vcc_lo, v1, v3, vcc_lo
	v_fma_f64 v[8:9], s[18:19], v[14:15], v[8:9]
	v_fma_f64 v[12:13], s[16:17], v[14:15], -v[12:13]
	v_cmp_ne_u32_e32 vcc_lo, v5, v16
	global_load_b128 v[0:3], v[6:7], off
	s_waitcnt vmcnt(0)
	v_mul_f64 v[10:11], s[6:7], v[2:3]
	v_mul_f64 v[2:3], s[8:9], v[2:3]
	s_delay_alu instid0(VALU_DEP_2) | instskip(NEXT) | instid1(VALU_DEP_2)
	v_fma_f64 v[10:11], s[8:9], v[0:1], v[10:11]
	v_fma_f64 v[0:1], s[6:7], v[0:1], -v[2:3]
	s_delay_alu instid0(VALU_DEP_2) | instskip(NEXT) | instid1(VALU_DEP_2)
	v_add_f64 v[2:3], v[8:9], v[10:11]
	v_add_f64 v[0:1], v[12:13], v[0:1]
	s_delay_alu instid0(VALU_DEP_2)
	v_dual_cndmask_b32 v3, 0, v3 :: v_dual_cndmask_b32 v2, 0, v2
	global_store_b128 v[6:7], v[0:3], off
.LBB445_11:
	s_nop 0
	s_sendmsg sendmsg(MSG_DEALLOC_VGPRS)
	s_endpgm
	.section	.rodata,"a",@progbits
	.p2align	6, 0x0
	.amdhsa_kernel _ZL32rocblas_syrkx_herkx_small_kernelIi19rocblas_complex_numIdELi16ELb0ELb1ELc67ELc85EKS1_S1_EviT_T0_PT6_S3_lS6_S3_lS4_PT7_S3_li
		.amdhsa_group_segment_fixed_size 8192
		.amdhsa_private_segment_fixed_size 0
		.amdhsa_kernarg_size 116
		.amdhsa_user_sgpr_count 13
		.amdhsa_user_sgpr_dispatch_ptr 0
		.amdhsa_user_sgpr_queue_ptr 0
		.amdhsa_user_sgpr_kernarg_segment_ptr 1
		.amdhsa_user_sgpr_dispatch_id 0
		.amdhsa_user_sgpr_private_segment_size 0
		.amdhsa_wavefront_size32 1
		.amdhsa_uses_dynamic_stack 0
		.amdhsa_enable_private_segment 0
		.amdhsa_system_sgpr_workgroup_id_x 1
		.amdhsa_system_sgpr_workgroup_id_y 1
		.amdhsa_system_sgpr_workgroup_id_z 1
		.amdhsa_system_sgpr_workgroup_info 0
		.amdhsa_system_vgpr_workitem_id 1
		.amdhsa_next_free_vgpr 51
		.amdhsa_next_free_sgpr 28
		.amdhsa_reserve_vcc 1
		.amdhsa_float_round_mode_32 0
		.amdhsa_float_round_mode_16_64 0
		.amdhsa_float_denorm_mode_32 3
		.amdhsa_float_denorm_mode_16_64 3
		.amdhsa_dx10_clamp 1
		.amdhsa_ieee_mode 1
		.amdhsa_fp16_overflow 0
		.amdhsa_workgroup_processor_mode 1
		.amdhsa_memory_ordered 1
		.amdhsa_forward_progress 0
		.amdhsa_shared_vgpr_count 0
		.amdhsa_exception_fp_ieee_invalid_op 0
		.amdhsa_exception_fp_denorm_src 0
		.amdhsa_exception_fp_ieee_div_zero 0
		.amdhsa_exception_fp_ieee_overflow 0
		.amdhsa_exception_fp_ieee_underflow 0
		.amdhsa_exception_fp_ieee_inexact 0
		.amdhsa_exception_int_div_zero 0
	.end_amdhsa_kernel
	.section	.text._ZL32rocblas_syrkx_herkx_small_kernelIi19rocblas_complex_numIdELi16ELb0ELb1ELc67ELc85EKS1_S1_EviT_T0_PT6_S3_lS6_S3_lS4_PT7_S3_li,"axG",@progbits,_ZL32rocblas_syrkx_herkx_small_kernelIi19rocblas_complex_numIdELi16ELb0ELb1ELc67ELc85EKS1_S1_EviT_T0_PT6_S3_lS6_S3_lS4_PT7_S3_li,comdat
.Lfunc_end445:
	.size	_ZL32rocblas_syrkx_herkx_small_kernelIi19rocblas_complex_numIdELi16ELb0ELb1ELc67ELc85EKS1_S1_EviT_T0_PT6_S3_lS6_S3_lS4_PT7_S3_li, .Lfunc_end445-_ZL32rocblas_syrkx_herkx_small_kernelIi19rocblas_complex_numIdELi16ELb0ELb1ELc67ELc85EKS1_S1_EviT_T0_PT6_S3_lS6_S3_lS4_PT7_S3_li
                                        ; -- End function
	.section	.AMDGPU.csdata,"",@progbits
; Kernel info:
; codeLenInByte = 2080
; NumSgprs: 30
; NumVgprs: 51
; ScratchSize: 0
; MemoryBound: 1
; FloatMode: 240
; IeeeMode: 1
; LDSByteSize: 8192 bytes/workgroup (compile time only)
; SGPRBlocks: 3
; VGPRBlocks: 6
; NumSGPRsForWavesPerEU: 30
; NumVGPRsForWavesPerEU: 51
; Occupancy: 16
; WaveLimiterHint : 0
; COMPUTE_PGM_RSRC2:SCRATCH_EN: 0
; COMPUTE_PGM_RSRC2:USER_SGPR: 13
; COMPUTE_PGM_RSRC2:TRAP_HANDLER: 0
; COMPUTE_PGM_RSRC2:TGID_X_EN: 1
; COMPUTE_PGM_RSRC2:TGID_Y_EN: 1
; COMPUTE_PGM_RSRC2:TGID_Z_EN: 1
; COMPUTE_PGM_RSRC2:TIDIG_COMP_CNT: 1
	.section	.text._ZL32rocblas_syrkx_herkx_small_kernelIi19rocblas_complex_numIdELi16ELb0ELb1ELc78ELc85EKS1_S1_EviT_T0_PT6_S3_lS6_S3_lS4_PT7_S3_li,"axG",@progbits,_ZL32rocblas_syrkx_herkx_small_kernelIi19rocblas_complex_numIdELi16ELb0ELb1ELc78ELc85EKS1_S1_EviT_T0_PT6_S3_lS6_S3_lS4_PT7_S3_li,comdat
	.globl	_ZL32rocblas_syrkx_herkx_small_kernelIi19rocblas_complex_numIdELi16ELb0ELb1ELc78ELc85EKS1_S1_EviT_T0_PT6_S3_lS6_S3_lS4_PT7_S3_li ; -- Begin function _ZL32rocblas_syrkx_herkx_small_kernelIi19rocblas_complex_numIdELi16ELb0ELb1ELc78ELc85EKS1_S1_EviT_T0_PT6_S3_lS6_S3_lS4_PT7_S3_li
	.p2align	8
	.type	_ZL32rocblas_syrkx_herkx_small_kernelIi19rocblas_complex_numIdELi16ELb0ELb1ELc78ELc85EKS1_S1_EviT_T0_PT6_S3_lS6_S3_lS4_PT7_S3_li,@function
_ZL32rocblas_syrkx_herkx_small_kernelIi19rocblas_complex_numIdELi16ELb0ELb1ELc78ELc85EKS1_S1_EviT_T0_PT6_S3_lS6_S3_lS4_PT7_S3_li: ; @_ZL32rocblas_syrkx_herkx_small_kernelIi19rocblas_complex_numIdELi16ELb0ELb1ELc78ELc85EKS1_S1_EviT_T0_PT6_S3_lS6_S3_lS4_PT7_S3_li
; %bb.0:
	s_clause 0x3
	s_load_b64 s[24:25], s[0:1], 0x0
	s_load_b128 s[16:19], s[0:1], 0x8
	s_load_b64 s[26:27], s[0:1], 0x18
	s_load_b256 s[4:11], s[0:1], 0x40
	v_and_b32_e32 v16, 0x3ff, v0
	v_bfe_u32 v17, v0, 10, 10
	v_mov_b32_e32 v12, 0
	v_mov_b32_e32 v13, 0
	s_delay_alu instid0(VALU_DEP_4) | instskip(NEXT) | instid1(VALU_DEP_4)
	v_lshl_add_u32 v5, s13, 4, v16
	v_lshl_add_u32 v7, s14, 4, v17
	s_mov_b32 s14, 0
	s_delay_alu instid0(VALU_DEP_3) | instskip(NEXT) | instid1(VALU_DEP_3)
	v_dual_mov_b32 v15, v13 :: v_dual_mov_b32 v14, v12
	v_ashrrev_i32_e32 v6, 31, v5
	s_waitcnt lgkmcnt(0)
	v_cmp_gt_i32_e32 vcc_lo, s24, v7
	s_cmp_lt_i32 s25, 1
	s_cbranch_scc1 .LBB446_9
; %bb.1:
	s_clause 0x2
	s_load_b32 s12, s[0:1], 0x38
	s_load_b32 s28, s[0:1], 0x20
	s_load_b128 s[20:23], s[0:1], 0x28
	v_ashrrev_i32_e32 v8, 31, v7
	s_mul_i32 s3, s5, s15
	s_mul_hi_u32 s5, s4, s15
	s_mul_i32 s4, s4, s15
	s_add_i32 s5, s5, s3
	v_lshlrev_b64 v[8:9], 4, v[7:8]
	s_lshl_b64 s[4:5], s[4:5], 4
	v_mov_b32_e32 v12, 0
	v_dual_mov_b32 v13, 0 :: v_dual_lshlrev_b32 v4, 8, v17
	v_lshlrev_b32_e32 v18, 4, v16
	v_lshlrev_b64 v[0:1], 4, v[5:6]
	v_cmp_gt_i32_e64 s2, s24, v5
	s_delay_alu instid0(VALU_DEP_4) | instskip(NEXT) | instid1(VALU_DEP_4)
	v_add_nc_u32_e32 v19, 0x1000, v4
	v_dual_mov_b32 v15, v13 :: v_dual_add_nc_u32 v20, v18, v4
	v_mov_b32_e32 v14, v12
	s_waitcnt lgkmcnt(0)
	v_mad_i64_i32 v[2:3], null, s12, v16, 0
	s_mul_i32 s3, s21, s15
	s_mul_hi_u32 s21, s20, s15
	v_mad_i64_i32 v[10:11], null, s28, v17, 0
	s_add_i32 s21, s21, s3
	s_mul_i32 s20, s20, s15
	s_delay_alu instid0(VALU_DEP_2) | instskip(SKIP_2) | instid1(VALU_DEP_1)
	v_lshlrev_b64 v[2:3], 4, v[2:3]
	s_ashr_i32 s29, s28, 31
	s_ashr_i32 s13, s12, 31
	v_add_co_u32 v2, s3, s4, v2
	s_delay_alu instid0(VALU_DEP_1) | instskip(SKIP_1) | instid1(VALU_DEP_2)
	v_add_co_ci_u32_e64 v3, s3, s5, v3, s3
	s_lshl_b64 s[4:5], s[20:21], 4
	v_add_co_u32 v4, s3, v2, v8
	s_delay_alu instid0(VALU_DEP_1) | instskip(SKIP_1) | instid1(VALU_DEP_3)
	v_add_co_ci_u32_e64 v8, s3, v3, v9, s3
	v_lshlrev_b64 v[2:3], 4, v[10:11]
	v_add_co_u32 v4, s3, v4, s22
	s_delay_alu instid0(VALU_DEP_1) | instskip(NEXT) | instid1(VALU_DEP_3)
	v_add_co_ci_u32_e64 v9, s3, s23, v8, s3
	v_add_co_u32 v2, s3, s4, v2
	s_delay_alu instid0(VALU_DEP_1) | instskip(NEXT) | instid1(VALU_DEP_4)
	v_add_co_ci_u32_e64 v3, s3, s5, v3, s3
	v_add_co_u32 v8, s3, v4, 8
	s_delay_alu instid0(VALU_DEP_1) | instskip(NEXT) | instid1(VALU_DEP_4)
	v_add_co_ci_u32_e64 v9, s3, 0, v9, s3
	v_add_co_u32 v0, s3, v2, v0
	s_delay_alu instid0(VALU_DEP_1) | instskip(SKIP_1) | instid1(VALU_DEP_2)
	v_add_co_ci_u32_e64 v1, s3, v3, v1, s3
	s_lshl_b64 s[4:5], s[12:13], 8
	v_add_co_u32 v10, s3, s26, v0
	v_dual_mov_b32 v0, 0 :: v_dual_add_nc_u32 v21, v19, v18
	s_delay_alu instid0(VALU_DEP_3)
	v_add_co_ci_u32_e64 v11, s3, s27, v1, s3
	s_lshl_b64 s[12:13], s[28:29], 8
	s_xor_b32 s3, s2, -1
	s_branch .LBB446_3
.LBB446_2:                              ;   in Loop: Header=BB446_3 Depth=1
	s_or_b32 exec_lo, exec_lo, s2
	ds_store_b128 v21, v[1:4]
	s_waitcnt lgkmcnt(0)
	s_barrier
	buffer_gl0_inv
	ds_load_b128 v[1:4], v18
	ds_load_b128 v[22:25], v19
	ds_load_b128 v[26:29], v19 offset:16
	ds_load_b128 v[30:33], v18 offset:256
	v_add_co_u32 v8, s2, v8, s4
	s_delay_alu instid0(VALU_DEP_1) | instskip(SKIP_1) | instid1(VALU_DEP_1)
	v_add_co_ci_u32_e64 v9, s2, s5, v9, s2
	v_add_co_u32 v10, s2, v10, s12
	v_add_co_ci_u32_e64 v11, s2, s13, v11, s2
	s_add_i32 s14, s14, 16
	s_delay_alu instid0(SALU_CYCLE_1)
	s_cmp_ge_i32 s14, s25
	s_waitcnt lgkmcnt(2)
	v_mul_f64 v[34:35], v[24:25], v[3:4]
	v_mul_f64 v[3:4], v[22:23], v[3:4]
	s_waitcnt lgkmcnt(0)
	v_mul_f64 v[40:41], v[28:29], v[32:33]
	v_mul_f64 v[42:43], v[26:27], v[32:33]
	s_delay_alu instid0(VALU_DEP_4) | instskip(NEXT) | instid1(VALU_DEP_4)
	v_fma_f64 v[44:45], v[22:23], v[1:2], -v[34:35]
	v_fma_f64 v[46:47], v[24:25], v[1:2], v[3:4]
	ds_load_b128 v[1:4], v18 offset:512
	ds_load_b128 v[22:25], v19 offset:32
	;; [unrolled: 1-line block ×4, first 2 shown]
	v_fma_f64 v[26:27], v[26:27], v[30:31], -v[40:41]
	v_fma_f64 v[28:29], v[28:29], v[30:31], v[42:43]
	s_waitcnt lgkmcnt(2)
	v_mul_f64 v[48:49], v[24:25], v[3:4]
	v_mul_f64 v[3:4], v[22:23], v[3:4]
	s_waitcnt lgkmcnt(0)
	v_mul_f64 v[30:31], v[34:35], v[38:39]
	v_mul_f64 v[38:39], v[32:33], v[38:39]
	v_add_f64 v[14:15], v[14:15], v[44:45]
	v_add_f64 v[12:13], v[12:13], v[46:47]
	v_fma_f64 v[40:41], v[22:23], v[1:2], -v[48:49]
	v_fma_f64 v[42:43], v[24:25], v[1:2], v[3:4]
	v_fma_f64 v[30:31], v[32:33], v[36:37], -v[30:31]
	v_fma_f64 v[32:33], v[34:35], v[36:37], v[38:39]
	v_add_f64 v[44:45], v[14:15], v[26:27]
	v_add_f64 v[46:47], v[12:13], v[28:29]
	ds_load_b128 v[1:4], v18 offset:1024
	ds_load_b128 v[12:15], v19 offset:64
	;; [unrolled: 1-line block ×4, first 2 shown]
	s_waitcnt lgkmcnt(2)
	v_mul_f64 v[48:49], v[14:15], v[3:4]
	v_mul_f64 v[3:4], v[12:13], v[3:4]
	s_waitcnt lgkmcnt(0)
	v_mul_f64 v[38:39], v[24:25], v[28:29]
	v_add_f64 v[34:35], v[44:45], v[40:41]
	v_add_f64 v[36:37], v[46:47], v[42:43]
	v_mul_f64 v[40:41], v[22:23], v[28:29]
	v_fma_f64 v[42:43], v[12:13], v[1:2], -v[48:49]
	v_fma_f64 v[44:45], v[14:15], v[1:2], v[3:4]
	v_fma_f64 v[22:23], v[22:23], v[26:27], -v[38:39]
	v_add_f64 v[46:47], v[34:35], v[30:31]
	v_add_f64 v[36:37], v[36:37], v[32:33]
	ds_load_b128 v[1:4], v18 offset:1536
	ds_load_b128 v[12:15], v19 offset:96
	;; [unrolled: 1-line block ×4, first 2 shown]
	v_fma_f64 v[24:25], v[24:25], v[26:27], v[40:41]
	s_waitcnt lgkmcnt(2)
	v_mul_f64 v[48:49], v[14:15], v[3:4]
	v_mul_f64 v[3:4], v[12:13], v[3:4]
	s_waitcnt lgkmcnt(0)
	v_mul_f64 v[38:39], v[30:31], v[34:35]
	v_mul_f64 v[40:41], v[28:29], v[34:35]
	v_add_f64 v[26:27], v[46:47], v[42:43]
	v_add_f64 v[36:37], v[36:37], v[44:45]
	v_fma_f64 v[42:43], v[12:13], v[1:2], -v[48:49]
	v_fma_f64 v[44:45], v[14:15], v[1:2], v[3:4]
	v_fma_f64 v[28:29], v[28:29], v[32:33], -v[38:39]
	v_fma_f64 v[30:31], v[30:31], v[32:33], v[40:41]
	v_add_f64 v[26:27], v[26:27], v[22:23]
	v_add_f64 v[46:47], v[36:37], v[24:25]
	ds_load_b128 v[1:4], v18 offset:2048
	ds_load_b128 v[12:15], v19 offset:128
	;; [unrolled: 1-line block ×4, first 2 shown]
	s_waitcnt lgkmcnt(2)
	v_mul_f64 v[48:49], v[14:15], v[3:4]
	v_mul_f64 v[3:4], v[12:13], v[3:4]
	s_waitcnt lgkmcnt(0)
	v_mul_f64 v[38:39], v[24:25], v[36:37]
	v_mul_f64 v[36:37], v[22:23], v[36:37]
	v_add_f64 v[26:27], v[26:27], v[42:43]
	v_add_f64 v[32:33], v[46:47], v[44:45]
	v_fma_f64 v[40:41], v[12:13], v[1:2], -v[48:49]
	v_fma_f64 v[42:43], v[14:15], v[1:2], v[3:4]
	v_fma_f64 v[22:23], v[22:23], v[34:35], -v[38:39]
	v_fma_f64 v[24:25], v[24:25], v[34:35], v[36:37]
	v_add_f64 v[44:45], v[26:27], v[28:29]
	v_add_f64 v[46:47], v[32:33], v[30:31]
	ds_load_b128 v[1:4], v18 offset:2560
	ds_load_b128 v[12:15], v19 offset:160
	;; [unrolled: 1-line block ×4, first 2 shown]
	s_waitcnt lgkmcnt(2)
	v_mul_f64 v[48:49], v[14:15], v[3:4]
	v_mul_f64 v[3:4], v[12:13], v[3:4]
	s_waitcnt lgkmcnt(0)
	v_mul_f64 v[38:39], v[28:29], v[32:33]
	v_add_f64 v[34:35], v[44:45], v[40:41]
	v_add_f64 v[36:37], v[46:47], v[42:43]
	v_mul_f64 v[40:41], v[26:27], v[32:33]
	v_fma_f64 v[42:43], v[12:13], v[1:2], -v[48:49]
	v_fma_f64 v[44:45], v[14:15], v[1:2], v[3:4]
	v_fma_f64 v[26:27], v[26:27], v[30:31], -v[38:39]
	v_add_f64 v[46:47], v[34:35], v[22:23]
	v_add_f64 v[36:37], v[36:37], v[24:25]
	ds_load_b128 v[1:4], v18 offset:3072
	ds_load_b128 v[12:15], v19 offset:192
	;; [unrolled: 1-line block ×4, first 2 shown]
	v_fma_f64 v[28:29], v[28:29], v[30:31], v[40:41]
	s_waitcnt lgkmcnt(2)
	v_mul_f64 v[48:49], v[14:15], v[3:4]
	v_mul_f64 v[3:4], v[12:13], v[3:4]
	s_waitcnt lgkmcnt(0)
	v_mul_f64 v[38:39], v[24:25], v[34:35]
	v_mul_f64 v[40:41], v[22:23], v[34:35]
	v_add_f64 v[30:31], v[46:47], v[42:43]
	v_add_f64 v[36:37], v[36:37], v[44:45]
	v_fma_f64 v[42:43], v[12:13], v[1:2], -v[48:49]
	v_fma_f64 v[44:45], v[14:15], v[1:2], v[3:4]
	v_fma_f64 v[22:23], v[22:23], v[32:33], -v[38:39]
	v_fma_f64 v[24:25], v[24:25], v[32:33], v[40:41]
	v_add_f64 v[30:31], v[30:31], v[26:27]
	v_add_f64 v[46:47], v[36:37], v[28:29]
	ds_load_b128 v[1:4], v18 offset:3584
	ds_load_b128 v[12:15], v19 offset:224
	;; [unrolled: 1-line block ×4, first 2 shown]
	s_waitcnt lgkmcnt(0)
	s_barrier
	buffer_gl0_inv
	v_mul_f64 v[48:49], v[14:15], v[3:4]
	v_mul_f64 v[3:4], v[12:13], v[3:4]
	v_mul_f64 v[38:39], v[28:29], v[36:37]
	v_mul_f64 v[36:37], v[26:27], v[36:37]
	v_add_f64 v[30:31], v[30:31], v[42:43]
	v_add_f64 v[32:33], v[46:47], v[44:45]
	v_fma_f64 v[12:13], v[12:13], v[1:2], -v[48:49]
	v_fma_f64 v[1:2], v[14:15], v[1:2], v[3:4]
	s_delay_alu instid0(VALU_DEP_4) | instskip(NEXT) | instid1(VALU_DEP_4)
	v_add_f64 v[3:4], v[30:31], v[22:23]
	v_add_f64 v[14:15], v[32:33], v[24:25]
	v_fma_f64 v[22:23], v[26:27], v[34:35], -v[38:39]
	v_fma_f64 v[24:25], v[28:29], v[34:35], v[36:37]
	s_delay_alu instid0(VALU_DEP_4) | instskip(NEXT) | instid1(VALU_DEP_4)
	v_add_f64 v[3:4], v[3:4], v[12:13]
	v_add_f64 v[1:2], v[14:15], v[1:2]
	s_delay_alu instid0(VALU_DEP_2) | instskip(NEXT) | instid1(VALU_DEP_2)
	v_add_f64 v[14:15], v[3:4], v[22:23]
	v_add_f64 v[12:13], v[1:2], v[24:25]
	s_cbranch_scc1 .LBB446_9
.LBB446_3:                              ; =>This Inner Loop Header: Depth=1
	v_add_nc_u32_e32 v1, s14, v17
	s_delay_alu instid0(VALU_DEP_1) | instskip(NEXT) | instid1(VALU_DEP_1)
	v_cmp_le_i32_e64 s2, s25, v1
	s_or_b32 s2, s3, s2
	s_delay_alu instid0(SALU_CYCLE_1) | instskip(NEXT) | instid1(SALU_CYCLE_1)
	s_and_saveexec_b32 s20, s2
	s_xor_b32 s2, exec_lo, s20
	s_cbranch_execz .LBB446_5
; %bb.4:                                ;   in Loop: Header=BB446_3 Depth=1
	v_mov_b32_e32 v1, v0
	v_mov_b32_e32 v2, v0
	;; [unrolled: 1-line block ×3, first 2 shown]
	ds_store_b128 v20, v[0:3]
.LBB446_5:                              ;   in Loop: Header=BB446_3 Depth=1
	s_and_not1_saveexec_b32 s2, s2
	s_cbranch_execz .LBB446_7
; %bb.6:                                ;   in Loop: Header=BB446_3 Depth=1
	global_load_b128 v[1:4], v[10:11], off
	s_waitcnt vmcnt(0)
	ds_store_2addr_b64 v20, v[1:2], v[3:4] offset1:1
.LBB446_7:                              ;   in Loop: Header=BB446_3 Depth=1
	s_or_b32 exec_lo, exec_lo, s2
	v_add_nc_u32_e32 v3, s14, v16
	v_mov_b32_e32 v1, 0
	v_mov_b32_e32 v2, 0
	s_delay_alu instid0(VALU_DEP_3) | instskip(NEXT) | instid1(VALU_DEP_2)
	v_cmp_gt_i32_e64 s2, s25, v3
	v_dual_mov_b32 v4, v2 :: v_dual_mov_b32 v3, v1
	s_delay_alu instid0(VALU_DEP_2) | instskip(NEXT) | instid1(SALU_CYCLE_1)
	s_and_b32 s20, vcc_lo, s2
	s_and_saveexec_b32 s2, s20
	s_cbranch_execz .LBB446_2
; %bb.8:                                ;   in Loop: Header=BB446_3 Depth=1
	global_load_b128 v[1:4], v[8:9], off offset:-8
	s_waitcnt vmcnt(0)
	v_xor_b32_e32 v4, 0x80000000, v4
	s_branch .LBB446_2
.LBB446_9:
	v_cmp_le_i32_e32 vcc_lo, v5, v7
	v_cmp_gt_i32_e64 s2, s24, v7
	s_delay_alu instid0(VALU_DEP_1) | instskip(NEXT) | instid1(SALU_CYCLE_1)
	s_and_b32 s2, vcc_lo, s2
	s_and_saveexec_b32 s3, s2
	s_cbranch_execz .LBB446_11
; %bb.10:
	s_clause 0x1
	s_load_b32 s2, s[0:1], 0x60
	s_load_b64 s[0:1], s[0:1], 0x68
	v_lshlrev_b64 v[2:3], 4, v[5:6]
	s_delay_alu instid0(VALU_DEP_4)
	v_mul_f64 v[10:11], s[16:17], v[12:13]
	v_mul_f64 v[12:13], s[18:19], v[12:13]
	s_waitcnt lgkmcnt(0)
	v_mad_i64_i32 v[0:1], null, s2, v7, 0
	s_mul_i32 s1, s15, s1
	s_mul_hi_u32 s2, s15, s0
	s_mul_i32 s0, s15, s0
	s_add_i32 s1, s2, s1
	s_delay_alu instid0(SALU_CYCLE_1) | instskip(NEXT) | instid1(VALU_DEP_1)
	s_lshl_b64 s[0:1], s[0:1], 4
	v_lshlrev_b64 v[0:1], 4, v[0:1]
	s_add_u32 s0, s10, s0
	s_addc_u32 s1, s11, s1
	s_delay_alu instid0(VALU_DEP_1) | instskip(NEXT) | instid1(VALU_DEP_2)
	v_add_co_u32 v0, vcc_lo, s0, v0
	v_add_co_ci_u32_e32 v1, vcc_lo, s1, v1, vcc_lo
	s_delay_alu instid0(VALU_DEP_2) | instskip(NEXT) | instid1(VALU_DEP_2)
	v_add_co_u32 v8, vcc_lo, v0, v2
	v_add_co_ci_u32_e32 v9, vcc_lo, v1, v3, vcc_lo
	v_fma_f64 v[10:11], s[18:19], v[14:15], v[10:11]
	v_fma_f64 v[12:13], s[16:17], v[14:15], -v[12:13]
	v_cmp_ne_u32_e32 vcc_lo, v5, v7
	global_load_b128 v[0:3], v[8:9], off
	s_waitcnt vmcnt(0)
	v_mul_f64 v[16:17], s[6:7], v[2:3]
	v_mul_f64 v[2:3], s[8:9], v[2:3]
	s_delay_alu instid0(VALU_DEP_2) | instskip(NEXT) | instid1(VALU_DEP_2)
	v_fma_f64 v[16:17], s[8:9], v[0:1], v[16:17]
	v_fma_f64 v[0:1], s[6:7], v[0:1], -v[2:3]
	s_delay_alu instid0(VALU_DEP_2) | instskip(NEXT) | instid1(VALU_DEP_2)
	v_add_f64 v[2:3], v[10:11], v[16:17]
	v_add_f64 v[0:1], v[12:13], v[0:1]
	s_delay_alu instid0(VALU_DEP_2)
	v_dual_cndmask_b32 v3, 0, v3 :: v_dual_cndmask_b32 v2, 0, v2
	global_store_b128 v[8:9], v[0:3], off
.LBB446_11:
	s_nop 0
	s_sendmsg sendmsg(MSG_DEALLOC_VGPRS)
	s_endpgm
	.section	.rodata,"a",@progbits
	.p2align	6, 0x0
	.amdhsa_kernel _ZL32rocblas_syrkx_herkx_small_kernelIi19rocblas_complex_numIdELi16ELb0ELb1ELc78ELc85EKS1_S1_EviT_T0_PT6_S3_lS6_S3_lS4_PT7_S3_li
		.amdhsa_group_segment_fixed_size 8192
		.amdhsa_private_segment_fixed_size 0
		.amdhsa_kernarg_size 116
		.amdhsa_user_sgpr_count 13
		.amdhsa_user_sgpr_dispatch_ptr 0
		.amdhsa_user_sgpr_queue_ptr 0
		.amdhsa_user_sgpr_kernarg_segment_ptr 1
		.amdhsa_user_sgpr_dispatch_id 0
		.amdhsa_user_sgpr_private_segment_size 0
		.amdhsa_wavefront_size32 1
		.amdhsa_uses_dynamic_stack 0
		.amdhsa_enable_private_segment 0
		.amdhsa_system_sgpr_workgroup_id_x 1
		.amdhsa_system_sgpr_workgroup_id_y 1
		.amdhsa_system_sgpr_workgroup_id_z 1
		.amdhsa_system_sgpr_workgroup_info 0
		.amdhsa_system_vgpr_workitem_id 1
		.amdhsa_next_free_vgpr 50
		.amdhsa_next_free_sgpr 30
		.amdhsa_reserve_vcc 1
		.amdhsa_float_round_mode_32 0
		.amdhsa_float_round_mode_16_64 0
		.amdhsa_float_denorm_mode_32 3
		.amdhsa_float_denorm_mode_16_64 3
		.amdhsa_dx10_clamp 1
		.amdhsa_ieee_mode 1
		.amdhsa_fp16_overflow 0
		.amdhsa_workgroup_processor_mode 1
		.amdhsa_memory_ordered 1
		.amdhsa_forward_progress 0
		.amdhsa_shared_vgpr_count 0
		.amdhsa_exception_fp_ieee_invalid_op 0
		.amdhsa_exception_fp_denorm_src 0
		.amdhsa_exception_fp_ieee_div_zero 0
		.amdhsa_exception_fp_ieee_overflow 0
		.amdhsa_exception_fp_ieee_underflow 0
		.amdhsa_exception_fp_ieee_inexact 0
		.amdhsa_exception_int_div_zero 0
	.end_amdhsa_kernel
	.section	.text._ZL32rocblas_syrkx_herkx_small_kernelIi19rocblas_complex_numIdELi16ELb0ELb1ELc78ELc85EKS1_S1_EviT_T0_PT6_S3_lS6_S3_lS4_PT7_S3_li,"axG",@progbits,_ZL32rocblas_syrkx_herkx_small_kernelIi19rocblas_complex_numIdELi16ELb0ELb1ELc78ELc85EKS1_S1_EviT_T0_PT6_S3_lS6_S3_lS4_PT7_S3_li,comdat
.Lfunc_end446:
	.size	_ZL32rocblas_syrkx_herkx_small_kernelIi19rocblas_complex_numIdELi16ELb0ELb1ELc78ELc85EKS1_S1_EviT_T0_PT6_S3_lS6_S3_lS4_PT7_S3_li, .Lfunc_end446-_ZL32rocblas_syrkx_herkx_small_kernelIi19rocblas_complex_numIdELi16ELb0ELb1ELc78ELc85EKS1_S1_EviT_T0_PT6_S3_lS6_S3_lS4_PT7_S3_li
                                        ; -- End function
	.section	.AMDGPU.csdata,"",@progbits
; Kernel info:
; codeLenInByte = 2096
; NumSgprs: 32
; NumVgprs: 50
; ScratchSize: 0
; MemoryBound: 1
; FloatMode: 240
; IeeeMode: 1
; LDSByteSize: 8192 bytes/workgroup (compile time only)
; SGPRBlocks: 3
; VGPRBlocks: 6
; NumSGPRsForWavesPerEU: 32
; NumVGPRsForWavesPerEU: 50
; Occupancy: 16
; WaveLimiterHint : 0
; COMPUTE_PGM_RSRC2:SCRATCH_EN: 0
; COMPUTE_PGM_RSRC2:USER_SGPR: 13
; COMPUTE_PGM_RSRC2:TRAP_HANDLER: 0
; COMPUTE_PGM_RSRC2:TGID_X_EN: 1
; COMPUTE_PGM_RSRC2:TGID_Y_EN: 1
; COMPUTE_PGM_RSRC2:TGID_Z_EN: 1
; COMPUTE_PGM_RSRC2:TIDIG_COMP_CNT: 1
	.section	.text._ZL34rocblas_syrkx_herkx_general_kernelIi19rocblas_complex_numIdELi16ELi32ELi8ELb1ELb1ELc84ELc76EKS1_S1_EviT_T0_PT8_S3_lS6_S3_lS4_PT9_S3_li,"axG",@progbits,_ZL34rocblas_syrkx_herkx_general_kernelIi19rocblas_complex_numIdELi16ELi32ELi8ELb1ELb1ELc84ELc76EKS1_S1_EviT_T0_PT8_S3_lS6_S3_lS4_PT9_S3_li,comdat
	.globl	_ZL34rocblas_syrkx_herkx_general_kernelIi19rocblas_complex_numIdELi16ELi32ELi8ELb1ELb1ELc84ELc76EKS1_S1_EviT_T0_PT8_S3_lS6_S3_lS4_PT9_S3_li ; -- Begin function _ZL34rocblas_syrkx_herkx_general_kernelIi19rocblas_complex_numIdELi16ELi32ELi8ELb1ELb1ELc84ELc76EKS1_S1_EviT_T0_PT8_S3_lS6_S3_lS4_PT9_S3_li
	.p2align	8
	.type	_ZL34rocblas_syrkx_herkx_general_kernelIi19rocblas_complex_numIdELi16ELi32ELi8ELb1ELb1ELc84ELc76EKS1_S1_EviT_T0_PT8_S3_lS6_S3_lS4_PT9_S3_li,@function
_ZL34rocblas_syrkx_herkx_general_kernelIi19rocblas_complex_numIdELi16ELi32ELi8ELb1ELb1ELc84ELc76EKS1_S1_EviT_T0_PT8_S3_lS6_S3_lS4_PT9_S3_li: ; @_ZL34rocblas_syrkx_herkx_general_kernelIi19rocblas_complex_numIdELi16ELi32ELi8ELb1ELb1ELc84ELc76EKS1_S1_EviT_T0_PT8_S3_lS6_S3_lS4_PT9_S3_li
; %bb.0:
	s_clause 0x2
	s_load_b64 s[16:17], s[0:1], 0x0
	s_load_b128 s[4:7], s[0:1], 0x8
	s_load_b64 s[18:19], s[0:1], 0x18
	v_mov_b32_e32 v20, 0
	v_dual_mov_b32 v21, 0 :: v_dual_and_b32 v24, 0x3ff, v0
	v_bfe_u32 v25, v0, 10, 10
	s_delay_alu instid0(VALU_DEP_3) | instskip(NEXT) | instid1(VALU_DEP_3)
	v_mov_b32_e32 v8, v20
	v_dual_mov_b32 v10, v20 :: v_dual_mov_b32 v11, v21
	v_dual_mov_b32 v23, v21 :: v_dual_mov_b32 v22, v20
	;; [unrolled: 1-line block ×6, first 2 shown]
	v_mov_b32_e32 v13, v21
	s_lshl_b32 s12, s13, 5
	s_lshl_b32 s13, s14, 5
	s_waitcnt lgkmcnt(0)
	s_cmp_lt_i32 s17, 1
	s_mov_b32 s14, 0
	s_cbranch_scc1 .LBB447_11
; %bb.1:
	s_load_b32 s2, s[0:1], 0x20
	v_lshl_add_u32 v0, v25, 4, v24
	v_dual_mov_b32 v12, 0 :: v_dual_lshlrev_b32 v27, 4, v24
	s_clause 0x2
	s_load_b128 s[8:11], s[0:1], 0x28
	s_load_b32 s3, s[0:1], 0x38
	s_load_b64 s[20:21], s[0:1], 0x40
	v_dual_mov_b32 v13, 0 :: v_dual_and_b32 v26, 7, v24
	v_and_b32_e32 v2, 31, v0
	v_lshrrev_b32_e32 v1, 3, v0
	v_lshrrev_b32_e32 v29, 5, v0
	s_delay_alu instid0(VALU_DEP_4) | instskip(SKIP_3) | instid1(VALU_DEP_4)
	v_dual_mov_b32 v19, v13 :: v_dual_lshlrev_b32 v6, 4, v26
	v_mov_b32_e32 v15, v13
	v_add_nc_u32_e32 v3, s12, v2
	v_dual_mov_b32 v17, v13 :: v_dual_add_nc_u32 v4, s13, v1
	v_lshl_or_b32 v7, v1, 7, v6
	v_or_b32_e32 v5, s12, v2
	v_lshlrev_b32_e32 v2, 4, v2
	v_dual_mov_b32 v10, v12 :: v_dual_mov_b32 v23, v13
	s_waitcnt lgkmcnt(0)
	v_mad_i64_i32 v[0:1], null, s2, v3, 0
	s_mul_i32 s9, s9, s15
	s_mul_hi_u32 s22, s8, s15
	v_mov_b32_e32 v11, v13
	v_lshl_or_b32 v30, v29, 9, v2
	v_mad_i64_i32 v[2:3], null, s3, v4, 0
	s_delay_alu instid0(VALU_DEP_4)
	v_lshlrev_b64 v[0:1], 4, v[0:1]
	s_mul_i32 s8, s8, s15
	s_add_i32 s9, s22, s9
	v_cmp_gt_i32_e64 s2, s16, v4
	s_lshl_b64 s[8:9], s[8:9], 4
	v_dual_mov_b32 v14, v12 :: v_dual_add_nc_u32 v31, 0x1000, v7
	v_add_co_u32 v4, s3, v0, s8
	v_dual_mov_b32 v18, v12 :: v_dual_lshlrev_b32 v7, 4, v29
	v_cmp_gt_i32_e32 vcc_lo, s16, v5
	v_add_co_ci_u32_e64 v5, s3, s9, v1, s3
	s_mul_i32 s3, s21, s15
	s_mul_hi_u32 s8, s20, s15
	v_lshlrev_b64 v[0:1], 4, v[2:3]
	s_add_i32 s9, s8, s3
	s_mul_i32 s8, s20, s15
	v_add_co_u32 v2, s3, v4, v7
	s_lshl_b64 s[8:9], s[8:9], 4
	v_add_co_ci_u32_e64 v3, s3, 0, v5, s3
	v_add_co_u32 v0, s3, v0, s8
	s_delay_alu instid0(VALU_DEP_1) | instskip(SKIP_1) | instid1(VALU_DEP_1)
	v_add_co_ci_u32_e64 v1, s3, s9, v1, s3
	v_add_co_u32 v4, s3, s18, v2
	v_add_co_ci_u32_e64 v5, s3, s19, v3, s3
	s_delay_alu instid0(VALU_DEP_4) | instskip(NEXT) | instid1(VALU_DEP_1)
	v_add_co_u32 v0, s3, v0, v6
	v_add_co_ci_u32_e64 v1, s3, 0, v1, s3
	v_dual_mov_b32 v8, v12 :: v_dual_mov_b32 v21, v13
	s_delay_alu instid0(VALU_DEP_3) | instskip(SKIP_1) | instid1(VALU_DEP_4)
	v_add_co_u32 v6, s3, s10, v0
	v_lshl_add_u32 v28, v25, 7, 0x1000
	v_add_co_ci_u32_e64 v7, s3, s11, v1, s3
	v_mov_b32_e32 v0, 0
	v_dual_mov_b32 v16, v12 :: v_dual_mov_b32 v9, v13
	v_mov_b32_e32 v22, v12
	v_mov_b32_e32 v20, v12
	s_xor_b32 s3, vcc_lo, -1
	s_xor_b32 s2, s2, -1
	s_branch .LBB447_3
.LBB447_2:                              ;   in Loop: Header=BB447_3 Depth=1
	s_or_b32 exec_lo, exec_lo, s8
	s_waitcnt lgkmcnt(0)
	s_barrier
	buffer_gl0_inv
	ds_load_b128 v[32:35], v28
	ds_load_b128 v[36:39], v28 offset:16
	ds_load_b128 v[40:43], v28 offset:32
	;; [unrolled: 1-line block ×3, first 2 shown]
	ds_load_b128 v[48:51], v27
	v_add_co_u32 v4, vcc_lo, 0x80, v4
	v_add_co_ci_u32_e32 v5, vcc_lo, 0, v5, vcc_lo
	v_add_co_u32 v6, vcc_lo, 0x80, v6
	v_add_co_ci_u32_e32 v7, vcc_lo, 0, v7, vcc_lo
	s_add_i32 s14, s14, 8
	s_delay_alu instid0(SALU_CYCLE_1) | instskip(SKIP_3) | instid1(VALU_DEP_2)
	s_cmp_ge_i32 s14, s17
	s_waitcnt lgkmcnt(0)
	v_mul_f64 v[1:2], v[34:35], v[50:51]
	v_mul_f64 v[52:53], v[32:33], v[50:51]
	v_fma_f64 v[1:2], v[32:33], v[48:49], -v[1:2]
	s_delay_alu instid0(VALU_DEP_2) | instskip(NEXT) | instid1(VALU_DEP_2)
	v_fma_f64 v[52:53], v[34:35], v[48:49], v[52:53]
	v_add_f64 v[1:2], v[20:21], v[1:2]
	s_delay_alu instid0(VALU_DEP_2) | instskip(SKIP_3) | instid1(VALU_DEP_1)
	v_add_f64 v[52:53], v[22:23], v[52:53]
	ds_load_b128 v[20:23], v27 offset:256
	s_waitcnt lgkmcnt(0)
	v_mul_f64 v[54:55], v[34:35], v[22:23]
	v_fma_f64 v[54:55], v[32:33], v[20:21], -v[54:55]
	v_mul_f64 v[32:33], v[32:33], v[22:23]
	s_delay_alu instid0(VALU_DEP_1) | instskip(NEXT) | instid1(VALU_DEP_3)
	v_fma_f64 v[32:33], v[34:35], v[20:21], v[32:33]
	v_add_f64 v[34:35], v[8:9], v[54:55]
	s_delay_alu instid0(VALU_DEP_2) | instskip(SKIP_4) | instid1(VALU_DEP_2)
	v_add_f64 v[32:33], v[10:11], v[32:33]
	ds_load_b128 v[8:11], v28 offset:2048
	s_waitcnt lgkmcnt(0)
	v_mul_f64 v[54:55], v[10:11], v[50:51]
	v_mul_f64 v[50:51], v[8:9], v[50:51]
	v_fma_f64 v[54:55], v[8:9], v[48:49], -v[54:55]
	s_delay_alu instid0(VALU_DEP_2) | instskip(NEXT) | instid1(VALU_DEP_2)
	v_fma_f64 v[48:49], v[10:11], v[48:49], v[50:51]
	v_add_f64 v[50:51], v[16:17], v[54:55]
	v_mul_f64 v[16:17], v[10:11], v[22:23]
	s_delay_alu instid0(VALU_DEP_3) | instskip(NEXT) | instid1(VALU_DEP_2)
	v_add_f64 v[48:49], v[18:19], v[48:49]
	v_fma_f64 v[16:17], v[8:9], v[20:21], -v[16:17]
	v_mul_f64 v[8:9], v[8:9], v[22:23]
	s_delay_alu instid0(VALU_DEP_1) | instskip(NEXT) | instid1(VALU_DEP_3)
	v_fma_f64 v[8:9], v[10:11], v[20:21], v[8:9]
	v_add_f64 v[20:21], v[14:15], v[16:17]
	s_delay_alu instid0(VALU_DEP_2) | instskip(SKIP_4) | instid1(VALU_DEP_2)
	v_add_f64 v[22:23], v[12:13], v[8:9]
	ds_load_b128 v[8:11], v27 offset:512
	s_waitcnt lgkmcnt(0)
	v_mul_f64 v[12:13], v[38:39], v[10:11]
	v_mul_f64 v[14:15], v[36:37], v[10:11]
	v_fma_f64 v[12:13], v[36:37], v[8:9], -v[12:13]
	s_delay_alu instid0(VALU_DEP_2) | instskip(NEXT) | instid1(VALU_DEP_2)
	v_fma_f64 v[14:15], v[38:39], v[8:9], v[14:15]
	v_add_f64 v[1:2], v[1:2], v[12:13]
	s_delay_alu instid0(VALU_DEP_2) | instskip(SKIP_4) | instid1(VALU_DEP_2)
	v_add_f64 v[52:53], v[52:53], v[14:15]
	ds_load_b128 v[12:15], v27 offset:768
	s_waitcnt lgkmcnt(0)
	v_mul_f64 v[16:17], v[38:39], v[14:15]
	v_mul_f64 v[18:19], v[36:37], v[14:15]
	v_fma_f64 v[16:17], v[36:37], v[12:13], -v[16:17]
	s_delay_alu instid0(VALU_DEP_2) | instskip(NEXT) | instid1(VALU_DEP_2)
	v_fma_f64 v[18:19], v[38:39], v[12:13], v[18:19]
	v_add_f64 v[34:35], v[34:35], v[16:17]
	s_delay_alu instid0(VALU_DEP_2) | instskip(SKIP_4) | instid1(VALU_DEP_2)
	v_add_f64 v[32:33], v[32:33], v[18:19]
	ds_load_b128 v[16:19], v28 offset:2064
	s_waitcnt lgkmcnt(0)
	v_mul_f64 v[36:37], v[18:19], v[10:11]
	v_mul_f64 v[10:11], v[16:17], v[10:11]
	v_fma_f64 v[36:37], v[16:17], v[8:9], -v[36:37]
	s_delay_alu instid0(VALU_DEP_2) | instskip(SKIP_1) | instid1(VALU_DEP_3)
	v_fma_f64 v[8:9], v[18:19], v[8:9], v[10:11]
	v_mul_f64 v[10:11], v[16:17], v[14:15]
	v_add_f64 v[36:37], v[50:51], v[36:37]
	s_delay_alu instid0(VALU_DEP_3) | instskip(SKIP_1) | instid1(VALU_DEP_4)
	v_add_f64 v[38:39], v[48:49], v[8:9]
	v_mul_f64 v[8:9], v[18:19], v[14:15]
	v_fma_f64 v[10:11], v[18:19], v[12:13], v[10:11]
	s_delay_alu instid0(VALU_DEP_2) | instskip(NEXT) | instid1(VALU_DEP_2)
	v_fma_f64 v[8:9], v[16:17], v[12:13], -v[8:9]
	v_add_f64 v[22:23], v[22:23], v[10:11]
	s_delay_alu instid0(VALU_DEP_2) | instskip(SKIP_4) | instid1(VALU_DEP_2)
	v_add_f64 v[20:21], v[20:21], v[8:9]
	ds_load_b128 v[8:11], v27 offset:1024
	s_waitcnt lgkmcnt(0)
	v_mul_f64 v[12:13], v[42:43], v[10:11]
	v_mul_f64 v[14:15], v[40:41], v[10:11]
	v_fma_f64 v[12:13], v[40:41], v[8:9], -v[12:13]
	s_delay_alu instid0(VALU_DEP_2) | instskip(NEXT) | instid1(VALU_DEP_2)
	v_fma_f64 v[14:15], v[42:43], v[8:9], v[14:15]
	v_add_f64 v[1:2], v[1:2], v[12:13]
	s_delay_alu instid0(VALU_DEP_2) | instskip(SKIP_4) | instid1(VALU_DEP_2)
	v_add_f64 v[48:49], v[52:53], v[14:15]
	ds_load_b128 v[12:15], v27 offset:1280
	s_waitcnt lgkmcnt(0)
	v_mul_f64 v[16:17], v[42:43], v[14:15]
	v_mul_f64 v[18:19], v[40:41], v[14:15]
	v_fma_f64 v[16:17], v[40:41], v[12:13], -v[16:17]
	s_delay_alu instid0(VALU_DEP_2) | instskip(NEXT) | instid1(VALU_DEP_2)
	v_fma_f64 v[18:19], v[42:43], v[12:13], v[18:19]
	v_add_f64 v[34:35], v[34:35], v[16:17]
	s_delay_alu instid0(VALU_DEP_2) | instskip(SKIP_4) | instid1(VALU_DEP_2)
	v_add_f64 v[32:33], v[32:33], v[18:19]
	ds_load_b128 v[16:19], v28 offset:2080
	s_waitcnt lgkmcnt(0)
	v_mul_f64 v[40:41], v[18:19], v[10:11]
	v_mul_f64 v[10:11], v[16:17], v[10:11]
	v_fma_f64 v[40:41], v[16:17], v[8:9], -v[40:41]
	s_delay_alu instid0(VALU_DEP_2) | instskip(SKIP_1) | instid1(VALU_DEP_3)
	v_fma_f64 v[8:9], v[18:19], v[8:9], v[10:11]
	v_mul_f64 v[10:11], v[16:17], v[14:15]
	v_add_f64 v[36:37], v[36:37], v[40:41]
	s_delay_alu instid0(VALU_DEP_3) | instskip(SKIP_1) | instid1(VALU_DEP_4)
	v_add_f64 v[38:39], v[38:39], v[8:9]
	v_mul_f64 v[8:9], v[18:19], v[14:15]
	v_fma_f64 v[10:11], v[18:19], v[12:13], v[10:11]
	s_delay_alu instid0(VALU_DEP_2) | instskip(NEXT) | instid1(VALU_DEP_2)
	v_fma_f64 v[8:9], v[16:17], v[12:13], -v[8:9]
	;; [unrolled: 38-line block ×3, first 2 shown]
	v_add_f64 v[22:23], v[22:23], v[10:11]
	s_delay_alu instid0(VALU_DEP_2)
	v_add_f64 v[20:21], v[20:21], v[8:9]
	ds_load_b128 v[8:11], v28 offset:64
	ds_load_b128 v[12:15], v27 offset:2048
	s_waitcnt lgkmcnt(0)
	v_mul_f64 v[16:17], v[10:11], v[14:15]
	v_mul_f64 v[18:19], v[8:9], v[14:15]
	s_delay_alu instid0(VALU_DEP_2) | instskip(NEXT) | instid1(VALU_DEP_2)
	v_fma_f64 v[16:17], v[8:9], v[12:13], -v[16:17]
	v_fma_f64 v[18:19], v[10:11], v[12:13], v[18:19]
	s_delay_alu instid0(VALU_DEP_2) | instskip(NEXT) | instid1(VALU_DEP_2)
	v_add_f64 v[1:2], v[1:2], v[16:17]
	v_add_f64 v[40:41], v[40:41], v[18:19]
	ds_load_b128 v[16:19], v27 offset:2304
	s_waitcnt lgkmcnt(0)
	v_mul_f64 v[42:43], v[10:11], v[18:19]
	s_delay_alu instid0(VALU_DEP_1) | instskip(SKIP_1) | instid1(VALU_DEP_2)
	v_fma_f64 v[42:43], v[8:9], v[16:17], -v[42:43]
	v_mul_f64 v[8:9], v[8:9], v[18:19]
	v_add_f64 v[34:35], v[34:35], v[42:43]
	s_delay_alu instid0(VALU_DEP_2) | instskip(NEXT) | instid1(VALU_DEP_1)
	v_fma_f64 v[8:9], v[10:11], v[16:17], v[8:9]
	v_add_f64 v[32:33], v[32:33], v[8:9]
	ds_load_b128 v[8:11], v28 offset:2112
	s_waitcnt lgkmcnt(0)
	v_mul_f64 v[42:43], v[10:11], v[14:15]
	v_mul_f64 v[14:15], v[8:9], v[14:15]
	s_delay_alu instid0(VALU_DEP_2) | instskip(NEXT) | instid1(VALU_DEP_2)
	v_fma_f64 v[42:43], v[8:9], v[12:13], -v[42:43]
	v_fma_f64 v[12:13], v[10:11], v[12:13], v[14:15]
	s_delay_alu instid0(VALU_DEP_2) | instskip(NEXT) | instid1(VALU_DEP_2)
	v_add_f64 v[36:37], v[36:37], v[42:43]
	v_add_f64 v[38:39], v[38:39], v[12:13]
	v_mul_f64 v[12:13], v[10:11], v[18:19]
	s_delay_alu instid0(VALU_DEP_1) | instskip(SKIP_1) | instid1(VALU_DEP_2)
	v_fma_f64 v[12:13], v[8:9], v[16:17], -v[12:13]
	v_mul_f64 v[8:9], v[8:9], v[18:19]
	v_add_f64 v[20:21], v[20:21], v[12:13]
	s_delay_alu instid0(VALU_DEP_2) | instskip(NEXT) | instid1(VALU_DEP_1)
	v_fma_f64 v[8:9], v[10:11], v[16:17], v[8:9]
	v_add_f64 v[22:23], v[22:23], v[8:9]
	ds_load_b128 v[8:11], v28 offset:80
	ds_load_b128 v[12:15], v27 offset:2560
	s_waitcnt lgkmcnt(0)
	v_mul_f64 v[16:17], v[10:11], v[14:15]
	v_mul_f64 v[18:19], v[8:9], v[14:15]
	s_delay_alu instid0(VALU_DEP_2) | instskip(NEXT) | instid1(VALU_DEP_2)
	v_fma_f64 v[16:17], v[8:9], v[12:13], -v[16:17]
	v_fma_f64 v[18:19], v[10:11], v[12:13], v[18:19]
	s_delay_alu instid0(VALU_DEP_2) | instskip(NEXT) | instid1(VALU_DEP_2)
	v_add_f64 v[1:2], v[1:2], v[16:17]
	v_add_f64 v[40:41], v[40:41], v[18:19]
	ds_load_b128 v[16:19], v27 offset:2816
	s_waitcnt lgkmcnt(0)
	v_mul_f64 v[42:43], v[10:11], v[18:19]
	s_delay_alu instid0(VALU_DEP_1) | instskip(SKIP_1) | instid1(VALU_DEP_2)
	v_fma_f64 v[42:43], v[8:9], v[16:17], -v[42:43]
	v_mul_f64 v[8:9], v[8:9], v[18:19]
	v_add_f64 v[34:35], v[34:35], v[42:43]
	s_delay_alu instid0(VALU_DEP_2) | instskip(NEXT) | instid1(VALU_DEP_1)
	v_fma_f64 v[8:9], v[10:11], v[16:17], v[8:9]
	v_add_f64 v[32:33], v[32:33], v[8:9]
	ds_load_b128 v[8:11], v28 offset:2128
	s_waitcnt lgkmcnt(0)
	v_mul_f64 v[42:43], v[10:11], v[14:15]
	v_mul_f64 v[14:15], v[8:9], v[14:15]
	s_delay_alu instid0(VALU_DEP_2) | instskip(NEXT) | instid1(VALU_DEP_2)
	v_fma_f64 v[42:43], v[8:9], v[12:13], -v[42:43]
	v_fma_f64 v[12:13], v[10:11], v[12:13], v[14:15]
	s_delay_alu instid0(VALU_DEP_2) | instskip(NEXT) | instid1(VALU_DEP_2)
	v_add_f64 v[36:37], v[36:37], v[42:43]
	v_add_f64 v[38:39], v[38:39], v[12:13]
	v_mul_f64 v[12:13], v[10:11], v[18:19]
	s_delay_alu instid0(VALU_DEP_1) | instskip(SKIP_1) | instid1(VALU_DEP_2)
	v_fma_f64 v[12:13], v[8:9], v[16:17], -v[12:13]
	v_mul_f64 v[8:9], v[8:9], v[18:19]
	v_add_f64 v[20:21], v[20:21], v[12:13]
	s_delay_alu instid0(VALU_DEP_2) | instskip(NEXT) | instid1(VALU_DEP_1)
	v_fma_f64 v[8:9], v[10:11], v[16:17], v[8:9]
	;; [unrolled: 39-line block ×3, first 2 shown]
	v_add_f64 v[52:53], v[22:23], v[8:9]
	ds_load_b128 v[8:11], v28 offset:112
	ds_load_b128 v[12:15], v27 offset:3584
	;; [unrolled: 1-line block ×4, first 2 shown]
	s_waitcnt lgkmcnt(0)
	s_barrier
	buffer_gl0_inv
	v_mul_f64 v[16:17], v[10:11], v[14:15]
	v_mul_f64 v[18:19], v[8:9], v[14:15]
	s_delay_alu instid0(VALU_DEP_2) | instskip(NEXT) | instid1(VALU_DEP_2)
	v_fma_f64 v[16:17], v[8:9], v[12:13], -v[16:17]
	v_fma_f64 v[18:19], v[10:11], v[12:13], v[18:19]
	s_delay_alu instid0(VALU_DEP_2) | instskip(SKIP_1) | instid1(VALU_DEP_3)
	v_add_f64 v[20:21], v[1:2], v[16:17]
	v_mul_f64 v[1:2], v[10:11], v[34:35]
	v_add_f64 v[22:23], v[40:41], v[18:19]
	s_delay_alu instid0(VALU_DEP_2) | instskip(SKIP_1) | instid1(VALU_DEP_1)
	v_fma_f64 v[1:2], v[8:9], v[32:33], -v[1:2]
	v_mul_f64 v[8:9], v[8:9], v[34:35]
	v_fma_f64 v[10:11], v[10:11], v[32:33], v[8:9]
	s_delay_alu instid0(VALU_DEP_3) | instskip(SKIP_2) | instid1(VALU_DEP_4)
	v_add_f64 v[8:9], v[42:43], v[1:2]
	v_mul_f64 v[1:2], v[38:39], v[14:15]
	v_mul_f64 v[14:15], v[36:37], v[14:15]
	v_add_f64 v[10:11], v[44:45], v[10:11]
	s_delay_alu instid0(VALU_DEP_3) | instskip(NEXT) | instid1(VALU_DEP_3)
	v_fma_f64 v[1:2], v[36:37], v[12:13], -v[1:2]
	v_fma_f64 v[12:13], v[38:39], v[12:13], v[14:15]
	s_delay_alu instid0(VALU_DEP_2) | instskip(NEXT) | instid1(VALU_DEP_2)
	v_add_f64 v[16:17], v[46:47], v[1:2]
	v_add_f64 v[18:19], v[48:49], v[12:13]
	v_mul_f64 v[1:2], v[38:39], v[34:35]
	v_mul_f64 v[12:13], v[36:37], v[34:35]
	s_delay_alu instid0(VALU_DEP_2) | instskip(NEXT) | instid1(VALU_DEP_2)
	v_fma_f64 v[1:2], v[36:37], v[32:33], -v[1:2]
	v_fma_f64 v[12:13], v[38:39], v[32:33], v[12:13]
	s_delay_alu instid0(VALU_DEP_2) | instskip(NEXT) | instid1(VALU_DEP_2)
	v_add_f64 v[14:15], v[50:51], v[1:2]
	v_add_f64 v[12:13], v[52:53], v[12:13]
	s_cbranch_scc1 .LBB447_11
.LBB447_3:                              ; =>This Inner Loop Header: Depth=1
	v_add_nc_u32_e32 v1, s14, v29
	s_delay_alu instid0(VALU_DEP_1) | instskip(SKIP_1) | instid1(SALU_CYCLE_1)
	v_cmp_le_i32_e32 vcc_lo, s17, v1
	s_or_b32 s8, s3, vcc_lo
	s_and_saveexec_b32 s9, s8
	s_delay_alu instid0(SALU_CYCLE_1)
	s_xor_b32 s8, exec_lo, s9
	s_cbranch_execz .LBB447_5
; %bb.4:                                ;   in Loop: Header=BB447_3 Depth=1
	v_mov_b32_e32 v1, v0
	v_mov_b32_e32 v2, v0
	;; [unrolled: 1-line block ×3, first 2 shown]
	ds_store_b128 v30, v[0:3]
.LBB447_5:                              ;   in Loop: Header=BB447_3 Depth=1
	s_and_not1_saveexec_b32 s8, s8
	s_cbranch_execz .LBB447_7
; %bb.6:                                ;   in Loop: Header=BB447_3 Depth=1
	global_load_b128 v[32:35], v[4:5], off
	s_waitcnt vmcnt(0)
	ds_store_2addr_b64 v30, v[32:33], v[34:35] offset1:1
.LBB447_7:                              ;   in Loop: Header=BB447_3 Depth=1
	s_or_b32 exec_lo, exec_lo, s8
	v_add_nc_u32_e32 v1, s14, v26
	s_delay_alu instid0(VALU_DEP_1) | instskip(SKIP_1) | instid1(SALU_CYCLE_1)
	v_cmp_le_i32_e32 vcc_lo, s17, v1
	s_or_b32 s8, vcc_lo, s2
	s_and_saveexec_b32 s9, s8
	s_delay_alu instid0(SALU_CYCLE_1)
	s_xor_b32 s8, exec_lo, s9
	s_cbranch_execz .LBB447_9
; %bb.8:                                ;   in Loop: Header=BB447_3 Depth=1
	v_mov_b32_e32 v1, v0
	v_mov_b32_e32 v2, v0
	;; [unrolled: 1-line block ×3, first 2 shown]
	ds_store_b128 v31, v[0:3]
.LBB447_9:                              ;   in Loop: Header=BB447_3 Depth=1
	s_and_not1_saveexec_b32 s8, s8
	s_cbranch_execz .LBB447_2
; %bb.10:                               ;   in Loop: Header=BB447_3 Depth=1
	global_load_b128 v[32:35], v[6:7], off
	s_waitcnt vmcnt(0)
	ds_store_2addr_b64 v31, v[32:33], v[34:35] offset1:1
	s_branch .LBB447_2
.LBB447_11:
	s_clause 0x2
	s_load_b32 s3, s[0:1], 0x60
	s_load_b64 s[8:9], s[0:1], 0x68
	s_load_b64 s[10:11], s[0:1], 0x58
	v_add_nc_u32_e32 v4, s13, v25
	v_add_nc_u32_e32 v0, s12, v24
	s_delay_alu instid0(VALU_DEP_1)
	v_cmp_le_i32_e64 s0, v4, v0
	v_cmp_gt_i32_e32 vcc_lo, s16, v0
	s_waitcnt lgkmcnt(0)
	v_mad_i64_i32 v[1:2], null, v4, s3, 0
	s_mul_i32 s1, s15, s9
	s_mul_hi_u32 s2, s15, s8
	s_mul_i32 s8, s15, s8
	s_add_i32 s9, s2, s1
	s_delay_alu instid0(SALU_CYCLE_1) | instskip(NEXT) | instid1(VALU_DEP_1)
	s_lshl_b64 s[8:9], s[8:9], 4
	v_lshlrev_b64 v[1:2], 4, v[1:2]
	s_add_u32 s8, s10, s8
	s_addc_u32 s9, s11, s9
	s_and_b32 s0, s0, vcc_lo
	s_delay_alu instid0(VALU_DEP_1) | instskip(NEXT) | instid1(VALU_DEP_1)
	v_add_co_u32 v5, s1, s8, v1
	v_add_co_ci_u32_e64 v6, s1, s9, v2, s1
	s_and_saveexec_b32 s2, s0
	s_cbranch_execz .LBB447_13
; %bb.12:
	v_mul_f64 v[1:2], s[4:5], v[22:23]
	v_mul_f64 v[22:23], s[6:7], v[22:23]
	v_cmp_ne_u32_e64 s0, v4, v0
	s_delay_alu instid0(VALU_DEP_3) | instskip(NEXT) | instid1(VALU_DEP_3)
	v_fma_f64 v[2:3], s[6:7], v[20:21], v[1:2]
	v_fma_f64 v[20:21], s[4:5], v[20:21], -v[22:23]
	v_ashrrev_i32_e32 v1, 31, v0
	s_delay_alu instid0(VALU_DEP_1) | instskip(NEXT) | instid1(VALU_DEP_1)
	v_lshlrev_b64 v[22:23], 4, v[0:1]
	v_add_co_u32 v24, s1, v5, v22
	s_delay_alu instid0(VALU_DEP_1)
	v_add_co_ci_u32_e64 v25, s1, v6, v23, s1
	v_cndmask_b32_e64 v23, 0, v3, s0
	v_cndmask_b32_e64 v22, 0, v2, s0
	global_store_b128 v[24:25], v[20:23], off
.LBB447_13:
	s_or_b32 exec_lo, exec_lo, s2
	v_add_nc_u32_e32 v2, 16, v0
	s_delay_alu instid0(VALU_DEP_1) | instskip(SKIP_1) | instid1(VALU_DEP_1)
	v_cmp_le_i32_e64 s1, v4, v2
	v_cmp_gt_i32_e64 s0, s16, v2
	s_and_b32 s1, s1, s0
	s_delay_alu instid0(SALU_CYCLE_1)
	s_and_saveexec_b32 s10, s1
	s_cbranch_execz .LBB447_15
; %bb.14:
	v_mul_f64 v[20:21], s[4:5], v[10:11]
	v_mul_f64 v[10:11], s[6:7], v[10:11]
	v_ashrrev_i32_e32 v3, 31, v2
	v_cmp_ne_u32_e64 s1, v4, v2
	s_delay_alu instid0(VALU_DEP_4) | instskip(NEXT) | instid1(VALU_DEP_4)
	v_fma_f64 v[20:21], s[6:7], v[8:9], v[20:21]
	v_fma_f64 v[7:8], s[4:5], v[8:9], -v[10:11]
	s_delay_alu instid0(VALU_DEP_4) | instskip(NEXT) | instid1(VALU_DEP_1)
	v_lshlrev_b64 v[9:10], 4, v[2:3]
	v_add_co_u32 v5, s2, v5, v9
	s_delay_alu instid0(VALU_DEP_1)
	v_add_co_ci_u32_e64 v6, s2, v6, v10, s2
	v_cndmask_b32_e64 v10, 0, v21, s1
	v_cndmask_b32_e64 v9, 0, v20, s1
	global_store_b128 v[5:6], v[7:10], off
.LBB447_15:
	s_or_b32 exec_lo, exec_lo, s10
	v_add_nc_u32_e32 v3, 16, v4
	s_delay_alu instid0(VALU_DEP_1) | instskip(SKIP_1) | instid1(VALU_DEP_1)
	v_mad_i64_i32 v[5:6], null, v3, s3, 0
	v_cmp_le_i32_e64 s1, v3, v0
	s_and_b32 s1, s1, vcc_lo
	s_delay_alu instid0(VALU_DEP_2) | instskip(NEXT) | instid1(VALU_DEP_1)
	v_lshlrev_b64 v[5:6], 4, v[5:6]
	v_add_co_u32 v5, s2, s8, v5
	s_delay_alu instid0(VALU_DEP_1)
	v_add_co_ci_u32_e64 v6, s2, s9, v6, s2
	s_and_saveexec_b32 s2, s1
	s_cbranch_execz .LBB447_17
; %bb.16:
	v_mul_f64 v[7:8], s[4:5], v[18:19]
	v_mul_f64 v[9:10], s[6:7], v[18:19]
	v_ashrrev_i32_e32 v1, 31, v0
	v_cmp_ne_u32_e32 vcc_lo, v3, v0
	s_delay_alu instid0(VALU_DEP_4) | instskip(NEXT) | instid1(VALU_DEP_4)
	v_fma_f64 v[18:19], s[6:7], v[16:17], v[7:8]
	v_fma_f64 v[7:8], s[4:5], v[16:17], -v[9:10]
	s_delay_alu instid0(VALU_DEP_4) | instskip(NEXT) | instid1(VALU_DEP_1)
	v_lshlrev_b64 v[9:10], 4, v[0:1]
	v_add_co_u32 v16, s1, v5, v9
	s_delay_alu instid0(VALU_DEP_1)
	v_add_co_ci_u32_e64 v17, s1, v6, v10, s1
	v_dual_cndmask_b32 v10, 0, v19 :: v_dual_cndmask_b32 v9, 0, v18
	global_store_b128 v[16:17], v[7:10], off
.LBB447_17:
	s_or_b32 exec_lo, exec_lo, s2
	v_cmp_le_i32_e32 vcc_lo, v3, v2
	s_and_b32 s0, vcc_lo, s0
	s_delay_alu instid0(SALU_CYCLE_1)
	s_and_saveexec_b32 s1, s0
	s_cbranch_execz .LBB447_19
; %bb.18:
	v_mul_f64 v[7:8], s[4:5], v[12:13]
	v_mul_f64 v[9:10], s[6:7], v[12:13]
	v_ashrrev_i32_e32 v3, 31, v2
	v_cmp_ne_u32_e32 vcc_lo, v4, v0
	s_delay_alu instid0(VALU_DEP_2) | instskip(NEXT) | instid1(VALU_DEP_1)
	v_lshlrev_b64 v[1:2], 4, v[2:3]
	v_add_co_u32 v0, s0, v5, v1
	s_delay_alu instid0(VALU_DEP_1) | instskip(SKIP_2) | instid1(VALU_DEP_2)
	v_add_co_ci_u32_e64 v1, s0, v6, v2, s0
	v_fma_f64 v[11:12], s[6:7], v[14:15], v[7:8]
	v_fma_f64 v[7:8], s[4:5], v[14:15], -v[9:10]
	v_dual_cndmask_b32 v10, 0, v12 :: v_dual_cndmask_b32 v9, 0, v11
	global_store_b128 v[0:1], v[7:10], off
.LBB447_19:
	s_nop 0
	s_sendmsg sendmsg(MSG_DEALLOC_VGPRS)
	s_endpgm
	.section	.rodata,"a",@progbits
	.p2align	6, 0x0
	.amdhsa_kernel _ZL34rocblas_syrkx_herkx_general_kernelIi19rocblas_complex_numIdELi16ELi32ELi8ELb1ELb1ELc84ELc76EKS1_S1_EviT_T0_PT8_S3_lS6_S3_lS4_PT9_S3_li
		.amdhsa_group_segment_fixed_size 8192
		.amdhsa_private_segment_fixed_size 0
		.amdhsa_kernarg_size 116
		.amdhsa_user_sgpr_count 13
		.amdhsa_user_sgpr_dispatch_ptr 0
		.amdhsa_user_sgpr_queue_ptr 0
		.amdhsa_user_sgpr_kernarg_segment_ptr 1
		.amdhsa_user_sgpr_dispatch_id 0
		.amdhsa_user_sgpr_private_segment_size 0
		.amdhsa_wavefront_size32 1
		.amdhsa_uses_dynamic_stack 0
		.amdhsa_enable_private_segment 0
		.amdhsa_system_sgpr_workgroup_id_x 1
		.amdhsa_system_sgpr_workgroup_id_y 1
		.amdhsa_system_sgpr_workgroup_id_z 1
		.amdhsa_system_sgpr_workgroup_info 0
		.amdhsa_system_vgpr_workitem_id 1
		.amdhsa_next_free_vgpr 56
		.amdhsa_next_free_sgpr 23
		.amdhsa_reserve_vcc 1
		.amdhsa_float_round_mode_32 0
		.amdhsa_float_round_mode_16_64 0
		.amdhsa_float_denorm_mode_32 3
		.amdhsa_float_denorm_mode_16_64 3
		.amdhsa_dx10_clamp 1
		.amdhsa_ieee_mode 1
		.amdhsa_fp16_overflow 0
		.amdhsa_workgroup_processor_mode 1
		.amdhsa_memory_ordered 1
		.amdhsa_forward_progress 0
		.amdhsa_shared_vgpr_count 0
		.amdhsa_exception_fp_ieee_invalid_op 0
		.amdhsa_exception_fp_denorm_src 0
		.amdhsa_exception_fp_ieee_div_zero 0
		.amdhsa_exception_fp_ieee_overflow 0
		.amdhsa_exception_fp_ieee_underflow 0
		.amdhsa_exception_fp_ieee_inexact 0
		.amdhsa_exception_int_div_zero 0
	.end_amdhsa_kernel
	.section	.text._ZL34rocblas_syrkx_herkx_general_kernelIi19rocblas_complex_numIdELi16ELi32ELi8ELb1ELb1ELc84ELc76EKS1_S1_EviT_T0_PT8_S3_lS6_S3_lS4_PT9_S3_li,"axG",@progbits,_ZL34rocblas_syrkx_herkx_general_kernelIi19rocblas_complex_numIdELi16ELi32ELi8ELb1ELb1ELc84ELc76EKS1_S1_EviT_T0_PT8_S3_lS6_S3_lS4_PT9_S3_li,comdat
.Lfunc_end447:
	.size	_ZL34rocblas_syrkx_herkx_general_kernelIi19rocblas_complex_numIdELi16ELi32ELi8ELb1ELb1ELc84ELc76EKS1_S1_EviT_T0_PT8_S3_lS6_S3_lS4_PT9_S3_li, .Lfunc_end447-_ZL34rocblas_syrkx_herkx_general_kernelIi19rocblas_complex_numIdELi16ELi32ELi8ELb1ELb1ELc84ELc76EKS1_S1_EviT_T0_PT8_S3_lS6_S3_lS4_PT9_S3_li
                                        ; -- End function
	.section	.AMDGPU.csdata,"",@progbits
; Kernel info:
; codeLenInByte = 3604
; NumSgprs: 25
; NumVgprs: 56
; ScratchSize: 0
; MemoryBound: 0
; FloatMode: 240
; IeeeMode: 1
; LDSByteSize: 8192 bytes/workgroup (compile time only)
; SGPRBlocks: 3
; VGPRBlocks: 6
; NumSGPRsForWavesPerEU: 25
; NumVGPRsForWavesPerEU: 56
; Occupancy: 16
; WaveLimiterHint : 0
; COMPUTE_PGM_RSRC2:SCRATCH_EN: 0
; COMPUTE_PGM_RSRC2:USER_SGPR: 13
; COMPUTE_PGM_RSRC2:TRAP_HANDLER: 0
; COMPUTE_PGM_RSRC2:TGID_X_EN: 1
; COMPUTE_PGM_RSRC2:TGID_Y_EN: 1
; COMPUTE_PGM_RSRC2:TGID_Z_EN: 1
; COMPUTE_PGM_RSRC2:TIDIG_COMP_CNT: 1
	.section	.text._ZL34rocblas_syrkx_herkx_general_kernelIi19rocblas_complex_numIdELi16ELi32ELi8ELb1ELb1ELc67ELc76EKS1_S1_EviT_T0_PT8_S3_lS6_S3_lS4_PT9_S3_li,"axG",@progbits,_ZL34rocblas_syrkx_herkx_general_kernelIi19rocblas_complex_numIdELi16ELi32ELi8ELb1ELb1ELc67ELc76EKS1_S1_EviT_T0_PT8_S3_lS6_S3_lS4_PT9_S3_li,comdat
	.globl	_ZL34rocblas_syrkx_herkx_general_kernelIi19rocblas_complex_numIdELi16ELi32ELi8ELb1ELb1ELc67ELc76EKS1_S1_EviT_T0_PT8_S3_lS6_S3_lS4_PT9_S3_li ; -- Begin function _ZL34rocblas_syrkx_herkx_general_kernelIi19rocblas_complex_numIdELi16ELi32ELi8ELb1ELb1ELc67ELc76EKS1_S1_EviT_T0_PT8_S3_lS6_S3_lS4_PT9_S3_li
	.p2align	8
	.type	_ZL34rocblas_syrkx_herkx_general_kernelIi19rocblas_complex_numIdELi16ELi32ELi8ELb1ELb1ELc67ELc76EKS1_S1_EviT_T0_PT8_S3_lS6_S3_lS4_PT9_S3_li,@function
_ZL34rocblas_syrkx_herkx_general_kernelIi19rocblas_complex_numIdELi16ELi32ELi8ELb1ELb1ELc67ELc76EKS1_S1_EviT_T0_PT8_S3_lS6_S3_lS4_PT9_S3_li: ; @_ZL34rocblas_syrkx_herkx_general_kernelIi19rocblas_complex_numIdELi16ELi32ELi8ELb1ELb1ELc67ELc76EKS1_S1_EviT_T0_PT8_S3_lS6_S3_lS4_PT9_S3_li
; %bb.0:
	s_clause 0x2
	s_load_b64 s[16:17], s[0:1], 0x0
	s_load_b128 s[4:7], s[0:1], 0x8
	s_load_b64 s[18:19], s[0:1], 0x18
	v_mov_b32_e32 v23, 0
	v_dual_mov_b32 v24, 0 :: v_dual_and_b32 v27, 0x3ff, v0
	v_bfe_u32 v28, v0, 10, 10
	s_delay_alu instid0(VALU_DEP_3) | instskip(NEXT) | instid1(VALU_DEP_3)
	v_mov_b32_e32 v19, v23
	v_dual_mov_b32 v21, v23 :: v_dual_mov_b32 v22, v24
	v_dual_mov_b32 v26, v24 :: v_dual_mov_b32 v25, v23
	;; [unrolled: 1-line block ×6, first 2 shown]
	v_mov_b32_e32 v14, v24
	s_lshl_b32 s12, s13, 5
	s_lshl_b32 s13, s14, 5
	s_waitcnt lgkmcnt(0)
	s_cmp_lt_i32 s17, 1
	s_mov_b32 s14, 0
	s_cbranch_scc1 .LBB448_9
; %bb.1:
	s_load_b32 s2, s[0:1], 0x20
	v_lshl_add_u32 v0, v28, 4, v27
	s_clause 0x2
	s_load_b128 s[8:11], s[0:1], 0x28
	s_load_b32 s3, s[0:1], 0x38
	s_load_b64 s[20:21], s[0:1], 0x40
	v_and_b32_e32 v29, 7, v27
	v_lshlrev_b32_e32 v30, 4, v27
	v_lshl_add_u32 v31, v28, 7, 0x1000
	v_and_b32_e32 v2, 31, v0
	v_lshrrev_b32_e32 v1, 3, v0
	v_lshlrev_b32_e32 v4, 4, v29
	v_lshrrev_b32_e32 v32, 5, v0
	s_delay_alu instid0(VALU_DEP_4) | instskip(NEXT) | instid1(VALU_DEP_4)
	v_add_nc_u32_e32 v3, s12, v2
	v_add_nc_u32_e32 v5, s13, v1
	s_delay_alu instid0(VALU_DEP_4) | instskip(SKIP_3) | instid1(VALU_DEP_4)
	v_lshl_or_b32 v7, v1, 7, v4
	v_or_b32_e32 v6, s12, v2
	v_lshlrev_b32_e32 v2, 4, v2
	v_lshlrev_b32_e32 v8, 4, v32
	v_add_nc_u32_e32 v34, 0x1000, v7
	s_delay_alu instid0(VALU_DEP_4)
	v_cmp_gt_i32_e32 vcc_lo, s16, v6
	s_waitcnt lgkmcnt(0)
	v_mad_i64_i32 v[0:1], null, s2, v3, 0
	s_mul_i32 s9, s9, s15
	s_mul_hi_u32 s22, s8, s15
	s_mul_i32 s8, s8, s15
	s_add_i32 s9, s22, s9
	v_lshl_or_b32 v33, v32, 9, v2
	s_lshl_b64 s[8:9], s[8:9], 4
	s_delay_alu instid0(VALU_DEP_2) | instskip(SKIP_2) | instid1(VALU_DEP_3)
	v_lshlrev_b64 v[0:1], 4, v[0:1]
	v_mad_i64_i32 v[2:3], null, s3, v5, 0
	v_cmp_gt_i32_e64 s2, s16, v5
	v_add_co_u32 v0, s3, v0, s8
	s_delay_alu instid0(VALU_DEP_1) | instskip(SKIP_1) | instid1(VALU_DEP_2)
	v_add_co_ci_u32_e64 v1, s3, s9, v1, s3
	s_mul_hi_u32 s8, s20, s15
	v_add_co_u32 v5, s3, v0, v8
	s_delay_alu instid0(VALU_DEP_1)
	v_add_co_ci_u32_e64 v6, s3, 0, v1, s3
	s_mul_i32 s3, s21, s15
	v_lshlrev_b64 v[0:1], 4, v[2:3]
	s_add_i32 s9, s8, s3
	s_mul_i32 s8, s20, s15
	v_add_co_u32 v2, s3, v5, s18
	s_lshl_b64 s[8:9], s[8:9], 4
	v_add_co_ci_u32_e64 v3, s3, s19, v6, s3
	v_mov_b32_e32 v7, 0
	v_add_co_u32 v0, s3, v0, s8
	v_mov_b32_e32 v8, 0
	v_add_co_ci_u32_e64 v1, s3, s9, v1, s3
	v_add_co_u32 v5, s3, v2, 8
	s_delay_alu instid0(VALU_DEP_1) | instskip(NEXT) | instid1(VALU_DEP_4)
	v_add_co_ci_u32_e64 v6, s3, 0, v3, s3
	v_dual_mov_b32 v12, v8 :: v_dual_mov_b32 v11, v7
	v_add_co_u32 v0, s3, v0, v4
	s_delay_alu instid0(VALU_DEP_1) | instskip(SKIP_1) | instid1(VALU_DEP_3)
	v_add_co_ci_u32_e64 v1, s3, 0, v1, s3
	v_mov_b32_e32 v14, v8
	v_add_co_u32 v9, s3, s10, v0
	v_mov_b32_e32 v18, v8
	v_mov_b32_e32 v16, v8
	;; [unrolled: 1-line block ×5, first 2 shown]
	v_dual_mov_b32 v24, v8 :: v_dual_mov_b32 v23, v7
	v_add_co_ci_u32_e64 v10, s3, s11, v1, s3
	v_dual_mov_b32 v0, 0 :: v_dual_mov_b32 v13, v7
	v_mov_b32_e32 v17, v7
	v_mov_b32_e32 v15, v7
	v_mov_b32_e32 v21, v7
	v_mov_b32_e32 v19, v7
	v_mov_b32_e32 v25, v7
	s_xor_b32 s3, s2, -1
	s_branch .LBB448_3
.LBB448_2:                              ;   in Loop: Header=BB448_3 Depth=1
	s_or_b32 exec_lo, exec_lo, s2
	s_waitcnt lgkmcnt(0)
	s_barrier
	buffer_gl0_inv
	ds_load_b128 v[1:4], v31
	ds_load_b128 v[35:38], v30
	ds_load_b128 v[39:42], v30 offset:256
	ds_load_b128 v[43:46], v31 offset:2048
	;; [unrolled: 1-line block ×9, first 2 shown]
	v_add_co_u32 v5, s2, 0x80, v5
	s_delay_alu instid0(VALU_DEP_1) | instskip(SKIP_1) | instid1(VALU_DEP_1)
	v_add_co_ci_u32_e64 v6, s2, 0, v6, s2
	v_add_co_u32 v9, s2, 0x80, v9
	v_add_co_ci_u32_e64 v10, s2, 0, v10, s2
	s_add_i32 s14, s14, 8
	s_delay_alu instid0(SALU_CYCLE_1)
	s_cmp_ge_i32 s14, s17
	s_waitcnt lgkmcnt(9)
	v_mul_f64 v[75:76], v[3:4], v[37:38]
	v_mul_f64 v[77:78], v[1:2], v[37:38]
	s_waitcnt lgkmcnt(8)
	v_mul_f64 v[79:80], v[3:4], v[41:42]
	v_mul_f64 v[81:82], v[1:2], v[41:42]
	;; [unrolled: 3-line block ×3, first 2 shown]
	v_mul_f64 v[85:86], v[45:46], v[41:42]
	v_mul_f64 v[41:42], v[43:44], v[41:42]
	s_waitcnt lgkmcnt(4)
	v_mul_f64 v[87:88], v[49:50], v[57:58]
	v_mul_f64 v[89:90], v[47:48], v[57:58]
	s_waitcnt lgkmcnt(3)
	v_mul_f64 v[91:92], v[49:50], v[61:62]
	v_mul_f64 v[93:94], v[47:48], v[61:62]
	;; [unrolled: 1-line block ×6, first 2 shown]
	s_waitcnt lgkmcnt(0)
	v_mul_f64 v[115:116], v[73:74], v[65:66]
	v_mul_f64 v[117:118], v[73:74], v[69:70]
	v_fma_f64 v[99:100], v[1:2], v[35:36], -v[75:76]
	v_fma_f64 v[101:102], v[3:4], v[35:36], v[77:78]
	v_fma_f64 v[79:80], v[1:2], v[39:40], -v[79:80]
	v_fma_f64 v[81:82], v[3:4], v[39:40], v[81:82]
	;; [unrolled: 2-line block ×4, first 2 shown]
	ds_load_b128 v[75:78], v31 offset:32
	v_fma_f64 v[87:88], v[47:48], v[55:56], -v[87:88]
	v_fma_f64 v[89:90], v[49:50], v[55:56], v[89:90]
	v_fma_f64 v[47:48], v[47:48], v[59:60], -v[91:92]
	v_fma_f64 v[49:50], v[49:50], v[59:60], v[93:94]
	;; [unrolled: 2-line block ×4, first 2 shown]
	ds_load_b128 v[1:4], v31 offset:48
	ds_load_b128 v[35:38], v31 offset:2096
	;; [unrolled: 1-line block ×4, first 2 shown]
	s_waitcnt lgkmcnt(4)
	v_mul_f64 v[107:108], v[77:78], v[65:66]
	v_mul_f64 v[109:110], v[75:76], v[65:66]
	;; [unrolled: 1-line block ×6, first 2 shown]
	s_waitcnt lgkmcnt(1)
	v_mul_f64 v[93:94], v[1:2], v[41:42]
	s_waitcnt lgkmcnt(0)
	v_mul_f64 v[95:96], v[3:4], v[45:46]
	v_add_f64 v[23:24], v[23:24], v[99:100]
	v_add_f64 v[25:26], v[25:26], v[101:102]
	v_add_f64 v[57:58], v[19:20], v[79:80]
	v_add_f64 v[59:60], v[21:22], v[81:82]
	v_add_f64 v[61:62], v[15:16], v[83:84]
	v_add_f64 v[79:80], v[17:18], v[103:104]
	v_add_f64 v[81:82], v[11:12], v[85:86]
	v_add_f64 v[83:84], v[13:14], v[105:106]
	v_mul_f64 v[85:86], v[3:4], v[41:42]
	v_mul_f64 v[97:98], v[1:2], v[45:46]
	;; [unrolled: 1-line block ×6, first 2 shown]
	ds_load_b128 v[11:14], v30 offset:2048
	ds_load_b128 v[15:18], v30 offset:2304
	;; [unrolled: 1-line block ×3, first 2 shown]
	v_fma_f64 v[105:106], v[75:76], v[63:64], -v[107:108]
	v_fma_f64 v[107:108], v[77:78], v[63:64], v[109:110]
	v_fma_f64 v[75:76], v[75:76], v[67:68], -v[111:112]
	v_fma_f64 v[77:78], v[77:78], v[67:68], v[113:114]
	;; [unrolled: 2-line block ×4, first 2 shown]
	s_waitcnt lgkmcnt(0)
	v_mul_f64 v[115:116], v[21:22], v[13:14]
	v_mul_f64 v[117:118], v[21:22], v[17:18]
	v_add_f64 v[69:70], v[23:24], v[87:88]
	v_add_f64 v[71:72], v[25:26], v[89:90]
	;; [unrolled: 1-line block ×8, first 2 shown]
	ds_load_b128 v[23:26], v31 offset:64
	v_fma_f64 v[85:86], v[1:2], v[39:40], -v[85:86]
	v_fma_f64 v[93:94], v[3:4], v[39:40], v[93:94]
	v_fma_f64 v[95:96], v[1:2], v[43:44], -v[95:96]
	v_fma_f64 v[97:98], v[3:4], v[43:44], v[97:98]
	;; [unrolled: 2-line block ×4, first 2 shown]
	ds_load_b128 v[45:48], v31 offset:80
	ds_load_b128 v[49:52], v31 offset:2128
	;; [unrolled: 1-line block ×7, first 2 shown]
	s_waitcnt lgkmcnt(7)
	v_mul_f64 v[89:90], v[25:26], v[13:14]
	v_mul_f64 v[91:92], v[23:24], v[13:14]
	;; [unrolled: 1-line block ×6, first 2 shown]
	s_waitcnt lgkmcnt(3)
	v_mul_f64 v[103:104], v[51:52], v[59:60]
	v_add_f64 v[69:70], v[69:70], v[105:106]
	v_add_f64 v[71:72], v[71:72], v[107:108]
	;; [unrolled: 1-line block ×8, first 2 shown]
	v_mul_f64 v[77:78], v[47:48], v[55:56]
	v_mul_f64 v[79:80], v[45:46], v[55:56]
	v_mul_f64 v[81:82], v[47:48], v[59:60]
	v_mul_f64 v[83:84], v[45:46], v[59:60]
	v_mul_f64 v[87:88], v[51:52], v[55:56]
	v_mul_f64 v[55:56], v[49:50], v[55:56]
	v_mul_f64 v[105:106], v[49:50], v[59:60]
	v_fma_f64 v[89:90], v[23:24], v[11:12], -v[89:90]
	v_fma_f64 v[91:92], v[25:26], v[11:12], v[91:92]
	v_fma_f64 v[107:108], v[23:24], v[15:16], -v[111:112]
	v_fma_f64 v[109:110], v[25:26], v[15:16], v[113:114]
	;; [unrolled: 2-line block ×4, first 2 shown]
	ds_load_b128 v[11:14], v31 offset:96
	v_add_f64 v[69:70], v[69:70], v[85:86]
	v_add_f64 v[71:72], v[71:72], v[93:94]
	;; [unrolled: 1-line block ×8, first 2 shown]
	s_waitcnt lgkmcnt(1)
	v_mul_f64 v[99:100], v[41:42], v[3:4]
	v_mul_f64 v[101:102], v[41:42], v[37:38]
	v_fma_f64 v[77:78], v[45:46], v[53:54], -v[77:78]
	v_fma_f64 v[79:80], v[47:48], v[53:54], v[79:80]
	v_fma_f64 v[45:46], v[45:46], v[57:58], -v[81:82]
	v_fma_f64 v[47:48], v[47:48], v[57:58], v[83:84]
	;; [unrolled: 2-line block ×4, first 2 shown]
	s_waitcnt lgkmcnt(0)
	v_mul_f64 v[67:68], v[13:14], v[3:4]
	v_mul_f64 v[93:94], v[11:12], v[3:4]
	;; [unrolled: 1-line block ×6, first 2 shown]
	ds_load_b128 v[15:18], v31 offset:112
	ds_load_b128 v[19:22], v31 offset:2160
	;; [unrolled: 1-line block ×4, first 2 shown]
	s_waitcnt lgkmcnt(0)
	s_barrier
	buffer_gl0_inv
	v_add_f64 v[55:56], v[69:70], v[89:90]
	v_add_f64 v[57:58], v[71:72], v[91:92]
	;; [unrolled: 1-line block ×8, first 2 shown]
	v_mul_f64 v[75:76], v[17:18], v[25:26]
	v_mul_f64 v[83:84], v[15:16], v[25:26]
	;; [unrolled: 1-line block ×8, first 2 shown]
	v_fma_f64 v[67:68], v[11:12], v[1:2], -v[67:68]
	v_fma_f64 v[93:94], v[13:14], v[1:2], v[93:94]
	v_fma_f64 v[11:12], v[11:12], v[35:36], -v[95:96]
	v_fma_f64 v[13:14], v[13:14], v[35:36], v[97:98]
	;; [unrolled: 2-line block ×4, first 2 shown]
	v_add_f64 v[37:38], v[55:56], v[77:78]
	v_add_f64 v[39:40], v[57:58], v[79:80]
	;; [unrolled: 1-line block ×8, first 2 shown]
	v_fma_f64 v[51:52], v[15:16], v[23:24], -v[75:76]
	v_fma_f64 v[55:56], v[17:18], v[23:24], v[83:84]
	v_fma_f64 v[15:16], v[15:16], v[59:60], -v[85:86]
	v_fma_f64 v[17:18], v[17:18], v[59:60], v[87:88]
	;; [unrolled: 2-line block ×4, first 2 shown]
	v_add_f64 v[19:20], v[37:38], v[67:68]
	v_add_f64 v[21:22], v[39:40], v[93:94]
	;; [unrolled: 1-line block ×16, first 2 shown]
	s_cbranch_scc1 .LBB448_9
.LBB448_3:                              ; =>This Inner Loop Header: Depth=1
	v_add_nc_u32_e32 v1, s14, v32
	v_dual_mov_b32 v3, v7 :: v_dual_mov_b32 v4, v8
	s_delay_alu instid0(VALU_DEP_2) | instskip(SKIP_1) | instid1(VALU_DEP_2)
	v_cmp_gt_i32_e64 s2, s17, v1
	v_dual_mov_b32 v1, v7 :: v_dual_mov_b32 v2, v8
	s_and_b32 s8, vcc_lo, s2
	s_delay_alu instid0(SALU_CYCLE_1)
	s_and_saveexec_b32 s2, s8
	s_cbranch_execz .LBB448_5
; %bb.4:                                ;   in Loop: Header=BB448_3 Depth=1
	global_load_b128 v[1:4], v[5:6], off offset:-8
	s_waitcnt vmcnt(0)
	v_xor_b32_e32 v4, 0x80000000, v4
.LBB448_5:                              ;   in Loop: Header=BB448_3 Depth=1
	s_or_b32 exec_lo, exec_lo, s2
	v_add_nc_u32_e32 v35, s14, v29
	ds_store_b128 v33, v[1:4]
	v_cmp_le_i32_e64 s2, s17, v35
	s_delay_alu instid0(VALU_DEP_1) | instskip(NEXT) | instid1(SALU_CYCLE_1)
	s_or_b32 s2, s2, s3
	s_and_saveexec_b32 s8, s2
	s_delay_alu instid0(SALU_CYCLE_1)
	s_xor_b32 s2, exec_lo, s8
	s_cbranch_execz .LBB448_7
; %bb.6:                                ;   in Loop: Header=BB448_3 Depth=1
	v_mov_b32_e32 v1, v0
	v_mov_b32_e32 v2, v0
	;; [unrolled: 1-line block ×3, first 2 shown]
	ds_store_b128 v34, v[0:3]
.LBB448_7:                              ;   in Loop: Header=BB448_3 Depth=1
	s_and_not1_saveexec_b32 s2, s2
	s_cbranch_execz .LBB448_2
; %bb.8:                                ;   in Loop: Header=BB448_3 Depth=1
	global_load_b128 v[1:4], v[9:10], off
	s_waitcnt vmcnt(0)
	ds_store_2addr_b64 v34, v[1:2], v[3:4] offset1:1
	s_branch .LBB448_2
.LBB448_9:
	s_clause 0x2
	s_load_b32 s3, s[0:1], 0x60
	s_load_b64 s[8:9], s[0:1], 0x68
	s_load_b64 s[10:11], s[0:1], 0x58
	v_add_nc_u32_e32 v4, s13, v28
	v_add_nc_u32_e32 v0, s12, v27
	s_delay_alu instid0(VALU_DEP_1)
	v_cmp_le_i32_e64 s0, v4, v0
	v_cmp_gt_i32_e32 vcc_lo, s16, v0
	s_waitcnt lgkmcnt(0)
	v_mad_i64_i32 v[1:2], null, v4, s3, 0
	s_mul_i32 s1, s15, s9
	s_mul_hi_u32 s2, s15, s8
	s_mul_i32 s8, s15, s8
	s_add_i32 s9, s2, s1
	s_delay_alu instid0(SALU_CYCLE_1) | instskip(NEXT) | instid1(VALU_DEP_1)
	s_lshl_b64 s[8:9], s[8:9], 4
	v_lshlrev_b64 v[1:2], 4, v[1:2]
	s_add_u32 s8, s10, s8
	s_addc_u32 s9, s11, s9
	s_and_b32 s0, s0, vcc_lo
	s_delay_alu instid0(VALU_DEP_1) | instskip(NEXT) | instid1(VALU_DEP_1)
	v_add_co_u32 v5, s1, s8, v1
	v_add_co_ci_u32_e64 v6, s1, s9, v2, s1
	s_and_saveexec_b32 s2, s0
	s_cbranch_execz .LBB448_11
; %bb.10:
	v_mul_f64 v[1:2], s[4:5], v[25:26]
	v_mul_f64 v[7:8], s[6:7], v[25:26]
	v_cmp_ne_u32_e64 s0, v4, v0
	s_delay_alu instid0(VALU_DEP_3) | instskip(NEXT) | instid1(VALU_DEP_3)
	v_fma_f64 v[2:3], s[6:7], v[23:24], v[1:2]
	v_fma_f64 v[7:8], s[4:5], v[23:24], -v[7:8]
	v_ashrrev_i32_e32 v1, 31, v0
	s_delay_alu instid0(VALU_DEP_1) | instskip(NEXT) | instid1(VALU_DEP_1)
	v_lshlrev_b64 v[9:10], 4, v[0:1]
	v_add_co_u32 v23, s1, v5, v9
	s_delay_alu instid0(VALU_DEP_1)
	v_add_co_ci_u32_e64 v24, s1, v6, v10, s1
	v_cndmask_b32_e64 v10, 0, v3, s0
	v_cndmask_b32_e64 v9, 0, v2, s0
	global_store_b128 v[23:24], v[7:10], off
.LBB448_11:
	s_or_b32 exec_lo, exec_lo, s2
	v_add_nc_u32_e32 v2, 16, v0
	s_delay_alu instid0(VALU_DEP_1) | instskip(SKIP_1) | instid1(VALU_DEP_1)
	v_cmp_le_i32_e64 s1, v4, v2
	v_cmp_gt_i32_e64 s0, s16, v2
	s_and_b32 s1, s1, s0
	s_delay_alu instid0(SALU_CYCLE_1)
	s_and_saveexec_b32 s10, s1
	s_cbranch_execz .LBB448_13
; %bb.12:
	v_mul_f64 v[7:8], s[4:5], v[21:22]
	v_mul_f64 v[9:10], s[6:7], v[21:22]
	v_ashrrev_i32_e32 v3, 31, v2
	v_cmp_ne_u32_e64 s1, v4, v2
	s_delay_alu instid0(VALU_DEP_4) | instskip(NEXT) | instid1(VALU_DEP_4)
	v_fma_f64 v[21:22], s[6:7], v[19:20], v[7:8]
	v_fma_f64 v[7:8], s[4:5], v[19:20], -v[9:10]
	s_delay_alu instid0(VALU_DEP_4) | instskip(NEXT) | instid1(VALU_DEP_1)
	v_lshlrev_b64 v[9:10], 4, v[2:3]
	v_add_co_u32 v5, s2, v5, v9
	s_delay_alu instid0(VALU_DEP_1)
	v_add_co_ci_u32_e64 v6, s2, v6, v10, s2
	v_cndmask_b32_e64 v10, 0, v22, s1
	v_cndmask_b32_e64 v9, 0, v21, s1
	global_store_b128 v[5:6], v[7:10], off
.LBB448_13:
	s_or_b32 exec_lo, exec_lo, s10
	v_add_nc_u32_e32 v3, 16, v4
	s_delay_alu instid0(VALU_DEP_1) | instskip(SKIP_1) | instid1(VALU_DEP_1)
	v_mad_i64_i32 v[5:6], null, v3, s3, 0
	v_cmp_le_i32_e64 s1, v3, v0
	s_and_b32 s1, s1, vcc_lo
	s_delay_alu instid0(VALU_DEP_2) | instskip(NEXT) | instid1(VALU_DEP_1)
	v_lshlrev_b64 v[5:6], 4, v[5:6]
	v_add_co_u32 v5, s2, s8, v5
	s_delay_alu instid0(VALU_DEP_1)
	v_add_co_ci_u32_e64 v6, s2, s9, v6, s2
	s_and_saveexec_b32 s2, s1
	s_cbranch_execz .LBB448_15
; %bb.14:
	v_mul_f64 v[7:8], s[4:5], v[17:18]
	v_mul_f64 v[9:10], s[6:7], v[17:18]
	v_ashrrev_i32_e32 v1, 31, v0
	v_cmp_ne_u32_e32 vcc_lo, v3, v0
	s_delay_alu instid0(VALU_DEP_4) | instskip(NEXT) | instid1(VALU_DEP_4)
	v_fma_f64 v[17:18], s[6:7], v[15:16], v[7:8]
	v_fma_f64 v[7:8], s[4:5], v[15:16], -v[9:10]
	s_delay_alu instid0(VALU_DEP_4) | instskip(NEXT) | instid1(VALU_DEP_1)
	v_lshlrev_b64 v[9:10], 4, v[0:1]
	v_add_co_u32 v15, s1, v5, v9
	s_delay_alu instid0(VALU_DEP_1)
	v_add_co_ci_u32_e64 v16, s1, v6, v10, s1
	v_dual_cndmask_b32 v10, 0, v18 :: v_dual_cndmask_b32 v9, 0, v17
	global_store_b128 v[15:16], v[7:10], off
.LBB448_15:
	s_or_b32 exec_lo, exec_lo, s2
	v_cmp_le_i32_e32 vcc_lo, v3, v2
	s_and_b32 s0, vcc_lo, s0
	s_delay_alu instid0(SALU_CYCLE_1)
	s_and_saveexec_b32 s1, s0
	s_cbranch_execz .LBB448_17
; %bb.16:
	v_mul_f64 v[7:8], s[4:5], v[13:14]
	v_mul_f64 v[9:10], s[6:7], v[13:14]
	v_ashrrev_i32_e32 v3, 31, v2
	v_cmp_ne_u32_e32 vcc_lo, v4, v0
	s_delay_alu instid0(VALU_DEP_2) | instskip(NEXT) | instid1(VALU_DEP_1)
	v_lshlrev_b64 v[1:2], 4, v[2:3]
	v_add_co_u32 v0, s0, v5, v1
	s_delay_alu instid0(VALU_DEP_1) | instskip(SKIP_2) | instid1(VALU_DEP_2)
	v_add_co_ci_u32_e64 v1, s0, v6, v2, s0
	v_fma_f64 v[13:14], s[6:7], v[11:12], v[7:8]
	v_fma_f64 v[7:8], s[4:5], v[11:12], -v[9:10]
	v_dual_cndmask_b32 v10, 0, v14 :: v_dual_cndmask_b32 v9, 0, v13
	global_store_b128 v[0:1], v[7:10], off
.LBB448_17:
	s_nop 0
	s_sendmsg sendmsg(MSG_DEALLOC_VGPRS)
	s_endpgm
	.section	.rodata,"a",@progbits
	.p2align	6, 0x0
	.amdhsa_kernel _ZL34rocblas_syrkx_herkx_general_kernelIi19rocblas_complex_numIdELi16ELi32ELi8ELb1ELb1ELc67ELc76EKS1_S1_EviT_T0_PT8_S3_lS6_S3_lS4_PT9_S3_li
		.amdhsa_group_segment_fixed_size 8192
		.amdhsa_private_segment_fixed_size 0
		.amdhsa_kernarg_size 116
		.amdhsa_user_sgpr_count 13
		.amdhsa_user_sgpr_dispatch_ptr 0
		.amdhsa_user_sgpr_queue_ptr 0
		.amdhsa_user_sgpr_kernarg_segment_ptr 1
		.amdhsa_user_sgpr_dispatch_id 0
		.amdhsa_user_sgpr_private_segment_size 0
		.amdhsa_wavefront_size32 1
		.amdhsa_uses_dynamic_stack 0
		.amdhsa_enable_private_segment 0
		.amdhsa_system_sgpr_workgroup_id_x 1
		.amdhsa_system_sgpr_workgroup_id_y 1
		.amdhsa_system_sgpr_workgroup_id_z 1
		.amdhsa_system_sgpr_workgroup_info 0
		.amdhsa_system_vgpr_workitem_id 1
		.amdhsa_next_free_vgpr 121
		.amdhsa_next_free_sgpr 23
		.amdhsa_reserve_vcc 1
		.amdhsa_float_round_mode_32 0
		.amdhsa_float_round_mode_16_64 0
		.amdhsa_float_denorm_mode_32 3
		.amdhsa_float_denorm_mode_16_64 3
		.amdhsa_dx10_clamp 1
		.amdhsa_ieee_mode 1
		.amdhsa_fp16_overflow 0
		.amdhsa_workgroup_processor_mode 1
		.amdhsa_memory_ordered 1
		.amdhsa_forward_progress 0
		.amdhsa_shared_vgpr_count 0
		.amdhsa_exception_fp_ieee_invalid_op 0
		.amdhsa_exception_fp_denorm_src 0
		.amdhsa_exception_fp_ieee_div_zero 0
		.amdhsa_exception_fp_ieee_overflow 0
		.amdhsa_exception_fp_ieee_underflow 0
		.amdhsa_exception_fp_ieee_inexact 0
		.amdhsa_exception_int_div_zero 0
	.end_amdhsa_kernel
	.section	.text._ZL34rocblas_syrkx_herkx_general_kernelIi19rocblas_complex_numIdELi16ELi32ELi8ELb1ELb1ELc67ELc76EKS1_S1_EviT_T0_PT8_S3_lS6_S3_lS4_PT9_S3_li,"axG",@progbits,_ZL34rocblas_syrkx_herkx_general_kernelIi19rocblas_complex_numIdELi16ELi32ELi8ELb1ELb1ELc67ELc76EKS1_S1_EviT_T0_PT8_S3_lS6_S3_lS4_PT9_S3_li,comdat
.Lfunc_end448:
	.size	_ZL34rocblas_syrkx_herkx_general_kernelIi19rocblas_complex_numIdELi16ELi32ELi8ELb1ELb1ELc67ELc76EKS1_S1_EviT_T0_PT8_S3_lS6_S3_lS4_PT9_S3_li, .Lfunc_end448-_ZL34rocblas_syrkx_herkx_general_kernelIi19rocblas_complex_numIdELi16ELi32ELi8ELb1ELb1ELc67ELc76EKS1_S1_EviT_T0_PT8_S3_lS6_S3_lS4_PT9_S3_li
                                        ; -- End function
	.section	.AMDGPU.csdata,"",@progbits
; Kernel info:
; codeLenInByte = 3364
; NumSgprs: 25
; NumVgprs: 121
; ScratchSize: 0
; MemoryBound: 1
; FloatMode: 240
; IeeeMode: 1
; LDSByteSize: 8192 bytes/workgroup (compile time only)
; SGPRBlocks: 3
; VGPRBlocks: 15
; NumSGPRsForWavesPerEU: 25
; NumVGPRsForWavesPerEU: 121
; Occupancy: 10
; WaveLimiterHint : 0
; COMPUTE_PGM_RSRC2:SCRATCH_EN: 0
; COMPUTE_PGM_RSRC2:USER_SGPR: 13
; COMPUTE_PGM_RSRC2:TRAP_HANDLER: 0
; COMPUTE_PGM_RSRC2:TGID_X_EN: 1
; COMPUTE_PGM_RSRC2:TGID_Y_EN: 1
; COMPUTE_PGM_RSRC2:TGID_Z_EN: 1
; COMPUTE_PGM_RSRC2:TIDIG_COMP_CNT: 1
	.section	.text._ZL34rocblas_syrkx_herkx_general_kernelIi19rocblas_complex_numIdELi16ELi32ELi8ELb1ELb1ELc78ELc76EKS1_S1_EviT_T0_PT8_S3_lS6_S3_lS4_PT9_S3_li,"axG",@progbits,_ZL34rocblas_syrkx_herkx_general_kernelIi19rocblas_complex_numIdELi16ELi32ELi8ELb1ELb1ELc78ELc76EKS1_S1_EviT_T0_PT8_S3_lS6_S3_lS4_PT9_S3_li,comdat
	.globl	_ZL34rocblas_syrkx_herkx_general_kernelIi19rocblas_complex_numIdELi16ELi32ELi8ELb1ELb1ELc78ELc76EKS1_S1_EviT_T0_PT8_S3_lS6_S3_lS4_PT9_S3_li ; -- Begin function _ZL34rocblas_syrkx_herkx_general_kernelIi19rocblas_complex_numIdELi16ELi32ELi8ELb1ELb1ELc78ELc76EKS1_S1_EviT_T0_PT8_S3_lS6_S3_lS4_PT9_S3_li
	.p2align	8
	.type	_ZL34rocblas_syrkx_herkx_general_kernelIi19rocblas_complex_numIdELi16ELi32ELi8ELb1ELb1ELc78ELc76EKS1_S1_EviT_T0_PT8_S3_lS6_S3_lS4_PT9_S3_li,@function
_ZL34rocblas_syrkx_herkx_general_kernelIi19rocblas_complex_numIdELi16ELi32ELi8ELb1ELb1ELc78ELc76EKS1_S1_EviT_T0_PT8_S3_lS6_S3_lS4_PT9_S3_li: ; @_ZL34rocblas_syrkx_herkx_general_kernelIi19rocblas_complex_numIdELi16ELi32ELi8ELb1ELb1ELc78ELc76EKS1_S1_EviT_T0_PT8_S3_lS6_S3_lS4_PT9_S3_li
; %bb.0:
	s_clause 0x2
	s_load_b64 s[16:17], s[0:1], 0x0
	s_load_b128 s[4:7], s[0:1], 0x8
	s_load_b64 s[18:19], s[0:1], 0x18
	v_mov_b32_e32 v21, 0
	v_dual_mov_b32 v22, 0 :: v_dual_and_b32 v25, 0x3ff, v0
	v_bfe_u32 v26, v0, 10, 10
	s_delay_alu instid0(VALU_DEP_3) | instskip(NEXT) | instid1(VALU_DEP_3)
	v_mov_b32_e32 v17, v21
	v_dual_mov_b32 v19, v21 :: v_dual_mov_b32 v20, v22
	v_dual_mov_b32 v24, v22 :: v_dual_mov_b32 v23, v21
	;; [unrolled: 1-line block ×6, first 2 shown]
	v_mov_b32_e32 v10, v22
	s_lshl_b32 s22, s13, 5
	s_lshl_b32 s14, s14, 5
	s_waitcnt lgkmcnt(0)
	s_cmp_lt_i32 s17, 1
	s_mov_b32 s23, 0
	s_cbranch_scc1 .LBB449_9
; %bb.1:
	s_clause 0x1
	s_load_b32 s12, s[0:1], 0x38
	s_load_b32 s20, s[0:1], 0x20
	v_lshl_add_u32 v0, v26, 4, v25
	s_clause 0x1
	s_load_b128 s[8:11], s[0:1], 0x28
	s_load_b64 s[24:25], s[0:1], 0x40
	v_and_b32_e32 v27, 7, v25
	v_lshl_add_u32 v32, v26, 7, 0x1000
	v_and_b32_e32 v4, 31, v0
	v_lshrrev_b32_e32 v1, 3, v0
	v_lshrrev_b32_e32 v28, 5, v0
	v_lshlrev_b32_e32 v2, 4, v27
	s_delay_alu instid0(VALU_DEP_4) | instskip(NEXT) | instid1(VALU_DEP_4)
	v_or_b32_e32 v3, s22, v4
	v_add_nc_u32_e32 v0, s14, v1
	v_lshlrev_b32_e32 v5, 4, v4
	s_delay_alu instid0(VALU_DEP_4) | instskip(SKIP_2) | instid1(VALU_DEP_4)
	v_lshl_or_b32 v1, v1, 7, v2
	v_add_nc_u32_e32 v4, s22, v4
	v_cmp_gt_i32_e64 s2, s16, v3
	v_lshl_or_b32 v29, v28, 9, v5
	s_waitcnt lgkmcnt(0)
	v_mad_i64_i32 v[6:7], null, s12, v27, 0
	v_mad_i64_i32 v[2:3], null, v28, s20, 0
	s_mul_i32 s3, s9, s15
	s_mul_hi_u32 s9, s8, s15
	s_mul_i32 s8, s8, s15
	s_add_i32 s9, s9, s3
	v_ashrrev_i32_e32 v5, 31, v4
	s_lshl_b64 s[8:9], s[8:9], 4
	s_delay_alu instid0(VALU_DEP_2) | instskip(SKIP_3) | instid1(VALU_DEP_2)
	v_lshlrev_b64 v[2:3], 4, v[2:3]
	s_ashr_i32 s21, s20, 31
	s_ashr_i32 s13, s12, 31
	v_lshlrev_b64 v[4:5], 4, v[4:5]
	v_add_co_u32 v8, s3, v2, s8
	s_delay_alu instid0(VALU_DEP_1)
	v_add_co_ci_u32_e64 v9, s3, s9, v3, s3
	s_mul_i32 s3, s25, s15
	s_mul_hi_u32 s8, s24, s15
	v_lshlrev_b64 v[2:3], 4, v[6:7]
	s_add_i32 s9, s8, s3
	s_mul_i32 s8, s24, s15
	s_delay_alu instid0(SALU_CYCLE_1)
	s_lshl_b64 s[8:9], s[8:9], 4
	s_delay_alu instid0(VALU_DEP_1) | instid1(SALU_CYCLE_1)
	v_add_co_u32 v2, s3, s8, v2
	s_delay_alu instid0(VALU_DEP_1) | instskip(SKIP_1) | instid1(VALU_DEP_1)
	v_add_co_ci_u32_e64 v3, s3, s9, v3, s3
	v_add_co_u32 v4, s3, v8, v4
	v_add_co_ci_u32_e64 v6, s3, v9, v5, s3
	v_mov_b32_e32 v9, 0
	v_mov_b32_e32 v10, 0
	v_add_nc_u32_e32 v30, 0x1000, v1
	v_lshlrev_b32_e32 v31, 4, v25
	s_lshl_b64 s[8:9], s[20:21], 7
	s_delay_alu instid0(VALU_DEP_3)
	v_mov_b32_e32 v12, v10
	v_dual_mov_b32 v16, v10 :: v_dual_mov_b32 v15, v9
	v_ashrrev_i32_e32 v1, 31, v0
	v_cmp_gt_i32_e32 vcc_lo, s16, v0
	v_mov_b32_e32 v14, v10
	v_mov_b32_e32 v20, v10
	;; [unrolled: 1-line block ×3, first 2 shown]
	v_lshlrev_b64 v[0:1], 4, v[0:1]
	v_mov_b32_e32 v24, v10
	v_dual_mov_b32 v22, v10 :: v_dual_mov_b32 v21, v9
	v_mov_b32_e32 v11, v9
	v_mov_b32_e32 v13, v9
	v_add_co_u32 v0, s3, v2, v0
	s_delay_alu instid0(VALU_DEP_1) | instskip(SKIP_1) | instid1(VALU_DEP_1)
	v_add_co_ci_u32_e64 v1, s3, v3, v1, s3
	v_add_co_u32 v5, s3, s18, v4
	v_add_co_ci_u32_e64 v6, s3, s19, v6, s3
	s_delay_alu instid0(VALU_DEP_4) | instskip(NEXT) | instid1(VALU_DEP_1)
	v_add_co_u32 v0, s3, v0, s10
	v_add_co_ci_u32_e64 v1, s3, s11, v1, s3
	v_mov_b32_e32 v19, v9
	s_delay_alu instid0(VALU_DEP_3) | instskip(NEXT) | instid1(VALU_DEP_1)
	v_add_co_u32 v7, s3, v0, 8
	v_add_co_ci_u32_e64 v8, s3, 0, v1, s3
	v_dual_mov_b32 v0, 0 :: v_dual_mov_b32 v17, v9
	v_mov_b32_e32 v23, v9
	s_lshl_b64 s[10:11], s[12:13], 7
	s_xor_b32 s3, s2, -1
	s_branch .LBB449_3
.LBB449_2:                              ;   in Loop: Header=BB449_3 Depth=1
	s_or_b32 exec_lo, exec_lo, s2
	ds_store_b128 v30, v[1:4]
	s_waitcnt lgkmcnt(0)
	s_barrier
	buffer_gl0_inv
	ds_load_b128 v[1:4], v32
	ds_load_b128 v[33:36], v31
	ds_load_b128 v[37:40], v31 offset:256
	ds_load_b128 v[41:44], v32 offset:2048
	;; [unrolled: 1-line block ×9, first 2 shown]
	v_add_co_u32 v5, s2, v5, s8
	s_delay_alu instid0(VALU_DEP_1) | instskip(SKIP_1) | instid1(VALU_DEP_1)
	v_add_co_ci_u32_e64 v6, s2, s9, v6, s2
	v_add_co_u32 v7, s2, v7, s10
	v_add_co_ci_u32_e64 v8, s2, s11, v8, s2
	s_add_i32 s23, s23, 8
	s_delay_alu instid0(SALU_CYCLE_1)
	s_cmp_ge_i32 s23, s17
	s_waitcnt lgkmcnt(9)
	v_mul_f64 v[73:74], v[3:4], v[35:36]
	v_mul_f64 v[75:76], v[1:2], v[35:36]
	s_waitcnt lgkmcnt(8)
	v_mul_f64 v[77:78], v[3:4], v[39:40]
	v_mul_f64 v[79:80], v[1:2], v[39:40]
	;; [unrolled: 3-line block ×3, first 2 shown]
	v_mul_f64 v[83:84], v[43:44], v[39:40]
	v_mul_f64 v[39:40], v[41:42], v[39:40]
	s_waitcnt lgkmcnt(4)
	v_mul_f64 v[85:86], v[47:48], v[55:56]
	v_mul_f64 v[87:88], v[45:46], v[55:56]
	s_waitcnt lgkmcnt(3)
	v_mul_f64 v[89:90], v[47:48], v[59:60]
	v_mul_f64 v[91:92], v[45:46], v[59:60]
	;; [unrolled: 1-line block ×6, first 2 shown]
	v_fma_f64 v[97:98], v[1:2], v[33:34], -v[73:74]
	v_fma_f64 v[99:100], v[3:4], v[33:34], v[75:76]
	ds_load_b128 v[73:76], v32 offset:32
	v_fma_f64 v[77:78], v[1:2], v[37:38], -v[77:78]
	v_fma_f64 v[79:80], v[3:4], v[37:38], v[79:80]
	v_fma_f64 v[81:82], v[41:42], v[33:34], -v[81:82]
	v_fma_f64 v[101:102], v[43:44], v[33:34], v[35:36]
	;; [unrolled: 2-line block ×3, first 2 shown]
	s_waitcnt lgkmcnt(1)
	v_mul_f64 v[113:114], v[71:72], v[63:64]
	v_fma_f64 v[85:86], v[45:46], v[53:54], -v[85:86]
	v_fma_f64 v[87:88], v[47:48], v[53:54], v[87:88]
	v_fma_f64 v[45:46], v[45:46], v[57:58], -v[89:90]
	v_fma_f64 v[47:48], v[47:48], v[57:58], v[91:92]
	v_mul_f64 v[89:90], v[71:72], v[67:68]
	v_fma_f64 v[91:92], v[49:50], v[53:54], -v[93:94]
	v_fma_f64 v[53:54], v[51:52], v[53:54], v[55:56]
	v_fma_f64 v[49:50], v[49:50], v[57:58], -v[95:96]
	v_fma_f64 v[51:52], v[51:52], v[57:58], v[59:60]
	ds_load_b128 v[1:4], v32 offset:48
	ds_load_b128 v[33:36], v32 offset:2096
	;; [unrolled: 1-line block ×4, first 2 shown]
	s_waitcnt lgkmcnt(4)
	v_mul_f64 v[105:106], v[75:76], v[63:64]
	v_mul_f64 v[107:108], v[73:74], v[63:64]
	;; [unrolled: 1-line block ×6, first 2 shown]
	s_waitcnt lgkmcnt(1)
	v_mul_f64 v[93:94], v[1:2], v[39:40]
	v_add_f64 v[21:22], v[21:22], v[97:98]
	v_add_f64 v[23:24], v[23:24], v[99:100]
	;; [unrolled: 1-line block ×8, first 2 shown]
	v_mul_f64 v[83:84], v[3:4], v[39:40]
	s_waitcnt lgkmcnt(0)
	v_mul_f64 v[95:96], v[3:4], v[43:44]
	v_mul_f64 v[97:98], v[1:2], v[43:44]
	;; [unrolled: 1-line block ×6, first 2 shown]
	ds_load_b128 v[9:12], v31 offset:2048
	ds_load_b128 v[13:16], v31 offset:2304
	ds_load_b128 v[17:20], v32 offset:2112
	v_fma_f64 v[105:106], v[73:74], v[61:62], -v[105:106]
	v_fma_f64 v[107:108], v[75:76], v[61:62], v[107:108]
	v_fma_f64 v[73:74], v[73:74], v[65:66], -v[109:110]
	v_fma_f64 v[75:76], v[75:76], v[65:66], v[111:112]
	;; [unrolled: 2-line block ×4, first 2 shown]
	s_waitcnt lgkmcnt(0)
	v_mul_f64 v[113:114], v[19:20], v[11:12]
	v_mul_f64 v[115:116], v[19:20], v[15:16]
	v_fma_f64 v[93:94], v[3:4], v[37:38], v[93:94]
	v_add_f64 v[67:68], v[21:22], v[85:86]
	v_add_f64 v[69:70], v[23:24], v[87:88]
	;; [unrolled: 1-line block ×8, first 2 shown]
	ds_load_b128 v[21:24], v32 offset:64
	v_fma_f64 v[83:84], v[1:2], v[37:38], -v[83:84]
	v_fma_f64 v[95:96], v[1:2], v[41:42], -v[95:96]
	v_fma_f64 v[97:98], v[3:4], v[41:42], v[97:98]
	v_fma_f64 v[99:100], v[33:34], v[37:38], -v[99:100]
	v_fma_f64 v[117:118], v[35:36], v[37:38], v[39:40]
	;; [unrolled: 2-line block ×3, first 2 shown]
	ds_load_b128 v[43:46], v32 offset:80
	ds_load_b128 v[47:50], v32 offset:2128
	;; [unrolled: 1-line block ×7, first 2 shown]
	s_waitcnt lgkmcnt(7)
	v_mul_f64 v[87:88], v[23:24], v[11:12]
	v_mul_f64 v[89:90], v[21:22], v[11:12]
	;; [unrolled: 1-line block ×6, first 2 shown]
	s_waitcnt lgkmcnt(3)
	v_mul_f64 v[103:104], v[49:50], v[57:58]
	v_add_f64 v[67:68], v[67:68], v[105:106]
	v_add_f64 v[69:70], v[69:70], v[107:108]
	;; [unrolled: 1-line block ×8, first 2 shown]
	v_mul_f64 v[75:76], v[45:46], v[53:54]
	v_mul_f64 v[77:78], v[43:44], v[53:54]
	;; [unrolled: 1-line block ×7, first 2 shown]
	v_fma_f64 v[109:110], v[17:18], v[9:10], -v[113:114]
	v_fma_f64 v[113:114], v[17:18], v[13:14], -v[115:116]
	;; [unrolled: 1-line block ×3, first 2 shown]
	v_fma_f64 v[89:90], v[23:24], v[9:10], v[89:90]
	v_fma_f64 v[91:92], v[21:22], v[13:14], -v[91:92]
	v_fma_f64 v[107:108], v[23:24], v[13:14], v[111:112]
	v_fma_f64 v[111:112], v[19:20], v[9:10], v[11:12]
	;; [unrolled: 1-line block ×3, first 2 shown]
	ds_load_b128 v[9:12], v32 offset:96
	v_add_f64 v[67:68], v[67:68], v[83:84]
	v_add_f64 v[69:70], v[69:70], v[93:94]
	;; [unrolled: 1-line block ×8, first 2 shown]
	s_waitcnt lgkmcnt(1)
	v_mul_f64 v[99:100], v[39:40], v[3:4]
	v_fma_f64 v[75:76], v[43:44], v[51:52], -v[75:76]
	v_fma_f64 v[77:78], v[45:46], v[51:52], v[77:78]
	v_fma_f64 v[43:44], v[43:44], v[55:56], -v[79:80]
	v_fma_f64 v[45:46], v[45:46], v[55:56], v[81:82]
	v_mul_f64 v[79:80], v[39:40], v[35:36]
	v_fma_f64 v[81:82], v[47:48], v[51:52], -v[85:86]
	v_fma_f64 v[51:52], v[49:50], v[51:52], v[53:54]
	s_waitcnt lgkmcnt(0)
	v_mul_f64 v[65:66], v[11:12], v[3:4]
	v_mul_f64 v[93:94], v[9:10], v[3:4]
	;; [unrolled: 1-line block ×6, first 2 shown]
	v_fma_f64 v[47:48], v[47:48], v[55:56], -v[103:104]
	v_fma_f64 v[49:50], v[49:50], v[55:56], v[105:106]
	ds_load_b128 v[13:16], v32 offset:112
	ds_load_b128 v[17:20], v32 offset:2160
	;; [unrolled: 1-line block ×4, first 2 shown]
	s_waitcnt lgkmcnt(0)
	s_barrier
	buffer_gl0_inv
	v_add_f64 v[53:54], v[67:68], v[87:88]
	v_add_f64 v[55:56], v[69:70], v[89:90]
	v_add_f64 v[67:68], v[71:72], v[91:92]
	v_add_f64 v[69:70], v[73:74], v[107:108]
	v_add_f64 v[71:72], v[83:84], v[109:110]
	v_add_f64 v[61:62], v[61:62], v[111:112]
	v_add_f64 v[63:64], v[63:64], v[113:114]
	v_add_f64 v[41:42], v[41:42], v[115:116]
	v_mul_f64 v[73:74], v[15:16], v[23:24]
	v_mul_f64 v[83:84], v[13:14], v[23:24]
	;; [unrolled: 1-line block ×8, first 2 shown]
	v_fma_f64 v[65:66], v[9:10], v[1:2], -v[65:66]
	v_fma_f64 v[93:94], v[11:12], v[1:2], v[93:94]
	v_fma_f64 v[9:10], v[9:10], v[33:34], -v[95:96]
	v_fma_f64 v[11:12], v[11:12], v[33:34], v[97:98]
	;; [unrolled: 2-line block ×4, first 2 shown]
	v_add_f64 v[35:36], v[53:54], v[75:76]
	v_add_f64 v[37:38], v[55:56], v[77:78]
	;; [unrolled: 1-line block ×8, first 2 shown]
	v_fma_f64 v[49:50], v[13:14], v[21:22], -v[73:74]
	v_fma_f64 v[53:54], v[15:16], v[21:22], v[83:84]
	v_fma_f64 v[13:14], v[13:14], v[57:58], -v[85:86]
	v_fma_f64 v[15:16], v[15:16], v[57:58], v[87:88]
	;; [unrolled: 2-line block ×4, first 2 shown]
	v_add_f64 v[17:18], v[35:36], v[65:66]
	v_add_f64 v[19:20], v[37:38], v[93:94]
	;; [unrolled: 1-line block ×16, first 2 shown]
	s_cbranch_scc1 .LBB449_9
.LBB449_3:                              ; =>This Inner Loop Header: Depth=1
	v_add_nc_u32_e32 v1, s23, v28
	s_delay_alu instid0(VALU_DEP_1) | instskip(NEXT) | instid1(VALU_DEP_1)
	v_cmp_le_i32_e64 s2, s17, v1
	s_or_b32 s2, s3, s2
	s_delay_alu instid0(SALU_CYCLE_1) | instskip(NEXT) | instid1(SALU_CYCLE_1)
	s_and_saveexec_b32 s12, s2
	s_xor_b32 s2, exec_lo, s12
	s_cbranch_execz .LBB449_5
; %bb.4:                                ;   in Loop: Header=BB449_3 Depth=1
	v_mov_b32_e32 v1, v0
	v_mov_b32_e32 v2, v0
	;; [unrolled: 1-line block ×3, first 2 shown]
	ds_store_b128 v29, v[0:3]
.LBB449_5:                              ;   in Loop: Header=BB449_3 Depth=1
	s_and_not1_saveexec_b32 s2, s2
	s_cbranch_execz .LBB449_7
; %bb.6:                                ;   in Loop: Header=BB449_3 Depth=1
	global_load_b128 v[1:4], v[5:6], off
	s_waitcnt vmcnt(0)
	ds_store_2addr_b64 v29, v[1:2], v[3:4] offset1:1
.LBB449_7:                              ;   in Loop: Header=BB449_3 Depth=1
	s_or_b32 exec_lo, exec_lo, s2
	v_add_nc_u32_e32 v3, s23, v27
	v_mov_b32_e32 v1, 0
	v_mov_b32_e32 v2, 0
	s_delay_alu instid0(VALU_DEP_3) | instskip(NEXT) | instid1(VALU_DEP_2)
	v_cmp_gt_i32_e64 s2, s17, v3
	v_dual_mov_b32 v4, v2 :: v_dual_mov_b32 v3, v1
	s_delay_alu instid0(VALU_DEP_2) | instskip(NEXT) | instid1(SALU_CYCLE_1)
	s_and_b32 s12, s2, vcc_lo
	s_and_saveexec_b32 s2, s12
	s_cbranch_execz .LBB449_2
; %bb.8:                                ;   in Loop: Header=BB449_3 Depth=1
	global_load_b128 v[1:4], v[7:8], off offset:-8
	s_waitcnt vmcnt(0)
	v_xor_b32_e32 v4, 0x80000000, v4
	s_branch .LBB449_2
.LBB449_9:
	s_clause 0x2
	s_load_b32 s3, s[0:1], 0x60
	s_load_b64 s[8:9], s[0:1], 0x68
	s_load_b64 s[10:11], s[0:1], 0x58
	v_add_nc_u32_e32 v4, s14, v26
	v_add_nc_u32_e32 v0, s22, v25
	s_delay_alu instid0(VALU_DEP_1)
	v_cmp_le_i32_e64 s0, v4, v0
	v_cmp_gt_i32_e32 vcc_lo, s16, v0
	s_waitcnt lgkmcnt(0)
	v_mad_i64_i32 v[1:2], null, v4, s3, 0
	s_mul_i32 s1, s15, s9
	s_mul_hi_u32 s2, s15, s8
	s_mul_i32 s8, s15, s8
	s_add_i32 s9, s2, s1
	s_delay_alu instid0(SALU_CYCLE_1) | instskip(NEXT) | instid1(VALU_DEP_1)
	s_lshl_b64 s[8:9], s[8:9], 4
	v_lshlrev_b64 v[1:2], 4, v[1:2]
	s_add_u32 s8, s10, s8
	s_addc_u32 s9, s11, s9
	s_and_b32 s0, s0, vcc_lo
	s_delay_alu instid0(VALU_DEP_1) | instskip(NEXT) | instid1(VALU_DEP_1)
	v_add_co_u32 v5, s1, s8, v1
	v_add_co_ci_u32_e64 v6, s1, s9, v2, s1
	s_and_saveexec_b32 s2, s0
	s_cbranch_execz .LBB449_11
; %bb.10:
	v_mul_f64 v[1:2], s[4:5], v[23:24]
	v_mul_f64 v[7:8], s[6:7], v[23:24]
	v_cmp_ne_u32_e64 s0, v4, v0
	s_delay_alu instid0(VALU_DEP_3) | instskip(NEXT) | instid1(VALU_DEP_3)
	v_fma_f64 v[2:3], s[6:7], v[21:22], v[1:2]
	v_fma_f64 v[21:22], s[4:5], v[21:22], -v[7:8]
	v_ashrrev_i32_e32 v1, 31, v0
	s_delay_alu instid0(VALU_DEP_1) | instskip(NEXT) | instid1(VALU_DEP_1)
	v_lshlrev_b64 v[7:8], 4, v[0:1]
	v_add_co_u32 v7, s1, v5, v7
	s_delay_alu instid0(VALU_DEP_1)
	v_add_co_ci_u32_e64 v8, s1, v6, v8, s1
	v_cndmask_b32_e64 v24, 0, v3, s0
	v_cndmask_b32_e64 v23, 0, v2, s0
	global_store_b128 v[7:8], v[21:24], off
.LBB449_11:
	s_or_b32 exec_lo, exec_lo, s2
	v_add_nc_u32_e32 v2, 16, v0
	s_delay_alu instid0(VALU_DEP_1) | instskip(SKIP_1) | instid1(VALU_DEP_1)
	v_cmp_le_i32_e64 s1, v4, v2
	v_cmp_gt_i32_e64 s0, s16, v2
	s_and_b32 s1, s1, s0
	s_delay_alu instid0(SALU_CYCLE_1)
	s_and_saveexec_b32 s10, s1
	s_cbranch_execz .LBB449_13
; %bb.12:
	v_mul_f64 v[7:8], s[4:5], v[19:20]
	v_mul_f64 v[19:20], s[6:7], v[19:20]
	v_ashrrev_i32_e32 v3, 31, v2
	v_cmp_ne_u32_e64 s1, v4, v2
	s_delay_alu instid0(VALU_DEP_4) | instskip(NEXT) | instid1(VALU_DEP_4)
	v_fma_f64 v[7:8], s[6:7], v[17:18], v[7:8]
	v_fma_f64 v[17:18], s[4:5], v[17:18], -v[19:20]
	s_delay_alu instid0(VALU_DEP_4) | instskip(NEXT) | instid1(VALU_DEP_1)
	v_lshlrev_b64 v[19:20], 4, v[2:3]
	v_add_co_u32 v5, s2, v5, v19
	s_delay_alu instid0(VALU_DEP_1)
	v_add_co_ci_u32_e64 v6, s2, v6, v20, s2
	v_cndmask_b32_e64 v20, 0, v8, s1
	v_cndmask_b32_e64 v19, 0, v7, s1
	global_store_b128 v[5:6], v[17:20], off
.LBB449_13:
	s_or_b32 exec_lo, exec_lo, s10
	v_add_nc_u32_e32 v3, 16, v4
	s_delay_alu instid0(VALU_DEP_1) | instskip(SKIP_1) | instid1(VALU_DEP_1)
	v_mad_i64_i32 v[5:6], null, v3, s3, 0
	v_cmp_le_i32_e64 s1, v3, v0
	s_and_b32 s1, s1, vcc_lo
	s_delay_alu instid0(VALU_DEP_2) | instskip(NEXT) | instid1(VALU_DEP_1)
	v_lshlrev_b64 v[5:6], 4, v[5:6]
	v_add_co_u32 v5, s2, s8, v5
	s_delay_alu instid0(VALU_DEP_1)
	v_add_co_ci_u32_e64 v6, s2, s9, v6, s2
	s_and_saveexec_b32 s2, s1
	s_cbranch_execz .LBB449_15
; %bb.14:
	v_mul_f64 v[7:8], s[4:5], v[15:16]
	v_mul_f64 v[15:16], s[6:7], v[15:16]
	v_ashrrev_i32_e32 v1, 31, v0
	v_cmp_ne_u32_e32 vcc_lo, v3, v0
	s_delay_alu instid0(VALU_DEP_4) | instskip(NEXT) | instid1(VALU_DEP_4)
	v_fma_f64 v[7:8], s[6:7], v[13:14], v[7:8]
	v_fma_f64 v[13:14], s[4:5], v[13:14], -v[15:16]
	s_delay_alu instid0(VALU_DEP_4) | instskip(NEXT) | instid1(VALU_DEP_1)
	v_lshlrev_b64 v[15:16], 4, v[0:1]
	v_add_co_u32 v17, s1, v5, v15
	s_delay_alu instid0(VALU_DEP_1)
	v_add_co_ci_u32_e64 v18, s1, v6, v16, s1
	v_dual_cndmask_b32 v16, 0, v8 :: v_dual_cndmask_b32 v15, 0, v7
	global_store_b128 v[17:18], v[13:16], off
.LBB449_15:
	s_or_b32 exec_lo, exec_lo, s2
	v_cmp_le_i32_e32 vcc_lo, v3, v2
	s_and_b32 s0, vcc_lo, s0
	s_delay_alu instid0(SALU_CYCLE_1)
	s_and_saveexec_b32 s1, s0
	s_cbranch_execz .LBB449_17
; %bb.16:
	v_mul_f64 v[7:8], s[4:5], v[9:10]
	v_mul_f64 v[9:10], s[6:7], v[9:10]
	v_ashrrev_i32_e32 v3, 31, v2
	v_cmp_ne_u32_e32 vcc_lo, v4, v0
	s_delay_alu instid0(VALU_DEP_2) | instskip(NEXT) | instid1(VALU_DEP_1)
	v_lshlrev_b64 v[1:2], 4, v[2:3]
	v_add_co_u32 v0, s0, v5, v1
	s_delay_alu instid0(VALU_DEP_1) | instskip(SKIP_2) | instid1(VALU_DEP_2)
	v_add_co_ci_u32_e64 v1, s0, v6, v2, s0
	v_fma_f64 v[13:14], s[6:7], v[11:12], v[7:8]
	v_fma_f64 v[7:8], s[4:5], v[11:12], -v[9:10]
	v_dual_cndmask_b32 v10, 0, v14 :: v_dual_cndmask_b32 v9, 0, v13
	global_store_b128 v[0:1], v[7:10], off
.LBB449_17:
	s_nop 0
	s_sendmsg sendmsg(MSG_DEALLOC_VGPRS)
	s_endpgm
	.section	.rodata,"a",@progbits
	.p2align	6, 0x0
	.amdhsa_kernel _ZL34rocblas_syrkx_herkx_general_kernelIi19rocblas_complex_numIdELi16ELi32ELi8ELb1ELb1ELc78ELc76EKS1_S1_EviT_T0_PT8_S3_lS6_S3_lS4_PT9_S3_li
		.amdhsa_group_segment_fixed_size 8192
		.amdhsa_private_segment_fixed_size 0
		.amdhsa_kernarg_size 116
		.amdhsa_user_sgpr_count 13
		.amdhsa_user_sgpr_dispatch_ptr 0
		.amdhsa_user_sgpr_queue_ptr 0
		.amdhsa_user_sgpr_kernarg_segment_ptr 1
		.amdhsa_user_sgpr_dispatch_id 0
		.amdhsa_user_sgpr_private_segment_size 0
		.amdhsa_wavefront_size32 1
		.amdhsa_uses_dynamic_stack 0
		.amdhsa_enable_private_segment 0
		.amdhsa_system_sgpr_workgroup_id_x 1
		.amdhsa_system_sgpr_workgroup_id_y 1
		.amdhsa_system_sgpr_workgroup_id_z 1
		.amdhsa_system_sgpr_workgroup_info 0
		.amdhsa_system_vgpr_workitem_id 1
		.amdhsa_next_free_vgpr 119
		.amdhsa_next_free_sgpr 26
		.amdhsa_reserve_vcc 1
		.amdhsa_float_round_mode_32 0
		.amdhsa_float_round_mode_16_64 0
		.amdhsa_float_denorm_mode_32 3
		.amdhsa_float_denorm_mode_16_64 3
		.amdhsa_dx10_clamp 1
		.amdhsa_ieee_mode 1
		.amdhsa_fp16_overflow 0
		.amdhsa_workgroup_processor_mode 1
		.amdhsa_memory_ordered 1
		.amdhsa_forward_progress 0
		.amdhsa_shared_vgpr_count 0
		.amdhsa_exception_fp_ieee_invalid_op 0
		.amdhsa_exception_fp_denorm_src 0
		.amdhsa_exception_fp_ieee_div_zero 0
		.amdhsa_exception_fp_ieee_overflow 0
		.amdhsa_exception_fp_ieee_underflow 0
		.amdhsa_exception_fp_ieee_inexact 0
		.amdhsa_exception_int_div_zero 0
	.end_amdhsa_kernel
	.section	.text._ZL34rocblas_syrkx_herkx_general_kernelIi19rocblas_complex_numIdELi16ELi32ELi8ELb1ELb1ELc78ELc76EKS1_S1_EviT_T0_PT8_S3_lS6_S3_lS4_PT9_S3_li,"axG",@progbits,_ZL34rocblas_syrkx_herkx_general_kernelIi19rocblas_complex_numIdELi16ELi32ELi8ELb1ELb1ELc78ELc76EKS1_S1_EviT_T0_PT8_S3_lS6_S3_lS4_PT9_S3_li,comdat
.Lfunc_end449:
	.size	_ZL34rocblas_syrkx_herkx_general_kernelIi19rocblas_complex_numIdELi16ELi32ELi8ELb1ELb1ELc78ELc76EKS1_S1_EviT_T0_PT8_S3_lS6_S3_lS4_PT9_S3_li, .Lfunc_end449-_ZL34rocblas_syrkx_herkx_general_kernelIi19rocblas_complex_numIdELi16ELi32ELi8ELb1ELb1ELc78ELc76EKS1_S1_EviT_T0_PT8_S3_lS6_S3_lS4_PT9_S3_li
                                        ; -- End function
	.section	.AMDGPU.csdata,"",@progbits
; Kernel info:
; codeLenInByte = 3400
; NumSgprs: 28
; NumVgprs: 119
; ScratchSize: 0
; MemoryBound: 1
; FloatMode: 240
; IeeeMode: 1
; LDSByteSize: 8192 bytes/workgroup (compile time only)
; SGPRBlocks: 3
; VGPRBlocks: 14
; NumSGPRsForWavesPerEU: 28
; NumVGPRsForWavesPerEU: 119
; Occupancy: 12
; WaveLimiterHint : 0
; COMPUTE_PGM_RSRC2:SCRATCH_EN: 0
; COMPUTE_PGM_RSRC2:USER_SGPR: 13
; COMPUTE_PGM_RSRC2:TRAP_HANDLER: 0
; COMPUTE_PGM_RSRC2:TGID_X_EN: 1
; COMPUTE_PGM_RSRC2:TGID_Y_EN: 1
; COMPUTE_PGM_RSRC2:TGID_Z_EN: 1
; COMPUTE_PGM_RSRC2:TIDIG_COMP_CNT: 1
	.section	.text._ZL34rocblas_syrkx_herkx_general_kernelIi19rocblas_complex_numIdELi16ELi32ELi8ELb1ELb1ELc84ELc85EKS1_S1_EviT_T0_PT8_S3_lS6_S3_lS4_PT9_S3_li,"axG",@progbits,_ZL34rocblas_syrkx_herkx_general_kernelIi19rocblas_complex_numIdELi16ELi32ELi8ELb1ELb1ELc84ELc85EKS1_S1_EviT_T0_PT8_S3_lS6_S3_lS4_PT9_S3_li,comdat
	.globl	_ZL34rocblas_syrkx_herkx_general_kernelIi19rocblas_complex_numIdELi16ELi32ELi8ELb1ELb1ELc84ELc85EKS1_S1_EviT_T0_PT8_S3_lS6_S3_lS4_PT9_S3_li ; -- Begin function _ZL34rocblas_syrkx_herkx_general_kernelIi19rocblas_complex_numIdELi16ELi32ELi8ELb1ELb1ELc84ELc85EKS1_S1_EviT_T0_PT8_S3_lS6_S3_lS4_PT9_S3_li
	.p2align	8
	.type	_ZL34rocblas_syrkx_herkx_general_kernelIi19rocblas_complex_numIdELi16ELi32ELi8ELb1ELb1ELc84ELc85EKS1_S1_EviT_T0_PT8_S3_lS6_S3_lS4_PT9_S3_li,@function
_ZL34rocblas_syrkx_herkx_general_kernelIi19rocblas_complex_numIdELi16ELi32ELi8ELb1ELb1ELc84ELc85EKS1_S1_EviT_T0_PT8_S3_lS6_S3_lS4_PT9_S3_li: ; @_ZL34rocblas_syrkx_herkx_general_kernelIi19rocblas_complex_numIdELi16ELi32ELi8ELb1ELb1ELc84ELc85EKS1_S1_EviT_T0_PT8_S3_lS6_S3_lS4_PT9_S3_li
; %bb.0:
	s_clause 0x2
	s_load_b64 s[16:17], s[0:1], 0x0
	s_load_b128 s[4:7], s[0:1], 0x8
	s_load_b64 s[18:19], s[0:1], 0x18
	v_mov_b32_e32 v20, 0
	v_dual_mov_b32 v21, 0 :: v_dual_and_b32 v24, 0x3ff, v0
	v_bfe_u32 v25, v0, 10, 10
	s_delay_alu instid0(VALU_DEP_3) | instskip(NEXT) | instid1(VALU_DEP_3)
	v_mov_b32_e32 v8, v20
	v_dual_mov_b32 v10, v20 :: v_dual_mov_b32 v11, v21
	v_dual_mov_b32 v23, v21 :: v_dual_mov_b32 v22, v20
	;; [unrolled: 1-line block ×6, first 2 shown]
	v_mov_b32_e32 v13, v21
	s_lshl_b32 s12, s13, 5
	s_lshl_b32 s13, s14, 5
	s_waitcnt lgkmcnt(0)
	s_cmp_lt_i32 s17, 1
	s_mov_b32 s14, 0
	s_cbranch_scc1 .LBB450_11
; %bb.1:
	s_load_b32 s2, s[0:1], 0x20
	v_lshl_add_u32 v0, v25, 4, v24
	v_dual_mov_b32 v12, 0 :: v_dual_lshlrev_b32 v27, 4, v24
	s_clause 0x2
	s_load_b128 s[8:11], s[0:1], 0x28
	s_load_b32 s3, s[0:1], 0x38
	s_load_b64 s[20:21], s[0:1], 0x40
	v_dual_mov_b32 v13, 0 :: v_dual_and_b32 v26, 7, v24
	v_and_b32_e32 v2, 31, v0
	v_lshrrev_b32_e32 v1, 3, v0
	v_lshrrev_b32_e32 v29, 5, v0
	s_delay_alu instid0(VALU_DEP_4) | instskip(SKIP_3) | instid1(VALU_DEP_4)
	v_dual_mov_b32 v19, v13 :: v_dual_lshlrev_b32 v6, 4, v26
	v_mov_b32_e32 v15, v13
	v_add_nc_u32_e32 v3, s12, v2
	v_dual_mov_b32 v17, v13 :: v_dual_add_nc_u32 v4, s13, v1
	v_lshl_or_b32 v7, v1, 7, v6
	v_or_b32_e32 v5, s12, v2
	v_lshlrev_b32_e32 v2, 4, v2
	v_dual_mov_b32 v10, v12 :: v_dual_mov_b32 v23, v13
	s_waitcnt lgkmcnt(0)
	v_mad_i64_i32 v[0:1], null, s2, v3, 0
	s_mul_i32 s9, s9, s15
	s_mul_hi_u32 s22, s8, s15
	v_mov_b32_e32 v11, v13
	v_lshl_or_b32 v30, v29, 9, v2
	v_mad_i64_i32 v[2:3], null, s3, v4, 0
	s_delay_alu instid0(VALU_DEP_4)
	v_lshlrev_b64 v[0:1], 4, v[0:1]
	s_mul_i32 s8, s8, s15
	s_add_i32 s9, s22, s9
	v_cmp_gt_i32_e64 s2, s16, v4
	s_lshl_b64 s[8:9], s[8:9], 4
	v_dual_mov_b32 v14, v12 :: v_dual_add_nc_u32 v31, 0x1000, v7
	v_add_co_u32 v4, s3, v0, s8
	v_dual_mov_b32 v18, v12 :: v_dual_lshlrev_b32 v7, 4, v29
	v_cmp_gt_i32_e32 vcc_lo, s16, v5
	v_add_co_ci_u32_e64 v5, s3, s9, v1, s3
	s_mul_i32 s3, s21, s15
	s_mul_hi_u32 s8, s20, s15
	v_lshlrev_b64 v[0:1], 4, v[2:3]
	s_add_i32 s9, s8, s3
	s_mul_i32 s8, s20, s15
	v_add_co_u32 v2, s3, v4, v7
	s_lshl_b64 s[8:9], s[8:9], 4
	v_add_co_ci_u32_e64 v3, s3, 0, v5, s3
	v_add_co_u32 v0, s3, v0, s8
	s_delay_alu instid0(VALU_DEP_1) | instskip(SKIP_1) | instid1(VALU_DEP_1)
	v_add_co_ci_u32_e64 v1, s3, s9, v1, s3
	v_add_co_u32 v4, s3, s18, v2
	v_add_co_ci_u32_e64 v5, s3, s19, v3, s3
	s_delay_alu instid0(VALU_DEP_4) | instskip(NEXT) | instid1(VALU_DEP_1)
	v_add_co_u32 v0, s3, v0, v6
	v_add_co_ci_u32_e64 v1, s3, 0, v1, s3
	v_dual_mov_b32 v8, v12 :: v_dual_mov_b32 v21, v13
	s_delay_alu instid0(VALU_DEP_3) | instskip(SKIP_1) | instid1(VALU_DEP_4)
	v_add_co_u32 v6, s3, s10, v0
	v_lshl_add_u32 v28, v25, 7, 0x1000
	v_add_co_ci_u32_e64 v7, s3, s11, v1, s3
	v_mov_b32_e32 v0, 0
	v_dual_mov_b32 v16, v12 :: v_dual_mov_b32 v9, v13
	v_mov_b32_e32 v22, v12
	v_mov_b32_e32 v20, v12
	s_xor_b32 s3, vcc_lo, -1
	s_xor_b32 s2, s2, -1
	s_branch .LBB450_3
.LBB450_2:                              ;   in Loop: Header=BB450_3 Depth=1
	s_or_b32 exec_lo, exec_lo, s8
	s_waitcnt lgkmcnt(0)
	s_barrier
	buffer_gl0_inv
	ds_load_b128 v[32:35], v28
	ds_load_b128 v[36:39], v28 offset:16
	ds_load_b128 v[40:43], v28 offset:32
	;; [unrolled: 1-line block ×3, first 2 shown]
	ds_load_b128 v[48:51], v27
	v_add_co_u32 v4, vcc_lo, 0x80, v4
	v_add_co_ci_u32_e32 v5, vcc_lo, 0, v5, vcc_lo
	v_add_co_u32 v6, vcc_lo, 0x80, v6
	v_add_co_ci_u32_e32 v7, vcc_lo, 0, v7, vcc_lo
	s_add_i32 s14, s14, 8
	s_delay_alu instid0(SALU_CYCLE_1) | instskip(SKIP_3) | instid1(VALU_DEP_2)
	s_cmp_ge_i32 s14, s17
	s_waitcnt lgkmcnt(0)
	v_mul_f64 v[1:2], v[34:35], v[50:51]
	v_mul_f64 v[52:53], v[32:33], v[50:51]
	v_fma_f64 v[1:2], v[32:33], v[48:49], -v[1:2]
	s_delay_alu instid0(VALU_DEP_2) | instskip(NEXT) | instid1(VALU_DEP_2)
	v_fma_f64 v[52:53], v[34:35], v[48:49], v[52:53]
	v_add_f64 v[1:2], v[20:21], v[1:2]
	s_delay_alu instid0(VALU_DEP_2) | instskip(SKIP_3) | instid1(VALU_DEP_1)
	v_add_f64 v[52:53], v[22:23], v[52:53]
	ds_load_b128 v[20:23], v27 offset:256
	s_waitcnt lgkmcnt(0)
	v_mul_f64 v[54:55], v[34:35], v[22:23]
	v_fma_f64 v[54:55], v[32:33], v[20:21], -v[54:55]
	v_mul_f64 v[32:33], v[32:33], v[22:23]
	s_delay_alu instid0(VALU_DEP_1) | instskip(NEXT) | instid1(VALU_DEP_3)
	v_fma_f64 v[32:33], v[34:35], v[20:21], v[32:33]
	v_add_f64 v[34:35], v[8:9], v[54:55]
	s_delay_alu instid0(VALU_DEP_2) | instskip(SKIP_4) | instid1(VALU_DEP_2)
	v_add_f64 v[32:33], v[10:11], v[32:33]
	ds_load_b128 v[8:11], v28 offset:2048
	s_waitcnt lgkmcnt(0)
	v_mul_f64 v[54:55], v[10:11], v[50:51]
	v_mul_f64 v[50:51], v[8:9], v[50:51]
	v_fma_f64 v[54:55], v[8:9], v[48:49], -v[54:55]
	s_delay_alu instid0(VALU_DEP_2) | instskip(NEXT) | instid1(VALU_DEP_2)
	v_fma_f64 v[48:49], v[10:11], v[48:49], v[50:51]
	v_add_f64 v[50:51], v[16:17], v[54:55]
	v_mul_f64 v[16:17], v[10:11], v[22:23]
	s_delay_alu instid0(VALU_DEP_3) | instskip(NEXT) | instid1(VALU_DEP_2)
	v_add_f64 v[48:49], v[18:19], v[48:49]
	v_fma_f64 v[16:17], v[8:9], v[20:21], -v[16:17]
	v_mul_f64 v[8:9], v[8:9], v[22:23]
	s_delay_alu instid0(VALU_DEP_1) | instskip(NEXT) | instid1(VALU_DEP_3)
	v_fma_f64 v[8:9], v[10:11], v[20:21], v[8:9]
	v_add_f64 v[20:21], v[14:15], v[16:17]
	s_delay_alu instid0(VALU_DEP_2) | instskip(SKIP_4) | instid1(VALU_DEP_2)
	v_add_f64 v[22:23], v[12:13], v[8:9]
	ds_load_b128 v[8:11], v27 offset:512
	s_waitcnt lgkmcnt(0)
	v_mul_f64 v[12:13], v[38:39], v[10:11]
	v_mul_f64 v[14:15], v[36:37], v[10:11]
	v_fma_f64 v[12:13], v[36:37], v[8:9], -v[12:13]
	s_delay_alu instid0(VALU_DEP_2) | instskip(NEXT) | instid1(VALU_DEP_2)
	v_fma_f64 v[14:15], v[38:39], v[8:9], v[14:15]
	v_add_f64 v[1:2], v[1:2], v[12:13]
	s_delay_alu instid0(VALU_DEP_2) | instskip(SKIP_4) | instid1(VALU_DEP_2)
	v_add_f64 v[52:53], v[52:53], v[14:15]
	ds_load_b128 v[12:15], v27 offset:768
	s_waitcnt lgkmcnt(0)
	v_mul_f64 v[16:17], v[38:39], v[14:15]
	v_mul_f64 v[18:19], v[36:37], v[14:15]
	v_fma_f64 v[16:17], v[36:37], v[12:13], -v[16:17]
	s_delay_alu instid0(VALU_DEP_2) | instskip(NEXT) | instid1(VALU_DEP_2)
	v_fma_f64 v[18:19], v[38:39], v[12:13], v[18:19]
	v_add_f64 v[34:35], v[34:35], v[16:17]
	s_delay_alu instid0(VALU_DEP_2) | instskip(SKIP_4) | instid1(VALU_DEP_2)
	v_add_f64 v[32:33], v[32:33], v[18:19]
	ds_load_b128 v[16:19], v28 offset:2064
	s_waitcnt lgkmcnt(0)
	v_mul_f64 v[36:37], v[18:19], v[10:11]
	v_mul_f64 v[10:11], v[16:17], v[10:11]
	v_fma_f64 v[36:37], v[16:17], v[8:9], -v[36:37]
	s_delay_alu instid0(VALU_DEP_2) | instskip(SKIP_1) | instid1(VALU_DEP_3)
	v_fma_f64 v[8:9], v[18:19], v[8:9], v[10:11]
	v_mul_f64 v[10:11], v[16:17], v[14:15]
	v_add_f64 v[36:37], v[50:51], v[36:37]
	s_delay_alu instid0(VALU_DEP_3) | instskip(SKIP_1) | instid1(VALU_DEP_4)
	v_add_f64 v[38:39], v[48:49], v[8:9]
	v_mul_f64 v[8:9], v[18:19], v[14:15]
	v_fma_f64 v[10:11], v[18:19], v[12:13], v[10:11]
	s_delay_alu instid0(VALU_DEP_2) | instskip(NEXT) | instid1(VALU_DEP_2)
	v_fma_f64 v[8:9], v[16:17], v[12:13], -v[8:9]
	v_add_f64 v[22:23], v[22:23], v[10:11]
	s_delay_alu instid0(VALU_DEP_2) | instskip(SKIP_4) | instid1(VALU_DEP_2)
	v_add_f64 v[20:21], v[20:21], v[8:9]
	ds_load_b128 v[8:11], v27 offset:1024
	s_waitcnt lgkmcnt(0)
	v_mul_f64 v[12:13], v[42:43], v[10:11]
	v_mul_f64 v[14:15], v[40:41], v[10:11]
	v_fma_f64 v[12:13], v[40:41], v[8:9], -v[12:13]
	s_delay_alu instid0(VALU_DEP_2) | instskip(NEXT) | instid1(VALU_DEP_2)
	v_fma_f64 v[14:15], v[42:43], v[8:9], v[14:15]
	v_add_f64 v[1:2], v[1:2], v[12:13]
	s_delay_alu instid0(VALU_DEP_2) | instskip(SKIP_4) | instid1(VALU_DEP_2)
	v_add_f64 v[48:49], v[52:53], v[14:15]
	ds_load_b128 v[12:15], v27 offset:1280
	s_waitcnt lgkmcnt(0)
	v_mul_f64 v[16:17], v[42:43], v[14:15]
	v_mul_f64 v[18:19], v[40:41], v[14:15]
	v_fma_f64 v[16:17], v[40:41], v[12:13], -v[16:17]
	s_delay_alu instid0(VALU_DEP_2) | instskip(NEXT) | instid1(VALU_DEP_2)
	v_fma_f64 v[18:19], v[42:43], v[12:13], v[18:19]
	v_add_f64 v[34:35], v[34:35], v[16:17]
	s_delay_alu instid0(VALU_DEP_2) | instskip(SKIP_4) | instid1(VALU_DEP_2)
	v_add_f64 v[32:33], v[32:33], v[18:19]
	ds_load_b128 v[16:19], v28 offset:2080
	s_waitcnt lgkmcnt(0)
	v_mul_f64 v[40:41], v[18:19], v[10:11]
	v_mul_f64 v[10:11], v[16:17], v[10:11]
	v_fma_f64 v[40:41], v[16:17], v[8:9], -v[40:41]
	s_delay_alu instid0(VALU_DEP_2) | instskip(SKIP_1) | instid1(VALU_DEP_3)
	v_fma_f64 v[8:9], v[18:19], v[8:9], v[10:11]
	v_mul_f64 v[10:11], v[16:17], v[14:15]
	v_add_f64 v[36:37], v[36:37], v[40:41]
	s_delay_alu instid0(VALU_DEP_3) | instskip(SKIP_1) | instid1(VALU_DEP_4)
	v_add_f64 v[38:39], v[38:39], v[8:9]
	v_mul_f64 v[8:9], v[18:19], v[14:15]
	v_fma_f64 v[10:11], v[18:19], v[12:13], v[10:11]
	s_delay_alu instid0(VALU_DEP_2) | instskip(NEXT) | instid1(VALU_DEP_2)
	v_fma_f64 v[8:9], v[16:17], v[12:13], -v[8:9]
	;; [unrolled: 38-line block ×3, first 2 shown]
	v_add_f64 v[22:23], v[22:23], v[10:11]
	s_delay_alu instid0(VALU_DEP_2)
	v_add_f64 v[20:21], v[20:21], v[8:9]
	ds_load_b128 v[8:11], v28 offset:64
	ds_load_b128 v[12:15], v27 offset:2048
	s_waitcnt lgkmcnt(0)
	v_mul_f64 v[16:17], v[10:11], v[14:15]
	v_mul_f64 v[18:19], v[8:9], v[14:15]
	s_delay_alu instid0(VALU_DEP_2) | instskip(NEXT) | instid1(VALU_DEP_2)
	v_fma_f64 v[16:17], v[8:9], v[12:13], -v[16:17]
	v_fma_f64 v[18:19], v[10:11], v[12:13], v[18:19]
	s_delay_alu instid0(VALU_DEP_2) | instskip(NEXT) | instid1(VALU_DEP_2)
	v_add_f64 v[1:2], v[1:2], v[16:17]
	v_add_f64 v[40:41], v[40:41], v[18:19]
	ds_load_b128 v[16:19], v27 offset:2304
	s_waitcnt lgkmcnt(0)
	v_mul_f64 v[42:43], v[10:11], v[18:19]
	s_delay_alu instid0(VALU_DEP_1) | instskip(SKIP_1) | instid1(VALU_DEP_2)
	v_fma_f64 v[42:43], v[8:9], v[16:17], -v[42:43]
	v_mul_f64 v[8:9], v[8:9], v[18:19]
	v_add_f64 v[34:35], v[34:35], v[42:43]
	s_delay_alu instid0(VALU_DEP_2) | instskip(NEXT) | instid1(VALU_DEP_1)
	v_fma_f64 v[8:9], v[10:11], v[16:17], v[8:9]
	v_add_f64 v[32:33], v[32:33], v[8:9]
	ds_load_b128 v[8:11], v28 offset:2112
	s_waitcnt lgkmcnt(0)
	v_mul_f64 v[42:43], v[10:11], v[14:15]
	v_mul_f64 v[14:15], v[8:9], v[14:15]
	s_delay_alu instid0(VALU_DEP_2) | instskip(NEXT) | instid1(VALU_DEP_2)
	v_fma_f64 v[42:43], v[8:9], v[12:13], -v[42:43]
	v_fma_f64 v[12:13], v[10:11], v[12:13], v[14:15]
	s_delay_alu instid0(VALU_DEP_2) | instskip(NEXT) | instid1(VALU_DEP_2)
	v_add_f64 v[36:37], v[36:37], v[42:43]
	v_add_f64 v[38:39], v[38:39], v[12:13]
	v_mul_f64 v[12:13], v[10:11], v[18:19]
	s_delay_alu instid0(VALU_DEP_1) | instskip(SKIP_1) | instid1(VALU_DEP_2)
	v_fma_f64 v[12:13], v[8:9], v[16:17], -v[12:13]
	v_mul_f64 v[8:9], v[8:9], v[18:19]
	v_add_f64 v[20:21], v[20:21], v[12:13]
	s_delay_alu instid0(VALU_DEP_2) | instskip(NEXT) | instid1(VALU_DEP_1)
	v_fma_f64 v[8:9], v[10:11], v[16:17], v[8:9]
	v_add_f64 v[22:23], v[22:23], v[8:9]
	ds_load_b128 v[8:11], v28 offset:80
	ds_load_b128 v[12:15], v27 offset:2560
	s_waitcnt lgkmcnt(0)
	v_mul_f64 v[16:17], v[10:11], v[14:15]
	v_mul_f64 v[18:19], v[8:9], v[14:15]
	s_delay_alu instid0(VALU_DEP_2) | instskip(NEXT) | instid1(VALU_DEP_2)
	v_fma_f64 v[16:17], v[8:9], v[12:13], -v[16:17]
	v_fma_f64 v[18:19], v[10:11], v[12:13], v[18:19]
	s_delay_alu instid0(VALU_DEP_2) | instskip(NEXT) | instid1(VALU_DEP_2)
	v_add_f64 v[1:2], v[1:2], v[16:17]
	v_add_f64 v[40:41], v[40:41], v[18:19]
	ds_load_b128 v[16:19], v27 offset:2816
	s_waitcnt lgkmcnt(0)
	v_mul_f64 v[42:43], v[10:11], v[18:19]
	s_delay_alu instid0(VALU_DEP_1) | instskip(SKIP_1) | instid1(VALU_DEP_2)
	v_fma_f64 v[42:43], v[8:9], v[16:17], -v[42:43]
	v_mul_f64 v[8:9], v[8:9], v[18:19]
	v_add_f64 v[34:35], v[34:35], v[42:43]
	s_delay_alu instid0(VALU_DEP_2) | instskip(NEXT) | instid1(VALU_DEP_1)
	v_fma_f64 v[8:9], v[10:11], v[16:17], v[8:9]
	v_add_f64 v[32:33], v[32:33], v[8:9]
	ds_load_b128 v[8:11], v28 offset:2128
	s_waitcnt lgkmcnt(0)
	v_mul_f64 v[42:43], v[10:11], v[14:15]
	v_mul_f64 v[14:15], v[8:9], v[14:15]
	s_delay_alu instid0(VALU_DEP_2) | instskip(NEXT) | instid1(VALU_DEP_2)
	v_fma_f64 v[42:43], v[8:9], v[12:13], -v[42:43]
	v_fma_f64 v[12:13], v[10:11], v[12:13], v[14:15]
	s_delay_alu instid0(VALU_DEP_2) | instskip(NEXT) | instid1(VALU_DEP_2)
	v_add_f64 v[36:37], v[36:37], v[42:43]
	v_add_f64 v[38:39], v[38:39], v[12:13]
	v_mul_f64 v[12:13], v[10:11], v[18:19]
	s_delay_alu instid0(VALU_DEP_1) | instskip(SKIP_1) | instid1(VALU_DEP_2)
	v_fma_f64 v[12:13], v[8:9], v[16:17], -v[12:13]
	v_mul_f64 v[8:9], v[8:9], v[18:19]
	v_add_f64 v[20:21], v[20:21], v[12:13]
	s_delay_alu instid0(VALU_DEP_2) | instskip(NEXT) | instid1(VALU_DEP_1)
	v_fma_f64 v[8:9], v[10:11], v[16:17], v[8:9]
	;; [unrolled: 39-line block ×3, first 2 shown]
	v_add_f64 v[52:53], v[22:23], v[8:9]
	ds_load_b128 v[8:11], v28 offset:112
	ds_load_b128 v[12:15], v27 offset:3584
	;; [unrolled: 1-line block ×4, first 2 shown]
	s_waitcnt lgkmcnt(0)
	s_barrier
	buffer_gl0_inv
	v_mul_f64 v[16:17], v[10:11], v[14:15]
	v_mul_f64 v[18:19], v[8:9], v[14:15]
	s_delay_alu instid0(VALU_DEP_2) | instskip(NEXT) | instid1(VALU_DEP_2)
	v_fma_f64 v[16:17], v[8:9], v[12:13], -v[16:17]
	v_fma_f64 v[18:19], v[10:11], v[12:13], v[18:19]
	s_delay_alu instid0(VALU_DEP_2) | instskip(SKIP_1) | instid1(VALU_DEP_3)
	v_add_f64 v[20:21], v[1:2], v[16:17]
	v_mul_f64 v[1:2], v[10:11], v[34:35]
	v_add_f64 v[22:23], v[40:41], v[18:19]
	s_delay_alu instid0(VALU_DEP_2) | instskip(SKIP_1) | instid1(VALU_DEP_1)
	v_fma_f64 v[1:2], v[8:9], v[32:33], -v[1:2]
	v_mul_f64 v[8:9], v[8:9], v[34:35]
	v_fma_f64 v[10:11], v[10:11], v[32:33], v[8:9]
	s_delay_alu instid0(VALU_DEP_3) | instskip(SKIP_2) | instid1(VALU_DEP_4)
	v_add_f64 v[8:9], v[42:43], v[1:2]
	v_mul_f64 v[1:2], v[38:39], v[14:15]
	v_mul_f64 v[14:15], v[36:37], v[14:15]
	v_add_f64 v[10:11], v[44:45], v[10:11]
	s_delay_alu instid0(VALU_DEP_3) | instskip(NEXT) | instid1(VALU_DEP_3)
	v_fma_f64 v[1:2], v[36:37], v[12:13], -v[1:2]
	v_fma_f64 v[12:13], v[38:39], v[12:13], v[14:15]
	s_delay_alu instid0(VALU_DEP_2) | instskip(NEXT) | instid1(VALU_DEP_2)
	v_add_f64 v[16:17], v[46:47], v[1:2]
	v_add_f64 v[18:19], v[48:49], v[12:13]
	v_mul_f64 v[1:2], v[38:39], v[34:35]
	v_mul_f64 v[12:13], v[36:37], v[34:35]
	s_delay_alu instid0(VALU_DEP_2) | instskip(NEXT) | instid1(VALU_DEP_2)
	v_fma_f64 v[1:2], v[36:37], v[32:33], -v[1:2]
	v_fma_f64 v[12:13], v[38:39], v[32:33], v[12:13]
	s_delay_alu instid0(VALU_DEP_2) | instskip(NEXT) | instid1(VALU_DEP_2)
	v_add_f64 v[14:15], v[50:51], v[1:2]
	v_add_f64 v[12:13], v[52:53], v[12:13]
	s_cbranch_scc1 .LBB450_11
.LBB450_3:                              ; =>This Inner Loop Header: Depth=1
	v_add_nc_u32_e32 v1, s14, v29
	s_delay_alu instid0(VALU_DEP_1) | instskip(SKIP_1) | instid1(SALU_CYCLE_1)
	v_cmp_le_i32_e32 vcc_lo, s17, v1
	s_or_b32 s8, s3, vcc_lo
	s_and_saveexec_b32 s9, s8
	s_delay_alu instid0(SALU_CYCLE_1)
	s_xor_b32 s8, exec_lo, s9
	s_cbranch_execz .LBB450_5
; %bb.4:                                ;   in Loop: Header=BB450_3 Depth=1
	v_mov_b32_e32 v1, v0
	v_mov_b32_e32 v2, v0
	;; [unrolled: 1-line block ×3, first 2 shown]
	ds_store_b128 v30, v[0:3]
.LBB450_5:                              ;   in Loop: Header=BB450_3 Depth=1
	s_and_not1_saveexec_b32 s8, s8
	s_cbranch_execz .LBB450_7
; %bb.6:                                ;   in Loop: Header=BB450_3 Depth=1
	global_load_b128 v[32:35], v[4:5], off
	s_waitcnt vmcnt(0)
	ds_store_2addr_b64 v30, v[32:33], v[34:35] offset1:1
.LBB450_7:                              ;   in Loop: Header=BB450_3 Depth=1
	s_or_b32 exec_lo, exec_lo, s8
	v_add_nc_u32_e32 v1, s14, v26
	s_delay_alu instid0(VALU_DEP_1) | instskip(SKIP_1) | instid1(SALU_CYCLE_1)
	v_cmp_le_i32_e32 vcc_lo, s17, v1
	s_or_b32 s8, vcc_lo, s2
	s_and_saveexec_b32 s9, s8
	s_delay_alu instid0(SALU_CYCLE_1)
	s_xor_b32 s8, exec_lo, s9
	s_cbranch_execz .LBB450_9
; %bb.8:                                ;   in Loop: Header=BB450_3 Depth=1
	v_mov_b32_e32 v1, v0
	v_mov_b32_e32 v2, v0
	;; [unrolled: 1-line block ×3, first 2 shown]
	ds_store_b128 v31, v[0:3]
.LBB450_9:                              ;   in Loop: Header=BB450_3 Depth=1
	s_and_not1_saveexec_b32 s8, s8
	s_cbranch_execz .LBB450_2
; %bb.10:                               ;   in Loop: Header=BB450_3 Depth=1
	global_load_b128 v[32:35], v[6:7], off
	s_waitcnt vmcnt(0)
	ds_store_2addr_b64 v31, v[32:33], v[34:35] offset1:1
	s_branch .LBB450_2
.LBB450_11:
	s_clause 0x2
	s_load_b32 s2, s[0:1], 0x60
	s_load_b64 s[8:9], s[0:1], 0x68
	s_load_b64 s[10:11], s[0:1], 0x58
	v_add_nc_u32_e32 v4, s13, v25
	v_add_nc_u32_e32 v0, s12, v24
	s_delay_alu instid0(VALU_DEP_2)
	v_cmp_gt_i32_e32 vcc_lo, s16, v4
	s_waitcnt lgkmcnt(0)
	v_mad_i64_i32 v[1:2], null, v4, s2, 0
	s_mul_i32 s1, s15, s9
	s_mul_hi_u32 s3, s15, s8
	s_mul_i32 s0, s15, s8
	s_add_i32 s1, s3, s1
	s_delay_alu instid0(SALU_CYCLE_1) | instskip(NEXT) | instid1(VALU_DEP_1)
	s_lshl_b64 s[8:9], s[0:1], 4
	v_lshlrev_b64 v[1:2], 4, v[1:2]
	s_add_u32 s3, s10, s8
	v_cmp_le_i32_e64 s0, v0, v4
	s_addc_u32 s8, s11, s9
	s_delay_alu instid0(VALU_DEP_2) | instskip(NEXT) | instid1(VALU_DEP_1)
	v_add_co_u32 v5, s1, s3, v1
	v_add_co_ci_u32_e64 v6, s1, s8, v2, s1
	s_delay_alu instid0(VALU_DEP_3) | instskip(NEXT) | instid1(SALU_CYCLE_1)
	s_and_b32 s0, vcc_lo, s0
	s_and_saveexec_b32 s9, s0
	s_cbranch_execz .LBB450_13
; %bb.12:
	v_mul_f64 v[1:2], s[4:5], v[22:23]
	v_mul_f64 v[22:23], s[6:7], v[22:23]
	v_cmp_ne_u32_e64 s0, v4, v0
	s_delay_alu instid0(VALU_DEP_3) | instskip(NEXT) | instid1(VALU_DEP_3)
	v_fma_f64 v[2:3], s[6:7], v[20:21], v[1:2]
	v_fma_f64 v[20:21], s[4:5], v[20:21], -v[22:23]
	v_ashrrev_i32_e32 v1, 31, v0
	s_delay_alu instid0(VALU_DEP_1) | instskip(NEXT) | instid1(VALU_DEP_1)
	v_lshlrev_b64 v[22:23], 4, v[0:1]
	v_add_co_u32 v24, s1, v5, v22
	s_delay_alu instid0(VALU_DEP_1)
	v_add_co_ci_u32_e64 v25, s1, v6, v23, s1
	v_cndmask_b32_e64 v23, 0, v3, s0
	v_cndmask_b32_e64 v22, 0, v2, s0
	global_store_b128 v[24:25], v[20:23], off
.LBB450_13:
	s_or_b32 exec_lo, exec_lo, s9
	v_add_nc_u32_e32 v2, 16, v0
	s_delay_alu instid0(VALU_DEP_1) | instskip(NEXT) | instid1(VALU_DEP_1)
	v_cmp_le_i32_e64 s0, v2, v4
	s_and_b32 s0, vcc_lo, s0
	s_delay_alu instid0(SALU_CYCLE_1)
	s_and_saveexec_b32 s1, s0
	s_cbranch_execz .LBB450_15
; %bb.14:
	v_mul_f64 v[20:21], s[4:5], v[10:11]
	v_mul_f64 v[10:11], s[6:7], v[10:11]
	v_ashrrev_i32_e32 v3, 31, v2
	v_cmp_ne_u32_e32 vcc_lo, v4, v2
	s_delay_alu instid0(VALU_DEP_4) | instskip(NEXT) | instid1(VALU_DEP_4)
	v_fma_f64 v[20:21], s[6:7], v[8:9], v[20:21]
	v_fma_f64 v[7:8], s[4:5], v[8:9], -v[10:11]
	s_delay_alu instid0(VALU_DEP_4) | instskip(NEXT) | instid1(VALU_DEP_1)
	v_lshlrev_b64 v[9:10], 4, v[2:3]
	v_add_co_u32 v5, s0, v5, v9
	s_delay_alu instid0(VALU_DEP_1)
	v_add_co_ci_u32_e64 v6, s0, v6, v10, s0
	v_dual_cndmask_b32 v10, 0, v21 :: v_dual_cndmask_b32 v9, 0, v20
	global_store_b128 v[5:6], v[7:10], off
.LBB450_15:
	s_or_b32 exec_lo, exec_lo, s1
	v_add_nc_u32_e32 v3, 16, v4
	s_delay_alu instid0(VALU_DEP_1) | instskip(SKIP_2) | instid1(VALU_DEP_1)
	v_mad_i64_i32 v[5:6], null, v3, s2, 0
	v_cmp_gt_i32_e32 vcc_lo, s16, v3
	v_cmp_le_i32_e64 s0, v0, v3
	s_and_b32 s0, vcc_lo, s0
	s_delay_alu instid0(VALU_DEP_3) | instskip(NEXT) | instid1(VALU_DEP_1)
	v_lshlrev_b64 v[5:6], 4, v[5:6]
	v_add_co_u32 v5, s1, s3, v5
	s_delay_alu instid0(VALU_DEP_1)
	v_add_co_ci_u32_e64 v6, s1, s8, v6, s1
	s_and_saveexec_b32 s2, s0
	s_cbranch_execz .LBB450_17
; %bb.16:
	v_mul_f64 v[7:8], s[4:5], v[18:19]
	v_mul_f64 v[9:10], s[6:7], v[18:19]
	v_ashrrev_i32_e32 v1, 31, v0
	v_cmp_ne_u32_e64 s0, v3, v0
	s_delay_alu instid0(VALU_DEP_4) | instskip(NEXT) | instid1(VALU_DEP_4)
	v_fma_f64 v[18:19], s[6:7], v[16:17], v[7:8]
	v_fma_f64 v[7:8], s[4:5], v[16:17], -v[9:10]
	s_delay_alu instid0(VALU_DEP_4) | instskip(NEXT) | instid1(VALU_DEP_1)
	v_lshlrev_b64 v[9:10], 4, v[0:1]
	v_add_co_u32 v16, s1, v5, v9
	s_delay_alu instid0(VALU_DEP_1)
	v_add_co_ci_u32_e64 v17, s1, v6, v10, s1
	v_cndmask_b32_e64 v10, 0, v19, s0
	v_cndmask_b32_e64 v9, 0, v18, s0
	global_store_b128 v[16:17], v[7:10], off
.LBB450_17:
	s_or_b32 exec_lo, exec_lo, s2
	v_cmp_le_i32_e64 s0, v2, v3
	s_delay_alu instid0(VALU_DEP_1) | instskip(NEXT) | instid1(SALU_CYCLE_1)
	s_and_b32 s0, vcc_lo, s0
	s_and_saveexec_b32 s1, s0
	s_cbranch_execz .LBB450_19
; %bb.18:
	v_mul_f64 v[7:8], s[4:5], v[12:13]
	v_mul_f64 v[9:10], s[6:7], v[12:13]
	v_ashrrev_i32_e32 v3, 31, v2
	v_cmp_ne_u32_e32 vcc_lo, v4, v0
	s_delay_alu instid0(VALU_DEP_2) | instskip(NEXT) | instid1(VALU_DEP_1)
	v_lshlrev_b64 v[1:2], 4, v[2:3]
	v_add_co_u32 v0, s0, v5, v1
	s_delay_alu instid0(VALU_DEP_1) | instskip(SKIP_2) | instid1(VALU_DEP_2)
	v_add_co_ci_u32_e64 v1, s0, v6, v2, s0
	v_fma_f64 v[11:12], s[6:7], v[14:15], v[7:8]
	v_fma_f64 v[7:8], s[4:5], v[14:15], -v[9:10]
	v_dual_cndmask_b32 v10, 0, v12 :: v_dual_cndmask_b32 v9, 0, v11
	global_store_b128 v[0:1], v[7:10], off
.LBB450_19:
	s_nop 0
	s_sendmsg sendmsg(MSG_DEALLOC_VGPRS)
	s_endpgm
	.section	.rodata,"a",@progbits
	.p2align	6, 0x0
	.amdhsa_kernel _ZL34rocblas_syrkx_herkx_general_kernelIi19rocblas_complex_numIdELi16ELi32ELi8ELb1ELb1ELc84ELc85EKS1_S1_EviT_T0_PT8_S3_lS6_S3_lS4_PT9_S3_li
		.amdhsa_group_segment_fixed_size 8192
		.amdhsa_private_segment_fixed_size 0
		.amdhsa_kernarg_size 116
		.amdhsa_user_sgpr_count 13
		.amdhsa_user_sgpr_dispatch_ptr 0
		.amdhsa_user_sgpr_queue_ptr 0
		.amdhsa_user_sgpr_kernarg_segment_ptr 1
		.amdhsa_user_sgpr_dispatch_id 0
		.amdhsa_user_sgpr_private_segment_size 0
		.amdhsa_wavefront_size32 1
		.amdhsa_uses_dynamic_stack 0
		.amdhsa_enable_private_segment 0
		.amdhsa_system_sgpr_workgroup_id_x 1
		.amdhsa_system_sgpr_workgroup_id_y 1
		.amdhsa_system_sgpr_workgroup_id_z 1
		.amdhsa_system_sgpr_workgroup_info 0
		.amdhsa_system_vgpr_workitem_id 1
		.amdhsa_next_free_vgpr 56
		.amdhsa_next_free_sgpr 23
		.amdhsa_reserve_vcc 1
		.amdhsa_float_round_mode_32 0
		.amdhsa_float_round_mode_16_64 0
		.amdhsa_float_denorm_mode_32 3
		.amdhsa_float_denorm_mode_16_64 3
		.amdhsa_dx10_clamp 1
		.amdhsa_ieee_mode 1
		.amdhsa_fp16_overflow 0
		.amdhsa_workgroup_processor_mode 1
		.amdhsa_memory_ordered 1
		.amdhsa_forward_progress 0
		.amdhsa_shared_vgpr_count 0
		.amdhsa_exception_fp_ieee_invalid_op 0
		.amdhsa_exception_fp_denorm_src 0
		.amdhsa_exception_fp_ieee_div_zero 0
		.amdhsa_exception_fp_ieee_overflow 0
		.amdhsa_exception_fp_ieee_underflow 0
		.amdhsa_exception_fp_ieee_inexact 0
		.amdhsa_exception_int_div_zero 0
	.end_amdhsa_kernel
	.section	.text._ZL34rocblas_syrkx_herkx_general_kernelIi19rocblas_complex_numIdELi16ELi32ELi8ELb1ELb1ELc84ELc85EKS1_S1_EviT_T0_PT8_S3_lS6_S3_lS4_PT9_S3_li,"axG",@progbits,_ZL34rocblas_syrkx_herkx_general_kernelIi19rocblas_complex_numIdELi16ELi32ELi8ELb1ELb1ELc84ELc85EKS1_S1_EviT_T0_PT8_S3_lS6_S3_lS4_PT9_S3_li,comdat
.Lfunc_end450:
	.size	_ZL34rocblas_syrkx_herkx_general_kernelIi19rocblas_complex_numIdELi16ELi32ELi8ELb1ELb1ELc84ELc85EKS1_S1_EviT_T0_PT8_S3_lS6_S3_lS4_PT9_S3_li, .Lfunc_end450-_ZL34rocblas_syrkx_herkx_general_kernelIi19rocblas_complex_numIdELi16ELi32ELi8ELb1ELb1ELc84ELc85EKS1_S1_EviT_T0_PT8_S3_lS6_S3_lS4_PT9_S3_li
                                        ; -- End function
	.section	.AMDGPU.csdata,"",@progbits
; Kernel info:
; codeLenInByte = 3608
; NumSgprs: 25
; NumVgprs: 56
; ScratchSize: 0
; MemoryBound: 0
; FloatMode: 240
; IeeeMode: 1
; LDSByteSize: 8192 bytes/workgroup (compile time only)
; SGPRBlocks: 3
; VGPRBlocks: 6
; NumSGPRsForWavesPerEU: 25
; NumVGPRsForWavesPerEU: 56
; Occupancy: 16
; WaveLimiterHint : 0
; COMPUTE_PGM_RSRC2:SCRATCH_EN: 0
; COMPUTE_PGM_RSRC2:USER_SGPR: 13
; COMPUTE_PGM_RSRC2:TRAP_HANDLER: 0
; COMPUTE_PGM_RSRC2:TGID_X_EN: 1
; COMPUTE_PGM_RSRC2:TGID_Y_EN: 1
; COMPUTE_PGM_RSRC2:TGID_Z_EN: 1
; COMPUTE_PGM_RSRC2:TIDIG_COMP_CNT: 1
	.section	.text._ZL34rocblas_syrkx_herkx_general_kernelIi19rocblas_complex_numIdELi16ELi32ELi8ELb1ELb1ELc67ELc85EKS1_S1_EviT_T0_PT8_S3_lS6_S3_lS4_PT9_S3_li,"axG",@progbits,_ZL34rocblas_syrkx_herkx_general_kernelIi19rocblas_complex_numIdELi16ELi32ELi8ELb1ELb1ELc67ELc85EKS1_S1_EviT_T0_PT8_S3_lS6_S3_lS4_PT9_S3_li,comdat
	.globl	_ZL34rocblas_syrkx_herkx_general_kernelIi19rocblas_complex_numIdELi16ELi32ELi8ELb1ELb1ELc67ELc85EKS1_S1_EviT_T0_PT8_S3_lS6_S3_lS4_PT9_S3_li ; -- Begin function _ZL34rocblas_syrkx_herkx_general_kernelIi19rocblas_complex_numIdELi16ELi32ELi8ELb1ELb1ELc67ELc85EKS1_S1_EviT_T0_PT8_S3_lS6_S3_lS4_PT9_S3_li
	.p2align	8
	.type	_ZL34rocblas_syrkx_herkx_general_kernelIi19rocblas_complex_numIdELi16ELi32ELi8ELb1ELb1ELc67ELc85EKS1_S1_EviT_T0_PT8_S3_lS6_S3_lS4_PT9_S3_li,@function
_ZL34rocblas_syrkx_herkx_general_kernelIi19rocblas_complex_numIdELi16ELi32ELi8ELb1ELb1ELc67ELc85EKS1_S1_EviT_T0_PT8_S3_lS6_S3_lS4_PT9_S3_li: ; @_ZL34rocblas_syrkx_herkx_general_kernelIi19rocblas_complex_numIdELi16ELi32ELi8ELb1ELb1ELc67ELc85EKS1_S1_EviT_T0_PT8_S3_lS6_S3_lS4_PT9_S3_li
; %bb.0:
	s_clause 0x2
	s_load_b64 s[16:17], s[0:1], 0x0
	s_load_b128 s[4:7], s[0:1], 0x8
	s_load_b64 s[18:19], s[0:1], 0x18
	v_mov_b32_e32 v23, 0
	v_dual_mov_b32 v24, 0 :: v_dual_and_b32 v27, 0x3ff, v0
	v_bfe_u32 v28, v0, 10, 10
	s_delay_alu instid0(VALU_DEP_3) | instskip(NEXT) | instid1(VALU_DEP_3)
	v_mov_b32_e32 v19, v23
	v_dual_mov_b32 v21, v23 :: v_dual_mov_b32 v22, v24
	v_dual_mov_b32 v26, v24 :: v_dual_mov_b32 v25, v23
	;; [unrolled: 1-line block ×6, first 2 shown]
	v_mov_b32_e32 v14, v24
	s_lshl_b32 s12, s13, 5
	s_lshl_b32 s13, s14, 5
	s_waitcnt lgkmcnt(0)
	s_cmp_lt_i32 s17, 1
	s_mov_b32 s14, 0
	s_cbranch_scc1 .LBB451_9
; %bb.1:
	s_load_b32 s2, s[0:1], 0x20
	v_lshl_add_u32 v0, v28, 4, v27
	s_clause 0x2
	s_load_b128 s[8:11], s[0:1], 0x28
	s_load_b32 s3, s[0:1], 0x38
	s_load_b64 s[20:21], s[0:1], 0x40
	v_and_b32_e32 v29, 7, v27
	v_lshlrev_b32_e32 v30, 4, v27
	v_lshl_add_u32 v31, v28, 7, 0x1000
	v_and_b32_e32 v2, 31, v0
	v_lshrrev_b32_e32 v1, 3, v0
	v_lshlrev_b32_e32 v4, 4, v29
	v_lshrrev_b32_e32 v32, 5, v0
	s_delay_alu instid0(VALU_DEP_4) | instskip(NEXT) | instid1(VALU_DEP_4)
	v_add_nc_u32_e32 v3, s12, v2
	v_add_nc_u32_e32 v5, s13, v1
	s_delay_alu instid0(VALU_DEP_4) | instskip(SKIP_3) | instid1(VALU_DEP_4)
	v_lshl_or_b32 v7, v1, 7, v4
	v_or_b32_e32 v6, s12, v2
	v_lshlrev_b32_e32 v2, 4, v2
	v_lshlrev_b32_e32 v8, 4, v32
	v_add_nc_u32_e32 v34, 0x1000, v7
	s_delay_alu instid0(VALU_DEP_4)
	v_cmp_gt_i32_e32 vcc_lo, s16, v6
	s_waitcnt lgkmcnt(0)
	v_mad_i64_i32 v[0:1], null, s2, v3, 0
	s_mul_i32 s9, s9, s15
	s_mul_hi_u32 s22, s8, s15
	s_mul_i32 s8, s8, s15
	s_add_i32 s9, s22, s9
	v_lshl_or_b32 v33, v32, 9, v2
	s_lshl_b64 s[8:9], s[8:9], 4
	s_delay_alu instid0(VALU_DEP_2) | instskip(SKIP_2) | instid1(VALU_DEP_3)
	v_lshlrev_b64 v[0:1], 4, v[0:1]
	v_mad_i64_i32 v[2:3], null, s3, v5, 0
	v_cmp_gt_i32_e64 s2, s16, v5
	v_add_co_u32 v0, s3, v0, s8
	s_delay_alu instid0(VALU_DEP_1) | instskip(SKIP_1) | instid1(VALU_DEP_2)
	v_add_co_ci_u32_e64 v1, s3, s9, v1, s3
	s_mul_hi_u32 s8, s20, s15
	v_add_co_u32 v5, s3, v0, v8
	s_delay_alu instid0(VALU_DEP_1)
	v_add_co_ci_u32_e64 v6, s3, 0, v1, s3
	s_mul_i32 s3, s21, s15
	v_lshlrev_b64 v[0:1], 4, v[2:3]
	s_add_i32 s9, s8, s3
	s_mul_i32 s8, s20, s15
	v_add_co_u32 v2, s3, v5, s18
	s_lshl_b64 s[8:9], s[8:9], 4
	v_add_co_ci_u32_e64 v3, s3, s19, v6, s3
	v_mov_b32_e32 v7, 0
	v_add_co_u32 v0, s3, v0, s8
	v_mov_b32_e32 v8, 0
	v_add_co_ci_u32_e64 v1, s3, s9, v1, s3
	v_add_co_u32 v5, s3, v2, 8
	s_delay_alu instid0(VALU_DEP_1) | instskip(NEXT) | instid1(VALU_DEP_4)
	v_add_co_ci_u32_e64 v6, s3, 0, v3, s3
	v_dual_mov_b32 v12, v8 :: v_dual_mov_b32 v11, v7
	v_add_co_u32 v0, s3, v0, v4
	s_delay_alu instid0(VALU_DEP_1) | instskip(SKIP_1) | instid1(VALU_DEP_3)
	v_add_co_ci_u32_e64 v1, s3, 0, v1, s3
	v_mov_b32_e32 v14, v8
	v_add_co_u32 v9, s3, s10, v0
	v_mov_b32_e32 v18, v8
	v_mov_b32_e32 v16, v8
	;; [unrolled: 1-line block ×5, first 2 shown]
	v_dual_mov_b32 v24, v8 :: v_dual_mov_b32 v23, v7
	v_add_co_ci_u32_e64 v10, s3, s11, v1, s3
	v_dual_mov_b32 v0, 0 :: v_dual_mov_b32 v13, v7
	v_mov_b32_e32 v17, v7
	v_mov_b32_e32 v15, v7
	;; [unrolled: 1-line block ×5, first 2 shown]
	s_xor_b32 s3, s2, -1
	s_branch .LBB451_3
.LBB451_2:                              ;   in Loop: Header=BB451_3 Depth=1
	s_or_b32 exec_lo, exec_lo, s2
	s_waitcnt lgkmcnt(0)
	s_barrier
	buffer_gl0_inv
	ds_load_b128 v[1:4], v31
	ds_load_b128 v[35:38], v30
	ds_load_b128 v[39:42], v30 offset:256
	ds_load_b128 v[43:46], v31 offset:2048
	;; [unrolled: 1-line block ×9, first 2 shown]
	v_add_co_u32 v5, s2, 0x80, v5
	s_delay_alu instid0(VALU_DEP_1) | instskip(SKIP_1) | instid1(VALU_DEP_1)
	v_add_co_ci_u32_e64 v6, s2, 0, v6, s2
	v_add_co_u32 v9, s2, 0x80, v9
	v_add_co_ci_u32_e64 v10, s2, 0, v10, s2
	s_add_i32 s14, s14, 8
	s_delay_alu instid0(SALU_CYCLE_1)
	s_cmp_ge_i32 s14, s17
	s_waitcnt lgkmcnt(9)
	v_mul_f64 v[75:76], v[3:4], v[37:38]
	v_mul_f64 v[77:78], v[1:2], v[37:38]
	s_waitcnt lgkmcnt(8)
	v_mul_f64 v[79:80], v[3:4], v[41:42]
	v_mul_f64 v[81:82], v[1:2], v[41:42]
	;; [unrolled: 3-line block ×3, first 2 shown]
	v_mul_f64 v[85:86], v[45:46], v[41:42]
	v_mul_f64 v[41:42], v[43:44], v[41:42]
	s_waitcnt lgkmcnt(4)
	v_mul_f64 v[87:88], v[49:50], v[57:58]
	v_mul_f64 v[89:90], v[47:48], v[57:58]
	s_waitcnt lgkmcnt(3)
	v_mul_f64 v[91:92], v[49:50], v[61:62]
	v_mul_f64 v[93:94], v[47:48], v[61:62]
	;; [unrolled: 1-line block ×6, first 2 shown]
	s_waitcnt lgkmcnt(0)
	v_mul_f64 v[115:116], v[73:74], v[65:66]
	v_mul_f64 v[117:118], v[73:74], v[69:70]
	v_fma_f64 v[99:100], v[1:2], v[35:36], -v[75:76]
	v_fma_f64 v[101:102], v[3:4], v[35:36], v[77:78]
	v_fma_f64 v[79:80], v[1:2], v[39:40], -v[79:80]
	v_fma_f64 v[81:82], v[3:4], v[39:40], v[81:82]
	;; [unrolled: 2-line block ×4, first 2 shown]
	ds_load_b128 v[75:78], v31 offset:32
	v_fma_f64 v[87:88], v[47:48], v[55:56], -v[87:88]
	v_fma_f64 v[89:90], v[49:50], v[55:56], v[89:90]
	v_fma_f64 v[47:48], v[47:48], v[59:60], -v[91:92]
	v_fma_f64 v[49:50], v[49:50], v[59:60], v[93:94]
	;; [unrolled: 2-line block ×4, first 2 shown]
	ds_load_b128 v[1:4], v31 offset:48
	ds_load_b128 v[35:38], v31 offset:2096
	;; [unrolled: 1-line block ×4, first 2 shown]
	s_waitcnt lgkmcnt(4)
	v_mul_f64 v[107:108], v[77:78], v[65:66]
	v_mul_f64 v[109:110], v[75:76], v[65:66]
	;; [unrolled: 1-line block ×6, first 2 shown]
	s_waitcnt lgkmcnt(1)
	v_mul_f64 v[93:94], v[1:2], v[41:42]
	s_waitcnt lgkmcnt(0)
	v_mul_f64 v[95:96], v[3:4], v[45:46]
	v_add_f64 v[23:24], v[23:24], v[99:100]
	v_add_f64 v[25:26], v[25:26], v[101:102]
	;; [unrolled: 1-line block ×8, first 2 shown]
	v_mul_f64 v[85:86], v[3:4], v[41:42]
	v_mul_f64 v[97:98], v[1:2], v[45:46]
	;; [unrolled: 1-line block ×6, first 2 shown]
	ds_load_b128 v[11:14], v30 offset:2048
	ds_load_b128 v[15:18], v30 offset:2304
	;; [unrolled: 1-line block ×3, first 2 shown]
	v_fma_f64 v[105:106], v[75:76], v[63:64], -v[107:108]
	v_fma_f64 v[107:108], v[77:78], v[63:64], v[109:110]
	v_fma_f64 v[75:76], v[75:76], v[67:68], -v[111:112]
	v_fma_f64 v[77:78], v[77:78], v[67:68], v[113:114]
	;; [unrolled: 2-line block ×4, first 2 shown]
	s_waitcnt lgkmcnt(0)
	v_mul_f64 v[115:116], v[21:22], v[13:14]
	v_mul_f64 v[117:118], v[21:22], v[17:18]
	v_add_f64 v[69:70], v[23:24], v[87:88]
	v_add_f64 v[71:72], v[25:26], v[89:90]
	v_add_f64 v[73:74], v[57:58], v[47:48]
	v_add_f64 v[87:88], v[59:60], v[49:50]
	v_add_f64 v[61:62], v[61:62], v[91:92]
	v_add_f64 v[79:80], v[79:80], v[55:56]
	v_add_f64 v[81:82], v[81:82], v[51:52]
	v_add_f64 v[83:84], v[83:84], v[53:54]
	ds_load_b128 v[23:26], v31 offset:64
	v_fma_f64 v[85:86], v[1:2], v[39:40], -v[85:86]
	v_fma_f64 v[93:94], v[3:4], v[39:40], v[93:94]
	v_fma_f64 v[95:96], v[1:2], v[43:44], -v[95:96]
	v_fma_f64 v[97:98], v[3:4], v[43:44], v[97:98]
	;; [unrolled: 2-line block ×4, first 2 shown]
	ds_load_b128 v[45:48], v31 offset:80
	ds_load_b128 v[49:52], v31 offset:2128
	;; [unrolled: 1-line block ×7, first 2 shown]
	s_waitcnt lgkmcnt(7)
	v_mul_f64 v[89:90], v[25:26], v[13:14]
	v_mul_f64 v[91:92], v[23:24], v[13:14]
	;; [unrolled: 1-line block ×6, first 2 shown]
	s_waitcnt lgkmcnt(3)
	v_mul_f64 v[103:104], v[51:52], v[59:60]
	v_add_f64 v[69:70], v[69:70], v[105:106]
	v_add_f64 v[71:72], v[71:72], v[107:108]
	;; [unrolled: 1-line block ×8, first 2 shown]
	v_mul_f64 v[77:78], v[47:48], v[55:56]
	v_mul_f64 v[79:80], v[45:46], v[55:56]
	;; [unrolled: 1-line block ×7, first 2 shown]
	v_fma_f64 v[89:90], v[23:24], v[11:12], -v[89:90]
	v_fma_f64 v[91:92], v[25:26], v[11:12], v[91:92]
	v_fma_f64 v[107:108], v[23:24], v[15:16], -v[111:112]
	v_fma_f64 v[109:110], v[25:26], v[15:16], v[113:114]
	v_fma_f64 v[111:112], v[19:20], v[11:12], -v[115:116]
	v_fma_f64 v[113:114], v[21:22], v[11:12], v[13:14]
	v_fma_f64 v[115:116], v[19:20], v[15:16], -v[117:118]
	v_fma_f64 v[117:118], v[21:22], v[15:16], v[17:18]
	ds_load_b128 v[11:14], v31 offset:96
	v_add_f64 v[69:70], v[69:70], v[85:86]
	v_add_f64 v[71:72], v[71:72], v[93:94]
	;; [unrolled: 1-line block ×8, first 2 shown]
	s_waitcnt lgkmcnt(1)
	v_mul_f64 v[99:100], v[41:42], v[3:4]
	v_mul_f64 v[101:102], v[41:42], v[37:38]
	v_fma_f64 v[77:78], v[45:46], v[53:54], -v[77:78]
	v_fma_f64 v[79:80], v[47:48], v[53:54], v[79:80]
	v_fma_f64 v[45:46], v[45:46], v[57:58], -v[81:82]
	v_fma_f64 v[47:48], v[47:48], v[57:58], v[83:84]
	;; [unrolled: 2-line block ×4, first 2 shown]
	s_waitcnt lgkmcnt(0)
	v_mul_f64 v[67:68], v[13:14], v[3:4]
	v_mul_f64 v[93:94], v[11:12], v[3:4]
	;; [unrolled: 1-line block ×6, first 2 shown]
	ds_load_b128 v[15:18], v31 offset:112
	ds_load_b128 v[19:22], v31 offset:2160
	;; [unrolled: 1-line block ×4, first 2 shown]
	s_waitcnt lgkmcnt(0)
	s_barrier
	buffer_gl0_inv
	v_add_f64 v[55:56], v[69:70], v[89:90]
	v_add_f64 v[57:58], v[71:72], v[91:92]
	;; [unrolled: 1-line block ×8, first 2 shown]
	v_mul_f64 v[75:76], v[17:18], v[25:26]
	v_mul_f64 v[83:84], v[15:16], v[25:26]
	;; [unrolled: 1-line block ×8, first 2 shown]
	v_fma_f64 v[67:68], v[11:12], v[1:2], -v[67:68]
	v_fma_f64 v[93:94], v[13:14], v[1:2], v[93:94]
	v_fma_f64 v[11:12], v[11:12], v[35:36], -v[95:96]
	v_fma_f64 v[13:14], v[13:14], v[35:36], v[97:98]
	;; [unrolled: 2-line block ×4, first 2 shown]
	v_add_f64 v[37:38], v[55:56], v[77:78]
	v_add_f64 v[39:40], v[57:58], v[79:80]
	;; [unrolled: 1-line block ×8, first 2 shown]
	v_fma_f64 v[51:52], v[15:16], v[23:24], -v[75:76]
	v_fma_f64 v[55:56], v[17:18], v[23:24], v[83:84]
	v_fma_f64 v[15:16], v[15:16], v[59:60], -v[85:86]
	v_fma_f64 v[17:18], v[17:18], v[59:60], v[87:88]
	;; [unrolled: 2-line block ×4, first 2 shown]
	v_add_f64 v[19:20], v[37:38], v[67:68]
	v_add_f64 v[21:22], v[39:40], v[93:94]
	;; [unrolled: 1-line block ×16, first 2 shown]
	s_cbranch_scc1 .LBB451_9
.LBB451_3:                              ; =>This Inner Loop Header: Depth=1
	v_add_nc_u32_e32 v1, s14, v32
	v_dual_mov_b32 v3, v7 :: v_dual_mov_b32 v4, v8
	s_delay_alu instid0(VALU_DEP_2) | instskip(SKIP_1) | instid1(VALU_DEP_2)
	v_cmp_gt_i32_e64 s2, s17, v1
	v_dual_mov_b32 v1, v7 :: v_dual_mov_b32 v2, v8
	s_and_b32 s8, vcc_lo, s2
	s_delay_alu instid0(SALU_CYCLE_1)
	s_and_saveexec_b32 s2, s8
	s_cbranch_execz .LBB451_5
; %bb.4:                                ;   in Loop: Header=BB451_3 Depth=1
	global_load_b128 v[1:4], v[5:6], off offset:-8
	s_waitcnt vmcnt(0)
	v_xor_b32_e32 v4, 0x80000000, v4
.LBB451_5:                              ;   in Loop: Header=BB451_3 Depth=1
	s_or_b32 exec_lo, exec_lo, s2
	v_add_nc_u32_e32 v35, s14, v29
	ds_store_b128 v33, v[1:4]
	v_cmp_le_i32_e64 s2, s17, v35
	s_delay_alu instid0(VALU_DEP_1) | instskip(NEXT) | instid1(SALU_CYCLE_1)
	s_or_b32 s2, s2, s3
	s_and_saveexec_b32 s8, s2
	s_delay_alu instid0(SALU_CYCLE_1)
	s_xor_b32 s2, exec_lo, s8
	s_cbranch_execz .LBB451_7
; %bb.6:                                ;   in Loop: Header=BB451_3 Depth=1
	v_mov_b32_e32 v1, v0
	v_mov_b32_e32 v2, v0
	;; [unrolled: 1-line block ×3, first 2 shown]
	ds_store_b128 v34, v[0:3]
.LBB451_7:                              ;   in Loop: Header=BB451_3 Depth=1
	s_and_not1_saveexec_b32 s2, s2
	s_cbranch_execz .LBB451_2
; %bb.8:                                ;   in Loop: Header=BB451_3 Depth=1
	global_load_b128 v[1:4], v[9:10], off
	s_waitcnt vmcnt(0)
	ds_store_2addr_b64 v34, v[1:2], v[3:4] offset1:1
	s_branch .LBB451_2
.LBB451_9:
	s_clause 0x2
	s_load_b32 s2, s[0:1], 0x60
	s_load_b64 s[8:9], s[0:1], 0x68
	s_load_b64 s[10:11], s[0:1], 0x58
	v_add_nc_u32_e32 v4, s13, v28
	v_add_nc_u32_e32 v0, s12, v27
	s_delay_alu instid0(VALU_DEP_2)
	v_cmp_gt_i32_e32 vcc_lo, s16, v4
	s_waitcnt lgkmcnt(0)
	v_mad_i64_i32 v[1:2], null, v4, s2, 0
	s_mul_i32 s1, s15, s9
	s_mul_hi_u32 s3, s15, s8
	s_mul_i32 s0, s15, s8
	s_add_i32 s1, s3, s1
	s_delay_alu instid0(SALU_CYCLE_1) | instskip(NEXT) | instid1(VALU_DEP_1)
	s_lshl_b64 s[8:9], s[0:1], 4
	v_lshlrev_b64 v[1:2], 4, v[1:2]
	s_add_u32 s3, s10, s8
	v_cmp_le_i32_e64 s0, v0, v4
	s_addc_u32 s8, s11, s9
	s_delay_alu instid0(VALU_DEP_2) | instskip(NEXT) | instid1(VALU_DEP_1)
	v_add_co_u32 v5, s1, s3, v1
	v_add_co_ci_u32_e64 v6, s1, s8, v2, s1
	s_delay_alu instid0(VALU_DEP_3) | instskip(NEXT) | instid1(SALU_CYCLE_1)
	s_and_b32 s0, vcc_lo, s0
	s_and_saveexec_b32 s9, s0
	s_cbranch_execz .LBB451_11
; %bb.10:
	v_mul_f64 v[1:2], s[4:5], v[25:26]
	v_mul_f64 v[7:8], s[6:7], v[25:26]
	v_cmp_ne_u32_e64 s0, v4, v0
	s_delay_alu instid0(VALU_DEP_3) | instskip(NEXT) | instid1(VALU_DEP_3)
	v_fma_f64 v[2:3], s[6:7], v[23:24], v[1:2]
	v_fma_f64 v[7:8], s[4:5], v[23:24], -v[7:8]
	v_ashrrev_i32_e32 v1, 31, v0
	s_delay_alu instid0(VALU_DEP_1) | instskip(NEXT) | instid1(VALU_DEP_1)
	v_lshlrev_b64 v[9:10], 4, v[0:1]
	v_add_co_u32 v23, s1, v5, v9
	s_delay_alu instid0(VALU_DEP_1)
	v_add_co_ci_u32_e64 v24, s1, v6, v10, s1
	v_cndmask_b32_e64 v10, 0, v3, s0
	v_cndmask_b32_e64 v9, 0, v2, s0
	global_store_b128 v[23:24], v[7:10], off
.LBB451_11:
	s_or_b32 exec_lo, exec_lo, s9
	v_add_nc_u32_e32 v2, 16, v0
	s_delay_alu instid0(VALU_DEP_1) | instskip(NEXT) | instid1(VALU_DEP_1)
	v_cmp_le_i32_e64 s0, v2, v4
	s_and_b32 s0, vcc_lo, s0
	s_delay_alu instid0(SALU_CYCLE_1)
	s_and_saveexec_b32 s1, s0
	s_cbranch_execz .LBB451_13
; %bb.12:
	v_mul_f64 v[7:8], s[4:5], v[21:22]
	v_mul_f64 v[9:10], s[6:7], v[21:22]
	v_ashrrev_i32_e32 v3, 31, v2
	v_cmp_ne_u32_e32 vcc_lo, v4, v2
	s_delay_alu instid0(VALU_DEP_4) | instskip(NEXT) | instid1(VALU_DEP_4)
	v_fma_f64 v[21:22], s[6:7], v[19:20], v[7:8]
	v_fma_f64 v[7:8], s[4:5], v[19:20], -v[9:10]
	s_delay_alu instid0(VALU_DEP_4) | instskip(NEXT) | instid1(VALU_DEP_1)
	v_lshlrev_b64 v[9:10], 4, v[2:3]
	v_add_co_u32 v5, s0, v5, v9
	s_delay_alu instid0(VALU_DEP_1)
	v_add_co_ci_u32_e64 v6, s0, v6, v10, s0
	v_dual_cndmask_b32 v10, 0, v22 :: v_dual_cndmask_b32 v9, 0, v21
	global_store_b128 v[5:6], v[7:10], off
.LBB451_13:
	s_or_b32 exec_lo, exec_lo, s1
	v_add_nc_u32_e32 v3, 16, v4
	s_delay_alu instid0(VALU_DEP_1) | instskip(SKIP_2) | instid1(VALU_DEP_1)
	v_mad_i64_i32 v[5:6], null, v3, s2, 0
	v_cmp_gt_i32_e32 vcc_lo, s16, v3
	v_cmp_le_i32_e64 s0, v0, v3
	s_and_b32 s0, vcc_lo, s0
	s_delay_alu instid0(VALU_DEP_3) | instskip(NEXT) | instid1(VALU_DEP_1)
	v_lshlrev_b64 v[5:6], 4, v[5:6]
	v_add_co_u32 v5, s1, s3, v5
	s_delay_alu instid0(VALU_DEP_1)
	v_add_co_ci_u32_e64 v6, s1, s8, v6, s1
	s_and_saveexec_b32 s2, s0
	s_cbranch_execz .LBB451_15
; %bb.14:
	v_mul_f64 v[7:8], s[4:5], v[17:18]
	v_mul_f64 v[9:10], s[6:7], v[17:18]
	v_ashrrev_i32_e32 v1, 31, v0
	v_cmp_ne_u32_e64 s0, v3, v0
	s_delay_alu instid0(VALU_DEP_4) | instskip(NEXT) | instid1(VALU_DEP_4)
	v_fma_f64 v[17:18], s[6:7], v[15:16], v[7:8]
	v_fma_f64 v[7:8], s[4:5], v[15:16], -v[9:10]
	s_delay_alu instid0(VALU_DEP_4) | instskip(NEXT) | instid1(VALU_DEP_1)
	v_lshlrev_b64 v[9:10], 4, v[0:1]
	v_add_co_u32 v15, s1, v5, v9
	s_delay_alu instid0(VALU_DEP_1)
	v_add_co_ci_u32_e64 v16, s1, v6, v10, s1
	v_cndmask_b32_e64 v10, 0, v18, s0
	v_cndmask_b32_e64 v9, 0, v17, s0
	global_store_b128 v[15:16], v[7:10], off
.LBB451_15:
	s_or_b32 exec_lo, exec_lo, s2
	v_cmp_le_i32_e64 s0, v2, v3
	s_delay_alu instid0(VALU_DEP_1) | instskip(NEXT) | instid1(SALU_CYCLE_1)
	s_and_b32 s0, vcc_lo, s0
	s_and_saveexec_b32 s1, s0
	s_cbranch_execz .LBB451_17
; %bb.16:
	v_mul_f64 v[7:8], s[4:5], v[13:14]
	v_mul_f64 v[9:10], s[6:7], v[13:14]
	v_ashrrev_i32_e32 v3, 31, v2
	v_cmp_ne_u32_e32 vcc_lo, v4, v0
	s_delay_alu instid0(VALU_DEP_2) | instskip(NEXT) | instid1(VALU_DEP_1)
	v_lshlrev_b64 v[1:2], 4, v[2:3]
	v_add_co_u32 v0, s0, v5, v1
	s_delay_alu instid0(VALU_DEP_1) | instskip(SKIP_2) | instid1(VALU_DEP_2)
	v_add_co_ci_u32_e64 v1, s0, v6, v2, s0
	v_fma_f64 v[13:14], s[6:7], v[11:12], v[7:8]
	v_fma_f64 v[7:8], s[4:5], v[11:12], -v[9:10]
	v_dual_cndmask_b32 v10, 0, v14 :: v_dual_cndmask_b32 v9, 0, v13
	global_store_b128 v[0:1], v[7:10], off
.LBB451_17:
	s_nop 0
	s_sendmsg sendmsg(MSG_DEALLOC_VGPRS)
	s_endpgm
	.section	.rodata,"a",@progbits
	.p2align	6, 0x0
	.amdhsa_kernel _ZL34rocblas_syrkx_herkx_general_kernelIi19rocblas_complex_numIdELi16ELi32ELi8ELb1ELb1ELc67ELc85EKS1_S1_EviT_T0_PT8_S3_lS6_S3_lS4_PT9_S3_li
		.amdhsa_group_segment_fixed_size 8192
		.amdhsa_private_segment_fixed_size 0
		.amdhsa_kernarg_size 116
		.amdhsa_user_sgpr_count 13
		.amdhsa_user_sgpr_dispatch_ptr 0
		.amdhsa_user_sgpr_queue_ptr 0
		.amdhsa_user_sgpr_kernarg_segment_ptr 1
		.amdhsa_user_sgpr_dispatch_id 0
		.amdhsa_user_sgpr_private_segment_size 0
		.amdhsa_wavefront_size32 1
		.amdhsa_uses_dynamic_stack 0
		.amdhsa_enable_private_segment 0
		.amdhsa_system_sgpr_workgroup_id_x 1
		.amdhsa_system_sgpr_workgroup_id_y 1
		.amdhsa_system_sgpr_workgroup_id_z 1
		.amdhsa_system_sgpr_workgroup_info 0
		.amdhsa_system_vgpr_workitem_id 1
		.amdhsa_next_free_vgpr 121
		.amdhsa_next_free_sgpr 23
		.amdhsa_reserve_vcc 1
		.amdhsa_float_round_mode_32 0
		.amdhsa_float_round_mode_16_64 0
		.amdhsa_float_denorm_mode_32 3
		.amdhsa_float_denorm_mode_16_64 3
		.amdhsa_dx10_clamp 1
		.amdhsa_ieee_mode 1
		.amdhsa_fp16_overflow 0
		.amdhsa_workgroup_processor_mode 1
		.amdhsa_memory_ordered 1
		.amdhsa_forward_progress 0
		.amdhsa_shared_vgpr_count 0
		.amdhsa_exception_fp_ieee_invalid_op 0
		.amdhsa_exception_fp_denorm_src 0
		.amdhsa_exception_fp_ieee_div_zero 0
		.amdhsa_exception_fp_ieee_overflow 0
		.amdhsa_exception_fp_ieee_underflow 0
		.amdhsa_exception_fp_ieee_inexact 0
		.amdhsa_exception_int_div_zero 0
	.end_amdhsa_kernel
	.section	.text._ZL34rocblas_syrkx_herkx_general_kernelIi19rocblas_complex_numIdELi16ELi32ELi8ELb1ELb1ELc67ELc85EKS1_S1_EviT_T0_PT8_S3_lS6_S3_lS4_PT9_S3_li,"axG",@progbits,_ZL34rocblas_syrkx_herkx_general_kernelIi19rocblas_complex_numIdELi16ELi32ELi8ELb1ELb1ELc67ELc85EKS1_S1_EviT_T0_PT8_S3_lS6_S3_lS4_PT9_S3_li,comdat
.Lfunc_end451:
	.size	_ZL34rocblas_syrkx_herkx_general_kernelIi19rocblas_complex_numIdELi16ELi32ELi8ELb1ELb1ELc67ELc85EKS1_S1_EviT_T0_PT8_S3_lS6_S3_lS4_PT9_S3_li, .Lfunc_end451-_ZL34rocblas_syrkx_herkx_general_kernelIi19rocblas_complex_numIdELi16ELi32ELi8ELb1ELb1ELc67ELc85EKS1_S1_EviT_T0_PT8_S3_lS6_S3_lS4_PT9_S3_li
                                        ; -- End function
	.section	.AMDGPU.csdata,"",@progbits
; Kernel info:
; codeLenInByte = 3368
; NumSgprs: 25
; NumVgprs: 121
; ScratchSize: 0
; MemoryBound: 1
; FloatMode: 240
; IeeeMode: 1
; LDSByteSize: 8192 bytes/workgroup (compile time only)
; SGPRBlocks: 3
; VGPRBlocks: 15
; NumSGPRsForWavesPerEU: 25
; NumVGPRsForWavesPerEU: 121
; Occupancy: 10
; WaveLimiterHint : 0
; COMPUTE_PGM_RSRC2:SCRATCH_EN: 0
; COMPUTE_PGM_RSRC2:USER_SGPR: 13
; COMPUTE_PGM_RSRC2:TRAP_HANDLER: 0
; COMPUTE_PGM_RSRC2:TGID_X_EN: 1
; COMPUTE_PGM_RSRC2:TGID_Y_EN: 1
; COMPUTE_PGM_RSRC2:TGID_Z_EN: 1
; COMPUTE_PGM_RSRC2:TIDIG_COMP_CNT: 1
	.section	.text._ZL34rocblas_syrkx_herkx_general_kernelIi19rocblas_complex_numIdELi16ELi32ELi8ELb1ELb1ELc78ELc85EKS1_S1_EviT_T0_PT8_S3_lS6_S3_lS4_PT9_S3_li,"axG",@progbits,_ZL34rocblas_syrkx_herkx_general_kernelIi19rocblas_complex_numIdELi16ELi32ELi8ELb1ELb1ELc78ELc85EKS1_S1_EviT_T0_PT8_S3_lS6_S3_lS4_PT9_S3_li,comdat
	.globl	_ZL34rocblas_syrkx_herkx_general_kernelIi19rocblas_complex_numIdELi16ELi32ELi8ELb1ELb1ELc78ELc85EKS1_S1_EviT_T0_PT8_S3_lS6_S3_lS4_PT9_S3_li ; -- Begin function _ZL34rocblas_syrkx_herkx_general_kernelIi19rocblas_complex_numIdELi16ELi32ELi8ELb1ELb1ELc78ELc85EKS1_S1_EviT_T0_PT8_S3_lS6_S3_lS4_PT9_S3_li
	.p2align	8
	.type	_ZL34rocblas_syrkx_herkx_general_kernelIi19rocblas_complex_numIdELi16ELi32ELi8ELb1ELb1ELc78ELc85EKS1_S1_EviT_T0_PT8_S3_lS6_S3_lS4_PT9_S3_li,@function
_ZL34rocblas_syrkx_herkx_general_kernelIi19rocblas_complex_numIdELi16ELi32ELi8ELb1ELb1ELc78ELc85EKS1_S1_EviT_T0_PT8_S3_lS6_S3_lS4_PT9_S3_li: ; @_ZL34rocblas_syrkx_herkx_general_kernelIi19rocblas_complex_numIdELi16ELi32ELi8ELb1ELb1ELc78ELc85EKS1_S1_EviT_T0_PT8_S3_lS6_S3_lS4_PT9_S3_li
; %bb.0:
	s_clause 0x2
	s_load_b64 s[16:17], s[0:1], 0x0
	s_load_b128 s[4:7], s[0:1], 0x8
	s_load_b64 s[18:19], s[0:1], 0x18
	v_mov_b32_e32 v21, 0
	v_dual_mov_b32 v22, 0 :: v_dual_and_b32 v25, 0x3ff, v0
	v_bfe_u32 v26, v0, 10, 10
	s_delay_alu instid0(VALU_DEP_3) | instskip(NEXT) | instid1(VALU_DEP_3)
	v_mov_b32_e32 v17, v21
	v_dual_mov_b32 v19, v21 :: v_dual_mov_b32 v20, v22
	v_dual_mov_b32 v24, v22 :: v_dual_mov_b32 v23, v21
	;; [unrolled: 1-line block ×6, first 2 shown]
	v_mov_b32_e32 v10, v22
	s_lshl_b32 s22, s13, 5
	s_lshl_b32 s14, s14, 5
	s_waitcnt lgkmcnt(0)
	s_cmp_lt_i32 s17, 1
	s_mov_b32 s23, 0
	s_cbranch_scc1 .LBB452_9
; %bb.1:
	s_clause 0x1
	s_load_b32 s12, s[0:1], 0x38
	s_load_b32 s20, s[0:1], 0x20
	v_lshl_add_u32 v0, v26, 4, v25
	s_clause 0x1
	s_load_b128 s[8:11], s[0:1], 0x28
	s_load_b64 s[24:25], s[0:1], 0x40
	v_and_b32_e32 v27, 7, v25
	v_lshl_add_u32 v32, v26, 7, 0x1000
	v_and_b32_e32 v4, 31, v0
	v_lshrrev_b32_e32 v1, 3, v0
	v_lshrrev_b32_e32 v28, 5, v0
	v_lshlrev_b32_e32 v2, 4, v27
	s_delay_alu instid0(VALU_DEP_4) | instskip(NEXT) | instid1(VALU_DEP_4)
	v_or_b32_e32 v3, s22, v4
	v_add_nc_u32_e32 v0, s14, v1
	v_lshlrev_b32_e32 v5, 4, v4
	s_delay_alu instid0(VALU_DEP_4) | instskip(SKIP_2) | instid1(VALU_DEP_4)
	v_lshl_or_b32 v1, v1, 7, v2
	v_add_nc_u32_e32 v4, s22, v4
	v_cmp_gt_i32_e64 s2, s16, v3
	v_lshl_or_b32 v29, v28, 9, v5
	s_waitcnt lgkmcnt(0)
	v_mad_i64_i32 v[6:7], null, s12, v27, 0
	v_mad_i64_i32 v[2:3], null, v28, s20, 0
	s_mul_i32 s3, s9, s15
	s_mul_hi_u32 s9, s8, s15
	s_mul_i32 s8, s8, s15
	s_add_i32 s9, s9, s3
	v_ashrrev_i32_e32 v5, 31, v4
	s_lshl_b64 s[8:9], s[8:9], 4
	s_delay_alu instid0(VALU_DEP_2) | instskip(SKIP_3) | instid1(VALU_DEP_2)
	v_lshlrev_b64 v[2:3], 4, v[2:3]
	s_ashr_i32 s21, s20, 31
	s_ashr_i32 s13, s12, 31
	v_lshlrev_b64 v[4:5], 4, v[4:5]
	v_add_co_u32 v8, s3, v2, s8
	s_delay_alu instid0(VALU_DEP_1)
	v_add_co_ci_u32_e64 v9, s3, s9, v3, s3
	s_mul_i32 s3, s25, s15
	s_mul_hi_u32 s8, s24, s15
	v_lshlrev_b64 v[2:3], 4, v[6:7]
	s_add_i32 s9, s8, s3
	s_mul_i32 s8, s24, s15
	s_delay_alu instid0(SALU_CYCLE_1)
	s_lshl_b64 s[8:9], s[8:9], 4
	s_delay_alu instid0(VALU_DEP_1) | instid1(SALU_CYCLE_1)
	v_add_co_u32 v2, s3, s8, v2
	s_delay_alu instid0(VALU_DEP_1) | instskip(SKIP_1) | instid1(VALU_DEP_1)
	v_add_co_ci_u32_e64 v3, s3, s9, v3, s3
	v_add_co_u32 v4, s3, v8, v4
	v_add_co_ci_u32_e64 v6, s3, v9, v5, s3
	v_mov_b32_e32 v9, 0
	v_mov_b32_e32 v10, 0
	v_add_nc_u32_e32 v30, 0x1000, v1
	v_lshlrev_b32_e32 v31, 4, v25
	s_lshl_b64 s[8:9], s[20:21], 7
	s_delay_alu instid0(VALU_DEP_3)
	v_mov_b32_e32 v12, v10
	v_dual_mov_b32 v16, v10 :: v_dual_mov_b32 v15, v9
	v_ashrrev_i32_e32 v1, 31, v0
	v_cmp_gt_i32_e32 vcc_lo, s16, v0
	v_mov_b32_e32 v14, v10
	v_mov_b32_e32 v20, v10
	;; [unrolled: 1-line block ×3, first 2 shown]
	v_lshlrev_b64 v[0:1], 4, v[0:1]
	v_mov_b32_e32 v24, v10
	v_dual_mov_b32 v22, v10 :: v_dual_mov_b32 v21, v9
	v_mov_b32_e32 v11, v9
	v_mov_b32_e32 v13, v9
	v_add_co_u32 v0, s3, v2, v0
	s_delay_alu instid0(VALU_DEP_1) | instskip(SKIP_1) | instid1(VALU_DEP_1)
	v_add_co_ci_u32_e64 v1, s3, v3, v1, s3
	v_add_co_u32 v5, s3, s18, v4
	v_add_co_ci_u32_e64 v6, s3, s19, v6, s3
	s_delay_alu instid0(VALU_DEP_4) | instskip(NEXT) | instid1(VALU_DEP_1)
	v_add_co_u32 v0, s3, v0, s10
	v_add_co_ci_u32_e64 v1, s3, s11, v1, s3
	v_mov_b32_e32 v19, v9
	s_delay_alu instid0(VALU_DEP_3) | instskip(NEXT) | instid1(VALU_DEP_1)
	v_add_co_u32 v7, s3, v0, 8
	v_add_co_ci_u32_e64 v8, s3, 0, v1, s3
	v_dual_mov_b32 v0, 0 :: v_dual_mov_b32 v17, v9
	v_mov_b32_e32 v23, v9
	s_lshl_b64 s[10:11], s[12:13], 7
	s_xor_b32 s3, s2, -1
	s_branch .LBB452_3
.LBB452_2:                              ;   in Loop: Header=BB452_3 Depth=1
	s_or_b32 exec_lo, exec_lo, s2
	ds_store_b128 v30, v[1:4]
	s_waitcnt lgkmcnt(0)
	s_barrier
	buffer_gl0_inv
	ds_load_b128 v[1:4], v32
	ds_load_b128 v[33:36], v31
	ds_load_b128 v[37:40], v31 offset:256
	ds_load_b128 v[41:44], v32 offset:2048
	;; [unrolled: 1-line block ×9, first 2 shown]
	v_add_co_u32 v5, s2, v5, s8
	s_delay_alu instid0(VALU_DEP_1) | instskip(SKIP_1) | instid1(VALU_DEP_1)
	v_add_co_ci_u32_e64 v6, s2, s9, v6, s2
	v_add_co_u32 v7, s2, v7, s10
	v_add_co_ci_u32_e64 v8, s2, s11, v8, s2
	s_add_i32 s23, s23, 8
	s_delay_alu instid0(SALU_CYCLE_1)
	s_cmp_ge_i32 s23, s17
	s_waitcnt lgkmcnt(9)
	v_mul_f64 v[73:74], v[3:4], v[35:36]
	v_mul_f64 v[75:76], v[1:2], v[35:36]
	s_waitcnt lgkmcnt(8)
	v_mul_f64 v[77:78], v[3:4], v[39:40]
	v_mul_f64 v[79:80], v[1:2], v[39:40]
	s_waitcnt lgkmcnt(7)
	v_mul_f64 v[81:82], v[43:44], v[35:36]
	v_mul_f64 v[35:36], v[41:42], v[35:36]
	v_mul_f64 v[83:84], v[43:44], v[39:40]
	v_mul_f64 v[39:40], v[41:42], v[39:40]
	s_waitcnt lgkmcnt(4)
	v_mul_f64 v[85:86], v[47:48], v[55:56]
	v_mul_f64 v[87:88], v[45:46], v[55:56]
	s_waitcnt lgkmcnt(3)
	v_mul_f64 v[89:90], v[47:48], v[59:60]
	v_mul_f64 v[91:92], v[45:46], v[59:60]
	;; [unrolled: 1-line block ×6, first 2 shown]
	v_fma_f64 v[97:98], v[1:2], v[33:34], -v[73:74]
	v_fma_f64 v[99:100], v[3:4], v[33:34], v[75:76]
	ds_load_b128 v[73:76], v32 offset:32
	v_fma_f64 v[77:78], v[1:2], v[37:38], -v[77:78]
	v_fma_f64 v[79:80], v[3:4], v[37:38], v[79:80]
	v_fma_f64 v[81:82], v[41:42], v[33:34], -v[81:82]
	v_fma_f64 v[101:102], v[43:44], v[33:34], v[35:36]
	;; [unrolled: 2-line block ×3, first 2 shown]
	s_waitcnt lgkmcnt(1)
	v_mul_f64 v[113:114], v[71:72], v[63:64]
	v_fma_f64 v[85:86], v[45:46], v[53:54], -v[85:86]
	v_fma_f64 v[87:88], v[47:48], v[53:54], v[87:88]
	v_fma_f64 v[45:46], v[45:46], v[57:58], -v[89:90]
	v_fma_f64 v[47:48], v[47:48], v[57:58], v[91:92]
	v_mul_f64 v[89:90], v[71:72], v[67:68]
	v_fma_f64 v[91:92], v[49:50], v[53:54], -v[93:94]
	v_fma_f64 v[53:54], v[51:52], v[53:54], v[55:56]
	v_fma_f64 v[49:50], v[49:50], v[57:58], -v[95:96]
	v_fma_f64 v[51:52], v[51:52], v[57:58], v[59:60]
	ds_load_b128 v[1:4], v32 offset:48
	ds_load_b128 v[33:36], v32 offset:2096
	;; [unrolled: 1-line block ×4, first 2 shown]
	s_waitcnt lgkmcnt(4)
	v_mul_f64 v[105:106], v[75:76], v[63:64]
	v_mul_f64 v[107:108], v[73:74], v[63:64]
	;; [unrolled: 1-line block ×6, first 2 shown]
	s_waitcnt lgkmcnt(1)
	v_mul_f64 v[93:94], v[1:2], v[39:40]
	v_add_f64 v[21:22], v[21:22], v[97:98]
	v_add_f64 v[23:24], v[23:24], v[99:100]
	;; [unrolled: 1-line block ×8, first 2 shown]
	v_mul_f64 v[83:84], v[3:4], v[39:40]
	s_waitcnt lgkmcnt(0)
	v_mul_f64 v[95:96], v[3:4], v[43:44]
	v_mul_f64 v[97:98], v[1:2], v[43:44]
	;; [unrolled: 1-line block ×6, first 2 shown]
	ds_load_b128 v[9:12], v31 offset:2048
	ds_load_b128 v[13:16], v31 offset:2304
	;; [unrolled: 1-line block ×3, first 2 shown]
	v_fma_f64 v[105:106], v[73:74], v[61:62], -v[105:106]
	v_fma_f64 v[107:108], v[75:76], v[61:62], v[107:108]
	v_fma_f64 v[73:74], v[73:74], v[65:66], -v[109:110]
	v_fma_f64 v[75:76], v[75:76], v[65:66], v[111:112]
	;; [unrolled: 2-line block ×4, first 2 shown]
	s_waitcnt lgkmcnt(0)
	v_mul_f64 v[113:114], v[19:20], v[11:12]
	v_mul_f64 v[115:116], v[19:20], v[15:16]
	v_fma_f64 v[93:94], v[3:4], v[37:38], v[93:94]
	v_add_f64 v[67:68], v[21:22], v[85:86]
	v_add_f64 v[69:70], v[23:24], v[87:88]
	;; [unrolled: 1-line block ×8, first 2 shown]
	ds_load_b128 v[21:24], v32 offset:64
	v_fma_f64 v[83:84], v[1:2], v[37:38], -v[83:84]
	v_fma_f64 v[95:96], v[1:2], v[41:42], -v[95:96]
	v_fma_f64 v[97:98], v[3:4], v[41:42], v[97:98]
	v_fma_f64 v[99:100], v[33:34], v[37:38], -v[99:100]
	v_fma_f64 v[117:118], v[35:36], v[37:38], v[39:40]
	;; [unrolled: 2-line block ×3, first 2 shown]
	ds_load_b128 v[43:46], v32 offset:80
	ds_load_b128 v[47:50], v32 offset:2128
	;; [unrolled: 1-line block ×7, first 2 shown]
	s_waitcnt lgkmcnt(7)
	v_mul_f64 v[87:88], v[23:24], v[11:12]
	v_mul_f64 v[89:90], v[21:22], v[11:12]
	;; [unrolled: 1-line block ×6, first 2 shown]
	s_waitcnt lgkmcnt(3)
	v_mul_f64 v[103:104], v[49:50], v[57:58]
	v_add_f64 v[67:68], v[67:68], v[105:106]
	v_add_f64 v[69:70], v[69:70], v[107:108]
	;; [unrolled: 1-line block ×8, first 2 shown]
	v_mul_f64 v[75:76], v[45:46], v[53:54]
	v_mul_f64 v[77:78], v[43:44], v[53:54]
	;; [unrolled: 1-line block ×7, first 2 shown]
	v_fma_f64 v[109:110], v[17:18], v[9:10], -v[113:114]
	v_fma_f64 v[113:114], v[17:18], v[13:14], -v[115:116]
	;; [unrolled: 1-line block ×3, first 2 shown]
	v_fma_f64 v[89:90], v[23:24], v[9:10], v[89:90]
	v_fma_f64 v[91:92], v[21:22], v[13:14], -v[91:92]
	v_fma_f64 v[107:108], v[23:24], v[13:14], v[111:112]
	v_fma_f64 v[111:112], v[19:20], v[9:10], v[11:12]
	;; [unrolled: 1-line block ×3, first 2 shown]
	ds_load_b128 v[9:12], v32 offset:96
	v_add_f64 v[67:68], v[67:68], v[83:84]
	v_add_f64 v[69:70], v[69:70], v[93:94]
	;; [unrolled: 1-line block ×8, first 2 shown]
	s_waitcnt lgkmcnt(1)
	v_mul_f64 v[99:100], v[39:40], v[3:4]
	v_fma_f64 v[75:76], v[43:44], v[51:52], -v[75:76]
	v_fma_f64 v[77:78], v[45:46], v[51:52], v[77:78]
	v_fma_f64 v[43:44], v[43:44], v[55:56], -v[79:80]
	v_fma_f64 v[45:46], v[45:46], v[55:56], v[81:82]
	v_mul_f64 v[79:80], v[39:40], v[35:36]
	v_fma_f64 v[81:82], v[47:48], v[51:52], -v[85:86]
	v_fma_f64 v[51:52], v[49:50], v[51:52], v[53:54]
	s_waitcnt lgkmcnt(0)
	v_mul_f64 v[65:66], v[11:12], v[3:4]
	v_mul_f64 v[93:94], v[9:10], v[3:4]
	;; [unrolled: 1-line block ×6, first 2 shown]
	v_fma_f64 v[47:48], v[47:48], v[55:56], -v[103:104]
	v_fma_f64 v[49:50], v[49:50], v[55:56], v[105:106]
	ds_load_b128 v[13:16], v32 offset:112
	ds_load_b128 v[17:20], v32 offset:2160
	;; [unrolled: 1-line block ×4, first 2 shown]
	s_waitcnt lgkmcnt(0)
	s_barrier
	buffer_gl0_inv
	v_add_f64 v[53:54], v[67:68], v[87:88]
	v_add_f64 v[55:56], v[69:70], v[89:90]
	;; [unrolled: 1-line block ×8, first 2 shown]
	v_mul_f64 v[73:74], v[15:16], v[23:24]
	v_mul_f64 v[83:84], v[13:14], v[23:24]
	;; [unrolled: 1-line block ×8, first 2 shown]
	v_fma_f64 v[65:66], v[9:10], v[1:2], -v[65:66]
	v_fma_f64 v[93:94], v[11:12], v[1:2], v[93:94]
	v_fma_f64 v[9:10], v[9:10], v[33:34], -v[95:96]
	v_fma_f64 v[11:12], v[11:12], v[33:34], v[97:98]
	;; [unrolled: 2-line block ×4, first 2 shown]
	v_add_f64 v[35:36], v[53:54], v[75:76]
	v_add_f64 v[37:38], v[55:56], v[77:78]
	;; [unrolled: 1-line block ×8, first 2 shown]
	v_fma_f64 v[49:50], v[13:14], v[21:22], -v[73:74]
	v_fma_f64 v[53:54], v[15:16], v[21:22], v[83:84]
	v_fma_f64 v[13:14], v[13:14], v[57:58], -v[85:86]
	v_fma_f64 v[15:16], v[15:16], v[57:58], v[87:88]
	;; [unrolled: 2-line block ×4, first 2 shown]
	v_add_f64 v[17:18], v[35:36], v[65:66]
	v_add_f64 v[19:20], v[37:38], v[93:94]
	;; [unrolled: 1-line block ×16, first 2 shown]
	s_cbranch_scc1 .LBB452_9
.LBB452_3:                              ; =>This Inner Loop Header: Depth=1
	v_add_nc_u32_e32 v1, s23, v28
	s_delay_alu instid0(VALU_DEP_1) | instskip(NEXT) | instid1(VALU_DEP_1)
	v_cmp_le_i32_e64 s2, s17, v1
	s_or_b32 s2, s3, s2
	s_delay_alu instid0(SALU_CYCLE_1) | instskip(NEXT) | instid1(SALU_CYCLE_1)
	s_and_saveexec_b32 s12, s2
	s_xor_b32 s2, exec_lo, s12
	s_cbranch_execz .LBB452_5
; %bb.4:                                ;   in Loop: Header=BB452_3 Depth=1
	v_mov_b32_e32 v1, v0
	v_mov_b32_e32 v2, v0
	;; [unrolled: 1-line block ×3, first 2 shown]
	ds_store_b128 v29, v[0:3]
.LBB452_5:                              ;   in Loop: Header=BB452_3 Depth=1
	s_and_not1_saveexec_b32 s2, s2
	s_cbranch_execz .LBB452_7
; %bb.6:                                ;   in Loop: Header=BB452_3 Depth=1
	global_load_b128 v[1:4], v[5:6], off
	s_waitcnt vmcnt(0)
	ds_store_2addr_b64 v29, v[1:2], v[3:4] offset1:1
.LBB452_7:                              ;   in Loop: Header=BB452_3 Depth=1
	s_or_b32 exec_lo, exec_lo, s2
	v_add_nc_u32_e32 v3, s23, v27
	v_mov_b32_e32 v1, 0
	v_mov_b32_e32 v2, 0
	s_delay_alu instid0(VALU_DEP_3) | instskip(NEXT) | instid1(VALU_DEP_2)
	v_cmp_gt_i32_e64 s2, s17, v3
	v_dual_mov_b32 v4, v2 :: v_dual_mov_b32 v3, v1
	s_delay_alu instid0(VALU_DEP_2) | instskip(NEXT) | instid1(SALU_CYCLE_1)
	s_and_b32 s12, s2, vcc_lo
	s_and_saveexec_b32 s2, s12
	s_cbranch_execz .LBB452_2
; %bb.8:                                ;   in Loop: Header=BB452_3 Depth=1
	global_load_b128 v[1:4], v[7:8], off offset:-8
	s_waitcnt vmcnt(0)
	v_xor_b32_e32 v4, 0x80000000, v4
	s_branch .LBB452_2
.LBB452_9:
	s_clause 0x2
	s_load_b32 s2, s[0:1], 0x60
	s_load_b64 s[8:9], s[0:1], 0x68
	s_load_b64 s[10:11], s[0:1], 0x58
	v_add_nc_u32_e32 v4, s14, v26
	v_add_nc_u32_e32 v0, s22, v25
	s_delay_alu instid0(VALU_DEP_2)
	v_cmp_gt_i32_e32 vcc_lo, s16, v4
	s_waitcnt lgkmcnt(0)
	v_mad_i64_i32 v[1:2], null, v4, s2, 0
	s_mul_i32 s1, s15, s9
	s_mul_hi_u32 s3, s15, s8
	s_mul_i32 s0, s15, s8
	s_add_i32 s1, s3, s1
	s_delay_alu instid0(SALU_CYCLE_1) | instskip(NEXT) | instid1(VALU_DEP_1)
	s_lshl_b64 s[8:9], s[0:1], 4
	v_lshlrev_b64 v[1:2], 4, v[1:2]
	s_add_u32 s3, s10, s8
	v_cmp_le_i32_e64 s0, v0, v4
	s_addc_u32 s8, s11, s9
	s_delay_alu instid0(VALU_DEP_2) | instskip(NEXT) | instid1(VALU_DEP_1)
	v_add_co_u32 v5, s1, s3, v1
	v_add_co_ci_u32_e64 v6, s1, s8, v2, s1
	s_delay_alu instid0(VALU_DEP_3) | instskip(NEXT) | instid1(SALU_CYCLE_1)
	s_and_b32 s0, vcc_lo, s0
	s_and_saveexec_b32 s9, s0
	s_cbranch_execz .LBB452_11
; %bb.10:
	v_mul_f64 v[1:2], s[4:5], v[23:24]
	v_mul_f64 v[7:8], s[6:7], v[23:24]
	v_cmp_ne_u32_e64 s0, v4, v0
	s_delay_alu instid0(VALU_DEP_3) | instskip(NEXT) | instid1(VALU_DEP_3)
	v_fma_f64 v[2:3], s[6:7], v[21:22], v[1:2]
	v_fma_f64 v[21:22], s[4:5], v[21:22], -v[7:8]
	v_ashrrev_i32_e32 v1, 31, v0
	s_delay_alu instid0(VALU_DEP_1) | instskip(NEXT) | instid1(VALU_DEP_1)
	v_lshlrev_b64 v[7:8], 4, v[0:1]
	v_add_co_u32 v7, s1, v5, v7
	s_delay_alu instid0(VALU_DEP_1)
	v_add_co_ci_u32_e64 v8, s1, v6, v8, s1
	v_cndmask_b32_e64 v24, 0, v3, s0
	v_cndmask_b32_e64 v23, 0, v2, s0
	global_store_b128 v[7:8], v[21:24], off
.LBB452_11:
	s_or_b32 exec_lo, exec_lo, s9
	v_add_nc_u32_e32 v2, 16, v0
	s_delay_alu instid0(VALU_DEP_1) | instskip(NEXT) | instid1(VALU_DEP_1)
	v_cmp_le_i32_e64 s0, v2, v4
	s_and_b32 s0, vcc_lo, s0
	s_delay_alu instid0(SALU_CYCLE_1)
	s_and_saveexec_b32 s1, s0
	s_cbranch_execz .LBB452_13
; %bb.12:
	v_mul_f64 v[7:8], s[4:5], v[19:20]
	v_mul_f64 v[19:20], s[6:7], v[19:20]
	v_ashrrev_i32_e32 v3, 31, v2
	v_cmp_ne_u32_e32 vcc_lo, v4, v2
	s_delay_alu instid0(VALU_DEP_4) | instskip(NEXT) | instid1(VALU_DEP_4)
	v_fma_f64 v[7:8], s[6:7], v[17:18], v[7:8]
	v_fma_f64 v[17:18], s[4:5], v[17:18], -v[19:20]
	s_delay_alu instid0(VALU_DEP_4) | instskip(NEXT) | instid1(VALU_DEP_1)
	v_lshlrev_b64 v[19:20], 4, v[2:3]
	v_add_co_u32 v5, s0, v5, v19
	s_delay_alu instid0(VALU_DEP_1)
	v_add_co_ci_u32_e64 v6, s0, v6, v20, s0
	v_dual_cndmask_b32 v20, 0, v8 :: v_dual_cndmask_b32 v19, 0, v7
	global_store_b128 v[5:6], v[17:20], off
.LBB452_13:
	s_or_b32 exec_lo, exec_lo, s1
	v_add_nc_u32_e32 v3, 16, v4
	s_delay_alu instid0(VALU_DEP_1) | instskip(SKIP_2) | instid1(VALU_DEP_1)
	v_mad_i64_i32 v[5:6], null, v3, s2, 0
	v_cmp_gt_i32_e32 vcc_lo, s16, v3
	v_cmp_le_i32_e64 s0, v0, v3
	s_and_b32 s0, vcc_lo, s0
	s_delay_alu instid0(VALU_DEP_3) | instskip(NEXT) | instid1(VALU_DEP_1)
	v_lshlrev_b64 v[5:6], 4, v[5:6]
	v_add_co_u32 v5, s1, s3, v5
	s_delay_alu instid0(VALU_DEP_1)
	v_add_co_ci_u32_e64 v6, s1, s8, v6, s1
	s_and_saveexec_b32 s2, s0
	s_cbranch_execz .LBB452_15
; %bb.14:
	v_mul_f64 v[7:8], s[4:5], v[15:16]
	v_mul_f64 v[15:16], s[6:7], v[15:16]
	v_ashrrev_i32_e32 v1, 31, v0
	v_cmp_ne_u32_e64 s0, v3, v0
	s_delay_alu instid0(VALU_DEP_4) | instskip(NEXT) | instid1(VALU_DEP_4)
	v_fma_f64 v[7:8], s[6:7], v[13:14], v[7:8]
	v_fma_f64 v[13:14], s[4:5], v[13:14], -v[15:16]
	s_delay_alu instid0(VALU_DEP_4) | instskip(NEXT) | instid1(VALU_DEP_1)
	v_lshlrev_b64 v[15:16], 4, v[0:1]
	v_add_co_u32 v17, s1, v5, v15
	s_delay_alu instid0(VALU_DEP_1)
	v_add_co_ci_u32_e64 v18, s1, v6, v16, s1
	v_cndmask_b32_e64 v16, 0, v8, s0
	v_cndmask_b32_e64 v15, 0, v7, s0
	global_store_b128 v[17:18], v[13:16], off
.LBB452_15:
	s_or_b32 exec_lo, exec_lo, s2
	v_cmp_le_i32_e64 s0, v2, v3
	s_delay_alu instid0(VALU_DEP_1) | instskip(NEXT) | instid1(SALU_CYCLE_1)
	s_and_b32 s0, vcc_lo, s0
	s_and_saveexec_b32 s1, s0
	s_cbranch_execz .LBB452_17
; %bb.16:
	v_mul_f64 v[7:8], s[4:5], v[9:10]
	v_mul_f64 v[9:10], s[6:7], v[9:10]
	v_ashrrev_i32_e32 v3, 31, v2
	v_cmp_ne_u32_e32 vcc_lo, v4, v0
	s_delay_alu instid0(VALU_DEP_2) | instskip(NEXT) | instid1(VALU_DEP_1)
	v_lshlrev_b64 v[1:2], 4, v[2:3]
	v_add_co_u32 v0, s0, v5, v1
	s_delay_alu instid0(VALU_DEP_1) | instskip(SKIP_2) | instid1(VALU_DEP_2)
	v_add_co_ci_u32_e64 v1, s0, v6, v2, s0
	v_fma_f64 v[13:14], s[6:7], v[11:12], v[7:8]
	v_fma_f64 v[7:8], s[4:5], v[11:12], -v[9:10]
	v_dual_cndmask_b32 v10, 0, v14 :: v_dual_cndmask_b32 v9, 0, v13
	global_store_b128 v[0:1], v[7:10], off
.LBB452_17:
	s_nop 0
	s_sendmsg sendmsg(MSG_DEALLOC_VGPRS)
	s_endpgm
	.section	.rodata,"a",@progbits
	.p2align	6, 0x0
	.amdhsa_kernel _ZL34rocblas_syrkx_herkx_general_kernelIi19rocblas_complex_numIdELi16ELi32ELi8ELb1ELb1ELc78ELc85EKS1_S1_EviT_T0_PT8_S3_lS6_S3_lS4_PT9_S3_li
		.amdhsa_group_segment_fixed_size 8192
		.amdhsa_private_segment_fixed_size 0
		.amdhsa_kernarg_size 116
		.amdhsa_user_sgpr_count 13
		.amdhsa_user_sgpr_dispatch_ptr 0
		.amdhsa_user_sgpr_queue_ptr 0
		.amdhsa_user_sgpr_kernarg_segment_ptr 1
		.amdhsa_user_sgpr_dispatch_id 0
		.amdhsa_user_sgpr_private_segment_size 0
		.amdhsa_wavefront_size32 1
		.amdhsa_uses_dynamic_stack 0
		.amdhsa_enable_private_segment 0
		.amdhsa_system_sgpr_workgroup_id_x 1
		.amdhsa_system_sgpr_workgroup_id_y 1
		.amdhsa_system_sgpr_workgroup_id_z 1
		.amdhsa_system_sgpr_workgroup_info 0
		.amdhsa_system_vgpr_workitem_id 1
		.amdhsa_next_free_vgpr 119
		.amdhsa_next_free_sgpr 26
		.amdhsa_reserve_vcc 1
		.amdhsa_float_round_mode_32 0
		.amdhsa_float_round_mode_16_64 0
		.amdhsa_float_denorm_mode_32 3
		.amdhsa_float_denorm_mode_16_64 3
		.amdhsa_dx10_clamp 1
		.amdhsa_ieee_mode 1
		.amdhsa_fp16_overflow 0
		.amdhsa_workgroup_processor_mode 1
		.amdhsa_memory_ordered 1
		.amdhsa_forward_progress 0
		.amdhsa_shared_vgpr_count 0
		.amdhsa_exception_fp_ieee_invalid_op 0
		.amdhsa_exception_fp_denorm_src 0
		.amdhsa_exception_fp_ieee_div_zero 0
		.amdhsa_exception_fp_ieee_overflow 0
		.amdhsa_exception_fp_ieee_underflow 0
		.amdhsa_exception_fp_ieee_inexact 0
		.amdhsa_exception_int_div_zero 0
	.end_amdhsa_kernel
	.section	.text._ZL34rocblas_syrkx_herkx_general_kernelIi19rocblas_complex_numIdELi16ELi32ELi8ELb1ELb1ELc78ELc85EKS1_S1_EviT_T0_PT8_S3_lS6_S3_lS4_PT9_S3_li,"axG",@progbits,_ZL34rocblas_syrkx_herkx_general_kernelIi19rocblas_complex_numIdELi16ELi32ELi8ELb1ELb1ELc78ELc85EKS1_S1_EviT_T0_PT8_S3_lS6_S3_lS4_PT9_S3_li,comdat
.Lfunc_end452:
	.size	_ZL34rocblas_syrkx_herkx_general_kernelIi19rocblas_complex_numIdELi16ELi32ELi8ELb1ELb1ELc78ELc85EKS1_S1_EviT_T0_PT8_S3_lS6_S3_lS4_PT9_S3_li, .Lfunc_end452-_ZL34rocblas_syrkx_herkx_general_kernelIi19rocblas_complex_numIdELi16ELi32ELi8ELb1ELb1ELc78ELc85EKS1_S1_EviT_T0_PT8_S3_lS6_S3_lS4_PT9_S3_li
                                        ; -- End function
	.section	.AMDGPU.csdata,"",@progbits
; Kernel info:
; codeLenInByte = 3404
; NumSgprs: 28
; NumVgprs: 119
; ScratchSize: 0
; MemoryBound: 1
; FloatMode: 240
; IeeeMode: 1
; LDSByteSize: 8192 bytes/workgroup (compile time only)
; SGPRBlocks: 3
; VGPRBlocks: 14
; NumSGPRsForWavesPerEU: 28
; NumVGPRsForWavesPerEU: 119
; Occupancy: 12
; WaveLimiterHint : 0
; COMPUTE_PGM_RSRC2:SCRATCH_EN: 0
; COMPUTE_PGM_RSRC2:USER_SGPR: 13
; COMPUTE_PGM_RSRC2:TRAP_HANDLER: 0
; COMPUTE_PGM_RSRC2:TGID_X_EN: 1
; COMPUTE_PGM_RSRC2:TGID_Y_EN: 1
; COMPUTE_PGM_RSRC2:TGID_Z_EN: 1
; COMPUTE_PGM_RSRC2:TIDIG_COMP_CNT: 1
	.section	.text._ZL34rocblas_syrkx_herkx_general_kernelIi19rocblas_complex_numIdELi16ELi32ELi8ELb0ELb1ELc84ELc76EKS1_S1_EviT_T0_PT8_S3_lS6_S3_lS4_PT9_S3_li,"axG",@progbits,_ZL34rocblas_syrkx_herkx_general_kernelIi19rocblas_complex_numIdELi16ELi32ELi8ELb0ELb1ELc84ELc76EKS1_S1_EviT_T0_PT8_S3_lS6_S3_lS4_PT9_S3_li,comdat
	.globl	_ZL34rocblas_syrkx_herkx_general_kernelIi19rocblas_complex_numIdELi16ELi32ELi8ELb0ELb1ELc84ELc76EKS1_S1_EviT_T0_PT8_S3_lS6_S3_lS4_PT9_S3_li ; -- Begin function _ZL34rocblas_syrkx_herkx_general_kernelIi19rocblas_complex_numIdELi16ELi32ELi8ELb0ELb1ELc84ELc76EKS1_S1_EviT_T0_PT8_S3_lS6_S3_lS4_PT9_S3_li
	.p2align	8
	.type	_ZL34rocblas_syrkx_herkx_general_kernelIi19rocblas_complex_numIdELi16ELi32ELi8ELb0ELb1ELc84ELc76EKS1_S1_EviT_T0_PT8_S3_lS6_S3_lS4_PT9_S3_li,@function
_ZL34rocblas_syrkx_herkx_general_kernelIi19rocblas_complex_numIdELi16ELi32ELi8ELb0ELb1ELc84ELc76EKS1_S1_EviT_T0_PT8_S3_lS6_S3_lS4_PT9_S3_li: ; @_ZL34rocblas_syrkx_herkx_general_kernelIi19rocblas_complex_numIdELi16ELi32ELi8ELb0ELb1ELc84ELc76EKS1_S1_EviT_T0_PT8_S3_lS6_S3_lS4_PT9_S3_li
; %bb.0:
	s_clause 0x3
	s_load_b64 s[24:25], s[0:1], 0x0
	s_load_b128 s[16:19], s[0:1], 0x8
	s_load_b64 s[26:27], s[0:1], 0x18
	s_load_b256 s[4:11], s[0:1], 0x40
	v_mov_b32_e32 v20, 0
	v_dual_mov_b32 v21, 0 :: v_dual_and_b32 v24, 0x3ff, v0
	v_bfe_u32 v25, v0, 10, 10
	s_delay_alu instid0(VALU_DEP_3) | instskip(NEXT) | instid1(VALU_DEP_3)
	v_mov_b32_e32 v12, v20
	v_dual_mov_b32 v14, v20 :: v_dual_mov_b32 v15, v21
	v_dual_mov_b32 v23, v21 :: v_dual_mov_b32 v22, v20
	;; [unrolled: 1-line block ×6, first 2 shown]
	v_mov_b32_e32 v9, v21
	s_lshl_b32 s12, s13, 5
	s_lshl_b32 s13, s14, 5
	s_waitcnt lgkmcnt(0)
	s_cmp_lt_i32 s25, 1
	s_mov_b32 s14, 0
	s_cbranch_scc1 .LBB453_11
; %bb.1:
	s_load_b32 s2, s[0:1], 0x20
	v_lshl_add_u32 v0, v25, 4, v24
	s_clause 0x1
	s_load_b128 s[20:23], s[0:1], 0x28
	s_load_b32 s3, s[0:1], 0x38
	v_and_b32_e32 v26, 7, v24
	v_lshlrev_b32_e32 v27, 4, v24
	v_lshl_add_u32 v28, v25, 7, 0x1000
	v_and_b32_e32 v2, 31, v0
	v_lshrrev_b32_e32 v1, 3, v0
	v_lshlrev_b32_e32 v6, 4, v26
	v_lshrrev_b32_e32 v29, 5, v0
	s_delay_alu instid0(VALU_DEP_4) | instskip(NEXT) | instid1(VALU_DEP_4)
	v_add_nc_u32_e32 v5, s12, v2
	v_add_nc_u32_e32 v4, s13, v1
	s_delay_alu instid0(VALU_DEP_4) | instskip(SKIP_3) | instid1(VALU_DEP_3)
	v_lshl_or_b32 v7, v1, 7, v6
	v_or_b32_e32 v3, s12, v2
	v_lshlrev_b32_e32 v2, 4, v2
	v_lshlrev_b32_e32 v8, 4, v29
	v_cmp_gt_i32_e32 vcc_lo, s24, v3
	s_waitcnt lgkmcnt(0)
	v_mad_i64_i32 v[0:1], null, s2, v5, 0
	s_mul_i32 s21, s21, s15
	s_mul_hi_u32 s28, s20, s15
	v_lshl_or_b32 v30, v29, 9, v2
	v_mad_i64_i32 v[2:3], null, s3, v4, 0
	s_mul_i32 s20, s20, s15
	s_delay_alu instid0(VALU_DEP_3)
	v_lshlrev_b64 v[0:1], 4, v[0:1]
	s_add_i32 s21, s28, s21
	v_cmp_gt_i32_e64 s2, s24, v4
	s_lshl_b64 s[20:21], s[20:21], 4
	s_delay_alu instid0(VALU_DEP_2) | instid1(SALU_CYCLE_1)
	v_add_co_u32 v4, s3, v0, s20
	s_delay_alu instid0(VALU_DEP_1)
	v_add_co_ci_u32_e64 v5, s3, s21, v1, s3
	s_mul_i32 s3, s5, s15
	s_mul_hi_u32 s5, s4, s15
	v_lshlrev_b64 v[0:1], 4, v[2:3]
	s_add_i32 s5, s5, s3
	s_mul_i32 s4, s4, s15
	v_add_co_u32 v2, s3, v4, v8
	s_lshl_b64 s[4:5], s[4:5], 4
	v_add_co_ci_u32_e64 v3, s3, 0, v5, s3
	v_add_co_u32 v0, s3, v0, s4
	v_mov_b32_e32 v8, 0
	v_mov_b32_e32 v9, 0
	v_add_co_ci_u32_e64 v1, s3, s5, v1, s3
	v_add_co_u32 v4, s3, s26, v2
	s_delay_alu instid0(VALU_DEP_3) | instskip(SKIP_3) | instid1(VALU_DEP_1)
	v_mov_b32_e32 v15, v9
	v_add_co_ci_u32_e64 v5, s3, s27, v3, s3
	v_mov_b32_e32 v19, v9
	v_add_co_u32 v0, s3, v0, v6
	v_add_co_ci_u32_e64 v1, s3, 0, v1, s3
	v_mov_b32_e32 v17, v9
	s_delay_alu instid0(VALU_DEP_3)
	v_add_co_u32 v6, s3, s22, v0
	v_dual_mov_b32 v11, v9 :: v_dual_mov_b32 v18, v8
	v_dual_mov_b32 v13, v9 :: v_dual_mov_b32 v16, v8
	;; [unrolled: 1-line block ×3, first 2 shown]
	v_mov_b32_e32 v21, v9
	v_dual_mov_b32 v10, v8 :: v_dual_add_nc_u32 v31, 0x1000, v7
	v_add_co_ci_u32_e64 v7, s3, s23, v1, s3
	v_mov_b32_e32 v0, 0
	v_mov_b32_e32 v12, v8
	;; [unrolled: 1-line block ×4, first 2 shown]
	s_xor_b32 s3, vcc_lo, -1
	s_xor_b32 s2, s2, -1
	s_branch .LBB453_3
.LBB453_2:                              ;   in Loop: Header=BB453_3 Depth=1
	s_or_b32 exec_lo, exec_lo, s4
	s_waitcnt lgkmcnt(0)
	s_barrier
	buffer_gl0_inv
	ds_load_b128 v[32:35], v28
	ds_load_b128 v[36:39], v28 offset:16
	ds_load_b128 v[40:43], v28 offset:32
	;; [unrolled: 1-line block ×3, first 2 shown]
	ds_load_b128 v[48:51], v27
	v_add_co_u32 v4, vcc_lo, 0x80, v4
	v_add_co_ci_u32_e32 v5, vcc_lo, 0, v5, vcc_lo
	v_add_co_u32 v6, vcc_lo, 0x80, v6
	v_add_co_ci_u32_e32 v7, vcc_lo, 0, v7, vcc_lo
	s_add_i32 s14, s14, 8
	s_delay_alu instid0(SALU_CYCLE_1) | instskip(SKIP_3) | instid1(VALU_DEP_2)
	s_cmp_ge_i32 s14, s25
	s_waitcnt lgkmcnt(0)
	v_mul_f64 v[1:2], v[34:35], v[50:51]
	v_mul_f64 v[52:53], v[32:33], v[50:51]
	v_fma_f64 v[1:2], v[32:33], v[48:49], -v[1:2]
	s_delay_alu instid0(VALU_DEP_2) | instskip(NEXT) | instid1(VALU_DEP_2)
	v_fma_f64 v[52:53], v[34:35], v[48:49], v[52:53]
	v_add_f64 v[1:2], v[20:21], v[1:2]
	s_delay_alu instid0(VALU_DEP_2) | instskip(SKIP_3) | instid1(VALU_DEP_1)
	v_add_f64 v[52:53], v[22:23], v[52:53]
	ds_load_b128 v[20:23], v27 offset:256
	s_waitcnt lgkmcnt(0)
	v_mul_f64 v[54:55], v[34:35], v[22:23]
	v_fma_f64 v[54:55], v[32:33], v[20:21], -v[54:55]
	v_mul_f64 v[32:33], v[32:33], v[22:23]
	s_delay_alu instid0(VALU_DEP_1) | instskip(NEXT) | instid1(VALU_DEP_3)
	v_fma_f64 v[32:33], v[34:35], v[20:21], v[32:33]
	v_add_f64 v[34:35], v[12:13], v[54:55]
	s_delay_alu instid0(VALU_DEP_2) | instskip(SKIP_4) | instid1(VALU_DEP_2)
	v_add_f64 v[32:33], v[14:15], v[32:33]
	ds_load_b128 v[12:15], v28 offset:2048
	s_waitcnt lgkmcnt(0)
	v_mul_f64 v[54:55], v[14:15], v[50:51]
	v_mul_f64 v[50:51], v[12:13], v[50:51]
	v_fma_f64 v[54:55], v[12:13], v[48:49], -v[54:55]
	s_delay_alu instid0(VALU_DEP_2) | instskip(NEXT) | instid1(VALU_DEP_2)
	v_fma_f64 v[48:49], v[14:15], v[48:49], v[50:51]
	v_add_f64 v[50:51], v[16:17], v[54:55]
	v_mul_f64 v[16:17], v[14:15], v[22:23]
	s_delay_alu instid0(VALU_DEP_3) | instskip(NEXT) | instid1(VALU_DEP_2)
	v_add_f64 v[48:49], v[18:19], v[48:49]
	v_fma_f64 v[16:17], v[12:13], v[20:21], -v[16:17]
	v_mul_f64 v[12:13], v[12:13], v[22:23]
	s_delay_alu instid0(VALU_DEP_1) | instskip(NEXT) | instid1(VALU_DEP_3)
	v_fma_f64 v[12:13], v[14:15], v[20:21], v[12:13]
	v_add_f64 v[20:21], v[10:11], v[16:17]
	s_delay_alu instid0(VALU_DEP_2) | instskip(SKIP_4) | instid1(VALU_DEP_2)
	v_add_f64 v[22:23], v[8:9], v[12:13]
	ds_load_b128 v[8:11], v27 offset:512
	s_waitcnt lgkmcnt(0)
	v_mul_f64 v[12:13], v[38:39], v[10:11]
	v_mul_f64 v[14:15], v[36:37], v[10:11]
	v_fma_f64 v[12:13], v[36:37], v[8:9], -v[12:13]
	s_delay_alu instid0(VALU_DEP_2) | instskip(NEXT) | instid1(VALU_DEP_2)
	v_fma_f64 v[14:15], v[38:39], v[8:9], v[14:15]
	v_add_f64 v[1:2], v[1:2], v[12:13]
	s_delay_alu instid0(VALU_DEP_2) | instskip(SKIP_4) | instid1(VALU_DEP_2)
	v_add_f64 v[52:53], v[52:53], v[14:15]
	ds_load_b128 v[12:15], v27 offset:768
	s_waitcnt lgkmcnt(0)
	v_mul_f64 v[16:17], v[38:39], v[14:15]
	v_mul_f64 v[18:19], v[36:37], v[14:15]
	v_fma_f64 v[16:17], v[36:37], v[12:13], -v[16:17]
	s_delay_alu instid0(VALU_DEP_2) | instskip(NEXT) | instid1(VALU_DEP_2)
	v_fma_f64 v[18:19], v[38:39], v[12:13], v[18:19]
	v_add_f64 v[34:35], v[34:35], v[16:17]
	s_delay_alu instid0(VALU_DEP_2) | instskip(SKIP_4) | instid1(VALU_DEP_2)
	v_add_f64 v[32:33], v[32:33], v[18:19]
	ds_load_b128 v[16:19], v28 offset:2064
	s_waitcnt lgkmcnt(0)
	v_mul_f64 v[36:37], v[18:19], v[10:11]
	v_mul_f64 v[10:11], v[16:17], v[10:11]
	v_fma_f64 v[36:37], v[16:17], v[8:9], -v[36:37]
	s_delay_alu instid0(VALU_DEP_2) | instskip(SKIP_1) | instid1(VALU_DEP_3)
	v_fma_f64 v[8:9], v[18:19], v[8:9], v[10:11]
	v_mul_f64 v[10:11], v[16:17], v[14:15]
	v_add_f64 v[36:37], v[50:51], v[36:37]
	s_delay_alu instid0(VALU_DEP_3) | instskip(SKIP_1) | instid1(VALU_DEP_4)
	v_add_f64 v[38:39], v[48:49], v[8:9]
	v_mul_f64 v[8:9], v[18:19], v[14:15]
	v_fma_f64 v[10:11], v[18:19], v[12:13], v[10:11]
	s_delay_alu instid0(VALU_DEP_2) | instskip(NEXT) | instid1(VALU_DEP_2)
	v_fma_f64 v[8:9], v[16:17], v[12:13], -v[8:9]
	v_add_f64 v[22:23], v[22:23], v[10:11]
	s_delay_alu instid0(VALU_DEP_2) | instskip(SKIP_4) | instid1(VALU_DEP_2)
	v_add_f64 v[20:21], v[20:21], v[8:9]
	ds_load_b128 v[8:11], v27 offset:1024
	s_waitcnt lgkmcnt(0)
	v_mul_f64 v[12:13], v[42:43], v[10:11]
	v_mul_f64 v[14:15], v[40:41], v[10:11]
	v_fma_f64 v[12:13], v[40:41], v[8:9], -v[12:13]
	s_delay_alu instid0(VALU_DEP_2) | instskip(NEXT) | instid1(VALU_DEP_2)
	v_fma_f64 v[14:15], v[42:43], v[8:9], v[14:15]
	v_add_f64 v[1:2], v[1:2], v[12:13]
	s_delay_alu instid0(VALU_DEP_2) | instskip(SKIP_4) | instid1(VALU_DEP_2)
	v_add_f64 v[48:49], v[52:53], v[14:15]
	ds_load_b128 v[12:15], v27 offset:1280
	s_waitcnt lgkmcnt(0)
	v_mul_f64 v[16:17], v[42:43], v[14:15]
	v_mul_f64 v[18:19], v[40:41], v[14:15]
	v_fma_f64 v[16:17], v[40:41], v[12:13], -v[16:17]
	s_delay_alu instid0(VALU_DEP_2) | instskip(NEXT) | instid1(VALU_DEP_2)
	v_fma_f64 v[18:19], v[42:43], v[12:13], v[18:19]
	v_add_f64 v[34:35], v[34:35], v[16:17]
	s_delay_alu instid0(VALU_DEP_2) | instskip(SKIP_4) | instid1(VALU_DEP_2)
	v_add_f64 v[32:33], v[32:33], v[18:19]
	ds_load_b128 v[16:19], v28 offset:2080
	s_waitcnt lgkmcnt(0)
	v_mul_f64 v[40:41], v[18:19], v[10:11]
	v_mul_f64 v[10:11], v[16:17], v[10:11]
	v_fma_f64 v[40:41], v[16:17], v[8:9], -v[40:41]
	s_delay_alu instid0(VALU_DEP_2) | instskip(SKIP_1) | instid1(VALU_DEP_3)
	v_fma_f64 v[8:9], v[18:19], v[8:9], v[10:11]
	v_mul_f64 v[10:11], v[16:17], v[14:15]
	v_add_f64 v[36:37], v[36:37], v[40:41]
	s_delay_alu instid0(VALU_DEP_3) | instskip(SKIP_1) | instid1(VALU_DEP_4)
	v_add_f64 v[38:39], v[38:39], v[8:9]
	v_mul_f64 v[8:9], v[18:19], v[14:15]
	v_fma_f64 v[10:11], v[18:19], v[12:13], v[10:11]
	s_delay_alu instid0(VALU_DEP_2) | instskip(NEXT) | instid1(VALU_DEP_2)
	v_fma_f64 v[8:9], v[16:17], v[12:13], -v[8:9]
	;; [unrolled: 38-line block ×3, first 2 shown]
	v_add_f64 v[22:23], v[22:23], v[10:11]
	s_delay_alu instid0(VALU_DEP_2)
	v_add_f64 v[20:21], v[20:21], v[8:9]
	ds_load_b128 v[8:11], v28 offset:64
	ds_load_b128 v[12:15], v27 offset:2048
	s_waitcnt lgkmcnt(0)
	v_mul_f64 v[16:17], v[10:11], v[14:15]
	v_mul_f64 v[18:19], v[8:9], v[14:15]
	s_delay_alu instid0(VALU_DEP_2) | instskip(NEXT) | instid1(VALU_DEP_2)
	v_fma_f64 v[16:17], v[8:9], v[12:13], -v[16:17]
	v_fma_f64 v[18:19], v[10:11], v[12:13], v[18:19]
	s_delay_alu instid0(VALU_DEP_2) | instskip(NEXT) | instid1(VALU_DEP_2)
	v_add_f64 v[1:2], v[1:2], v[16:17]
	v_add_f64 v[40:41], v[40:41], v[18:19]
	ds_load_b128 v[16:19], v27 offset:2304
	s_waitcnt lgkmcnt(0)
	v_mul_f64 v[42:43], v[10:11], v[18:19]
	s_delay_alu instid0(VALU_DEP_1) | instskip(SKIP_1) | instid1(VALU_DEP_2)
	v_fma_f64 v[42:43], v[8:9], v[16:17], -v[42:43]
	v_mul_f64 v[8:9], v[8:9], v[18:19]
	v_add_f64 v[34:35], v[34:35], v[42:43]
	s_delay_alu instid0(VALU_DEP_2) | instskip(NEXT) | instid1(VALU_DEP_1)
	v_fma_f64 v[8:9], v[10:11], v[16:17], v[8:9]
	v_add_f64 v[32:33], v[32:33], v[8:9]
	ds_load_b128 v[8:11], v28 offset:2112
	s_waitcnt lgkmcnt(0)
	v_mul_f64 v[42:43], v[10:11], v[14:15]
	v_mul_f64 v[14:15], v[8:9], v[14:15]
	s_delay_alu instid0(VALU_DEP_2) | instskip(NEXT) | instid1(VALU_DEP_2)
	v_fma_f64 v[42:43], v[8:9], v[12:13], -v[42:43]
	v_fma_f64 v[12:13], v[10:11], v[12:13], v[14:15]
	s_delay_alu instid0(VALU_DEP_2) | instskip(NEXT) | instid1(VALU_DEP_2)
	v_add_f64 v[36:37], v[36:37], v[42:43]
	v_add_f64 v[38:39], v[38:39], v[12:13]
	v_mul_f64 v[12:13], v[10:11], v[18:19]
	s_delay_alu instid0(VALU_DEP_1) | instskip(SKIP_1) | instid1(VALU_DEP_2)
	v_fma_f64 v[12:13], v[8:9], v[16:17], -v[12:13]
	v_mul_f64 v[8:9], v[8:9], v[18:19]
	v_add_f64 v[20:21], v[20:21], v[12:13]
	s_delay_alu instid0(VALU_DEP_2) | instskip(NEXT) | instid1(VALU_DEP_1)
	v_fma_f64 v[8:9], v[10:11], v[16:17], v[8:9]
	v_add_f64 v[22:23], v[22:23], v[8:9]
	ds_load_b128 v[8:11], v28 offset:80
	ds_load_b128 v[12:15], v27 offset:2560
	s_waitcnt lgkmcnt(0)
	v_mul_f64 v[16:17], v[10:11], v[14:15]
	v_mul_f64 v[18:19], v[8:9], v[14:15]
	s_delay_alu instid0(VALU_DEP_2) | instskip(NEXT) | instid1(VALU_DEP_2)
	v_fma_f64 v[16:17], v[8:9], v[12:13], -v[16:17]
	v_fma_f64 v[18:19], v[10:11], v[12:13], v[18:19]
	s_delay_alu instid0(VALU_DEP_2) | instskip(NEXT) | instid1(VALU_DEP_2)
	v_add_f64 v[1:2], v[1:2], v[16:17]
	v_add_f64 v[40:41], v[40:41], v[18:19]
	ds_load_b128 v[16:19], v27 offset:2816
	s_waitcnt lgkmcnt(0)
	v_mul_f64 v[42:43], v[10:11], v[18:19]
	s_delay_alu instid0(VALU_DEP_1) | instskip(SKIP_1) | instid1(VALU_DEP_2)
	v_fma_f64 v[42:43], v[8:9], v[16:17], -v[42:43]
	v_mul_f64 v[8:9], v[8:9], v[18:19]
	v_add_f64 v[34:35], v[34:35], v[42:43]
	s_delay_alu instid0(VALU_DEP_2) | instskip(NEXT) | instid1(VALU_DEP_1)
	v_fma_f64 v[8:9], v[10:11], v[16:17], v[8:9]
	v_add_f64 v[32:33], v[32:33], v[8:9]
	ds_load_b128 v[8:11], v28 offset:2128
	s_waitcnt lgkmcnt(0)
	v_mul_f64 v[42:43], v[10:11], v[14:15]
	v_mul_f64 v[14:15], v[8:9], v[14:15]
	s_delay_alu instid0(VALU_DEP_2) | instskip(NEXT) | instid1(VALU_DEP_2)
	v_fma_f64 v[42:43], v[8:9], v[12:13], -v[42:43]
	v_fma_f64 v[12:13], v[10:11], v[12:13], v[14:15]
	s_delay_alu instid0(VALU_DEP_2) | instskip(NEXT) | instid1(VALU_DEP_2)
	v_add_f64 v[36:37], v[36:37], v[42:43]
	v_add_f64 v[38:39], v[38:39], v[12:13]
	v_mul_f64 v[12:13], v[10:11], v[18:19]
	s_delay_alu instid0(VALU_DEP_1) | instskip(SKIP_1) | instid1(VALU_DEP_2)
	v_fma_f64 v[12:13], v[8:9], v[16:17], -v[12:13]
	v_mul_f64 v[8:9], v[8:9], v[18:19]
	v_add_f64 v[20:21], v[20:21], v[12:13]
	s_delay_alu instid0(VALU_DEP_2) | instskip(NEXT) | instid1(VALU_DEP_1)
	v_fma_f64 v[8:9], v[10:11], v[16:17], v[8:9]
	;; [unrolled: 39-line block ×3, first 2 shown]
	v_add_f64 v[48:49], v[22:23], v[8:9]
	ds_load_b128 v[8:11], v28 offset:112
	ds_load_b128 v[16:19], v27 offset:3584
	;; [unrolled: 1-line block ×3, first 2 shown]
	s_waitcnt lgkmcnt(1)
	v_mul_f64 v[12:13], v[10:11], v[18:19]
	v_mul_f64 v[14:15], v[8:9], v[18:19]
	s_delay_alu instid0(VALU_DEP_2) | instskip(NEXT) | instid1(VALU_DEP_2)
	v_fma_f64 v[12:13], v[8:9], v[16:17], -v[12:13]
	v_fma_f64 v[14:15], v[10:11], v[16:17], v[14:15]
	s_delay_alu instid0(VALU_DEP_2) | instskip(SKIP_2) | instid1(VALU_DEP_3)
	v_add_f64 v[20:21], v[1:2], v[12:13]
	s_waitcnt lgkmcnt(0)
	v_mul_f64 v[1:2], v[10:11], v[34:35]
	v_add_f64 v[22:23], v[40:41], v[14:15]
	s_delay_alu instid0(VALU_DEP_2) | instskip(SKIP_1) | instid1(VALU_DEP_2)
	v_fma_f64 v[1:2], v[8:9], v[32:33], -v[1:2]
	v_mul_f64 v[8:9], v[8:9], v[34:35]
	v_add_f64 v[12:13], v[42:43], v[1:2]
	s_delay_alu instid0(VALU_DEP_2) | instskip(NEXT) | instid1(VALU_DEP_1)
	v_fma_f64 v[8:9], v[10:11], v[32:33], v[8:9]
	v_add_f64 v[14:15], v[44:45], v[8:9]
	ds_load_b128 v[8:11], v28 offset:2160
	s_waitcnt lgkmcnt(0)
	s_barrier
	buffer_gl0_inv
	v_mul_f64 v[1:2], v[10:11], v[18:19]
	v_mul_f64 v[18:19], v[8:9], v[18:19]
	s_delay_alu instid0(VALU_DEP_2) | instskip(NEXT) | instid1(VALU_DEP_2)
	v_fma_f64 v[1:2], v[8:9], v[16:17], -v[1:2]
	v_fma_f64 v[18:19], v[10:11], v[16:17], v[18:19]
	s_delay_alu instid0(VALU_DEP_2) | instskip(SKIP_1) | instid1(VALU_DEP_3)
	v_add_f64 v[16:17], v[36:37], v[1:2]
	v_mul_f64 v[1:2], v[10:11], v[34:35]
	v_add_f64 v[18:19], v[38:39], v[18:19]
	s_delay_alu instid0(VALU_DEP_2) | instskip(SKIP_1) | instid1(VALU_DEP_1)
	v_fma_f64 v[1:2], v[8:9], v[32:33], -v[1:2]
	v_mul_f64 v[8:9], v[8:9], v[34:35]
	v_fma_f64 v[8:9], v[10:11], v[32:33], v[8:9]
	s_delay_alu instid0(VALU_DEP_3) | instskip(NEXT) | instid1(VALU_DEP_2)
	v_add_f64 v[10:11], v[46:47], v[1:2]
	v_add_f64 v[8:9], v[48:49], v[8:9]
	s_cbranch_scc1 .LBB453_11
.LBB453_3:                              ; =>This Inner Loop Header: Depth=1
	v_add_nc_u32_e32 v1, s14, v29
	s_delay_alu instid0(VALU_DEP_1) | instskip(SKIP_1) | instid1(SALU_CYCLE_1)
	v_cmp_le_i32_e32 vcc_lo, s25, v1
	s_or_b32 s4, s3, vcc_lo
	s_and_saveexec_b32 s5, s4
	s_delay_alu instid0(SALU_CYCLE_1)
	s_xor_b32 s4, exec_lo, s5
	s_cbranch_execz .LBB453_5
; %bb.4:                                ;   in Loop: Header=BB453_3 Depth=1
	v_mov_b32_e32 v1, v0
	v_mov_b32_e32 v2, v0
	;; [unrolled: 1-line block ×3, first 2 shown]
	ds_store_b128 v30, v[0:3]
.LBB453_5:                              ;   in Loop: Header=BB453_3 Depth=1
	s_and_not1_saveexec_b32 s4, s4
	s_cbranch_execz .LBB453_7
; %bb.6:                                ;   in Loop: Header=BB453_3 Depth=1
	global_load_b128 v[32:35], v[4:5], off
	s_waitcnt vmcnt(0)
	ds_store_2addr_b64 v30, v[32:33], v[34:35] offset1:1
.LBB453_7:                              ;   in Loop: Header=BB453_3 Depth=1
	s_or_b32 exec_lo, exec_lo, s4
	v_add_nc_u32_e32 v1, s14, v26
	s_delay_alu instid0(VALU_DEP_1) | instskip(SKIP_1) | instid1(SALU_CYCLE_1)
	v_cmp_le_i32_e32 vcc_lo, s25, v1
	s_or_b32 s4, vcc_lo, s2
	s_and_saveexec_b32 s5, s4
	s_delay_alu instid0(SALU_CYCLE_1)
	s_xor_b32 s4, exec_lo, s5
	s_cbranch_execz .LBB453_9
; %bb.8:                                ;   in Loop: Header=BB453_3 Depth=1
	v_mov_b32_e32 v1, v0
	v_mov_b32_e32 v2, v0
	;; [unrolled: 1-line block ×3, first 2 shown]
	ds_store_b128 v31, v[0:3]
.LBB453_9:                              ;   in Loop: Header=BB453_3 Depth=1
	s_and_not1_saveexec_b32 s4, s4
	s_cbranch_execz .LBB453_2
; %bb.10:                               ;   in Loop: Header=BB453_3 Depth=1
	global_load_b128 v[32:35], v[6:7], off
	s_waitcnt vmcnt(0)
	ds_store_2addr_b64 v31, v[32:33], v[34:35] offset1:1
	s_branch .LBB453_2
.LBB453_11:
	s_clause 0x1
	s_load_b32 s2, s[0:1], 0x60
	s_load_b64 s[4:5], s[0:1], 0x68
	v_add_nc_u32_e32 v4, s13, v25
	v_add_nc_u32_e32 v0, s12, v24
	s_delay_alu instid0(VALU_DEP_1)
	v_cmp_le_i32_e64 s0, v4, v0
	v_cmp_gt_i32_e32 vcc_lo, s24, v0
	s_waitcnt lgkmcnt(0)
	v_mad_i64_i32 v[1:2], null, v4, s2, 0
	s_mul_i32 s1, s15, s5
	s_mul_hi_u32 s3, s15, s4
	s_mul_i32 s4, s15, s4
	s_add_i32 s5, s3, s1
	s_delay_alu instid0(SALU_CYCLE_1) | instskip(NEXT) | instid1(VALU_DEP_1)
	s_lshl_b64 s[4:5], s[4:5], 4
	v_lshlrev_b64 v[1:2], 4, v[1:2]
	s_add_u32 s3, s10, s4
	s_addc_u32 s4, s11, s5
	s_and_b32 s0, s0, vcc_lo
	s_delay_alu instid0(VALU_DEP_1) | instskip(NEXT) | instid1(VALU_DEP_1)
	v_add_co_u32 v5, s1, s3, v1
	v_add_co_ci_u32_e64 v6, s1, s4, v2, s1
	s_and_saveexec_b32 s1, s0
	s_cbranch_execz .LBB453_13
; %bb.12:
	v_ashrrev_i32_e32 v1, 31, v0
	v_mul_f64 v[28:29], s[16:17], v[22:23]
	v_mul_f64 v[22:23], s[18:19], v[22:23]
	s_delay_alu instid0(VALU_DEP_3) | instskip(NEXT) | instid1(VALU_DEP_1)
	v_lshlrev_b64 v[1:2], 4, v[0:1]
	v_add_co_u32 v1, s0, v5, v1
	s_delay_alu instid0(VALU_DEP_1)
	v_add_co_ci_u32_e64 v2, s0, v6, v2, s0
	v_cmp_ne_u32_e64 s0, v4, v0
	global_load_b128 v[24:27], v[1:2], off
	v_fma_f64 v[28:29], s[18:19], v[20:21], v[28:29]
	v_fma_f64 v[20:21], s[16:17], v[20:21], -v[22:23]
	s_waitcnt vmcnt(0)
	v_mul_f64 v[30:31], s[6:7], v[26:27]
	v_mul_f64 v[26:27], s[8:9], v[26:27]
	s_delay_alu instid0(VALU_DEP_2) | instskip(NEXT) | instid1(VALU_DEP_2)
	v_fma_f64 v[30:31], s[8:9], v[24:25], v[30:31]
	v_fma_f64 v[22:23], s[6:7], v[24:25], -v[26:27]
	s_delay_alu instid0(VALU_DEP_2) | instskip(NEXT) | instid1(VALU_DEP_2)
	v_add_f64 v[24:25], v[28:29], v[30:31]
	v_add_f64 v[20:21], v[20:21], v[22:23]
	s_delay_alu instid0(VALU_DEP_2) | instskip(NEXT) | instid1(VALU_DEP_3)
	v_cndmask_b32_e64 v23, 0, v25, s0
	v_cndmask_b32_e64 v22, 0, v24, s0
	global_store_b128 v[1:2], v[20:23], off
.LBB453_13:
	s_or_b32 exec_lo, exec_lo, s1
	v_add_nc_u32_e32 v2, 16, v0
	s_delay_alu instid0(VALU_DEP_1) | instskip(SKIP_1) | instid1(VALU_DEP_1)
	v_cmp_le_i32_e64 s1, v4, v2
	v_cmp_gt_i32_e64 s0, s24, v2
	s_and_b32 s1, s1, s0
	s_delay_alu instid0(SALU_CYCLE_1)
	s_and_saveexec_b32 s5, s1
	s_cbranch_execz .LBB453_15
; %bb.14:
	v_ashrrev_i32_e32 v3, 31, v2
	v_mul_f64 v[24:25], s[16:17], v[14:15]
	v_mul_f64 v[14:15], s[18:19], v[14:15]
	s_delay_alu instid0(VALU_DEP_3) | instskip(NEXT) | instid1(VALU_DEP_1)
	v_lshlrev_b64 v[20:21], 4, v[2:3]
	v_add_co_u32 v5, s1, v5, v20
	s_delay_alu instid0(VALU_DEP_1)
	v_add_co_ci_u32_e64 v6, s1, v6, v21, s1
	v_cmp_ne_u32_e64 s1, v4, v2
	global_load_b128 v[20:23], v[5:6], off
	v_fma_f64 v[24:25], s[18:19], v[12:13], v[24:25]
	v_fma_f64 v[12:13], s[16:17], v[12:13], -v[14:15]
	s_waitcnt vmcnt(0)
	v_mul_f64 v[26:27], s[6:7], v[22:23]
	v_mul_f64 v[22:23], s[8:9], v[22:23]
	s_delay_alu instid0(VALU_DEP_2) | instskip(NEXT) | instid1(VALU_DEP_2)
	v_fma_f64 v[26:27], s[8:9], v[20:21], v[26:27]
	v_fma_f64 v[14:15], s[6:7], v[20:21], -v[22:23]
	s_delay_alu instid0(VALU_DEP_2) | instskip(NEXT) | instid1(VALU_DEP_2)
	v_add_f64 v[20:21], v[24:25], v[26:27]
	v_add_f64 v[12:13], v[12:13], v[14:15]
	s_delay_alu instid0(VALU_DEP_2) | instskip(NEXT) | instid1(VALU_DEP_3)
	v_cndmask_b32_e64 v15, 0, v21, s1
	v_cndmask_b32_e64 v14, 0, v20, s1
	global_store_b128 v[5:6], v[12:15], off
.LBB453_15:
	s_or_b32 exec_lo, exec_lo, s5
	v_add_nc_u32_e32 v3, 16, v4
	s_delay_alu instid0(VALU_DEP_1) | instskip(SKIP_1) | instid1(VALU_DEP_2)
	v_mad_i64_i32 v[5:6], null, v3, s2, 0
	v_cmp_le_i32_e64 s1, v3, v0
	v_lshlrev_b64 v[5:6], 4, v[5:6]
	s_delay_alu instid0(VALU_DEP_1) | instskip(NEXT) | instid1(VALU_DEP_1)
	v_add_co_u32 v5, s2, s3, v5
	v_add_co_ci_u32_e64 v6, s2, s4, v6, s2
	s_delay_alu instid0(VALU_DEP_4) | instskip(NEXT) | instid1(SALU_CYCLE_1)
	s_and_b32 s2, s1, vcc_lo
	s_and_saveexec_b32 s1, s2
	s_cbranch_execz .LBB453_17
; %bb.16:
	v_ashrrev_i32_e32 v1, 31, v0
	v_mul_f64 v[22:23], s[16:17], v[18:19]
	v_mul_f64 v[18:19], s[18:19], v[18:19]
	s_delay_alu instid0(VALU_DEP_3) | instskip(NEXT) | instid1(VALU_DEP_1)
	v_lshlrev_b64 v[12:13], 4, v[0:1]
	v_add_co_u32 v20, vcc_lo, v5, v12
	s_delay_alu instid0(VALU_DEP_2)
	v_add_co_ci_u32_e32 v21, vcc_lo, v6, v13, vcc_lo
	v_cmp_ne_u32_e32 vcc_lo, v3, v0
	global_load_b128 v[12:15], v[20:21], off
	v_fma_f64 v[22:23], s[18:19], v[16:17], v[22:23]
	v_fma_f64 v[16:17], s[16:17], v[16:17], -v[18:19]
	s_waitcnt vmcnt(0)
	v_mul_f64 v[24:25], s[6:7], v[14:15]
	v_mul_f64 v[14:15], s[8:9], v[14:15]
	s_delay_alu instid0(VALU_DEP_2) | instskip(NEXT) | instid1(VALU_DEP_2)
	v_fma_f64 v[24:25], s[8:9], v[12:13], v[24:25]
	v_fma_f64 v[12:13], s[6:7], v[12:13], -v[14:15]
	s_delay_alu instid0(VALU_DEP_2) | instskip(NEXT) | instid1(VALU_DEP_2)
	v_add_f64 v[14:15], v[22:23], v[24:25]
	v_add_f64 v[12:13], v[16:17], v[12:13]
	s_delay_alu instid0(VALU_DEP_2)
	v_dual_cndmask_b32 v15, 0, v15 :: v_dual_cndmask_b32 v14, 0, v14
	global_store_b128 v[20:21], v[12:15], off
.LBB453_17:
	s_or_b32 exec_lo, exec_lo, s1
	v_cmp_le_i32_e32 vcc_lo, v3, v2
	s_and_b32 s0, vcc_lo, s0
	s_delay_alu instid0(SALU_CYCLE_1)
	s_and_saveexec_b32 s1, s0
	s_cbranch_execz .LBB453_19
; %bb.18:
	v_ashrrev_i32_e32 v3, 31, v2
	s_delay_alu instid0(VALU_DEP_1) | instskip(NEXT) | instid1(VALU_DEP_1)
	v_lshlrev_b64 v[1:2], 4, v[2:3]
	v_add_co_u32 v5, vcc_lo, v5, v1
	s_delay_alu instid0(VALU_DEP_2)
	v_add_co_ci_u32_e32 v6, vcc_lo, v6, v2, vcc_lo
	v_mul_f64 v[1:2], s[16:17], v[8:9]
	v_mul_f64 v[7:8], s[18:19], v[8:9]
	v_cmp_ne_u32_e32 vcc_lo, v4, v0
	global_load_b128 v[12:15], v[5:6], off
	v_fma_f64 v[1:2], s[18:19], v[10:11], v[1:2]
	v_fma_f64 v[7:8], s[16:17], v[10:11], -v[7:8]
	s_waitcnt vmcnt(0)
	v_mul_f64 v[16:17], s[6:7], v[14:15]
	v_mul_f64 v[14:15], s[8:9], v[14:15]
	s_delay_alu instid0(VALU_DEP_2) | instskip(NEXT) | instid1(VALU_DEP_2)
	v_fma_f64 v[16:17], s[8:9], v[12:13], v[16:17]
	v_fma_f64 v[9:10], s[6:7], v[12:13], -v[14:15]
	s_delay_alu instid0(VALU_DEP_2) | instskip(NEXT) | instid1(VALU_DEP_2)
	v_add_f64 v[11:12], v[1:2], v[16:17]
	v_add_f64 v[1:2], v[7:8], v[9:10]
	s_delay_alu instid0(VALU_DEP_2)
	v_dual_cndmask_b32 v4, 0, v12 :: v_dual_cndmask_b32 v3, 0, v11
	global_store_b128 v[5:6], v[1:4], off
.LBB453_19:
	s_nop 0
	s_sendmsg sendmsg(MSG_DEALLOC_VGPRS)
	s_endpgm
	.section	.rodata,"a",@progbits
	.p2align	6, 0x0
	.amdhsa_kernel _ZL34rocblas_syrkx_herkx_general_kernelIi19rocblas_complex_numIdELi16ELi32ELi8ELb0ELb1ELc84ELc76EKS1_S1_EviT_T0_PT8_S3_lS6_S3_lS4_PT9_S3_li
		.amdhsa_group_segment_fixed_size 8192
		.amdhsa_private_segment_fixed_size 0
		.amdhsa_kernarg_size 116
		.amdhsa_user_sgpr_count 13
		.amdhsa_user_sgpr_dispatch_ptr 0
		.amdhsa_user_sgpr_queue_ptr 0
		.amdhsa_user_sgpr_kernarg_segment_ptr 1
		.amdhsa_user_sgpr_dispatch_id 0
		.amdhsa_user_sgpr_private_segment_size 0
		.amdhsa_wavefront_size32 1
		.amdhsa_uses_dynamic_stack 0
		.amdhsa_enable_private_segment 0
		.amdhsa_system_sgpr_workgroup_id_x 1
		.amdhsa_system_sgpr_workgroup_id_y 1
		.amdhsa_system_sgpr_workgroup_id_z 1
		.amdhsa_system_sgpr_workgroup_info 0
		.amdhsa_system_vgpr_workitem_id 1
		.amdhsa_next_free_vgpr 56
		.amdhsa_next_free_sgpr 29
		.amdhsa_reserve_vcc 1
		.amdhsa_float_round_mode_32 0
		.amdhsa_float_round_mode_16_64 0
		.amdhsa_float_denorm_mode_32 3
		.amdhsa_float_denorm_mode_16_64 3
		.amdhsa_dx10_clamp 1
		.amdhsa_ieee_mode 1
		.amdhsa_fp16_overflow 0
		.amdhsa_workgroup_processor_mode 1
		.amdhsa_memory_ordered 1
		.amdhsa_forward_progress 0
		.amdhsa_shared_vgpr_count 0
		.amdhsa_exception_fp_ieee_invalid_op 0
		.amdhsa_exception_fp_denorm_src 0
		.amdhsa_exception_fp_ieee_div_zero 0
		.amdhsa_exception_fp_ieee_overflow 0
		.amdhsa_exception_fp_ieee_underflow 0
		.amdhsa_exception_fp_ieee_inexact 0
		.amdhsa_exception_int_div_zero 0
	.end_amdhsa_kernel
	.section	.text._ZL34rocblas_syrkx_herkx_general_kernelIi19rocblas_complex_numIdELi16ELi32ELi8ELb0ELb1ELc84ELc76EKS1_S1_EviT_T0_PT8_S3_lS6_S3_lS4_PT9_S3_li,"axG",@progbits,_ZL34rocblas_syrkx_herkx_general_kernelIi19rocblas_complex_numIdELi16ELi32ELi8ELb0ELb1ELc84ELc76EKS1_S1_EviT_T0_PT8_S3_lS6_S3_lS4_PT9_S3_li,comdat
.Lfunc_end453:
	.size	_ZL34rocblas_syrkx_herkx_general_kernelIi19rocblas_complex_numIdELi16ELi32ELi8ELb0ELb1ELc84ELc76EKS1_S1_EviT_T0_PT8_S3_lS6_S3_lS4_PT9_S3_li, .Lfunc_end453-_ZL34rocblas_syrkx_herkx_general_kernelIi19rocblas_complex_numIdELi16ELi32ELi8ELb0ELb1ELc84ELc76EKS1_S1_EviT_T0_PT8_S3_lS6_S3_lS4_PT9_S3_li
                                        ; -- End function
	.section	.AMDGPU.csdata,"",@progbits
; Kernel info:
; codeLenInByte = 3880
; NumSgprs: 31
; NumVgprs: 56
; ScratchSize: 0
; MemoryBound: 0
; FloatMode: 240
; IeeeMode: 1
; LDSByteSize: 8192 bytes/workgroup (compile time only)
; SGPRBlocks: 3
; VGPRBlocks: 6
; NumSGPRsForWavesPerEU: 31
; NumVGPRsForWavesPerEU: 56
; Occupancy: 16
; WaveLimiterHint : 0
; COMPUTE_PGM_RSRC2:SCRATCH_EN: 0
; COMPUTE_PGM_RSRC2:USER_SGPR: 13
; COMPUTE_PGM_RSRC2:TRAP_HANDLER: 0
; COMPUTE_PGM_RSRC2:TGID_X_EN: 1
; COMPUTE_PGM_RSRC2:TGID_Y_EN: 1
; COMPUTE_PGM_RSRC2:TGID_Z_EN: 1
; COMPUTE_PGM_RSRC2:TIDIG_COMP_CNT: 1
	.section	.text._ZL34rocblas_syrkx_herkx_general_kernelIi19rocblas_complex_numIdELi16ELi32ELi8ELb0ELb1ELc67ELc76EKS1_S1_EviT_T0_PT8_S3_lS6_S3_lS4_PT9_S3_li,"axG",@progbits,_ZL34rocblas_syrkx_herkx_general_kernelIi19rocblas_complex_numIdELi16ELi32ELi8ELb0ELb1ELc67ELc76EKS1_S1_EviT_T0_PT8_S3_lS6_S3_lS4_PT9_S3_li,comdat
	.globl	_ZL34rocblas_syrkx_herkx_general_kernelIi19rocblas_complex_numIdELi16ELi32ELi8ELb0ELb1ELc67ELc76EKS1_S1_EviT_T0_PT8_S3_lS6_S3_lS4_PT9_S3_li ; -- Begin function _ZL34rocblas_syrkx_herkx_general_kernelIi19rocblas_complex_numIdELi16ELi32ELi8ELb0ELb1ELc67ELc76EKS1_S1_EviT_T0_PT8_S3_lS6_S3_lS4_PT9_S3_li
	.p2align	8
	.type	_ZL34rocblas_syrkx_herkx_general_kernelIi19rocblas_complex_numIdELi16ELi32ELi8ELb0ELb1ELc67ELc76EKS1_S1_EviT_T0_PT8_S3_lS6_S3_lS4_PT9_S3_li,@function
_ZL34rocblas_syrkx_herkx_general_kernelIi19rocblas_complex_numIdELi16ELi32ELi8ELb0ELb1ELc67ELc76EKS1_S1_EviT_T0_PT8_S3_lS6_S3_lS4_PT9_S3_li: ; @_ZL34rocblas_syrkx_herkx_general_kernelIi19rocblas_complex_numIdELi16ELi32ELi8ELb0ELb1ELc67ELc76EKS1_S1_EviT_T0_PT8_S3_lS6_S3_lS4_PT9_S3_li
; %bb.0:
	s_clause 0x3
	s_load_b64 s[24:25], s[0:1], 0x0
	s_load_b128 s[16:19], s[0:1], 0x8
	s_load_b64 s[26:27], s[0:1], 0x18
	s_load_b256 s[4:11], s[0:1], 0x40
	v_mov_b32_e32 v23, 0
	v_dual_mov_b32 v24, 0 :: v_dual_and_b32 v27, 0x3ff, v0
	v_bfe_u32 v28, v0, 10, 10
	s_delay_alu instid0(VALU_DEP_3) | instskip(NEXT) | instid1(VALU_DEP_3)
	v_mov_b32_e32 v19, v23
	v_dual_mov_b32 v21, v23 :: v_dual_mov_b32 v22, v24
	v_dual_mov_b32 v26, v24 :: v_dual_mov_b32 v25, v23
	;; [unrolled: 1-line block ×6, first 2 shown]
	v_mov_b32_e32 v14, v24
	s_lshl_b32 s12, s13, 5
	s_lshl_b32 s13, s14, 5
	s_waitcnt lgkmcnt(0)
	s_cmp_lt_i32 s25, 1
	s_mov_b32 s14, 0
	s_cbranch_scc1 .LBB454_9
; %bb.1:
	s_load_b32 s2, s[0:1], 0x20
	v_lshl_add_u32 v0, v28, 4, v27
	s_clause 0x1
	s_load_b128 s[20:23], s[0:1], 0x28
	s_load_b32 s3, s[0:1], 0x38
	v_and_b32_e32 v29, 7, v27
	s_mul_i32 s5, s5, s15
	v_lshlrev_b32_e32 v30, 4, v27
	v_and_b32_e32 v2, 31, v0
	v_lshrrev_b32_e32 v1, 3, v0
	v_lshlrev_b32_e32 v4, 4, v29
	v_lshrrev_b32_e32 v32, 5, v0
	v_lshl_add_u32 v31, v28, 7, 0x1000
	v_add_nc_u32_e32 v3, s12, v2
	v_add_nc_u32_e32 v5, s13, v1
	v_lshl_or_b32 v7, v1, 7, v4
	v_or_b32_e32 v6, s12, v2
	v_lshlrev_b32_e32 v2, 4, v2
	v_lshlrev_b32_e32 v8, 4, v32
	s_delay_alu instid0(VALU_DEP_4) | instskip(NEXT) | instid1(VALU_DEP_4)
	v_add_nc_u32_e32 v34, 0x1000, v7
	v_cmp_gt_i32_e32 vcc_lo, s24, v6
	s_waitcnt lgkmcnt(0)
	v_mad_i64_i32 v[0:1], null, s2, v3, 0
	s_mul_i32 s21, s21, s15
	s_mul_hi_u32 s28, s20, s15
	s_mul_i32 s20, s20, s15
	s_add_i32 s21, s28, s21
	v_lshl_or_b32 v33, v32, 9, v2
	s_lshl_b64 s[20:21], s[20:21], 4
	s_delay_alu instid0(VALU_DEP_2) | instskip(SKIP_2) | instid1(VALU_DEP_3)
	v_lshlrev_b64 v[0:1], 4, v[0:1]
	v_mad_i64_i32 v[2:3], null, s3, v5, 0
	v_cmp_gt_i32_e64 s2, s24, v5
	v_add_co_u32 v0, s3, v0, s20
	s_delay_alu instid0(VALU_DEP_1) | instskip(NEXT) | instid1(VALU_DEP_2)
	v_add_co_ci_u32_e64 v1, s3, s21, v1, s3
	v_add_co_u32 v5, s3, v0, v8
	s_delay_alu instid0(VALU_DEP_1)
	v_add_co_ci_u32_e64 v6, s3, 0, v1, s3
	s_mul_hi_u32 s3, s4, s15
	v_lshlrev_b64 v[0:1], 4, v[2:3]
	s_add_i32 s5, s3, s5
	s_mul_i32 s4, s4, s15
	v_add_co_u32 v2, s3, v5, s26
	s_lshl_b64 s[4:5], s[4:5], 4
	v_add_co_ci_u32_e64 v3, s3, s27, v6, s3
	v_mov_b32_e32 v7, 0
	v_add_co_u32 v0, s3, v0, s4
	v_mov_b32_e32 v8, 0
	v_add_co_ci_u32_e64 v1, s3, s5, v1, s3
	v_add_co_u32 v5, s3, v2, 8
	s_delay_alu instid0(VALU_DEP_1) | instskip(NEXT) | instid1(VALU_DEP_4)
	v_add_co_ci_u32_e64 v6, s3, 0, v3, s3
	v_dual_mov_b32 v12, v8 :: v_dual_mov_b32 v11, v7
	v_add_co_u32 v0, s3, v0, v4
	s_delay_alu instid0(VALU_DEP_1) | instskip(SKIP_1) | instid1(VALU_DEP_3)
	v_add_co_ci_u32_e64 v1, s3, 0, v1, s3
	v_mov_b32_e32 v14, v8
	v_add_co_u32 v9, s3, s22, v0
	v_mov_b32_e32 v18, v8
	v_mov_b32_e32 v16, v8
	v_mov_b32_e32 v22, v8
	v_mov_b32_e32 v20, v8
	v_mov_b32_e32 v26, v8
	v_dual_mov_b32 v24, v8 :: v_dual_mov_b32 v23, v7
	v_add_co_ci_u32_e64 v10, s3, s23, v1, s3
	v_dual_mov_b32 v0, 0 :: v_dual_mov_b32 v13, v7
	v_mov_b32_e32 v17, v7
	v_mov_b32_e32 v15, v7
	;; [unrolled: 1-line block ×5, first 2 shown]
	s_xor_b32 s3, s2, -1
	s_branch .LBB454_3
.LBB454_2:                              ;   in Loop: Header=BB454_3 Depth=1
	s_or_b32 exec_lo, exec_lo, s2
	s_waitcnt lgkmcnt(0)
	s_barrier
	buffer_gl0_inv
	ds_load_b128 v[1:4], v31
	ds_load_b128 v[35:38], v30
	ds_load_b128 v[39:42], v30 offset:256
	ds_load_b128 v[43:46], v31 offset:2048
	;; [unrolled: 1-line block ×9, first 2 shown]
	v_add_co_u32 v5, s2, 0x80, v5
	s_delay_alu instid0(VALU_DEP_1) | instskip(SKIP_1) | instid1(VALU_DEP_1)
	v_add_co_ci_u32_e64 v6, s2, 0, v6, s2
	v_add_co_u32 v9, s2, 0x80, v9
	v_add_co_ci_u32_e64 v10, s2, 0, v10, s2
	s_add_i32 s14, s14, 8
	s_delay_alu instid0(SALU_CYCLE_1)
	s_cmp_ge_i32 s14, s25
	s_waitcnt lgkmcnt(9)
	v_mul_f64 v[75:76], v[3:4], v[37:38]
	v_mul_f64 v[77:78], v[1:2], v[37:38]
	s_waitcnt lgkmcnt(8)
	v_mul_f64 v[79:80], v[3:4], v[41:42]
	v_mul_f64 v[81:82], v[1:2], v[41:42]
	;; [unrolled: 3-line block ×3, first 2 shown]
	v_mul_f64 v[85:86], v[45:46], v[41:42]
	v_mul_f64 v[41:42], v[43:44], v[41:42]
	s_waitcnt lgkmcnt(4)
	v_mul_f64 v[87:88], v[49:50], v[57:58]
	v_mul_f64 v[89:90], v[47:48], v[57:58]
	s_waitcnt lgkmcnt(3)
	v_mul_f64 v[91:92], v[49:50], v[61:62]
	v_mul_f64 v[93:94], v[47:48], v[61:62]
	;; [unrolled: 1-line block ×6, first 2 shown]
	s_waitcnt lgkmcnt(0)
	v_mul_f64 v[115:116], v[73:74], v[65:66]
	v_mul_f64 v[117:118], v[73:74], v[69:70]
	v_fma_f64 v[99:100], v[1:2], v[35:36], -v[75:76]
	v_fma_f64 v[101:102], v[3:4], v[35:36], v[77:78]
	v_fma_f64 v[79:80], v[1:2], v[39:40], -v[79:80]
	v_fma_f64 v[81:82], v[3:4], v[39:40], v[81:82]
	;; [unrolled: 2-line block ×4, first 2 shown]
	ds_load_b128 v[75:78], v31 offset:32
	v_fma_f64 v[87:88], v[47:48], v[55:56], -v[87:88]
	v_fma_f64 v[89:90], v[49:50], v[55:56], v[89:90]
	v_fma_f64 v[47:48], v[47:48], v[59:60], -v[91:92]
	v_fma_f64 v[49:50], v[49:50], v[59:60], v[93:94]
	;; [unrolled: 2-line block ×4, first 2 shown]
	ds_load_b128 v[1:4], v31 offset:48
	ds_load_b128 v[35:38], v31 offset:2096
	;; [unrolled: 1-line block ×4, first 2 shown]
	s_waitcnt lgkmcnt(4)
	v_mul_f64 v[107:108], v[77:78], v[65:66]
	v_mul_f64 v[109:110], v[75:76], v[65:66]
	;; [unrolled: 1-line block ×6, first 2 shown]
	s_waitcnt lgkmcnt(1)
	v_mul_f64 v[93:94], v[1:2], v[41:42]
	s_waitcnt lgkmcnt(0)
	v_mul_f64 v[95:96], v[3:4], v[45:46]
	v_add_f64 v[23:24], v[23:24], v[99:100]
	v_add_f64 v[25:26], v[25:26], v[101:102]
	;; [unrolled: 1-line block ×8, first 2 shown]
	v_mul_f64 v[85:86], v[3:4], v[41:42]
	v_mul_f64 v[97:98], v[1:2], v[45:46]
	;; [unrolled: 1-line block ×6, first 2 shown]
	ds_load_b128 v[11:14], v30 offset:2048
	ds_load_b128 v[15:18], v30 offset:2304
	;; [unrolled: 1-line block ×3, first 2 shown]
	v_fma_f64 v[105:106], v[75:76], v[63:64], -v[107:108]
	v_fma_f64 v[107:108], v[77:78], v[63:64], v[109:110]
	v_fma_f64 v[75:76], v[75:76], v[67:68], -v[111:112]
	v_fma_f64 v[77:78], v[77:78], v[67:68], v[113:114]
	v_fma_f64 v[109:110], v[71:72], v[63:64], -v[115:116]
	v_fma_f64 v[63:64], v[73:74], v[63:64], v[65:66]
	v_fma_f64 v[65:66], v[71:72], v[67:68], -v[117:118]
	v_fma_f64 v[67:68], v[73:74], v[67:68], v[69:70]
	s_waitcnt lgkmcnt(0)
	v_mul_f64 v[115:116], v[21:22], v[13:14]
	v_mul_f64 v[117:118], v[21:22], v[17:18]
	v_add_f64 v[69:70], v[23:24], v[87:88]
	v_add_f64 v[71:72], v[25:26], v[89:90]
	;; [unrolled: 1-line block ×8, first 2 shown]
	ds_load_b128 v[23:26], v31 offset:64
	v_fma_f64 v[85:86], v[1:2], v[39:40], -v[85:86]
	v_fma_f64 v[93:94], v[3:4], v[39:40], v[93:94]
	v_fma_f64 v[95:96], v[1:2], v[43:44], -v[95:96]
	v_fma_f64 v[97:98], v[3:4], v[43:44], v[97:98]
	;; [unrolled: 2-line block ×4, first 2 shown]
	ds_load_b128 v[45:48], v31 offset:80
	ds_load_b128 v[49:52], v31 offset:2128
	;; [unrolled: 1-line block ×7, first 2 shown]
	s_waitcnt lgkmcnt(7)
	v_mul_f64 v[89:90], v[25:26], v[13:14]
	v_mul_f64 v[91:92], v[23:24], v[13:14]
	;; [unrolled: 1-line block ×6, first 2 shown]
	s_waitcnt lgkmcnt(3)
	v_mul_f64 v[103:104], v[51:52], v[59:60]
	v_add_f64 v[69:70], v[69:70], v[105:106]
	v_add_f64 v[71:72], v[71:72], v[107:108]
	;; [unrolled: 1-line block ×8, first 2 shown]
	v_mul_f64 v[77:78], v[47:48], v[55:56]
	v_mul_f64 v[79:80], v[45:46], v[55:56]
	;; [unrolled: 1-line block ×7, first 2 shown]
	v_fma_f64 v[89:90], v[23:24], v[11:12], -v[89:90]
	v_fma_f64 v[91:92], v[25:26], v[11:12], v[91:92]
	v_fma_f64 v[107:108], v[23:24], v[15:16], -v[111:112]
	v_fma_f64 v[109:110], v[25:26], v[15:16], v[113:114]
	;; [unrolled: 2-line block ×4, first 2 shown]
	ds_load_b128 v[11:14], v31 offset:96
	v_add_f64 v[69:70], v[69:70], v[85:86]
	v_add_f64 v[71:72], v[71:72], v[93:94]
	;; [unrolled: 1-line block ×8, first 2 shown]
	s_waitcnt lgkmcnt(1)
	v_mul_f64 v[99:100], v[41:42], v[3:4]
	v_mul_f64 v[101:102], v[41:42], v[37:38]
	v_fma_f64 v[77:78], v[45:46], v[53:54], -v[77:78]
	v_fma_f64 v[79:80], v[47:48], v[53:54], v[79:80]
	v_fma_f64 v[45:46], v[45:46], v[57:58], -v[81:82]
	v_fma_f64 v[47:48], v[47:48], v[57:58], v[83:84]
	;; [unrolled: 2-line block ×4, first 2 shown]
	s_waitcnt lgkmcnt(0)
	v_mul_f64 v[67:68], v[13:14], v[3:4]
	v_mul_f64 v[93:94], v[11:12], v[3:4]
	;; [unrolled: 1-line block ×6, first 2 shown]
	ds_load_b128 v[15:18], v31 offset:112
	ds_load_b128 v[19:22], v31 offset:2160
	;; [unrolled: 1-line block ×4, first 2 shown]
	s_waitcnt lgkmcnt(0)
	s_barrier
	buffer_gl0_inv
	v_add_f64 v[55:56], v[69:70], v[89:90]
	v_add_f64 v[57:58], v[71:72], v[91:92]
	;; [unrolled: 1-line block ×8, first 2 shown]
	v_mul_f64 v[75:76], v[17:18], v[25:26]
	v_mul_f64 v[83:84], v[15:16], v[25:26]
	;; [unrolled: 1-line block ×8, first 2 shown]
	v_fma_f64 v[67:68], v[11:12], v[1:2], -v[67:68]
	v_fma_f64 v[93:94], v[13:14], v[1:2], v[93:94]
	v_fma_f64 v[11:12], v[11:12], v[35:36], -v[95:96]
	v_fma_f64 v[13:14], v[13:14], v[35:36], v[97:98]
	;; [unrolled: 2-line block ×4, first 2 shown]
	v_add_f64 v[37:38], v[55:56], v[77:78]
	v_add_f64 v[39:40], v[57:58], v[79:80]
	;; [unrolled: 1-line block ×8, first 2 shown]
	v_fma_f64 v[51:52], v[15:16], v[23:24], -v[75:76]
	v_fma_f64 v[55:56], v[17:18], v[23:24], v[83:84]
	v_fma_f64 v[15:16], v[15:16], v[59:60], -v[85:86]
	v_fma_f64 v[17:18], v[17:18], v[59:60], v[87:88]
	;; [unrolled: 2-line block ×4, first 2 shown]
	v_add_f64 v[19:20], v[37:38], v[67:68]
	v_add_f64 v[21:22], v[39:40], v[93:94]
	;; [unrolled: 1-line block ×16, first 2 shown]
	s_cbranch_scc1 .LBB454_9
.LBB454_3:                              ; =>This Inner Loop Header: Depth=1
	v_add_nc_u32_e32 v1, s14, v32
	v_dual_mov_b32 v3, v7 :: v_dual_mov_b32 v4, v8
	s_delay_alu instid0(VALU_DEP_2) | instskip(SKIP_1) | instid1(VALU_DEP_2)
	v_cmp_gt_i32_e64 s2, s25, v1
	v_dual_mov_b32 v1, v7 :: v_dual_mov_b32 v2, v8
	s_and_b32 s4, vcc_lo, s2
	s_delay_alu instid0(SALU_CYCLE_1)
	s_and_saveexec_b32 s2, s4
	s_cbranch_execz .LBB454_5
; %bb.4:                                ;   in Loop: Header=BB454_3 Depth=1
	global_load_b128 v[1:4], v[5:6], off offset:-8
	s_waitcnt vmcnt(0)
	v_xor_b32_e32 v4, 0x80000000, v4
.LBB454_5:                              ;   in Loop: Header=BB454_3 Depth=1
	s_or_b32 exec_lo, exec_lo, s2
	v_add_nc_u32_e32 v35, s14, v29
	ds_store_b128 v33, v[1:4]
	v_cmp_le_i32_e64 s2, s25, v35
	s_delay_alu instid0(VALU_DEP_1) | instskip(NEXT) | instid1(SALU_CYCLE_1)
	s_or_b32 s2, s2, s3
	s_and_saveexec_b32 s4, s2
	s_delay_alu instid0(SALU_CYCLE_1)
	s_xor_b32 s2, exec_lo, s4
	s_cbranch_execz .LBB454_7
; %bb.6:                                ;   in Loop: Header=BB454_3 Depth=1
	v_mov_b32_e32 v1, v0
	v_mov_b32_e32 v2, v0
	;; [unrolled: 1-line block ×3, first 2 shown]
	ds_store_b128 v34, v[0:3]
.LBB454_7:                              ;   in Loop: Header=BB454_3 Depth=1
	s_and_not1_saveexec_b32 s2, s2
	s_cbranch_execz .LBB454_2
; %bb.8:                                ;   in Loop: Header=BB454_3 Depth=1
	global_load_b128 v[1:4], v[9:10], off
	s_waitcnt vmcnt(0)
	ds_store_2addr_b64 v34, v[1:2], v[3:4] offset1:1
	s_branch .LBB454_2
.LBB454_9:
	s_clause 0x1
	s_load_b32 s2, s[0:1], 0x60
	s_load_b64 s[4:5], s[0:1], 0x68
	v_add_nc_u32_e32 v4, s13, v28
	v_add_nc_u32_e32 v0, s12, v27
	s_delay_alu instid0(VALU_DEP_1)
	v_cmp_le_i32_e64 s0, v4, v0
	v_cmp_gt_i32_e32 vcc_lo, s24, v0
	s_waitcnt lgkmcnt(0)
	v_mad_i64_i32 v[1:2], null, v4, s2, 0
	s_mul_i32 s1, s15, s5
	s_mul_hi_u32 s3, s15, s4
	s_mul_i32 s4, s15, s4
	s_add_i32 s5, s3, s1
	s_delay_alu instid0(SALU_CYCLE_1) | instskip(NEXT) | instid1(VALU_DEP_1)
	s_lshl_b64 s[4:5], s[4:5], 4
	v_lshlrev_b64 v[1:2], 4, v[1:2]
	s_add_u32 s3, s10, s4
	s_addc_u32 s4, s11, s5
	s_and_b32 s0, s0, vcc_lo
	s_delay_alu instid0(VALU_DEP_1) | instskip(NEXT) | instid1(VALU_DEP_1)
	v_add_co_u32 v5, s1, s3, v1
	v_add_co_ci_u32_e64 v6, s1, s4, v2, s1
	s_and_saveexec_b32 s1, s0
	s_cbranch_execz .LBB454_11
; %bb.10:
	v_ashrrev_i32_e32 v1, 31, v0
	v_mul_f64 v[27:28], s[16:17], v[25:26]
	v_mul_f64 v[25:26], s[18:19], v[25:26]
	s_delay_alu instid0(VALU_DEP_3) | instskip(NEXT) | instid1(VALU_DEP_1)
	v_lshlrev_b64 v[1:2], 4, v[0:1]
	v_add_co_u32 v1, s0, v5, v1
	s_delay_alu instid0(VALU_DEP_1)
	v_add_co_ci_u32_e64 v2, s0, v6, v2, s0
	v_cmp_ne_u32_e64 s0, v4, v0
	global_load_b128 v[7:10], v[1:2], off
	v_fma_f64 v[27:28], s[18:19], v[23:24], v[27:28]
	v_fma_f64 v[23:24], s[16:17], v[23:24], -v[25:26]
	s_waitcnt vmcnt(0)
	v_mul_f64 v[29:30], s[6:7], v[9:10]
	v_mul_f64 v[9:10], s[8:9], v[9:10]
	s_delay_alu instid0(VALU_DEP_2) | instskip(NEXT) | instid1(VALU_DEP_2)
	v_fma_f64 v[29:30], s[8:9], v[7:8], v[29:30]
	v_fma_f64 v[7:8], s[6:7], v[7:8], -v[9:10]
	s_delay_alu instid0(VALU_DEP_2) | instskip(NEXT) | instid1(VALU_DEP_2)
	v_add_f64 v[9:10], v[27:28], v[29:30]
	v_add_f64 v[7:8], v[23:24], v[7:8]
	s_delay_alu instid0(VALU_DEP_2) | instskip(NEXT) | instid1(VALU_DEP_3)
	v_cndmask_b32_e64 v10, 0, v10, s0
	v_cndmask_b32_e64 v9, 0, v9, s0
	global_store_b128 v[1:2], v[7:10], off
.LBB454_11:
	s_or_b32 exec_lo, exec_lo, s1
	v_add_nc_u32_e32 v2, 16, v0
	s_delay_alu instid0(VALU_DEP_1) | instskip(SKIP_1) | instid1(VALU_DEP_1)
	v_cmp_le_i32_e64 s1, v4, v2
	v_cmp_gt_i32_e64 s0, s24, v2
	s_and_b32 s1, s1, s0
	s_delay_alu instid0(SALU_CYCLE_1)
	s_and_saveexec_b32 s5, s1
	s_cbranch_execz .LBB454_13
; %bb.12:
	v_ashrrev_i32_e32 v3, 31, v2
	v_mul_f64 v[23:24], s[16:17], v[21:22]
	v_mul_f64 v[21:22], s[18:19], v[21:22]
	s_delay_alu instid0(VALU_DEP_3) | instskip(NEXT) | instid1(VALU_DEP_1)
	v_lshlrev_b64 v[7:8], 4, v[2:3]
	v_add_co_u32 v9, s1, v5, v7
	s_delay_alu instid0(VALU_DEP_1)
	v_add_co_ci_u32_e64 v10, s1, v6, v8, s1
	v_cmp_ne_u32_e64 s1, v4, v2
	global_load_b128 v[5:8], v[9:10], off
	v_fma_f64 v[23:24], s[18:19], v[19:20], v[23:24]
	v_fma_f64 v[19:20], s[16:17], v[19:20], -v[21:22]
	s_waitcnt vmcnt(0)
	v_mul_f64 v[25:26], s[6:7], v[7:8]
	v_mul_f64 v[7:8], s[8:9], v[7:8]
	s_delay_alu instid0(VALU_DEP_2) | instskip(NEXT) | instid1(VALU_DEP_2)
	v_fma_f64 v[25:26], s[8:9], v[5:6], v[25:26]
	v_fma_f64 v[5:6], s[6:7], v[5:6], -v[7:8]
	s_delay_alu instid0(VALU_DEP_2) | instskip(NEXT) | instid1(VALU_DEP_2)
	v_add_f64 v[7:8], v[23:24], v[25:26]
	v_add_f64 v[5:6], v[19:20], v[5:6]
	s_delay_alu instid0(VALU_DEP_2) | instskip(NEXT) | instid1(VALU_DEP_3)
	v_cndmask_b32_e64 v8, 0, v8, s1
	v_cndmask_b32_e64 v7, 0, v7, s1
	global_store_b128 v[9:10], v[5:8], off
.LBB454_13:
	s_or_b32 exec_lo, exec_lo, s5
	v_add_nc_u32_e32 v3, 16, v4
	s_delay_alu instid0(VALU_DEP_1) | instskip(SKIP_1) | instid1(VALU_DEP_2)
	v_mad_i64_i32 v[5:6], null, v3, s2, 0
	v_cmp_le_i32_e64 s1, v3, v0
	v_lshlrev_b64 v[5:6], 4, v[5:6]
	s_delay_alu instid0(VALU_DEP_1) | instskip(NEXT) | instid1(VALU_DEP_1)
	v_add_co_u32 v5, s2, s3, v5
	v_add_co_ci_u32_e64 v6, s2, s4, v6, s2
	s_delay_alu instid0(VALU_DEP_4) | instskip(NEXT) | instid1(SALU_CYCLE_1)
	s_and_b32 s2, s1, vcc_lo
	s_and_saveexec_b32 s1, s2
	s_cbranch_execz .LBB454_15
; %bb.14:
	v_ashrrev_i32_e32 v1, 31, v0
	v_mul_f64 v[21:22], s[16:17], v[17:18]
	v_mul_f64 v[17:18], s[18:19], v[17:18]
	s_delay_alu instid0(VALU_DEP_3) | instskip(NEXT) | instid1(VALU_DEP_1)
	v_lshlrev_b64 v[7:8], 4, v[0:1]
	v_add_co_u32 v19, vcc_lo, v5, v7
	s_delay_alu instid0(VALU_DEP_2)
	v_add_co_ci_u32_e32 v20, vcc_lo, v6, v8, vcc_lo
	v_cmp_ne_u32_e32 vcc_lo, v3, v0
	global_load_b128 v[7:10], v[19:20], off
	v_fma_f64 v[21:22], s[18:19], v[15:16], v[21:22]
	v_fma_f64 v[15:16], s[16:17], v[15:16], -v[17:18]
	s_waitcnt vmcnt(0)
	v_mul_f64 v[23:24], s[6:7], v[9:10]
	v_mul_f64 v[9:10], s[8:9], v[9:10]
	s_delay_alu instid0(VALU_DEP_2) | instskip(NEXT) | instid1(VALU_DEP_2)
	v_fma_f64 v[23:24], s[8:9], v[7:8], v[23:24]
	v_fma_f64 v[7:8], s[6:7], v[7:8], -v[9:10]
	s_delay_alu instid0(VALU_DEP_2) | instskip(NEXT) | instid1(VALU_DEP_2)
	v_add_f64 v[9:10], v[21:22], v[23:24]
	v_add_f64 v[7:8], v[15:16], v[7:8]
	s_delay_alu instid0(VALU_DEP_2)
	v_dual_cndmask_b32 v10, 0, v10 :: v_dual_cndmask_b32 v9, 0, v9
	global_store_b128 v[19:20], v[7:10], off
.LBB454_15:
	s_or_b32 exec_lo, exec_lo, s1
	v_cmp_le_i32_e32 vcc_lo, v3, v2
	s_and_b32 s0, vcc_lo, s0
	s_delay_alu instid0(SALU_CYCLE_1)
	s_and_saveexec_b32 s1, s0
	s_cbranch_execz .LBB454_17
; %bb.16:
	v_ashrrev_i32_e32 v3, 31, v2
	s_delay_alu instid0(VALU_DEP_1) | instskip(NEXT) | instid1(VALU_DEP_1)
	v_lshlrev_b64 v[1:2], 4, v[2:3]
	v_add_co_u32 v9, vcc_lo, v5, v1
	s_delay_alu instid0(VALU_DEP_2)
	v_add_co_ci_u32_e32 v10, vcc_lo, v6, v2, vcc_lo
	v_mul_f64 v[1:2], s[16:17], v[13:14]
	v_mul_f64 v[13:14], s[18:19], v[13:14]
	v_cmp_ne_u32_e32 vcc_lo, v4, v0
	global_load_b128 v[5:8], v[9:10], off
	v_fma_f64 v[1:2], s[18:19], v[11:12], v[1:2]
	v_fma_f64 v[11:12], s[16:17], v[11:12], -v[13:14]
	s_waitcnt vmcnt(0)
	v_mul_f64 v[15:16], s[6:7], v[7:8]
	v_mul_f64 v[7:8], s[8:9], v[7:8]
	s_delay_alu instid0(VALU_DEP_2) | instskip(NEXT) | instid1(VALU_DEP_2)
	v_fma_f64 v[15:16], s[8:9], v[5:6], v[15:16]
	v_fma_f64 v[5:6], s[6:7], v[5:6], -v[7:8]
	s_delay_alu instid0(VALU_DEP_2) | instskip(NEXT) | instid1(VALU_DEP_2)
	v_add_f64 v[7:8], v[1:2], v[15:16]
	v_add_f64 v[1:2], v[11:12], v[5:6]
	s_delay_alu instid0(VALU_DEP_2)
	v_dual_cndmask_b32 v4, 0, v8 :: v_dual_cndmask_b32 v3, 0, v7
	global_store_b128 v[9:10], v[1:4], off
.LBB454_17:
	s_nop 0
	s_sendmsg sendmsg(MSG_DEALLOC_VGPRS)
	s_endpgm
	.section	.rodata,"a",@progbits
	.p2align	6, 0x0
	.amdhsa_kernel _ZL34rocblas_syrkx_herkx_general_kernelIi19rocblas_complex_numIdELi16ELi32ELi8ELb0ELb1ELc67ELc76EKS1_S1_EviT_T0_PT8_S3_lS6_S3_lS4_PT9_S3_li
		.amdhsa_group_segment_fixed_size 8192
		.amdhsa_private_segment_fixed_size 0
		.amdhsa_kernarg_size 116
		.amdhsa_user_sgpr_count 13
		.amdhsa_user_sgpr_dispatch_ptr 0
		.amdhsa_user_sgpr_queue_ptr 0
		.amdhsa_user_sgpr_kernarg_segment_ptr 1
		.amdhsa_user_sgpr_dispatch_id 0
		.amdhsa_user_sgpr_private_segment_size 0
		.amdhsa_wavefront_size32 1
		.amdhsa_uses_dynamic_stack 0
		.amdhsa_enable_private_segment 0
		.amdhsa_system_sgpr_workgroup_id_x 1
		.amdhsa_system_sgpr_workgroup_id_y 1
		.amdhsa_system_sgpr_workgroup_id_z 1
		.amdhsa_system_sgpr_workgroup_info 0
		.amdhsa_system_vgpr_workitem_id 1
		.amdhsa_next_free_vgpr 121
		.amdhsa_next_free_sgpr 29
		.amdhsa_reserve_vcc 1
		.amdhsa_float_round_mode_32 0
		.amdhsa_float_round_mode_16_64 0
		.amdhsa_float_denorm_mode_32 3
		.amdhsa_float_denorm_mode_16_64 3
		.amdhsa_dx10_clamp 1
		.amdhsa_ieee_mode 1
		.amdhsa_fp16_overflow 0
		.amdhsa_workgroup_processor_mode 1
		.amdhsa_memory_ordered 1
		.amdhsa_forward_progress 0
		.amdhsa_shared_vgpr_count 0
		.amdhsa_exception_fp_ieee_invalid_op 0
		.amdhsa_exception_fp_denorm_src 0
		.amdhsa_exception_fp_ieee_div_zero 0
		.amdhsa_exception_fp_ieee_overflow 0
		.amdhsa_exception_fp_ieee_underflow 0
		.amdhsa_exception_fp_ieee_inexact 0
		.amdhsa_exception_int_div_zero 0
	.end_amdhsa_kernel
	.section	.text._ZL34rocblas_syrkx_herkx_general_kernelIi19rocblas_complex_numIdELi16ELi32ELi8ELb0ELb1ELc67ELc76EKS1_S1_EviT_T0_PT8_S3_lS6_S3_lS4_PT9_S3_li,"axG",@progbits,_ZL34rocblas_syrkx_herkx_general_kernelIi19rocblas_complex_numIdELi16ELi32ELi8ELb0ELb1ELc67ELc76EKS1_S1_EviT_T0_PT8_S3_lS6_S3_lS4_PT9_S3_li,comdat
.Lfunc_end454:
	.size	_ZL34rocblas_syrkx_herkx_general_kernelIi19rocblas_complex_numIdELi16ELi32ELi8ELb0ELb1ELc67ELc76EKS1_S1_EviT_T0_PT8_S3_lS6_S3_lS4_PT9_S3_li, .Lfunc_end454-_ZL34rocblas_syrkx_herkx_general_kernelIi19rocblas_complex_numIdELi16ELi32ELi8ELb0ELb1ELc67ELc76EKS1_S1_EviT_T0_PT8_S3_lS6_S3_lS4_PT9_S3_li
                                        ; -- End function
	.section	.AMDGPU.csdata,"",@progbits
; Kernel info:
; codeLenInByte = 3616
; NumSgprs: 31
; NumVgprs: 121
; ScratchSize: 0
; MemoryBound: 1
; FloatMode: 240
; IeeeMode: 1
; LDSByteSize: 8192 bytes/workgroup (compile time only)
; SGPRBlocks: 3
; VGPRBlocks: 15
; NumSGPRsForWavesPerEU: 31
; NumVGPRsForWavesPerEU: 121
; Occupancy: 10
; WaveLimiterHint : 0
; COMPUTE_PGM_RSRC2:SCRATCH_EN: 0
; COMPUTE_PGM_RSRC2:USER_SGPR: 13
; COMPUTE_PGM_RSRC2:TRAP_HANDLER: 0
; COMPUTE_PGM_RSRC2:TGID_X_EN: 1
; COMPUTE_PGM_RSRC2:TGID_Y_EN: 1
; COMPUTE_PGM_RSRC2:TGID_Z_EN: 1
; COMPUTE_PGM_RSRC2:TIDIG_COMP_CNT: 1
	.section	.text._ZL34rocblas_syrkx_herkx_general_kernelIi19rocblas_complex_numIdELi16ELi32ELi8ELb0ELb1ELc78ELc76EKS1_S1_EviT_T0_PT8_S3_lS6_S3_lS4_PT9_S3_li,"axG",@progbits,_ZL34rocblas_syrkx_herkx_general_kernelIi19rocblas_complex_numIdELi16ELi32ELi8ELb0ELb1ELc78ELc76EKS1_S1_EviT_T0_PT8_S3_lS6_S3_lS4_PT9_S3_li,comdat
	.globl	_ZL34rocblas_syrkx_herkx_general_kernelIi19rocblas_complex_numIdELi16ELi32ELi8ELb0ELb1ELc78ELc76EKS1_S1_EviT_T0_PT8_S3_lS6_S3_lS4_PT9_S3_li ; -- Begin function _ZL34rocblas_syrkx_herkx_general_kernelIi19rocblas_complex_numIdELi16ELi32ELi8ELb0ELb1ELc78ELc76EKS1_S1_EviT_T0_PT8_S3_lS6_S3_lS4_PT9_S3_li
	.p2align	8
	.type	_ZL34rocblas_syrkx_herkx_general_kernelIi19rocblas_complex_numIdELi16ELi32ELi8ELb0ELb1ELc78ELc76EKS1_S1_EviT_T0_PT8_S3_lS6_S3_lS4_PT9_S3_li,@function
_ZL34rocblas_syrkx_herkx_general_kernelIi19rocblas_complex_numIdELi16ELi32ELi8ELb0ELb1ELc78ELc76EKS1_S1_EviT_T0_PT8_S3_lS6_S3_lS4_PT9_S3_li: ; @_ZL34rocblas_syrkx_herkx_general_kernelIi19rocblas_complex_numIdELi16ELi32ELi8ELb0ELb1ELc78ELc76EKS1_S1_EviT_T0_PT8_S3_lS6_S3_lS4_PT9_S3_li
; %bb.0:
	s_clause 0x3
	s_load_b64 s[24:25], s[0:1], 0x0
	s_load_b128 s[16:19], s[0:1], 0x8
	s_load_b64 s[26:27], s[0:1], 0x18
	s_load_b256 s[4:11], s[0:1], 0x40
	v_mov_b32_e32 v21, 0
	v_dual_mov_b32 v22, 0 :: v_dual_and_b32 v25, 0x3ff, v0
	v_bfe_u32 v26, v0, 10, 10
	s_delay_alu instid0(VALU_DEP_3) | instskip(NEXT) | instid1(VALU_DEP_3)
	v_mov_b32_e32 v17, v21
	v_dual_mov_b32 v19, v21 :: v_dual_mov_b32 v20, v22
	v_dual_mov_b32 v24, v22 :: v_dual_mov_b32 v23, v21
	v_dual_mov_b32 v18, v22 :: v_dual_mov_b32 v13, v21
	v_dual_mov_b32 v14, v22 :: v_dual_mov_b32 v15, v21
	v_dual_mov_b32 v16, v22 :: v_dual_mov_b32 v11, v21
	v_dual_mov_b32 v12, v22 :: v_dual_mov_b32 v9, v21
	v_mov_b32_e32 v10, v22
	s_lshl_b32 s30, s13, 5
	s_lshl_b32 s14, s14, 5
	s_waitcnt lgkmcnt(0)
	s_cmp_lt_i32 s25, 1
	s_mov_b32 s31, 0
	s_cbranch_scc1 .LBB455_9
; %bb.1:
	s_load_b32 s12, s[0:1], 0x20
	v_lshl_add_u32 v0, v26, 4, v25
	s_clause 0x1
	s_load_b128 s[20:23], s[0:1], 0x28
	s_load_b32 s28, s[0:1], 0x38
	v_and_b32_e32 v27, 7, v25
	v_dual_mov_b32 v9, 0 :: v_dual_lshlrev_b32 v28, 4, v25
	v_and_b32_e32 v1, 31, v0
	v_lshrrev_b32_e32 v2, 3, v0
	v_lshrrev_b32_e32 v30, 5, v0
	v_dual_mov_b32 v10, 0 :: v_dual_lshlrev_b32 v3, 4, v27
	s_delay_alu instid0(VALU_DEP_4) | instskip(SKIP_2) | instid1(VALU_DEP_4)
	v_or_b32_e32 v4, s30, v1
	v_lshlrev_b32_e32 v5, 4, v1
	v_add_nc_u32_e32 v0, s14, v2
	v_dual_mov_b32 v12, v10 :: v_dual_mov_b32 v11, v9
	v_lshl_or_b32 v6, v2, 7, v3
	v_cmp_gt_i32_e64 s2, s24, v4
	v_mov_b32_e32 v16, v10
	v_lshl_or_b32 v31, v30, 9, v5
	s_waitcnt lgkmcnt(0)
	v_mad_i64_i32 v[3:4], null, v30, s12, 0
	s_mul_i32 s3, s21, s15
	s_mul_hi_u32 s21, s20, s15
	v_add_nc_u32_e32 v32, 0x1000, v6
	v_mad_i64_i32 v[5:6], null, s28, v27, 0
	v_dual_mov_b32 v15, v9 :: v_dual_add_nc_u32 v2, s30, v1
	s_delay_alu instid0(VALU_DEP_4)
	v_lshlrev_b64 v[3:4], 4, v[3:4]
	s_mul_i32 s20, s20, s15
	s_add_i32 s21, s21, s3
	v_ashrrev_i32_e32 v1, 31, v0
	s_lshl_b64 s[20:21], s[20:21], 4
	v_cmp_gt_i32_e32 vcc_lo, s24, v0
	v_add_co_u32 v7, s3, v3, s20
	v_ashrrev_i32_e32 v3, 31, v2
	v_add_co_ci_u32_e64 v8, s3, s21, v4, s3
	s_mul_i32 s3, s5, s15
	s_mul_hi_u32 s5, s4, s15
	v_lshlrev_b64 v[4:5], 4, v[5:6]
	s_add_i32 s5, s5, s3
	s_mul_i32 s4, s4, s15
	v_lshlrev_b64 v[2:3], 4, v[2:3]
	s_lshl_b64 s[4:5], s[4:5], 4
	v_lshlrev_b64 v[0:1], 4, v[0:1]
	v_add_co_u32 v4, s3, s4, v4
	s_delay_alu instid0(VALU_DEP_1) | instskip(NEXT) | instid1(VALU_DEP_4)
	v_add_co_ci_u32_e64 v5, s3, s5, v5, s3
	v_add_co_u32 v2, s3, v7, v2
	s_delay_alu instid0(VALU_DEP_1) | instskip(NEXT) | instid1(VALU_DEP_4)
	v_add_co_ci_u32_e64 v3, s3, v8, v3, s3
	;; [unrolled: 3-line block ×4, first 2 shown]
	v_add_co_u32 v0, s3, v0, s22
	s_delay_alu instid0(VALU_DEP_1) | instskip(SKIP_1) | instid1(VALU_DEP_3)
	v_add_co_ci_u32_e64 v1, s3, s23, v1, s3
	v_mov_b32_e32 v14, v10
	v_add_co_u32 v7, s3, v0, 8
	v_mov_b32_e32 v20, v10
	v_mov_b32_e32 v18, v10
	;; [unrolled: 1-line block ×3, first 2 shown]
	v_dual_mov_b32 v22, v10 :: v_dual_mov_b32 v21, v9
	v_lshl_add_u32 v29, v26, 7, 0x1000
	v_add_co_ci_u32_e64 v8, s3, 0, v1, s3
	v_dual_mov_b32 v0, 0 :: v_dual_mov_b32 v13, v9
	v_mov_b32_e32 v19, v9
	v_mov_b32_e32 v17, v9
	;; [unrolled: 1-line block ×3, first 2 shown]
	s_ashr_i32 s13, s12, 31
	s_ashr_i32 s29, s28, 31
	s_lshl_b64 s[4:5], s[12:13], 7
	s_lshl_b64 s[12:13], s[28:29], 7
	s_xor_b32 s3, s2, -1
	s_branch .LBB455_3
.LBB455_2:                              ;   in Loop: Header=BB455_3 Depth=1
	s_or_b32 exec_lo, exec_lo, s2
	ds_store_b128 v32, v[1:4]
	s_waitcnt lgkmcnt(0)
	s_barrier
	buffer_gl0_inv
	ds_load_b128 v[1:4], v29
	ds_load_b128 v[33:36], v28
	ds_load_b128 v[37:40], v28 offset:256
	ds_load_b128 v[41:44], v29 offset:2048
	;; [unrolled: 1-line block ×9, first 2 shown]
	v_add_co_u32 v5, s2, v5, s4
	s_delay_alu instid0(VALU_DEP_1) | instskip(SKIP_1) | instid1(VALU_DEP_1)
	v_add_co_ci_u32_e64 v6, s2, s5, v6, s2
	v_add_co_u32 v7, s2, v7, s12
	v_add_co_ci_u32_e64 v8, s2, s13, v8, s2
	s_add_i32 s31, s31, 8
	s_delay_alu instid0(SALU_CYCLE_1)
	s_cmp_ge_i32 s31, s25
	s_waitcnt lgkmcnt(9)
	v_mul_f64 v[73:74], v[3:4], v[35:36]
	v_mul_f64 v[75:76], v[1:2], v[35:36]
	s_waitcnt lgkmcnt(8)
	v_mul_f64 v[77:78], v[3:4], v[39:40]
	v_mul_f64 v[79:80], v[1:2], v[39:40]
	;; [unrolled: 3-line block ×3, first 2 shown]
	v_mul_f64 v[83:84], v[43:44], v[39:40]
	v_mul_f64 v[39:40], v[41:42], v[39:40]
	s_waitcnt lgkmcnt(4)
	v_mul_f64 v[85:86], v[47:48], v[55:56]
	v_mul_f64 v[87:88], v[45:46], v[55:56]
	s_waitcnt lgkmcnt(3)
	v_mul_f64 v[89:90], v[47:48], v[59:60]
	v_mul_f64 v[91:92], v[45:46], v[59:60]
	;; [unrolled: 1-line block ×6, first 2 shown]
	v_fma_f64 v[97:98], v[1:2], v[33:34], -v[73:74]
	v_fma_f64 v[99:100], v[3:4], v[33:34], v[75:76]
	ds_load_b128 v[73:76], v29 offset:32
	v_fma_f64 v[77:78], v[1:2], v[37:38], -v[77:78]
	v_fma_f64 v[79:80], v[3:4], v[37:38], v[79:80]
	v_fma_f64 v[81:82], v[41:42], v[33:34], -v[81:82]
	v_fma_f64 v[101:102], v[43:44], v[33:34], v[35:36]
	;; [unrolled: 2-line block ×3, first 2 shown]
	s_waitcnt lgkmcnt(1)
	v_mul_f64 v[113:114], v[71:72], v[63:64]
	v_fma_f64 v[85:86], v[45:46], v[53:54], -v[85:86]
	v_fma_f64 v[87:88], v[47:48], v[53:54], v[87:88]
	v_fma_f64 v[45:46], v[45:46], v[57:58], -v[89:90]
	v_fma_f64 v[47:48], v[47:48], v[57:58], v[91:92]
	v_mul_f64 v[89:90], v[71:72], v[67:68]
	v_fma_f64 v[91:92], v[49:50], v[53:54], -v[93:94]
	v_fma_f64 v[53:54], v[51:52], v[53:54], v[55:56]
	v_fma_f64 v[49:50], v[49:50], v[57:58], -v[95:96]
	v_fma_f64 v[51:52], v[51:52], v[57:58], v[59:60]
	ds_load_b128 v[1:4], v29 offset:48
	ds_load_b128 v[33:36], v29 offset:2096
	;; [unrolled: 1-line block ×4, first 2 shown]
	s_waitcnt lgkmcnt(4)
	v_mul_f64 v[105:106], v[75:76], v[63:64]
	v_mul_f64 v[107:108], v[73:74], v[63:64]
	;; [unrolled: 1-line block ×6, first 2 shown]
	s_waitcnt lgkmcnt(1)
	v_mul_f64 v[93:94], v[1:2], v[39:40]
	v_add_f64 v[21:22], v[21:22], v[97:98]
	v_add_f64 v[23:24], v[23:24], v[99:100]
	;; [unrolled: 1-line block ×8, first 2 shown]
	v_mul_f64 v[83:84], v[3:4], v[39:40]
	s_waitcnt lgkmcnt(0)
	v_mul_f64 v[95:96], v[3:4], v[43:44]
	v_mul_f64 v[97:98], v[1:2], v[43:44]
	;; [unrolled: 1-line block ×6, first 2 shown]
	ds_load_b128 v[9:12], v28 offset:2048
	ds_load_b128 v[13:16], v28 offset:2304
	;; [unrolled: 1-line block ×3, first 2 shown]
	v_fma_f64 v[105:106], v[73:74], v[61:62], -v[105:106]
	v_fma_f64 v[107:108], v[75:76], v[61:62], v[107:108]
	v_fma_f64 v[73:74], v[73:74], v[65:66], -v[109:110]
	v_fma_f64 v[75:76], v[75:76], v[65:66], v[111:112]
	;; [unrolled: 2-line block ×4, first 2 shown]
	s_waitcnt lgkmcnt(0)
	v_mul_f64 v[113:114], v[19:20], v[11:12]
	v_mul_f64 v[115:116], v[19:20], v[15:16]
	v_fma_f64 v[93:94], v[3:4], v[37:38], v[93:94]
	v_add_f64 v[67:68], v[21:22], v[85:86]
	v_add_f64 v[69:70], v[23:24], v[87:88]
	;; [unrolled: 1-line block ×8, first 2 shown]
	ds_load_b128 v[21:24], v29 offset:64
	v_fma_f64 v[83:84], v[1:2], v[37:38], -v[83:84]
	v_fma_f64 v[95:96], v[1:2], v[41:42], -v[95:96]
	v_fma_f64 v[97:98], v[3:4], v[41:42], v[97:98]
	v_fma_f64 v[99:100], v[33:34], v[37:38], -v[99:100]
	v_fma_f64 v[117:118], v[35:36], v[37:38], v[39:40]
	;; [unrolled: 2-line block ×3, first 2 shown]
	ds_load_b128 v[43:46], v29 offset:80
	ds_load_b128 v[47:50], v29 offset:2128
	;; [unrolled: 1-line block ×7, first 2 shown]
	s_waitcnt lgkmcnt(7)
	v_mul_f64 v[87:88], v[23:24], v[11:12]
	v_mul_f64 v[89:90], v[21:22], v[11:12]
	;; [unrolled: 1-line block ×6, first 2 shown]
	s_waitcnt lgkmcnt(3)
	v_mul_f64 v[103:104], v[49:50], v[57:58]
	v_add_f64 v[67:68], v[67:68], v[105:106]
	v_add_f64 v[69:70], v[69:70], v[107:108]
	;; [unrolled: 1-line block ×8, first 2 shown]
	v_mul_f64 v[75:76], v[45:46], v[53:54]
	v_mul_f64 v[77:78], v[43:44], v[53:54]
	;; [unrolled: 1-line block ×7, first 2 shown]
	v_fma_f64 v[109:110], v[17:18], v[9:10], -v[113:114]
	v_fma_f64 v[113:114], v[17:18], v[13:14], -v[115:116]
	;; [unrolled: 1-line block ×3, first 2 shown]
	v_fma_f64 v[89:90], v[23:24], v[9:10], v[89:90]
	v_fma_f64 v[91:92], v[21:22], v[13:14], -v[91:92]
	v_fma_f64 v[107:108], v[23:24], v[13:14], v[111:112]
	v_fma_f64 v[111:112], v[19:20], v[9:10], v[11:12]
	;; [unrolled: 1-line block ×3, first 2 shown]
	ds_load_b128 v[9:12], v29 offset:96
	v_add_f64 v[67:68], v[67:68], v[83:84]
	v_add_f64 v[69:70], v[69:70], v[93:94]
	;; [unrolled: 1-line block ×8, first 2 shown]
	s_waitcnt lgkmcnt(1)
	v_mul_f64 v[99:100], v[39:40], v[3:4]
	v_fma_f64 v[75:76], v[43:44], v[51:52], -v[75:76]
	v_fma_f64 v[77:78], v[45:46], v[51:52], v[77:78]
	v_fma_f64 v[43:44], v[43:44], v[55:56], -v[79:80]
	v_fma_f64 v[45:46], v[45:46], v[55:56], v[81:82]
	v_mul_f64 v[79:80], v[39:40], v[35:36]
	v_fma_f64 v[81:82], v[47:48], v[51:52], -v[85:86]
	v_fma_f64 v[51:52], v[49:50], v[51:52], v[53:54]
	s_waitcnt lgkmcnt(0)
	v_mul_f64 v[65:66], v[11:12], v[3:4]
	v_mul_f64 v[93:94], v[9:10], v[3:4]
	;; [unrolled: 1-line block ×6, first 2 shown]
	v_fma_f64 v[47:48], v[47:48], v[55:56], -v[103:104]
	v_fma_f64 v[49:50], v[49:50], v[55:56], v[105:106]
	ds_load_b128 v[13:16], v29 offset:112
	ds_load_b128 v[17:20], v29 offset:2160
	;; [unrolled: 1-line block ×4, first 2 shown]
	s_waitcnt lgkmcnt(0)
	s_barrier
	buffer_gl0_inv
	v_add_f64 v[53:54], v[67:68], v[87:88]
	v_add_f64 v[55:56], v[69:70], v[89:90]
	;; [unrolled: 1-line block ×8, first 2 shown]
	v_mul_f64 v[73:74], v[15:16], v[23:24]
	v_mul_f64 v[83:84], v[13:14], v[23:24]
	;; [unrolled: 1-line block ×8, first 2 shown]
	v_fma_f64 v[65:66], v[9:10], v[1:2], -v[65:66]
	v_fma_f64 v[93:94], v[11:12], v[1:2], v[93:94]
	v_fma_f64 v[9:10], v[9:10], v[33:34], -v[95:96]
	v_fma_f64 v[11:12], v[11:12], v[33:34], v[97:98]
	;; [unrolled: 2-line block ×4, first 2 shown]
	v_add_f64 v[35:36], v[53:54], v[75:76]
	v_add_f64 v[37:38], v[55:56], v[77:78]
	;; [unrolled: 1-line block ×8, first 2 shown]
	v_fma_f64 v[49:50], v[13:14], v[21:22], -v[73:74]
	v_fma_f64 v[53:54], v[15:16], v[21:22], v[83:84]
	v_fma_f64 v[13:14], v[13:14], v[57:58], -v[85:86]
	v_fma_f64 v[15:16], v[15:16], v[57:58], v[87:88]
	;; [unrolled: 2-line block ×4, first 2 shown]
	v_add_f64 v[17:18], v[35:36], v[65:66]
	v_add_f64 v[19:20], v[37:38], v[93:94]
	;; [unrolled: 1-line block ×16, first 2 shown]
	s_cbranch_scc1 .LBB455_9
.LBB455_3:                              ; =>This Inner Loop Header: Depth=1
	v_add_nc_u32_e32 v1, s31, v30
	s_delay_alu instid0(VALU_DEP_1) | instskip(NEXT) | instid1(VALU_DEP_1)
	v_cmp_le_i32_e64 s2, s25, v1
	s_or_b32 s2, s3, s2
	s_delay_alu instid0(SALU_CYCLE_1) | instskip(NEXT) | instid1(SALU_CYCLE_1)
	s_and_saveexec_b32 s20, s2
	s_xor_b32 s2, exec_lo, s20
	s_cbranch_execz .LBB455_5
; %bb.4:                                ;   in Loop: Header=BB455_3 Depth=1
	v_mov_b32_e32 v1, v0
	v_mov_b32_e32 v2, v0
	;; [unrolled: 1-line block ×3, first 2 shown]
	ds_store_b128 v31, v[0:3]
.LBB455_5:                              ;   in Loop: Header=BB455_3 Depth=1
	s_and_not1_saveexec_b32 s2, s2
	s_cbranch_execz .LBB455_7
; %bb.6:                                ;   in Loop: Header=BB455_3 Depth=1
	global_load_b128 v[1:4], v[5:6], off
	s_waitcnt vmcnt(0)
	ds_store_2addr_b64 v31, v[1:2], v[3:4] offset1:1
.LBB455_7:                              ;   in Loop: Header=BB455_3 Depth=1
	s_or_b32 exec_lo, exec_lo, s2
	v_add_nc_u32_e32 v3, s31, v27
	v_mov_b32_e32 v1, 0
	v_mov_b32_e32 v2, 0
	s_delay_alu instid0(VALU_DEP_3) | instskip(NEXT) | instid1(VALU_DEP_2)
	v_cmp_gt_i32_e64 s2, s25, v3
	v_dual_mov_b32 v4, v2 :: v_dual_mov_b32 v3, v1
	s_delay_alu instid0(VALU_DEP_2) | instskip(NEXT) | instid1(SALU_CYCLE_1)
	s_and_b32 s20, s2, vcc_lo
	s_and_saveexec_b32 s2, s20
	s_cbranch_execz .LBB455_2
; %bb.8:                                ;   in Loop: Header=BB455_3 Depth=1
	global_load_b128 v[1:4], v[7:8], off offset:-8
	s_waitcnt vmcnt(0)
	v_xor_b32_e32 v4, 0x80000000, v4
	s_branch .LBB455_2
.LBB455_9:
	s_clause 0x1
	s_load_b32 s2, s[0:1], 0x60
	s_load_b64 s[4:5], s[0:1], 0x68
	v_add_nc_u32_e32 v4, s14, v26
	v_add_nc_u32_e32 v0, s30, v25
	s_delay_alu instid0(VALU_DEP_1)
	v_cmp_le_i32_e64 s0, v4, v0
	v_cmp_gt_i32_e32 vcc_lo, s24, v0
	s_waitcnt lgkmcnt(0)
	v_mad_i64_i32 v[1:2], null, v4, s2, 0
	s_mul_i32 s1, s15, s5
	s_mul_hi_u32 s3, s15, s4
	s_mul_i32 s4, s15, s4
	s_add_i32 s5, s3, s1
	s_delay_alu instid0(SALU_CYCLE_1) | instskip(NEXT) | instid1(VALU_DEP_1)
	s_lshl_b64 s[4:5], s[4:5], 4
	v_lshlrev_b64 v[1:2], 4, v[1:2]
	s_add_u32 s3, s10, s4
	s_addc_u32 s4, s11, s5
	s_and_b32 s0, s0, vcc_lo
	s_delay_alu instid0(VALU_DEP_1) | instskip(NEXT) | instid1(VALU_DEP_1)
	v_add_co_u32 v5, s1, s3, v1
	v_add_co_ci_u32_e64 v6, s1, s4, v2, s1
	s_and_saveexec_b32 s1, s0
	s_cbranch_execz .LBB455_11
; %bb.10:
	v_ashrrev_i32_e32 v1, 31, v0
	v_mul_f64 v[7:8], s[16:17], v[23:24]
	v_mul_f64 v[23:24], s[18:19], v[23:24]
	s_delay_alu instid0(VALU_DEP_3) | instskip(NEXT) | instid1(VALU_DEP_1)
	v_lshlrev_b64 v[1:2], 4, v[0:1]
	v_add_co_u32 v1, s0, v5, v1
	s_delay_alu instid0(VALU_DEP_1)
	v_add_co_ci_u32_e64 v2, s0, v6, v2, s0
	v_cmp_ne_u32_e64 s0, v4, v0
	global_load_b128 v[25:28], v[1:2], off
	v_fma_f64 v[7:8], s[18:19], v[21:22], v[7:8]
	v_fma_f64 v[21:22], s[16:17], v[21:22], -v[23:24]
	s_waitcnt vmcnt(0)
	v_mul_f64 v[29:30], s[6:7], v[27:28]
	v_mul_f64 v[27:28], s[8:9], v[27:28]
	s_delay_alu instid0(VALU_DEP_2) | instskip(NEXT) | instid1(VALU_DEP_2)
	v_fma_f64 v[29:30], s[8:9], v[25:26], v[29:30]
	v_fma_f64 v[23:24], s[6:7], v[25:26], -v[27:28]
	s_delay_alu instid0(VALU_DEP_2) | instskip(NEXT) | instid1(VALU_DEP_2)
	v_add_f64 v[7:8], v[7:8], v[29:30]
	v_add_f64 v[21:22], v[21:22], v[23:24]
	s_delay_alu instid0(VALU_DEP_2) | instskip(NEXT) | instid1(VALU_DEP_3)
	v_cndmask_b32_e64 v24, 0, v8, s0
	v_cndmask_b32_e64 v23, 0, v7, s0
	global_store_b128 v[1:2], v[21:24], off
.LBB455_11:
	s_or_b32 exec_lo, exec_lo, s1
	v_add_nc_u32_e32 v2, 16, v0
	s_delay_alu instid0(VALU_DEP_1) | instskip(SKIP_1) | instid1(VALU_DEP_1)
	v_cmp_le_i32_e64 s1, v4, v2
	v_cmp_gt_i32_e64 s0, s24, v2
	s_and_b32 s1, s1, s0
	s_delay_alu instid0(SALU_CYCLE_1)
	s_and_saveexec_b32 s5, s1
	s_cbranch_execz .LBB455_13
; %bb.12:
	v_ashrrev_i32_e32 v3, 31, v2
	v_mul_f64 v[23:24], s[16:17], v[19:20]
	v_mul_f64 v[19:20], s[18:19], v[19:20]
	s_delay_alu instid0(VALU_DEP_3) | instskip(NEXT) | instid1(VALU_DEP_1)
	v_lshlrev_b64 v[7:8], 4, v[2:3]
	v_add_co_u32 v21, s1, v5, v7
	s_delay_alu instid0(VALU_DEP_1)
	v_add_co_ci_u32_e64 v22, s1, v6, v8, s1
	v_cmp_ne_u32_e64 s1, v4, v2
	global_load_b128 v[5:8], v[21:22], off
	v_fma_f64 v[23:24], s[18:19], v[17:18], v[23:24]
	v_fma_f64 v[17:18], s[16:17], v[17:18], -v[19:20]
	s_waitcnt vmcnt(0)
	v_mul_f64 v[25:26], s[6:7], v[7:8]
	v_mul_f64 v[7:8], s[8:9], v[7:8]
	s_delay_alu instid0(VALU_DEP_2) | instskip(NEXT) | instid1(VALU_DEP_2)
	v_fma_f64 v[25:26], s[8:9], v[5:6], v[25:26]
	v_fma_f64 v[5:6], s[6:7], v[5:6], -v[7:8]
	s_delay_alu instid0(VALU_DEP_2) | instskip(NEXT) | instid1(VALU_DEP_2)
	v_add_f64 v[7:8], v[23:24], v[25:26]
	v_add_f64 v[5:6], v[17:18], v[5:6]
	s_delay_alu instid0(VALU_DEP_2) | instskip(NEXT) | instid1(VALU_DEP_3)
	v_cndmask_b32_e64 v8, 0, v8, s1
	v_cndmask_b32_e64 v7, 0, v7, s1
	global_store_b128 v[21:22], v[5:8], off
.LBB455_13:
	s_or_b32 exec_lo, exec_lo, s5
	v_add_nc_u32_e32 v3, 16, v4
	s_delay_alu instid0(VALU_DEP_1) | instskip(SKIP_1) | instid1(VALU_DEP_2)
	v_mad_i64_i32 v[5:6], null, v3, s2, 0
	v_cmp_le_i32_e64 s1, v3, v0
	v_lshlrev_b64 v[5:6], 4, v[5:6]
	s_delay_alu instid0(VALU_DEP_1) | instskip(NEXT) | instid1(VALU_DEP_1)
	v_add_co_u32 v5, s2, s3, v5
	v_add_co_ci_u32_e64 v6, s2, s4, v6, s2
	s_delay_alu instid0(VALU_DEP_4) | instskip(NEXT) | instid1(SALU_CYCLE_1)
	s_and_b32 s2, s1, vcc_lo
	s_and_saveexec_b32 s1, s2
	s_cbranch_execz .LBB455_15
; %bb.14:
	v_ashrrev_i32_e32 v1, 31, v0
	v_mul_f64 v[21:22], s[16:17], v[15:16]
	v_mul_f64 v[15:16], s[18:19], v[15:16]
	s_delay_alu instid0(VALU_DEP_3) | instskip(NEXT) | instid1(VALU_DEP_1)
	v_lshlrev_b64 v[7:8], 4, v[0:1]
	v_add_co_u32 v7, vcc_lo, v5, v7
	s_delay_alu instid0(VALU_DEP_2)
	v_add_co_ci_u32_e32 v8, vcc_lo, v6, v8, vcc_lo
	v_cmp_ne_u32_e32 vcc_lo, v3, v0
	global_load_b128 v[17:20], v[7:8], off
	v_fma_f64 v[21:22], s[18:19], v[13:14], v[21:22]
	v_fma_f64 v[13:14], s[16:17], v[13:14], -v[15:16]
	s_waitcnt vmcnt(0)
	v_mul_f64 v[23:24], s[6:7], v[19:20]
	v_mul_f64 v[19:20], s[8:9], v[19:20]
	s_delay_alu instid0(VALU_DEP_2) | instskip(NEXT) | instid1(VALU_DEP_2)
	v_fma_f64 v[23:24], s[8:9], v[17:18], v[23:24]
	v_fma_f64 v[15:16], s[6:7], v[17:18], -v[19:20]
	s_delay_alu instid0(VALU_DEP_2) | instskip(NEXT) | instid1(VALU_DEP_2)
	v_add_f64 v[17:18], v[21:22], v[23:24]
	v_add_f64 v[13:14], v[13:14], v[15:16]
	s_delay_alu instid0(VALU_DEP_2)
	v_dual_cndmask_b32 v16, 0, v18 :: v_dual_cndmask_b32 v15, 0, v17
	global_store_b128 v[7:8], v[13:16], off
.LBB455_15:
	s_or_b32 exec_lo, exec_lo, s1
	v_cmp_le_i32_e32 vcc_lo, v3, v2
	s_and_b32 s0, vcc_lo, s0
	s_delay_alu instid0(SALU_CYCLE_1)
	s_and_saveexec_b32 s1, s0
	s_cbranch_execz .LBB455_17
; %bb.16:
	v_ashrrev_i32_e32 v3, 31, v2
	s_delay_alu instid0(VALU_DEP_1) | instskip(NEXT) | instid1(VALU_DEP_1)
	v_lshlrev_b64 v[1:2], 4, v[2:3]
	v_add_co_u32 v13, vcc_lo, v5, v1
	s_delay_alu instid0(VALU_DEP_2)
	v_add_co_ci_u32_e32 v14, vcc_lo, v6, v2, vcc_lo
	v_mul_f64 v[1:2], s[16:17], v[9:10]
	v_mul_f64 v[9:10], s[18:19], v[9:10]
	v_cmp_ne_u32_e32 vcc_lo, v4, v0
	global_load_b128 v[5:8], v[13:14], off
	v_fma_f64 v[1:2], s[18:19], v[11:12], v[1:2]
	v_fma_f64 v[9:10], s[16:17], v[11:12], -v[9:10]
	s_waitcnt vmcnt(0)
	v_mul_f64 v[15:16], s[6:7], v[7:8]
	v_mul_f64 v[7:8], s[8:9], v[7:8]
	s_delay_alu instid0(VALU_DEP_2) | instskip(NEXT) | instid1(VALU_DEP_2)
	v_fma_f64 v[15:16], s[8:9], v[5:6], v[15:16]
	v_fma_f64 v[5:6], s[6:7], v[5:6], -v[7:8]
	s_delay_alu instid0(VALU_DEP_2) | instskip(NEXT) | instid1(VALU_DEP_2)
	v_add_f64 v[7:8], v[1:2], v[15:16]
	v_add_f64 v[1:2], v[9:10], v[5:6]
	s_delay_alu instid0(VALU_DEP_2)
	v_dual_cndmask_b32 v4, 0, v8 :: v_dual_cndmask_b32 v3, 0, v7
	global_store_b128 v[13:14], v[1:4], off
.LBB455_17:
	s_nop 0
	s_sendmsg sendmsg(MSG_DEALLOC_VGPRS)
	s_endpgm
	.section	.rodata,"a",@progbits
	.p2align	6, 0x0
	.amdhsa_kernel _ZL34rocblas_syrkx_herkx_general_kernelIi19rocblas_complex_numIdELi16ELi32ELi8ELb0ELb1ELc78ELc76EKS1_S1_EviT_T0_PT8_S3_lS6_S3_lS4_PT9_S3_li
		.amdhsa_group_segment_fixed_size 8192
		.amdhsa_private_segment_fixed_size 0
		.amdhsa_kernarg_size 116
		.amdhsa_user_sgpr_count 13
		.amdhsa_user_sgpr_dispatch_ptr 0
		.amdhsa_user_sgpr_queue_ptr 0
		.amdhsa_user_sgpr_kernarg_segment_ptr 1
		.amdhsa_user_sgpr_dispatch_id 0
		.amdhsa_user_sgpr_private_segment_size 0
		.amdhsa_wavefront_size32 1
		.amdhsa_uses_dynamic_stack 0
		.amdhsa_enable_private_segment 0
		.amdhsa_system_sgpr_workgroup_id_x 1
		.amdhsa_system_sgpr_workgroup_id_y 1
		.amdhsa_system_sgpr_workgroup_id_z 1
		.amdhsa_system_sgpr_workgroup_info 0
		.amdhsa_system_vgpr_workitem_id 1
		.amdhsa_next_free_vgpr 119
		.amdhsa_next_free_sgpr 32
		.amdhsa_reserve_vcc 1
		.amdhsa_float_round_mode_32 0
		.amdhsa_float_round_mode_16_64 0
		.amdhsa_float_denorm_mode_32 3
		.amdhsa_float_denorm_mode_16_64 3
		.amdhsa_dx10_clamp 1
		.amdhsa_ieee_mode 1
		.amdhsa_fp16_overflow 0
		.amdhsa_workgroup_processor_mode 1
		.amdhsa_memory_ordered 1
		.amdhsa_forward_progress 0
		.amdhsa_shared_vgpr_count 0
		.amdhsa_exception_fp_ieee_invalid_op 0
		.amdhsa_exception_fp_denorm_src 0
		.amdhsa_exception_fp_ieee_div_zero 0
		.amdhsa_exception_fp_ieee_overflow 0
		.amdhsa_exception_fp_ieee_underflow 0
		.amdhsa_exception_fp_ieee_inexact 0
		.amdhsa_exception_int_div_zero 0
	.end_amdhsa_kernel
	.section	.text._ZL34rocblas_syrkx_herkx_general_kernelIi19rocblas_complex_numIdELi16ELi32ELi8ELb0ELb1ELc78ELc76EKS1_S1_EviT_T0_PT8_S3_lS6_S3_lS4_PT9_S3_li,"axG",@progbits,_ZL34rocblas_syrkx_herkx_general_kernelIi19rocblas_complex_numIdELi16ELi32ELi8ELb0ELb1ELc78ELc76EKS1_S1_EviT_T0_PT8_S3_lS6_S3_lS4_PT9_S3_li,comdat
.Lfunc_end455:
	.size	_ZL34rocblas_syrkx_herkx_general_kernelIi19rocblas_complex_numIdELi16ELi32ELi8ELb0ELb1ELc78ELc76EKS1_S1_EviT_T0_PT8_S3_lS6_S3_lS4_PT9_S3_li, .Lfunc_end455-_ZL34rocblas_syrkx_herkx_general_kernelIi19rocblas_complex_numIdELi16ELi32ELi8ELb0ELb1ELc78ELc76EKS1_S1_EviT_T0_PT8_S3_lS6_S3_lS4_PT9_S3_li
                                        ; -- End function
	.section	.AMDGPU.csdata,"",@progbits
; Kernel info:
; codeLenInByte = 3640
; NumSgprs: 34
; NumVgprs: 119
; ScratchSize: 0
; MemoryBound: 1
; FloatMode: 240
; IeeeMode: 1
; LDSByteSize: 8192 bytes/workgroup (compile time only)
; SGPRBlocks: 4
; VGPRBlocks: 14
; NumSGPRsForWavesPerEU: 34
; NumVGPRsForWavesPerEU: 119
; Occupancy: 12
; WaveLimiterHint : 0
; COMPUTE_PGM_RSRC2:SCRATCH_EN: 0
; COMPUTE_PGM_RSRC2:USER_SGPR: 13
; COMPUTE_PGM_RSRC2:TRAP_HANDLER: 0
; COMPUTE_PGM_RSRC2:TGID_X_EN: 1
; COMPUTE_PGM_RSRC2:TGID_Y_EN: 1
; COMPUTE_PGM_RSRC2:TGID_Z_EN: 1
; COMPUTE_PGM_RSRC2:TIDIG_COMP_CNT: 1
	.section	.text._ZL34rocblas_syrkx_herkx_general_kernelIi19rocblas_complex_numIdELi16ELi32ELi8ELb0ELb1ELc84ELc85EKS1_S1_EviT_T0_PT8_S3_lS6_S3_lS4_PT9_S3_li,"axG",@progbits,_ZL34rocblas_syrkx_herkx_general_kernelIi19rocblas_complex_numIdELi16ELi32ELi8ELb0ELb1ELc84ELc85EKS1_S1_EviT_T0_PT8_S3_lS6_S3_lS4_PT9_S3_li,comdat
	.globl	_ZL34rocblas_syrkx_herkx_general_kernelIi19rocblas_complex_numIdELi16ELi32ELi8ELb0ELb1ELc84ELc85EKS1_S1_EviT_T0_PT8_S3_lS6_S3_lS4_PT9_S3_li ; -- Begin function _ZL34rocblas_syrkx_herkx_general_kernelIi19rocblas_complex_numIdELi16ELi32ELi8ELb0ELb1ELc84ELc85EKS1_S1_EviT_T0_PT8_S3_lS6_S3_lS4_PT9_S3_li
	.p2align	8
	.type	_ZL34rocblas_syrkx_herkx_general_kernelIi19rocblas_complex_numIdELi16ELi32ELi8ELb0ELb1ELc84ELc85EKS1_S1_EviT_T0_PT8_S3_lS6_S3_lS4_PT9_S3_li,@function
_ZL34rocblas_syrkx_herkx_general_kernelIi19rocblas_complex_numIdELi16ELi32ELi8ELb0ELb1ELc84ELc85EKS1_S1_EviT_T0_PT8_S3_lS6_S3_lS4_PT9_S3_li: ; @_ZL34rocblas_syrkx_herkx_general_kernelIi19rocblas_complex_numIdELi16ELi32ELi8ELb0ELb1ELc84ELc85EKS1_S1_EviT_T0_PT8_S3_lS6_S3_lS4_PT9_S3_li
; %bb.0:
	s_clause 0x3
	s_load_b64 s[24:25], s[0:1], 0x0
	s_load_b128 s[16:19], s[0:1], 0x8
	s_load_b64 s[26:27], s[0:1], 0x18
	s_load_b256 s[4:11], s[0:1], 0x40
	v_mov_b32_e32 v20, 0
	v_dual_mov_b32 v21, 0 :: v_dual_and_b32 v24, 0x3ff, v0
	v_bfe_u32 v25, v0, 10, 10
	s_delay_alu instid0(VALU_DEP_3) | instskip(NEXT) | instid1(VALU_DEP_3)
	v_mov_b32_e32 v12, v20
	v_dual_mov_b32 v14, v20 :: v_dual_mov_b32 v15, v21
	v_dual_mov_b32 v23, v21 :: v_dual_mov_b32 v22, v20
	;; [unrolled: 1-line block ×6, first 2 shown]
	v_mov_b32_e32 v9, v21
	s_lshl_b32 s12, s13, 5
	s_lshl_b32 s13, s14, 5
	s_waitcnt lgkmcnt(0)
	s_cmp_lt_i32 s25, 1
	s_mov_b32 s14, 0
	s_cbranch_scc1 .LBB456_11
; %bb.1:
	s_load_b32 s2, s[0:1], 0x20
	v_lshl_add_u32 v0, v25, 4, v24
	s_clause 0x1
	s_load_b128 s[20:23], s[0:1], 0x28
	s_load_b32 s3, s[0:1], 0x38
	v_and_b32_e32 v26, 7, v24
	v_lshlrev_b32_e32 v27, 4, v24
	v_lshl_add_u32 v28, v25, 7, 0x1000
	v_and_b32_e32 v2, 31, v0
	v_lshrrev_b32_e32 v1, 3, v0
	v_lshlrev_b32_e32 v6, 4, v26
	v_lshrrev_b32_e32 v29, 5, v0
	s_delay_alu instid0(VALU_DEP_4) | instskip(NEXT) | instid1(VALU_DEP_4)
	v_add_nc_u32_e32 v5, s12, v2
	v_add_nc_u32_e32 v4, s13, v1
	s_delay_alu instid0(VALU_DEP_4) | instskip(SKIP_3) | instid1(VALU_DEP_3)
	v_lshl_or_b32 v7, v1, 7, v6
	v_or_b32_e32 v3, s12, v2
	v_lshlrev_b32_e32 v2, 4, v2
	v_lshlrev_b32_e32 v8, 4, v29
	v_cmp_gt_i32_e32 vcc_lo, s24, v3
	s_waitcnt lgkmcnt(0)
	v_mad_i64_i32 v[0:1], null, s2, v5, 0
	s_mul_i32 s21, s21, s15
	s_mul_hi_u32 s28, s20, s15
	v_lshl_or_b32 v30, v29, 9, v2
	v_mad_i64_i32 v[2:3], null, s3, v4, 0
	s_mul_i32 s20, s20, s15
	s_delay_alu instid0(VALU_DEP_3)
	v_lshlrev_b64 v[0:1], 4, v[0:1]
	s_add_i32 s21, s28, s21
	v_cmp_gt_i32_e64 s2, s24, v4
	s_lshl_b64 s[20:21], s[20:21], 4
	s_delay_alu instid0(VALU_DEP_2) | instid1(SALU_CYCLE_1)
	v_add_co_u32 v4, s3, v0, s20
	s_delay_alu instid0(VALU_DEP_1)
	v_add_co_ci_u32_e64 v5, s3, s21, v1, s3
	s_mul_i32 s3, s5, s15
	s_mul_hi_u32 s5, s4, s15
	v_lshlrev_b64 v[0:1], 4, v[2:3]
	s_add_i32 s5, s5, s3
	s_mul_i32 s4, s4, s15
	v_add_co_u32 v2, s3, v4, v8
	s_lshl_b64 s[4:5], s[4:5], 4
	v_add_co_ci_u32_e64 v3, s3, 0, v5, s3
	v_add_co_u32 v0, s3, v0, s4
	v_mov_b32_e32 v8, 0
	v_mov_b32_e32 v9, 0
	v_add_co_ci_u32_e64 v1, s3, s5, v1, s3
	v_add_co_u32 v4, s3, s26, v2
	s_delay_alu instid0(VALU_DEP_3) | instskip(SKIP_3) | instid1(VALU_DEP_1)
	v_mov_b32_e32 v15, v9
	v_add_co_ci_u32_e64 v5, s3, s27, v3, s3
	v_mov_b32_e32 v19, v9
	v_add_co_u32 v0, s3, v0, v6
	v_add_co_ci_u32_e64 v1, s3, 0, v1, s3
	v_mov_b32_e32 v17, v9
	s_delay_alu instid0(VALU_DEP_3)
	v_add_co_u32 v6, s3, s22, v0
	v_dual_mov_b32 v11, v9 :: v_dual_mov_b32 v18, v8
	v_dual_mov_b32 v13, v9 :: v_dual_mov_b32 v16, v8
	;; [unrolled: 1-line block ×3, first 2 shown]
	v_mov_b32_e32 v21, v9
	v_dual_mov_b32 v10, v8 :: v_dual_add_nc_u32 v31, 0x1000, v7
	v_add_co_ci_u32_e64 v7, s3, s23, v1, s3
	v_mov_b32_e32 v0, 0
	v_mov_b32_e32 v12, v8
	;; [unrolled: 1-line block ×4, first 2 shown]
	s_xor_b32 s3, vcc_lo, -1
	s_xor_b32 s2, s2, -1
	s_branch .LBB456_3
.LBB456_2:                              ;   in Loop: Header=BB456_3 Depth=1
	s_or_b32 exec_lo, exec_lo, s4
	s_waitcnt lgkmcnt(0)
	s_barrier
	buffer_gl0_inv
	ds_load_b128 v[32:35], v28
	ds_load_b128 v[36:39], v28 offset:16
	ds_load_b128 v[40:43], v28 offset:32
	;; [unrolled: 1-line block ×3, first 2 shown]
	ds_load_b128 v[48:51], v27
	v_add_co_u32 v4, vcc_lo, 0x80, v4
	v_add_co_ci_u32_e32 v5, vcc_lo, 0, v5, vcc_lo
	v_add_co_u32 v6, vcc_lo, 0x80, v6
	v_add_co_ci_u32_e32 v7, vcc_lo, 0, v7, vcc_lo
	s_add_i32 s14, s14, 8
	s_delay_alu instid0(SALU_CYCLE_1) | instskip(SKIP_3) | instid1(VALU_DEP_2)
	s_cmp_ge_i32 s14, s25
	s_waitcnt lgkmcnt(0)
	v_mul_f64 v[1:2], v[34:35], v[50:51]
	v_mul_f64 v[52:53], v[32:33], v[50:51]
	v_fma_f64 v[1:2], v[32:33], v[48:49], -v[1:2]
	s_delay_alu instid0(VALU_DEP_2) | instskip(NEXT) | instid1(VALU_DEP_2)
	v_fma_f64 v[52:53], v[34:35], v[48:49], v[52:53]
	v_add_f64 v[1:2], v[20:21], v[1:2]
	s_delay_alu instid0(VALU_DEP_2) | instskip(SKIP_3) | instid1(VALU_DEP_1)
	v_add_f64 v[52:53], v[22:23], v[52:53]
	ds_load_b128 v[20:23], v27 offset:256
	s_waitcnt lgkmcnt(0)
	v_mul_f64 v[54:55], v[34:35], v[22:23]
	v_fma_f64 v[54:55], v[32:33], v[20:21], -v[54:55]
	v_mul_f64 v[32:33], v[32:33], v[22:23]
	s_delay_alu instid0(VALU_DEP_1) | instskip(NEXT) | instid1(VALU_DEP_3)
	v_fma_f64 v[32:33], v[34:35], v[20:21], v[32:33]
	v_add_f64 v[34:35], v[12:13], v[54:55]
	s_delay_alu instid0(VALU_DEP_2) | instskip(SKIP_4) | instid1(VALU_DEP_2)
	v_add_f64 v[32:33], v[14:15], v[32:33]
	ds_load_b128 v[12:15], v28 offset:2048
	s_waitcnt lgkmcnt(0)
	v_mul_f64 v[54:55], v[14:15], v[50:51]
	v_mul_f64 v[50:51], v[12:13], v[50:51]
	v_fma_f64 v[54:55], v[12:13], v[48:49], -v[54:55]
	s_delay_alu instid0(VALU_DEP_2) | instskip(NEXT) | instid1(VALU_DEP_2)
	v_fma_f64 v[48:49], v[14:15], v[48:49], v[50:51]
	v_add_f64 v[50:51], v[16:17], v[54:55]
	v_mul_f64 v[16:17], v[14:15], v[22:23]
	s_delay_alu instid0(VALU_DEP_3) | instskip(NEXT) | instid1(VALU_DEP_2)
	v_add_f64 v[48:49], v[18:19], v[48:49]
	v_fma_f64 v[16:17], v[12:13], v[20:21], -v[16:17]
	v_mul_f64 v[12:13], v[12:13], v[22:23]
	s_delay_alu instid0(VALU_DEP_1) | instskip(NEXT) | instid1(VALU_DEP_3)
	v_fma_f64 v[12:13], v[14:15], v[20:21], v[12:13]
	v_add_f64 v[20:21], v[10:11], v[16:17]
	s_delay_alu instid0(VALU_DEP_2) | instskip(SKIP_4) | instid1(VALU_DEP_2)
	v_add_f64 v[22:23], v[8:9], v[12:13]
	ds_load_b128 v[8:11], v27 offset:512
	s_waitcnt lgkmcnt(0)
	v_mul_f64 v[12:13], v[38:39], v[10:11]
	v_mul_f64 v[14:15], v[36:37], v[10:11]
	v_fma_f64 v[12:13], v[36:37], v[8:9], -v[12:13]
	s_delay_alu instid0(VALU_DEP_2) | instskip(NEXT) | instid1(VALU_DEP_2)
	v_fma_f64 v[14:15], v[38:39], v[8:9], v[14:15]
	v_add_f64 v[1:2], v[1:2], v[12:13]
	s_delay_alu instid0(VALU_DEP_2) | instskip(SKIP_4) | instid1(VALU_DEP_2)
	v_add_f64 v[52:53], v[52:53], v[14:15]
	ds_load_b128 v[12:15], v27 offset:768
	s_waitcnt lgkmcnt(0)
	v_mul_f64 v[16:17], v[38:39], v[14:15]
	v_mul_f64 v[18:19], v[36:37], v[14:15]
	v_fma_f64 v[16:17], v[36:37], v[12:13], -v[16:17]
	s_delay_alu instid0(VALU_DEP_2) | instskip(NEXT) | instid1(VALU_DEP_2)
	v_fma_f64 v[18:19], v[38:39], v[12:13], v[18:19]
	v_add_f64 v[34:35], v[34:35], v[16:17]
	s_delay_alu instid0(VALU_DEP_2) | instskip(SKIP_4) | instid1(VALU_DEP_2)
	v_add_f64 v[32:33], v[32:33], v[18:19]
	ds_load_b128 v[16:19], v28 offset:2064
	s_waitcnt lgkmcnt(0)
	v_mul_f64 v[36:37], v[18:19], v[10:11]
	v_mul_f64 v[10:11], v[16:17], v[10:11]
	v_fma_f64 v[36:37], v[16:17], v[8:9], -v[36:37]
	s_delay_alu instid0(VALU_DEP_2) | instskip(SKIP_1) | instid1(VALU_DEP_3)
	v_fma_f64 v[8:9], v[18:19], v[8:9], v[10:11]
	v_mul_f64 v[10:11], v[16:17], v[14:15]
	v_add_f64 v[36:37], v[50:51], v[36:37]
	s_delay_alu instid0(VALU_DEP_3) | instskip(SKIP_1) | instid1(VALU_DEP_4)
	v_add_f64 v[38:39], v[48:49], v[8:9]
	v_mul_f64 v[8:9], v[18:19], v[14:15]
	v_fma_f64 v[10:11], v[18:19], v[12:13], v[10:11]
	s_delay_alu instid0(VALU_DEP_2) | instskip(NEXT) | instid1(VALU_DEP_2)
	v_fma_f64 v[8:9], v[16:17], v[12:13], -v[8:9]
	v_add_f64 v[22:23], v[22:23], v[10:11]
	s_delay_alu instid0(VALU_DEP_2) | instskip(SKIP_4) | instid1(VALU_DEP_2)
	v_add_f64 v[20:21], v[20:21], v[8:9]
	ds_load_b128 v[8:11], v27 offset:1024
	s_waitcnt lgkmcnt(0)
	v_mul_f64 v[12:13], v[42:43], v[10:11]
	v_mul_f64 v[14:15], v[40:41], v[10:11]
	v_fma_f64 v[12:13], v[40:41], v[8:9], -v[12:13]
	s_delay_alu instid0(VALU_DEP_2) | instskip(NEXT) | instid1(VALU_DEP_2)
	v_fma_f64 v[14:15], v[42:43], v[8:9], v[14:15]
	v_add_f64 v[1:2], v[1:2], v[12:13]
	s_delay_alu instid0(VALU_DEP_2) | instskip(SKIP_4) | instid1(VALU_DEP_2)
	v_add_f64 v[48:49], v[52:53], v[14:15]
	ds_load_b128 v[12:15], v27 offset:1280
	s_waitcnt lgkmcnt(0)
	v_mul_f64 v[16:17], v[42:43], v[14:15]
	v_mul_f64 v[18:19], v[40:41], v[14:15]
	v_fma_f64 v[16:17], v[40:41], v[12:13], -v[16:17]
	s_delay_alu instid0(VALU_DEP_2) | instskip(NEXT) | instid1(VALU_DEP_2)
	v_fma_f64 v[18:19], v[42:43], v[12:13], v[18:19]
	v_add_f64 v[34:35], v[34:35], v[16:17]
	s_delay_alu instid0(VALU_DEP_2) | instskip(SKIP_4) | instid1(VALU_DEP_2)
	v_add_f64 v[32:33], v[32:33], v[18:19]
	ds_load_b128 v[16:19], v28 offset:2080
	s_waitcnt lgkmcnt(0)
	v_mul_f64 v[40:41], v[18:19], v[10:11]
	v_mul_f64 v[10:11], v[16:17], v[10:11]
	v_fma_f64 v[40:41], v[16:17], v[8:9], -v[40:41]
	s_delay_alu instid0(VALU_DEP_2) | instskip(SKIP_1) | instid1(VALU_DEP_3)
	v_fma_f64 v[8:9], v[18:19], v[8:9], v[10:11]
	v_mul_f64 v[10:11], v[16:17], v[14:15]
	v_add_f64 v[36:37], v[36:37], v[40:41]
	s_delay_alu instid0(VALU_DEP_3) | instskip(SKIP_1) | instid1(VALU_DEP_4)
	v_add_f64 v[38:39], v[38:39], v[8:9]
	v_mul_f64 v[8:9], v[18:19], v[14:15]
	v_fma_f64 v[10:11], v[18:19], v[12:13], v[10:11]
	s_delay_alu instid0(VALU_DEP_2) | instskip(NEXT) | instid1(VALU_DEP_2)
	v_fma_f64 v[8:9], v[16:17], v[12:13], -v[8:9]
	;; [unrolled: 38-line block ×3, first 2 shown]
	v_add_f64 v[22:23], v[22:23], v[10:11]
	s_delay_alu instid0(VALU_DEP_2)
	v_add_f64 v[20:21], v[20:21], v[8:9]
	ds_load_b128 v[8:11], v28 offset:64
	ds_load_b128 v[12:15], v27 offset:2048
	s_waitcnt lgkmcnt(0)
	v_mul_f64 v[16:17], v[10:11], v[14:15]
	v_mul_f64 v[18:19], v[8:9], v[14:15]
	s_delay_alu instid0(VALU_DEP_2) | instskip(NEXT) | instid1(VALU_DEP_2)
	v_fma_f64 v[16:17], v[8:9], v[12:13], -v[16:17]
	v_fma_f64 v[18:19], v[10:11], v[12:13], v[18:19]
	s_delay_alu instid0(VALU_DEP_2) | instskip(NEXT) | instid1(VALU_DEP_2)
	v_add_f64 v[1:2], v[1:2], v[16:17]
	v_add_f64 v[40:41], v[40:41], v[18:19]
	ds_load_b128 v[16:19], v27 offset:2304
	s_waitcnt lgkmcnt(0)
	v_mul_f64 v[42:43], v[10:11], v[18:19]
	s_delay_alu instid0(VALU_DEP_1) | instskip(SKIP_1) | instid1(VALU_DEP_2)
	v_fma_f64 v[42:43], v[8:9], v[16:17], -v[42:43]
	v_mul_f64 v[8:9], v[8:9], v[18:19]
	v_add_f64 v[34:35], v[34:35], v[42:43]
	s_delay_alu instid0(VALU_DEP_2) | instskip(NEXT) | instid1(VALU_DEP_1)
	v_fma_f64 v[8:9], v[10:11], v[16:17], v[8:9]
	v_add_f64 v[32:33], v[32:33], v[8:9]
	ds_load_b128 v[8:11], v28 offset:2112
	s_waitcnt lgkmcnt(0)
	v_mul_f64 v[42:43], v[10:11], v[14:15]
	v_mul_f64 v[14:15], v[8:9], v[14:15]
	s_delay_alu instid0(VALU_DEP_2) | instskip(NEXT) | instid1(VALU_DEP_2)
	v_fma_f64 v[42:43], v[8:9], v[12:13], -v[42:43]
	v_fma_f64 v[12:13], v[10:11], v[12:13], v[14:15]
	s_delay_alu instid0(VALU_DEP_2) | instskip(NEXT) | instid1(VALU_DEP_2)
	v_add_f64 v[36:37], v[36:37], v[42:43]
	v_add_f64 v[38:39], v[38:39], v[12:13]
	v_mul_f64 v[12:13], v[10:11], v[18:19]
	s_delay_alu instid0(VALU_DEP_1) | instskip(SKIP_1) | instid1(VALU_DEP_2)
	v_fma_f64 v[12:13], v[8:9], v[16:17], -v[12:13]
	v_mul_f64 v[8:9], v[8:9], v[18:19]
	v_add_f64 v[20:21], v[20:21], v[12:13]
	s_delay_alu instid0(VALU_DEP_2) | instskip(NEXT) | instid1(VALU_DEP_1)
	v_fma_f64 v[8:9], v[10:11], v[16:17], v[8:9]
	v_add_f64 v[22:23], v[22:23], v[8:9]
	ds_load_b128 v[8:11], v28 offset:80
	ds_load_b128 v[12:15], v27 offset:2560
	s_waitcnt lgkmcnt(0)
	v_mul_f64 v[16:17], v[10:11], v[14:15]
	v_mul_f64 v[18:19], v[8:9], v[14:15]
	s_delay_alu instid0(VALU_DEP_2) | instskip(NEXT) | instid1(VALU_DEP_2)
	v_fma_f64 v[16:17], v[8:9], v[12:13], -v[16:17]
	v_fma_f64 v[18:19], v[10:11], v[12:13], v[18:19]
	s_delay_alu instid0(VALU_DEP_2) | instskip(NEXT) | instid1(VALU_DEP_2)
	v_add_f64 v[1:2], v[1:2], v[16:17]
	v_add_f64 v[40:41], v[40:41], v[18:19]
	ds_load_b128 v[16:19], v27 offset:2816
	s_waitcnt lgkmcnt(0)
	v_mul_f64 v[42:43], v[10:11], v[18:19]
	s_delay_alu instid0(VALU_DEP_1) | instskip(SKIP_1) | instid1(VALU_DEP_2)
	v_fma_f64 v[42:43], v[8:9], v[16:17], -v[42:43]
	v_mul_f64 v[8:9], v[8:9], v[18:19]
	v_add_f64 v[34:35], v[34:35], v[42:43]
	s_delay_alu instid0(VALU_DEP_2) | instskip(NEXT) | instid1(VALU_DEP_1)
	v_fma_f64 v[8:9], v[10:11], v[16:17], v[8:9]
	v_add_f64 v[32:33], v[32:33], v[8:9]
	ds_load_b128 v[8:11], v28 offset:2128
	s_waitcnt lgkmcnt(0)
	v_mul_f64 v[42:43], v[10:11], v[14:15]
	v_mul_f64 v[14:15], v[8:9], v[14:15]
	s_delay_alu instid0(VALU_DEP_2) | instskip(NEXT) | instid1(VALU_DEP_2)
	v_fma_f64 v[42:43], v[8:9], v[12:13], -v[42:43]
	v_fma_f64 v[12:13], v[10:11], v[12:13], v[14:15]
	s_delay_alu instid0(VALU_DEP_2) | instskip(NEXT) | instid1(VALU_DEP_2)
	v_add_f64 v[36:37], v[36:37], v[42:43]
	v_add_f64 v[38:39], v[38:39], v[12:13]
	v_mul_f64 v[12:13], v[10:11], v[18:19]
	s_delay_alu instid0(VALU_DEP_1) | instskip(SKIP_1) | instid1(VALU_DEP_2)
	v_fma_f64 v[12:13], v[8:9], v[16:17], -v[12:13]
	v_mul_f64 v[8:9], v[8:9], v[18:19]
	v_add_f64 v[20:21], v[20:21], v[12:13]
	s_delay_alu instid0(VALU_DEP_2) | instskip(NEXT) | instid1(VALU_DEP_1)
	v_fma_f64 v[8:9], v[10:11], v[16:17], v[8:9]
	;; [unrolled: 39-line block ×3, first 2 shown]
	v_add_f64 v[48:49], v[22:23], v[8:9]
	ds_load_b128 v[8:11], v28 offset:112
	ds_load_b128 v[16:19], v27 offset:3584
	;; [unrolled: 1-line block ×3, first 2 shown]
	s_waitcnt lgkmcnt(1)
	v_mul_f64 v[12:13], v[10:11], v[18:19]
	v_mul_f64 v[14:15], v[8:9], v[18:19]
	s_delay_alu instid0(VALU_DEP_2) | instskip(NEXT) | instid1(VALU_DEP_2)
	v_fma_f64 v[12:13], v[8:9], v[16:17], -v[12:13]
	v_fma_f64 v[14:15], v[10:11], v[16:17], v[14:15]
	s_delay_alu instid0(VALU_DEP_2) | instskip(SKIP_2) | instid1(VALU_DEP_3)
	v_add_f64 v[20:21], v[1:2], v[12:13]
	s_waitcnt lgkmcnt(0)
	v_mul_f64 v[1:2], v[10:11], v[34:35]
	v_add_f64 v[22:23], v[40:41], v[14:15]
	s_delay_alu instid0(VALU_DEP_2) | instskip(SKIP_1) | instid1(VALU_DEP_2)
	v_fma_f64 v[1:2], v[8:9], v[32:33], -v[1:2]
	v_mul_f64 v[8:9], v[8:9], v[34:35]
	v_add_f64 v[12:13], v[42:43], v[1:2]
	s_delay_alu instid0(VALU_DEP_2) | instskip(NEXT) | instid1(VALU_DEP_1)
	v_fma_f64 v[8:9], v[10:11], v[32:33], v[8:9]
	v_add_f64 v[14:15], v[44:45], v[8:9]
	ds_load_b128 v[8:11], v28 offset:2160
	s_waitcnt lgkmcnt(0)
	s_barrier
	buffer_gl0_inv
	v_mul_f64 v[1:2], v[10:11], v[18:19]
	v_mul_f64 v[18:19], v[8:9], v[18:19]
	s_delay_alu instid0(VALU_DEP_2) | instskip(NEXT) | instid1(VALU_DEP_2)
	v_fma_f64 v[1:2], v[8:9], v[16:17], -v[1:2]
	v_fma_f64 v[18:19], v[10:11], v[16:17], v[18:19]
	s_delay_alu instid0(VALU_DEP_2) | instskip(SKIP_1) | instid1(VALU_DEP_3)
	v_add_f64 v[16:17], v[36:37], v[1:2]
	v_mul_f64 v[1:2], v[10:11], v[34:35]
	v_add_f64 v[18:19], v[38:39], v[18:19]
	s_delay_alu instid0(VALU_DEP_2) | instskip(SKIP_1) | instid1(VALU_DEP_1)
	v_fma_f64 v[1:2], v[8:9], v[32:33], -v[1:2]
	v_mul_f64 v[8:9], v[8:9], v[34:35]
	v_fma_f64 v[8:9], v[10:11], v[32:33], v[8:9]
	s_delay_alu instid0(VALU_DEP_3) | instskip(NEXT) | instid1(VALU_DEP_2)
	v_add_f64 v[10:11], v[46:47], v[1:2]
	v_add_f64 v[8:9], v[48:49], v[8:9]
	s_cbranch_scc1 .LBB456_11
.LBB456_3:                              ; =>This Inner Loop Header: Depth=1
	v_add_nc_u32_e32 v1, s14, v29
	s_delay_alu instid0(VALU_DEP_1) | instskip(SKIP_1) | instid1(SALU_CYCLE_1)
	v_cmp_le_i32_e32 vcc_lo, s25, v1
	s_or_b32 s4, s3, vcc_lo
	s_and_saveexec_b32 s5, s4
	s_delay_alu instid0(SALU_CYCLE_1)
	s_xor_b32 s4, exec_lo, s5
	s_cbranch_execz .LBB456_5
; %bb.4:                                ;   in Loop: Header=BB456_3 Depth=1
	v_mov_b32_e32 v1, v0
	v_mov_b32_e32 v2, v0
	;; [unrolled: 1-line block ×3, first 2 shown]
	ds_store_b128 v30, v[0:3]
.LBB456_5:                              ;   in Loop: Header=BB456_3 Depth=1
	s_and_not1_saveexec_b32 s4, s4
	s_cbranch_execz .LBB456_7
; %bb.6:                                ;   in Loop: Header=BB456_3 Depth=1
	global_load_b128 v[32:35], v[4:5], off
	s_waitcnt vmcnt(0)
	ds_store_2addr_b64 v30, v[32:33], v[34:35] offset1:1
.LBB456_7:                              ;   in Loop: Header=BB456_3 Depth=1
	s_or_b32 exec_lo, exec_lo, s4
	v_add_nc_u32_e32 v1, s14, v26
	s_delay_alu instid0(VALU_DEP_1) | instskip(SKIP_1) | instid1(SALU_CYCLE_1)
	v_cmp_le_i32_e32 vcc_lo, s25, v1
	s_or_b32 s4, vcc_lo, s2
	s_and_saveexec_b32 s5, s4
	s_delay_alu instid0(SALU_CYCLE_1)
	s_xor_b32 s4, exec_lo, s5
	s_cbranch_execz .LBB456_9
; %bb.8:                                ;   in Loop: Header=BB456_3 Depth=1
	v_mov_b32_e32 v1, v0
	v_mov_b32_e32 v2, v0
	;; [unrolled: 1-line block ×3, first 2 shown]
	ds_store_b128 v31, v[0:3]
.LBB456_9:                              ;   in Loop: Header=BB456_3 Depth=1
	s_and_not1_saveexec_b32 s4, s4
	s_cbranch_execz .LBB456_2
; %bb.10:                               ;   in Loop: Header=BB456_3 Depth=1
	global_load_b128 v[32:35], v[6:7], off
	s_waitcnt vmcnt(0)
	ds_store_2addr_b64 v31, v[32:33], v[34:35] offset1:1
	s_branch .LBB456_2
.LBB456_11:
	s_clause 0x1
	s_load_b32 s2, s[0:1], 0x60
	s_load_b64 s[0:1], s[0:1], 0x68
	v_add_nc_u32_e32 v4, s13, v25
	v_add_nc_u32_e32 v0, s12, v24
	s_delay_alu instid0(VALU_DEP_2)
	v_cmp_gt_i32_e32 vcc_lo, s24, v4
	s_waitcnt lgkmcnt(0)
	v_mad_i64_i32 v[1:2], null, v4, s2, 0
	s_mul_i32 s1, s15, s1
	s_mul_hi_u32 s3, s15, s0
	s_mul_i32 s0, s15, s0
	s_add_i32 s1, s3, s1
	s_delay_alu instid0(SALU_CYCLE_1) | instskip(NEXT) | instid1(VALU_DEP_1)
	s_lshl_b64 s[4:5], s[0:1], 4
	v_lshlrev_b64 v[1:2], 4, v[1:2]
	s_add_u32 s3, s10, s4
	v_cmp_le_i32_e64 s0, v0, v4
	s_addc_u32 s4, s11, s5
	s_delay_alu instid0(VALU_DEP_2) | instskip(NEXT) | instid1(VALU_DEP_1)
	v_add_co_u32 v5, s1, s3, v1
	v_add_co_ci_u32_e64 v6, s1, s4, v2, s1
	s_delay_alu instid0(VALU_DEP_3) | instskip(NEXT) | instid1(SALU_CYCLE_1)
	s_and_b32 s0, vcc_lo, s0
	s_and_saveexec_b32 s1, s0
	s_cbranch_execz .LBB456_13
; %bb.12:
	v_ashrrev_i32_e32 v1, 31, v0
	v_mul_f64 v[28:29], s[16:17], v[22:23]
	v_mul_f64 v[22:23], s[18:19], v[22:23]
	s_delay_alu instid0(VALU_DEP_3) | instskip(NEXT) | instid1(VALU_DEP_1)
	v_lshlrev_b64 v[1:2], 4, v[0:1]
	v_add_co_u32 v1, s0, v5, v1
	s_delay_alu instid0(VALU_DEP_1)
	v_add_co_ci_u32_e64 v2, s0, v6, v2, s0
	v_cmp_ne_u32_e64 s0, v4, v0
	global_load_b128 v[24:27], v[1:2], off
	v_fma_f64 v[28:29], s[18:19], v[20:21], v[28:29]
	v_fma_f64 v[20:21], s[16:17], v[20:21], -v[22:23]
	s_waitcnt vmcnt(0)
	v_mul_f64 v[30:31], s[6:7], v[26:27]
	v_mul_f64 v[26:27], s[8:9], v[26:27]
	s_delay_alu instid0(VALU_DEP_2) | instskip(NEXT) | instid1(VALU_DEP_2)
	v_fma_f64 v[30:31], s[8:9], v[24:25], v[30:31]
	v_fma_f64 v[22:23], s[6:7], v[24:25], -v[26:27]
	s_delay_alu instid0(VALU_DEP_2) | instskip(NEXT) | instid1(VALU_DEP_2)
	v_add_f64 v[24:25], v[28:29], v[30:31]
	v_add_f64 v[20:21], v[20:21], v[22:23]
	s_delay_alu instid0(VALU_DEP_2) | instskip(NEXT) | instid1(VALU_DEP_3)
	v_cndmask_b32_e64 v23, 0, v25, s0
	v_cndmask_b32_e64 v22, 0, v24, s0
	global_store_b128 v[1:2], v[20:23], off
.LBB456_13:
	s_or_b32 exec_lo, exec_lo, s1
	v_add_nc_u32_e32 v2, 16, v0
	s_delay_alu instid0(VALU_DEP_1) | instskip(NEXT) | instid1(VALU_DEP_1)
	v_cmp_le_i32_e64 s0, v2, v4
	s_and_b32 s1, vcc_lo, s0
	s_delay_alu instid0(SALU_CYCLE_1)
	s_and_saveexec_b32 s0, s1
	s_cbranch_execz .LBB456_15
; %bb.14:
	v_ashrrev_i32_e32 v3, 31, v2
	v_mul_f64 v[24:25], s[16:17], v[14:15]
	v_mul_f64 v[14:15], s[18:19], v[14:15]
	s_delay_alu instid0(VALU_DEP_3) | instskip(NEXT) | instid1(VALU_DEP_1)
	v_lshlrev_b64 v[20:21], 4, v[2:3]
	v_add_co_u32 v5, vcc_lo, v5, v20
	s_delay_alu instid0(VALU_DEP_2)
	v_add_co_ci_u32_e32 v6, vcc_lo, v6, v21, vcc_lo
	v_cmp_ne_u32_e32 vcc_lo, v4, v2
	global_load_b128 v[20:23], v[5:6], off
	v_fma_f64 v[24:25], s[18:19], v[12:13], v[24:25]
	v_fma_f64 v[12:13], s[16:17], v[12:13], -v[14:15]
	s_waitcnt vmcnt(0)
	v_mul_f64 v[26:27], s[6:7], v[22:23]
	v_mul_f64 v[22:23], s[8:9], v[22:23]
	s_delay_alu instid0(VALU_DEP_2) | instskip(NEXT) | instid1(VALU_DEP_2)
	v_fma_f64 v[26:27], s[8:9], v[20:21], v[26:27]
	v_fma_f64 v[14:15], s[6:7], v[20:21], -v[22:23]
	s_delay_alu instid0(VALU_DEP_2) | instskip(NEXT) | instid1(VALU_DEP_2)
	v_add_f64 v[20:21], v[24:25], v[26:27]
	v_add_f64 v[12:13], v[12:13], v[14:15]
	s_delay_alu instid0(VALU_DEP_2)
	v_dual_cndmask_b32 v15, 0, v21 :: v_dual_cndmask_b32 v14, 0, v20
	global_store_b128 v[5:6], v[12:15], off
.LBB456_15:
	s_or_b32 exec_lo, exec_lo, s0
	v_add_nc_u32_e32 v3, 16, v4
	s_delay_alu instid0(VALU_DEP_1) | instskip(SKIP_2) | instid1(VALU_DEP_1)
	v_mad_i64_i32 v[5:6], null, v3, s2, 0
	v_cmp_gt_i32_e32 vcc_lo, s24, v3
	v_cmp_le_i32_e64 s0, v0, v3
	s_and_b32 s0, vcc_lo, s0
	s_delay_alu instid0(VALU_DEP_3) | instskip(NEXT) | instid1(VALU_DEP_1)
	v_lshlrev_b64 v[5:6], 4, v[5:6]
	v_add_co_u32 v5, s1, s3, v5
	s_delay_alu instid0(VALU_DEP_1)
	v_add_co_ci_u32_e64 v6, s1, s4, v6, s1
	s_and_saveexec_b32 s1, s0
	s_cbranch_execz .LBB456_17
; %bb.16:
	v_ashrrev_i32_e32 v1, 31, v0
	v_mul_f64 v[22:23], s[16:17], v[18:19]
	v_mul_f64 v[18:19], s[18:19], v[18:19]
	s_delay_alu instid0(VALU_DEP_3) | instskip(NEXT) | instid1(VALU_DEP_1)
	v_lshlrev_b64 v[12:13], 4, v[0:1]
	v_add_co_u32 v20, s0, v5, v12
	s_delay_alu instid0(VALU_DEP_1)
	v_add_co_ci_u32_e64 v21, s0, v6, v13, s0
	v_cmp_ne_u32_e64 s0, v3, v0
	global_load_b128 v[12:15], v[20:21], off
	v_fma_f64 v[22:23], s[18:19], v[16:17], v[22:23]
	v_fma_f64 v[16:17], s[16:17], v[16:17], -v[18:19]
	s_waitcnt vmcnt(0)
	v_mul_f64 v[24:25], s[6:7], v[14:15]
	v_mul_f64 v[14:15], s[8:9], v[14:15]
	s_delay_alu instid0(VALU_DEP_2) | instskip(NEXT) | instid1(VALU_DEP_2)
	v_fma_f64 v[24:25], s[8:9], v[12:13], v[24:25]
	v_fma_f64 v[12:13], s[6:7], v[12:13], -v[14:15]
	s_delay_alu instid0(VALU_DEP_2) | instskip(NEXT) | instid1(VALU_DEP_2)
	v_add_f64 v[14:15], v[22:23], v[24:25]
	v_add_f64 v[12:13], v[16:17], v[12:13]
	s_delay_alu instid0(VALU_DEP_2) | instskip(NEXT) | instid1(VALU_DEP_3)
	v_cndmask_b32_e64 v15, 0, v15, s0
	v_cndmask_b32_e64 v14, 0, v14, s0
	global_store_b128 v[20:21], v[12:15], off
.LBB456_17:
	s_or_b32 exec_lo, exec_lo, s1
	v_cmp_le_i32_e64 s0, v2, v3
	s_delay_alu instid0(VALU_DEP_1) | instskip(NEXT) | instid1(SALU_CYCLE_1)
	s_and_b32 s0, vcc_lo, s0
	s_and_saveexec_b32 s1, s0
	s_cbranch_execz .LBB456_19
; %bb.18:
	v_ashrrev_i32_e32 v3, 31, v2
	s_delay_alu instid0(VALU_DEP_1) | instskip(NEXT) | instid1(VALU_DEP_1)
	v_lshlrev_b64 v[1:2], 4, v[2:3]
	v_add_co_u32 v5, vcc_lo, v5, v1
	s_delay_alu instid0(VALU_DEP_2)
	v_add_co_ci_u32_e32 v6, vcc_lo, v6, v2, vcc_lo
	v_mul_f64 v[1:2], s[16:17], v[8:9]
	v_mul_f64 v[7:8], s[18:19], v[8:9]
	v_cmp_ne_u32_e32 vcc_lo, v4, v0
	global_load_b128 v[12:15], v[5:6], off
	v_fma_f64 v[1:2], s[18:19], v[10:11], v[1:2]
	v_fma_f64 v[7:8], s[16:17], v[10:11], -v[7:8]
	s_waitcnt vmcnt(0)
	v_mul_f64 v[16:17], s[6:7], v[14:15]
	v_mul_f64 v[14:15], s[8:9], v[14:15]
	s_delay_alu instid0(VALU_DEP_2) | instskip(NEXT) | instid1(VALU_DEP_2)
	v_fma_f64 v[16:17], s[8:9], v[12:13], v[16:17]
	v_fma_f64 v[9:10], s[6:7], v[12:13], -v[14:15]
	s_delay_alu instid0(VALU_DEP_2) | instskip(NEXT) | instid1(VALU_DEP_2)
	v_add_f64 v[11:12], v[1:2], v[16:17]
	v_add_f64 v[1:2], v[7:8], v[9:10]
	s_delay_alu instid0(VALU_DEP_2)
	v_dual_cndmask_b32 v4, 0, v12 :: v_dual_cndmask_b32 v3, 0, v11
	global_store_b128 v[5:6], v[1:4], off
.LBB456_19:
	s_nop 0
	s_sendmsg sendmsg(MSG_DEALLOC_VGPRS)
	s_endpgm
	.section	.rodata,"a",@progbits
	.p2align	6, 0x0
	.amdhsa_kernel _ZL34rocblas_syrkx_herkx_general_kernelIi19rocblas_complex_numIdELi16ELi32ELi8ELb0ELb1ELc84ELc85EKS1_S1_EviT_T0_PT8_S3_lS6_S3_lS4_PT9_S3_li
		.amdhsa_group_segment_fixed_size 8192
		.amdhsa_private_segment_fixed_size 0
		.amdhsa_kernarg_size 116
		.amdhsa_user_sgpr_count 13
		.amdhsa_user_sgpr_dispatch_ptr 0
		.amdhsa_user_sgpr_queue_ptr 0
		.amdhsa_user_sgpr_kernarg_segment_ptr 1
		.amdhsa_user_sgpr_dispatch_id 0
		.amdhsa_user_sgpr_private_segment_size 0
		.amdhsa_wavefront_size32 1
		.amdhsa_uses_dynamic_stack 0
		.amdhsa_enable_private_segment 0
		.amdhsa_system_sgpr_workgroup_id_x 1
		.amdhsa_system_sgpr_workgroup_id_y 1
		.amdhsa_system_sgpr_workgroup_id_z 1
		.amdhsa_system_sgpr_workgroup_info 0
		.amdhsa_system_vgpr_workitem_id 1
		.amdhsa_next_free_vgpr 56
		.amdhsa_next_free_sgpr 29
		.amdhsa_reserve_vcc 1
		.amdhsa_float_round_mode_32 0
		.amdhsa_float_round_mode_16_64 0
		.amdhsa_float_denorm_mode_32 3
		.amdhsa_float_denorm_mode_16_64 3
		.amdhsa_dx10_clamp 1
		.amdhsa_ieee_mode 1
		.amdhsa_fp16_overflow 0
		.amdhsa_workgroup_processor_mode 1
		.amdhsa_memory_ordered 1
		.amdhsa_forward_progress 0
		.amdhsa_shared_vgpr_count 0
		.amdhsa_exception_fp_ieee_invalid_op 0
		.amdhsa_exception_fp_denorm_src 0
		.amdhsa_exception_fp_ieee_div_zero 0
		.amdhsa_exception_fp_ieee_overflow 0
		.amdhsa_exception_fp_ieee_underflow 0
		.amdhsa_exception_fp_ieee_inexact 0
		.amdhsa_exception_int_div_zero 0
	.end_amdhsa_kernel
	.section	.text._ZL34rocblas_syrkx_herkx_general_kernelIi19rocblas_complex_numIdELi16ELi32ELi8ELb0ELb1ELc84ELc85EKS1_S1_EviT_T0_PT8_S3_lS6_S3_lS4_PT9_S3_li,"axG",@progbits,_ZL34rocblas_syrkx_herkx_general_kernelIi19rocblas_complex_numIdELi16ELi32ELi8ELb0ELb1ELc84ELc85EKS1_S1_EviT_T0_PT8_S3_lS6_S3_lS4_PT9_S3_li,comdat
.Lfunc_end456:
	.size	_ZL34rocblas_syrkx_herkx_general_kernelIi19rocblas_complex_numIdELi16ELi32ELi8ELb0ELb1ELc84ELc85EKS1_S1_EviT_T0_PT8_S3_lS6_S3_lS4_PT9_S3_li, .Lfunc_end456-_ZL34rocblas_syrkx_herkx_general_kernelIi19rocblas_complex_numIdELi16ELi32ELi8ELb0ELb1ELc84ELc85EKS1_S1_EviT_T0_PT8_S3_lS6_S3_lS4_PT9_S3_li
                                        ; -- End function
	.section	.AMDGPU.csdata,"",@progbits
; Kernel info:
; codeLenInByte = 3884
; NumSgprs: 31
; NumVgprs: 56
; ScratchSize: 0
; MemoryBound: 0
; FloatMode: 240
; IeeeMode: 1
; LDSByteSize: 8192 bytes/workgroup (compile time only)
; SGPRBlocks: 3
; VGPRBlocks: 6
; NumSGPRsForWavesPerEU: 31
; NumVGPRsForWavesPerEU: 56
; Occupancy: 16
; WaveLimiterHint : 0
; COMPUTE_PGM_RSRC2:SCRATCH_EN: 0
; COMPUTE_PGM_RSRC2:USER_SGPR: 13
; COMPUTE_PGM_RSRC2:TRAP_HANDLER: 0
; COMPUTE_PGM_RSRC2:TGID_X_EN: 1
; COMPUTE_PGM_RSRC2:TGID_Y_EN: 1
; COMPUTE_PGM_RSRC2:TGID_Z_EN: 1
; COMPUTE_PGM_RSRC2:TIDIG_COMP_CNT: 1
	.section	.text._ZL34rocblas_syrkx_herkx_general_kernelIi19rocblas_complex_numIdELi16ELi32ELi8ELb0ELb1ELc67ELc85EKS1_S1_EviT_T0_PT8_S3_lS6_S3_lS4_PT9_S3_li,"axG",@progbits,_ZL34rocblas_syrkx_herkx_general_kernelIi19rocblas_complex_numIdELi16ELi32ELi8ELb0ELb1ELc67ELc85EKS1_S1_EviT_T0_PT8_S3_lS6_S3_lS4_PT9_S3_li,comdat
	.globl	_ZL34rocblas_syrkx_herkx_general_kernelIi19rocblas_complex_numIdELi16ELi32ELi8ELb0ELb1ELc67ELc85EKS1_S1_EviT_T0_PT8_S3_lS6_S3_lS4_PT9_S3_li ; -- Begin function _ZL34rocblas_syrkx_herkx_general_kernelIi19rocblas_complex_numIdELi16ELi32ELi8ELb0ELb1ELc67ELc85EKS1_S1_EviT_T0_PT8_S3_lS6_S3_lS4_PT9_S3_li
	.p2align	8
	.type	_ZL34rocblas_syrkx_herkx_general_kernelIi19rocblas_complex_numIdELi16ELi32ELi8ELb0ELb1ELc67ELc85EKS1_S1_EviT_T0_PT8_S3_lS6_S3_lS4_PT9_S3_li,@function
_ZL34rocblas_syrkx_herkx_general_kernelIi19rocblas_complex_numIdELi16ELi32ELi8ELb0ELb1ELc67ELc85EKS1_S1_EviT_T0_PT8_S3_lS6_S3_lS4_PT9_S3_li: ; @_ZL34rocblas_syrkx_herkx_general_kernelIi19rocblas_complex_numIdELi16ELi32ELi8ELb0ELb1ELc67ELc85EKS1_S1_EviT_T0_PT8_S3_lS6_S3_lS4_PT9_S3_li
; %bb.0:
	s_clause 0x3
	s_load_b64 s[24:25], s[0:1], 0x0
	s_load_b128 s[16:19], s[0:1], 0x8
	s_load_b64 s[26:27], s[0:1], 0x18
	s_load_b256 s[4:11], s[0:1], 0x40
	v_mov_b32_e32 v23, 0
	v_dual_mov_b32 v24, 0 :: v_dual_and_b32 v27, 0x3ff, v0
	v_bfe_u32 v28, v0, 10, 10
	s_delay_alu instid0(VALU_DEP_3) | instskip(NEXT) | instid1(VALU_DEP_3)
	v_mov_b32_e32 v19, v23
	v_dual_mov_b32 v21, v23 :: v_dual_mov_b32 v22, v24
	v_dual_mov_b32 v26, v24 :: v_dual_mov_b32 v25, v23
	;; [unrolled: 1-line block ×6, first 2 shown]
	v_mov_b32_e32 v14, v24
	s_lshl_b32 s12, s13, 5
	s_lshl_b32 s13, s14, 5
	s_waitcnt lgkmcnt(0)
	s_cmp_lt_i32 s25, 1
	s_mov_b32 s14, 0
	s_cbranch_scc1 .LBB457_9
; %bb.1:
	s_load_b32 s2, s[0:1], 0x20
	v_lshl_add_u32 v0, v28, 4, v27
	s_clause 0x1
	s_load_b128 s[20:23], s[0:1], 0x28
	s_load_b32 s3, s[0:1], 0x38
	v_and_b32_e32 v29, 7, v27
	s_mul_i32 s5, s5, s15
	v_lshlrev_b32_e32 v30, 4, v27
	v_and_b32_e32 v2, 31, v0
	v_lshrrev_b32_e32 v1, 3, v0
	v_lshlrev_b32_e32 v4, 4, v29
	v_lshrrev_b32_e32 v32, 5, v0
	v_lshl_add_u32 v31, v28, 7, 0x1000
	v_add_nc_u32_e32 v3, s12, v2
	v_add_nc_u32_e32 v5, s13, v1
	v_lshl_or_b32 v7, v1, 7, v4
	v_or_b32_e32 v6, s12, v2
	v_lshlrev_b32_e32 v2, 4, v2
	v_lshlrev_b32_e32 v8, 4, v32
	s_delay_alu instid0(VALU_DEP_4) | instskip(NEXT) | instid1(VALU_DEP_4)
	v_add_nc_u32_e32 v34, 0x1000, v7
	v_cmp_gt_i32_e32 vcc_lo, s24, v6
	s_waitcnt lgkmcnt(0)
	v_mad_i64_i32 v[0:1], null, s2, v3, 0
	s_mul_i32 s21, s21, s15
	s_mul_hi_u32 s28, s20, s15
	s_mul_i32 s20, s20, s15
	s_add_i32 s21, s28, s21
	v_lshl_or_b32 v33, v32, 9, v2
	s_lshl_b64 s[20:21], s[20:21], 4
	s_delay_alu instid0(VALU_DEP_2) | instskip(SKIP_2) | instid1(VALU_DEP_3)
	v_lshlrev_b64 v[0:1], 4, v[0:1]
	v_mad_i64_i32 v[2:3], null, s3, v5, 0
	v_cmp_gt_i32_e64 s2, s24, v5
	v_add_co_u32 v0, s3, v0, s20
	s_delay_alu instid0(VALU_DEP_1) | instskip(NEXT) | instid1(VALU_DEP_2)
	v_add_co_ci_u32_e64 v1, s3, s21, v1, s3
	v_add_co_u32 v5, s3, v0, v8
	s_delay_alu instid0(VALU_DEP_1)
	v_add_co_ci_u32_e64 v6, s3, 0, v1, s3
	s_mul_hi_u32 s3, s4, s15
	v_lshlrev_b64 v[0:1], 4, v[2:3]
	s_add_i32 s5, s3, s5
	s_mul_i32 s4, s4, s15
	v_add_co_u32 v2, s3, v5, s26
	s_lshl_b64 s[4:5], s[4:5], 4
	v_add_co_ci_u32_e64 v3, s3, s27, v6, s3
	v_mov_b32_e32 v7, 0
	v_add_co_u32 v0, s3, v0, s4
	v_mov_b32_e32 v8, 0
	v_add_co_ci_u32_e64 v1, s3, s5, v1, s3
	v_add_co_u32 v5, s3, v2, 8
	s_delay_alu instid0(VALU_DEP_1) | instskip(NEXT) | instid1(VALU_DEP_4)
	v_add_co_ci_u32_e64 v6, s3, 0, v3, s3
	v_dual_mov_b32 v12, v8 :: v_dual_mov_b32 v11, v7
	v_add_co_u32 v0, s3, v0, v4
	s_delay_alu instid0(VALU_DEP_1) | instskip(SKIP_1) | instid1(VALU_DEP_3)
	v_add_co_ci_u32_e64 v1, s3, 0, v1, s3
	v_mov_b32_e32 v14, v8
	v_add_co_u32 v9, s3, s22, v0
	v_mov_b32_e32 v18, v8
	v_mov_b32_e32 v16, v8
	;; [unrolled: 1-line block ×5, first 2 shown]
	v_dual_mov_b32 v24, v8 :: v_dual_mov_b32 v23, v7
	v_add_co_ci_u32_e64 v10, s3, s23, v1, s3
	v_dual_mov_b32 v0, 0 :: v_dual_mov_b32 v13, v7
	v_mov_b32_e32 v17, v7
	v_mov_b32_e32 v15, v7
	;; [unrolled: 1-line block ×5, first 2 shown]
	s_xor_b32 s3, s2, -1
	s_branch .LBB457_3
.LBB457_2:                              ;   in Loop: Header=BB457_3 Depth=1
	s_or_b32 exec_lo, exec_lo, s2
	s_waitcnt lgkmcnt(0)
	s_barrier
	buffer_gl0_inv
	ds_load_b128 v[1:4], v31
	ds_load_b128 v[35:38], v30
	ds_load_b128 v[39:42], v30 offset:256
	ds_load_b128 v[43:46], v31 offset:2048
	;; [unrolled: 1-line block ×9, first 2 shown]
	v_add_co_u32 v5, s2, 0x80, v5
	s_delay_alu instid0(VALU_DEP_1) | instskip(SKIP_1) | instid1(VALU_DEP_1)
	v_add_co_ci_u32_e64 v6, s2, 0, v6, s2
	v_add_co_u32 v9, s2, 0x80, v9
	v_add_co_ci_u32_e64 v10, s2, 0, v10, s2
	s_add_i32 s14, s14, 8
	s_delay_alu instid0(SALU_CYCLE_1)
	s_cmp_ge_i32 s14, s25
	s_waitcnt lgkmcnt(9)
	v_mul_f64 v[75:76], v[3:4], v[37:38]
	v_mul_f64 v[77:78], v[1:2], v[37:38]
	s_waitcnt lgkmcnt(8)
	v_mul_f64 v[79:80], v[3:4], v[41:42]
	v_mul_f64 v[81:82], v[1:2], v[41:42]
	;; [unrolled: 3-line block ×3, first 2 shown]
	v_mul_f64 v[85:86], v[45:46], v[41:42]
	v_mul_f64 v[41:42], v[43:44], v[41:42]
	s_waitcnt lgkmcnt(4)
	v_mul_f64 v[87:88], v[49:50], v[57:58]
	v_mul_f64 v[89:90], v[47:48], v[57:58]
	s_waitcnt lgkmcnt(3)
	v_mul_f64 v[91:92], v[49:50], v[61:62]
	v_mul_f64 v[93:94], v[47:48], v[61:62]
	;; [unrolled: 1-line block ×6, first 2 shown]
	s_waitcnt lgkmcnt(0)
	v_mul_f64 v[115:116], v[73:74], v[65:66]
	v_mul_f64 v[117:118], v[73:74], v[69:70]
	v_fma_f64 v[99:100], v[1:2], v[35:36], -v[75:76]
	v_fma_f64 v[101:102], v[3:4], v[35:36], v[77:78]
	v_fma_f64 v[79:80], v[1:2], v[39:40], -v[79:80]
	v_fma_f64 v[81:82], v[3:4], v[39:40], v[81:82]
	;; [unrolled: 2-line block ×4, first 2 shown]
	ds_load_b128 v[75:78], v31 offset:32
	v_fma_f64 v[87:88], v[47:48], v[55:56], -v[87:88]
	v_fma_f64 v[89:90], v[49:50], v[55:56], v[89:90]
	v_fma_f64 v[47:48], v[47:48], v[59:60], -v[91:92]
	v_fma_f64 v[49:50], v[49:50], v[59:60], v[93:94]
	;; [unrolled: 2-line block ×4, first 2 shown]
	ds_load_b128 v[1:4], v31 offset:48
	ds_load_b128 v[35:38], v31 offset:2096
	;; [unrolled: 1-line block ×4, first 2 shown]
	s_waitcnt lgkmcnt(4)
	v_mul_f64 v[107:108], v[77:78], v[65:66]
	v_mul_f64 v[109:110], v[75:76], v[65:66]
	;; [unrolled: 1-line block ×6, first 2 shown]
	s_waitcnt lgkmcnt(1)
	v_mul_f64 v[93:94], v[1:2], v[41:42]
	s_waitcnt lgkmcnt(0)
	v_mul_f64 v[95:96], v[3:4], v[45:46]
	v_add_f64 v[23:24], v[23:24], v[99:100]
	v_add_f64 v[25:26], v[25:26], v[101:102]
	;; [unrolled: 1-line block ×8, first 2 shown]
	v_mul_f64 v[85:86], v[3:4], v[41:42]
	v_mul_f64 v[97:98], v[1:2], v[45:46]
	;; [unrolled: 1-line block ×6, first 2 shown]
	ds_load_b128 v[11:14], v30 offset:2048
	ds_load_b128 v[15:18], v30 offset:2304
	;; [unrolled: 1-line block ×3, first 2 shown]
	v_fma_f64 v[105:106], v[75:76], v[63:64], -v[107:108]
	v_fma_f64 v[107:108], v[77:78], v[63:64], v[109:110]
	v_fma_f64 v[75:76], v[75:76], v[67:68], -v[111:112]
	v_fma_f64 v[77:78], v[77:78], v[67:68], v[113:114]
	;; [unrolled: 2-line block ×4, first 2 shown]
	s_waitcnt lgkmcnt(0)
	v_mul_f64 v[115:116], v[21:22], v[13:14]
	v_mul_f64 v[117:118], v[21:22], v[17:18]
	v_add_f64 v[69:70], v[23:24], v[87:88]
	v_add_f64 v[71:72], v[25:26], v[89:90]
	;; [unrolled: 1-line block ×8, first 2 shown]
	ds_load_b128 v[23:26], v31 offset:64
	v_fma_f64 v[85:86], v[1:2], v[39:40], -v[85:86]
	v_fma_f64 v[93:94], v[3:4], v[39:40], v[93:94]
	v_fma_f64 v[95:96], v[1:2], v[43:44], -v[95:96]
	v_fma_f64 v[97:98], v[3:4], v[43:44], v[97:98]
	;; [unrolled: 2-line block ×4, first 2 shown]
	ds_load_b128 v[45:48], v31 offset:80
	ds_load_b128 v[49:52], v31 offset:2128
	;; [unrolled: 1-line block ×7, first 2 shown]
	s_waitcnt lgkmcnt(7)
	v_mul_f64 v[89:90], v[25:26], v[13:14]
	v_mul_f64 v[91:92], v[23:24], v[13:14]
	;; [unrolled: 1-line block ×6, first 2 shown]
	s_waitcnt lgkmcnt(3)
	v_mul_f64 v[103:104], v[51:52], v[59:60]
	v_add_f64 v[69:70], v[69:70], v[105:106]
	v_add_f64 v[71:72], v[71:72], v[107:108]
	;; [unrolled: 1-line block ×8, first 2 shown]
	v_mul_f64 v[77:78], v[47:48], v[55:56]
	v_mul_f64 v[79:80], v[45:46], v[55:56]
	;; [unrolled: 1-line block ×7, first 2 shown]
	v_fma_f64 v[89:90], v[23:24], v[11:12], -v[89:90]
	v_fma_f64 v[91:92], v[25:26], v[11:12], v[91:92]
	v_fma_f64 v[107:108], v[23:24], v[15:16], -v[111:112]
	v_fma_f64 v[109:110], v[25:26], v[15:16], v[113:114]
	;; [unrolled: 2-line block ×4, first 2 shown]
	ds_load_b128 v[11:14], v31 offset:96
	v_add_f64 v[69:70], v[69:70], v[85:86]
	v_add_f64 v[71:72], v[71:72], v[93:94]
	;; [unrolled: 1-line block ×8, first 2 shown]
	s_waitcnt lgkmcnt(1)
	v_mul_f64 v[99:100], v[41:42], v[3:4]
	v_mul_f64 v[101:102], v[41:42], v[37:38]
	v_fma_f64 v[77:78], v[45:46], v[53:54], -v[77:78]
	v_fma_f64 v[79:80], v[47:48], v[53:54], v[79:80]
	v_fma_f64 v[45:46], v[45:46], v[57:58], -v[81:82]
	v_fma_f64 v[47:48], v[47:48], v[57:58], v[83:84]
	;; [unrolled: 2-line block ×4, first 2 shown]
	s_waitcnt lgkmcnt(0)
	v_mul_f64 v[67:68], v[13:14], v[3:4]
	v_mul_f64 v[93:94], v[11:12], v[3:4]
	;; [unrolled: 1-line block ×6, first 2 shown]
	ds_load_b128 v[15:18], v31 offset:112
	ds_load_b128 v[19:22], v31 offset:2160
	;; [unrolled: 1-line block ×4, first 2 shown]
	s_waitcnt lgkmcnt(0)
	s_barrier
	buffer_gl0_inv
	v_add_f64 v[55:56], v[69:70], v[89:90]
	v_add_f64 v[57:58], v[71:72], v[91:92]
	;; [unrolled: 1-line block ×8, first 2 shown]
	v_mul_f64 v[75:76], v[17:18], v[25:26]
	v_mul_f64 v[83:84], v[15:16], v[25:26]
	;; [unrolled: 1-line block ×8, first 2 shown]
	v_fma_f64 v[67:68], v[11:12], v[1:2], -v[67:68]
	v_fma_f64 v[93:94], v[13:14], v[1:2], v[93:94]
	v_fma_f64 v[11:12], v[11:12], v[35:36], -v[95:96]
	v_fma_f64 v[13:14], v[13:14], v[35:36], v[97:98]
	;; [unrolled: 2-line block ×4, first 2 shown]
	v_add_f64 v[37:38], v[55:56], v[77:78]
	v_add_f64 v[39:40], v[57:58], v[79:80]
	;; [unrolled: 1-line block ×8, first 2 shown]
	v_fma_f64 v[51:52], v[15:16], v[23:24], -v[75:76]
	v_fma_f64 v[55:56], v[17:18], v[23:24], v[83:84]
	v_fma_f64 v[15:16], v[15:16], v[59:60], -v[85:86]
	v_fma_f64 v[17:18], v[17:18], v[59:60], v[87:88]
	;; [unrolled: 2-line block ×4, first 2 shown]
	v_add_f64 v[19:20], v[37:38], v[67:68]
	v_add_f64 v[21:22], v[39:40], v[93:94]
	;; [unrolled: 1-line block ×16, first 2 shown]
	s_cbranch_scc1 .LBB457_9
.LBB457_3:                              ; =>This Inner Loop Header: Depth=1
	v_add_nc_u32_e32 v1, s14, v32
	v_dual_mov_b32 v3, v7 :: v_dual_mov_b32 v4, v8
	s_delay_alu instid0(VALU_DEP_2) | instskip(SKIP_1) | instid1(VALU_DEP_2)
	v_cmp_gt_i32_e64 s2, s25, v1
	v_dual_mov_b32 v1, v7 :: v_dual_mov_b32 v2, v8
	s_and_b32 s4, vcc_lo, s2
	s_delay_alu instid0(SALU_CYCLE_1)
	s_and_saveexec_b32 s2, s4
	s_cbranch_execz .LBB457_5
; %bb.4:                                ;   in Loop: Header=BB457_3 Depth=1
	global_load_b128 v[1:4], v[5:6], off offset:-8
	s_waitcnt vmcnt(0)
	v_xor_b32_e32 v4, 0x80000000, v4
.LBB457_5:                              ;   in Loop: Header=BB457_3 Depth=1
	s_or_b32 exec_lo, exec_lo, s2
	v_add_nc_u32_e32 v35, s14, v29
	ds_store_b128 v33, v[1:4]
	v_cmp_le_i32_e64 s2, s25, v35
	s_delay_alu instid0(VALU_DEP_1) | instskip(NEXT) | instid1(SALU_CYCLE_1)
	s_or_b32 s2, s2, s3
	s_and_saveexec_b32 s4, s2
	s_delay_alu instid0(SALU_CYCLE_1)
	s_xor_b32 s2, exec_lo, s4
	s_cbranch_execz .LBB457_7
; %bb.6:                                ;   in Loop: Header=BB457_3 Depth=1
	v_mov_b32_e32 v1, v0
	v_mov_b32_e32 v2, v0
	v_mov_b32_e32 v3, v0
	ds_store_b128 v34, v[0:3]
.LBB457_7:                              ;   in Loop: Header=BB457_3 Depth=1
	s_and_not1_saveexec_b32 s2, s2
	s_cbranch_execz .LBB457_2
; %bb.8:                                ;   in Loop: Header=BB457_3 Depth=1
	global_load_b128 v[1:4], v[9:10], off
	s_waitcnt vmcnt(0)
	ds_store_2addr_b64 v34, v[1:2], v[3:4] offset1:1
	s_branch .LBB457_2
.LBB457_9:
	s_clause 0x1
	s_load_b32 s2, s[0:1], 0x60
	s_load_b64 s[0:1], s[0:1], 0x68
	v_add_nc_u32_e32 v4, s13, v28
	v_add_nc_u32_e32 v0, s12, v27
	s_delay_alu instid0(VALU_DEP_2)
	v_cmp_gt_i32_e32 vcc_lo, s24, v4
	s_waitcnt lgkmcnt(0)
	v_mad_i64_i32 v[1:2], null, v4, s2, 0
	s_mul_i32 s1, s15, s1
	s_mul_hi_u32 s3, s15, s0
	s_mul_i32 s0, s15, s0
	s_add_i32 s1, s3, s1
	s_delay_alu instid0(SALU_CYCLE_1) | instskip(NEXT) | instid1(VALU_DEP_1)
	s_lshl_b64 s[4:5], s[0:1], 4
	v_lshlrev_b64 v[1:2], 4, v[1:2]
	s_add_u32 s3, s10, s4
	v_cmp_le_i32_e64 s0, v0, v4
	s_addc_u32 s4, s11, s5
	s_delay_alu instid0(VALU_DEP_2) | instskip(NEXT) | instid1(VALU_DEP_1)
	v_add_co_u32 v5, s1, s3, v1
	v_add_co_ci_u32_e64 v6, s1, s4, v2, s1
	s_delay_alu instid0(VALU_DEP_3) | instskip(NEXT) | instid1(SALU_CYCLE_1)
	s_and_b32 s0, vcc_lo, s0
	s_and_saveexec_b32 s1, s0
	s_cbranch_execz .LBB457_11
; %bb.10:
	v_ashrrev_i32_e32 v1, 31, v0
	v_mul_f64 v[27:28], s[16:17], v[25:26]
	v_mul_f64 v[25:26], s[18:19], v[25:26]
	s_delay_alu instid0(VALU_DEP_3) | instskip(NEXT) | instid1(VALU_DEP_1)
	v_lshlrev_b64 v[1:2], 4, v[0:1]
	v_add_co_u32 v1, s0, v5, v1
	s_delay_alu instid0(VALU_DEP_1)
	v_add_co_ci_u32_e64 v2, s0, v6, v2, s0
	v_cmp_ne_u32_e64 s0, v4, v0
	global_load_b128 v[7:10], v[1:2], off
	v_fma_f64 v[27:28], s[18:19], v[23:24], v[27:28]
	v_fma_f64 v[23:24], s[16:17], v[23:24], -v[25:26]
	s_waitcnt vmcnt(0)
	v_mul_f64 v[29:30], s[6:7], v[9:10]
	v_mul_f64 v[9:10], s[8:9], v[9:10]
	s_delay_alu instid0(VALU_DEP_2) | instskip(NEXT) | instid1(VALU_DEP_2)
	v_fma_f64 v[29:30], s[8:9], v[7:8], v[29:30]
	v_fma_f64 v[7:8], s[6:7], v[7:8], -v[9:10]
	s_delay_alu instid0(VALU_DEP_2) | instskip(NEXT) | instid1(VALU_DEP_2)
	v_add_f64 v[9:10], v[27:28], v[29:30]
	v_add_f64 v[7:8], v[23:24], v[7:8]
	s_delay_alu instid0(VALU_DEP_2) | instskip(NEXT) | instid1(VALU_DEP_3)
	v_cndmask_b32_e64 v10, 0, v10, s0
	v_cndmask_b32_e64 v9, 0, v9, s0
	global_store_b128 v[1:2], v[7:10], off
.LBB457_11:
	s_or_b32 exec_lo, exec_lo, s1
	v_add_nc_u32_e32 v2, 16, v0
	s_delay_alu instid0(VALU_DEP_1) | instskip(NEXT) | instid1(VALU_DEP_1)
	v_cmp_le_i32_e64 s0, v2, v4
	s_and_b32 s1, vcc_lo, s0
	s_delay_alu instid0(SALU_CYCLE_1)
	s_and_saveexec_b32 s0, s1
	s_cbranch_execz .LBB457_13
; %bb.12:
	v_ashrrev_i32_e32 v3, 31, v2
	v_mul_f64 v[23:24], s[16:17], v[21:22]
	v_mul_f64 v[21:22], s[18:19], v[21:22]
	s_delay_alu instid0(VALU_DEP_3) | instskip(NEXT) | instid1(VALU_DEP_1)
	v_lshlrev_b64 v[7:8], 4, v[2:3]
	v_add_co_u32 v9, vcc_lo, v5, v7
	s_delay_alu instid0(VALU_DEP_2)
	v_add_co_ci_u32_e32 v10, vcc_lo, v6, v8, vcc_lo
	v_cmp_ne_u32_e32 vcc_lo, v4, v2
	global_load_b128 v[5:8], v[9:10], off
	v_fma_f64 v[23:24], s[18:19], v[19:20], v[23:24]
	v_fma_f64 v[19:20], s[16:17], v[19:20], -v[21:22]
	s_waitcnt vmcnt(0)
	v_mul_f64 v[25:26], s[6:7], v[7:8]
	v_mul_f64 v[7:8], s[8:9], v[7:8]
	s_delay_alu instid0(VALU_DEP_2) | instskip(NEXT) | instid1(VALU_DEP_2)
	v_fma_f64 v[25:26], s[8:9], v[5:6], v[25:26]
	v_fma_f64 v[5:6], s[6:7], v[5:6], -v[7:8]
	s_delay_alu instid0(VALU_DEP_2) | instskip(NEXT) | instid1(VALU_DEP_2)
	v_add_f64 v[7:8], v[23:24], v[25:26]
	v_add_f64 v[5:6], v[19:20], v[5:6]
	s_delay_alu instid0(VALU_DEP_2)
	v_dual_cndmask_b32 v8, 0, v8 :: v_dual_cndmask_b32 v7, 0, v7
	global_store_b128 v[9:10], v[5:8], off
.LBB457_13:
	s_or_b32 exec_lo, exec_lo, s0
	v_add_nc_u32_e32 v3, 16, v4
	s_delay_alu instid0(VALU_DEP_1) | instskip(SKIP_2) | instid1(VALU_DEP_1)
	v_mad_i64_i32 v[5:6], null, v3, s2, 0
	v_cmp_gt_i32_e32 vcc_lo, s24, v3
	v_cmp_le_i32_e64 s0, v0, v3
	s_and_b32 s0, vcc_lo, s0
	s_delay_alu instid0(VALU_DEP_3) | instskip(NEXT) | instid1(VALU_DEP_1)
	v_lshlrev_b64 v[5:6], 4, v[5:6]
	v_add_co_u32 v5, s1, s3, v5
	s_delay_alu instid0(VALU_DEP_1)
	v_add_co_ci_u32_e64 v6, s1, s4, v6, s1
	s_and_saveexec_b32 s1, s0
	s_cbranch_execz .LBB457_15
; %bb.14:
	v_ashrrev_i32_e32 v1, 31, v0
	v_mul_f64 v[21:22], s[16:17], v[17:18]
	v_mul_f64 v[17:18], s[18:19], v[17:18]
	s_delay_alu instid0(VALU_DEP_3) | instskip(NEXT) | instid1(VALU_DEP_1)
	v_lshlrev_b64 v[7:8], 4, v[0:1]
	v_add_co_u32 v19, s0, v5, v7
	s_delay_alu instid0(VALU_DEP_1)
	v_add_co_ci_u32_e64 v20, s0, v6, v8, s0
	v_cmp_ne_u32_e64 s0, v3, v0
	global_load_b128 v[7:10], v[19:20], off
	v_fma_f64 v[21:22], s[18:19], v[15:16], v[21:22]
	v_fma_f64 v[15:16], s[16:17], v[15:16], -v[17:18]
	s_waitcnt vmcnt(0)
	v_mul_f64 v[23:24], s[6:7], v[9:10]
	v_mul_f64 v[9:10], s[8:9], v[9:10]
	s_delay_alu instid0(VALU_DEP_2) | instskip(NEXT) | instid1(VALU_DEP_2)
	v_fma_f64 v[23:24], s[8:9], v[7:8], v[23:24]
	v_fma_f64 v[7:8], s[6:7], v[7:8], -v[9:10]
	s_delay_alu instid0(VALU_DEP_2) | instskip(NEXT) | instid1(VALU_DEP_2)
	v_add_f64 v[9:10], v[21:22], v[23:24]
	v_add_f64 v[7:8], v[15:16], v[7:8]
	s_delay_alu instid0(VALU_DEP_2) | instskip(NEXT) | instid1(VALU_DEP_3)
	v_cndmask_b32_e64 v10, 0, v10, s0
	v_cndmask_b32_e64 v9, 0, v9, s0
	global_store_b128 v[19:20], v[7:10], off
.LBB457_15:
	s_or_b32 exec_lo, exec_lo, s1
	v_cmp_le_i32_e64 s0, v2, v3
	s_delay_alu instid0(VALU_DEP_1) | instskip(NEXT) | instid1(SALU_CYCLE_1)
	s_and_b32 s0, vcc_lo, s0
	s_and_saveexec_b32 s1, s0
	s_cbranch_execz .LBB457_17
; %bb.16:
	v_ashrrev_i32_e32 v3, 31, v2
	s_delay_alu instid0(VALU_DEP_1) | instskip(NEXT) | instid1(VALU_DEP_1)
	v_lshlrev_b64 v[1:2], 4, v[2:3]
	v_add_co_u32 v9, vcc_lo, v5, v1
	s_delay_alu instid0(VALU_DEP_2)
	v_add_co_ci_u32_e32 v10, vcc_lo, v6, v2, vcc_lo
	v_mul_f64 v[1:2], s[16:17], v[13:14]
	v_mul_f64 v[13:14], s[18:19], v[13:14]
	v_cmp_ne_u32_e32 vcc_lo, v4, v0
	global_load_b128 v[5:8], v[9:10], off
	v_fma_f64 v[1:2], s[18:19], v[11:12], v[1:2]
	v_fma_f64 v[11:12], s[16:17], v[11:12], -v[13:14]
	s_waitcnt vmcnt(0)
	v_mul_f64 v[15:16], s[6:7], v[7:8]
	v_mul_f64 v[7:8], s[8:9], v[7:8]
	s_delay_alu instid0(VALU_DEP_2) | instskip(NEXT) | instid1(VALU_DEP_2)
	v_fma_f64 v[15:16], s[8:9], v[5:6], v[15:16]
	v_fma_f64 v[5:6], s[6:7], v[5:6], -v[7:8]
	s_delay_alu instid0(VALU_DEP_2) | instskip(NEXT) | instid1(VALU_DEP_2)
	v_add_f64 v[7:8], v[1:2], v[15:16]
	v_add_f64 v[1:2], v[11:12], v[5:6]
	s_delay_alu instid0(VALU_DEP_2)
	v_dual_cndmask_b32 v4, 0, v8 :: v_dual_cndmask_b32 v3, 0, v7
	global_store_b128 v[9:10], v[1:4], off
.LBB457_17:
	s_nop 0
	s_sendmsg sendmsg(MSG_DEALLOC_VGPRS)
	s_endpgm
	.section	.rodata,"a",@progbits
	.p2align	6, 0x0
	.amdhsa_kernel _ZL34rocblas_syrkx_herkx_general_kernelIi19rocblas_complex_numIdELi16ELi32ELi8ELb0ELb1ELc67ELc85EKS1_S1_EviT_T0_PT8_S3_lS6_S3_lS4_PT9_S3_li
		.amdhsa_group_segment_fixed_size 8192
		.amdhsa_private_segment_fixed_size 0
		.amdhsa_kernarg_size 116
		.amdhsa_user_sgpr_count 13
		.amdhsa_user_sgpr_dispatch_ptr 0
		.amdhsa_user_sgpr_queue_ptr 0
		.amdhsa_user_sgpr_kernarg_segment_ptr 1
		.amdhsa_user_sgpr_dispatch_id 0
		.amdhsa_user_sgpr_private_segment_size 0
		.amdhsa_wavefront_size32 1
		.amdhsa_uses_dynamic_stack 0
		.amdhsa_enable_private_segment 0
		.amdhsa_system_sgpr_workgroup_id_x 1
		.amdhsa_system_sgpr_workgroup_id_y 1
		.amdhsa_system_sgpr_workgroup_id_z 1
		.amdhsa_system_sgpr_workgroup_info 0
		.amdhsa_system_vgpr_workitem_id 1
		.amdhsa_next_free_vgpr 121
		.amdhsa_next_free_sgpr 29
		.amdhsa_reserve_vcc 1
		.amdhsa_float_round_mode_32 0
		.amdhsa_float_round_mode_16_64 0
		.amdhsa_float_denorm_mode_32 3
		.amdhsa_float_denorm_mode_16_64 3
		.amdhsa_dx10_clamp 1
		.amdhsa_ieee_mode 1
		.amdhsa_fp16_overflow 0
		.amdhsa_workgroup_processor_mode 1
		.amdhsa_memory_ordered 1
		.amdhsa_forward_progress 0
		.amdhsa_shared_vgpr_count 0
		.amdhsa_exception_fp_ieee_invalid_op 0
		.amdhsa_exception_fp_denorm_src 0
		.amdhsa_exception_fp_ieee_div_zero 0
		.amdhsa_exception_fp_ieee_overflow 0
		.amdhsa_exception_fp_ieee_underflow 0
		.amdhsa_exception_fp_ieee_inexact 0
		.amdhsa_exception_int_div_zero 0
	.end_amdhsa_kernel
	.section	.text._ZL34rocblas_syrkx_herkx_general_kernelIi19rocblas_complex_numIdELi16ELi32ELi8ELb0ELb1ELc67ELc85EKS1_S1_EviT_T0_PT8_S3_lS6_S3_lS4_PT9_S3_li,"axG",@progbits,_ZL34rocblas_syrkx_herkx_general_kernelIi19rocblas_complex_numIdELi16ELi32ELi8ELb0ELb1ELc67ELc85EKS1_S1_EviT_T0_PT8_S3_lS6_S3_lS4_PT9_S3_li,comdat
.Lfunc_end457:
	.size	_ZL34rocblas_syrkx_herkx_general_kernelIi19rocblas_complex_numIdELi16ELi32ELi8ELb0ELb1ELc67ELc85EKS1_S1_EviT_T0_PT8_S3_lS6_S3_lS4_PT9_S3_li, .Lfunc_end457-_ZL34rocblas_syrkx_herkx_general_kernelIi19rocblas_complex_numIdELi16ELi32ELi8ELb0ELb1ELc67ELc85EKS1_S1_EviT_T0_PT8_S3_lS6_S3_lS4_PT9_S3_li
                                        ; -- End function
	.section	.AMDGPU.csdata,"",@progbits
; Kernel info:
; codeLenInByte = 3620
; NumSgprs: 31
; NumVgprs: 121
; ScratchSize: 0
; MemoryBound: 1
; FloatMode: 240
; IeeeMode: 1
; LDSByteSize: 8192 bytes/workgroup (compile time only)
; SGPRBlocks: 3
; VGPRBlocks: 15
; NumSGPRsForWavesPerEU: 31
; NumVGPRsForWavesPerEU: 121
; Occupancy: 10
; WaveLimiterHint : 0
; COMPUTE_PGM_RSRC2:SCRATCH_EN: 0
; COMPUTE_PGM_RSRC2:USER_SGPR: 13
; COMPUTE_PGM_RSRC2:TRAP_HANDLER: 0
; COMPUTE_PGM_RSRC2:TGID_X_EN: 1
; COMPUTE_PGM_RSRC2:TGID_Y_EN: 1
; COMPUTE_PGM_RSRC2:TGID_Z_EN: 1
; COMPUTE_PGM_RSRC2:TIDIG_COMP_CNT: 1
	.section	.text._ZL34rocblas_syrkx_herkx_general_kernelIi19rocblas_complex_numIdELi16ELi32ELi8ELb0ELb1ELc78ELc85EKS1_S1_EviT_T0_PT8_S3_lS6_S3_lS4_PT9_S3_li,"axG",@progbits,_ZL34rocblas_syrkx_herkx_general_kernelIi19rocblas_complex_numIdELi16ELi32ELi8ELb0ELb1ELc78ELc85EKS1_S1_EviT_T0_PT8_S3_lS6_S3_lS4_PT9_S3_li,comdat
	.globl	_ZL34rocblas_syrkx_herkx_general_kernelIi19rocblas_complex_numIdELi16ELi32ELi8ELb0ELb1ELc78ELc85EKS1_S1_EviT_T0_PT8_S3_lS6_S3_lS4_PT9_S3_li ; -- Begin function _ZL34rocblas_syrkx_herkx_general_kernelIi19rocblas_complex_numIdELi16ELi32ELi8ELb0ELb1ELc78ELc85EKS1_S1_EviT_T0_PT8_S3_lS6_S3_lS4_PT9_S3_li
	.p2align	8
	.type	_ZL34rocblas_syrkx_herkx_general_kernelIi19rocblas_complex_numIdELi16ELi32ELi8ELb0ELb1ELc78ELc85EKS1_S1_EviT_T0_PT8_S3_lS6_S3_lS4_PT9_S3_li,@function
_ZL34rocblas_syrkx_herkx_general_kernelIi19rocblas_complex_numIdELi16ELi32ELi8ELb0ELb1ELc78ELc85EKS1_S1_EviT_T0_PT8_S3_lS6_S3_lS4_PT9_S3_li: ; @_ZL34rocblas_syrkx_herkx_general_kernelIi19rocblas_complex_numIdELi16ELi32ELi8ELb0ELb1ELc78ELc85EKS1_S1_EviT_T0_PT8_S3_lS6_S3_lS4_PT9_S3_li
; %bb.0:
	s_clause 0x3
	s_load_b64 s[24:25], s[0:1], 0x0
	s_load_b128 s[16:19], s[0:1], 0x8
	s_load_b64 s[26:27], s[0:1], 0x18
	s_load_b256 s[4:11], s[0:1], 0x40
	v_mov_b32_e32 v21, 0
	v_dual_mov_b32 v22, 0 :: v_dual_and_b32 v25, 0x3ff, v0
	v_bfe_u32 v26, v0, 10, 10
	s_delay_alu instid0(VALU_DEP_3) | instskip(NEXT) | instid1(VALU_DEP_3)
	v_mov_b32_e32 v17, v21
	v_dual_mov_b32 v19, v21 :: v_dual_mov_b32 v20, v22
	v_dual_mov_b32 v24, v22 :: v_dual_mov_b32 v23, v21
	;; [unrolled: 1-line block ×6, first 2 shown]
	v_mov_b32_e32 v10, v22
	s_lshl_b32 s30, s13, 5
	s_lshl_b32 s14, s14, 5
	s_waitcnt lgkmcnt(0)
	s_cmp_lt_i32 s25, 1
	s_mov_b32 s31, 0
	s_cbranch_scc1 .LBB458_9
; %bb.1:
	s_load_b32 s12, s[0:1], 0x20
	v_lshl_add_u32 v0, v26, 4, v25
	s_clause 0x1
	s_load_b128 s[20:23], s[0:1], 0x28
	s_load_b32 s28, s[0:1], 0x38
	v_and_b32_e32 v27, 7, v25
	v_dual_mov_b32 v9, 0 :: v_dual_lshlrev_b32 v28, 4, v25
	v_and_b32_e32 v1, 31, v0
	v_lshrrev_b32_e32 v2, 3, v0
	v_lshrrev_b32_e32 v30, 5, v0
	v_dual_mov_b32 v10, 0 :: v_dual_lshlrev_b32 v3, 4, v27
	s_delay_alu instid0(VALU_DEP_4) | instskip(SKIP_2) | instid1(VALU_DEP_4)
	v_or_b32_e32 v4, s30, v1
	v_lshlrev_b32_e32 v5, 4, v1
	v_add_nc_u32_e32 v0, s14, v2
	v_dual_mov_b32 v12, v10 :: v_dual_mov_b32 v11, v9
	v_lshl_or_b32 v6, v2, 7, v3
	v_cmp_gt_i32_e64 s2, s24, v4
	v_mov_b32_e32 v16, v10
	v_lshl_or_b32 v31, v30, 9, v5
	s_waitcnt lgkmcnt(0)
	v_mad_i64_i32 v[3:4], null, v30, s12, 0
	s_mul_i32 s3, s21, s15
	s_mul_hi_u32 s21, s20, s15
	v_add_nc_u32_e32 v32, 0x1000, v6
	v_mad_i64_i32 v[5:6], null, s28, v27, 0
	v_dual_mov_b32 v15, v9 :: v_dual_add_nc_u32 v2, s30, v1
	s_delay_alu instid0(VALU_DEP_4)
	v_lshlrev_b64 v[3:4], 4, v[3:4]
	s_mul_i32 s20, s20, s15
	s_add_i32 s21, s21, s3
	v_ashrrev_i32_e32 v1, 31, v0
	s_lshl_b64 s[20:21], s[20:21], 4
	v_cmp_gt_i32_e32 vcc_lo, s24, v0
	v_add_co_u32 v7, s3, v3, s20
	v_ashrrev_i32_e32 v3, 31, v2
	v_add_co_ci_u32_e64 v8, s3, s21, v4, s3
	s_mul_i32 s3, s5, s15
	s_mul_hi_u32 s5, s4, s15
	v_lshlrev_b64 v[4:5], 4, v[5:6]
	s_add_i32 s5, s5, s3
	s_mul_i32 s4, s4, s15
	v_lshlrev_b64 v[2:3], 4, v[2:3]
	s_lshl_b64 s[4:5], s[4:5], 4
	v_lshlrev_b64 v[0:1], 4, v[0:1]
	v_add_co_u32 v4, s3, s4, v4
	s_delay_alu instid0(VALU_DEP_1) | instskip(NEXT) | instid1(VALU_DEP_4)
	v_add_co_ci_u32_e64 v5, s3, s5, v5, s3
	v_add_co_u32 v2, s3, v7, v2
	s_delay_alu instid0(VALU_DEP_1) | instskip(NEXT) | instid1(VALU_DEP_4)
	v_add_co_ci_u32_e64 v3, s3, v8, v3, s3
	;; [unrolled: 3-line block ×4, first 2 shown]
	v_add_co_u32 v0, s3, v0, s22
	s_delay_alu instid0(VALU_DEP_1) | instskip(SKIP_1) | instid1(VALU_DEP_3)
	v_add_co_ci_u32_e64 v1, s3, s23, v1, s3
	v_mov_b32_e32 v14, v10
	v_add_co_u32 v7, s3, v0, 8
	v_mov_b32_e32 v20, v10
	v_mov_b32_e32 v18, v10
	;; [unrolled: 1-line block ×3, first 2 shown]
	v_dual_mov_b32 v22, v10 :: v_dual_mov_b32 v21, v9
	v_lshl_add_u32 v29, v26, 7, 0x1000
	v_add_co_ci_u32_e64 v8, s3, 0, v1, s3
	v_dual_mov_b32 v0, 0 :: v_dual_mov_b32 v13, v9
	v_mov_b32_e32 v19, v9
	v_mov_b32_e32 v17, v9
	;; [unrolled: 1-line block ×3, first 2 shown]
	s_ashr_i32 s13, s12, 31
	s_ashr_i32 s29, s28, 31
	s_lshl_b64 s[4:5], s[12:13], 7
	s_lshl_b64 s[12:13], s[28:29], 7
	s_xor_b32 s3, s2, -1
	s_branch .LBB458_3
.LBB458_2:                              ;   in Loop: Header=BB458_3 Depth=1
	s_or_b32 exec_lo, exec_lo, s2
	ds_store_b128 v32, v[1:4]
	s_waitcnt lgkmcnt(0)
	s_barrier
	buffer_gl0_inv
	ds_load_b128 v[1:4], v29
	ds_load_b128 v[33:36], v28
	ds_load_b128 v[37:40], v28 offset:256
	ds_load_b128 v[41:44], v29 offset:2048
	;; [unrolled: 1-line block ×9, first 2 shown]
	v_add_co_u32 v5, s2, v5, s4
	s_delay_alu instid0(VALU_DEP_1) | instskip(SKIP_1) | instid1(VALU_DEP_1)
	v_add_co_ci_u32_e64 v6, s2, s5, v6, s2
	v_add_co_u32 v7, s2, v7, s12
	v_add_co_ci_u32_e64 v8, s2, s13, v8, s2
	s_add_i32 s31, s31, 8
	s_delay_alu instid0(SALU_CYCLE_1)
	s_cmp_ge_i32 s31, s25
	s_waitcnt lgkmcnt(9)
	v_mul_f64 v[73:74], v[3:4], v[35:36]
	v_mul_f64 v[75:76], v[1:2], v[35:36]
	s_waitcnt lgkmcnt(8)
	v_mul_f64 v[77:78], v[3:4], v[39:40]
	v_mul_f64 v[79:80], v[1:2], v[39:40]
	;; [unrolled: 3-line block ×3, first 2 shown]
	v_mul_f64 v[83:84], v[43:44], v[39:40]
	v_mul_f64 v[39:40], v[41:42], v[39:40]
	s_waitcnt lgkmcnt(4)
	v_mul_f64 v[85:86], v[47:48], v[55:56]
	v_mul_f64 v[87:88], v[45:46], v[55:56]
	s_waitcnt lgkmcnt(3)
	v_mul_f64 v[89:90], v[47:48], v[59:60]
	v_mul_f64 v[91:92], v[45:46], v[59:60]
	v_mul_f64 v[93:94], v[51:52], v[55:56]
	v_mul_f64 v[55:56], v[49:50], v[55:56]
	v_mul_f64 v[95:96], v[51:52], v[59:60]
	v_mul_f64 v[59:60], v[49:50], v[59:60]
	v_fma_f64 v[97:98], v[1:2], v[33:34], -v[73:74]
	v_fma_f64 v[99:100], v[3:4], v[33:34], v[75:76]
	ds_load_b128 v[73:76], v29 offset:32
	v_fma_f64 v[77:78], v[1:2], v[37:38], -v[77:78]
	v_fma_f64 v[79:80], v[3:4], v[37:38], v[79:80]
	v_fma_f64 v[81:82], v[41:42], v[33:34], -v[81:82]
	v_fma_f64 v[101:102], v[43:44], v[33:34], v[35:36]
	;; [unrolled: 2-line block ×3, first 2 shown]
	s_waitcnt lgkmcnt(1)
	v_mul_f64 v[113:114], v[71:72], v[63:64]
	v_fma_f64 v[85:86], v[45:46], v[53:54], -v[85:86]
	v_fma_f64 v[87:88], v[47:48], v[53:54], v[87:88]
	v_fma_f64 v[45:46], v[45:46], v[57:58], -v[89:90]
	v_fma_f64 v[47:48], v[47:48], v[57:58], v[91:92]
	v_mul_f64 v[89:90], v[71:72], v[67:68]
	v_fma_f64 v[91:92], v[49:50], v[53:54], -v[93:94]
	v_fma_f64 v[53:54], v[51:52], v[53:54], v[55:56]
	v_fma_f64 v[49:50], v[49:50], v[57:58], -v[95:96]
	v_fma_f64 v[51:52], v[51:52], v[57:58], v[59:60]
	ds_load_b128 v[1:4], v29 offset:48
	ds_load_b128 v[33:36], v29 offset:2096
	;; [unrolled: 1-line block ×4, first 2 shown]
	s_waitcnt lgkmcnt(4)
	v_mul_f64 v[105:106], v[75:76], v[63:64]
	v_mul_f64 v[107:108], v[73:74], v[63:64]
	;; [unrolled: 1-line block ×6, first 2 shown]
	s_waitcnt lgkmcnt(1)
	v_mul_f64 v[93:94], v[1:2], v[39:40]
	v_add_f64 v[21:22], v[21:22], v[97:98]
	v_add_f64 v[23:24], v[23:24], v[99:100]
	;; [unrolled: 1-line block ×8, first 2 shown]
	v_mul_f64 v[83:84], v[3:4], v[39:40]
	s_waitcnt lgkmcnt(0)
	v_mul_f64 v[95:96], v[3:4], v[43:44]
	v_mul_f64 v[97:98], v[1:2], v[43:44]
	;; [unrolled: 1-line block ×6, first 2 shown]
	ds_load_b128 v[9:12], v28 offset:2048
	ds_load_b128 v[13:16], v28 offset:2304
	;; [unrolled: 1-line block ×3, first 2 shown]
	v_fma_f64 v[105:106], v[73:74], v[61:62], -v[105:106]
	v_fma_f64 v[107:108], v[75:76], v[61:62], v[107:108]
	v_fma_f64 v[73:74], v[73:74], v[65:66], -v[109:110]
	v_fma_f64 v[75:76], v[75:76], v[65:66], v[111:112]
	;; [unrolled: 2-line block ×4, first 2 shown]
	s_waitcnt lgkmcnt(0)
	v_mul_f64 v[113:114], v[19:20], v[11:12]
	v_mul_f64 v[115:116], v[19:20], v[15:16]
	v_fma_f64 v[93:94], v[3:4], v[37:38], v[93:94]
	v_add_f64 v[67:68], v[21:22], v[85:86]
	v_add_f64 v[69:70], v[23:24], v[87:88]
	;; [unrolled: 1-line block ×8, first 2 shown]
	ds_load_b128 v[21:24], v29 offset:64
	v_fma_f64 v[83:84], v[1:2], v[37:38], -v[83:84]
	v_fma_f64 v[95:96], v[1:2], v[41:42], -v[95:96]
	v_fma_f64 v[97:98], v[3:4], v[41:42], v[97:98]
	v_fma_f64 v[99:100], v[33:34], v[37:38], -v[99:100]
	v_fma_f64 v[117:118], v[35:36], v[37:38], v[39:40]
	;; [unrolled: 2-line block ×3, first 2 shown]
	ds_load_b128 v[43:46], v29 offset:80
	ds_load_b128 v[47:50], v29 offset:2128
	;; [unrolled: 1-line block ×7, first 2 shown]
	s_waitcnt lgkmcnt(7)
	v_mul_f64 v[87:88], v[23:24], v[11:12]
	v_mul_f64 v[89:90], v[21:22], v[11:12]
	;; [unrolled: 1-line block ×6, first 2 shown]
	s_waitcnt lgkmcnt(3)
	v_mul_f64 v[103:104], v[49:50], v[57:58]
	v_add_f64 v[67:68], v[67:68], v[105:106]
	v_add_f64 v[69:70], v[69:70], v[107:108]
	;; [unrolled: 1-line block ×8, first 2 shown]
	v_mul_f64 v[75:76], v[45:46], v[53:54]
	v_mul_f64 v[77:78], v[43:44], v[53:54]
	;; [unrolled: 1-line block ×7, first 2 shown]
	v_fma_f64 v[109:110], v[17:18], v[9:10], -v[113:114]
	v_fma_f64 v[113:114], v[17:18], v[13:14], -v[115:116]
	;; [unrolled: 1-line block ×3, first 2 shown]
	v_fma_f64 v[89:90], v[23:24], v[9:10], v[89:90]
	v_fma_f64 v[91:92], v[21:22], v[13:14], -v[91:92]
	v_fma_f64 v[107:108], v[23:24], v[13:14], v[111:112]
	v_fma_f64 v[111:112], v[19:20], v[9:10], v[11:12]
	;; [unrolled: 1-line block ×3, first 2 shown]
	ds_load_b128 v[9:12], v29 offset:96
	v_add_f64 v[67:68], v[67:68], v[83:84]
	v_add_f64 v[69:70], v[69:70], v[93:94]
	v_add_f64 v[71:72], v[71:72], v[95:96]
	v_add_f64 v[73:74], v[73:74], v[97:98]
	v_add_f64 v[83:84], v[59:60], v[99:100]
	v_add_f64 v[61:62], v[61:62], v[117:118]
	v_add_f64 v[63:64], v[63:64], v[101:102]
	v_add_f64 v[41:42], v[65:66], v[41:42]
	s_waitcnt lgkmcnt(1)
	v_mul_f64 v[99:100], v[39:40], v[3:4]
	v_fma_f64 v[75:76], v[43:44], v[51:52], -v[75:76]
	v_fma_f64 v[77:78], v[45:46], v[51:52], v[77:78]
	v_fma_f64 v[43:44], v[43:44], v[55:56], -v[79:80]
	v_fma_f64 v[45:46], v[45:46], v[55:56], v[81:82]
	v_mul_f64 v[79:80], v[39:40], v[35:36]
	v_fma_f64 v[81:82], v[47:48], v[51:52], -v[85:86]
	v_fma_f64 v[51:52], v[49:50], v[51:52], v[53:54]
	s_waitcnt lgkmcnt(0)
	v_mul_f64 v[65:66], v[11:12], v[3:4]
	v_mul_f64 v[93:94], v[9:10], v[3:4]
	;; [unrolled: 1-line block ×6, first 2 shown]
	v_fma_f64 v[47:48], v[47:48], v[55:56], -v[103:104]
	v_fma_f64 v[49:50], v[49:50], v[55:56], v[105:106]
	ds_load_b128 v[13:16], v29 offset:112
	ds_load_b128 v[17:20], v29 offset:2160
	;; [unrolled: 1-line block ×4, first 2 shown]
	s_waitcnt lgkmcnt(0)
	s_barrier
	buffer_gl0_inv
	v_add_f64 v[53:54], v[67:68], v[87:88]
	v_add_f64 v[55:56], v[69:70], v[89:90]
	;; [unrolled: 1-line block ×8, first 2 shown]
	v_mul_f64 v[73:74], v[15:16], v[23:24]
	v_mul_f64 v[83:84], v[13:14], v[23:24]
	;; [unrolled: 1-line block ×8, first 2 shown]
	v_fma_f64 v[65:66], v[9:10], v[1:2], -v[65:66]
	v_fma_f64 v[93:94], v[11:12], v[1:2], v[93:94]
	v_fma_f64 v[9:10], v[9:10], v[33:34], -v[95:96]
	v_fma_f64 v[11:12], v[11:12], v[33:34], v[97:98]
	;; [unrolled: 2-line block ×4, first 2 shown]
	v_add_f64 v[35:36], v[53:54], v[75:76]
	v_add_f64 v[37:38], v[55:56], v[77:78]
	;; [unrolled: 1-line block ×8, first 2 shown]
	v_fma_f64 v[49:50], v[13:14], v[21:22], -v[73:74]
	v_fma_f64 v[53:54], v[15:16], v[21:22], v[83:84]
	v_fma_f64 v[13:14], v[13:14], v[57:58], -v[85:86]
	v_fma_f64 v[15:16], v[15:16], v[57:58], v[87:88]
	;; [unrolled: 2-line block ×4, first 2 shown]
	v_add_f64 v[17:18], v[35:36], v[65:66]
	v_add_f64 v[19:20], v[37:38], v[93:94]
	;; [unrolled: 1-line block ×16, first 2 shown]
	s_cbranch_scc1 .LBB458_9
.LBB458_3:                              ; =>This Inner Loop Header: Depth=1
	v_add_nc_u32_e32 v1, s31, v30
	s_delay_alu instid0(VALU_DEP_1) | instskip(NEXT) | instid1(VALU_DEP_1)
	v_cmp_le_i32_e64 s2, s25, v1
	s_or_b32 s2, s3, s2
	s_delay_alu instid0(SALU_CYCLE_1) | instskip(NEXT) | instid1(SALU_CYCLE_1)
	s_and_saveexec_b32 s20, s2
	s_xor_b32 s2, exec_lo, s20
	s_cbranch_execz .LBB458_5
; %bb.4:                                ;   in Loop: Header=BB458_3 Depth=1
	v_mov_b32_e32 v1, v0
	v_mov_b32_e32 v2, v0
	;; [unrolled: 1-line block ×3, first 2 shown]
	ds_store_b128 v31, v[0:3]
.LBB458_5:                              ;   in Loop: Header=BB458_3 Depth=1
	s_and_not1_saveexec_b32 s2, s2
	s_cbranch_execz .LBB458_7
; %bb.6:                                ;   in Loop: Header=BB458_3 Depth=1
	global_load_b128 v[1:4], v[5:6], off
	s_waitcnt vmcnt(0)
	ds_store_2addr_b64 v31, v[1:2], v[3:4] offset1:1
.LBB458_7:                              ;   in Loop: Header=BB458_3 Depth=1
	s_or_b32 exec_lo, exec_lo, s2
	v_add_nc_u32_e32 v3, s31, v27
	v_mov_b32_e32 v1, 0
	v_mov_b32_e32 v2, 0
	s_delay_alu instid0(VALU_DEP_3) | instskip(NEXT) | instid1(VALU_DEP_2)
	v_cmp_gt_i32_e64 s2, s25, v3
	v_dual_mov_b32 v4, v2 :: v_dual_mov_b32 v3, v1
	s_delay_alu instid0(VALU_DEP_2) | instskip(NEXT) | instid1(SALU_CYCLE_1)
	s_and_b32 s20, s2, vcc_lo
	s_and_saveexec_b32 s2, s20
	s_cbranch_execz .LBB458_2
; %bb.8:                                ;   in Loop: Header=BB458_3 Depth=1
	global_load_b128 v[1:4], v[7:8], off offset:-8
	s_waitcnt vmcnt(0)
	v_xor_b32_e32 v4, 0x80000000, v4
	s_branch .LBB458_2
.LBB458_9:
	s_clause 0x1
	s_load_b32 s2, s[0:1], 0x60
	s_load_b64 s[0:1], s[0:1], 0x68
	v_add_nc_u32_e32 v4, s14, v26
	v_add_nc_u32_e32 v0, s30, v25
	s_delay_alu instid0(VALU_DEP_2)
	v_cmp_gt_i32_e32 vcc_lo, s24, v4
	s_waitcnt lgkmcnt(0)
	v_mad_i64_i32 v[1:2], null, v4, s2, 0
	s_mul_i32 s1, s15, s1
	s_mul_hi_u32 s3, s15, s0
	s_mul_i32 s0, s15, s0
	s_add_i32 s1, s3, s1
	s_delay_alu instid0(SALU_CYCLE_1) | instskip(NEXT) | instid1(VALU_DEP_1)
	s_lshl_b64 s[4:5], s[0:1], 4
	v_lshlrev_b64 v[1:2], 4, v[1:2]
	s_add_u32 s3, s10, s4
	v_cmp_le_i32_e64 s0, v0, v4
	s_addc_u32 s4, s11, s5
	s_delay_alu instid0(VALU_DEP_2) | instskip(NEXT) | instid1(VALU_DEP_1)
	v_add_co_u32 v5, s1, s3, v1
	v_add_co_ci_u32_e64 v6, s1, s4, v2, s1
	s_delay_alu instid0(VALU_DEP_3) | instskip(NEXT) | instid1(SALU_CYCLE_1)
	s_and_b32 s0, vcc_lo, s0
	s_and_saveexec_b32 s1, s0
	s_cbranch_execz .LBB458_11
; %bb.10:
	v_ashrrev_i32_e32 v1, 31, v0
	v_mul_f64 v[7:8], s[16:17], v[23:24]
	v_mul_f64 v[23:24], s[18:19], v[23:24]
	s_delay_alu instid0(VALU_DEP_3) | instskip(NEXT) | instid1(VALU_DEP_1)
	v_lshlrev_b64 v[1:2], 4, v[0:1]
	v_add_co_u32 v1, s0, v5, v1
	s_delay_alu instid0(VALU_DEP_1)
	v_add_co_ci_u32_e64 v2, s0, v6, v2, s0
	v_cmp_ne_u32_e64 s0, v4, v0
	global_load_b128 v[25:28], v[1:2], off
	v_fma_f64 v[7:8], s[18:19], v[21:22], v[7:8]
	v_fma_f64 v[21:22], s[16:17], v[21:22], -v[23:24]
	s_waitcnt vmcnt(0)
	v_mul_f64 v[29:30], s[6:7], v[27:28]
	v_mul_f64 v[27:28], s[8:9], v[27:28]
	s_delay_alu instid0(VALU_DEP_2) | instskip(NEXT) | instid1(VALU_DEP_2)
	v_fma_f64 v[29:30], s[8:9], v[25:26], v[29:30]
	v_fma_f64 v[23:24], s[6:7], v[25:26], -v[27:28]
	s_delay_alu instid0(VALU_DEP_2) | instskip(NEXT) | instid1(VALU_DEP_2)
	v_add_f64 v[7:8], v[7:8], v[29:30]
	v_add_f64 v[21:22], v[21:22], v[23:24]
	s_delay_alu instid0(VALU_DEP_2) | instskip(NEXT) | instid1(VALU_DEP_3)
	v_cndmask_b32_e64 v24, 0, v8, s0
	v_cndmask_b32_e64 v23, 0, v7, s0
	global_store_b128 v[1:2], v[21:24], off
.LBB458_11:
	s_or_b32 exec_lo, exec_lo, s1
	v_add_nc_u32_e32 v2, 16, v0
	s_delay_alu instid0(VALU_DEP_1) | instskip(NEXT) | instid1(VALU_DEP_1)
	v_cmp_le_i32_e64 s0, v2, v4
	s_and_b32 s1, vcc_lo, s0
	s_delay_alu instid0(SALU_CYCLE_1)
	s_and_saveexec_b32 s0, s1
	s_cbranch_execz .LBB458_13
; %bb.12:
	v_ashrrev_i32_e32 v3, 31, v2
	v_mul_f64 v[23:24], s[16:17], v[19:20]
	v_mul_f64 v[19:20], s[18:19], v[19:20]
	s_delay_alu instid0(VALU_DEP_3) | instskip(NEXT) | instid1(VALU_DEP_1)
	v_lshlrev_b64 v[7:8], 4, v[2:3]
	v_add_co_u32 v21, vcc_lo, v5, v7
	s_delay_alu instid0(VALU_DEP_2)
	v_add_co_ci_u32_e32 v22, vcc_lo, v6, v8, vcc_lo
	v_cmp_ne_u32_e32 vcc_lo, v4, v2
	global_load_b128 v[5:8], v[21:22], off
	v_fma_f64 v[23:24], s[18:19], v[17:18], v[23:24]
	v_fma_f64 v[17:18], s[16:17], v[17:18], -v[19:20]
	s_waitcnt vmcnt(0)
	v_mul_f64 v[25:26], s[6:7], v[7:8]
	v_mul_f64 v[7:8], s[8:9], v[7:8]
	s_delay_alu instid0(VALU_DEP_2) | instskip(NEXT) | instid1(VALU_DEP_2)
	v_fma_f64 v[25:26], s[8:9], v[5:6], v[25:26]
	v_fma_f64 v[5:6], s[6:7], v[5:6], -v[7:8]
	s_delay_alu instid0(VALU_DEP_2) | instskip(NEXT) | instid1(VALU_DEP_2)
	v_add_f64 v[7:8], v[23:24], v[25:26]
	v_add_f64 v[5:6], v[17:18], v[5:6]
	s_delay_alu instid0(VALU_DEP_2)
	v_dual_cndmask_b32 v8, 0, v8 :: v_dual_cndmask_b32 v7, 0, v7
	global_store_b128 v[21:22], v[5:8], off
.LBB458_13:
	s_or_b32 exec_lo, exec_lo, s0
	v_add_nc_u32_e32 v3, 16, v4
	s_delay_alu instid0(VALU_DEP_1) | instskip(SKIP_2) | instid1(VALU_DEP_1)
	v_mad_i64_i32 v[5:6], null, v3, s2, 0
	v_cmp_gt_i32_e32 vcc_lo, s24, v3
	v_cmp_le_i32_e64 s0, v0, v3
	s_and_b32 s0, vcc_lo, s0
	s_delay_alu instid0(VALU_DEP_3) | instskip(NEXT) | instid1(VALU_DEP_1)
	v_lshlrev_b64 v[5:6], 4, v[5:6]
	v_add_co_u32 v5, s1, s3, v5
	s_delay_alu instid0(VALU_DEP_1)
	v_add_co_ci_u32_e64 v6, s1, s4, v6, s1
	s_and_saveexec_b32 s1, s0
	s_cbranch_execz .LBB458_15
; %bb.14:
	v_ashrrev_i32_e32 v1, 31, v0
	v_mul_f64 v[21:22], s[16:17], v[15:16]
	v_mul_f64 v[15:16], s[18:19], v[15:16]
	s_delay_alu instid0(VALU_DEP_3) | instskip(NEXT) | instid1(VALU_DEP_1)
	v_lshlrev_b64 v[7:8], 4, v[0:1]
	v_add_co_u32 v7, s0, v5, v7
	s_delay_alu instid0(VALU_DEP_1)
	v_add_co_ci_u32_e64 v8, s0, v6, v8, s0
	v_cmp_ne_u32_e64 s0, v3, v0
	global_load_b128 v[17:20], v[7:8], off
	v_fma_f64 v[21:22], s[18:19], v[13:14], v[21:22]
	v_fma_f64 v[13:14], s[16:17], v[13:14], -v[15:16]
	s_waitcnt vmcnt(0)
	v_mul_f64 v[23:24], s[6:7], v[19:20]
	v_mul_f64 v[19:20], s[8:9], v[19:20]
	s_delay_alu instid0(VALU_DEP_2) | instskip(NEXT) | instid1(VALU_DEP_2)
	v_fma_f64 v[23:24], s[8:9], v[17:18], v[23:24]
	v_fma_f64 v[15:16], s[6:7], v[17:18], -v[19:20]
	s_delay_alu instid0(VALU_DEP_2) | instskip(NEXT) | instid1(VALU_DEP_2)
	v_add_f64 v[17:18], v[21:22], v[23:24]
	v_add_f64 v[13:14], v[13:14], v[15:16]
	s_delay_alu instid0(VALU_DEP_2) | instskip(NEXT) | instid1(VALU_DEP_3)
	v_cndmask_b32_e64 v16, 0, v18, s0
	v_cndmask_b32_e64 v15, 0, v17, s0
	global_store_b128 v[7:8], v[13:16], off
.LBB458_15:
	s_or_b32 exec_lo, exec_lo, s1
	v_cmp_le_i32_e64 s0, v2, v3
	s_delay_alu instid0(VALU_DEP_1) | instskip(NEXT) | instid1(SALU_CYCLE_1)
	s_and_b32 s0, vcc_lo, s0
	s_and_saveexec_b32 s1, s0
	s_cbranch_execz .LBB458_17
; %bb.16:
	v_ashrrev_i32_e32 v3, 31, v2
	s_delay_alu instid0(VALU_DEP_1) | instskip(NEXT) | instid1(VALU_DEP_1)
	v_lshlrev_b64 v[1:2], 4, v[2:3]
	v_add_co_u32 v13, vcc_lo, v5, v1
	s_delay_alu instid0(VALU_DEP_2)
	v_add_co_ci_u32_e32 v14, vcc_lo, v6, v2, vcc_lo
	v_mul_f64 v[1:2], s[16:17], v[9:10]
	v_mul_f64 v[9:10], s[18:19], v[9:10]
	v_cmp_ne_u32_e32 vcc_lo, v4, v0
	global_load_b128 v[5:8], v[13:14], off
	v_fma_f64 v[1:2], s[18:19], v[11:12], v[1:2]
	v_fma_f64 v[9:10], s[16:17], v[11:12], -v[9:10]
	s_waitcnt vmcnt(0)
	v_mul_f64 v[15:16], s[6:7], v[7:8]
	v_mul_f64 v[7:8], s[8:9], v[7:8]
	s_delay_alu instid0(VALU_DEP_2) | instskip(NEXT) | instid1(VALU_DEP_2)
	v_fma_f64 v[15:16], s[8:9], v[5:6], v[15:16]
	v_fma_f64 v[5:6], s[6:7], v[5:6], -v[7:8]
	s_delay_alu instid0(VALU_DEP_2) | instskip(NEXT) | instid1(VALU_DEP_2)
	v_add_f64 v[7:8], v[1:2], v[15:16]
	v_add_f64 v[1:2], v[9:10], v[5:6]
	s_delay_alu instid0(VALU_DEP_2)
	v_dual_cndmask_b32 v4, 0, v8 :: v_dual_cndmask_b32 v3, 0, v7
	global_store_b128 v[13:14], v[1:4], off
.LBB458_17:
	s_nop 0
	s_sendmsg sendmsg(MSG_DEALLOC_VGPRS)
	s_endpgm
	.section	.rodata,"a",@progbits
	.p2align	6, 0x0
	.amdhsa_kernel _ZL34rocblas_syrkx_herkx_general_kernelIi19rocblas_complex_numIdELi16ELi32ELi8ELb0ELb1ELc78ELc85EKS1_S1_EviT_T0_PT8_S3_lS6_S3_lS4_PT9_S3_li
		.amdhsa_group_segment_fixed_size 8192
		.amdhsa_private_segment_fixed_size 0
		.amdhsa_kernarg_size 116
		.amdhsa_user_sgpr_count 13
		.amdhsa_user_sgpr_dispatch_ptr 0
		.amdhsa_user_sgpr_queue_ptr 0
		.amdhsa_user_sgpr_kernarg_segment_ptr 1
		.amdhsa_user_sgpr_dispatch_id 0
		.amdhsa_user_sgpr_private_segment_size 0
		.amdhsa_wavefront_size32 1
		.amdhsa_uses_dynamic_stack 0
		.amdhsa_enable_private_segment 0
		.amdhsa_system_sgpr_workgroup_id_x 1
		.amdhsa_system_sgpr_workgroup_id_y 1
		.amdhsa_system_sgpr_workgroup_id_z 1
		.amdhsa_system_sgpr_workgroup_info 0
		.amdhsa_system_vgpr_workitem_id 1
		.amdhsa_next_free_vgpr 119
		.amdhsa_next_free_sgpr 32
		.amdhsa_reserve_vcc 1
		.amdhsa_float_round_mode_32 0
		.amdhsa_float_round_mode_16_64 0
		.amdhsa_float_denorm_mode_32 3
		.amdhsa_float_denorm_mode_16_64 3
		.amdhsa_dx10_clamp 1
		.amdhsa_ieee_mode 1
		.amdhsa_fp16_overflow 0
		.amdhsa_workgroup_processor_mode 1
		.amdhsa_memory_ordered 1
		.amdhsa_forward_progress 0
		.amdhsa_shared_vgpr_count 0
		.amdhsa_exception_fp_ieee_invalid_op 0
		.amdhsa_exception_fp_denorm_src 0
		.amdhsa_exception_fp_ieee_div_zero 0
		.amdhsa_exception_fp_ieee_overflow 0
		.amdhsa_exception_fp_ieee_underflow 0
		.amdhsa_exception_fp_ieee_inexact 0
		.amdhsa_exception_int_div_zero 0
	.end_amdhsa_kernel
	.section	.text._ZL34rocblas_syrkx_herkx_general_kernelIi19rocblas_complex_numIdELi16ELi32ELi8ELb0ELb1ELc78ELc85EKS1_S1_EviT_T0_PT8_S3_lS6_S3_lS4_PT9_S3_li,"axG",@progbits,_ZL34rocblas_syrkx_herkx_general_kernelIi19rocblas_complex_numIdELi16ELi32ELi8ELb0ELb1ELc78ELc85EKS1_S1_EviT_T0_PT8_S3_lS6_S3_lS4_PT9_S3_li,comdat
.Lfunc_end458:
	.size	_ZL34rocblas_syrkx_herkx_general_kernelIi19rocblas_complex_numIdELi16ELi32ELi8ELb0ELb1ELc78ELc85EKS1_S1_EviT_T0_PT8_S3_lS6_S3_lS4_PT9_S3_li, .Lfunc_end458-_ZL34rocblas_syrkx_herkx_general_kernelIi19rocblas_complex_numIdELi16ELi32ELi8ELb0ELb1ELc78ELc85EKS1_S1_EviT_T0_PT8_S3_lS6_S3_lS4_PT9_S3_li
                                        ; -- End function
	.section	.AMDGPU.csdata,"",@progbits
; Kernel info:
; codeLenInByte = 3644
; NumSgprs: 34
; NumVgprs: 119
; ScratchSize: 0
; MemoryBound: 1
; FloatMode: 240
; IeeeMode: 1
; LDSByteSize: 8192 bytes/workgroup (compile time only)
; SGPRBlocks: 4
; VGPRBlocks: 14
; NumSGPRsForWavesPerEU: 34
; NumVGPRsForWavesPerEU: 119
; Occupancy: 12
; WaveLimiterHint : 0
; COMPUTE_PGM_RSRC2:SCRATCH_EN: 0
; COMPUTE_PGM_RSRC2:USER_SGPR: 13
; COMPUTE_PGM_RSRC2:TRAP_HANDLER: 0
; COMPUTE_PGM_RSRC2:TGID_X_EN: 1
; COMPUTE_PGM_RSRC2:TGID_Y_EN: 1
; COMPUTE_PGM_RSRC2:TGID_Z_EN: 1
; COMPUTE_PGM_RSRC2:TIDIG_COMP_CNT: 1
	.section	.text._ZL26rocblas_syr2k_scale_kernelIiLi128ELi8ELb1E19rocblas_complex_numIdES1_PS1_EvbiT_T3_T4_T5_S3_li,"axG",@progbits,_ZL26rocblas_syr2k_scale_kernelIiLi128ELi8ELb1E19rocblas_complex_numIdES1_PS1_EvbiT_T3_T4_T5_S3_li,comdat
	.globl	_ZL26rocblas_syr2k_scale_kernelIiLi128ELi8ELb1E19rocblas_complex_numIdES1_PS1_EvbiT_T3_T4_T5_S3_li ; -- Begin function _ZL26rocblas_syr2k_scale_kernelIiLi128ELi8ELb1E19rocblas_complex_numIdES1_PS1_EvbiT_T3_T4_T5_S3_li
	.p2align	8
	.type	_ZL26rocblas_syr2k_scale_kernelIiLi128ELi8ELb1E19rocblas_complex_numIdES1_PS1_EvbiT_T3_T4_T5_S3_li,@function
_ZL26rocblas_syr2k_scale_kernelIiLi128ELi8ELb1E19rocblas_complex_numIdES1_PS1_EvbiT_T3_T4_T5_S3_li: ; @_ZL26rocblas_syr2k_scale_kernelIiLi128ELi8ELb1E19rocblas_complex_numIdES1_PS1_EvbiT_T3_T4_T5_S3_li
; %bb.0:
	s_clause 0x2
	s_load_b256 s[4:11], s[0:1], 0x10
	s_load_b128 s[16:19], s[0:1], 0x0
	s_load_b64 s[20:21], s[0:1], 0x30
	s_waitcnt lgkmcnt(0)
	v_cmp_eq_f64_e64 s2, s[8:9], 1.0
	v_cmp_eq_f64_e64 s3, s[10:11], 0
	s_delay_alu instid0(VALU_DEP_1) | instskip(NEXT) | instid1(SALU_CYCLE_1)
	s_and_b32 s2, s2, s3
	s_and_not1_b32 vcc_lo, exec_lo, s2
	s_mov_b32 s2, -1
	s_cbranch_vccnz .LBB459_3
; %bb.1:
	s_cmp_lg_u32 s18, 0
	s_cbranch_scc0 .LBB459_8
; %bb.2:
	v_cmp_neq_f64_e64 s2, s[4:5], 0
	v_cmp_neq_f64_e64 s3, s[6:7], 0
	s_delay_alu instid0(VALU_DEP_1)
	s_or_b32 s2, s2, s3
.LBB459_3:
	s_delay_alu instid0(SALU_CYCLE_1)
	s_and_b32 vcc_lo, exec_lo, s2
	s_cbranch_vccz .LBB459_9
; %bb.4:
	s_load_b32 s2, s[0:1], 0x5c
	s_bitcmp1_b32 s16, 0
	s_cselect_b32 vcc_lo, -1, 0
	v_and_b32_e32 v1, 0x3ff, v0
	v_bfe_u32 v0, v0, 10, 10
	s_waitcnt lgkmcnt(0)
	s_lshr_b32 s3, s2, 16
	s_and_b32 s2, s2, 0xffff
	s_delay_alu instid0(VALU_DEP_1) | instskip(SKIP_1) | instid1(VALU_DEP_1)
	v_mad_u64_u32 v[4:5], null, s14, s3, v[0:1]
	v_mad_u64_u32 v[2:3], null, s13, s2, v[1:2]
	v_cndmask_b32_e32 v0, v4, v2, vcc_lo
	v_max_u32_e32 v1, v2, v4
	v_cndmask_b32_e32 v3, v2, v4, vcc_lo
	s_delay_alu instid0(VALU_DEP_2) | instskip(NEXT) | instid1(VALU_DEP_2)
	v_cmp_gt_u32_e32 vcc_lo, s17, v1
	v_cmp_le_i32_e64 s2, v0, v3
	s_delay_alu instid0(VALU_DEP_1) | instskip(NEXT) | instid1(SALU_CYCLE_1)
	s_and_b32 s2, vcc_lo, s2
	s_and_saveexec_b32 s3, s2
	s_cbranch_execz .LBB459_9
; %bb.5:
	s_load_b32 s2, s[0:1], 0x38
	v_cmp_neq_f64_e64 s3, s[8:9], 0
	v_cmp_neq_f64_e64 s4, s[10:11], 0
	s_load_b64 s[0:1], s[0:1], 0x40
	v_mov_b32_e32 v3, 0
	s_waitcnt lgkmcnt(0)
	v_mad_u64_u32 v[5:6], null, v4, s2, 0
	s_ashr_i32 s2, s2, 31
	s_mul_i32 s1, s15, s1
	s_delay_alu instid0(VALU_DEP_1) | instskip(NEXT) | instid1(VALU_DEP_1)
	v_mov_b32_e32 v0, v6
	v_mad_u64_u32 v[6:7], null, v4, s2, v[0:1]
	s_mul_hi_u32 s2, s15, s0
	s_mul_i32 s0, s15, s0
	s_add_i32 s1, s2, s1
	v_lshlrev_b64 v[7:8], 4, v[2:3]
	s_lshl_b64 s[0:1], s[0:1], 4
	v_mov_b32_e32 v0, 0
	s_delay_alu instid0(VALU_DEP_3) | instskip(SKIP_4) | instid1(VALU_DEP_2)
	v_lshlrev_b64 v[5:6], 4, v[5:6]
	s_add_u32 s0, s20, s0
	s_addc_u32 s1, s21, s1
	v_mov_b32_e32 v1, 0
	s_or_b32 s2, s3, s4
	v_add_co_u32 v3, vcc_lo, s0, v5
	v_add_co_ci_u32_e32 v6, vcc_lo, s1, v6, vcc_lo
	s_delay_alu instid0(VALU_DEP_2) | instskip(NEXT) | instid1(VALU_DEP_2)
	v_add_co_u32 v5, vcc_lo, v3, v7
	v_add_co_ci_u32_e32 v6, vcc_lo, v6, v8, vcc_lo
	v_dual_mov_b32 v8, v1 :: v_dual_mov_b32 v7, v0
	s_and_not1_b32 vcc_lo, exec_lo, s2
	s_cbranch_vccnz .LBB459_7
; %bb.6:
	global_load_b128 v[7:10], v[5:6], off
	s_waitcnt vmcnt(0)
	v_mul_f64 v[0:1], s[10:11], v[9:10]
	v_mul_f64 v[9:10], s[8:9], v[9:10]
	s_delay_alu instid0(VALU_DEP_2) | instskip(NEXT) | instid1(VALU_DEP_2)
	v_fma_f64 v[0:1], s[8:9], v[7:8], -v[0:1]
	v_fma_f64 v[7:8], s[10:11], v[7:8], v[9:10]
.LBB459_7:
	v_cmp_ne_u32_e32 vcc_lo, v2, v4
	s_delay_alu instid0(VALU_DEP_2)
	v_dual_cndmask_b32 v3, 0, v8 :: v_dual_cndmask_b32 v2, 0, v7
	global_store_b128 v[5:6], v[0:3], off
	s_nop 0
	s_sendmsg sendmsg(MSG_DEALLOC_VGPRS)
	s_endpgm
.LBB459_8:
.LBB459_9:
	s_endpgm
	.section	.rodata,"a",@progbits
	.p2align	6, 0x0
	.amdhsa_kernel _ZL26rocblas_syr2k_scale_kernelIiLi128ELi8ELb1E19rocblas_complex_numIdES1_PS1_EvbiT_T3_T4_T5_S3_li
		.amdhsa_group_segment_fixed_size 0
		.amdhsa_private_segment_fixed_size 0
		.amdhsa_kernarg_size 336
		.amdhsa_user_sgpr_count 13
		.amdhsa_user_sgpr_dispatch_ptr 0
		.amdhsa_user_sgpr_queue_ptr 0
		.amdhsa_user_sgpr_kernarg_segment_ptr 1
		.amdhsa_user_sgpr_dispatch_id 0
		.amdhsa_user_sgpr_private_segment_size 0
		.amdhsa_wavefront_size32 1
		.amdhsa_uses_dynamic_stack 0
		.amdhsa_enable_private_segment 0
		.amdhsa_system_sgpr_workgroup_id_x 1
		.amdhsa_system_sgpr_workgroup_id_y 1
		.amdhsa_system_sgpr_workgroup_id_z 1
		.amdhsa_system_sgpr_workgroup_info 0
		.amdhsa_system_vgpr_workitem_id 1
		.amdhsa_next_free_vgpr 11
		.amdhsa_next_free_sgpr 22
		.amdhsa_reserve_vcc 1
		.amdhsa_float_round_mode_32 0
		.amdhsa_float_round_mode_16_64 0
		.amdhsa_float_denorm_mode_32 3
		.amdhsa_float_denorm_mode_16_64 3
		.amdhsa_dx10_clamp 1
		.amdhsa_ieee_mode 1
		.amdhsa_fp16_overflow 0
		.amdhsa_workgroup_processor_mode 1
		.amdhsa_memory_ordered 1
		.amdhsa_forward_progress 0
		.amdhsa_shared_vgpr_count 0
		.amdhsa_exception_fp_ieee_invalid_op 0
		.amdhsa_exception_fp_denorm_src 0
		.amdhsa_exception_fp_ieee_div_zero 0
		.amdhsa_exception_fp_ieee_overflow 0
		.amdhsa_exception_fp_ieee_underflow 0
		.amdhsa_exception_fp_ieee_inexact 0
		.amdhsa_exception_int_div_zero 0
	.end_amdhsa_kernel
	.section	.text._ZL26rocblas_syr2k_scale_kernelIiLi128ELi8ELb1E19rocblas_complex_numIdES1_PS1_EvbiT_T3_T4_T5_S3_li,"axG",@progbits,_ZL26rocblas_syr2k_scale_kernelIiLi128ELi8ELb1E19rocblas_complex_numIdES1_PS1_EvbiT_T3_T4_T5_S3_li,comdat
.Lfunc_end459:
	.size	_ZL26rocblas_syr2k_scale_kernelIiLi128ELi8ELb1E19rocblas_complex_numIdES1_PS1_EvbiT_T3_T4_T5_S3_li, .Lfunc_end459-_ZL26rocblas_syr2k_scale_kernelIiLi128ELi8ELb1E19rocblas_complex_numIdES1_PS1_EvbiT_T3_T4_T5_S3_li
                                        ; -- End function
	.section	.AMDGPU.csdata,"",@progbits
; Kernel info:
; codeLenInByte = 484
; NumSgprs: 24
; NumVgprs: 11
; ScratchSize: 0
; MemoryBound: 0
; FloatMode: 240
; IeeeMode: 1
; LDSByteSize: 0 bytes/workgroup (compile time only)
; SGPRBlocks: 2
; VGPRBlocks: 1
; NumSGPRsForWavesPerEU: 24
; NumVGPRsForWavesPerEU: 11
; Occupancy: 16
; WaveLimiterHint : 0
; COMPUTE_PGM_RSRC2:SCRATCH_EN: 0
; COMPUTE_PGM_RSRC2:USER_SGPR: 13
; COMPUTE_PGM_RSRC2:TRAP_HANDLER: 0
; COMPUTE_PGM_RSRC2:TGID_X_EN: 1
; COMPUTE_PGM_RSRC2:TGID_Y_EN: 1
; COMPUTE_PGM_RSRC2:TGID_Z_EN: 1
; COMPUTE_PGM_RSRC2:TIDIG_COMP_CNT: 1
	.section	.text._ZL26rocblas_syr2k_her2k_kernelIiLb0ELb1ELb0ELi32EPK19rocblas_complex_numIdES3_PS1_EvbiT_T4_T5_S5_lS7_S5_lT6_S5_li,"axG",@progbits,_ZL26rocblas_syr2k_her2k_kernelIiLb0ELb1ELb0ELi32EPK19rocblas_complex_numIdES3_PS1_EvbiT_T4_T5_S5_lS7_S5_lT6_S5_li,comdat
	.globl	_ZL26rocblas_syr2k_her2k_kernelIiLb0ELb1ELb0ELi32EPK19rocblas_complex_numIdES3_PS1_EvbiT_T4_T5_S5_lS7_S5_lT6_S5_li ; -- Begin function _ZL26rocblas_syr2k_her2k_kernelIiLb0ELb1ELb0ELi32EPK19rocblas_complex_numIdES3_PS1_EvbiT_T4_T5_S5_lS7_S5_lT6_S5_li
	.p2align	8
	.type	_ZL26rocblas_syr2k_her2k_kernelIiLb0ELb1ELb0ELi32EPK19rocblas_complex_numIdES3_PS1_EvbiT_T4_T5_S5_lS7_S5_lT6_S5_li,@function
_ZL26rocblas_syr2k_her2k_kernelIiLb0ELb1ELb0ELi32EPK19rocblas_complex_numIdES3_PS1_EvbiT_T4_T5_S5_lS7_S5_lT6_S5_li: ; @_ZL26rocblas_syr2k_her2k_kernelIiLb0ELb1ELb0ELi32EPK19rocblas_complex_numIdES3_PS1_EvbiT_T4_T5_S5_lS7_S5_lT6_S5_li
; %bb.0:
	s_load_b128 s[16:19], s[0:1], 0x10
	s_waitcnt lgkmcnt(0)
	s_load_b128 s[4:7], s[16:17], 0x0
	s_waitcnt lgkmcnt(0)
	v_cmp_eq_f64_e64 s2, s[4:5], 0
	v_cmp_eq_f64_e64 s3, s[6:7], 0
	s_delay_alu instid0(VALU_DEP_1) | instskip(NEXT) | instid1(SALU_CYCLE_1)
	s_and_b32 s2, s2, s3
	s_and_b32 vcc_lo, exec_lo, s2
	s_cbranch_vccnz .LBB460_13
; %bb.1:
	s_load_b128 s[8:11], s[0:1], 0x0
	s_waitcnt lgkmcnt(0)
	s_lshl_b32 s11, s14, 5
	s_and_b32 s2, 1, s8
	s_lshl_b32 s8, s13, 5
	s_cmp_eq_u32 s2, 1
	s_cselect_b32 s2, -1, 0
	s_delay_alu instid0(SALU_CYCLE_1) | instskip(SKIP_2) | instid1(SALU_CYCLE_1)
	s_and_b32 s3, s2, exec_lo
	s_cselect_b32 s3, s8, s11
	s_cselect_b32 s12, s11, s8
	s_cmp_gt_i32 s3, s12
	s_cbranch_scc1 .LBB460_13
; %bb.2:
	s_clause 0x2
	s_load_b64 s[12:13], s[0:1], 0x58
	s_load_b128 s[24:27], s[0:1], 0x40
	s_load_b32 s3, s[0:1], 0x50
	v_and_b32_e32 v13, 0x3ff, v0
	v_bfe_u32 v14, v0, 10, 10
	s_delay_alu instid0(VALU_DEP_2) | instskip(NEXT) | instid1(VALU_DEP_2)
	v_add_nc_u32_e32 v8, s8, v13
	v_add_nc_u32_e32 v10, s11, v14
	s_delay_alu instid0(VALU_DEP_2)
	v_cmp_gt_i32_e32 vcc_lo, s9, v8
	v_ashrrev_i32_e32 v9, 31, v8
	s_waitcnt lgkmcnt(0)
	s_mul_i32 s8, s15, s13
	s_mul_hi_u32 s13, s15, s12
	s_mul_i32 s12, s15, s12
	s_add_i32 s13, s13, s8
	s_delay_alu instid0(SALU_CYCLE_1) | instskip(NEXT) | instid1(SALU_CYCLE_1)
	s_lshl_b64 s[12:13], s[12:13], 4
	s_add_u32 s8, s26, s12
	s_addc_u32 s11, s27, s13
	s_cmp_lt_i32 s10, 1
	s_cbranch_scc1 .LBB460_11
; %bb.3:
	s_clause 0x2
	s_load_b128 s[20:23], s[0:1], 0x28
	s_load_b32 s12, s[0:1], 0x20
	s_load_b32 s13, s[0:1], 0x38
	v_cndmask_b32_e64 v6, v8, v10, s2
	v_cndmask_b32_e64 v7, v10, v8, s2
	v_lshlrev_b64 v[0:1], 4, v[8:9]
	v_ashrrev_i32_e32 v11, 31, v10
	v_mad_i64_i32 v[2:3], null, s3, v10, 0
	s_mul_i32 s1, s15, s25
	s_mul_hi_u32 s25, s15, s24
	s_mul_i32 s14, s15, s24
	v_lshlrev_b64 v[4:5], 4, v[10:11]
	v_lshlrev_b32_e32 v12, 4, v14
	v_lshlrev_b32_e32 v15, 9, v13
	s_delay_alu instid0(VALU_DEP_4) | instskip(SKIP_1) | instid1(VALU_DEP_4)
	v_lshlrev_b64 v[2:3], 4, v[2:3]
	v_cmp_gt_i32_e64 s0, s9, v10
	v_or_b32_e32 v17, 0x4000, v12
	s_delay_alu instid0(VALU_DEP_4)
	v_add_nc_u32_e32 v16, v15, v12
	s_waitcnt lgkmcnt(0)
	s_mul_i32 s2, s15, s21
	s_mul_hi_u32 s17, s15, s20
	s_mul_i32 s16, s15, s20
	s_add_i32 s17, s17, s2
	v_add_nc_u32_e32 v22, v17, v15
	s_lshl_b64 s[16:17], s[16:17], 4
	s_delay_alu instid0(SALU_CYCLE_1)
	s_add_u32 s2, s18, s16
	s_addc_u32 s16, s19, s17
	s_add_i32 s15, s25, s1
	v_add_co_u32 v18, s1, s2, v0
	s_lshl_b64 s[14:15], s[14:15], 4
	v_add_co_ci_u32_e64 v19, s1, s16, v1, s1
	s_add_u32 s1, s22, s14
	s_addc_u32 s2, s23, s15
	v_add_co_u32 v20, s1, s1, v4
	s_delay_alu instid0(VALU_DEP_1) | instskip(SKIP_1) | instid1(VALU_DEP_1)
	v_add_co_ci_u32_e64 v21, s1, s2, v5, s1
	v_add_co_u32 v2, s1, s8, v2
	v_add_co_ci_u32_e64 v3, s1, s11, v3, s1
	v_cmp_le_i32_e64 s1, v7, v6
	s_delay_alu instid0(VALU_DEP_3) | instskip(NEXT) | instid1(VALU_DEP_1)
	v_add_co_u32 v11, s2, v2, v0
	v_add_co_ci_u32_e64 v12, s2, v3, v1, s2
	s_and_b32 s14, s0, vcc_lo
	s_mov_b32 s2, 0
	s_and_b32 s14, s14, s1
	s_branch .LBB460_5
.LBB460_4:                              ;   in Loop: Header=BB460_5 Depth=1
	s_or_b32 exec_lo, exec_lo, s1
	s_add_i32 s2, s2, 32
	s_waitcnt_vscnt null, 0x0
	s_cmp_ge_i32 s2, s10
	s_barrier
	buffer_gl0_inv
	s_cbranch_scc1 .LBB460_11
.LBB460_5:                              ; =>This Inner Loop Header: Depth=1
	v_add_nc_u32_e32 v2, s2, v14
	v_mov_b32_e32 v0, 0
	v_mov_b32_e32 v1, 0
	s_delay_alu instid0(VALU_DEP_3) | instskip(NEXT) | instid1(VALU_DEP_2)
	v_cmp_gt_i32_e64 s1, s10, v2
	v_dual_mov_b32 v5, v1 :: v_dual_mov_b32 v4, v0
	v_dual_mov_b32 v7, v1 :: v_dual_mov_b32 v6, v0
	s_delay_alu instid0(VALU_DEP_3) | instskip(NEXT) | instid1(SALU_CYCLE_1)
	s_and_b32 s1, vcc_lo, s1
	s_and_saveexec_b32 s15, s1
	s_cbranch_execz .LBB460_7
; %bb.6:                                ;   in Loop: Header=BB460_5 Depth=1
	v_mad_i64_i32 v[3:4], null, v2, s12, 0
	s_delay_alu instid0(VALU_DEP_1) | instskip(NEXT) | instid1(VALU_DEP_1)
	v_lshlrev_b64 v[2:3], 4, v[3:4]
	v_add_co_u32 v2, s1, v18, v2
	s_delay_alu instid0(VALU_DEP_1)
	v_add_co_ci_u32_e64 v3, s1, v19, v3, s1
	global_load_b128 v[4:7], v[2:3], off
.LBB460_7:                              ;   in Loop: Header=BB460_5 Depth=1
	s_or_b32 exec_lo, exec_lo, s15
	v_add_nc_u32_e32 v23, s2, v13
	v_dual_mov_b32 v3, v1 :: v_dual_mov_b32 v2, v0
	s_waitcnt vmcnt(0)
	ds_store_b128 v16, v[4:7]
	v_cmp_gt_i32_e64 s1, s10, v23
	s_delay_alu instid0(VALU_DEP_1) | instskip(NEXT) | instid1(SALU_CYCLE_1)
	s_and_b32 s1, s0, s1
	s_and_saveexec_b32 s15, s1
	s_cbranch_execz .LBB460_9
; %bb.8:                                ;   in Loop: Header=BB460_5 Depth=1
	v_mad_i64_i32 v[0:1], null, v23, s13, 0
	s_delay_alu instid0(VALU_DEP_1) | instskip(NEXT) | instid1(VALU_DEP_1)
	v_lshlrev_b64 v[0:1], 4, v[0:1]
	v_add_co_u32 v0, s1, v20, v0
	s_delay_alu instid0(VALU_DEP_1)
	v_add_co_ci_u32_e64 v1, s1, v21, v1, s1
	global_load_b128 v[0:3], v[0:1], off
	s_waitcnt vmcnt(0)
	v_xor_b32_e32 v3, 0x80000000, v3
.LBB460_9:                              ;   in Loop: Header=BB460_5 Depth=1
	s_or_b32 exec_lo, exec_lo, s15
	ds_store_b128 v22, v[0:3]
	s_waitcnt lgkmcnt(0)
	s_barrier
	buffer_gl0_inv
	s_and_saveexec_b32 s1, s14
	s_cbranch_execz .LBB460_4
; %bb.10:                               ;   in Loop: Header=BB460_5 Depth=1
	ds_load_b128 v[0:3], v17
	ds_load_b128 v[4:7], v15
	ds_load_b128 v[23:26], v15 offset:16
	ds_load_b128 v[27:30], v17 offset:512
	s_waitcnt lgkmcnt(2)
	v_mul_f64 v[31:32], v[0:1], v[6:7]
	v_mul_f64 v[6:7], v[2:3], v[6:7]
	s_waitcnt lgkmcnt(0)
	v_mul_f64 v[47:48], v[27:28], v[25:26]
	v_mul_f64 v[25:26], v[29:30], v[25:26]
	s_delay_alu instid0(VALU_DEP_4)
	v_fma_f64 v[2:3], v[2:3], v[4:5], v[31:32]
	ds_load_b128 v[31:34], v17 offset:1024
	ds_load_b128 v[35:38], v15 offset:32
	;; [unrolled: 1-line block ×4, first 2 shown]
	v_fma_f64 v[0:1], v[0:1], v[4:5], -v[6:7]
	v_fma_f64 v[4:5], v[29:30], v[23:24], v[47:48]
	v_fma_f64 v[51:52], v[27:28], v[23:24], -v[25:26]
	s_waitcnt lgkmcnt(2)
	v_mul_f64 v[49:50], v[31:32], v[37:38]
	v_mul_f64 v[37:38], v[33:34], v[37:38]
	s_waitcnt lgkmcnt(0)
	v_mul_f64 v[47:48], v[43:44], v[41:42]
	v_mul_f64 v[41:42], v[45:46], v[41:42]
	v_add_f64 v[2:3], v[2:3], 0
	v_fma_f64 v[33:34], v[33:34], v[35:36], v[49:50]
	v_add_f64 v[49:50], v[0:1], 0
	v_fma_f64 v[31:32], v[31:32], v[35:36], -v[37:38]
	v_fma_f64 v[35:36], v[45:46], v[39:40], v[47:48]
	v_add_f64 v[53:54], v[2:3], v[4:5]
	ds_load_b128 v[0:3], v15 offset:64
	ds_load_b128 v[4:7], v17 offset:2048
	ds_load_b128 v[23:26], v17 offset:2560
	ds_load_b128 v[27:30], v15 offset:80
	s_waitcnt lgkmcnt(2)
	v_mul_f64 v[55:56], v[4:5], v[2:3]
	v_add_f64 v[37:38], v[49:50], v[51:52]
	v_mul_f64 v[2:3], v[6:7], v[2:3]
	s_waitcnt lgkmcnt(0)
	v_mul_f64 v[47:48], v[23:24], v[29:30]
	v_fma_f64 v[49:50], v[43:44], v[39:40], -v[41:42]
	v_mul_f64 v[29:30], v[25:26], v[29:30]
	v_add_f64 v[33:34], v[53:54], v[33:34]
	v_fma_f64 v[6:7], v[6:7], v[0:1], v[55:56]
	v_add_f64 v[51:52], v[37:38], v[31:32]
	v_fma_f64 v[0:1], v[4:5], v[0:1], -v[2:3]
	v_fma_f64 v[2:3], v[25:26], v[27:28], v[47:48]
	v_add_f64 v[53:54], v[33:34], v[35:36]
	ds_load_b128 v[31:34], v15 offset:96
	ds_load_b128 v[35:38], v17 offset:3072
	ds_load_b128 v[39:42], v17 offset:3584
	ds_load_b128 v[43:46], v15 offset:112
	s_waitcnt lgkmcnt(2)
	v_mul_f64 v[55:56], v[35:36], v[33:34]
	v_add_f64 v[4:5], v[51:52], v[49:50]
	v_mul_f64 v[33:34], v[37:38], v[33:34]
	s_waitcnt lgkmcnt(0)
	v_mul_f64 v[47:48], v[39:40], v[45:46]
	v_fma_f64 v[49:50], v[23:24], v[27:28], -v[29:30]
	;; [unrolled: 18-line block ×11, first 2 shown]
	v_mul_f64 v[29:30], v[25:26], v[29:30]
	v_add_f64 v[37:38], v[53:54], v[37:38]
	v_fma_f64 v[6:7], v[6:7], v[0:1], v[55:56]
	v_add_f64 v[51:52], v[35:36], v[31:32]
	v_fma_f64 v[0:1], v[4:5], v[0:1], -v[2:3]
	v_fma_f64 v[2:3], v[25:26], v[27:28], v[47:48]
	v_add_f64 v[53:54], v[37:38], v[33:34]
	ds_load_b128 v[31:34], v15 offset:416
	ds_load_b128 v[35:38], v17 offset:13312
	;; [unrolled: 1-line block ×4, first 2 shown]
	s_waitcnt lgkmcnt(2)
	v_mul_f64 v[55:56], v[35:36], v[33:34]
	v_add_f64 v[4:5], v[51:52], v[49:50]
	v_mul_f64 v[33:34], v[37:38], v[33:34]
	s_waitcnt lgkmcnt(0)
	v_mul_f64 v[51:52], v[39:40], v[45:46]
	v_mul_f64 v[45:46], v[41:42], v[45:46]
	v_add_f64 v[6:7], v[53:54], v[6:7]
	v_fma_f64 v[53:54], v[23:24], v[27:28], -v[29:30]
	v_fma_f64 v[37:38], v[37:38], v[31:32], v[55:56]
	v_add_f64 v[55:56], v[4:5], v[0:1]
	v_fma_f64 v[31:32], v[35:36], v[31:32], -v[33:34]
	v_fma_f64 v[33:34], v[41:42], v[43:44], v[51:52]
	v_add_f64 v[57:58], v[6:7], v[2:3]
	ds_load_b128 v[0:3], v15 offset:448
	ds_load_b128 v[4:7], v17 offset:14336
	global_load_b128 v[23:26], v[11:12], off
	ds_load_b128 v[27:30], v17 offset:14848
	ds_load_b128 v[47:50], v15 offset:464
	v_add_f64 v[35:36], v[55:56], v[53:54]
	s_waitcnt lgkmcnt(2)
	v_mul_f64 v[59:60], v[4:5], v[2:3]
	v_mul_f64 v[2:3], v[6:7], v[2:3]
	s_waitcnt lgkmcnt(0)
	v_mul_f64 v[51:52], v[27:28], v[49:50]
	v_fma_f64 v[53:54], v[39:40], v[43:44], -v[45:46]
	v_mul_f64 v[49:50], v[29:30], v[49:50]
	v_add_f64 v[37:38], v[57:58], v[37:38]
	v_add_f64 v[55:56], v[35:36], v[31:32]
	v_fma_f64 v[6:7], v[6:7], v[0:1], v[59:60]
	v_fma_f64 v[0:1], v[4:5], v[0:1], -v[2:3]
	v_fma_f64 v[2:3], v[29:30], v[47:48], v[51:52]
	v_fma_f64 v[27:28], v[27:28], v[47:48], -v[49:50]
	v_add_f64 v[57:58], v[37:38], v[33:34]
	ds_load_b128 v[31:34], v15 offset:480
	ds_load_b128 v[35:38], v17 offset:15360
	;; [unrolled: 1-line block ×4, first 2 shown]
	s_waitcnt lgkmcnt(2)
	v_mul_f64 v[59:60], v[35:36], v[33:34]
	v_add_f64 v[4:5], v[55:56], v[53:54]
	v_mul_f64 v[29:30], v[37:38], v[33:34]
	s_waitcnt lgkmcnt(0)
	v_mul_f64 v[33:34], v[39:40], v[45:46]
	v_add_f64 v[6:7], v[57:58], v[6:7]
	v_fma_f64 v[37:38], v[37:38], v[31:32], v[59:60]
	v_add_f64 v[0:1], v[4:5], v[0:1]
	v_mul_f64 v[4:5], v[41:42], v[45:46]
	s_delay_alu instid0(VALU_DEP_4)
	v_add_f64 v[2:3], v[6:7], v[2:3]
	v_fma_f64 v[6:7], v[35:36], v[31:32], -v[29:30]
	v_fma_f64 v[29:30], v[41:42], v[43:44], v[33:34]
	v_add_f64 v[0:1], v[0:1], v[27:28]
	v_fma_f64 v[4:5], v[39:40], v[43:44], -v[4:5]
	v_add_f64 v[2:3], v[2:3], v[37:38]
	s_delay_alu instid0(VALU_DEP_3) | instskip(NEXT) | instid1(VALU_DEP_2)
	v_add_f64 v[0:1], v[0:1], v[6:7]
	v_add_f64 v[2:3], v[2:3], v[29:30]
	s_delay_alu instid0(VALU_DEP_2) | instskip(NEXT) | instid1(VALU_DEP_2)
	v_add_f64 v[0:1], v[0:1], v[4:5]
	v_mul_f64 v[4:5], s[6:7], v[2:3]
	v_mul_f64 v[2:3], s[4:5], v[2:3]
	s_delay_alu instid0(VALU_DEP_2) | instskip(NEXT) | instid1(VALU_DEP_2)
	v_fma_f64 v[4:5], s[4:5], v[0:1], -v[4:5]
	v_fma_f64 v[2:3], s[6:7], v[0:1], v[2:3]
	s_waitcnt vmcnt(0)
	s_delay_alu instid0(VALU_DEP_2) | instskip(NEXT) | instid1(VALU_DEP_2)
	v_add_f64 v[0:1], v[23:24], v[4:5]
	v_add_f64 v[2:3], v[25:26], v[2:3]
	global_store_b128 v[11:12], v[0:3], off
	s_branch .LBB460_4
.LBB460_11:
	v_cmp_eq_u32_e32 vcc_lo, v8, v10
	v_cmp_gt_i32_e64 s0, s9, v8
	s_delay_alu instid0(VALU_DEP_1) | instskip(NEXT) | instid1(SALU_CYCLE_1)
	s_and_b32 s0, vcc_lo, s0
	s_and_saveexec_b32 s1, s0
	s_cbranch_execz .LBB460_13
; %bb.12:
	v_mad_i64_i32 v[0:1], null, s3, v8, 0
	v_lshlrev_b64 v[2:3], 4, v[8:9]
	s_delay_alu instid0(VALU_DEP_2) | instskip(NEXT) | instid1(VALU_DEP_1)
	v_lshlrev_b64 v[0:1], 4, v[0:1]
	v_add_co_u32 v4, vcc_lo, s8, v0
	s_delay_alu instid0(VALU_DEP_2) | instskip(SKIP_1) | instid1(VALU_DEP_3)
	v_add_co_ci_u32_e32 v1, vcc_lo, s11, v1, vcc_lo
	v_mov_b32_e32 v0, 0
	v_add_co_u32 v2, vcc_lo, v4, v2
	s_delay_alu instid0(VALU_DEP_3) | instskip(NEXT) | instid1(VALU_DEP_3)
	v_add_co_ci_u32_e32 v3, vcc_lo, v1, v3, vcc_lo
	v_mov_b32_e32 v1, v0
	global_store_b64 v[2:3], v[0:1], off offset:8
.LBB460_13:
	s_nop 0
	s_sendmsg sendmsg(MSG_DEALLOC_VGPRS)
	s_endpgm
	.section	.rodata,"a",@progbits
	.p2align	6, 0x0
	.amdhsa_kernel _ZL26rocblas_syr2k_her2k_kernelIiLb0ELb1ELb0ELi32EPK19rocblas_complex_numIdES3_PS1_EvbiT_T4_T5_S5_lS7_S5_lT6_S5_li
		.amdhsa_group_segment_fixed_size 32768
		.amdhsa_private_segment_fixed_size 0
		.amdhsa_kernarg_size 100
		.amdhsa_user_sgpr_count 13
		.amdhsa_user_sgpr_dispatch_ptr 0
		.amdhsa_user_sgpr_queue_ptr 0
		.amdhsa_user_sgpr_kernarg_segment_ptr 1
		.amdhsa_user_sgpr_dispatch_id 0
		.amdhsa_user_sgpr_private_segment_size 0
		.amdhsa_wavefront_size32 1
		.amdhsa_uses_dynamic_stack 0
		.amdhsa_enable_private_segment 0
		.amdhsa_system_sgpr_workgroup_id_x 1
		.amdhsa_system_sgpr_workgroup_id_y 1
		.amdhsa_system_sgpr_workgroup_id_z 1
		.amdhsa_system_sgpr_workgroup_info 0
		.amdhsa_system_vgpr_workitem_id 1
		.amdhsa_next_free_vgpr 61
		.amdhsa_next_free_sgpr 28
		.amdhsa_reserve_vcc 1
		.amdhsa_float_round_mode_32 0
		.amdhsa_float_round_mode_16_64 0
		.amdhsa_float_denorm_mode_32 3
		.amdhsa_float_denorm_mode_16_64 3
		.amdhsa_dx10_clamp 1
		.amdhsa_ieee_mode 1
		.amdhsa_fp16_overflow 0
		.amdhsa_workgroup_processor_mode 1
		.amdhsa_memory_ordered 1
		.amdhsa_forward_progress 0
		.amdhsa_shared_vgpr_count 0
		.amdhsa_exception_fp_ieee_invalid_op 0
		.amdhsa_exception_fp_denorm_src 0
		.amdhsa_exception_fp_ieee_div_zero 0
		.amdhsa_exception_fp_ieee_overflow 0
		.amdhsa_exception_fp_ieee_underflow 0
		.amdhsa_exception_fp_ieee_inexact 0
		.amdhsa_exception_int_div_zero 0
	.end_amdhsa_kernel
	.section	.text._ZL26rocblas_syr2k_her2k_kernelIiLb0ELb1ELb0ELi32EPK19rocblas_complex_numIdES3_PS1_EvbiT_T4_T5_S5_lS7_S5_lT6_S5_li,"axG",@progbits,_ZL26rocblas_syr2k_her2k_kernelIiLb0ELb1ELb0ELi32EPK19rocblas_complex_numIdES3_PS1_EvbiT_T4_T5_S5_lS7_S5_lT6_S5_li,comdat
.Lfunc_end460:
	.size	_ZL26rocblas_syr2k_her2k_kernelIiLb0ELb1ELb0ELi32EPK19rocblas_complex_numIdES3_PS1_EvbiT_T4_T5_S5_lS7_S5_lT6_S5_li, .Lfunc_end460-_ZL26rocblas_syr2k_her2k_kernelIiLb0ELb1ELb0ELi32EPK19rocblas_complex_numIdES3_PS1_EvbiT_T4_T5_S5_lS7_S5_lT6_S5_li
                                        ; -- End function
	.section	.AMDGPU.csdata,"",@progbits
; Kernel info:
; codeLenInByte = 3176
; NumSgprs: 30
; NumVgprs: 61
; ScratchSize: 0
; MemoryBound: 1
; FloatMode: 240
; IeeeMode: 1
; LDSByteSize: 32768 bytes/workgroup (compile time only)
; SGPRBlocks: 3
; VGPRBlocks: 7
; NumSGPRsForWavesPerEU: 30
; NumVGPRsForWavesPerEU: 61
; Occupancy: 16
; WaveLimiterHint : 0
; COMPUTE_PGM_RSRC2:SCRATCH_EN: 0
; COMPUTE_PGM_RSRC2:USER_SGPR: 13
; COMPUTE_PGM_RSRC2:TRAP_HANDLER: 0
; COMPUTE_PGM_RSRC2:TGID_X_EN: 1
; COMPUTE_PGM_RSRC2:TGID_Y_EN: 1
; COMPUTE_PGM_RSRC2:TGID_Z_EN: 1
; COMPUTE_PGM_RSRC2:TIDIG_COMP_CNT: 1
	.section	.text._ZL26rocblas_syr2k_her2k_kernelIiLb0ELb1ELb1ELi32EPK19rocblas_complex_numIdES3_PS1_EvbiT_T4_T5_S5_lS7_S5_lT6_S5_li,"axG",@progbits,_ZL26rocblas_syr2k_her2k_kernelIiLb0ELb1ELb1ELi32EPK19rocblas_complex_numIdES3_PS1_EvbiT_T4_T5_S5_lS7_S5_lT6_S5_li,comdat
	.globl	_ZL26rocblas_syr2k_her2k_kernelIiLb0ELb1ELb1ELi32EPK19rocblas_complex_numIdES3_PS1_EvbiT_T4_T5_S5_lS7_S5_lT6_S5_li ; -- Begin function _ZL26rocblas_syr2k_her2k_kernelIiLb0ELb1ELb1ELi32EPK19rocblas_complex_numIdES3_PS1_EvbiT_T4_T5_S5_lS7_S5_lT6_S5_li
	.p2align	8
	.type	_ZL26rocblas_syr2k_her2k_kernelIiLb0ELb1ELb1ELi32EPK19rocblas_complex_numIdES3_PS1_EvbiT_T4_T5_S5_lS7_S5_lT6_S5_li,@function
_ZL26rocblas_syr2k_her2k_kernelIiLb0ELb1ELb1ELi32EPK19rocblas_complex_numIdES3_PS1_EvbiT_T4_T5_S5_lS7_S5_lT6_S5_li: ; @_ZL26rocblas_syr2k_her2k_kernelIiLb0ELb1ELb1ELi32EPK19rocblas_complex_numIdES3_PS1_EvbiT_T4_T5_S5_lS7_S5_lT6_S5_li
; %bb.0:
	s_load_b128 s[16:19], s[0:1], 0x10
	s_waitcnt lgkmcnt(0)
	s_load_b128 s[4:7], s[16:17], 0x0
	s_waitcnt lgkmcnt(0)
	v_cmp_eq_f64_e64 s2, s[4:5], 0
	v_cmp_eq_f64_e64 s3, s[6:7], 0
	s_delay_alu instid0(VALU_DEP_1) | instskip(NEXT) | instid1(SALU_CYCLE_1)
	s_and_b32 s2, s2, s3
	s_and_b32 vcc_lo, exec_lo, s2
	s_cbranch_vccnz .LBB461_13
; %bb.1:
	s_load_b128 s[8:11], s[0:1], 0x0
	s_waitcnt lgkmcnt(0)
	s_lshl_b32 s11, s14, 5
	s_and_b32 s2, 1, s8
	s_lshl_b32 s8, s13, 5
	s_cmp_eq_u32 s2, 1
	s_cselect_b32 s2, -1, 0
	s_delay_alu instid0(SALU_CYCLE_1) | instskip(SKIP_2) | instid1(SALU_CYCLE_1)
	s_and_b32 s3, s2, exec_lo
	s_cselect_b32 s3, s8, s11
	s_cselect_b32 s12, s11, s8
	s_cmp_gt_i32 s3, s12
	s_cbranch_scc1 .LBB461_13
; %bb.2:
	s_clause 0x2
	s_load_b64 s[12:13], s[0:1], 0x58
	s_load_b128 s[24:27], s[0:1], 0x40
	s_load_b32 s3, s[0:1], 0x50
	v_and_b32_e32 v14, 0x3ff, v0
	v_bfe_u32 v15, v0, 10, 10
	s_delay_alu instid0(VALU_DEP_2) | instskip(NEXT) | instid1(VALU_DEP_2)
	v_add_nc_u32_e32 v8, s8, v14
	v_add_nc_u32_e32 v16, s11, v15
	s_delay_alu instid0(VALU_DEP_2)
	v_cmp_gt_i32_e32 vcc_lo, s9, v8
	v_ashrrev_i32_e32 v9, 31, v8
	s_waitcnt lgkmcnt(0)
	s_mul_i32 s8, s15, s13
	s_mul_hi_u32 s13, s15, s12
	s_mul_i32 s12, s15, s12
	s_add_i32 s13, s13, s8
	s_delay_alu instid0(SALU_CYCLE_1) | instskip(NEXT) | instid1(SALU_CYCLE_1)
	s_lshl_b64 s[12:13], s[12:13], 4
	s_add_u32 s8, s26, s12
	s_addc_u32 s11, s27, s13
	s_cmp_lt_i32 s10, 1
	s_cbranch_scc1 .LBB461_11
; %bb.3:
	s_clause 0x2
	s_load_b128 s[20:23], s[0:1], 0x28
	s_load_b32 s13, s[0:1], 0x20
	s_load_b32 s1, s[0:1], 0x38
	v_cndmask_b32_e64 v6, v8, v16, s2
	v_cndmask_b32_e64 v7, v16, v8, s2
	s_mul_i32 s16, s15, s25
	s_mul_hi_u32 s17, s15, s24
	s_mul_i32 s12, s15, s24
	v_mad_i64_i32 v[0:1], null, s3, v16, 0
	v_lshlrev_b32_e32 v10, 4, v15
	v_lshlrev_b32_e32 v17, 9, v14
	v_cmp_gt_i32_e64 s0, s9, v16
	s_delay_alu instid0(VALU_DEP_3) | instskip(SKIP_1) | instid1(VALU_DEP_4)
	v_or_b32_e32 v21, 0x4000, v10
	v_lshlrev_b64 v[0:1], 4, v[0:1]
	v_add_nc_u32_e32 v18, v17, v10
	s_delay_alu instid0(VALU_DEP_3)
	v_add_nc_u32_e32 v24, v21, v17
	s_waitcnt lgkmcnt(0)
	v_mad_i64_i32 v[2:3], null, s13, v8, 0
	v_mad_i64_i32 v[4:5], null, s1, v16, 0
	s_mul_i32 s2, s15, s21
	s_mul_hi_u32 s21, s15, s20
	s_mul_i32 s14, s15, s20
	s_add_i32 s15, s21, s2
	s_delay_alu instid0(VALU_DEP_2) | instskip(SKIP_1) | instid1(VALU_DEP_2)
	v_lshlrev_b64 v[2:3], 4, v[2:3]
	s_lshl_b64 s[14:15], s[14:15], 4
	v_lshlrev_b64 v[4:5], 4, v[4:5]
	s_add_u32 s1, s18, s14
	s_addc_u32 s2, s19, s15
	s_add_i32 s13, s17, s16
	v_add_co_u32 v19, s1, s1, v2
	s_lshl_b64 s[12:13], s[12:13], 4
	v_add_co_ci_u32_e64 v20, s1, s2, v3, s1
	s_add_u32 s12, s22, s12
	s_addc_u32 s13, s23, s13
	v_add_co_u32 v22, s1, s12, v4
	s_delay_alu instid0(VALU_DEP_1) | instskip(SKIP_2) | instid1(VALU_DEP_1)
	v_add_co_ci_u32_e64 v23, s1, s13, v5, s1
	v_lshlrev_b64 v[2:3], 4, v[8:9]
	v_add_co_u32 v0, s1, s8, v0
	v_add_co_ci_u32_e64 v1, s1, s11, v1, s1
	v_cmp_le_i32_e64 s1, v7, v6
	s_delay_alu instid0(VALU_DEP_3) | instskip(NEXT) | instid1(VALU_DEP_1)
	v_add_co_u32 v10, s2, v0, v2
	v_add_co_ci_u32_e64 v11, s2, v1, v3, s2
	s_and_b32 s12, s0, vcc_lo
	s_mov_b32 s2, 0
	s_and_b32 s12, s12, s1
	s_branch .LBB461_5
.LBB461_4:                              ;   in Loop: Header=BB461_5 Depth=1
	s_or_b32 exec_lo, exec_lo, s1
	s_add_i32 s2, s2, 32
	s_waitcnt_vscnt null, 0x0
	s_cmp_ge_i32 s2, s10
	s_barrier
	buffer_gl0_inv
	s_cbranch_scc1 .LBB461_11
.LBB461_5:                              ; =>This Inner Loop Header: Depth=1
	v_add_nc_u32_e32 v2, s2, v15
	v_mov_b32_e32 v0, 0
	v_mov_b32_e32 v1, 0
	s_delay_alu instid0(VALU_DEP_3) | instskip(NEXT) | instid1(VALU_DEP_2)
	v_cmp_gt_i32_e64 s1, s10, v2
	v_dual_mov_b32 v5, v1 :: v_dual_mov_b32 v4, v0
	v_dual_mov_b32 v7, v1 :: v_dual_mov_b32 v6, v0
	s_delay_alu instid0(VALU_DEP_3) | instskip(NEXT) | instid1(SALU_CYCLE_1)
	s_and_b32 s1, vcc_lo, s1
	s_and_saveexec_b32 s13, s1
	s_cbranch_execz .LBB461_7
; %bb.6:                                ;   in Loop: Header=BB461_5 Depth=1
	v_ashrrev_i32_e32 v3, 31, v2
	s_delay_alu instid0(VALU_DEP_1) | instskip(NEXT) | instid1(VALU_DEP_1)
	v_lshlrev_b64 v[2:3], 4, v[2:3]
	v_add_co_u32 v2, s1, v19, v2
	s_delay_alu instid0(VALU_DEP_1)
	v_add_co_ci_u32_e64 v3, s1, v20, v3, s1
	global_load_b128 v[4:7], v[2:3], off
	s_waitcnt vmcnt(0)
	v_xor_b32_e32 v7, 0x80000000, v7
.LBB461_7:                              ;   in Loop: Header=BB461_5 Depth=1
	s_or_b32 exec_lo, exec_lo, s13
	v_dual_mov_b32 v3, v1 :: v_dual_add_nc_u32 v12, s2, v14
	v_mov_b32_e32 v2, v0
	ds_store_b128 v18, v[4:7]
	v_cmp_gt_i32_e64 s1, s10, v12
	s_delay_alu instid0(VALU_DEP_1) | instskip(NEXT) | instid1(SALU_CYCLE_1)
	s_and_b32 s1, s0, s1
	s_and_saveexec_b32 s13, s1
	s_cbranch_execz .LBB461_9
; %bb.8:                                ;   in Loop: Header=BB461_5 Depth=1
	v_ashrrev_i32_e32 v13, 31, v12
	s_delay_alu instid0(VALU_DEP_1) | instskip(NEXT) | instid1(VALU_DEP_1)
	v_lshlrev_b64 v[0:1], 4, v[12:13]
	v_add_co_u32 v0, s1, v22, v0
	s_delay_alu instid0(VALU_DEP_1)
	v_add_co_ci_u32_e64 v1, s1, v23, v1, s1
	global_load_b128 v[0:3], v[0:1], off
.LBB461_9:                              ;   in Loop: Header=BB461_5 Depth=1
	s_or_b32 exec_lo, exec_lo, s13
	s_waitcnt vmcnt(0)
	ds_store_b128 v24, v[0:3]
	s_waitcnt lgkmcnt(0)
	s_barrier
	buffer_gl0_inv
	s_and_saveexec_b32 s1, s12
	s_cbranch_execz .LBB461_4
; %bb.10:                               ;   in Loop: Header=BB461_5 Depth=1
	ds_load_b128 v[0:3], v21
	ds_load_b128 v[4:7], v17
	ds_load_b128 v[25:28], v17 offset:16
	ds_load_b128 v[29:32], v21 offset:512
	;; [unrolled: 1-line block ×6, first 2 shown]
	s_waitcnt lgkmcnt(6)
	v_mul_f64 v[12:13], v[0:1], v[6:7]
	v_mul_f64 v[6:7], v[2:3], v[6:7]
	s_waitcnt lgkmcnt(4)
	v_mul_f64 v[49:50], v[29:30], v[27:28]
	s_delay_alu instid0(VALU_DEP_3)
	v_fma_f64 v[2:3], v[2:3], v[4:5], v[12:13]
	v_mul_f64 v[12:13], v[31:32], v[27:28]
	s_waitcnt lgkmcnt(2)
	v_mul_f64 v[27:28], v[33:34], v[39:40]
	v_fma_f64 v[0:1], v[0:1], v[4:5], -v[6:7]
	v_fma_f64 v[4:5], v[31:32], v[25:26], v[49:50]
	v_mul_f64 v[39:40], v[35:36], v[39:40]
	s_waitcnt lgkmcnt(0)
	v_mul_f64 v[49:50], v[45:46], v[43:44]
	v_mul_f64 v[43:44], v[47:48], v[43:44]
	v_add_f64 v[2:3], v[2:3], 0
	v_fma_f64 v[12:13], v[29:30], v[25:26], -v[12:13]
	v_fma_f64 v[35:36], v[35:36], v[37:38], v[27:28]
	v_add_f64 v[51:52], v[0:1], 0
	v_fma_f64 v[33:34], v[33:34], v[37:38], -v[39:40]
	v_fma_f64 v[37:38], v[47:48], v[41:42], v[49:50]
	v_add_f64 v[53:54], v[2:3], v[4:5]
	ds_load_b128 v[0:3], v17 offset:64
	ds_load_b128 v[4:7], v21 offset:2048
	ds_load_b128 v[25:28], v21 offset:2560
	ds_load_b128 v[29:32], v17 offset:80
	v_add_f64 v[12:13], v[51:52], v[12:13]
	v_fma_f64 v[51:52], v[45:46], v[41:42], -v[43:44]
	s_waitcnt lgkmcnt(2)
	v_mul_f64 v[55:56], v[4:5], v[2:3]
	v_mul_f64 v[2:3], v[6:7], v[2:3]
	s_waitcnt lgkmcnt(0)
	v_mul_f64 v[49:50], v[25:26], v[31:32]
	v_mul_f64 v[31:32], v[27:28], v[31:32]
	v_add_f64 v[35:36], v[53:54], v[35:36]
	v_add_f64 v[12:13], v[12:13], v[33:34]
	v_fma_f64 v[6:7], v[6:7], v[0:1], v[55:56]
	v_fma_f64 v[0:1], v[4:5], v[0:1], -v[2:3]
	v_fma_f64 v[2:3], v[27:28], v[29:30], v[49:50]
	v_fma_f64 v[49:50], v[25:26], v[29:30], -v[31:32]
	v_add_f64 v[53:54], v[35:36], v[37:38]
	ds_load_b128 v[33:36], v17 offset:96
	ds_load_b128 v[37:40], v21 offset:3072
	ds_load_b128 v[41:44], v21 offset:3584
	ds_load_b128 v[45:48], v17 offset:112
	v_add_f64 v[4:5], v[12:13], v[51:52]
	s_waitcnt lgkmcnt(2)
	v_mul_f64 v[55:56], v[37:38], v[35:36]
	v_mul_f64 v[12:13], v[39:40], v[35:36]
	s_waitcnt lgkmcnt(0)
	v_mul_f64 v[35:36], v[41:42], v[47:48]
	v_mul_f64 v[47:48], v[43:44], v[47:48]
	v_add_f64 v[6:7], v[53:54], v[6:7]
	v_add_f64 v[51:52], v[4:5], v[0:1]
	v_fma_f64 v[39:40], v[39:40], v[33:34], v[55:56]
	v_fma_f64 v[12:13], v[37:38], v[33:34], -v[12:13]
	v_fma_f64 v[33:34], v[43:44], v[45:46], v[35:36]
	v_add_f64 v[53:54], v[6:7], v[2:3]
	ds_load_b128 v[0:3], v17 offset:128
	ds_load_b128 v[4:7], v21 offset:4096
	ds_load_b128 v[25:28], v21 offset:4608
	ds_load_b128 v[29:32], v17 offset:144
	v_add_f64 v[35:36], v[51:52], v[49:50]
	v_fma_f64 v[51:52], v[41:42], v[45:46], -v[47:48]
	s_waitcnt lgkmcnt(2)
	v_mul_f64 v[55:56], v[4:5], v[2:3]
	v_mul_f64 v[2:3], v[6:7], v[2:3]
	s_waitcnt lgkmcnt(0)
	v_mul_f64 v[49:50], v[25:26], v[31:32]
	v_mul_f64 v[31:32], v[27:28], v[31:32]
	v_add_f64 v[37:38], v[53:54], v[39:40]
	v_add_f64 v[12:13], v[35:36], v[12:13]
	v_fma_f64 v[6:7], v[6:7], v[0:1], v[55:56]
	v_fma_f64 v[0:1], v[4:5], v[0:1], -v[2:3]
	v_fma_f64 v[2:3], v[27:28], v[29:30], v[49:50]
	v_fma_f64 v[49:50], v[25:26], v[29:30], -v[31:32]
	v_add_f64 v[53:54], v[37:38], v[33:34]
	ds_load_b128 v[33:36], v17 offset:160
	ds_load_b128 v[37:40], v21 offset:5120
	ds_load_b128 v[41:44], v21 offset:5632
	ds_load_b128 v[45:48], v17 offset:176
	v_add_f64 v[4:5], v[12:13], v[51:52]
	s_waitcnt lgkmcnt(2)
	v_mul_f64 v[55:56], v[37:38], v[35:36]
	v_mul_f64 v[12:13], v[39:40], v[35:36]
	s_waitcnt lgkmcnt(0)
	v_mul_f64 v[35:36], v[41:42], v[47:48]
	v_mul_f64 v[47:48], v[43:44], v[47:48]
	v_add_f64 v[6:7], v[53:54], v[6:7]
	v_add_f64 v[51:52], v[4:5], v[0:1]
	v_fma_f64 v[39:40], v[39:40], v[33:34], v[55:56]
	;; [unrolled: 36-line block ×5, first 2 shown]
	v_fma_f64 v[12:13], v[37:38], v[33:34], -v[12:13]
	v_fma_f64 v[33:34], v[43:44], v[45:46], v[35:36]
	v_add_f64 v[53:54], v[6:7], v[2:3]
	ds_load_b128 v[0:3], v17 offset:384
	ds_load_b128 v[4:7], v21 offset:12288
	;; [unrolled: 1-line block ×4, first 2 shown]
	v_add_f64 v[35:36], v[51:52], v[49:50]
	v_fma_f64 v[51:52], v[41:42], v[45:46], -v[47:48]
	s_waitcnt lgkmcnt(2)
	v_mul_f64 v[55:56], v[4:5], v[2:3]
	v_mul_f64 v[2:3], v[6:7], v[2:3]
	s_waitcnt lgkmcnt(0)
	v_mul_f64 v[49:50], v[25:26], v[31:32]
	v_mul_f64 v[31:32], v[27:28], v[31:32]
	v_add_f64 v[37:38], v[53:54], v[39:40]
	v_add_f64 v[12:13], v[35:36], v[12:13]
	v_fma_f64 v[6:7], v[6:7], v[0:1], v[55:56]
	v_fma_f64 v[0:1], v[4:5], v[0:1], -v[2:3]
	v_fma_f64 v[2:3], v[27:28], v[29:30], v[49:50]
	v_add_f64 v[53:54], v[37:38], v[33:34]
	ds_load_b128 v[33:36], v17 offset:416
	ds_load_b128 v[37:40], v21 offset:13312
	ds_load_b128 v[41:44], v21 offset:13824
	ds_load_b128 v[45:48], v17 offset:432
	v_add_f64 v[4:5], v[12:13], v[51:52]
	s_waitcnt lgkmcnt(2)
	v_mul_f64 v[55:56], v[37:38], v[35:36]
	v_mul_f64 v[12:13], v[39:40], v[35:36]
	s_waitcnt lgkmcnt(0)
	v_mul_f64 v[35:36], v[41:42], v[47:48]
	v_mul_f64 v[47:48], v[43:44], v[47:48]
	v_add_f64 v[6:7], v[53:54], v[6:7]
	v_fma_f64 v[53:54], v[25:26], v[29:30], -v[31:32]
	v_fma_f64 v[39:40], v[39:40], v[33:34], v[55:56]
	v_add_f64 v[55:56], v[4:5], v[0:1]
	v_fma_f64 v[12:13], v[37:38], v[33:34], -v[12:13]
	v_fma_f64 v[33:34], v[43:44], v[45:46], v[35:36]
	v_add_f64 v[57:58], v[6:7], v[2:3]
	ds_load_b128 v[0:3], v17 offset:448
	ds_load_b128 v[4:7], v21 offset:14336
	global_load_b128 v[25:28], v[10:11], off
	ds_load_b128 v[29:32], v21 offset:14848
	ds_load_b128 v[49:52], v17 offset:464
	v_add_f64 v[35:36], v[55:56], v[53:54]
	s_waitcnt lgkmcnt(2)
	v_mul_f64 v[59:60], v[4:5], v[2:3]
	v_mul_f64 v[2:3], v[6:7], v[2:3]
	s_waitcnt lgkmcnt(0)
	v_mul_f64 v[53:54], v[29:30], v[51:52]
	v_fma_f64 v[55:56], v[41:42], v[45:46], -v[47:48]
	v_mul_f64 v[51:52], v[31:32], v[51:52]
	v_add_f64 v[37:38], v[57:58], v[39:40]
	v_add_f64 v[12:13], v[35:36], v[12:13]
	v_fma_f64 v[6:7], v[6:7], v[0:1], v[59:60]
	v_fma_f64 v[0:1], v[4:5], v[0:1], -v[2:3]
	v_fma_f64 v[2:3], v[31:32], v[49:50], v[53:54]
	v_fma_f64 v[29:30], v[29:30], v[49:50], -v[51:52]
	v_add_f64 v[57:58], v[37:38], v[33:34]
	ds_load_b128 v[33:36], v17 offset:480
	ds_load_b128 v[37:40], v21 offset:15360
	;; [unrolled: 1-line block ×4, first 2 shown]
	s_waitcnt lgkmcnt(2)
	v_mul_f64 v[59:60], v[37:38], v[35:36]
	v_add_f64 v[4:5], v[12:13], v[55:56]
	v_mul_f64 v[12:13], v[39:40], v[35:36]
	s_waitcnt lgkmcnt(0)
	v_mul_f64 v[31:32], v[41:42], v[47:48]
	v_add_f64 v[6:7], v[57:58], v[6:7]
	v_fma_f64 v[35:36], v[39:40], v[33:34], v[59:60]
	v_add_f64 v[0:1], v[4:5], v[0:1]
	v_mul_f64 v[4:5], v[43:44], v[47:48]
	s_delay_alu instid0(VALU_DEP_4)
	v_add_f64 v[2:3], v[6:7], v[2:3]
	v_fma_f64 v[6:7], v[37:38], v[33:34], -v[12:13]
	v_fma_f64 v[12:13], v[43:44], v[45:46], v[31:32]
	v_add_f64 v[0:1], v[0:1], v[29:30]
	v_fma_f64 v[4:5], v[41:42], v[45:46], -v[4:5]
	v_add_f64 v[2:3], v[2:3], v[35:36]
	s_delay_alu instid0(VALU_DEP_3) | instskip(NEXT) | instid1(VALU_DEP_2)
	v_add_f64 v[0:1], v[0:1], v[6:7]
	v_add_f64 v[2:3], v[2:3], v[12:13]
	s_delay_alu instid0(VALU_DEP_2) | instskip(NEXT) | instid1(VALU_DEP_2)
	v_add_f64 v[0:1], v[0:1], v[4:5]
	v_mul_f64 v[4:5], s[6:7], v[2:3]
	v_mul_f64 v[2:3], s[4:5], v[2:3]
	s_delay_alu instid0(VALU_DEP_2) | instskip(NEXT) | instid1(VALU_DEP_2)
	v_fma_f64 v[4:5], s[4:5], v[0:1], -v[4:5]
	v_fma_f64 v[2:3], s[6:7], v[0:1], v[2:3]
	s_waitcnt vmcnt(0)
	s_delay_alu instid0(VALU_DEP_2) | instskip(NEXT) | instid1(VALU_DEP_2)
	v_add_f64 v[0:1], v[25:26], v[4:5]
	v_add_f64 v[2:3], v[27:28], v[2:3]
	global_store_b128 v[10:11], v[0:3], off
	s_branch .LBB461_4
.LBB461_11:
	v_cmp_eq_u32_e32 vcc_lo, v8, v16
	v_cmp_gt_i32_e64 s0, s9, v8
	s_delay_alu instid0(VALU_DEP_1) | instskip(NEXT) | instid1(SALU_CYCLE_1)
	s_and_b32 s0, vcc_lo, s0
	s_and_saveexec_b32 s1, s0
	s_cbranch_execz .LBB461_13
; %bb.12:
	v_mad_i64_i32 v[0:1], null, s3, v8, 0
	v_lshlrev_b64 v[2:3], 4, v[8:9]
	s_delay_alu instid0(VALU_DEP_2) | instskip(NEXT) | instid1(VALU_DEP_1)
	v_lshlrev_b64 v[0:1], 4, v[0:1]
	v_add_co_u32 v4, vcc_lo, s8, v0
	s_delay_alu instid0(VALU_DEP_2) | instskip(SKIP_1) | instid1(VALU_DEP_3)
	v_add_co_ci_u32_e32 v1, vcc_lo, s11, v1, vcc_lo
	v_mov_b32_e32 v0, 0
	v_add_co_u32 v2, vcc_lo, v4, v2
	s_delay_alu instid0(VALU_DEP_3) | instskip(NEXT) | instid1(VALU_DEP_3)
	v_add_co_ci_u32_e32 v3, vcc_lo, v1, v3, vcc_lo
	v_mov_b32_e32 v1, v0
	global_store_b64 v[2:3], v[0:1], off offset:8
.LBB461_13:
	s_nop 0
	s_sendmsg sendmsg(MSG_DEALLOC_VGPRS)
	s_endpgm
	.section	.rodata,"a",@progbits
	.p2align	6, 0x0
	.amdhsa_kernel _ZL26rocblas_syr2k_her2k_kernelIiLb0ELb1ELb1ELi32EPK19rocblas_complex_numIdES3_PS1_EvbiT_T4_T5_S5_lS7_S5_lT6_S5_li
		.amdhsa_group_segment_fixed_size 32768
		.amdhsa_private_segment_fixed_size 0
		.amdhsa_kernarg_size 100
		.amdhsa_user_sgpr_count 13
		.amdhsa_user_sgpr_dispatch_ptr 0
		.amdhsa_user_sgpr_queue_ptr 0
		.amdhsa_user_sgpr_kernarg_segment_ptr 1
		.amdhsa_user_sgpr_dispatch_id 0
		.amdhsa_user_sgpr_private_segment_size 0
		.amdhsa_wavefront_size32 1
		.amdhsa_uses_dynamic_stack 0
		.amdhsa_enable_private_segment 0
		.amdhsa_system_sgpr_workgroup_id_x 1
		.amdhsa_system_sgpr_workgroup_id_y 1
		.amdhsa_system_sgpr_workgroup_id_z 1
		.amdhsa_system_sgpr_workgroup_info 0
		.amdhsa_system_vgpr_workitem_id 1
		.amdhsa_next_free_vgpr 61
		.amdhsa_next_free_sgpr 28
		.amdhsa_reserve_vcc 1
		.amdhsa_float_round_mode_32 0
		.amdhsa_float_round_mode_16_64 0
		.amdhsa_float_denorm_mode_32 3
		.amdhsa_float_denorm_mode_16_64 3
		.amdhsa_dx10_clamp 1
		.amdhsa_ieee_mode 1
		.amdhsa_fp16_overflow 0
		.amdhsa_workgroup_processor_mode 1
		.amdhsa_memory_ordered 1
		.amdhsa_forward_progress 0
		.amdhsa_shared_vgpr_count 0
		.amdhsa_exception_fp_ieee_invalid_op 0
		.amdhsa_exception_fp_denorm_src 0
		.amdhsa_exception_fp_ieee_div_zero 0
		.amdhsa_exception_fp_ieee_overflow 0
		.amdhsa_exception_fp_ieee_underflow 0
		.amdhsa_exception_fp_ieee_inexact 0
		.amdhsa_exception_int_div_zero 0
	.end_amdhsa_kernel
	.section	.text._ZL26rocblas_syr2k_her2k_kernelIiLb0ELb1ELb1ELi32EPK19rocblas_complex_numIdES3_PS1_EvbiT_T4_T5_S5_lS7_S5_lT6_S5_li,"axG",@progbits,_ZL26rocblas_syr2k_her2k_kernelIiLb0ELb1ELb1ELi32EPK19rocblas_complex_numIdES3_PS1_EvbiT_T4_T5_S5_lS7_S5_lT6_S5_li,comdat
.Lfunc_end461:
	.size	_ZL26rocblas_syr2k_her2k_kernelIiLb0ELb1ELb1ELi32EPK19rocblas_complex_numIdES3_PS1_EvbiT_T4_T5_S5_lS7_S5_lT6_S5_li, .Lfunc_end461-_ZL26rocblas_syr2k_her2k_kernelIiLb0ELb1ELb1ELi32EPK19rocblas_complex_numIdES3_PS1_EvbiT_T4_T5_S5_lS7_S5_lT6_S5_li
                                        ; -- End function
	.section	.AMDGPU.csdata,"",@progbits
; Kernel info:
; codeLenInByte = 3188
; NumSgprs: 30
; NumVgprs: 61
; ScratchSize: 0
; MemoryBound: 1
; FloatMode: 240
; IeeeMode: 1
; LDSByteSize: 32768 bytes/workgroup (compile time only)
; SGPRBlocks: 3
; VGPRBlocks: 7
; NumSGPRsForWavesPerEU: 30
; NumVGPRsForWavesPerEU: 61
; Occupancy: 16
; WaveLimiterHint : 0
; COMPUTE_PGM_RSRC2:SCRATCH_EN: 0
; COMPUTE_PGM_RSRC2:USER_SGPR: 13
; COMPUTE_PGM_RSRC2:TRAP_HANDLER: 0
; COMPUTE_PGM_RSRC2:TGID_X_EN: 1
; COMPUTE_PGM_RSRC2:TGID_Y_EN: 1
; COMPUTE_PGM_RSRC2:TGID_Z_EN: 1
; COMPUTE_PGM_RSRC2:TIDIG_COMP_CNT: 1
	.section	.text._ZL26rocblas_syr2k_her2k_kernelIiLb0ELb0ELb0ELi32EfPKPKfPKPfEvbiT_T4_T5_S7_lS9_S7_lT6_S7_li,"axG",@progbits,_ZL26rocblas_syr2k_her2k_kernelIiLb0ELb0ELb0ELi32EfPKPKfPKPfEvbiT_T4_T5_S7_lS9_S7_lT6_S7_li,comdat
	.globl	_ZL26rocblas_syr2k_her2k_kernelIiLb0ELb0ELb0ELi32EfPKPKfPKPfEvbiT_T4_T5_S7_lS9_S7_lT6_S7_li ; -- Begin function _ZL26rocblas_syr2k_her2k_kernelIiLb0ELb0ELb0ELi32EfPKPKfPKPfEvbiT_T4_T5_S7_lS9_S7_lT6_S7_li
	.p2align	8
	.type	_ZL26rocblas_syr2k_her2k_kernelIiLb0ELb0ELb0ELi32EfPKPKfPKPfEvbiT_T4_T5_S7_lS9_S7_lT6_S7_li,@function
_ZL26rocblas_syr2k_her2k_kernelIiLb0ELb0ELb0ELi32EfPKPKfPKPfEvbiT_T4_T5_S7_lS9_S7_lT6_S7_li: ; @_ZL26rocblas_syr2k_her2k_kernelIiLb0ELb0ELb0ELi32EfPKPKfPKPfEvbiT_T4_T5_S7_lS9_S7_lT6_S7_li
; %bb.0:
	s_load_b128 s[4:7], s[0:1], 0x0
	s_waitcnt lgkmcnt(0)
	v_cmp_eq_f32_e64 s3, s7, 0
	s_delay_alu instid0(VALU_DEP_1)
	s_and_b32 vcc_lo, exec_lo, s3
	s_cbranch_vccnz .LBB462_11
; %bb.1:
	s_and_b32 s3, 1, s4
	s_lshl_b32 s17, s14, 5
	s_lshl_b32 s18, s13, 5
	s_cmp_eq_u32 s3, 1
	s_cselect_b32 vcc_lo, -1, 0
	s_delay_alu instid0(SALU_CYCLE_1) | instskip(SKIP_2) | instid1(SALU_CYCLE_1)
	s_and_b32 s3, vcc_lo, exec_lo
	s_cselect_b32 s3, s18, s17
	s_cselect_b32 s4, s17, s18
	s_cmp_gt_i32 s3, s4
	s_cbranch_scc1 .LBB462_11
; %bb.2:
	s_cmp_lt_i32 s6, 1
	s_cbranch_scc1 .LBB462_11
; %bb.3:
	s_mov_b32 s2, s15
	s_clause 0x5
	s_load_b64 s[20:21], s[0:1], 0x10
	s_load_b128 s[12:15], s[0:1], 0x20
	s_load_b32 s4, s[0:1], 0x18
	s_load_b32 s16, s[0:1], 0x30
	s_load_b128 s[8:11], s[0:1], 0x38
	s_load_b32 s24, s[0:1], 0x48
	v_and_b32_e32 v3, 0x3ff, v0
	s_mov_b32 s3, 0
	s_load_b64 s[22:23], s[0:1], 0x50
	s_lshl_b64 s[0:1], s[2:3], 3
	v_bfe_u32 v2, v0, 10, 10
	v_add_nc_u32_e32 v7, s18, v3
	v_lshlrev_b32_e32 v4, 7, v3
	s_delay_alu instid0(VALU_DEP_3) | instskip(NEXT) | instid1(VALU_DEP_3)
	v_add_nc_u32_e32 v0, s17, v2
	v_ashrrev_i32_e32 v8, 31, v7
	s_delay_alu instid0(VALU_DEP_2)
	v_dual_cndmask_b32 v17, v0, v7 :: v_dual_lshlrev_b32 v6, 2, v2
	s_waitcnt lgkmcnt(0)
	s_add_u32 s18, s20, s0
	s_addc_u32 s19, s21, s1
	s_add_u32 s14, s14, s0
	s_load_b64 s[18:19], s[18:19], 0x0
	s_addc_u32 s15, s15, s1
	s_add_u32 s0, s10, s0
	s_load_b64 s[14:15], s[14:15], 0x0
	s_addc_u32 s1, s11, s1
	v_ashrrev_i32_e32 v1, 31, v0
	s_load_b64 s[10:11], s[0:1], 0x0
	v_mad_i64_i32 v[9:10], null, s24, v0, 0
	v_lshlrev_b64 v[12:13], 2, v[7:8]
	s_lshl_b64 s[12:13], s[12:13], 2
	v_dual_cndmask_b32 v16, v7, v0 :: v_dual_add_nc_u32 v5, v4, v6
	v_cmp_gt_i32_e64 s0, s5, v0
	v_lshlrev_b64 v[0:1], 2, v[0:1]
	v_cmp_gt_i32_e32 vcc_lo, s5, v7
	v_lshlrev_b64 v[14:15], 2, v[9:10]
	v_or_b32_e32 v6, 0x1000, v6
	s_waitcnt lgkmcnt(0)
	s_add_u32 s1, s18, s12
	s_addc_u32 s2, s19, s13
	s_lshl_b64 s[8:9], s[8:9], 2
	v_add_co_u32 v7, s1, s1, v12
	s_add_u32 s5, s14, s8
	s_addc_u32 s12, s15, s9
	s_lshl_b64 s[8:9], s[22:23], 2
	v_add_co_ci_u32_e64 v8, s1, s2, v13, s1
	v_add_co_u32 v9, s1, s5, v0
	s_add_u32 s2, s10, s8
	v_add_co_ci_u32_e64 v10, s1, s12, v1, s1
	s_addc_u32 s8, s11, s9
	v_add_co_u32 v0, s1, s2, v14
	s_delay_alu instid0(VALU_DEP_1) | instskip(SKIP_1) | instid1(VALU_DEP_3)
	v_add_co_ci_u32_e64 v1, s1, s8, v15, s1
	v_cmp_le_i32_e64 s1, v17, v16
	v_add_co_u32 v0, s2, v0, v12
	v_add_nc_u32_e32 v11, v6, v4
	s_delay_alu instid0(VALU_DEP_4) | instskip(SKIP_4) | instid1(SALU_CYCLE_1)
	v_add_co_ci_u32_e64 v1, s2, v1, v13, s2
	v_add_nc_u32_e32 v12, 0x400, v6
	v_add_nc_u32_e32 v13, 0x800, v6
	;; [unrolled: 1-line block ×3, first 2 shown]
	s_and_b32 s2, s0, vcc_lo
	s_and_b32 s2, s2, s1
	s_branch .LBB462_5
.LBB462_4:                              ;   in Loop: Header=BB462_5 Depth=1
	s_or_b32 exec_lo, exec_lo, s1
	s_add_i32 s3, s3, 32
	s_waitcnt_vscnt null, 0x0
	s_cmp_lt_i32 s3, s6
	s_barrier
	buffer_gl0_inv
	s_cbranch_scc0 .LBB462_11
.LBB462_5:                              ; =>This Inner Loop Header: Depth=1
	v_dual_mov_b32 v15, 0 :: v_dual_add_nc_u32 v16, s3, v2
	s_delay_alu instid0(VALU_DEP_1) | instskip(NEXT) | instid1(VALU_DEP_1)
	v_cmp_gt_i32_e64 s1, s6, v16
	s_and_b32 s1, vcc_lo, s1
	s_delay_alu instid0(SALU_CYCLE_1)
	s_and_saveexec_b32 s5, s1
	s_cbranch_execz .LBB462_7
; %bb.6:                                ;   in Loop: Header=BB462_5 Depth=1
	v_mad_i64_i32 v[17:18], null, v16, s4, 0
	s_delay_alu instid0(VALU_DEP_1) | instskip(NEXT) | instid1(VALU_DEP_1)
	v_lshlrev_b64 v[15:16], 2, v[17:18]
	v_add_co_u32 v15, s1, v7, v15
	s_delay_alu instid0(VALU_DEP_1)
	v_add_co_ci_u32_e64 v16, s1, v8, v16, s1
	global_load_b32 v15, v[15:16], off
.LBB462_7:                              ;   in Loop: Header=BB462_5 Depth=1
	s_or_b32 exec_lo, exec_lo, s5
	v_dual_mov_b32 v16, 0 :: v_dual_add_nc_u32 v17, s3, v3
	s_waitcnt vmcnt(0)
	ds_store_b32 v5, v15
	v_cmp_gt_i32_e64 s1, s6, v17
	s_delay_alu instid0(VALU_DEP_1) | instskip(NEXT) | instid1(SALU_CYCLE_1)
	s_and_b32 s1, s0, s1
	s_and_saveexec_b32 s5, s1
	s_cbranch_execz .LBB462_9
; %bb.8:                                ;   in Loop: Header=BB462_5 Depth=1
	v_mad_i64_i32 v[15:16], null, v17, s16, 0
	s_delay_alu instid0(VALU_DEP_1) | instskip(NEXT) | instid1(VALU_DEP_1)
	v_lshlrev_b64 v[15:16], 2, v[15:16]
	v_add_co_u32 v15, s1, v9, v15
	s_delay_alu instid0(VALU_DEP_1)
	v_add_co_ci_u32_e64 v16, s1, v10, v16, s1
	global_load_b32 v16, v[15:16], off
.LBB462_9:                              ;   in Loop: Header=BB462_5 Depth=1
	s_or_b32 exec_lo, exec_lo, s5
	s_waitcnt vmcnt(0)
	ds_store_b32 v11, v16
	s_waitcnt lgkmcnt(0)
	s_barrier
	buffer_gl0_inv
	s_and_saveexec_b32 s1, s2
	s_cbranch_execz .LBB462_4
; %bb.10:                               ;   in Loop: Header=BB462_5 Depth=1
	global_load_b32 v29, v[0:1], off
	ds_load_2addr_b32 v[23:24], v6 offset1:32
	ds_load_b128 v[15:18], v4
	ds_load_2addr_b32 v[25:26], v6 offset0:64 offset1:96
	ds_load_b128 v[19:22], v4 offset:16
	ds_load_2addr_b32 v[27:28], v6 offset0:128 offset1:160
	s_waitcnt lgkmcnt(3)
	v_fma_f32 v30, v15, v23, 0
	s_delay_alu instid0(VALU_DEP_1) | instskip(SKIP_3) | instid1(VALU_DEP_1)
	v_fmac_f32_e32 v30, v16, v24
	ds_load_2addr_b32 v[23:24], v6 offset0:192 offset1:224
	s_waitcnt lgkmcnt(3)
	v_fmac_f32_e32 v30, v17, v25
	v_fmac_f32_e32 v30, v18, v26
	ds_load_2addr_b32 v[25:26], v12 offset1:32
	ds_load_b128 v[15:18], v4 offset:32
	s_waitcnt lgkmcnt(3)
	v_fmac_f32_e32 v30, v19, v27
	s_delay_alu instid0(VALU_DEP_1) | instskip(SKIP_3) | instid1(VALU_DEP_1)
	v_fmac_f32_e32 v30, v20, v28
	ds_load_2addr_b32 v[27:28], v12 offset0:64 offset1:96
	s_waitcnt lgkmcnt(3)
	v_fmac_f32_e32 v30, v21, v23
	v_fmac_f32_e32 v30, v22, v24
	ds_load_b128 v[19:22], v4 offset:48
	ds_load_2addr_b32 v[23:24], v12 offset0:128 offset1:160
	s_waitcnt lgkmcnt(3)
	v_fmac_f32_e32 v30, v15, v25
	s_delay_alu instid0(VALU_DEP_1) | instskip(SKIP_3) | instid1(VALU_DEP_1)
	v_fmac_f32_e32 v30, v16, v26
	ds_load_2addr_b32 v[25:26], v12 offset0:192 offset1:224
	s_waitcnt lgkmcnt(3)
	v_fmac_f32_e32 v30, v17, v27
	v_fmac_f32_e32 v30, v18, v28
	ds_load_2addr_b32 v[27:28], v13 offset1:32
	ds_load_b128 v[15:18], v4 offset:64
	s_waitcnt lgkmcnt(3)
	v_fmac_f32_e32 v30, v19, v23
	s_delay_alu instid0(VALU_DEP_1) | instskip(SKIP_3) | instid1(VALU_DEP_1)
	v_fmac_f32_e32 v30, v20, v24
	ds_load_2addr_b32 v[23:24], v13 offset0:64 offset1:96
	s_waitcnt lgkmcnt(3)
	v_fmac_f32_e32 v30, v21, v25
	v_fmac_f32_e32 v30, v22, v26
	ds_load_b128 v[19:22], v4 offset:80
	ds_load_2addr_b32 v[25:26], v13 offset0:128 offset1:160
	s_waitcnt lgkmcnt(3)
	v_fmac_f32_e32 v30, v15, v27
	;; [unrolled: 20-line block ×3, first 2 shown]
	s_delay_alu instid0(VALU_DEP_1) | instskip(SKIP_3) | instid1(VALU_DEP_1)
	v_fmac_f32_e32 v30, v16, v24
	ds_load_2addr_b32 v[15:16], v14 offset0:192 offset1:224
	s_waitcnt lgkmcnt(3)
	v_fmac_f32_e32 v30, v17, v25
	v_fmac_f32_e32 v30, v18, v26
	s_waitcnt lgkmcnt(1)
	s_delay_alu instid0(VALU_DEP_1) | instskip(NEXT) | instid1(VALU_DEP_1)
	v_fmac_f32_e32 v30, v19, v27
	v_fmac_f32_e32 v30, v20, v28
	s_waitcnt lgkmcnt(0)
	s_delay_alu instid0(VALU_DEP_1) | instskip(NEXT) | instid1(VALU_DEP_1)
	v_fmac_f32_e32 v30, v21, v15
	v_fmac_f32_e32 v30, v22, v16
	s_waitcnt vmcnt(0)
	s_delay_alu instid0(VALU_DEP_1)
	v_fmac_f32_e32 v29, s7, v30
	global_store_b32 v[0:1], v29, off
	s_branch .LBB462_4
.LBB462_11:
	s_endpgm
	.section	.rodata,"a",@progbits
	.p2align	6, 0x0
	.amdhsa_kernel _ZL26rocblas_syr2k_her2k_kernelIiLb0ELb0ELb0ELi32EfPKPKfPKPfEvbiT_T4_T5_S7_lS9_S7_lT6_S7_li
		.amdhsa_group_segment_fixed_size 8192
		.amdhsa_private_segment_fixed_size 0
		.amdhsa_kernarg_size 92
		.amdhsa_user_sgpr_count 13
		.amdhsa_user_sgpr_dispatch_ptr 0
		.amdhsa_user_sgpr_queue_ptr 0
		.amdhsa_user_sgpr_kernarg_segment_ptr 1
		.amdhsa_user_sgpr_dispatch_id 0
		.amdhsa_user_sgpr_private_segment_size 0
		.amdhsa_wavefront_size32 1
		.amdhsa_uses_dynamic_stack 0
		.amdhsa_enable_private_segment 0
		.amdhsa_system_sgpr_workgroup_id_x 1
		.amdhsa_system_sgpr_workgroup_id_y 1
		.amdhsa_system_sgpr_workgroup_id_z 1
		.amdhsa_system_sgpr_workgroup_info 0
		.amdhsa_system_vgpr_workitem_id 1
		.amdhsa_next_free_vgpr 31
		.amdhsa_next_free_sgpr 25
		.amdhsa_reserve_vcc 1
		.amdhsa_float_round_mode_32 0
		.amdhsa_float_round_mode_16_64 0
		.amdhsa_float_denorm_mode_32 3
		.amdhsa_float_denorm_mode_16_64 3
		.amdhsa_dx10_clamp 1
		.amdhsa_ieee_mode 1
		.amdhsa_fp16_overflow 0
		.amdhsa_workgroup_processor_mode 1
		.amdhsa_memory_ordered 1
		.amdhsa_forward_progress 0
		.amdhsa_shared_vgpr_count 0
		.amdhsa_exception_fp_ieee_invalid_op 0
		.amdhsa_exception_fp_denorm_src 0
		.amdhsa_exception_fp_ieee_div_zero 0
		.amdhsa_exception_fp_ieee_overflow 0
		.amdhsa_exception_fp_ieee_underflow 0
		.amdhsa_exception_fp_ieee_inexact 0
		.amdhsa_exception_int_div_zero 0
	.end_amdhsa_kernel
	.section	.text._ZL26rocblas_syr2k_her2k_kernelIiLb0ELb0ELb0ELi32EfPKPKfPKPfEvbiT_T4_T5_S7_lS9_S7_lT6_S7_li,"axG",@progbits,_ZL26rocblas_syr2k_her2k_kernelIiLb0ELb0ELb0ELi32EfPKPKfPKPfEvbiT_T4_T5_S7_lS9_S7_lT6_S7_li,comdat
.Lfunc_end462:
	.size	_ZL26rocblas_syr2k_her2k_kernelIiLb0ELb0ELb0ELi32EfPKPKfPKPfEvbiT_T4_T5_S7_lS9_S7_lT6_S7_li, .Lfunc_end462-_ZL26rocblas_syr2k_her2k_kernelIiLb0ELb0ELb0ELi32EfPKPKfPKPfEvbiT_T4_T5_S7_lS9_S7_lT6_S7_li
                                        ; -- End function
	.section	.AMDGPU.csdata,"",@progbits
; Kernel info:
; codeLenInByte = 1192
; NumSgprs: 27
; NumVgprs: 31
; ScratchSize: 0
; MemoryBound: 0
; FloatMode: 240
; IeeeMode: 1
; LDSByteSize: 8192 bytes/workgroup (compile time only)
; SGPRBlocks: 3
; VGPRBlocks: 3
; NumSGPRsForWavesPerEU: 27
; NumVGPRsForWavesPerEU: 31
; Occupancy: 16
; WaveLimiterHint : 1
; COMPUTE_PGM_RSRC2:SCRATCH_EN: 0
; COMPUTE_PGM_RSRC2:USER_SGPR: 13
; COMPUTE_PGM_RSRC2:TRAP_HANDLER: 0
; COMPUTE_PGM_RSRC2:TGID_X_EN: 1
; COMPUTE_PGM_RSRC2:TGID_Y_EN: 1
; COMPUTE_PGM_RSRC2:TGID_Z_EN: 1
; COMPUTE_PGM_RSRC2:TIDIG_COMP_CNT: 1
	.section	.text._ZL26rocblas_syr2k_her2k_kernelIiLb0ELb0ELb1ELi32EfPKPKfPKPfEvbiT_T4_T5_S7_lS9_S7_lT6_S7_li,"axG",@progbits,_ZL26rocblas_syr2k_her2k_kernelIiLb0ELb0ELb1ELi32EfPKPKfPKPfEvbiT_T4_T5_S7_lS9_S7_lT6_S7_li,comdat
	.globl	_ZL26rocblas_syr2k_her2k_kernelIiLb0ELb0ELb1ELi32EfPKPKfPKPfEvbiT_T4_T5_S7_lS9_S7_lT6_S7_li ; -- Begin function _ZL26rocblas_syr2k_her2k_kernelIiLb0ELb0ELb1ELi32EfPKPKfPKPfEvbiT_T4_T5_S7_lS9_S7_lT6_S7_li
	.p2align	8
	.type	_ZL26rocblas_syr2k_her2k_kernelIiLb0ELb0ELb1ELi32EfPKPKfPKPfEvbiT_T4_T5_S7_lS9_S7_lT6_S7_li,@function
_ZL26rocblas_syr2k_her2k_kernelIiLb0ELb0ELb1ELi32EfPKPKfPKPfEvbiT_T4_T5_S7_lS9_S7_lT6_S7_li: ; @_ZL26rocblas_syr2k_her2k_kernelIiLb0ELb0ELb1ELi32EfPKPKfPKPfEvbiT_T4_T5_S7_lS9_S7_lT6_S7_li
; %bb.0:
	s_load_b128 s[4:7], s[0:1], 0x0
	s_waitcnt lgkmcnt(0)
	v_cmp_eq_f32_e64 s3, s7, 0
	s_delay_alu instid0(VALU_DEP_1)
	s_and_b32 vcc_lo, exec_lo, s3
	s_cbranch_vccnz .LBB463_11
; %bb.1:
	s_and_b32 s3, 1, s4
	s_lshl_b32 s4, s14, 5
	s_lshl_b32 s16, s13, 5
	s_cmp_eq_u32 s3, 1
	s_cselect_b32 vcc_lo, -1, 0
	s_delay_alu instid0(SALU_CYCLE_1) | instskip(SKIP_2) | instid1(SALU_CYCLE_1)
	s_and_b32 s3, vcc_lo, exec_lo
	s_cselect_b32 s3, s16, s4
	s_cselect_b32 s8, s4, s16
	s_cmp_gt_i32 s3, s8
	s_cbranch_scc1 .LBB463_11
; %bb.2:
	s_cmp_lt_i32 s6, 1
	s_cbranch_scc1 .LBB463_11
; %bb.3:
	s_mov_b32 s2, s15
	s_clause 0x5
	s_load_b64 s[18:19], s[0:1], 0x10
	s_load_b128 s[12:15], s[0:1], 0x20
	s_load_b32 s22, s[0:1], 0x18
	s_load_b32 s23, s[0:1], 0x30
	s_load_b128 s[8:11], s[0:1], 0x38
	s_load_b32 s24, s[0:1], 0x48
	v_bfe_u32 v4, v0, 10, 10
	s_mov_b32 s3, 0
	s_load_b64 s[20:21], s[0:1], 0x50
	s_lshl_b64 s[0:1], s[2:3], 3
	s_delay_alu instid0(VALU_DEP_1) | instskip(SKIP_2) | instid1(VALU_DEP_2)
	v_add_nc_u32_e32 v10, s4, v4
	v_and_b32_e32 v5, 0x3ff, v0
	v_lshlrev_b32_e32 v15, 2, v4
	v_add_nc_u32_e32 v0, s16, v5
	s_waitcnt lgkmcnt(0)
	s_add_u32 s16, s18, s0
	s_addc_u32 s17, s19, s1
	s_delay_alu instid0(VALU_DEP_1)
	v_cndmask_b32_e32 v16, v0, v10, vcc_lo
	s_load_b64 s[16:17], s[16:17], 0x0
	s_add_u32 s14, s14, s0
	s_addc_u32 s15, s15, s1
	s_add_u32 s0, s10, s0
	s_load_b64 s[14:15], s[14:15], 0x0
	s_addc_u32 s1, s11, s1
	v_mad_i64_i32 v[2:3], null, s22, v0, 0
	s_load_b64 s[10:11], s[0:1], 0x0
	v_mad_i64_i32 v[8:9], null, s23, v10, 0
	v_mad_i64_i32 v[11:12], null, s24, v10, 0
	v_dual_cndmask_b32 v17, v10, v0 :: v_dual_lshlrev_b32 v6, 7, v5
	s_delay_alu instid0(VALU_DEP_4)
	v_lshlrev_b64 v[2:3], 2, v[2:3]
	v_cmp_gt_i32_e32 vcc_lo, s5, v0
	v_cmp_gt_i32_e64 s0, s5, v10
	s_lshl_b64 s[4:5], s[12:13], 2
	v_lshlrev_b64 v[13:14], 2, v[8:9]
	s_waitcnt lgkmcnt(0)
	s_add_u32 s1, s16, s4
	s_addc_u32 s2, s17, s5
	v_add_co_u32 v8, s1, s1, v2
	s_lshl_b64 s[4:5], s[8:9], 2
	v_ashrrev_i32_e32 v1, 31, v0
	v_add_co_ci_u32_e64 v9, s1, s2, v3, s1
	v_lshlrev_b64 v[2:3], 2, v[11:12]
	s_add_u32 s8, s14, s4
	s_addc_u32 s9, s15, s5
	s_lshl_b64 s[4:5], s[20:21], 2
	v_add_co_u32 v11, s1, s8, v13
	s_add_u32 s2, s10, s4
	v_add_co_ci_u32_e64 v12, s1, s9, v14, s1
	v_lshlrev_b64 v[0:1], 2, v[0:1]
	s_addc_u32 s4, s11, s5
	v_add_co_u32 v2, s1, s2, v2
	v_or_b32_e32 v10, 0x1000, v15
	v_add_co_ci_u32_e64 v3, s1, s4, v3, s1
	v_cmp_le_i32_e64 s1, v17, v16
	s_delay_alu instid0(VALU_DEP_4)
	v_add_co_u32 v0, s2, v2, v0
	v_add_nc_u32_e32 v7, v6, v15
	v_add_nc_u32_e32 v13, v10, v6
	v_add_co_ci_u32_e64 v1, s2, v3, v1, s2
	v_add_nc_u32_e32 v14, 0x400, v10
	v_add_nc_u32_e32 v15, 0x800, v10
	;; [unrolled: 1-line block ×3, first 2 shown]
	s_and_b32 s2, s0, vcc_lo
	s_delay_alu instid0(SALU_CYCLE_1)
	s_and_b32 s2, s2, s1
	s_branch .LBB463_5
.LBB463_4:                              ;   in Loop: Header=BB463_5 Depth=1
	s_or_b32 exec_lo, exec_lo, s1
	s_add_i32 s3, s3, 32
	s_waitcnt_vscnt null, 0x0
	s_cmp_lt_i32 s3, s6
	s_barrier
	buffer_gl0_inv
	s_cbranch_scc0 .LBB463_11
.LBB463_5:                              ; =>This Inner Loop Header: Depth=1
	v_dual_mov_b32 v3, 0 :: v_dual_add_nc_u32 v2, s3, v4
	s_delay_alu instid0(VALU_DEP_1) | instskip(NEXT) | instid1(VALU_DEP_1)
	v_cmp_gt_i32_e64 s1, s6, v2
	s_and_b32 s1, vcc_lo, s1
	s_delay_alu instid0(SALU_CYCLE_1)
	s_and_saveexec_b32 s4, s1
	s_cbranch_execz .LBB463_7
; %bb.6:                                ;   in Loop: Header=BB463_5 Depth=1
	v_ashrrev_i32_e32 v3, 31, v2
	s_delay_alu instid0(VALU_DEP_1) | instskip(NEXT) | instid1(VALU_DEP_1)
	v_lshlrev_b64 v[2:3], 2, v[2:3]
	v_add_co_u32 v2, s1, v8, v2
	s_delay_alu instid0(VALU_DEP_1)
	v_add_co_ci_u32_e64 v3, s1, v9, v3, s1
	global_load_b32 v3, v[2:3], off
.LBB463_7:                              ;   in Loop: Header=BB463_5 Depth=1
	s_or_b32 exec_lo, exec_lo, s4
	v_dual_mov_b32 v17, 0 :: v_dual_add_nc_u32 v2, s3, v5
	s_waitcnt vmcnt(0)
	ds_store_b32 v7, v3
	v_cmp_gt_i32_e64 s1, s6, v2
	s_delay_alu instid0(VALU_DEP_1) | instskip(NEXT) | instid1(SALU_CYCLE_1)
	s_and_b32 s1, s0, s1
	s_and_saveexec_b32 s4, s1
	s_cbranch_execz .LBB463_9
; %bb.8:                                ;   in Loop: Header=BB463_5 Depth=1
	v_ashrrev_i32_e32 v3, 31, v2
	s_delay_alu instid0(VALU_DEP_1) | instskip(NEXT) | instid1(VALU_DEP_1)
	v_lshlrev_b64 v[2:3], 2, v[2:3]
	v_add_co_u32 v2, s1, v11, v2
	s_delay_alu instid0(VALU_DEP_1)
	v_add_co_ci_u32_e64 v3, s1, v12, v3, s1
	global_load_b32 v17, v[2:3], off
.LBB463_9:                              ;   in Loop: Header=BB463_5 Depth=1
	s_or_b32 exec_lo, exec_lo, s4
	s_waitcnt vmcnt(0)
	ds_store_b32 v13, v17
	s_waitcnt lgkmcnt(0)
	s_barrier
	buffer_gl0_inv
	s_and_saveexec_b32 s1, s2
	s_cbranch_execz .LBB463_4
; %bb.10:                               ;   in Loop: Header=BB463_5 Depth=1
	global_load_b32 v29, v[0:1], off
	ds_load_2addr_b32 v[2:3], v10 offset1:32
	ds_load_b128 v[17:20], v6
	ds_load_2addr_b32 v[25:26], v10 offset0:64 offset1:96
	ds_load_b128 v[21:24], v6 offset:16
	ds_load_2addr_b32 v[27:28], v10 offset0:128 offset1:160
	s_waitcnt lgkmcnt(3)
	v_fma_f32 v30, v17, v2, 0
	s_delay_alu instid0(VALU_DEP_1) | instskip(SKIP_3) | instid1(VALU_DEP_1)
	v_fmac_f32_e32 v30, v18, v3
	ds_load_2addr_b32 v[2:3], v10 offset0:192 offset1:224
	s_waitcnt lgkmcnt(3)
	v_fmac_f32_e32 v30, v19, v25
	v_fmac_f32_e32 v30, v20, v26
	ds_load_2addr_b32 v[25:26], v14 offset1:32
	ds_load_b128 v[17:20], v6 offset:32
	s_waitcnt lgkmcnt(3)
	v_fmac_f32_e32 v30, v21, v27
	s_delay_alu instid0(VALU_DEP_1) | instskip(SKIP_3) | instid1(VALU_DEP_1)
	v_fmac_f32_e32 v30, v22, v28
	ds_load_2addr_b32 v[27:28], v14 offset0:64 offset1:96
	s_waitcnt lgkmcnt(3)
	v_fmac_f32_e32 v30, v23, v2
	v_fmac_f32_e32 v30, v24, v3
	ds_load_b128 v[21:24], v6 offset:48
	ds_load_2addr_b32 v[2:3], v14 offset0:128 offset1:160
	s_waitcnt lgkmcnt(3)
	v_fmac_f32_e32 v30, v17, v25
	s_delay_alu instid0(VALU_DEP_1) | instskip(SKIP_3) | instid1(VALU_DEP_1)
	v_fmac_f32_e32 v30, v18, v26
	ds_load_2addr_b32 v[25:26], v14 offset0:192 offset1:224
	s_waitcnt lgkmcnt(3)
	v_fmac_f32_e32 v30, v19, v27
	v_fmac_f32_e32 v30, v20, v28
	ds_load_2addr_b32 v[27:28], v15 offset1:32
	ds_load_b128 v[17:20], v6 offset:64
	s_waitcnt lgkmcnt(3)
	v_fmac_f32_e32 v30, v21, v2
	s_delay_alu instid0(VALU_DEP_1) | instskip(SKIP_3) | instid1(VALU_DEP_1)
	v_fmac_f32_e32 v30, v22, v3
	ds_load_2addr_b32 v[2:3], v15 offset0:64 offset1:96
	s_waitcnt lgkmcnt(3)
	v_fmac_f32_e32 v30, v23, v25
	v_fmac_f32_e32 v30, v24, v26
	ds_load_b128 v[21:24], v6 offset:80
	ds_load_2addr_b32 v[25:26], v15 offset0:128 offset1:160
	s_waitcnt lgkmcnt(3)
	v_fmac_f32_e32 v30, v17, v27
	s_delay_alu instid0(VALU_DEP_1) | instskip(SKIP_3) | instid1(VALU_DEP_1)
	v_fmac_f32_e32 v30, v18, v28
	ds_load_2addr_b32 v[27:28], v15 offset0:192 offset1:224
	s_waitcnt lgkmcnt(3)
	v_fmac_f32_e32 v30, v19, v2
	v_fmac_f32_e32 v30, v20, v3
	ds_load_2addr_b32 v[2:3], v16 offset1:32
	ds_load_b128 v[17:20], v6 offset:96
	s_waitcnt lgkmcnt(3)
	v_fmac_f32_e32 v30, v21, v25
	s_delay_alu instid0(VALU_DEP_1) | instskip(SKIP_3) | instid1(VALU_DEP_1)
	v_fmac_f32_e32 v30, v22, v26
	ds_load_2addr_b32 v[25:26], v16 offset0:64 offset1:96
	s_waitcnt lgkmcnt(3)
	v_fmac_f32_e32 v30, v23, v27
	v_fmac_f32_e32 v30, v24, v28
	ds_load_b128 v[21:24], v6 offset:112
	ds_load_2addr_b32 v[27:28], v16 offset0:128 offset1:160
	s_waitcnt lgkmcnt(3)
	v_fmac_f32_e32 v30, v17, v2
	s_delay_alu instid0(VALU_DEP_1) | instskip(SKIP_3) | instid1(VALU_DEP_1)
	v_fmac_f32_e32 v30, v18, v3
	ds_load_2addr_b32 v[2:3], v16 offset0:192 offset1:224
	s_waitcnt lgkmcnt(3)
	v_fmac_f32_e32 v30, v19, v25
	v_fmac_f32_e32 v30, v20, v26
	s_waitcnt lgkmcnt(1)
	s_delay_alu instid0(VALU_DEP_1) | instskip(NEXT) | instid1(VALU_DEP_1)
	v_fmac_f32_e32 v30, v21, v27
	v_fmac_f32_e32 v30, v22, v28
	s_waitcnt lgkmcnt(0)
	s_delay_alu instid0(VALU_DEP_1) | instskip(NEXT) | instid1(VALU_DEP_1)
	v_fmac_f32_e32 v30, v23, v2
	v_fmac_f32_e32 v30, v24, v3
	s_waitcnt vmcnt(0)
	s_delay_alu instid0(VALU_DEP_1)
	v_fmac_f32_e32 v29, s7, v30
	global_store_b32 v[0:1], v29, off
	s_branch .LBB463_4
.LBB463_11:
	s_endpgm
	.section	.rodata,"a",@progbits
	.p2align	6, 0x0
	.amdhsa_kernel _ZL26rocblas_syr2k_her2k_kernelIiLb0ELb0ELb1ELi32EfPKPKfPKPfEvbiT_T4_T5_S7_lS9_S7_lT6_S7_li
		.amdhsa_group_segment_fixed_size 8192
		.amdhsa_private_segment_fixed_size 0
		.amdhsa_kernarg_size 92
		.amdhsa_user_sgpr_count 13
		.amdhsa_user_sgpr_dispatch_ptr 0
		.amdhsa_user_sgpr_queue_ptr 0
		.amdhsa_user_sgpr_kernarg_segment_ptr 1
		.amdhsa_user_sgpr_dispatch_id 0
		.amdhsa_user_sgpr_private_segment_size 0
		.amdhsa_wavefront_size32 1
		.amdhsa_uses_dynamic_stack 0
		.amdhsa_enable_private_segment 0
		.amdhsa_system_sgpr_workgroup_id_x 1
		.amdhsa_system_sgpr_workgroup_id_y 1
		.amdhsa_system_sgpr_workgroup_id_z 1
		.amdhsa_system_sgpr_workgroup_info 0
		.amdhsa_system_vgpr_workitem_id 1
		.amdhsa_next_free_vgpr 31
		.amdhsa_next_free_sgpr 25
		.amdhsa_reserve_vcc 1
		.amdhsa_float_round_mode_32 0
		.amdhsa_float_round_mode_16_64 0
		.amdhsa_float_denorm_mode_32 3
		.amdhsa_float_denorm_mode_16_64 3
		.amdhsa_dx10_clamp 1
		.amdhsa_ieee_mode 1
		.amdhsa_fp16_overflow 0
		.amdhsa_workgroup_processor_mode 1
		.amdhsa_memory_ordered 1
		.amdhsa_forward_progress 0
		.amdhsa_shared_vgpr_count 0
		.amdhsa_exception_fp_ieee_invalid_op 0
		.amdhsa_exception_fp_denorm_src 0
		.amdhsa_exception_fp_ieee_div_zero 0
		.amdhsa_exception_fp_ieee_overflow 0
		.amdhsa_exception_fp_ieee_underflow 0
		.amdhsa_exception_fp_ieee_inexact 0
		.amdhsa_exception_int_div_zero 0
	.end_amdhsa_kernel
	.section	.text._ZL26rocblas_syr2k_her2k_kernelIiLb0ELb0ELb1ELi32EfPKPKfPKPfEvbiT_T4_T5_S7_lS9_S7_lT6_S7_li,"axG",@progbits,_ZL26rocblas_syr2k_her2k_kernelIiLb0ELb0ELb1ELi32EfPKPKfPKPfEvbiT_T4_T5_S7_lS9_S7_lT6_S7_li,comdat
.Lfunc_end463:
	.size	_ZL26rocblas_syr2k_her2k_kernelIiLb0ELb0ELb1ELi32EfPKPKfPKPfEvbiT_T4_T5_S7_lS9_S7_lT6_S7_li, .Lfunc_end463-_ZL26rocblas_syr2k_her2k_kernelIiLb0ELb0ELb1ELi32EfPKPKfPKPfEvbiT_T4_T5_S7_lS9_S7_lT6_S7_li
                                        ; -- End function
	.section	.AMDGPU.csdata,"",@progbits
; Kernel info:
; codeLenInByte = 1208
; NumSgprs: 27
; NumVgprs: 31
; ScratchSize: 0
; MemoryBound: 0
; FloatMode: 240
; IeeeMode: 1
; LDSByteSize: 8192 bytes/workgroup (compile time only)
; SGPRBlocks: 3
; VGPRBlocks: 3
; NumSGPRsForWavesPerEU: 27
; NumVGPRsForWavesPerEU: 31
; Occupancy: 16
; WaveLimiterHint : 1
; COMPUTE_PGM_RSRC2:SCRATCH_EN: 0
; COMPUTE_PGM_RSRC2:USER_SGPR: 13
; COMPUTE_PGM_RSRC2:TRAP_HANDLER: 0
; COMPUTE_PGM_RSRC2:TGID_X_EN: 1
; COMPUTE_PGM_RSRC2:TGID_Y_EN: 1
; COMPUTE_PGM_RSRC2:TGID_Z_EN: 1
; COMPUTE_PGM_RSRC2:TIDIG_COMP_CNT: 1
	.section	.text._ZL37rocblas_syrkx_herkx_restricted_kernelIifLi16ELi32ELi8ELi1ELi1ELb0ELc84ELc76EKPKfKPfEviT_PT9_S5_lS7_S5_lPT10_S5_li,"axG",@progbits,_ZL37rocblas_syrkx_herkx_restricted_kernelIifLi16ELi32ELi8ELi1ELi1ELb0ELc84ELc76EKPKfKPfEviT_PT9_S5_lS7_S5_lPT10_S5_li,comdat
	.globl	_ZL37rocblas_syrkx_herkx_restricted_kernelIifLi16ELi32ELi8ELi1ELi1ELb0ELc84ELc76EKPKfKPfEviT_PT9_S5_lS7_S5_lPT10_S5_li ; -- Begin function _ZL37rocblas_syrkx_herkx_restricted_kernelIifLi16ELi32ELi8ELi1ELi1ELb0ELc84ELc76EKPKfKPfEviT_PT9_S5_lS7_S5_lPT10_S5_li
	.p2align	8
	.type	_ZL37rocblas_syrkx_herkx_restricted_kernelIifLi16ELi32ELi8ELi1ELi1ELb0ELc84ELc76EKPKfKPfEviT_PT9_S5_lS7_S5_lPT10_S5_li,@function
_ZL37rocblas_syrkx_herkx_restricted_kernelIifLi16ELi32ELi8ELi1ELi1ELb0ELc84ELc76EKPKfKPfEviT_PT9_S5_lS7_S5_lPT10_S5_li: ; @_ZL37rocblas_syrkx_herkx_restricted_kernelIifLi16ELi32ELi8ELi1ELi1ELb0ELc84ELc76EKPKfKPfEviT_PT9_S5_lS7_S5_lPT10_S5_li
; %bb.0:
	s_clause 0x1
	s_load_b64 s[2:3], s[0:1], 0x38
	s_load_b64 s[4:5], s[0:1], 0x0
	s_mov_b32 s6, s15
	s_mov_b32 s7, 0
	v_dual_mov_b32 v9, 0 :: v_dual_and_b32 v6, 0x3ff, v0
	s_lshl_b64 s[8:9], s[6:7], 3
	v_bfe_u32 v7, v0, 10, 10
	v_dual_mov_b32 v8, 0 :: v_dual_mov_b32 v1, 0
	v_mov_b32_e32 v0, 0
	s_waitcnt lgkmcnt(0)
	s_add_u32 s2, s2, s8
	s_addc_u32 s3, s3, s9
	s_lshl_b32 s6, s13, 5
	s_load_b64 s[2:3], s[2:3], 0x0
	s_lshl_b32 s10, s14, 5
	s_cmp_lt_i32 s5, 1
	s_cbranch_scc1 .LBB464_3
; %bb.1:
	s_clause 0x3
	s_load_b64 s[12:13], s[0:1], 0x8
	s_load_b64 s[14:15], s[0:1], 0x20
	s_load_b32 s11, s[0:1], 0x10
	s_load_b32 s16, s[0:1], 0x28
	v_lshl_add_u32 v2, v7, 4, v6
	v_dual_mov_b32 v1, 0 :: v_dual_and_b32 v0, 7, v6
	v_lshlrev_b32_e32 v10, 2, v6
	s_delay_alu instid0(VALU_DEP_3) | instskip(SKIP_3) | instid1(VALU_DEP_4)
	v_and_b32_e32 v9, 31, v2
	v_lshrrev_b32_e32 v8, 3, v2
	v_lshrrev_b32_e32 v2, 5, v2
	v_mov_b32_e32 v3, v1
	v_add_nc_u32_e32 v11, s6, v9
	s_delay_alu instid0(VALU_DEP_4)
	v_add_nc_u32_e32 v12, s10, v8
	s_waitcnt lgkmcnt(0)
	s_add_u32 s12, s12, s8
	s_addc_u32 s13, s13, s9
	s_add_u32 s8, s14, s8
	s_load_b64 s[12:13], s[12:13], 0x0
	s_addc_u32 s9, s15, s9
	v_mad_i64_i32 v[4:5], null, s11, v11, v[2:3]
	s_load_b64 s[8:9], s[8:9], 0x0
	v_lshlrev_b32_e32 v3, 2, v0
	v_mad_i64_i32 v[14:15], null, s16, v12, v[0:1]
	v_dual_mov_b32 v0, v1 :: v_dual_lshlrev_b32 v9, 2, v9
	s_delay_alu instid0(VALU_DEP_3)
	v_lshl_or_b32 v13, v8, 5, v3
	v_lshlrev_b64 v[3:4], 2, v[4:5]
	v_lshl_add_u32 v11, v7, 5, 0x400
	v_mov_b32_e32 v8, v1
	v_lshlrev_b64 v[14:15], 2, v[14:15]
	v_lshl_or_b32 v12, v2, 7, v9
	v_mov_b32_e32 v9, v1
	v_add_nc_u32_e32 v13, 0x400, v13
	s_waitcnt lgkmcnt(0)
	v_add_co_u32 v2, vcc_lo, s12, v3
	v_add_co_ci_u32_e32 v3, vcc_lo, s13, v4, vcc_lo
	v_add_co_u32 v4, vcc_lo, s8, v14
	v_add_co_ci_u32_e32 v5, vcc_lo, s9, v15, vcc_lo
.LBB464_2:                              ; =>This Inner Loop Header: Depth=1
	global_load_b32 v14, v[2:3], off
	global_load_b32 v15, v[4:5], off
	v_add_co_u32 v2, vcc_lo, v2, 32
	v_add_co_ci_u32_e32 v3, vcc_lo, 0, v3, vcc_lo
	v_add_co_u32 v4, vcc_lo, v4, 32
	v_add_co_ci_u32_e32 v5, vcc_lo, 0, v5, vcc_lo
	s_add_i32 s7, s7, 8
	s_waitcnt vmcnt(1)
	ds_store_b32 v12, v14
	s_waitcnt vmcnt(0)
	ds_store_b32 v13, v15
	s_waitcnt lgkmcnt(0)
	s_barrier
	buffer_gl0_inv
	ds_load_2addr_b32 v[30:31], v10 offset1:16
	ds_load_b128 v[14:17], v11
	ds_load_b128 v[18:21], v11 offset:512
	ds_load_2addr_b32 v[32:33], v10 offset0:32 offset1:48
	ds_load_2addr_b32 v[34:35], v10 offset0:64 offset1:80
	ds_load_b128 v[22:25], v11 offset:16
	ds_load_2addr_b32 v[36:37], v10 offset0:96 offset1:112
	ds_load_2addr_b32 v[38:39], v10 offset0:128 offset1:144
	;; [unrolled: 3-line block ×3, first 2 shown]
	ds_load_2addr_b32 v[44:45], v10 offset0:224 offset1:240
	s_cmp_ge_i32 s7, s5
	s_waitcnt lgkmcnt(0)
	s_barrier
	buffer_gl0_inv
	v_fmac_f32_e32 v8, v31, v14
	v_fmac_f32_e32 v9, v30, v14
	;; [unrolled: 1-line block ×4, first 2 shown]
	s_delay_alu instid0(VALU_DEP_4) | instskip(NEXT) | instid1(VALU_DEP_4)
	v_fmac_f32_e32 v8, v33, v15
	v_fmac_f32_e32 v9, v32, v15
	s_delay_alu instid0(VALU_DEP_4) | instskip(NEXT) | instid1(VALU_DEP_4)
	v_fmac_f32_e32 v1, v33, v19
	v_fmac_f32_e32 v0, v32, v19
	;; [unrolled: 3-line block ×14, first 2 shown]
	s_cbranch_scc0 .LBB464_2
.LBB464_3:
	s_load_b32 s5, s[0:1], 0x40
	v_add_nc_u32_e32 v7, s10, v7
	v_add_nc_u32_e32 v2, s6, v6
	s_delay_alu instid0(VALU_DEP_1) | instskip(SKIP_1) | instid1(VALU_DEP_2)
	v_cmp_le_i32_e64 s0, v7, v2
	v_cmp_gt_i32_e32 vcc_lo, s4, v2
	s_and_b32 s0, s0, vcc_lo
	s_waitcnt lgkmcnt(0)
	v_mad_i64_i32 v[3:4], null, v7, s5, 0
	s_delay_alu instid0(VALU_DEP_1) | instskip(NEXT) | instid1(VALU_DEP_1)
	v_lshlrev_b64 v[3:4], 2, v[3:4]
	v_add_co_u32 v6, s1, s2, v3
	s_delay_alu instid0(VALU_DEP_1)
	v_add_co_ci_u32_e64 v10, s1, s3, v4, s1
	s_and_saveexec_b32 s1, s0
	s_cbranch_execz .LBB464_5
; %bb.4:
	v_ashrrev_i32_e32 v3, 31, v2
	s_delay_alu instid0(VALU_DEP_1) | instskip(NEXT) | instid1(VALU_DEP_1)
	v_lshlrev_b64 v[3:4], 2, v[2:3]
	v_add_co_u32 v3, s0, v6, v3
	s_delay_alu instid0(VALU_DEP_1)
	v_add_co_ci_u32_e64 v4, s0, v10, v4, s0
	global_load_b32 v5, v[3:4], off
	s_waitcnt vmcnt(0)
	v_add_f32_e32 v5, v9, v5
	global_store_b32 v[3:4], v5, off
.LBB464_5:
	s_or_b32 exec_lo, exec_lo, s1
	v_add_nc_u32_e32 v4, 16, v2
	s_delay_alu instid0(VALU_DEP_1) | instskip(SKIP_1) | instid1(VALU_DEP_1)
	v_cmp_le_i32_e64 s1, v7, v4
	v_cmp_gt_i32_e64 s0, s4, v4
	s_and_b32 s1, s1, s0
	s_delay_alu instid0(SALU_CYCLE_1)
	s_and_saveexec_b32 s4, s1
	s_cbranch_execz .LBB464_7
; %bb.6:
	v_ashrrev_i32_e32 v5, 31, v4
	s_delay_alu instid0(VALU_DEP_1) | instskip(NEXT) | instid1(VALU_DEP_1)
	v_lshlrev_b64 v[11:12], 2, v[4:5]
	v_add_co_u32 v5, s1, v6, v11
	s_delay_alu instid0(VALU_DEP_1)
	v_add_co_ci_u32_e64 v6, s1, v10, v12, s1
	global_load_b32 v3, v[5:6], off
	s_waitcnt vmcnt(0)
	v_add_f32_e32 v3, v8, v3
	global_store_b32 v[5:6], v3, off
.LBB464_7:
	s_or_b32 exec_lo, exec_lo, s4
	v_add_nc_u32_e32 v5, 16, v7
	s_delay_alu instid0(VALU_DEP_1) | instskip(SKIP_1) | instid1(VALU_DEP_2)
	v_mad_i64_i32 v[6:7], null, v5, s5, 0
	v_cmp_le_i32_e64 s1, v5, v2
	v_lshlrev_b64 v[6:7], 2, v[6:7]
	s_delay_alu instid0(VALU_DEP_1) | instskip(NEXT) | instid1(VALU_DEP_1)
	v_add_co_u32 v6, s2, s2, v6
	v_add_co_ci_u32_e64 v7, s2, s3, v7, s2
	s_delay_alu instid0(VALU_DEP_4) | instskip(NEXT) | instid1(SALU_CYCLE_1)
	s_and_b32 s2, s1, vcc_lo
	s_and_saveexec_b32 s1, s2
	s_cbranch_execz .LBB464_9
; %bb.8:
	v_ashrrev_i32_e32 v3, 31, v2
	s_delay_alu instid0(VALU_DEP_1) | instskip(NEXT) | instid1(VALU_DEP_1)
	v_lshlrev_b64 v[2:3], 2, v[2:3]
	v_add_co_u32 v2, vcc_lo, v6, v2
	s_delay_alu instid0(VALU_DEP_2)
	v_add_co_ci_u32_e32 v3, vcc_lo, v7, v3, vcc_lo
	global_load_b32 v8, v[2:3], off
	s_waitcnt vmcnt(0)
	v_add_f32_e32 v0, v0, v8
	global_store_b32 v[2:3], v0, off
.LBB464_9:
	s_or_b32 exec_lo, exec_lo, s1
	v_cmp_le_i32_e32 vcc_lo, v5, v4
	s_and_b32 s0, vcc_lo, s0
	s_delay_alu instid0(SALU_CYCLE_1)
	s_and_saveexec_b32 s1, s0
	s_cbranch_execz .LBB464_11
; %bb.10:
	v_ashrrev_i32_e32 v5, 31, v4
	s_delay_alu instid0(VALU_DEP_1) | instskip(NEXT) | instid1(VALU_DEP_1)
	v_lshlrev_b64 v[2:3], 2, v[4:5]
	v_add_co_u32 v2, vcc_lo, v6, v2
	s_delay_alu instid0(VALU_DEP_2)
	v_add_co_ci_u32_e32 v3, vcc_lo, v7, v3, vcc_lo
	global_load_b32 v0, v[2:3], off
	s_waitcnt vmcnt(0)
	v_add_f32_e32 v0, v1, v0
	global_store_b32 v[2:3], v0, off
.LBB464_11:
	s_nop 0
	s_sendmsg sendmsg(MSG_DEALLOC_VGPRS)
	s_endpgm
	.section	.rodata,"a",@progbits
	.p2align	6, 0x0
	.amdhsa_kernel _ZL37rocblas_syrkx_herkx_restricted_kernelIifLi16ELi32ELi8ELi1ELi1ELb0ELc84ELc76EKPKfKPfEviT_PT9_S5_lS7_S5_lPT10_S5_li
		.amdhsa_group_segment_fixed_size 2048
		.amdhsa_private_segment_fixed_size 0
		.amdhsa_kernarg_size 84
		.amdhsa_user_sgpr_count 13
		.amdhsa_user_sgpr_dispatch_ptr 0
		.amdhsa_user_sgpr_queue_ptr 0
		.amdhsa_user_sgpr_kernarg_segment_ptr 1
		.amdhsa_user_sgpr_dispatch_id 0
		.amdhsa_user_sgpr_private_segment_size 0
		.amdhsa_wavefront_size32 1
		.amdhsa_uses_dynamic_stack 0
		.amdhsa_enable_private_segment 0
		.amdhsa_system_sgpr_workgroup_id_x 1
		.amdhsa_system_sgpr_workgroup_id_y 1
		.amdhsa_system_sgpr_workgroup_id_z 1
		.amdhsa_system_sgpr_workgroup_info 0
		.amdhsa_system_vgpr_workitem_id 1
		.amdhsa_next_free_vgpr 46
		.amdhsa_next_free_sgpr 17
		.amdhsa_reserve_vcc 1
		.amdhsa_float_round_mode_32 0
		.amdhsa_float_round_mode_16_64 0
		.amdhsa_float_denorm_mode_32 3
		.amdhsa_float_denorm_mode_16_64 3
		.amdhsa_dx10_clamp 1
		.amdhsa_ieee_mode 1
		.amdhsa_fp16_overflow 0
		.amdhsa_workgroup_processor_mode 1
		.amdhsa_memory_ordered 1
		.amdhsa_forward_progress 0
		.amdhsa_shared_vgpr_count 0
		.amdhsa_exception_fp_ieee_invalid_op 0
		.amdhsa_exception_fp_denorm_src 0
		.amdhsa_exception_fp_ieee_div_zero 0
		.amdhsa_exception_fp_ieee_overflow 0
		.amdhsa_exception_fp_ieee_underflow 0
		.amdhsa_exception_fp_ieee_inexact 0
		.amdhsa_exception_int_div_zero 0
	.end_amdhsa_kernel
	.section	.text._ZL37rocblas_syrkx_herkx_restricted_kernelIifLi16ELi32ELi8ELi1ELi1ELb0ELc84ELc76EKPKfKPfEviT_PT9_S5_lS7_S5_lPT10_S5_li,"axG",@progbits,_ZL37rocblas_syrkx_herkx_restricted_kernelIifLi16ELi32ELi8ELi1ELi1ELb0ELc84ELc76EKPKfKPfEviT_PT9_S5_lS7_S5_lPT10_S5_li,comdat
.Lfunc_end464:
	.size	_ZL37rocblas_syrkx_herkx_restricted_kernelIifLi16ELi32ELi8ELi1ELi1ELb0ELc84ELc76EKPKfKPfEviT_PT9_S5_lS7_S5_lPT10_S5_li, .Lfunc_end464-_ZL37rocblas_syrkx_herkx_restricted_kernelIifLi16ELi32ELi8ELi1ELi1ELb0ELc84ELc76EKPKfKPfEviT_PT9_S5_lS7_S5_lPT10_S5_li
                                        ; -- End function
	.section	.AMDGPU.csdata,"",@progbits
; Kernel info:
; codeLenInByte = 1204
; NumSgprs: 19
; NumVgprs: 46
; ScratchSize: 0
; MemoryBound: 0
; FloatMode: 240
; IeeeMode: 1
; LDSByteSize: 2048 bytes/workgroup (compile time only)
; SGPRBlocks: 2
; VGPRBlocks: 5
; NumSGPRsForWavesPerEU: 19
; NumVGPRsForWavesPerEU: 46
; Occupancy: 16
; WaveLimiterHint : 1
; COMPUTE_PGM_RSRC2:SCRATCH_EN: 0
; COMPUTE_PGM_RSRC2:USER_SGPR: 13
; COMPUTE_PGM_RSRC2:TRAP_HANDLER: 0
; COMPUTE_PGM_RSRC2:TGID_X_EN: 1
; COMPUTE_PGM_RSRC2:TGID_Y_EN: 1
; COMPUTE_PGM_RSRC2:TGID_Z_EN: 1
; COMPUTE_PGM_RSRC2:TIDIG_COMP_CNT: 1
	.section	.text._ZL37rocblas_syrkx_herkx_restricted_kernelIifLi16ELi32ELi8ELi1ELi1ELb0ELc67ELc76EKPKfKPfEviT_PT9_S5_lS7_S5_lPT10_S5_li,"axG",@progbits,_ZL37rocblas_syrkx_herkx_restricted_kernelIifLi16ELi32ELi8ELi1ELi1ELb0ELc67ELc76EKPKfKPfEviT_PT9_S5_lS7_S5_lPT10_S5_li,comdat
	.globl	_ZL37rocblas_syrkx_herkx_restricted_kernelIifLi16ELi32ELi8ELi1ELi1ELb0ELc67ELc76EKPKfKPfEviT_PT9_S5_lS7_S5_lPT10_S5_li ; -- Begin function _ZL37rocblas_syrkx_herkx_restricted_kernelIifLi16ELi32ELi8ELi1ELi1ELb0ELc67ELc76EKPKfKPfEviT_PT9_S5_lS7_S5_lPT10_S5_li
	.p2align	8
	.type	_ZL37rocblas_syrkx_herkx_restricted_kernelIifLi16ELi32ELi8ELi1ELi1ELb0ELc67ELc76EKPKfKPfEviT_PT9_S5_lS7_S5_lPT10_S5_li,@function
_ZL37rocblas_syrkx_herkx_restricted_kernelIifLi16ELi32ELi8ELi1ELi1ELb0ELc67ELc76EKPKfKPfEviT_PT9_S5_lS7_S5_lPT10_S5_li: ; @_ZL37rocblas_syrkx_herkx_restricted_kernelIifLi16ELi32ELi8ELi1ELi1ELb0ELc67ELc76EKPKfKPfEviT_PT9_S5_lS7_S5_lPT10_S5_li
; %bb.0:
	s_clause 0x1
	s_load_b64 s[2:3], s[0:1], 0x38
	s_load_b64 s[4:5], s[0:1], 0x0
	s_mov_b32 s6, s15
	s_mov_b32 s7, 0
	v_dual_mov_b32 v9, 0 :: v_dual_and_b32 v6, 0x3ff, v0
	s_lshl_b64 s[8:9], s[6:7], 3
	v_bfe_u32 v7, v0, 10, 10
	v_dual_mov_b32 v8, 0 :: v_dual_mov_b32 v1, 0
	v_mov_b32_e32 v0, 0
	s_waitcnt lgkmcnt(0)
	s_add_u32 s2, s2, s8
	s_addc_u32 s3, s3, s9
	s_lshl_b32 s6, s13, 5
	s_load_b64 s[2:3], s[2:3], 0x0
	s_lshl_b32 s10, s14, 5
	s_cmp_lt_i32 s5, 1
	s_cbranch_scc1 .LBB465_3
; %bb.1:
	s_clause 0x3
	s_load_b64 s[12:13], s[0:1], 0x8
	s_load_b64 s[14:15], s[0:1], 0x20
	s_load_b32 s11, s[0:1], 0x10
	s_load_b32 s16, s[0:1], 0x28
	v_lshl_add_u32 v2, v7, 4, v6
	v_dual_mov_b32 v1, 0 :: v_dual_and_b32 v0, 7, v6
	v_lshlrev_b32_e32 v10, 2, v6
	s_delay_alu instid0(VALU_DEP_3) | instskip(SKIP_3) | instid1(VALU_DEP_4)
	v_and_b32_e32 v9, 31, v2
	v_lshrrev_b32_e32 v8, 3, v2
	v_lshrrev_b32_e32 v2, 5, v2
	v_mov_b32_e32 v3, v1
	v_add_nc_u32_e32 v11, s6, v9
	s_delay_alu instid0(VALU_DEP_4)
	v_add_nc_u32_e32 v12, s10, v8
	s_waitcnt lgkmcnt(0)
	s_add_u32 s12, s12, s8
	s_addc_u32 s13, s13, s9
	s_add_u32 s8, s14, s8
	s_load_b64 s[12:13], s[12:13], 0x0
	s_addc_u32 s9, s15, s9
	v_mad_i64_i32 v[4:5], null, s11, v11, v[2:3]
	s_load_b64 s[8:9], s[8:9], 0x0
	v_lshlrev_b32_e32 v3, 2, v0
	v_mad_i64_i32 v[14:15], null, s16, v12, v[0:1]
	v_dual_mov_b32 v0, v1 :: v_dual_lshlrev_b32 v9, 2, v9
	s_delay_alu instid0(VALU_DEP_3)
	v_lshl_or_b32 v13, v8, 5, v3
	v_lshlrev_b64 v[3:4], 2, v[4:5]
	v_lshl_add_u32 v11, v7, 5, 0x400
	v_mov_b32_e32 v8, v1
	v_lshlrev_b64 v[14:15], 2, v[14:15]
	v_lshl_or_b32 v12, v2, 7, v9
	v_mov_b32_e32 v9, v1
	v_add_nc_u32_e32 v13, 0x400, v13
	s_waitcnt lgkmcnt(0)
	v_add_co_u32 v2, vcc_lo, s12, v3
	v_add_co_ci_u32_e32 v3, vcc_lo, s13, v4, vcc_lo
	v_add_co_u32 v4, vcc_lo, s8, v14
	v_add_co_ci_u32_e32 v5, vcc_lo, s9, v15, vcc_lo
.LBB465_2:                              ; =>This Inner Loop Header: Depth=1
	global_load_b32 v14, v[2:3], off
	global_load_b32 v15, v[4:5], off
	v_add_co_u32 v2, vcc_lo, v2, 32
	v_add_co_ci_u32_e32 v3, vcc_lo, 0, v3, vcc_lo
	v_add_co_u32 v4, vcc_lo, v4, 32
	v_add_co_ci_u32_e32 v5, vcc_lo, 0, v5, vcc_lo
	s_add_i32 s7, s7, 8
	s_waitcnt vmcnt(1)
	ds_store_b32 v12, v14
	s_waitcnt vmcnt(0)
	ds_store_b32 v13, v15
	s_waitcnt lgkmcnt(0)
	s_barrier
	buffer_gl0_inv
	ds_load_2addr_b32 v[30:31], v10 offset1:16
	ds_load_b128 v[14:17], v11
	ds_load_b128 v[18:21], v11 offset:512
	ds_load_2addr_b32 v[32:33], v10 offset0:32 offset1:48
	ds_load_2addr_b32 v[34:35], v10 offset0:64 offset1:80
	ds_load_b128 v[22:25], v11 offset:16
	ds_load_2addr_b32 v[36:37], v10 offset0:96 offset1:112
	ds_load_2addr_b32 v[38:39], v10 offset0:128 offset1:144
	;; [unrolled: 3-line block ×3, first 2 shown]
	ds_load_2addr_b32 v[44:45], v10 offset0:224 offset1:240
	s_cmp_ge_i32 s7, s5
	s_waitcnt lgkmcnt(0)
	s_barrier
	buffer_gl0_inv
	v_fmac_f32_e32 v8, v31, v14
	v_fmac_f32_e32 v9, v30, v14
	v_fmac_f32_e32 v1, v31, v18
	v_fmac_f32_e32 v0, v30, v18
	s_delay_alu instid0(VALU_DEP_4) | instskip(NEXT) | instid1(VALU_DEP_4)
	v_fmac_f32_e32 v8, v33, v15
	v_fmac_f32_e32 v9, v32, v15
	s_delay_alu instid0(VALU_DEP_4) | instskip(NEXT) | instid1(VALU_DEP_4)
	v_fmac_f32_e32 v1, v33, v19
	v_fmac_f32_e32 v0, v32, v19
	;; [unrolled: 3-line block ×14, first 2 shown]
	s_cbranch_scc0 .LBB465_2
.LBB465_3:
	s_load_b32 s5, s[0:1], 0x40
	v_add_nc_u32_e32 v7, s10, v7
	v_add_nc_u32_e32 v2, s6, v6
	s_delay_alu instid0(VALU_DEP_1) | instskip(SKIP_1) | instid1(VALU_DEP_2)
	v_cmp_le_i32_e64 s0, v7, v2
	v_cmp_gt_i32_e32 vcc_lo, s4, v2
	s_and_b32 s0, s0, vcc_lo
	s_waitcnt lgkmcnt(0)
	v_mad_i64_i32 v[3:4], null, v7, s5, 0
	s_delay_alu instid0(VALU_DEP_1) | instskip(NEXT) | instid1(VALU_DEP_1)
	v_lshlrev_b64 v[3:4], 2, v[3:4]
	v_add_co_u32 v6, s1, s2, v3
	s_delay_alu instid0(VALU_DEP_1)
	v_add_co_ci_u32_e64 v10, s1, s3, v4, s1
	s_and_saveexec_b32 s1, s0
	s_cbranch_execz .LBB465_5
; %bb.4:
	v_ashrrev_i32_e32 v3, 31, v2
	s_delay_alu instid0(VALU_DEP_1) | instskip(NEXT) | instid1(VALU_DEP_1)
	v_lshlrev_b64 v[3:4], 2, v[2:3]
	v_add_co_u32 v3, s0, v6, v3
	s_delay_alu instid0(VALU_DEP_1)
	v_add_co_ci_u32_e64 v4, s0, v10, v4, s0
	global_load_b32 v5, v[3:4], off
	s_waitcnt vmcnt(0)
	v_add_f32_e32 v5, v9, v5
	global_store_b32 v[3:4], v5, off
.LBB465_5:
	s_or_b32 exec_lo, exec_lo, s1
	v_add_nc_u32_e32 v4, 16, v2
	s_delay_alu instid0(VALU_DEP_1) | instskip(SKIP_1) | instid1(VALU_DEP_1)
	v_cmp_le_i32_e64 s1, v7, v4
	v_cmp_gt_i32_e64 s0, s4, v4
	s_and_b32 s1, s1, s0
	s_delay_alu instid0(SALU_CYCLE_1)
	s_and_saveexec_b32 s4, s1
	s_cbranch_execz .LBB465_7
; %bb.6:
	v_ashrrev_i32_e32 v5, 31, v4
	s_delay_alu instid0(VALU_DEP_1) | instskip(NEXT) | instid1(VALU_DEP_1)
	v_lshlrev_b64 v[11:12], 2, v[4:5]
	v_add_co_u32 v5, s1, v6, v11
	s_delay_alu instid0(VALU_DEP_1)
	v_add_co_ci_u32_e64 v6, s1, v10, v12, s1
	global_load_b32 v3, v[5:6], off
	s_waitcnt vmcnt(0)
	v_add_f32_e32 v3, v8, v3
	global_store_b32 v[5:6], v3, off
.LBB465_7:
	s_or_b32 exec_lo, exec_lo, s4
	v_add_nc_u32_e32 v5, 16, v7
	s_delay_alu instid0(VALU_DEP_1) | instskip(SKIP_1) | instid1(VALU_DEP_2)
	v_mad_i64_i32 v[6:7], null, v5, s5, 0
	v_cmp_le_i32_e64 s1, v5, v2
	v_lshlrev_b64 v[6:7], 2, v[6:7]
	s_delay_alu instid0(VALU_DEP_1) | instskip(NEXT) | instid1(VALU_DEP_1)
	v_add_co_u32 v6, s2, s2, v6
	v_add_co_ci_u32_e64 v7, s2, s3, v7, s2
	s_delay_alu instid0(VALU_DEP_4) | instskip(NEXT) | instid1(SALU_CYCLE_1)
	s_and_b32 s2, s1, vcc_lo
	s_and_saveexec_b32 s1, s2
	s_cbranch_execz .LBB465_9
; %bb.8:
	v_ashrrev_i32_e32 v3, 31, v2
	s_delay_alu instid0(VALU_DEP_1) | instskip(NEXT) | instid1(VALU_DEP_1)
	v_lshlrev_b64 v[2:3], 2, v[2:3]
	v_add_co_u32 v2, vcc_lo, v6, v2
	s_delay_alu instid0(VALU_DEP_2)
	v_add_co_ci_u32_e32 v3, vcc_lo, v7, v3, vcc_lo
	global_load_b32 v8, v[2:3], off
	s_waitcnt vmcnt(0)
	v_add_f32_e32 v0, v0, v8
	global_store_b32 v[2:3], v0, off
.LBB465_9:
	s_or_b32 exec_lo, exec_lo, s1
	v_cmp_le_i32_e32 vcc_lo, v5, v4
	s_and_b32 s0, vcc_lo, s0
	s_delay_alu instid0(SALU_CYCLE_1)
	s_and_saveexec_b32 s1, s0
	s_cbranch_execz .LBB465_11
; %bb.10:
	v_ashrrev_i32_e32 v5, 31, v4
	s_delay_alu instid0(VALU_DEP_1) | instskip(NEXT) | instid1(VALU_DEP_1)
	v_lshlrev_b64 v[2:3], 2, v[4:5]
	v_add_co_u32 v2, vcc_lo, v6, v2
	s_delay_alu instid0(VALU_DEP_2)
	v_add_co_ci_u32_e32 v3, vcc_lo, v7, v3, vcc_lo
	global_load_b32 v0, v[2:3], off
	s_waitcnt vmcnt(0)
	v_add_f32_e32 v0, v1, v0
	global_store_b32 v[2:3], v0, off
.LBB465_11:
	s_nop 0
	s_sendmsg sendmsg(MSG_DEALLOC_VGPRS)
	s_endpgm
	.section	.rodata,"a",@progbits
	.p2align	6, 0x0
	.amdhsa_kernel _ZL37rocblas_syrkx_herkx_restricted_kernelIifLi16ELi32ELi8ELi1ELi1ELb0ELc67ELc76EKPKfKPfEviT_PT9_S5_lS7_S5_lPT10_S5_li
		.amdhsa_group_segment_fixed_size 2048
		.amdhsa_private_segment_fixed_size 0
		.amdhsa_kernarg_size 84
		.amdhsa_user_sgpr_count 13
		.amdhsa_user_sgpr_dispatch_ptr 0
		.amdhsa_user_sgpr_queue_ptr 0
		.amdhsa_user_sgpr_kernarg_segment_ptr 1
		.amdhsa_user_sgpr_dispatch_id 0
		.amdhsa_user_sgpr_private_segment_size 0
		.amdhsa_wavefront_size32 1
		.amdhsa_uses_dynamic_stack 0
		.amdhsa_enable_private_segment 0
		.amdhsa_system_sgpr_workgroup_id_x 1
		.amdhsa_system_sgpr_workgroup_id_y 1
		.amdhsa_system_sgpr_workgroup_id_z 1
		.amdhsa_system_sgpr_workgroup_info 0
		.amdhsa_system_vgpr_workitem_id 1
		.amdhsa_next_free_vgpr 46
		.amdhsa_next_free_sgpr 17
		.amdhsa_reserve_vcc 1
		.amdhsa_float_round_mode_32 0
		.amdhsa_float_round_mode_16_64 0
		.amdhsa_float_denorm_mode_32 3
		.amdhsa_float_denorm_mode_16_64 3
		.amdhsa_dx10_clamp 1
		.amdhsa_ieee_mode 1
		.amdhsa_fp16_overflow 0
		.amdhsa_workgroup_processor_mode 1
		.amdhsa_memory_ordered 1
		.amdhsa_forward_progress 0
		.amdhsa_shared_vgpr_count 0
		.amdhsa_exception_fp_ieee_invalid_op 0
		.amdhsa_exception_fp_denorm_src 0
		.amdhsa_exception_fp_ieee_div_zero 0
		.amdhsa_exception_fp_ieee_overflow 0
		.amdhsa_exception_fp_ieee_underflow 0
		.amdhsa_exception_fp_ieee_inexact 0
		.amdhsa_exception_int_div_zero 0
	.end_amdhsa_kernel
	.section	.text._ZL37rocblas_syrkx_herkx_restricted_kernelIifLi16ELi32ELi8ELi1ELi1ELb0ELc67ELc76EKPKfKPfEviT_PT9_S5_lS7_S5_lPT10_S5_li,"axG",@progbits,_ZL37rocblas_syrkx_herkx_restricted_kernelIifLi16ELi32ELi8ELi1ELi1ELb0ELc67ELc76EKPKfKPfEviT_PT9_S5_lS7_S5_lPT10_S5_li,comdat
.Lfunc_end465:
	.size	_ZL37rocblas_syrkx_herkx_restricted_kernelIifLi16ELi32ELi8ELi1ELi1ELb0ELc67ELc76EKPKfKPfEviT_PT9_S5_lS7_S5_lPT10_S5_li, .Lfunc_end465-_ZL37rocblas_syrkx_herkx_restricted_kernelIifLi16ELi32ELi8ELi1ELi1ELb0ELc67ELc76EKPKfKPfEviT_PT9_S5_lS7_S5_lPT10_S5_li
                                        ; -- End function
	.section	.AMDGPU.csdata,"",@progbits
; Kernel info:
; codeLenInByte = 1204
; NumSgprs: 19
; NumVgprs: 46
; ScratchSize: 0
; MemoryBound: 0
; FloatMode: 240
; IeeeMode: 1
; LDSByteSize: 2048 bytes/workgroup (compile time only)
; SGPRBlocks: 2
; VGPRBlocks: 5
; NumSGPRsForWavesPerEU: 19
; NumVGPRsForWavesPerEU: 46
; Occupancy: 16
; WaveLimiterHint : 1
; COMPUTE_PGM_RSRC2:SCRATCH_EN: 0
; COMPUTE_PGM_RSRC2:USER_SGPR: 13
; COMPUTE_PGM_RSRC2:TRAP_HANDLER: 0
; COMPUTE_PGM_RSRC2:TGID_X_EN: 1
; COMPUTE_PGM_RSRC2:TGID_Y_EN: 1
; COMPUTE_PGM_RSRC2:TGID_Z_EN: 1
; COMPUTE_PGM_RSRC2:TIDIG_COMP_CNT: 1
	.section	.text._ZL37rocblas_syrkx_herkx_restricted_kernelIifLi16ELi32ELi8ELi1ELi1ELb0ELc78ELc76EKPKfKPfEviT_PT9_S5_lS7_S5_lPT10_S5_li,"axG",@progbits,_ZL37rocblas_syrkx_herkx_restricted_kernelIifLi16ELi32ELi8ELi1ELi1ELb0ELc78ELc76EKPKfKPfEviT_PT9_S5_lS7_S5_lPT10_S5_li,comdat
	.globl	_ZL37rocblas_syrkx_herkx_restricted_kernelIifLi16ELi32ELi8ELi1ELi1ELb0ELc78ELc76EKPKfKPfEviT_PT9_S5_lS7_S5_lPT10_S5_li ; -- Begin function _ZL37rocblas_syrkx_herkx_restricted_kernelIifLi16ELi32ELi8ELi1ELi1ELb0ELc78ELc76EKPKfKPfEviT_PT9_S5_lS7_S5_lPT10_S5_li
	.p2align	8
	.type	_ZL37rocblas_syrkx_herkx_restricted_kernelIifLi16ELi32ELi8ELi1ELi1ELb0ELc78ELc76EKPKfKPfEviT_PT9_S5_lS7_S5_lPT10_S5_li,@function
_ZL37rocblas_syrkx_herkx_restricted_kernelIifLi16ELi32ELi8ELi1ELi1ELb0ELc78ELc76EKPKfKPfEviT_PT9_S5_lS7_S5_lPT10_S5_li: ; @_ZL37rocblas_syrkx_herkx_restricted_kernelIifLi16ELi32ELi8ELi1ELi1ELb0ELc78ELc76EKPKfKPfEviT_PT9_S5_lS7_S5_lPT10_S5_li
; %bb.0:
	s_clause 0x1
	s_load_b64 s[2:3], s[0:1], 0x38
	s_load_b64 s[4:5], s[0:1], 0x0
	s_mov_b32 s6, s15
	s_mov_b32 s7, 0
	v_dual_mov_b32 v8, 0 :: v_dual_and_b32 v5, 0x3ff, v0
	s_lshl_b64 s[8:9], s[6:7], 3
	v_bfe_u32 v6, v0, 10, 10
	v_dual_mov_b32 v9, 0 :: v_dual_mov_b32 v4, 0
	v_mov_b32_e32 v7, 0
	s_waitcnt lgkmcnt(0)
	s_add_u32 s2, s2, s8
	s_addc_u32 s3, s3, s9
	s_lshl_b32 s6, s13, 5
	s_load_b64 s[2:3], s[2:3], 0x0
	s_lshl_b32 s12, s14, 5
	s_cmp_lt_i32 s5, 1
	s_cbranch_scc1 .LBB466_3
; %bb.1:
	s_clause 0x3
	s_load_b32 s10, s[0:1], 0x10
	s_load_b32 s14, s[0:1], 0x28
	s_load_b64 s[16:17], s[0:1], 0x8
	s_load_b64 s[18:19], s[0:1], 0x20
	v_lshl_add_u32 v0, v6, 4, v5
	v_dual_mov_b32 v4, 0 :: v_dual_and_b32 v7, 7, v5
	v_lshlrev_b32_e32 v10, 2, v5
	v_lshl_add_u32 v11, v6, 5, 0x400
	s_delay_alu instid0(VALU_DEP_4) | instskip(SKIP_3) | instid1(VALU_DEP_4)
	v_and_b32_e32 v13, 31, v0
	v_lshrrev_b32_e32 v12, 3, v0
	v_lshrrev_b32_e32 v14, 5, v0
	v_lshlrev_b32_e32 v15, 2, v7
	v_add_nc_u32_e32 v2, s6, v13
	s_delay_alu instid0(VALU_DEP_4) | instskip(NEXT) | instid1(VALU_DEP_3)
	v_add_nc_u32_e32 v0, s12, v12
	v_lshl_or_b32 v15, v12, 5, v15
	s_delay_alu instid0(VALU_DEP_3)
	v_ashrrev_i32_e32 v3, 31, v2
	s_waitcnt lgkmcnt(0)
	s_ashr_i32 s11, s10, 31
	s_ashr_i32 s15, s14, 31
	s_add_u32 s16, s16, s8
	s_addc_u32 s17, s17, s9
	s_add_u32 s8, s18, s8
	s_load_b64 s[16:17], s[16:17], 0x0
	s_addc_u32 s9, s19, s9
	v_ashrrev_i32_e32 v1, 31, v0
	s_load_b64 s[8:9], s[8:9], 0x0
	v_mad_i64_i32 v[8:9], null, s10, v14, v[2:3]
	s_delay_alu instid0(VALU_DEP_2) | instskip(SKIP_1) | instid1(VALU_DEP_3)
	v_mad_i64_i32 v[2:3], null, s14, v7, v[0:1]
	v_mov_b32_e32 v7, 0
	v_lshlrev_b64 v[0:1], 2, v[8:9]
	v_dual_mov_b32 v9, 0 :: v_dual_mov_b32 v8, 0
	s_delay_alu instid0(VALU_DEP_4) | instskip(SKIP_2) | instid1(VALU_DEP_4)
	v_lshlrev_b64 v[2:3], 2, v[2:3]
	v_lshlrev_b32_e32 v13, 2, v13
	s_waitcnt lgkmcnt(0)
	v_add_co_u32 v0, vcc_lo, s16, v0
	v_add_co_ci_u32_e32 v1, vcc_lo, s17, v1, vcc_lo
	s_delay_alu instid0(VALU_DEP_4)
	v_add_co_u32 v2, vcc_lo, s8, v2
	v_lshl_or_b32 v12, v14, 7, v13
	v_add_nc_u32_e32 v13, 0x400, v15
	v_add_co_ci_u32_e32 v3, vcc_lo, s9, v3, vcc_lo
	s_lshl_b64 s[8:9], s[10:11], 5
	s_lshl_b64 s[10:11], s[14:15], 5
.LBB466_2:                              ; =>This Inner Loop Header: Depth=1
	global_load_b32 v14, v[0:1], off
	global_load_b32 v15, v[2:3], off
	v_add_co_u32 v0, vcc_lo, v0, s8
	v_add_co_ci_u32_e32 v1, vcc_lo, s9, v1, vcc_lo
	v_add_co_u32 v2, vcc_lo, v2, s10
	v_add_co_ci_u32_e32 v3, vcc_lo, s11, v3, vcc_lo
	s_add_i32 s7, s7, 8
	s_waitcnt vmcnt(1)
	ds_store_b32 v12, v14
	s_waitcnt vmcnt(0)
	ds_store_b32 v13, v15
	s_waitcnt lgkmcnt(0)
	s_barrier
	buffer_gl0_inv
	ds_load_2addr_b32 v[30:31], v10 offset1:16
	ds_load_b128 v[14:17], v11
	ds_load_b128 v[18:21], v11 offset:512
	ds_load_2addr_b32 v[32:33], v10 offset0:32 offset1:48
	ds_load_2addr_b32 v[34:35], v10 offset0:64 offset1:80
	ds_load_b128 v[22:25], v11 offset:16
	ds_load_2addr_b32 v[36:37], v10 offset0:96 offset1:112
	ds_load_2addr_b32 v[38:39], v10 offset0:128 offset1:144
	ds_load_b128 v[26:29], v11 offset:528
	ds_load_2addr_b32 v[40:41], v10 offset0:160 offset1:176
	ds_load_2addr_b32 v[42:43], v10 offset0:192 offset1:208
	ds_load_2addr_b32 v[44:45], v10 offset0:224 offset1:240
	s_cmp_ge_i32 s7, s5
	s_waitcnt lgkmcnt(0)
	s_barrier
	buffer_gl0_inv
	v_fmac_f32_e32 v8, v31, v14
	v_fmac_f32_e32 v9, v30, v14
	;; [unrolled: 1-line block ×3, first 2 shown]
	s_delay_alu instid0(VALU_DEP_3) | instskip(NEXT) | instid1(VALU_DEP_3)
	v_dual_fmac_f32 v7, v30, v18 :: v_dual_fmac_f32 v8, v33, v15
	v_fmac_f32_e32 v9, v32, v15
	s_delay_alu instid0(VALU_DEP_3) | instskip(NEXT) | instid1(VALU_DEP_3)
	v_fmac_f32_e32 v4, v33, v19
	v_dual_fmac_f32 v7, v32, v19 :: v_dual_fmac_f32 v8, v35, v16
	s_delay_alu instid0(VALU_DEP_3) | instskip(NEXT) | instid1(VALU_DEP_3)
	v_fmac_f32_e32 v9, v34, v16
	v_fmac_f32_e32 v4, v35, v20
	s_delay_alu instid0(VALU_DEP_3) | instskip(NEXT) | instid1(VALU_DEP_3)
	v_dual_fmac_f32 v7, v34, v20 :: v_dual_fmac_f32 v8, v37, v17
	v_fmac_f32_e32 v9, v36, v17
	s_delay_alu instid0(VALU_DEP_3) | instskip(NEXT) | instid1(VALU_DEP_3)
	v_fmac_f32_e32 v4, v37, v21
	v_dual_fmac_f32 v7, v36, v21 :: v_dual_fmac_f32 v8, v39, v22
	s_delay_alu instid0(VALU_DEP_3) | instskip(NEXT) | instid1(VALU_DEP_3)
	v_fmac_f32_e32 v9, v38, v22
	v_fmac_f32_e32 v4, v39, v26
	;; [unrolled: 9-line block ×3, first 2 shown]
	s_delay_alu instid0(VALU_DEP_3) | instskip(NEXT) | instid1(VALU_DEP_3)
	v_dual_fmac_f32 v7, v42, v28 :: v_dual_fmac_f32 v8, v45, v25
	v_fmac_f32_e32 v9, v44, v25
	s_delay_alu instid0(VALU_DEP_3) | instskip(NEXT) | instid1(VALU_DEP_3)
	v_fmac_f32_e32 v4, v45, v29
	v_fmac_f32_e32 v7, v44, v29
	s_cbranch_scc0 .LBB466_2
.LBB466_3:
	s_load_b32 s5, s[0:1], 0x40
	v_add_nc_u32_e32 v6, s12, v6
	v_add_nc_u32_e32 v0, s6, v5
	s_delay_alu instid0(VALU_DEP_1) | instskip(SKIP_1) | instid1(VALU_DEP_2)
	v_cmp_le_i32_e64 s0, v6, v0
	v_cmp_gt_i32_e32 vcc_lo, s4, v0
	s_and_b32 s0, s0, vcc_lo
	s_waitcnt lgkmcnt(0)
	v_mad_i64_i32 v[1:2], null, v6, s5, 0
	s_delay_alu instid0(VALU_DEP_1) | instskip(NEXT) | instid1(VALU_DEP_1)
	v_lshlrev_b64 v[1:2], 2, v[1:2]
	v_add_co_u32 v5, s1, s2, v1
	s_delay_alu instid0(VALU_DEP_1)
	v_add_co_ci_u32_e64 v10, s1, s3, v2, s1
	s_and_saveexec_b32 s1, s0
	s_cbranch_execz .LBB466_5
; %bb.4:
	v_ashrrev_i32_e32 v1, 31, v0
	s_delay_alu instid0(VALU_DEP_1) | instskip(NEXT) | instid1(VALU_DEP_1)
	v_lshlrev_b64 v[1:2], 2, v[0:1]
	v_add_co_u32 v1, s0, v5, v1
	s_delay_alu instid0(VALU_DEP_1)
	v_add_co_ci_u32_e64 v2, s0, v10, v2, s0
	global_load_b32 v3, v[1:2], off
	s_waitcnt vmcnt(0)
	v_add_f32_e32 v3, v9, v3
	global_store_b32 v[1:2], v3, off
.LBB466_5:
	s_or_b32 exec_lo, exec_lo, s1
	v_add_nc_u32_e32 v2, 16, v0
	s_delay_alu instid0(VALU_DEP_1) | instskip(SKIP_1) | instid1(VALU_DEP_1)
	v_cmp_le_i32_e64 s1, v6, v2
	v_cmp_gt_i32_e64 s0, s4, v2
	s_and_b32 s1, s1, s0
	s_delay_alu instid0(SALU_CYCLE_1)
	s_and_saveexec_b32 s4, s1
	s_cbranch_execz .LBB466_7
; %bb.6:
	v_ashrrev_i32_e32 v3, 31, v2
	s_delay_alu instid0(VALU_DEP_1) | instskip(NEXT) | instid1(VALU_DEP_1)
	v_lshlrev_b64 v[11:12], 2, v[2:3]
	v_add_co_u32 v9, s1, v5, v11
	s_delay_alu instid0(VALU_DEP_1)
	v_add_co_ci_u32_e64 v10, s1, v10, v12, s1
	global_load_b32 v1, v[9:10], off
	s_waitcnt vmcnt(0)
	v_add_f32_e32 v1, v8, v1
	global_store_b32 v[9:10], v1, off
.LBB466_7:
	s_or_b32 exec_lo, exec_lo, s4
	v_add_nc_u32_e32 v3, 16, v6
	s_delay_alu instid0(VALU_DEP_1) | instskip(SKIP_1) | instid1(VALU_DEP_2)
	v_mad_i64_i32 v[5:6], null, v3, s5, 0
	v_cmp_le_i32_e64 s1, v3, v0
	v_lshlrev_b64 v[5:6], 2, v[5:6]
	s_delay_alu instid0(VALU_DEP_1) | instskip(NEXT) | instid1(VALU_DEP_1)
	v_add_co_u32 v5, s2, s2, v5
	v_add_co_ci_u32_e64 v6, s2, s3, v6, s2
	s_delay_alu instid0(VALU_DEP_4) | instskip(NEXT) | instid1(SALU_CYCLE_1)
	s_and_b32 s2, s1, vcc_lo
	s_and_saveexec_b32 s1, s2
	s_cbranch_execz .LBB466_9
; %bb.8:
	v_ashrrev_i32_e32 v1, 31, v0
	s_delay_alu instid0(VALU_DEP_1) | instskip(NEXT) | instid1(VALU_DEP_1)
	v_lshlrev_b64 v[0:1], 2, v[0:1]
	v_add_co_u32 v0, vcc_lo, v5, v0
	s_delay_alu instid0(VALU_DEP_2)
	v_add_co_ci_u32_e32 v1, vcc_lo, v6, v1, vcc_lo
	global_load_b32 v8, v[0:1], off
	s_waitcnt vmcnt(0)
	v_add_f32_e32 v7, v7, v8
	global_store_b32 v[0:1], v7, off
.LBB466_9:
	s_or_b32 exec_lo, exec_lo, s1
	v_cmp_le_i32_e32 vcc_lo, v3, v2
	s_and_b32 s0, vcc_lo, s0
	s_delay_alu instid0(SALU_CYCLE_1)
	s_and_saveexec_b32 s1, s0
	s_cbranch_execz .LBB466_11
; %bb.10:
	v_ashrrev_i32_e32 v3, 31, v2
	s_delay_alu instid0(VALU_DEP_1) | instskip(NEXT) | instid1(VALU_DEP_1)
	v_lshlrev_b64 v[0:1], 2, v[2:3]
	v_add_co_u32 v0, vcc_lo, v5, v0
	s_delay_alu instid0(VALU_DEP_2)
	v_add_co_ci_u32_e32 v1, vcc_lo, v6, v1, vcc_lo
	global_load_b32 v2, v[0:1], off
	s_waitcnt vmcnt(0)
	v_add_f32_e32 v2, v4, v2
	global_store_b32 v[0:1], v2, off
.LBB466_11:
	s_nop 0
	s_sendmsg sendmsg(MSG_DEALLOC_VGPRS)
	s_endpgm
	.section	.rodata,"a",@progbits
	.p2align	6, 0x0
	.amdhsa_kernel _ZL37rocblas_syrkx_herkx_restricted_kernelIifLi16ELi32ELi8ELi1ELi1ELb0ELc78ELc76EKPKfKPfEviT_PT9_S5_lS7_S5_lPT10_S5_li
		.amdhsa_group_segment_fixed_size 2048
		.amdhsa_private_segment_fixed_size 0
		.amdhsa_kernarg_size 84
		.amdhsa_user_sgpr_count 13
		.amdhsa_user_sgpr_dispatch_ptr 0
		.amdhsa_user_sgpr_queue_ptr 0
		.amdhsa_user_sgpr_kernarg_segment_ptr 1
		.amdhsa_user_sgpr_dispatch_id 0
		.amdhsa_user_sgpr_private_segment_size 0
		.amdhsa_wavefront_size32 1
		.amdhsa_uses_dynamic_stack 0
		.amdhsa_enable_private_segment 0
		.amdhsa_system_sgpr_workgroup_id_x 1
		.amdhsa_system_sgpr_workgroup_id_y 1
		.amdhsa_system_sgpr_workgroup_id_z 1
		.amdhsa_system_sgpr_workgroup_info 0
		.amdhsa_system_vgpr_workitem_id 1
		.amdhsa_next_free_vgpr 46
		.amdhsa_next_free_sgpr 20
		.amdhsa_reserve_vcc 1
		.amdhsa_float_round_mode_32 0
		.amdhsa_float_round_mode_16_64 0
		.amdhsa_float_denorm_mode_32 3
		.amdhsa_float_denorm_mode_16_64 3
		.amdhsa_dx10_clamp 1
		.amdhsa_ieee_mode 1
		.amdhsa_fp16_overflow 0
		.amdhsa_workgroup_processor_mode 1
		.amdhsa_memory_ordered 1
		.amdhsa_forward_progress 0
		.amdhsa_shared_vgpr_count 0
		.amdhsa_exception_fp_ieee_invalid_op 0
		.amdhsa_exception_fp_denorm_src 0
		.amdhsa_exception_fp_ieee_div_zero 0
		.amdhsa_exception_fp_ieee_overflow 0
		.amdhsa_exception_fp_ieee_underflow 0
		.amdhsa_exception_fp_ieee_inexact 0
		.amdhsa_exception_int_div_zero 0
	.end_amdhsa_kernel
	.section	.text._ZL37rocblas_syrkx_herkx_restricted_kernelIifLi16ELi32ELi8ELi1ELi1ELb0ELc78ELc76EKPKfKPfEviT_PT9_S5_lS7_S5_lPT10_S5_li,"axG",@progbits,_ZL37rocblas_syrkx_herkx_restricted_kernelIifLi16ELi32ELi8ELi1ELi1ELb0ELc78ELc76EKPKfKPfEviT_PT9_S5_lS7_S5_lPT10_S5_li,comdat
.Lfunc_end466:
	.size	_ZL37rocblas_syrkx_herkx_restricted_kernelIifLi16ELi32ELi8ELi1ELi1ELb0ELc78ELc76EKPKfKPfEviT_PT9_S5_lS7_S5_lPT10_S5_li, .Lfunc_end466-_ZL37rocblas_syrkx_herkx_restricted_kernelIifLi16ELi32ELi8ELi1ELi1ELb0ELc78ELc76EKPKfKPfEviT_PT9_S5_lS7_S5_lPT10_S5_li
                                        ; -- End function
	.section	.AMDGPU.csdata,"",@progbits
; Kernel info:
; codeLenInByte = 1224
; NumSgprs: 22
; NumVgprs: 46
; ScratchSize: 0
; MemoryBound: 0
; FloatMode: 240
; IeeeMode: 1
; LDSByteSize: 2048 bytes/workgroup (compile time only)
; SGPRBlocks: 2
; VGPRBlocks: 5
; NumSGPRsForWavesPerEU: 22
; NumVGPRsForWavesPerEU: 46
; Occupancy: 16
; WaveLimiterHint : 1
; COMPUTE_PGM_RSRC2:SCRATCH_EN: 0
; COMPUTE_PGM_RSRC2:USER_SGPR: 13
; COMPUTE_PGM_RSRC2:TRAP_HANDLER: 0
; COMPUTE_PGM_RSRC2:TGID_X_EN: 1
; COMPUTE_PGM_RSRC2:TGID_Y_EN: 1
; COMPUTE_PGM_RSRC2:TGID_Z_EN: 1
; COMPUTE_PGM_RSRC2:TIDIG_COMP_CNT: 1
	.section	.text._ZL37rocblas_syrkx_herkx_restricted_kernelIifLi16ELi32ELi8ELi1ELi1ELb0ELc84ELc85EKPKfKPfEviT_PT9_S5_lS7_S5_lPT10_S5_li,"axG",@progbits,_ZL37rocblas_syrkx_herkx_restricted_kernelIifLi16ELi32ELi8ELi1ELi1ELb0ELc84ELc85EKPKfKPfEviT_PT9_S5_lS7_S5_lPT10_S5_li,comdat
	.globl	_ZL37rocblas_syrkx_herkx_restricted_kernelIifLi16ELi32ELi8ELi1ELi1ELb0ELc84ELc85EKPKfKPfEviT_PT9_S5_lS7_S5_lPT10_S5_li ; -- Begin function _ZL37rocblas_syrkx_herkx_restricted_kernelIifLi16ELi32ELi8ELi1ELi1ELb0ELc84ELc85EKPKfKPfEviT_PT9_S5_lS7_S5_lPT10_S5_li
	.p2align	8
	.type	_ZL37rocblas_syrkx_herkx_restricted_kernelIifLi16ELi32ELi8ELi1ELi1ELb0ELc84ELc85EKPKfKPfEviT_PT9_S5_lS7_S5_lPT10_S5_li,@function
_ZL37rocblas_syrkx_herkx_restricted_kernelIifLi16ELi32ELi8ELi1ELi1ELb0ELc84ELc85EKPKfKPfEviT_PT9_S5_lS7_S5_lPT10_S5_li: ; @_ZL37rocblas_syrkx_herkx_restricted_kernelIifLi16ELi32ELi8ELi1ELi1ELb0ELc84ELc85EKPKfKPfEviT_PT9_S5_lS7_S5_lPT10_S5_li
; %bb.0:
	s_clause 0x1
	s_load_b64 s[4:5], s[0:1], 0x38
	s_load_b64 s[2:3], s[0:1], 0x0
	s_mov_b32 s6, s15
	s_mov_b32 s7, 0
	v_dual_mov_b32 v9, 0 :: v_dual_and_b32 v6, 0x3ff, v0
	s_lshl_b64 s[8:9], s[6:7], 3
	v_bfe_u32 v7, v0, 10, 10
	v_dual_mov_b32 v8, 0 :: v_dual_mov_b32 v1, 0
	v_mov_b32_e32 v0, 0
	s_waitcnt lgkmcnt(0)
	s_add_u32 s4, s4, s8
	s_addc_u32 s5, s5, s9
	s_lshl_b32 s6, s13, 5
	s_load_b64 s[4:5], s[4:5], 0x0
	s_lshl_b32 s10, s14, 5
	s_cmp_lt_i32 s3, 1
	s_cbranch_scc1 .LBB467_3
; %bb.1:
	s_clause 0x3
	s_load_b64 s[12:13], s[0:1], 0x8
	s_load_b64 s[14:15], s[0:1], 0x20
	s_load_b32 s11, s[0:1], 0x10
	s_load_b32 s16, s[0:1], 0x28
	v_lshl_add_u32 v2, v7, 4, v6
	v_dual_mov_b32 v1, 0 :: v_dual_and_b32 v0, 7, v6
	v_lshlrev_b32_e32 v10, 2, v6
	s_delay_alu instid0(VALU_DEP_3) | instskip(SKIP_3) | instid1(VALU_DEP_4)
	v_and_b32_e32 v9, 31, v2
	v_lshrrev_b32_e32 v8, 3, v2
	v_lshrrev_b32_e32 v2, 5, v2
	v_mov_b32_e32 v3, v1
	v_add_nc_u32_e32 v11, s6, v9
	s_delay_alu instid0(VALU_DEP_4)
	v_add_nc_u32_e32 v12, s10, v8
	s_waitcnt lgkmcnt(0)
	s_add_u32 s12, s12, s8
	s_addc_u32 s13, s13, s9
	s_add_u32 s8, s14, s8
	s_load_b64 s[12:13], s[12:13], 0x0
	s_addc_u32 s9, s15, s9
	v_mad_i64_i32 v[4:5], null, s11, v11, v[2:3]
	s_load_b64 s[8:9], s[8:9], 0x0
	v_lshlrev_b32_e32 v3, 2, v0
	v_mad_i64_i32 v[14:15], null, s16, v12, v[0:1]
	v_dual_mov_b32 v0, v1 :: v_dual_lshlrev_b32 v9, 2, v9
	s_delay_alu instid0(VALU_DEP_3)
	v_lshl_or_b32 v13, v8, 5, v3
	v_lshlrev_b64 v[3:4], 2, v[4:5]
	v_lshl_add_u32 v11, v7, 5, 0x400
	v_mov_b32_e32 v8, v1
	v_lshlrev_b64 v[14:15], 2, v[14:15]
	v_lshl_or_b32 v12, v2, 7, v9
	v_mov_b32_e32 v9, v1
	v_add_nc_u32_e32 v13, 0x400, v13
	s_waitcnt lgkmcnt(0)
	v_add_co_u32 v2, vcc_lo, s12, v3
	v_add_co_ci_u32_e32 v3, vcc_lo, s13, v4, vcc_lo
	v_add_co_u32 v4, vcc_lo, s8, v14
	v_add_co_ci_u32_e32 v5, vcc_lo, s9, v15, vcc_lo
.LBB467_2:                              ; =>This Inner Loop Header: Depth=1
	global_load_b32 v14, v[2:3], off
	global_load_b32 v15, v[4:5], off
	v_add_co_u32 v2, vcc_lo, v2, 32
	v_add_co_ci_u32_e32 v3, vcc_lo, 0, v3, vcc_lo
	v_add_co_u32 v4, vcc_lo, v4, 32
	v_add_co_ci_u32_e32 v5, vcc_lo, 0, v5, vcc_lo
	s_add_i32 s7, s7, 8
	s_waitcnt vmcnt(1)
	ds_store_b32 v12, v14
	s_waitcnt vmcnt(0)
	ds_store_b32 v13, v15
	s_waitcnt lgkmcnt(0)
	s_barrier
	buffer_gl0_inv
	ds_load_2addr_b32 v[30:31], v10 offset1:16
	ds_load_b128 v[14:17], v11
	ds_load_b128 v[18:21], v11 offset:512
	ds_load_2addr_b32 v[32:33], v10 offset0:32 offset1:48
	ds_load_2addr_b32 v[34:35], v10 offset0:64 offset1:80
	ds_load_b128 v[22:25], v11 offset:16
	ds_load_2addr_b32 v[36:37], v10 offset0:96 offset1:112
	ds_load_2addr_b32 v[38:39], v10 offset0:128 offset1:144
	;; [unrolled: 3-line block ×3, first 2 shown]
	ds_load_2addr_b32 v[44:45], v10 offset0:224 offset1:240
	s_cmp_ge_i32 s7, s3
	s_waitcnt lgkmcnt(0)
	s_barrier
	buffer_gl0_inv
	v_fmac_f32_e32 v8, v31, v14
	v_fmac_f32_e32 v9, v30, v14
	;; [unrolled: 1-line block ×4, first 2 shown]
	s_delay_alu instid0(VALU_DEP_4) | instskip(NEXT) | instid1(VALU_DEP_4)
	v_fmac_f32_e32 v8, v33, v15
	v_fmac_f32_e32 v9, v32, v15
	s_delay_alu instid0(VALU_DEP_4) | instskip(NEXT) | instid1(VALU_DEP_4)
	v_fmac_f32_e32 v1, v33, v19
	v_fmac_f32_e32 v0, v32, v19
	;; [unrolled: 3-line block ×14, first 2 shown]
	s_cbranch_scc0 .LBB467_2
.LBB467_3:
	s_load_b32 s3, s[0:1], 0x40
	v_add_nc_u32_e32 v7, s10, v7
	v_add_nc_u32_e32 v2, s6, v6
	s_delay_alu instid0(VALU_DEP_2) | instskip(NEXT) | instid1(VALU_DEP_2)
	v_cmp_gt_i32_e32 vcc_lo, s2, v7
	v_cmp_le_i32_e64 s0, v2, v7
	s_delay_alu instid0(VALU_DEP_1) | instskip(SKIP_2) | instid1(VALU_DEP_1)
	s_and_b32 s0, vcc_lo, s0
	s_waitcnt lgkmcnt(0)
	v_mad_i64_i32 v[3:4], null, v7, s3, 0
	v_lshlrev_b64 v[3:4], 2, v[3:4]
	s_delay_alu instid0(VALU_DEP_1) | instskip(NEXT) | instid1(VALU_DEP_1)
	v_add_co_u32 v6, s1, s4, v3
	v_add_co_ci_u32_e64 v10, s1, s5, v4, s1
	s_and_saveexec_b32 s1, s0
	s_cbranch_execz .LBB467_5
; %bb.4:
	v_ashrrev_i32_e32 v3, 31, v2
	s_delay_alu instid0(VALU_DEP_1) | instskip(NEXT) | instid1(VALU_DEP_1)
	v_lshlrev_b64 v[3:4], 2, v[2:3]
	v_add_co_u32 v3, s0, v6, v3
	s_delay_alu instid0(VALU_DEP_1)
	v_add_co_ci_u32_e64 v4, s0, v10, v4, s0
	global_load_b32 v5, v[3:4], off
	s_waitcnt vmcnt(0)
	v_add_f32_e32 v5, v9, v5
	global_store_b32 v[3:4], v5, off
.LBB467_5:
	s_or_b32 exec_lo, exec_lo, s1
	v_add_nc_u32_e32 v4, 16, v2
	s_delay_alu instid0(VALU_DEP_1) | instskip(NEXT) | instid1(VALU_DEP_1)
	v_cmp_le_i32_e64 s0, v4, v7
	s_and_b32 s1, vcc_lo, s0
	s_delay_alu instid0(SALU_CYCLE_1)
	s_and_saveexec_b32 s0, s1
	s_cbranch_execz .LBB467_7
; %bb.6:
	v_ashrrev_i32_e32 v5, 31, v4
	s_delay_alu instid0(VALU_DEP_1) | instskip(NEXT) | instid1(VALU_DEP_1)
	v_lshlrev_b64 v[11:12], 2, v[4:5]
	v_add_co_u32 v5, vcc_lo, v6, v11
	s_delay_alu instid0(VALU_DEP_2)
	v_add_co_ci_u32_e32 v6, vcc_lo, v10, v12, vcc_lo
	global_load_b32 v3, v[5:6], off
	s_waitcnt vmcnt(0)
	v_add_f32_e32 v3, v8, v3
	global_store_b32 v[5:6], v3, off
.LBB467_7:
	s_or_b32 exec_lo, exec_lo, s0
	v_add_nc_u32_e32 v5, 16, v7
	s_delay_alu instid0(VALU_DEP_1) | instskip(SKIP_2) | instid1(VALU_DEP_1)
	v_mad_i64_i32 v[6:7], null, v5, s3, 0
	v_cmp_gt_i32_e32 vcc_lo, s2, v5
	v_cmp_le_i32_e64 s0, v2, v5
	s_and_b32 s0, vcc_lo, s0
	s_delay_alu instid0(VALU_DEP_3) | instskip(NEXT) | instid1(VALU_DEP_1)
	v_lshlrev_b64 v[6:7], 2, v[6:7]
	v_add_co_u32 v6, s1, s4, v6
	s_delay_alu instid0(VALU_DEP_1)
	v_add_co_ci_u32_e64 v7, s1, s5, v7, s1
	s_and_saveexec_b32 s1, s0
	s_cbranch_execz .LBB467_9
; %bb.8:
	v_ashrrev_i32_e32 v3, 31, v2
	s_delay_alu instid0(VALU_DEP_1) | instskip(NEXT) | instid1(VALU_DEP_1)
	v_lshlrev_b64 v[2:3], 2, v[2:3]
	v_add_co_u32 v2, s0, v6, v2
	s_delay_alu instid0(VALU_DEP_1)
	v_add_co_ci_u32_e64 v3, s0, v7, v3, s0
	global_load_b32 v8, v[2:3], off
	s_waitcnt vmcnt(0)
	v_add_f32_e32 v0, v0, v8
	global_store_b32 v[2:3], v0, off
.LBB467_9:
	s_or_b32 exec_lo, exec_lo, s1
	v_cmp_le_i32_e64 s0, v4, v5
	s_delay_alu instid0(VALU_DEP_1) | instskip(NEXT) | instid1(SALU_CYCLE_1)
	s_and_b32 s0, vcc_lo, s0
	s_and_saveexec_b32 s1, s0
	s_cbranch_execz .LBB467_11
; %bb.10:
	v_ashrrev_i32_e32 v5, 31, v4
	s_delay_alu instid0(VALU_DEP_1) | instskip(NEXT) | instid1(VALU_DEP_1)
	v_lshlrev_b64 v[2:3], 2, v[4:5]
	v_add_co_u32 v2, vcc_lo, v6, v2
	s_delay_alu instid0(VALU_DEP_2)
	v_add_co_ci_u32_e32 v3, vcc_lo, v7, v3, vcc_lo
	global_load_b32 v0, v[2:3], off
	s_waitcnt vmcnt(0)
	v_add_f32_e32 v0, v1, v0
	global_store_b32 v[2:3], v0, off
.LBB467_11:
	s_nop 0
	s_sendmsg sendmsg(MSG_DEALLOC_VGPRS)
	s_endpgm
	.section	.rodata,"a",@progbits
	.p2align	6, 0x0
	.amdhsa_kernel _ZL37rocblas_syrkx_herkx_restricted_kernelIifLi16ELi32ELi8ELi1ELi1ELb0ELc84ELc85EKPKfKPfEviT_PT9_S5_lS7_S5_lPT10_S5_li
		.amdhsa_group_segment_fixed_size 2048
		.amdhsa_private_segment_fixed_size 0
		.amdhsa_kernarg_size 84
		.amdhsa_user_sgpr_count 13
		.amdhsa_user_sgpr_dispatch_ptr 0
		.amdhsa_user_sgpr_queue_ptr 0
		.amdhsa_user_sgpr_kernarg_segment_ptr 1
		.amdhsa_user_sgpr_dispatch_id 0
		.amdhsa_user_sgpr_private_segment_size 0
		.amdhsa_wavefront_size32 1
		.amdhsa_uses_dynamic_stack 0
		.amdhsa_enable_private_segment 0
		.amdhsa_system_sgpr_workgroup_id_x 1
		.amdhsa_system_sgpr_workgroup_id_y 1
		.amdhsa_system_sgpr_workgroup_id_z 1
		.amdhsa_system_sgpr_workgroup_info 0
		.amdhsa_system_vgpr_workitem_id 1
		.amdhsa_next_free_vgpr 46
		.amdhsa_next_free_sgpr 17
		.amdhsa_reserve_vcc 1
		.amdhsa_float_round_mode_32 0
		.amdhsa_float_round_mode_16_64 0
		.amdhsa_float_denorm_mode_32 3
		.amdhsa_float_denorm_mode_16_64 3
		.amdhsa_dx10_clamp 1
		.amdhsa_ieee_mode 1
		.amdhsa_fp16_overflow 0
		.amdhsa_workgroup_processor_mode 1
		.amdhsa_memory_ordered 1
		.amdhsa_forward_progress 0
		.amdhsa_shared_vgpr_count 0
		.amdhsa_exception_fp_ieee_invalid_op 0
		.amdhsa_exception_fp_denorm_src 0
		.amdhsa_exception_fp_ieee_div_zero 0
		.amdhsa_exception_fp_ieee_overflow 0
		.amdhsa_exception_fp_ieee_underflow 0
		.amdhsa_exception_fp_ieee_inexact 0
		.amdhsa_exception_int_div_zero 0
	.end_amdhsa_kernel
	.section	.text._ZL37rocblas_syrkx_herkx_restricted_kernelIifLi16ELi32ELi8ELi1ELi1ELb0ELc84ELc85EKPKfKPfEviT_PT9_S5_lS7_S5_lPT10_S5_li,"axG",@progbits,_ZL37rocblas_syrkx_herkx_restricted_kernelIifLi16ELi32ELi8ELi1ELi1ELb0ELc84ELc85EKPKfKPfEviT_PT9_S5_lS7_S5_lPT10_S5_li,comdat
.Lfunc_end467:
	.size	_ZL37rocblas_syrkx_herkx_restricted_kernelIifLi16ELi32ELi8ELi1ELi1ELb0ELc84ELc85EKPKfKPfEviT_PT9_S5_lS7_S5_lPT10_S5_li, .Lfunc_end467-_ZL37rocblas_syrkx_herkx_restricted_kernelIifLi16ELi32ELi8ELi1ELi1ELb0ELc84ELc85EKPKfKPfEviT_PT9_S5_lS7_S5_lPT10_S5_li
                                        ; -- End function
	.section	.AMDGPU.csdata,"",@progbits
; Kernel info:
; codeLenInByte = 1204
; NumSgprs: 19
; NumVgprs: 46
; ScratchSize: 0
; MemoryBound: 0
; FloatMode: 240
; IeeeMode: 1
; LDSByteSize: 2048 bytes/workgroup (compile time only)
; SGPRBlocks: 2
; VGPRBlocks: 5
; NumSGPRsForWavesPerEU: 19
; NumVGPRsForWavesPerEU: 46
; Occupancy: 16
; WaveLimiterHint : 1
; COMPUTE_PGM_RSRC2:SCRATCH_EN: 0
; COMPUTE_PGM_RSRC2:USER_SGPR: 13
; COMPUTE_PGM_RSRC2:TRAP_HANDLER: 0
; COMPUTE_PGM_RSRC2:TGID_X_EN: 1
; COMPUTE_PGM_RSRC2:TGID_Y_EN: 1
; COMPUTE_PGM_RSRC2:TGID_Z_EN: 1
; COMPUTE_PGM_RSRC2:TIDIG_COMP_CNT: 1
	.section	.text._ZL37rocblas_syrkx_herkx_restricted_kernelIifLi16ELi32ELi8ELi1ELi1ELb0ELc67ELc85EKPKfKPfEviT_PT9_S5_lS7_S5_lPT10_S5_li,"axG",@progbits,_ZL37rocblas_syrkx_herkx_restricted_kernelIifLi16ELi32ELi8ELi1ELi1ELb0ELc67ELc85EKPKfKPfEviT_PT9_S5_lS7_S5_lPT10_S5_li,comdat
	.globl	_ZL37rocblas_syrkx_herkx_restricted_kernelIifLi16ELi32ELi8ELi1ELi1ELb0ELc67ELc85EKPKfKPfEviT_PT9_S5_lS7_S5_lPT10_S5_li ; -- Begin function _ZL37rocblas_syrkx_herkx_restricted_kernelIifLi16ELi32ELi8ELi1ELi1ELb0ELc67ELc85EKPKfKPfEviT_PT9_S5_lS7_S5_lPT10_S5_li
	.p2align	8
	.type	_ZL37rocblas_syrkx_herkx_restricted_kernelIifLi16ELi32ELi8ELi1ELi1ELb0ELc67ELc85EKPKfKPfEviT_PT9_S5_lS7_S5_lPT10_S5_li,@function
_ZL37rocblas_syrkx_herkx_restricted_kernelIifLi16ELi32ELi8ELi1ELi1ELb0ELc67ELc85EKPKfKPfEviT_PT9_S5_lS7_S5_lPT10_S5_li: ; @_ZL37rocblas_syrkx_herkx_restricted_kernelIifLi16ELi32ELi8ELi1ELi1ELb0ELc67ELc85EKPKfKPfEviT_PT9_S5_lS7_S5_lPT10_S5_li
; %bb.0:
	s_clause 0x1
	s_load_b64 s[4:5], s[0:1], 0x38
	s_load_b64 s[2:3], s[0:1], 0x0
	s_mov_b32 s6, s15
	s_mov_b32 s7, 0
	v_dual_mov_b32 v9, 0 :: v_dual_and_b32 v6, 0x3ff, v0
	s_lshl_b64 s[8:9], s[6:7], 3
	v_bfe_u32 v7, v0, 10, 10
	v_dual_mov_b32 v8, 0 :: v_dual_mov_b32 v1, 0
	v_mov_b32_e32 v0, 0
	s_waitcnt lgkmcnt(0)
	s_add_u32 s4, s4, s8
	s_addc_u32 s5, s5, s9
	s_lshl_b32 s6, s13, 5
	s_load_b64 s[4:5], s[4:5], 0x0
	s_lshl_b32 s10, s14, 5
	s_cmp_lt_i32 s3, 1
	s_cbranch_scc1 .LBB468_3
; %bb.1:
	s_clause 0x3
	s_load_b64 s[12:13], s[0:1], 0x8
	s_load_b64 s[14:15], s[0:1], 0x20
	s_load_b32 s11, s[0:1], 0x10
	s_load_b32 s16, s[0:1], 0x28
	v_lshl_add_u32 v2, v7, 4, v6
	v_dual_mov_b32 v1, 0 :: v_dual_and_b32 v0, 7, v6
	v_lshlrev_b32_e32 v10, 2, v6
	s_delay_alu instid0(VALU_DEP_3) | instskip(SKIP_3) | instid1(VALU_DEP_4)
	v_and_b32_e32 v9, 31, v2
	v_lshrrev_b32_e32 v8, 3, v2
	v_lshrrev_b32_e32 v2, 5, v2
	v_mov_b32_e32 v3, v1
	v_add_nc_u32_e32 v11, s6, v9
	s_delay_alu instid0(VALU_DEP_4)
	v_add_nc_u32_e32 v12, s10, v8
	s_waitcnt lgkmcnt(0)
	s_add_u32 s12, s12, s8
	s_addc_u32 s13, s13, s9
	s_add_u32 s8, s14, s8
	s_load_b64 s[12:13], s[12:13], 0x0
	s_addc_u32 s9, s15, s9
	v_mad_i64_i32 v[4:5], null, s11, v11, v[2:3]
	s_load_b64 s[8:9], s[8:9], 0x0
	v_lshlrev_b32_e32 v3, 2, v0
	v_mad_i64_i32 v[14:15], null, s16, v12, v[0:1]
	v_dual_mov_b32 v0, v1 :: v_dual_lshlrev_b32 v9, 2, v9
	s_delay_alu instid0(VALU_DEP_3)
	v_lshl_or_b32 v13, v8, 5, v3
	v_lshlrev_b64 v[3:4], 2, v[4:5]
	v_lshl_add_u32 v11, v7, 5, 0x400
	v_mov_b32_e32 v8, v1
	v_lshlrev_b64 v[14:15], 2, v[14:15]
	v_lshl_or_b32 v12, v2, 7, v9
	v_mov_b32_e32 v9, v1
	v_add_nc_u32_e32 v13, 0x400, v13
	s_waitcnt lgkmcnt(0)
	v_add_co_u32 v2, vcc_lo, s12, v3
	v_add_co_ci_u32_e32 v3, vcc_lo, s13, v4, vcc_lo
	v_add_co_u32 v4, vcc_lo, s8, v14
	v_add_co_ci_u32_e32 v5, vcc_lo, s9, v15, vcc_lo
.LBB468_2:                              ; =>This Inner Loop Header: Depth=1
	global_load_b32 v14, v[2:3], off
	global_load_b32 v15, v[4:5], off
	v_add_co_u32 v2, vcc_lo, v2, 32
	v_add_co_ci_u32_e32 v3, vcc_lo, 0, v3, vcc_lo
	v_add_co_u32 v4, vcc_lo, v4, 32
	v_add_co_ci_u32_e32 v5, vcc_lo, 0, v5, vcc_lo
	s_add_i32 s7, s7, 8
	s_waitcnt vmcnt(1)
	ds_store_b32 v12, v14
	s_waitcnt vmcnt(0)
	ds_store_b32 v13, v15
	s_waitcnt lgkmcnt(0)
	s_barrier
	buffer_gl0_inv
	ds_load_2addr_b32 v[30:31], v10 offset1:16
	ds_load_b128 v[14:17], v11
	ds_load_b128 v[18:21], v11 offset:512
	ds_load_2addr_b32 v[32:33], v10 offset0:32 offset1:48
	ds_load_2addr_b32 v[34:35], v10 offset0:64 offset1:80
	ds_load_b128 v[22:25], v11 offset:16
	ds_load_2addr_b32 v[36:37], v10 offset0:96 offset1:112
	ds_load_2addr_b32 v[38:39], v10 offset0:128 offset1:144
	;; [unrolled: 3-line block ×3, first 2 shown]
	ds_load_2addr_b32 v[44:45], v10 offset0:224 offset1:240
	s_cmp_ge_i32 s7, s3
	s_waitcnt lgkmcnt(0)
	s_barrier
	buffer_gl0_inv
	v_fmac_f32_e32 v8, v31, v14
	v_fmac_f32_e32 v9, v30, v14
	v_fmac_f32_e32 v1, v31, v18
	v_fmac_f32_e32 v0, v30, v18
	s_delay_alu instid0(VALU_DEP_4) | instskip(NEXT) | instid1(VALU_DEP_4)
	v_fmac_f32_e32 v8, v33, v15
	v_fmac_f32_e32 v9, v32, v15
	s_delay_alu instid0(VALU_DEP_4) | instskip(NEXT) | instid1(VALU_DEP_4)
	v_fmac_f32_e32 v1, v33, v19
	v_fmac_f32_e32 v0, v32, v19
	;; [unrolled: 3-line block ×14, first 2 shown]
	s_cbranch_scc0 .LBB468_2
.LBB468_3:
	s_load_b32 s3, s[0:1], 0x40
	v_add_nc_u32_e32 v7, s10, v7
	v_add_nc_u32_e32 v2, s6, v6
	s_delay_alu instid0(VALU_DEP_2) | instskip(NEXT) | instid1(VALU_DEP_2)
	v_cmp_gt_i32_e32 vcc_lo, s2, v7
	v_cmp_le_i32_e64 s0, v2, v7
	s_delay_alu instid0(VALU_DEP_1) | instskip(SKIP_2) | instid1(VALU_DEP_1)
	s_and_b32 s0, vcc_lo, s0
	s_waitcnt lgkmcnt(0)
	v_mad_i64_i32 v[3:4], null, v7, s3, 0
	v_lshlrev_b64 v[3:4], 2, v[3:4]
	s_delay_alu instid0(VALU_DEP_1) | instskip(NEXT) | instid1(VALU_DEP_1)
	v_add_co_u32 v6, s1, s4, v3
	v_add_co_ci_u32_e64 v10, s1, s5, v4, s1
	s_and_saveexec_b32 s1, s0
	s_cbranch_execz .LBB468_5
; %bb.4:
	v_ashrrev_i32_e32 v3, 31, v2
	s_delay_alu instid0(VALU_DEP_1) | instskip(NEXT) | instid1(VALU_DEP_1)
	v_lshlrev_b64 v[3:4], 2, v[2:3]
	v_add_co_u32 v3, s0, v6, v3
	s_delay_alu instid0(VALU_DEP_1)
	v_add_co_ci_u32_e64 v4, s0, v10, v4, s0
	global_load_b32 v5, v[3:4], off
	s_waitcnt vmcnt(0)
	v_add_f32_e32 v5, v9, v5
	global_store_b32 v[3:4], v5, off
.LBB468_5:
	s_or_b32 exec_lo, exec_lo, s1
	v_add_nc_u32_e32 v4, 16, v2
	s_delay_alu instid0(VALU_DEP_1) | instskip(NEXT) | instid1(VALU_DEP_1)
	v_cmp_le_i32_e64 s0, v4, v7
	s_and_b32 s1, vcc_lo, s0
	s_delay_alu instid0(SALU_CYCLE_1)
	s_and_saveexec_b32 s0, s1
	s_cbranch_execz .LBB468_7
; %bb.6:
	v_ashrrev_i32_e32 v5, 31, v4
	s_delay_alu instid0(VALU_DEP_1) | instskip(NEXT) | instid1(VALU_DEP_1)
	v_lshlrev_b64 v[11:12], 2, v[4:5]
	v_add_co_u32 v5, vcc_lo, v6, v11
	s_delay_alu instid0(VALU_DEP_2)
	v_add_co_ci_u32_e32 v6, vcc_lo, v10, v12, vcc_lo
	global_load_b32 v3, v[5:6], off
	s_waitcnt vmcnt(0)
	v_add_f32_e32 v3, v8, v3
	global_store_b32 v[5:6], v3, off
.LBB468_7:
	s_or_b32 exec_lo, exec_lo, s0
	v_add_nc_u32_e32 v5, 16, v7
	s_delay_alu instid0(VALU_DEP_1) | instskip(SKIP_2) | instid1(VALU_DEP_1)
	v_mad_i64_i32 v[6:7], null, v5, s3, 0
	v_cmp_gt_i32_e32 vcc_lo, s2, v5
	v_cmp_le_i32_e64 s0, v2, v5
	s_and_b32 s0, vcc_lo, s0
	s_delay_alu instid0(VALU_DEP_3) | instskip(NEXT) | instid1(VALU_DEP_1)
	v_lshlrev_b64 v[6:7], 2, v[6:7]
	v_add_co_u32 v6, s1, s4, v6
	s_delay_alu instid0(VALU_DEP_1)
	v_add_co_ci_u32_e64 v7, s1, s5, v7, s1
	s_and_saveexec_b32 s1, s0
	s_cbranch_execz .LBB468_9
; %bb.8:
	v_ashrrev_i32_e32 v3, 31, v2
	s_delay_alu instid0(VALU_DEP_1) | instskip(NEXT) | instid1(VALU_DEP_1)
	v_lshlrev_b64 v[2:3], 2, v[2:3]
	v_add_co_u32 v2, s0, v6, v2
	s_delay_alu instid0(VALU_DEP_1)
	v_add_co_ci_u32_e64 v3, s0, v7, v3, s0
	global_load_b32 v8, v[2:3], off
	s_waitcnt vmcnt(0)
	v_add_f32_e32 v0, v0, v8
	global_store_b32 v[2:3], v0, off
.LBB468_9:
	s_or_b32 exec_lo, exec_lo, s1
	v_cmp_le_i32_e64 s0, v4, v5
	s_delay_alu instid0(VALU_DEP_1) | instskip(NEXT) | instid1(SALU_CYCLE_1)
	s_and_b32 s0, vcc_lo, s0
	s_and_saveexec_b32 s1, s0
	s_cbranch_execz .LBB468_11
; %bb.10:
	v_ashrrev_i32_e32 v5, 31, v4
	s_delay_alu instid0(VALU_DEP_1) | instskip(NEXT) | instid1(VALU_DEP_1)
	v_lshlrev_b64 v[2:3], 2, v[4:5]
	v_add_co_u32 v2, vcc_lo, v6, v2
	s_delay_alu instid0(VALU_DEP_2)
	v_add_co_ci_u32_e32 v3, vcc_lo, v7, v3, vcc_lo
	global_load_b32 v0, v[2:3], off
	s_waitcnt vmcnt(0)
	v_add_f32_e32 v0, v1, v0
	global_store_b32 v[2:3], v0, off
.LBB468_11:
	s_nop 0
	s_sendmsg sendmsg(MSG_DEALLOC_VGPRS)
	s_endpgm
	.section	.rodata,"a",@progbits
	.p2align	6, 0x0
	.amdhsa_kernel _ZL37rocblas_syrkx_herkx_restricted_kernelIifLi16ELi32ELi8ELi1ELi1ELb0ELc67ELc85EKPKfKPfEviT_PT9_S5_lS7_S5_lPT10_S5_li
		.amdhsa_group_segment_fixed_size 2048
		.amdhsa_private_segment_fixed_size 0
		.amdhsa_kernarg_size 84
		.amdhsa_user_sgpr_count 13
		.amdhsa_user_sgpr_dispatch_ptr 0
		.amdhsa_user_sgpr_queue_ptr 0
		.amdhsa_user_sgpr_kernarg_segment_ptr 1
		.amdhsa_user_sgpr_dispatch_id 0
		.amdhsa_user_sgpr_private_segment_size 0
		.amdhsa_wavefront_size32 1
		.amdhsa_uses_dynamic_stack 0
		.amdhsa_enable_private_segment 0
		.amdhsa_system_sgpr_workgroup_id_x 1
		.amdhsa_system_sgpr_workgroup_id_y 1
		.amdhsa_system_sgpr_workgroup_id_z 1
		.amdhsa_system_sgpr_workgroup_info 0
		.amdhsa_system_vgpr_workitem_id 1
		.amdhsa_next_free_vgpr 46
		.amdhsa_next_free_sgpr 17
		.amdhsa_reserve_vcc 1
		.amdhsa_float_round_mode_32 0
		.amdhsa_float_round_mode_16_64 0
		.amdhsa_float_denorm_mode_32 3
		.amdhsa_float_denorm_mode_16_64 3
		.amdhsa_dx10_clamp 1
		.amdhsa_ieee_mode 1
		.amdhsa_fp16_overflow 0
		.amdhsa_workgroup_processor_mode 1
		.amdhsa_memory_ordered 1
		.amdhsa_forward_progress 0
		.amdhsa_shared_vgpr_count 0
		.amdhsa_exception_fp_ieee_invalid_op 0
		.amdhsa_exception_fp_denorm_src 0
		.amdhsa_exception_fp_ieee_div_zero 0
		.amdhsa_exception_fp_ieee_overflow 0
		.amdhsa_exception_fp_ieee_underflow 0
		.amdhsa_exception_fp_ieee_inexact 0
		.amdhsa_exception_int_div_zero 0
	.end_amdhsa_kernel
	.section	.text._ZL37rocblas_syrkx_herkx_restricted_kernelIifLi16ELi32ELi8ELi1ELi1ELb0ELc67ELc85EKPKfKPfEviT_PT9_S5_lS7_S5_lPT10_S5_li,"axG",@progbits,_ZL37rocblas_syrkx_herkx_restricted_kernelIifLi16ELi32ELi8ELi1ELi1ELb0ELc67ELc85EKPKfKPfEviT_PT9_S5_lS7_S5_lPT10_S5_li,comdat
.Lfunc_end468:
	.size	_ZL37rocblas_syrkx_herkx_restricted_kernelIifLi16ELi32ELi8ELi1ELi1ELb0ELc67ELc85EKPKfKPfEviT_PT9_S5_lS7_S5_lPT10_S5_li, .Lfunc_end468-_ZL37rocblas_syrkx_herkx_restricted_kernelIifLi16ELi32ELi8ELi1ELi1ELb0ELc67ELc85EKPKfKPfEviT_PT9_S5_lS7_S5_lPT10_S5_li
                                        ; -- End function
	.section	.AMDGPU.csdata,"",@progbits
; Kernel info:
; codeLenInByte = 1204
; NumSgprs: 19
; NumVgprs: 46
; ScratchSize: 0
; MemoryBound: 0
; FloatMode: 240
; IeeeMode: 1
; LDSByteSize: 2048 bytes/workgroup (compile time only)
; SGPRBlocks: 2
; VGPRBlocks: 5
; NumSGPRsForWavesPerEU: 19
; NumVGPRsForWavesPerEU: 46
; Occupancy: 16
; WaveLimiterHint : 1
; COMPUTE_PGM_RSRC2:SCRATCH_EN: 0
; COMPUTE_PGM_RSRC2:USER_SGPR: 13
; COMPUTE_PGM_RSRC2:TRAP_HANDLER: 0
; COMPUTE_PGM_RSRC2:TGID_X_EN: 1
; COMPUTE_PGM_RSRC2:TGID_Y_EN: 1
; COMPUTE_PGM_RSRC2:TGID_Z_EN: 1
; COMPUTE_PGM_RSRC2:TIDIG_COMP_CNT: 1
	.section	.text._ZL37rocblas_syrkx_herkx_restricted_kernelIifLi16ELi32ELi8ELi1ELi1ELb0ELc78ELc85EKPKfKPfEviT_PT9_S5_lS7_S5_lPT10_S5_li,"axG",@progbits,_ZL37rocblas_syrkx_herkx_restricted_kernelIifLi16ELi32ELi8ELi1ELi1ELb0ELc78ELc85EKPKfKPfEviT_PT9_S5_lS7_S5_lPT10_S5_li,comdat
	.globl	_ZL37rocblas_syrkx_herkx_restricted_kernelIifLi16ELi32ELi8ELi1ELi1ELb0ELc78ELc85EKPKfKPfEviT_PT9_S5_lS7_S5_lPT10_S5_li ; -- Begin function _ZL37rocblas_syrkx_herkx_restricted_kernelIifLi16ELi32ELi8ELi1ELi1ELb0ELc78ELc85EKPKfKPfEviT_PT9_S5_lS7_S5_lPT10_S5_li
	.p2align	8
	.type	_ZL37rocblas_syrkx_herkx_restricted_kernelIifLi16ELi32ELi8ELi1ELi1ELb0ELc78ELc85EKPKfKPfEviT_PT9_S5_lS7_S5_lPT10_S5_li,@function
_ZL37rocblas_syrkx_herkx_restricted_kernelIifLi16ELi32ELi8ELi1ELi1ELb0ELc78ELc85EKPKfKPfEviT_PT9_S5_lS7_S5_lPT10_S5_li: ; @_ZL37rocblas_syrkx_herkx_restricted_kernelIifLi16ELi32ELi8ELi1ELi1ELb0ELc78ELc85EKPKfKPfEviT_PT9_S5_lS7_S5_lPT10_S5_li
; %bb.0:
	s_clause 0x1
	s_load_b64 s[4:5], s[0:1], 0x38
	s_load_b64 s[2:3], s[0:1], 0x0
	s_mov_b32 s6, s15
	s_mov_b32 s7, 0
	v_dual_mov_b32 v8, 0 :: v_dual_and_b32 v5, 0x3ff, v0
	s_lshl_b64 s[8:9], s[6:7], 3
	v_bfe_u32 v6, v0, 10, 10
	v_dual_mov_b32 v9, 0 :: v_dual_mov_b32 v4, 0
	v_mov_b32_e32 v7, 0
	s_waitcnt lgkmcnt(0)
	s_add_u32 s4, s4, s8
	s_addc_u32 s5, s5, s9
	s_lshl_b32 s6, s13, 5
	s_load_b64 s[4:5], s[4:5], 0x0
	s_lshl_b32 s12, s14, 5
	s_cmp_lt_i32 s3, 1
	s_cbranch_scc1 .LBB469_3
; %bb.1:
	s_clause 0x3
	s_load_b32 s10, s[0:1], 0x10
	s_load_b32 s14, s[0:1], 0x28
	s_load_b64 s[16:17], s[0:1], 0x8
	s_load_b64 s[18:19], s[0:1], 0x20
	v_lshl_add_u32 v0, v6, 4, v5
	v_dual_mov_b32 v4, 0 :: v_dual_and_b32 v7, 7, v5
	v_lshlrev_b32_e32 v10, 2, v5
	v_lshl_add_u32 v11, v6, 5, 0x400
	s_delay_alu instid0(VALU_DEP_4) | instskip(SKIP_3) | instid1(VALU_DEP_4)
	v_and_b32_e32 v13, 31, v0
	v_lshrrev_b32_e32 v12, 3, v0
	v_lshrrev_b32_e32 v14, 5, v0
	v_lshlrev_b32_e32 v15, 2, v7
	v_add_nc_u32_e32 v2, s6, v13
	s_delay_alu instid0(VALU_DEP_4) | instskip(NEXT) | instid1(VALU_DEP_3)
	v_add_nc_u32_e32 v0, s12, v12
	v_lshl_or_b32 v15, v12, 5, v15
	s_delay_alu instid0(VALU_DEP_3)
	v_ashrrev_i32_e32 v3, 31, v2
	s_waitcnt lgkmcnt(0)
	s_ashr_i32 s11, s10, 31
	s_ashr_i32 s15, s14, 31
	s_add_u32 s16, s16, s8
	s_addc_u32 s17, s17, s9
	s_add_u32 s8, s18, s8
	s_load_b64 s[16:17], s[16:17], 0x0
	s_addc_u32 s9, s19, s9
	v_ashrrev_i32_e32 v1, 31, v0
	s_load_b64 s[8:9], s[8:9], 0x0
	v_mad_i64_i32 v[8:9], null, s10, v14, v[2:3]
	s_delay_alu instid0(VALU_DEP_2) | instskip(SKIP_1) | instid1(VALU_DEP_3)
	v_mad_i64_i32 v[2:3], null, s14, v7, v[0:1]
	v_mov_b32_e32 v7, 0
	v_lshlrev_b64 v[0:1], 2, v[8:9]
	v_dual_mov_b32 v9, 0 :: v_dual_mov_b32 v8, 0
	s_delay_alu instid0(VALU_DEP_4) | instskip(SKIP_2) | instid1(VALU_DEP_4)
	v_lshlrev_b64 v[2:3], 2, v[2:3]
	v_lshlrev_b32_e32 v13, 2, v13
	s_waitcnt lgkmcnt(0)
	v_add_co_u32 v0, vcc_lo, s16, v0
	v_add_co_ci_u32_e32 v1, vcc_lo, s17, v1, vcc_lo
	s_delay_alu instid0(VALU_DEP_4)
	v_add_co_u32 v2, vcc_lo, s8, v2
	v_lshl_or_b32 v12, v14, 7, v13
	v_add_nc_u32_e32 v13, 0x400, v15
	v_add_co_ci_u32_e32 v3, vcc_lo, s9, v3, vcc_lo
	s_lshl_b64 s[8:9], s[10:11], 5
	s_lshl_b64 s[10:11], s[14:15], 5
.LBB469_2:                              ; =>This Inner Loop Header: Depth=1
	global_load_b32 v14, v[0:1], off
	global_load_b32 v15, v[2:3], off
	v_add_co_u32 v0, vcc_lo, v0, s8
	v_add_co_ci_u32_e32 v1, vcc_lo, s9, v1, vcc_lo
	v_add_co_u32 v2, vcc_lo, v2, s10
	v_add_co_ci_u32_e32 v3, vcc_lo, s11, v3, vcc_lo
	s_add_i32 s7, s7, 8
	s_waitcnt vmcnt(1)
	ds_store_b32 v12, v14
	s_waitcnt vmcnt(0)
	ds_store_b32 v13, v15
	s_waitcnt lgkmcnt(0)
	s_barrier
	buffer_gl0_inv
	ds_load_2addr_b32 v[30:31], v10 offset1:16
	ds_load_b128 v[14:17], v11
	ds_load_b128 v[18:21], v11 offset:512
	ds_load_2addr_b32 v[32:33], v10 offset0:32 offset1:48
	ds_load_2addr_b32 v[34:35], v10 offset0:64 offset1:80
	ds_load_b128 v[22:25], v11 offset:16
	ds_load_2addr_b32 v[36:37], v10 offset0:96 offset1:112
	ds_load_2addr_b32 v[38:39], v10 offset0:128 offset1:144
	;; [unrolled: 3-line block ×3, first 2 shown]
	ds_load_2addr_b32 v[44:45], v10 offset0:224 offset1:240
	s_cmp_ge_i32 s7, s3
	s_waitcnt lgkmcnt(0)
	s_barrier
	buffer_gl0_inv
	v_fmac_f32_e32 v8, v31, v14
	v_fmac_f32_e32 v9, v30, v14
	;; [unrolled: 1-line block ×3, first 2 shown]
	s_delay_alu instid0(VALU_DEP_3) | instskip(NEXT) | instid1(VALU_DEP_3)
	v_dual_fmac_f32 v7, v30, v18 :: v_dual_fmac_f32 v8, v33, v15
	v_fmac_f32_e32 v9, v32, v15
	s_delay_alu instid0(VALU_DEP_3) | instskip(NEXT) | instid1(VALU_DEP_3)
	v_fmac_f32_e32 v4, v33, v19
	v_dual_fmac_f32 v7, v32, v19 :: v_dual_fmac_f32 v8, v35, v16
	s_delay_alu instid0(VALU_DEP_3) | instskip(NEXT) | instid1(VALU_DEP_3)
	v_fmac_f32_e32 v9, v34, v16
	v_fmac_f32_e32 v4, v35, v20
	s_delay_alu instid0(VALU_DEP_3) | instskip(NEXT) | instid1(VALU_DEP_3)
	v_dual_fmac_f32 v7, v34, v20 :: v_dual_fmac_f32 v8, v37, v17
	v_fmac_f32_e32 v9, v36, v17
	s_delay_alu instid0(VALU_DEP_3) | instskip(NEXT) | instid1(VALU_DEP_3)
	v_fmac_f32_e32 v4, v37, v21
	v_dual_fmac_f32 v7, v36, v21 :: v_dual_fmac_f32 v8, v39, v22
	s_delay_alu instid0(VALU_DEP_3) | instskip(NEXT) | instid1(VALU_DEP_3)
	v_fmac_f32_e32 v9, v38, v22
	v_fmac_f32_e32 v4, v39, v26
	;; [unrolled: 9-line block ×3, first 2 shown]
	s_delay_alu instid0(VALU_DEP_3) | instskip(NEXT) | instid1(VALU_DEP_3)
	v_dual_fmac_f32 v7, v42, v28 :: v_dual_fmac_f32 v8, v45, v25
	v_fmac_f32_e32 v9, v44, v25
	s_delay_alu instid0(VALU_DEP_3) | instskip(NEXT) | instid1(VALU_DEP_3)
	v_fmac_f32_e32 v4, v45, v29
	v_fmac_f32_e32 v7, v44, v29
	s_cbranch_scc0 .LBB469_2
.LBB469_3:
	s_load_b32 s3, s[0:1], 0x40
	v_add_nc_u32_e32 v6, s12, v6
	v_add_nc_u32_e32 v0, s6, v5
	s_delay_alu instid0(VALU_DEP_2) | instskip(NEXT) | instid1(VALU_DEP_2)
	v_cmp_gt_i32_e32 vcc_lo, s2, v6
	v_cmp_le_i32_e64 s0, v0, v6
	s_delay_alu instid0(VALU_DEP_1) | instskip(SKIP_2) | instid1(VALU_DEP_1)
	s_and_b32 s0, vcc_lo, s0
	s_waitcnt lgkmcnt(0)
	v_mad_i64_i32 v[1:2], null, v6, s3, 0
	v_lshlrev_b64 v[1:2], 2, v[1:2]
	s_delay_alu instid0(VALU_DEP_1) | instskip(NEXT) | instid1(VALU_DEP_1)
	v_add_co_u32 v5, s1, s4, v1
	v_add_co_ci_u32_e64 v10, s1, s5, v2, s1
	s_and_saveexec_b32 s1, s0
	s_cbranch_execz .LBB469_5
; %bb.4:
	v_ashrrev_i32_e32 v1, 31, v0
	s_delay_alu instid0(VALU_DEP_1) | instskip(NEXT) | instid1(VALU_DEP_1)
	v_lshlrev_b64 v[1:2], 2, v[0:1]
	v_add_co_u32 v1, s0, v5, v1
	s_delay_alu instid0(VALU_DEP_1)
	v_add_co_ci_u32_e64 v2, s0, v10, v2, s0
	global_load_b32 v3, v[1:2], off
	s_waitcnt vmcnt(0)
	v_add_f32_e32 v3, v9, v3
	global_store_b32 v[1:2], v3, off
.LBB469_5:
	s_or_b32 exec_lo, exec_lo, s1
	v_add_nc_u32_e32 v2, 16, v0
	s_delay_alu instid0(VALU_DEP_1) | instskip(NEXT) | instid1(VALU_DEP_1)
	v_cmp_le_i32_e64 s0, v2, v6
	s_and_b32 s1, vcc_lo, s0
	s_delay_alu instid0(SALU_CYCLE_1)
	s_and_saveexec_b32 s0, s1
	s_cbranch_execz .LBB469_7
; %bb.6:
	v_ashrrev_i32_e32 v3, 31, v2
	s_delay_alu instid0(VALU_DEP_1) | instskip(NEXT) | instid1(VALU_DEP_1)
	v_lshlrev_b64 v[11:12], 2, v[2:3]
	v_add_co_u32 v9, vcc_lo, v5, v11
	s_delay_alu instid0(VALU_DEP_2)
	v_add_co_ci_u32_e32 v10, vcc_lo, v10, v12, vcc_lo
	global_load_b32 v1, v[9:10], off
	s_waitcnt vmcnt(0)
	v_add_f32_e32 v1, v8, v1
	global_store_b32 v[9:10], v1, off
.LBB469_7:
	s_or_b32 exec_lo, exec_lo, s0
	v_add_nc_u32_e32 v3, 16, v6
	s_delay_alu instid0(VALU_DEP_1) | instskip(SKIP_2) | instid1(VALU_DEP_1)
	v_mad_i64_i32 v[5:6], null, v3, s3, 0
	v_cmp_gt_i32_e32 vcc_lo, s2, v3
	v_cmp_le_i32_e64 s0, v0, v3
	s_and_b32 s0, vcc_lo, s0
	s_delay_alu instid0(VALU_DEP_3) | instskip(NEXT) | instid1(VALU_DEP_1)
	v_lshlrev_b64 v[5:6], 2, v[5:6]
	v_add_co_u32 v5, s1, s4, v5
	s_delay_alu instid0(VALU_DEP_1)
	v_add_co_ci_u32_e64 v6, s1, s5, v6, s1
	s_and_saveexec_b32 s1, s0
	s_cbranch_execz .LBB469_9
; %bb.8:
	v_ashrrev_i32_e32 v1, 31, v0
	s_delay_alu instid0(VALU_DEP_1) | instskip(NEXT) | instid1(VALU_DEP_1)
	v_lshlrev_b64 v[0:1], 2, v[0:1]
	v_add_co_u32 v0, s0, v5, v0
	s_delay_alu instid0(VALU_DEP_1)
	v_add_co_ci_u32_e64 v1, s0, v6, v1, s0
	global_load_b32 v8, v[0:1], off
	s_waitcnt vmcnt(0)
	v_add_f32_e32 v7, v7, v8
	global_store_b32 v[0:1], v7, off
.LBB469_9:
	s_or_b32 exec_lo, exec_lo, s1
	v_cmp_le_i32_e64 s0, v2, v3
	s_delay_alu instid0(VALU_DEP_1) | instskip(NEXT) | instid1(SALU_CYCLE_1)
	s_and_b32 s0, vcc_lo, s0
	s_and_saveexec_b32 s1, s0
	s_cbranch_execz .LBB469_11
; %bb.10:
	v_ashrrev_i32_e32 v3, 31, v2
	s_delay_alu instid0(VALU_DEP_1) | instskip(NEXT) | instid1(VALU_DEP_1)
	v_lshlrev_b64 v[0:1], 2, v[2:3]
	v_add_co_u32 v0, vcc_lo, v5, v0
	s_delay_alu instid0(VALU_DEP_2)
	v_add_co_ci_u32_e32 v1, vcc_lo, v6, v1, vcc_lo
	global_load_b32 v2, v[0:1], off
	s_waitcnt vmcnt(0)
	v_add_f32_e32 v2, v4, v2
	global_store_b32 v[0:1], v2, off
.LBB469_11:
	s_nop 0
	s_sendmsg sendmsg(MSG_DEALLOC_VGPRS)
	s_endpgm
	.section	.rodata,"a",@progbits
	.p2align	6, 0x0
	.amdhsa_kernel _ZL37rocblas_syrkx_herkx_restricted_kernelIifLi16ELi32ELi8ELi1ELi1ELb0ELc78ELc85EKPKfKPfEviT_PT9_S5_lS7_S5_lPT10_S5_li
		.amdhsa_group_segment_fixed_size 2048
		.amdhsa_private_segment_fixed_size 0
		.amdhsa_kernarg_size 84
		.amdhsa_user_sgpr_count 13
		.amdhsa_user_sgpr_dispatch_ptr 0
		.amdhsa_user_sgpr_queue_ptr 0
		.amdhsa_user_sgpr_kernarg_segment_ptr 1
		.amdhsa_user_sgpr_dispatch_id 0
		.amdhsa_user_sgpr_private_segment_size 0
		.amdhsa_wavefront_size32 1
		.amdhsa_uses_dynamic_stack 0
		.amdhsa_enable_private_segment 0
		.amdhsa_system_sgpr_workgroup_id_x 1
		.amdhsa_system_sgpr_workgroup_id_y 1
		.amdhsa_system_sgpr_workgroup_id_z 1
		.amdhsa_system_sgpr_workgroup_info 0
		.amdhsa_system_vgpr_workitem_id 1
		.amdhsa_next_free_vgpr 46
		.amdhsa_next_free_sgpr 20
		.amdhsa_reserve_vcc 1
		.amdhsa_float_round_mode_32 0
		.amdhsa_float_round_mode_16_64 0
		.amdhsa_float_denorm_mode_32 3
		.amdhsa_float_denorm_mode_16_64 3
		.amdhsa_dx10_clamp 1
		.amdhsa_ieee_mode 1
		.amdhsa_fp16_overflow 0
		.amdhsa_workgroup_processor_mode 1
		.amdhsa_memory_ordered 1
		.amdhsa_forward_progress 0
		.amdhsa_shared_vgpr_count 0
		.amdhsa_exception_fp_ieee_invalid_op 0
		.amdhsa_exception_fp_denorm_src 0
		.amdhsa_exception_fp_ieee_div_zero 0
		.amdhsa_exception_fp_ieee_overflow 0
		.amdhsa_exception_fp_ieee_underflow 0
		.amdhsa_exception_fp_ieee_inexact 0
		.amdhsa_exception_int_div_zero 0
	.end_amdhsa_kernel
	.section	.text._ZL37rocblas_syrkx_herkx_restricted_kernelIifLi16ELi32ELi8ELi1ELi1ELb0ELc78ELc85EKPKfKPfEviT_PT9_S5_lS7_S5_lPT10_S5_li,"axG",@progbits,_ZL37rocblas_syrkx_herkx_restricted_kernelIifLi16ELi32ELi8ELi1ELi1ELb0ELc78ELc85EKPKfKPfEviT_PT9_S5_lS7_S5_lPT10_S5_li,comdat
.Lfunc_end469:
	.size	_ZL37rocblas_syrkx_herkx_restricted_kernelIifLi16ELi32ELi8ELi1ELi1ELb0ELc78ELc85EKPKfKPfEviT_PT9_S5_lS7_S5_lPT10_S5_li, .Lfunc_end469-_ZL37rocblas_syrkx_herkx_restricted_kernelIifLi16ELi32ELi8ELi1ELi1ELb0ELc78ELc85EKPKfKPfEviT_PT9_S5_lS7_S5_lPT10_S5_li
                                        ; -- End function
	.section	.AMDGPU.csdata,"",@progbits
; Kernel info:
; codeLenInByte = 1224
; NumSgprs: 22
; NumVgprs: 46
; ScratchSize: 0
; MemoryBound: 0
; FloatMode: 240
; IeeeMode: 1
; LDSByteSize: 2048 bytes/workgroup (compile time only)
; SGPRBlocks: 2
; VGPRBlocks: 5
; NumSGPRsForWavesPerEU: 22
; NumVGPRsForWavesPerEU: 46
; Occupancy: 16
; WaveLimiterHint : 1
; COMPUTE_PGM_RSRC2:SCRATCH_EN: 0
; COMPUTE_PGM_RSRC2:USER_SGPR: 13
; COMPUTE_PGM_RSRC2:TRAP_HANDLER: 0
; COMPUTE_PGM_RSRC2:TGID_X_EN: 1
; COMPUTE_PGM_RSRC2:TGID_Y_EN: 1
; COMPUTE_PGM_RSRC2:TGID_Z_EN: 1
; COMPUTE_PGM_RSRC2:TIDIG_COMP_CNT: 1
	.section	.text._ZL37rocblas_syrkx_herkx_restricted_kernelIifLi16ELi32ELi8ELi1ELin1ELb0ELc84ELc76EKPKfKPfEviT_PT9_S5_lS7_S5_lPT10_S5_li,"axG",@progbits,_ZL37rocblas_syrkx_herkx_restricted_kernelIifLi16ELi32ELi8ELi1ELin1ELb0ELc84ELc76EKPKfKPfEviT_PT9_S5_lS7_S5_lPT10_S5_li,comdat
	.globl	_ZL37rocblas_syrkx_herkx_restricted_kernelIifLi16ELi32ELi8ELi1ELin1ELb0ELc84ELc76EKPKfKPfEviT_PT9_S5_lS7_S5_lPT10_S5_li ; -- Begin function _ZL37rocblas_syrkx_herkx_restricted_kernelIifLi16ELi32ELi8ELi1ELin1ELb0ELc84ELc76EKPKfKPfEviT_PT9_S5_lS7_S5_lPT10_S5_li
	.p2align	8
	.type	_ZL37rocblas_syrkx_herkx_restricted_kernelIifLi16ELi32ELi8ELi1ELin1ELb0ELc84ELc76EKPKfKPfEviT_PT9_S5_lS7_S5_lPT10_S5_li,@function
_ZL37rocblas_syrkx_herkx_restricted_kernelIifLi16ELi32ELi8ELi1ELin1ELb0ELc84ELc76EKPKfKPfEviT_PT9_S5_lS7_S5_lPT10_S5_li: ; @_ZL37rocblas_syrkx_herkx_restricted_kernelIifLi16ELi32ELi8ELi1ELin1ELb0ELc84ELc76EKPKfKPfEviT_PT9_S5_lS7_S5_lPT10_S5_li
; %bb.0:
	s_clause 0x1
	s_load_b64 s[2:3], s[0:1], 0x38
	s_load_b64 s[4:5], s[0:1], 0x0
	s_mov_b32 s6, s15
	s_mov_b32 s7, 0
	v_dual_mov_b32 v9, 0 :: v_dual_and_b32 v6, 0x3ff, v0
	s_lshl_b64 s[8:9], s[6:7], 3
	v_bfe_u32 v7, v0, 10, 10
	v_dual_mov_b32 v8, 0 :: v_dual_mov_b32 v1, 0
	v_mov_b32_e32 v0, 0
	s_waitcnt lgkmcnt(0)
	s_add_u32 s2, s2, s8
	s_addc_u32 s3, s3, s9
	s_lshl_b32 s6, s13, 5
	s_load_b64 s[2:3], s[2:3], 0x0
	s_lshl_b32 s10, s14, 5
	s_cmp_lt_i32 s5, 1
	s_cbranch_scc1 .LBB470_3
; %bb.1:
	s_clause 0x3
	s_load_b64 s[12:13], s[0:1], 0x8
	s_load_b64 s[14:15], s[0:1], 0x20
	s_load_b32 s11, s[0:1], 0x10
	s_load_b32 s16, s[0:1], 0x28
	v_lshl_add_u32 v2, v7, 4, v6
	v_dual_mov_b32 v1, 0 :: v_dual_and_b32 v0, 7, v6
	v_lshlrev_b32_e32 v10, 2, v6
	s_delay_alu instid0(VALU_DEP_3) | instskip(SKIP_3) | instid1(VALU_DEP_4)
	v_and_b32_e32 v9, 31, v2
	v_lshrrev_b32_e32 v8, 3, v2
	v_lshrrev_b32_e32 v2, 5, v2
	v_mov_b32_e32 v3, v1
	v_add_nc_u32_e32 v11, s6, v9
	s_delay_alu instid0(VALU_DEP_4)
	v_add_nc_u32_e32 v12, s10, v8
	s_waitcnt lgkmcnt(0)
	s_add_u32 s12, s12, s8
	s_addc_u32 s13, s13, s9
	s_add_u32 s8, s14, s8
	s_load_b64 s[12:13], s[12:13], 0x0
	s_addc_u32 s9, s15, s9
	v_mad_i64_i32 v[4:5], null, s11, v11, v[2:3]
	s_load_b64 s[8:9], s[8:9], 0x0
	v_lshlrev_b32_e32 v3, 2, v0
	v_mad_i64_i32 v[14:15], null, s16, v12, v[0:1]
	v_dual_mov_b32 v0, v1 :: v_dual_lshlrev_b32 v9, 2, v9
	s_delay_alu instid0(VALU_DEP_3)
	v_lshl_or_b32 v13, v8, 5, v3
	v_lshlrev_b64 v[3:4], 2, v[4:5]
	v_lshl_add_u32 v11, v7, 5, 0x400
	v_mov_b32_e32 v8, v1
	v_lshlrev_b64 v[14:15], 2, v[14:15]
	v_lshl_or_b32 v12, v2, 7, v9
	v_mov_b32_e32 v9, v1
	v_add_nc_u32_e32 v13, 0x400, v13
	s_waitcnt lgkmcnt(0)
	v_add_co_u32 v2, vcc_lo, s12, v3
	v_add_co_ci_u32_e32 v3, vcc_lo, s13, v4, vcc_lo
	v_add_co_u32 v4, vcc_lo, s8, v14
	v_add_co_ci_u32_e32 v5, vcc_lo, s9, v15, vcc_lo
.LBB470_2:                              ; =>This Inner Loop Header: Depth=1
	global_load_b32 v14, v[2:3], off
	global_load_b32 v15, v[4:5], off
	v_add_co_u32 v2, vcc_lo, v2, 32
	v_add_co_ci_u32_e32 v3, vcc_lo, 0, v3, vcc_lo
	v_add_co_u32 v4, vcc_lo, v4, 32
	v_add_co_ci_u32_e32 v5, vcc_lo, 0, v5, vcc_lo
	s_add_i32 s7, s7, 8
	s_waitcnt vmcnt(1)
	ds_store_b32 v12, v14
	s_waitcnt vmcnt(0)
	ds_store_b32 v13, v15
	s_waitcnt lgkmcnt(0)
	s_barrier
	buffer_gl0_inv
	ds_load_2addr_b32 v[30:31], v10 offset1:16
	ds_load_b128 v[14:17], v11
	ds_load_b128 v[18:21], v11 offset:512
	ds_load_2addr_b32 v[32:33], v10 offset0:32 offset1:48
	ds_load_2addr_b32 v[34:35], v10 offset0:64 offset1:80
	ds_load_b128 v[22:25], v11 offset:16
	ds_load_2addr_b32 v[36:37], v10 offset0:96 offset1:112
	ds_load_2addr_b32 v[38:39], v10 offset0:128 offset1:144
	;; [unrolled: 3-line block ×3, first 2 shown]
	ds_load_2addr_b32 v[44:45], v10 offset0:224 offset1:240
	s_cmp_ge_i32 s7, s5
	s_waitcnt lgkmcnt(0)
	s_barrier
	buffer_gl0_inv
	v_fmac_f32_e32 v8, v31, v14
	v_fmac_f32_e32 v9, v30, v14
	;; [unrolled: 1-line block ×4, first 2 shown]
	s_delay_alu instid0(VALU_DEP_4) | instskip(NEXT) | instid1(VALU_DEP_4)
	v_fmac_f32_e32 v8, v33, v15
	v_fmac_f32_e32 v9, v32, v15
	s_delay_alu instid0(VALU_DEP_4) | instskip(NEXT) | instid1(VALU_DEP_4)
	v_fmac_f32_e32 v1, v33, v19
	v_fmac_f32_e32 v0, v32, v19
	;; [unrolled: 3-line block ×14, first 2 shown]
	s_cbranch_scc0 .LBB470_2
.LBB470_3:
	s_load_b32 s5, s[0:1], 0x40
	v_add_nc_u32_e32 v7, s10, v7
	v_add_nc_u32_e32 v2, s6, v6
	s_delay_alu instid0(VALU_DEP_1) | instskip(SKIP_1) | instid1(VALU_DEP_2)
	v_cmp_le_i32_e64 s0, v7, v2
	v_cmp_gt_i32_e32 vcc_lo, s4, v2
	s_and_b32 s0, s0, vcc_lo
	s_waitcnt lgkmcnt(0)
	v_mad_i64_i32 v[3:4], null, v7, s5, 0
	s_delay_alu instid0(VALU_DEP_1) | instskip(NEXT) | instid1(VALU_DEP_1)
	v_lshlrev_b64 v[3:4], 2, v[3:4]
	v_add_co_u32 v6, s1, s2, v3
	s_delay_alu instid0(VALU_DEP_1)
	v_add_co_ci_u32_e64 v10, s1, s3, v4, s1
	s_and_saveexec_b32 s1, s0
	s_cbranch_execz .LBB470_5
; %bb.4:
	v_ashrrev_i32_e32 v3, 31, v2
	s_delay_alu instid0(VALU_DEP_1) | instskip(NEXT) | instid1(VALU_DEP_1)
	v_lshlrev_b64 v[3:4], 2, v[2:3]
	v_add_co_u32 v3, s0, v6, v3
	s_delay_alu instid0(VALU_DEP_1)
	v_add_co_ci_u32_e64 v4, s0, v10, v4, s0
	global_load_b32 v5, v[3:4], off
	s_waitcnt vmcnt(0)
	v_sub_f32_e32 v5, v9, v5
	global_store_b32 v[3:4], v5, off
.LBB470_5:
	s_or_b32 exec_lo, exec_lo, s1
	v_add_nc_u32_e32 v4, 16, v2
	s_delay_alu instid0(VALU_DEP_1) | instskip(SKIP_1) | instid1(VALU_DEP_1)
	v_cmp_le_i32_e64 s1, v7, v4
	v_cmp_gt_i32_e64 s0, s4, v4
	s_and_b32 s1, s1, s0
	s_delay_alu instid0(SALU_CYCLE_1)
	s_and_saveexec_b32 s4, s1
	s_cbranch_execz .LBB470_7
; %bb.6:
	v_ashrrev_i32_e32 v5, 31, v4
	s_delay_alu instid0(VALU_DEP_1) | instskip(NEXT) | instid1(VALU_DEP_1)
	v_lshlrev_b64 v[11:12], 2, v[4:5]
	v_add_co_u32 v5, s1, v6, v11
	s_delay_alu instid0(VALU_DEP_1)
	v_add_co_ci_u32_e64 v6, s1, v10, v12, s1
	global_load_b32 v3, v[5:6], off
	s_waitcnt vmcnt(0)
	v_sub_f32_e32 v3, v8, v3
	global_store_b32 v[5:6], v3, off
.LBB470_7:
	s_or_b32 exec_lo, exec_lo, s4
	v_add_nc_u32_e32 v5, 16, v7
	s_delay_alu instid0(VALU_DEP_1) | instskip(SKIP_1) | instid1(VALU_DEP_2)
	v_mad_i64_i32 v[6:7], null, v5, s5, 0
	v_cmp_le_i32_e64 s1, v5, v2
	v_lshlrev_b64 v[6:7], 2, v[6:7]
	s_delay_alu instid0(VALU_DEP_1) | instskip(NEXT) | instid1(VALU_DEP_1)
	v_add_co_u32 v6, s2, s2, v6
	v_add_co_ci_u32_e64 v7, s2, s3, v7, s2
	s_delay_alu instid0(VALU_DEP_4) | instskip(NEXT) | instid1(SALU_CYCLE_1)
	s_and_b32 s2, s1, vcc_lo
	s_and_saveexec_b32 s1, s2
	s_cbranch_execz .LBB470_9
; %bb.8:
	v_ashrrev_i32_e32 v3, 31, v2
	s_delay_alu instid0(VALU_DEP_1) | instskip(NEXT) | instid1(VALU_DEP_1)
	v_lshlrev_b64 v[2:3], 2, v[2:3]
	v_add_co_u32 v2, vcc_lo, v6, v2
	s_delay_alu instid0(VALU_DEP_2)
	v_add_co_ci_u32_e32 v3, vcc_lo, v7, v3, vcc_lo
	global_load_b32 v8, v[2:3], off
	s_waitcnt vmcnt(0)
	v_sub_f32_e32 v0, v0, v8
	global_store_b32 v[2:3], v0, off
.LBB470_9:
	s_or_b32 exec_lo, exec_lo, s1
	v_cmp_le_i32_e32 vcc_lo, v5, v4
	s_and_b32 s0, vcc_lo, s0
	s_delay_alu instid0(SALU_CYCLE_1)
	s_and_saveexec_b32 s1, s0
	s_cbranch_execz .LBB470_11
; %bb.10:
	v_ashrrev_i32_e32 v5, 31, v4
	s_delay_alu instid0(VALU_DEP_1) | instskip(NEXT) | instid1(VALU_DEP_1)
	v_lshlrev_b64 v[2:3], 2, v[4:5]
	v_add_co_u32 v2, vcc_lo, v6, v2
	s_delay_alu instid0(VALU_DEP_2)
	v_add_co_ci_u32_e32 v3, vcc_lo, v7, v3, vcc_lo
	global_load_b32 v0, v[2:3], off
	s_waitcnt vmcnt(0)
	v_sub_f32_e32 v0, v1, v0
	global_store_b32 v[2:3], v0, off
.LBB470_11:
	s_nop 0
	s_sendmsg sendmsg(MSG_DEALLOC_VGPRS)
	s_endpgm
	.section	.rodata,"a",@progbits
	.p2align	6, 0x0
	.amdhsa_kernel _ZL37rocblas_syrkx_herkx_restricted_kernelIifLi16ELi32ELi8ELi1ELin1ELb0ELc84ELc76EKPKfKPfEviT_PT9_S5_lS7_S5_lPT10_S5_li
		.amdhsa_group_segment_fixed_size 2048
		.amdhsa_private_segment_fixed_size 0
		.amdhsa_kernarg_size 84
		.amdhsa_user_sgpr_count 13
		.amdhsa_user_sgpr_dispatch_ptr 0
		.amdhsa_user_sgpr_queue_ptr 0
		.amdhsa_user_sgpr_kernarg_segment_ptr 1
		.amdhsa_user_sgpr_dispatch_id 0
		.amdhsa_user_sgpr_private_segment_size 0
		.amdhsa_wavefront_size32 1
		.amdhsa_uses_dynamic_stack 0
		.amdhsa_enable_private_segment 0
		.amdhsa_system_sgpr_workgroup_id_x 1
		.amdhsa_system_sgpr_workgroup_id_y 1
		.amdhsa_system_sgpr_workgroup_id_z 1
		.amdhsa_system_sgpr_workgroup_info 0
		.amdhsa_system_vgpr_workitem_id 1
		.amdhsa_next_free_vgpr 46
		.amdhsa_next_free_sgpr 17
		.amdhsa_reserve_vcc 1
		.amdhsa_float_round_mode_32 0
		.amdhsa_float_round_mode_16_64 0
		.amdhsa_float_denorm_mode_32 3
		.amdhsa_float_denorm_mode_16_64 3
		.amdhsa_dx10_clamp 1
		.amdhsa_ieee_mode 1
		.amdhsa_fp16_overflow 0
		.amdhsa_workgroup_processor_mode 1
		.amdhsa_memory_ordered 1
		.amdhsa_forward_progress 0
		.amdhsa_shared_vgpr_count 0
		.amdhsa_exception_fp_ieee_invalid_op 0
		.amdhsa_exception_fp_denorm_src 0
		.amdhsa_exception_fp_ieee_div_zero 0
		.amdhsa_exception_fp_ieee_overflow 0
		.amdhsa_exception_fp_ieee_underflow 0
		.amdhsa_exception_fp_ieee_inexact 0
		.amdhsa_exception_int_div_zero 0
	.end_amdhsa_kernel
	.section	.text._ZL37rocblas_syrkx_herkx_restricted_kernelIifLi16ELi32ELi8ELi1ELin1ELb0ELc84ELc76EKPKfKPfEviT_PT9_S5_lS7_S5_lPT10_S5_li,"axG",@progbits,_ZL37rocblas_syrkx_herkx_restricted_kernelIifLi16ELi32ELi8ELi1ELin1ELb0ELc84ELc76EKPKfKPfEviT_PT9_S5_lS7_S5_lPT10_S5_li,comdat
.Lfunc_end470:
	.size	_ZL37rocblas_syrkx_herkx_restricted_kernelIifLi16ELi32ELi8ELi1ELin1ELb0ELc84ELc76EKPKfKPfEviT_PT9_S5_lS7_S5_lPT10_S5_li, .Lfunc_end470-_ZL37rocblas_syrkx_herkx_restricted_kernelIifLi16ELi32ELi8ELi1ELin1ELb0ELc84ELc76EKPKfKPfEviT_PT9_S5_lS7_S5_lPT10_S5_li
                                        ; -- End function
	.section	.AMDGPU.csdata,"",@progbits
; Kernel info:
; codeLenInByte = 1204
; NumSgprs: 19
; NumVgprs: 46
; ScratchSize: 0
; MemoryBound: 0
; FloatMode: 240
; IeeeMode: 1
; LDSByteSize: 2048 bytes/workgroup (compile time only)
; SGPRBlocks: 2
; VGPRBlocks: 5
; NumSGPRsForWavesPerEU: 19
; NumVGPRsForWavesPerEU: 46
; Occupancy: 16
; WaveLimiterHint : 1
; COMPUTE_PGM_RSRC2:SCRATCH_EN: 0
; COMPUTE_PGM_RSRC2:USER_SGPR: 13
; COMPUTE_PGM_RSRC2:TRAP_HANDLER: 0
; COMPUTE_PGM_RSRC2:TGID_X_EN: 1
; COMPUTE_PGM_RSRC2:TGID_Y_EN: 1
; COMPUTE_PGM_RSRC2:TGID_Z_EN: 1
; COMPUTE_PGM_RSRC2:TIDIG_COMP_CNT: 1
	.section	.text._ZL37rocblas_syrkx_herkx_restricted_kernelIifLi16ELi32ELi8ELi1ELin1ELb0ELc67ELc76EKPKfKPfEviT_PT9_S5_lS7_S5_lPT10_S5_li,"axG",@progbits,_ZL37rocblas_syrkx_herkx_restricted_kernelIifLi16ELi32ELi8ELi1ELin1ELb0ELc67ELc76EKPKfKPfEviT_PT9_S5_lS7_S5_lPT10_S5_li,comdat
	.globl	_ZL37rocblas_syrkx_herkx_restricted_kernelIifLi16ELi32ELi8ELi1ELin1ELb0ELc67ELc76EKPKfKPfEviT_PT9_S5_lS7_S5_lPT10_S5_li ; -- Begin function _ZL37rocblas_syrkx_herkx_restricted_kernelIifLi16ELi32ELi8ELi1ELin1ELb0ELc67ELc76EKPKfKPfEviT_PT9_S5_lS7_S5_lPT10_S5_li
	.p2align	8
	.type	_ZL37rocblas_syrkx_herkx_restricted_kernelIifLi16ELi32ELi8ELi1ELin1ELb0ELc67ELc76EKPKfKPfEviT_PT9_S5_lS7_S5_lPT10_S5_li,@function
_ZL37rocblas_syrkx_herkx_restricted_kernelIifLi16ELi32ELi8ELi1ELin1ELb0ELc67ELc76EKPKfKPfEviT_PT9_S5_lS7_S5_lPT10_S5_li: ; @_ZL37rocblas_syrkx_herkx_restricted_kernelIifLi16ELi32ELi8ELi1ELin1ELb0ELc67ELc76EKPKfKPfEviT_PT9_S5_lS7_S5_lPT10_S5_li
; %bb.0:
	s_clause 0x1
	s_load_b64 s[2:3], s[0:1], 0x38
	s_load_b64 s[4:5], s[0:1], 0x0
	s_mov_b32 s6, s15
	s_mov_b32 s7, 0
	v_dual_mov_b32 v9, 0 :: v_dual_and_b32 v6, 0x3ff, v0
	s_lshl_b64 s[8:9], s[6:7], 3
	v_bfe_u32 v7, v0, 10, 10
	v_dual_mov_b32 v8, 0 :: v_dual_mov_b32 v1, 0
	v_mov_b32_e32 v0, 0
	s_waitcnt lgkmcnt(0)
	s_add_u32 s2, s2, s8
	s_addc_u32 s3, s3, s9
	s_lshl_b32 s6, s13, 5
	s_load_b64 s[2:3], s[2:3], 0x0
	s_lshl_b32 s10, s14, 5
	s_cmp_lt_i32 s5, 1
	s_cbranch_scc1 .LBB471_3
; %bb.1:
	s_clause 0x3
	s_load_b64 s[12:13], s[0:1], 0x8
	s_load_b64 s[14:15], s[0:1], 0x20
	s_load_b32 s11, s[0:1], 0x10
	s_load_b32 s16, s[0:1], 0x28
	v_lshl_add_u32 v2, v7, 4, v6
	v_dual_mov_b32 v1, 0 :: v_dual_and_b32 v0, 7, v6
	v_lshlrev_b32_e32 v10, 2, v6
	s_delay_alu instid0(VALU_DEP_3) | instskip(SKIP_3) | instid1(VALU_DEP_4)
	v_and_b32_e32 v9, 31, v2
	v_lshrrev_b32_e32 v8, 3, v2
	v_lshrrev_b32_e32 v2, 5, v2
	v_mov_b32_e32 v3, v1
	v_add_nc_u32_e32 v11, s6, v9
	s_delay_alu instid0(VALU_DEP_4)
	v_add_nc_u32_e32 v12, s10, v8
	s_waitcnt lgkmcnt(0)
	s_add_u32 s12, s12, s8
	s_addc_u32 s13, s13, s9
	s_add_u32 s8, s14, s8
	s_load_b64 s[12:13], s[12:13], 0x0
	s_addc_u32 s9, s15, s9
	v_mad_i64_i32 v[4:5], null, s11, v11, v[2:3]
	s_load_b64 s[8:9], s[8:9], 0x0
	v_lshlrev_b32_e32 v3, 2, v0
	v_mad_i64_i32 v[14:15], null, s16, v12, v[0:1]
	v_dual_mov_b32 v0, v1 :: v_dual_lshlrev_b32 v9, 2, v9
	s_delay_alu instid0(VALU_DEP_3)
	v_lshl_or_b32 v13, v8, 5, v3
	v_lshlrev_b64 v[3:4], 2, v[4:5]
	v_lshl_add_u32 v11, v7, 5, 0x400
	v_mov_b32_e32 v8, v1
	v_lshlrev_b64 v[14:15], 2, v[14:15]
	v_lshl_or_b32 v12, v2, 7, v9
	v_mov_b32_e32 v9, v1
	v_add_nc_u32_e32 v13, 0x400, v13
	s_waitcnt lgkmcnt(0)
	v_add_co_u32 v2, vcc_lo, s12, v3
	v_add_co_ci_u32_e32 v3, vcc_lo, s13, v4, vcc_lo
	v_add_co_u32 v4, vcc_lo, s8, v14
	v_add_co_ci_u32_e32 v5, vcc_lo, s9, v15, vcc_lo
.LBB471_2:                              ; =>This Inner Loop Header: Depth=1
	global_load_b32 v14, v[2:3], off
	global_load_b32 v15, v[4:5], off
	v_add_co_u32 v2, vcc_lo, v2, 32
	v_add_co_ci_u32_e32 v3, vcc_lo, 0, v3, vcc_lo
	v_add_co_u32 v4, vcc_lo, v4, 32
	v_add_co_ci_u32_e32 v5, vcc_lo, 0, v5, vcc_lo
	s_add_i32 s7, s7, 8
	s_waitcnt vmcnt(1)
	ds_store_b32 v12, v14
	s_waitcnt vmcnt(0)
	ds_store_b32 v13, v15
	s_waitcnt lgkmcnt(0)
	s_barrier
	buffer_gl0_inv
	ds_load_2addr_b32 v[30:31], v10 offset1:16
	ds_load_b128 v[14:17], v11
	ds_load_b128 v[18:21], v11 offset:512
	ds_load_2addr_b32 v[32:33], v10 offset0:32 offset1:48
	ds_load_2addr_b32 v[34:35], v10 offset0:64 offset1:80
	ds_load_b128 v[22:25], v11 offset:16
	ds_load_2addr_b32 v[36:37], v10 offset0:96 offset1:112
	ds_load_2addr_b32 v[38:39], v10 offset0:128 offset1:144
	;; [unrolled: 3-line block ×3, first 2 shown]
	ds_load_2addr_b32 v[44:45], v10 offset0:224 offset1:240
	s_cmp_ge_i32 s7, s5
	s_waitcnt lgkmcnt(0)
	s_barrier
	buffer_gl0_inv
	v_fmac_f32_e32 v8, v31, v14
	v_fmac_f32_e32 v9, v30, v14
	;; [unrolled: 1-line block ×4, first 2 shown]
	s_delay_alu instid0(VALU_DEP_4) | instskip(NEXT) | instid1(VALU_DEP_4)
	v_fmac_f32_e32 v8, v33, v15
	v_fmac_f32_e32 v9, v32, v15
	s_delay_alu instid0(VALU_DEP_4) | instskip(NEXT) | instid1(VALU_DEP_4)
	v_fmac_f32_e32 v1, v33, v19
	v_fmac_f32_e32 v0, v32, v19
	;; [unrolled: 3-line block ×14, first 2 shown]
	s_cbranch_scc0 .LBB471_2
.LBB471_3:
	s_load_b32 s5, s[0:1], 0x40
	v_add_nc_u32_e32 v7, s10, v7
	v_add_nc_u32_e32 v2, s6, v6
	s_delay_alu instid0(VALU_DEP_1) | instskip(SKIP_1) | instid1(VALU_DEP_2)
	v_cmp_le_i32_e64 s0, v7, v2
	v_cmp_gt_i32_e32 vcc_lo, s4, v2
	s_and_b32 s0, s0, vcc_lo
	s_waitcnt lgkmcnt(0)
	v_mad_i64_i32 v[3:4], null, v7, s5, 0
	s_delay_alu instid0(VALU_DEP_1) | instskip(NEXT) | instid1(VALU_DEP_1)
	v_lshlrev_b64 v[3:4], 2, v[3:4]
	v_add_co_u32 v6, s1, s2, v3
	s_delay_alu instid0(VALU_DEP_1)
	v_add_co_ci_u32_e64 v10, s1, s3, v4, s1
	s_and_saveexec_b32 s1, s0
	s_cbranch_execz .LBB471_5
; %bb.4:
	v_ashrrev_i32_e32 v3, 31, v2
	s_delay_alu instid0(VALU_DEP_1) | instskip(NEXT) | instid1(VALU_DEP_1)
	v_lshlrev_b64 v[3:4], 2, v[2:3]
	v_add_co_u32 v3, s0, v6, v3
	s_delay_alu instid0(VALU_DEP_1)
	v_add_co_ci_u32_e64 v4, s0, v10, v4, s0
	global_load_b32 v5, v[3:4], off
	s_waitcnt vmcnt(0)
	v_sub_f32_e32 v5, v9, v5
	global_store_b32 v[3:4], v5, off
.LBB471_5:
	s_or_b32 exec_lo, exec_lo, s1
	v_add_nc_u32_e32 v4, 16, v2
	s_delay_alu instid0(VALU_DEP_1) | instskip(SKIP_1) | instid1(VALU_DEP_1)
	v_cmp_le_i32_e64 s1, v7, v4
	v_cmp_gt_i32_e64 s0, s4, v4
	s_and_b32 s1, s1, s0
	s_delay_alu instid0(SALU_CYCLE_1)
	s_and_saveexec_b32 s4, s1
	s_cbranch_execz .LBB471_7
; %bb.6:
	v_ashrrev_i32_e32 v5, 31, v4
	s_delay_alu instid0(VALU_DEP_1) | instskip(NEXT) | instid1(VALU_DEP_1)
	v_lshlrev_b64 v[11:12], 2, v[4:5]
	v_add_co_u32 v5, s1, v6, v11
	s_delay_alu instid0(VALU_DEP_1)
	v_add_co_ci_u32_e64 v6, s1, v10, v12, s1
	global_load_b32 v3, v[5:6], off
	s_waitcnt vmcnt(0)
	v_sub_f32_e32 v3, v8, v3
	global_store_b32 v[5:6], v3, off
.LBB471_7:
	s_or_b32 exec_lo, exec_lo, s4
	v_add_nc_u32_e32 v5, 16, v7
	s_delay_alu instid0(VALU_DEP_1) | instskip(SKIP_1) | instid1(VALU_DEP_2)
	v_mad_i64_i32 v[6:7], null, v5, s5, 0
	v_cmp_le_i32_e64 s1, v5, v2
	v_lshlrev_b64 v[6:7], 2, v[6:7]
	s_delay_alu instid0(VALU_DEP_1) | instskip(NEXT) | instid1(VALU_DEP_1)
	v_add_co_u32 v6, s2, s2, v6
	v_add_co_ci_u32_e64 v7, s2, s3, v7, s2
	s_delay_alu instid0(VALU_DEP_4) | instskip(NEXT) | instid1(SALU_CYCLE_1)
	s_and_b32 s2, s1, vcc_lo
	s_and_saveexec_b32 s1, s2
	s_cbranch_execz .LBB471_9
; %bb.8:
	v_ashrrev_i32_e32 v3, 31, v2
	s_delay_alu instid0(VALU_DEP_1) | instskip(NEXT) | instid1(VALU_DEP_1)
	v_lshlrev_b64 v[2:3], 2, v[2:3]
	v_add_co_u32 v2, vcc_lo, v6, v2
	s_delay_alu instid0(VALU_DEP_2)
	v_add_co_ci_u32_e32 v3, vcc_lo, v7, v3, vcc_lo
	global_load_b32 v8, v[2:3], off
	s_waitcnt vmcnt(0)
	v_sub_f32_e32 v0, v0, v8
	global_store_b32 v[2:3], v0, off
.LBB471_9:
	s_or_b32 exec_lo, exec_lo, s1
	v_cmp_le_i32_e32 vcc_lo, v5, v4
	s_and_b32 s0, vcc_lo, s0
	s_delay_alu instid0(SALU_CYCLE_1)
	s_and_saveexec_b32 s1, s0
	s_cbranch_execz .LBB471_11
; %bb.10:
	v_ashrrev_i32_e32 v5, 31, v4
	s_delay_alu instid0(VALU_DEP_1) | instskip(NEXT) | instid1(VALU_DEP_1)
	v_lshlrev_b64 v[2:3], 2, v[4:5]
	v_add_co_u32 v2, vcc_lo, v6, v2
	s_delay_alu instid0(VALU_DEP_2)
	v_add_co_ci_u32_e32 v3, vcc_lo, v7, v3, vcc_lo
	global_load_b32 v0, v[2:3], off
	s_waitcnt vmcnt(0)
	v_sub_f32_e32 v0, v1, v0
	global_store_b32 v[2:3], v0, off
.LBB471_11:
	s_nop 0
	s_sendmsg sendmsg(MSG_DEALLOC_VGPRS)
	s_endpgm
	.section	.rodata,"a",@progbits
	.p2align	6, 0x0
	.amdhsa_kernel _ZL37rocblas_syrkx_herkx_restricted_kernelIifLi16ELi32ELi8ELi1ELin1ELb0ELc67ELc76EKPKfKPfEviT_PT9_S5_lS7_S5_lPT10_S5_li
		.amdhsa_group_segment_fixed_size 2048
		.amdhsa_private_segment_fixed_size 0
		.amdhsa_kernarg_size 84
		.amdhsa_user_sgpr_count 13
		.amdhsa_user_sgpr_dispatch_ptr 0
		.amdhsa_user_sgpr_queue_ptr 0
		.amdhsa_user_sgpr_kernarg_segment_ptr 1
		.amdhsa_user_sgpr_dispatch_id 0
		.amdhsa_user_sgpr_private_segment_size 0
		.amdhsa_wavefront_size32 1
		.amdhsa_uses_dynamic_stack 0
		.amdhsa_enable_private_segment 0
		.amdhsa_system_sgpr_workgroup_id_x 1
		.amdhsa_system_sgpr_workgroup_id_y 1
		.amdhsa_system_sgpr_workgroup_id_z 1
		.amdhsa_system_sgpr_workgroup_info 0
		.amdhsa_system_vgpr_workitem_id 1
		.amdhsa_next_free_vgpr 46
		.amdhsa_next_free_sgpr 17
		.amdhsa_reserve_vcc 1
		.amdhsa_float_round_mode_32 0
		.amdhsa_float_round_mode_16_64 0
		.amdhsa_float_denorm_mode_32 3
		.amdhsa_float_denorm_mode_16_64 3
		.amdhsa_dx10_clamp 1
		.amdhsa_ieee_mode 1
		.amdhsa_fp16_overflow 0
		.amdhsa_workgroup_processor_mode 1
		.amdhsa_memory_ordered 1
		.amdhsa_forward_progress 0
		.amdhsa_shared_vgpr_count 0
		.amdhsa_exception_fp_ieee_invalid_op 0
		.amdhsa_exception_fp_denorm_src 0
		.amdhsa_exception_fp_ieee_div_zero 0
		.amdhsa_exception_fp_ieee_overflow 0
		.amdhsa_exception_fp_ieee_underflow 0
		.amdhsa_exception_fp_ieee_inexact 0
		.amdhsa_exception_int_div_zero 0
	.end_amdhsa_kernel
	.section	.text._ZL37rocblas_syrkx_herkx_restricted_kernelIifLi16ELi32ELi8ELi1ELin1ELb0ELc67ELc76EKPKfKPfEviT_PT9_S5_lS7_S5_lPT10_S5_li,"axG",@progbits,_ZL37rocblas_syrkx_herkx_restricted_kernelIifLi16ELi32ELi8ELi1ELin1ELb0ELc67ELc76EKPKfKPfEviT_PT9_S5_lS7_S5_lPT10_S5_li,comdat
.Lfunc_end471:
	.size	_ZL37rocblas_syrkx_herkx_restricted_kernelIifLi16ELi32ELi8ELi1ELin1ELb0ELc67ELc76EKPKfKPfEviT_PT9_S5_lS7_S5_lPT10_S5_li, .Lfunc_end471-_ZL37rocblas_syrkx_herkx_restricted_kernelIifLi16ELi32ELi8ELi1ELin1ELb0ELc67ELc76EKPKfKPfEviT_PT9_S5_lS7_S5_lPT10_S5_li
                                        ; -- End function
	.section	.AMDGPU.csdata,"",@progbits
; Kernel info:
; codeLenInByte = 1204
; NumSgprs: 19
; NumVgprs: 46
; ScratchSize: 0
; MemoryBound: 0
; FloatMode: 240
; IeeeMode: 1
; LDSByteSize: 2048 bytes/workgroup (compile time only)
; SGPRBlocks: 2
; VGPRBlocks: 5
; NumSGPRsForWavesPerEU: 19
; NumVGPRsForWavesPerEU: 46
; Occupancy: 16
; WaveLimiterHint : 1
; COMPUTE_PGM_RSRC2:SCRATCH_EN: 0
; COMPUTE_PGM_RSRC2:USER_SGPR: 13
; COMPUTE_PGM_RSRC2:TRAP_HANDLER: 0
; COMPUTE_PGM_RSRC2:TGID_X_EN: 1
; COMPUTE_PGM_RSRC2:TGID_Y_EN: 1
; COMPUTE_PGM_RSRC2:TGID_Z_EN: 1
; COMPUTE_PGM_RSRC2:TIDIG_COMP_CNT: 1
	.section	.text._ZL37rocblas_syrkx_herkx_restricted_kernelIifLi16ELi32ELi8ELi1ELin1ELb0ELc78ELc76EKPKfKPfEviT_PT9_S5_lS7_S5_lPT10_S5_li,"axG",@progbits,_ZL37rocblas_syrkx_herkx_restricted_kernelIifLi16ELi32ELi8ELi1ELin1ELb0ELc78ELc76EKPKfKPfEviT_PT9_S5_lS7_S5_lPT10_S5_li,comdat
	.globl	_ZL37rocblas_syrkx_herkx_restricted_kernelIifLi16ELi32ELi8ELi1ELin1ELb0ELc78ELc76EKPKfKPfEviT_PT9_S5_lS7_S5_lPT10_S5_li ; -- Begin function _ZL37rocblas_syrkx_herkx_restricted_kernelIifLi16ELi32ELi8ELi1ELin1ELb0ELc78ELc76EKPKfKPfEviT_PT9_S5_lS7_S5_lPT10_S5_li
	.p2align	8
	.type	_ZL37rocblas_syrkx_herkx_restricted_kernelIifLi16ELi32ELi8ELi1ELin1ELb0ELc78ELc76EKPKfKPfEviT_PT9_S5_lS7_S5_lPT10_S5_li,@function
_ZL37rocblas_syrkx_herkx_restricted_kernelIifLi16ELi32ELi8ELi1ELin1ELb0ELc78ELc76EKPKfKPfEviT_PT9_S5_lS7_S5_lPT10_S5_li: ; @_ZL37rocblas_syrkx_herkx_restricted_kernelIifLi16ELi32ELi8ELi1ELin1ELb0ELc78ELc76EKPKfKPfEviT_PT9_S5_lS7_S5_lPT10_S5_li
; %bb.0:
	s_clause 0x1
	s_load_b64 s[2:3], s[0:1], 0x38
	s_load_b64 s[4:5], s[0:1], 0x0
	s_mov_b32 s6, s15
	s_mov_b32 s7, 0
	v_dual_mov_b32 v8, 0 :: v_dual_and_b32 v5, 0x3ff, v0
	s_lshl_b64 s[8:9], s[6:7], 3
	v_bfe_u32 v6, v0, 10, 10
	v_dual_mov_b32 v9, 0 :: v_dual_mov_b32 v4, 0
	v_mov_b32_e32 v7, 0
	s_waitcnt lgkmcnt(0)
	s_add_u32 s2, s2, s8
	s_addc_u32 s3, s3, s9
	s_lshl_b32 s6, s13, 5
	s_load_b64 s[2:3], s[2:3], 0x0
	s_lshl_b32 s12, s14, 5
	s_cmp_lt_i32 s5, 1
	s_cbranch_scc1 .LBB472_3
; %bb.1:
	s_clause 0x3
	s_load_b32 s10, s[0:1], 0x10
	s_load_b32 s14, s[0:1], 0x28
	s_load_b64 s[16:17], s[0:1], 0x8
	s_load_b64 s[18:19], s[0:1], 0x20
	v_lshl_add_u32 v0, v6, 4, v5
	v_dual_mov_b32 v4, 0 :: v_dual_and_b32 v7, 7, v5
	v_lshlrev_b32_e32 v10, 2, v5
	v_lshl_add_u32 v11, v6, 5, 0x400
	s_delay_alu instid0(VALU_DEP_4) | instskip(SKIP_3) | instid1(VALU_DEP_4)
	v_and_b32_e32 v13, 31, v0
	v_lshrrev_b32_e32 v12, 3, v0
	v_lshrrev_b32_e32 v14, 5, v0
	v_lshlrev_b32_e32 v15, 2, v7
	v_add_nc_u32_e32 v2, s6, v13
	s_delay_alu instid0(VALU_DEP_4) | instskip(NEXT) | instid1(VALU_DEP_3)
	v_add_nc_u32_e32 v0, s12, v12
	v_lshl_or_b32 v15, v12, 5, v15
	s_delay_alu instid0(VALU_DEP_3)
	v_ashrrev_i32_e32 v3, 31, v2
	s_waitcnt lgkmcnt(0)
	s_ashr_i32 s11, s10, 31
	s_ashr_i32 s15, s14, 31
	s_add_u32 s16, s16, s8
	s_addc_u32 s17, s17, s9
	s_add_u32 s8, s18, s8
	s_load_b64 s[16:17], s[16:17], 0x0
	s_addc_u32 s9, s19, s9
	v_ashrrev_i32_e32 v1, 31, v0
	s_load_b64 s[8:9], s[8:9], 0x0
	v_mad_i64_i32 v[8:9], null, s10, v14, v[2:3]
	s_delay_alu instid0(VALU_DEP_2) | instskip(SKIP_1) | instid1(VALU_DEP_3)
	v_mad_i64_i32 v[2:3], null, s14, v7, v[0:1]
	v_mov_b32_e32 v7, 0
	v_lshlrev_b64 v[0:1], 2, v[8:9]
	v_dual_mov_b32 v9, 0 :: v_dual_mov_b32 v8, 0
	s_delay_alu instid0(VALU_DEP_4) | instskip(SKIP_2) | instid1(VALU_DEP_4)
	v_lshlrev_b64 v[2:3], 2, v[2:3]
	v_lshlrev_b32_e32 v13, 2, v13
	s_waitcnt lgkmcnt(0)
	v_add_co_u32 v0, vcc_lo, s16, v0
	v_add_co_ci_u32_e32 v1, vcc_lo, s17, v1, vcc_lo
	s_delay_alu instid0(VALU_DEP_4)
	v_add_co_u32 v2, vcc_lo, s8, v2
	v_lshl_or_b32 v12, v14, 7, v13
	v_add_nc_u32_e32 v13, 0x400, v15
	v_add_co_ci_u32_e32 v3, vcc_lo, s9, v3, vcc_lo
	s_lshl_b64 s[8:9], s[10:11], 5
	s_lshl_b64 s[10:11], s[14:15], 5
.LBB472_2:                              ; =>This Inner Loop Header: Depth=1
	global_load_b32 v14, v[0:1], off
	global_load_b32 v15, v[2:3], off
	v_add_co_u32 v0, vcc_lo, v0, s8
	v_add_co_ci_u32_e32 v1, vcc_lo, s9, v1, vcc_lo
	v_add_co_u32 v2, vcc_lo, v2, s10
	v_add_co_ci_u32_e32 v3, vcc_lo, s11, v3, vcc_lo
	s_add_i32 s7, s7, 8
	s_waitcnt vmcnt(1)
	ds_store_b32 v12, v14
	s_waitcnt vmcnt(0)
	ds_store_b32 v13, v15
	s_waitcnt lgkmcnt(0)
	s_barrier
	buffer_gl0_inv
	ds_load_2addr_b32 v[30:31], v10 offset1:16
	ds_load_b128 v[14:17], v11
	ds_load_b128 v[18:21], v11 offset:512
	ds_load_2addr_b32 v[32:33], v10 offset0:32 offset1:48
	ds_load_2addr_b32 v[34:35], v10 offset0:64 offset1:80
	ds_load_b128 v[22:25], v11 offset:16
	ds_load_2addr_b32 v[36:37], v10 offset0:96 offset1:112
	ds_load_2addr_b32 v[38:39], v10 offset0:128 offset1:144
	;; [unrolled: 3-line block ×3, first 2 shown]
	ds_load_2addr_b32 v[44:45], v10 offset0:224 offset1:240
	s_cmp_ge_i32 s7, s5
	s_waitcnt lgkmcnt(0)
	s_barrier
	buffer_gl0_inv
	v_fmac_f32_e32 v8, v31, v14
	v_fmac_f32_e32 v9, v30, v14
	;; [unrolled: 1-line block ×3, first 2 shown]
	s_delay_alu instid0(VALU_DEP_3) | instskip(NEXT) | instid1(VALU_DEP_3)
	v_dual_fmac_f32 v7, v30, v18 :: v_dual_fmac_f32 v8, v33, v15
	v_fmac_f32_e32 v9, v32, v15
	s_delay_alu instid0(VALU_DEP_3) | instskip(NEXT) | instid1(VALU_DEP_3)
	v_fmac_f32_e32 v4, v33, v19
	v_dual_fmac_f32 v7, v32, v19 :: v_dual_fmac_f32 v8, v35, v16
	s_delay_alu instid0(VALU_DEP_3) | instskip(NEXT) | instid1(VALU_DEP_3)
	v_fmac_f32_e32 v9, v34, v16
	v_fmac_f32_e32 v4, v35, v20
	s_delay_alu instid0(VALU_DEP_3) | instskip(NEXT) | instid1(VALU_DEP_3)
	v_dual_fmac_f32 v7, v34, v20 :: v_dual_fmac_f32 v8, v37, v17
	v_fmac_f32_e32 v9, v36, v17
	s_delay_alu instid0(VALU_DEP_3) | instskip(NEXT) | instid1(VALU_DEP_3)
	v_fmac_f32_e32 v4, v37, v21
	v_dual_fmac_f32 v7, v36, v21 :: v_dual_fmac_f32 v8, v39, v22
	s_delay_alu instid0(VALU_DEP_3) | instskip(NEXT) | instid1(VALU_DEP_3)
	v_fmac_f32_e32 v9, v38, v22
	v_fmac_f32_e32 v4, v39, v26
	;; [unrolled: 9-line block ×3, first 2 shown]
	s_delay_alu instid0(VALU_DEP_3) | instskip(NEXT) | instid1(VALU_DEP_3)
	v_dual_fmac_f32 v7, v42, v28 :: v_dual_fmac_f32 v8, v45, v25
	v_fmac_f32_e32 v9, v44, v25
	s_delay_alu instid0(VALU_DEP_3) | instskip(NEXT) | instid1(VALU_DEP_3)
	v_fmac_f32_e32 v4, v45, v29
	v_fmac_f32_e32 v7, v44, v29
	s_cbranch_scc0 .LBB472_2
.LBB472_3:
	s_load_b32 s5, s[0:1], 0x40
	v_add_nc_u32_e32 v6, s12, v6
	v_add_nc_u32_e32 v0, s6, v5
	s_delay_alu instid0(VALU_DEP_1) | instskip(SKIP_1) | instid1(VALU_DEP_2)
	v_cmp_le_i32_e64 s0, v6, v0
	v_cmp_gt_i32_e32 vcc_lo, s4, v0
	s_and_b32 s0, s0, vcc_lo
	s_waitcnt lgkmcnt(0)
	v_mad_i64_i32 v[1:2], null, v6, s5, 0
	s_delay_alu instid0(VALU_DEP_1) | instskip(NEXT) | instid1(VALU_DEP_1)
	v_lshlrev_b64 v[1:2], 2, v[1:2]
	v_add_co_u32 v5, s1, s2, v1
	s_delay_alu instid0(VALU_DEP_1)
	v_add_co_ci_u32_e64 v10, s1, s3, v2, s1
	s_and_saveexec_b32 s1, s0
	s_cbranch_execz .LBB472_5
; %bb.4:
	v_ashrrev_i32_e32 v1, 31, v0
	s_delay_alu instid0(VALU_DEP_1) | instskip(NEXT) | instid1(VALU_DEP_1)
	v_lshlrev_b64 v[1:2], 2, v[0:1]
	v_add_co_u32 v1, s0, v5, v1
	s_delay_alu instid0(VALU_DEP_1)
	v_add_co_ci_u32_e64 v2, s0, v10, v2, s0
	global_load_b32 v3, v[1:2], off
	s_waitcnt vmcnt(0)
	v_sub_f32_e32 v3, v9, v3
	global_store_b32 v[1:2], v3, off
.LBB472_5:
	s_or_b32 exec_lo, exec_lo, s1
	v_add_nc_u32_e32 v2, 16, v0
	s_delay_alu instid0(VALU_DEP_1) | instskip(SKIP_1) | instid1(VALU_DEP_1)
	v_cmp_le_i32_e64 s1, v6, v2
	v_cmp_gt_i32_e64 s0, s4, v2
	s_and_b32 s1, s1, s0
	s_delay_alu instid0(SALU_CYCLE_1)
	s_and_saveexec_b32 s4, s1
	s_cbranch_execz .LBB472_7
; %bb.6:
	v_ashrrev_i32_e32 v3, 31, v2
	s_delay_alu instid0(VALU_DEP_1) | instskip(NEXT) | instid1(VALU_DEP_1)
	v_lshlrev_b64 v[11:12], 2, v[2:3]
	v_add_co_u32 v9, s1, v5, v11
	s_delay_alu instid0(VALU_DEP_1)
	v_add_co_ci_u32_e64 v10, s1, v10, v12, s1
	global_load_b32 v1, v[9:10], off
	s_waitcnt vmcnt(0)
	v_sub_f32_e32 v1, v8, v1
	global_store_b32 v[9:10], v1, off
.LBB472_7:
	s_or_b32 exec_lo, exec_lo, s4
	v_add_nc_u32_e32 v3, 16, v6
	s_delay_alu instid0(VALU_DEP_1) | instskip(SKIP_1) | instid1(VALU_DEP_2)
	v_mad_i64_i32 v[5:6], null, v3, s5, 0
	v_cmp_le_i32_e64 s1, v3, v0
	v_lshlrev_b64 v[5:6], 2, v[5:6]
	s_delay_alu instid0(VALU_DEP_1) | instskip(NEXT) | instid1(VALU_DEP_1)
	v_add_co_u32 v5, s2, s2, v5
	v_add_co_ci_u32_e64 v6, s2, s3, v6, s2
	s_delay_alu instid0(VALU_DEP_4) | instskip(NEXT) | instid1(SALU_CYCLE_1)
	s_and_b32 s2, s1, vcc_lo
	s_and_saveexec_b32 s1, s2
	s_cbranch_execz .LBB472_9
; %bb.8:
	v_ashrrev_i32_e32 v1, 31, v0
	s_delay_alu instid0(VALU_DEP_1) | instskip(NEXT) | instid1(VALU_DEP_1)
	v_lshlrev_b64 v[0:1], 2, v[0:1]
	v_add_co_u32 v0, vcc_lo, v5, v0
	s_delay_alu instid0(VALU_DEP_2)
	v_add_co_ci_u32_e32 v1, vcc_lo, v6, v1, vcc_lo
	global_load_b32 v8, v[0:1], off
	s_waitcnt vmcnt(0)
	v_sub_f32_e32 v7, v7, v8
	global_store_b32 v[0:1], v7, off
.LBB472_9:
	s_or_b32 exec_lo, exec_lo, s1
	v_cmp_le_i32_e32 vcc_lo, v3, v2
	s_and_b32 s0, vcc_lo, s0
	s_delay_alu instid0(SALU_CYCLE_1)
	s_and_saveexec_b32 s1, s0
	s_cbranch_execz .LBB472_11
; %bb.10:
	v_ashrrev_i32_e32 v3, 31, v2
	s_delay_alu instid0(VALU_DEP_1) | instskip(NEXT) | instid1(VALU_DEP_1)
	v_lshlrev_b64 v[0:1], 2, v[2:3]
	v_add_co_u32 v0, vcc_lo, v5, v0
	s_delay_alu instid0(VALU_DEP_2)
	v_add_co_ci_u32_e32 v1, vcc_lo, v6, v1, vcc_lo
	global_load_b32 v2, v[0:1], off
	s_waitcnt vmcnt(0)
	v_sub_f32_e32 v2, v4, v2
	global_store_b32 v[0:1], v2, off
.LBB472_11:
	s_nop 0
	s_sendmsg sendmsg(MSG_DEALLOC_VGPRS)
	s_endpgm
	.section	.rodata,"a",@progbits
	.p2align	6, 0x0
	.amdhsa_kernel _ZL37rocblas_syrkx_herkx_restricted_kernelIifLi16ELi32ELi8ELi1ELin1ELb0ELc78ELc76EKPKfKPfEviT_PT9_S5_lS7_S5_lPT10_S5_li
		.amdhsa_group_segment_fixed_size 2048
		.amdhsa_private_segment_fixed_size 0
		.amdhsa_kernarg_size 84
		.amdhsa_user_sgpr_count 13
		.amdhsa_user_sgpr_dispatch_ptr 0
		.amdhsa_user_sgpr_queue_ptr 0
		.amdhsa_user_sgpr_kernarg_segment_ptr 1
		.amdhsa_user_sgpr_dispatch_id 0
		.amdhsa_user_sgpr_private_segment_size 0
		.amdhsa_wavefront_size32 1
		.amdhsa_uses_dynamic_stack 0
		.amdhsa_enable_private_segment 0
		.amdhsa_system_sgpr_workgroup_id_x 1
		.amdhsa_system_sgpr_workgroup_id_y 1
		.amdhsa_system_sgpr_workgroup_id_z 1
		.amdhsa_system_sgpr_workgroup_info 0
		.amdhsa_system_vgpr_workitem_id 1
		.amdhsa_next_free_vgpr 46
		.amdhsa_next_free_sgpr 20
		.amdhsa_reserve_vcc 1
		.amdhsa_float_round_mode_32 0
		.amdhsa_float_round_mode_16_64 0
		.amdhsa_float_denorm_mode_32 3
		.amdhsa_float_denorm_mode_16_64 3
		.amdhsa_dx10_clamp 1
		.amdhsa_ieee_mode 1
		.amdhsa_fp16_overflow 0
		.amdhsa_workgroup_processor_mode 1
		.amdhsa_memory_ordered 1
		.amdhsa_forward_progress 0
		.amdhsa_shared_vgpr_count 0
		.amdhsa_exception_fp_ieee_invalid_op 0
		.amdhsa_exception_fp_denorm_src 0
		.amdhsa_exception_fp_ieee_div_zero 0
		.amdhsa_exception_fp_ieee_overflow 0
		.amdhsa_exception_fp_ieee_underflow 0
		.amdhsa_exception_fp_ieee_inexact 0
		.amdhsa_exception_int_div_zero 0
	.end_amdhsa_kernel
	.section	.text._ZL37rocblas_syrkx_herkx_restricted_kernelIifLi16ELi32ELi8ELi1ELin1ELb0ELc78ELc76EKPKfKPfEviT_PT9_S5_lS7_S5_lPT10_S5_li,"axG",@progbits,_ZL37rocblas_syrkx_herkx_restricted_kernelIifLi16ELi32ELi8ELi1ELin1ELb0ELc78ELc76EKPKfKPfEviT_PT9_S5_lS7_S5_lPT10_S5_li,comdat
.Lfunc_end472:
	.size	_ZL37rocblas_syrkx_herkx_restricted_kernelIifLi16ELi32ELi8ELi1ELin1ELb0ELc78ELc76EKPKfKPfEviT_PT9_S5_lS7_S5_lPT10_S5_li, .Lfunc_end472-_ZL37rocblas_syrkx_herkx_restricted_kernelIifLi16ELi32ELi8ELi1ELin1ELb0ELc78ELc76EKPKfKPfEviT_PT9_S5_lS7_S5_lPT10_S5_li
                                        ; -- End function
	.section	.AMDGPU.csdata,"",@progbits
; Kernel info:
; codeLenInByte = 1224
; NumSgprs: 22
; NumVgprs: 46
; ScratchSize: 0
; MemoryBound: 0
; FloatMode: 240
; IeeeMode: 1
; LDSByteSize: 2048 bytes/workgroup (compile time only)
; SGPRBlocks: 2
; VGPRBlocks: 5
; NumSGPRsForWavesPerEU: 22
; NumVGPRsForWavesPerEU: 46
; Occupancy: 16
; WaveLimiterHint : 1
; COMPUTE_PGM_RSRC2:SCRATCH_EN: 0
; COMPUTE_PGM_RSRC2:USER_SGPR: 13
; COMPUTE_PGM_RSRC2:TRAP_HANDLER: 0
; COMPUTE_PGM_RSRC2:TGID_X_EN: 1
; COMPUTE_PGM_RSRC2:TGID_Y_EN: 1
; COMPUTE_PGM_RSRC2:TGID_Z_EN: 1
; COMPUTE_PGM_RSRC2:TIDIG_COMP_CNT: 1
	.section	.text._ZL37rocblas_syrkx_herkx_restricted_kernelIifLi16ELi32ELi8ELi1ELin1ELb0ELc84ELc85EKPKfKPfEviT_PT9_S5_lS7_S5_lPT10_S5_li,"axG",@progbits,_ZL37rocblas_syrkx_herkx_restricted_kernelIifLi16ELi32ELi8ELi1ELin1ELb0ELc84ELc85EKPKfKPfEviT_PT9_S5_lS7_S5_lPT10_S5_li,comdat
	.globl	_ZL37rocblas_syrkx_herkx_restricted_kernelIifLi16ELi32ELi8ELi1ELin1ELb0ELc84ELc85EKPKfKPfEviT_PT9_S5_lS7_S5_lPT10_S5_li ; -- Begin function _ZL37rocblas_syrkx_herkx_restricted_kernelIifLi16ELi32ELi8ELi1ELin1ELb0ELc84ELc85EKPKfKPfEviT_PT9_S5_lS7_S5_lPT10_S5_li
	.p2align	8
	.type	_ZL37rocblas_syrkx_herkx_restricted_kernelIifLi16ELi32ELi8ELi1ELin1ELb0ELc84ELc85EKPKfKPfEviT_PT9_S5_lS7_S5_lPT10_S5_li,@function
_ZL37rocblas_syrkx_herkx_restricted_kernelIifLi16ELi32ELi8ELi1ELin1ELb0ELc84ELc85EKPKfKPfEviT_PT9_S5_lS7_S5_lPT10_S5_li: ; @_ZL37rocblas_syrkx_herkx_restricted_kernelIifLi16ELi32ELi8ELi1ELin1ELb0ELc84ELc85EKPKfKPfEviT_PT9_S5_lS7_S5_lPT10_S5_li
; %bb.0:
	s_clause 0x1
	s_load_b64 s[4:5], s[0:1], 0x38
	s_load_b64 s[2:3], s[0:1], 0x0
	s_mov_b32 s6, s15
	s_mov_b32 s7, 0
	v_dual_mov_b32 v9, 0 :: v_dual_and_b32 v6, 0x3ff, v0
	s_lshl_b64 s[8:9], s[6:7], 3
	v_bfe_u32 v7, v0, 10, 10
	v_dual_mov_b32 v8, 0 :: v_dual_mov_b32 v1, 0
	v_mov_b32_e32 v0, 0
	s_waitcnt lgkmcnt(0)
	s_add_u32 s4, s4, s8
	s_addc_u32 s5, s5, s9
	s_lshl_b32 s6, s13, 5
	s_load_b64 s[4:5], s[4:5], 0x0
	s_lshl_b32 s10, s14, 5
	s_cmp_lt_i32 s3, 1
	s_cbranch_scc1 .LBB473_3
; %bb.1:
	s_clause 0x3
	s_load_b64 s[12:13], s[0:1], 0x8
	s_load_b64 s[14:15], s[0:1], 0x20
	s_load_b32 s11, s[0:1], 0x10
	s_load_b32 s16, s[0:1], 0x28
	v_lshl_add_u32 v2, v7, 4, v6
	v_dual_mov_b32 v1, 0 :: v_dual_and_b32 v0, 7, v6
	v_lshlrev_b32_e32 v10, 2, v6
	s_delay_alu instid0(VALU_DEP_3) | instskip(SKIP_3) | instid1(VALU_DEP_4)
	v_and_b32_e32 v9, 31, v2
	v_lshrrev_b32_e32 v8, 3, v2
	v_lshrrev_b32_e32 v2, 5, v2
	v_mov_b32_e32 v3, v1
	v_add_nc_u32_e32 v11, s6, v9
	s_delay_alu instid0(VALU_DEP_4)
	v_add_nc_u32_e32 v12, s10, v8
	s_waitcnt lgkmcnt(0)
	s_add_u32 s12, s12, s8
	s_addc_u32 s13, s13, s9
	s_add_u32 s8, s14, s8
	s_load_b64 s[12:13], s[12:13], 0x0
	s_addc_u32 s9, s15, s9
	v_mad_i64_i32 v[4:5], null, s11, v11, v[2:3]
	s_load_b64 s[8:9], s[8:9], 0x0
	v_lshlrev_b32_e32 v3, 2, v0
	v_mad_i64_i32 v[14:15], null, s16, v12, v[0:1]
	v_dual_mov_b32 v0, v1 :: v_dual_lshlrev_b32 v9, 2, v9
	s_delay_alu instid0(VALU_DEP_3)
	v_lshl_or_b32 v13, v8, 5, v3
	v_lshlrev_b64 v[3:4], 2, v[4:5]
	v_lshl_add_u32 v11, v7, 5, 0x400
	v_mov_b32_e32 v8, v1
	v_lshlrev_b64 v[14:15], 2, v[14:15]
	v_lshl_or_b32 v12, v2, 7, v9
	v_mov_b32_e32 v9, v1
	v_add_nc_u32_e32 v13, 0x400, v13
	s_waitcnt lgkmcnt(0)
	v_add_co_u32 v2, vcc_lo, s12, v3
	v_add_co_ci_u32_e32 v3, vcc_lo, s13, v4, vcc_lo
	v_add_co_u32 v4, vcc_lo, s8, v14
	v_add_co_ci_u32_e32 v5, vcc_lo, s9, v15, vcc_lo
.LBB473_2:                              ; =>This Inner Loop Header: Depth=1
	global_load_b32 v14, v[2:3], off
	global_load_b32 v15, v[4:5], off
	v_add_co_u32 v2, vcc_lo, v2, 32
	v_add_co_ci_u32_e32 v3, vcc_lo, 0, v3, vcc_lo
	v_add_co_u32 v4, vcc_lo, v4, 32
	v_add_co_ci_u32_e32 v5, vcc_lo, 0, v5, vcc_lo
	s_add_i32 s7, s7, 8
	s_waitcnt vmcnt(1)
	ds_store_b32 v12, v14
	s_waitcnt vmcnt(0)
	ds_store_b32 v13, v15
	s_waitcnt lgkmcnt(0)
	s_barrier
	buffer_gl0_inv
	ds_load_2addr_b32 v[30:31], v10 offset1:16
	ds_load_b128 v[14:17], v11
	ds_load_b128 v[18:21], v11 offset:512
	ds_load_2addr_b32 v[32:33], v10 offset0:32 offset1:48
	ds_load_2addr_b32 v[34:35], v10 offset0:64 offset1:80
	ds_load_b128 v[22:25], v11 offset:16
	ds_load_2addr_b32 v[36:37], v10 offset0:96 offset1:112
	ds_load_2addr_b32 v[38:39], v10 offset0:128 offset1:144
	;; [unrolled: 3-line block ×3, first 2 shown]
	ds_load_2addr_b32 v[44:45], v10 offset0:224 offset1:240
	s_cmp_ge_i32 s7, s3
	s_waitcnt lgkmcnt(0)
	s_barrier
	buffer_gl0_inv
	v_fmac_f32_e32 v8, v31, v14
	v_fmac_f32_e32 v9, v30, v14
	;; [unrolled: 1-line block ×4, first 2 shown]
	s_delay_alu instid0(VALU_DEP_4) | instskip(NEXT) | instid1(VALU_DEP_4)
	v_fmac_f32_e32 v8, v33, v15
	v_fmac_f32_e32 v9, v32, v15
	s_delay_alu instid0(VALU_DEP_4) | instskip(NEXT) | instid1(VALU_DEP_4)
	v_fmac_f32_e32 v1, v33, v19
	v_fmac_f32_e32 v0, v32, v19
	;; [unrolled: 3-line block ×14, first 2 shown]
	s_cbranch_scc0 .LBB473_2
.LBB473_3:
	s_load_b32 s3, s[0:1], 0x40
	v_add_nc_u32_e32 v7, s10, v7
	v_add_nc_u32_e32 v2, s6, v6
	s_delay_alu instid0(VALU_DEP_2) | instskip(NEXT) | instid1(VALU_DEP_2)
	v_cmp_gt_i32_e32 vcc_lo, s2, v7
	v_cmp_le_i32_e64 s0, v2, v7
	s_delay_alu instid0(VALU_DEP_1) | instskip(SKIP_2) | instid1(VALU_DEP_1)
	s_and_b32 s0, vcc_lo, s0
	s_waitcnt lgkmcnt(0)
	v_mad_i64_i32 v[3:4], null, v7, s3, 0
	v_lshlrev_b64 v[3:4], 2, v[3:4]
	s_delay_alu instid0(VALU_DEP_1) | instskip(NEXT) | instid1(VALU_DEP_1)
	v_add_co_u32 v6, s1, s4, v3
	v_add_co_ci_u32_e64 v10, s1, s5, v4, s1
	s_and_saveexec_b32 s1, s0
	s_cbranch_execz .LBB473_5
; %bb.4:
	v_ashrrev_i32_e32 v3, 31, v2
	s_delay_alu instid0(VALU_DEP_1) | instskip(NEXT) | instid1(VALU_DEP_1)
	v_lshlrev_b64 v[3:4], 2, v[2:3]
	v_add_co_u32 v3, s0, v6, v3
	s_delay_alu instid0(VALU_DEP_1)
	v_add_co_ci_u32_e64 v4, s0, v10, v4, s0
	global_load_b32 v5, v[3:4], off
	s_waitcnt vmcnt(0)
	v_sub_f32_e32 v5, v9, v5
	global_store_b32 v[3:4], v5, off
.LBB473_5:
	s_or_b32 exec_lo, exec_lo, s1
	v_add_nc_u32_e32 v4, 16, v2
	s_delay_alu instid0(VALU_DEP_1) | instskip(NEXT) | instid1(VALU_DEP_1)
	v_cmp_le_i32_e64 s0, v4, v7
	s_and_b32 s1, vcc_lo, s0
	s_delay_alu instid0(SALU_CYCLE_1)
	s_and_saveexec_b32 s0, s1
	s_cbranch_execz .LBB473_7
; %bb.6:
	v_ashrrev_i32_e32 v5, 31, v4
	s_delay_alu instid0(VALU_DEP_1) | instskip(NEXT) | instid1(VALU_DEP_1)
	v_lshlrev_b64 v[11:12], 2, v[4:5]
	v_add_co_u32 v5, vcc_lo, v6, v11
	s_delay_alu instid0(VALU_DEP_2)
	v_add_co_ci_u32_e32 v6, vcc_lo, v10, v12, vcc_lo
	global_load_b32 v3, v[5:6], off
	s_waitcnt vmcnt(0)
	v_sub_f32_e32 v3, v8, v3
	global_store_b32 v[5:6], v3, off
.LBB473_7:
	s_or_b32 exec_lo, exec_lo, s0
	v_add_nc_u32_e32 v5, 16, v7
	s_delay_alu instid0(VALU_DEP_1) | instskip(SKIP_2) | instid1(VALU_DEP_1)
	v_mad_i64_i32 v[6:7], null, v5, s3, 0
	v_cmp_gt_i32_e32 vcc_lo, s2, v5
	v_cmp_le_i32_e64 s0, v2, v5
	s_and_b32 s0, vcc_lo, s0
	s_delay_alu instid0(VALU_DEP_3) | instskip(NEXT) | instid1(VALU_DEP_1)
	v_lshlrev_b64 v[6:7], 2, v[6:7]
	v_add_co_u32 v6, s1, s4, v6
	s_delay_alu instid0(VALU_DEP_1)
	v_add_co_ci_u32_e64 v7, s1, s5, v7, s1
	s_and_saveexec_b32 s1, s0
	s_cbranch_execz .LBB473_9
; %bb.8:
	v_ashrrev_i32_e32 v3, 31, v2
	s_delay_alu instid0(VALU_DEP_1) | instskip(NEXT) | instid1(VALU_DEP_1)
	v_lshlrev_b64 v[2:3], 2, v[2:3]
	v_add_co_u32 v2, s0, v6, v2
	s_delay_alu instid0(VALU_DEP_1)
	v_add_co_ci_u32_e64 v3, s0, v7, v3, s0
	global_load_b32 v8, v[2:3], off
	s_waitcnt vmcnt(0)
	v_sub_f32_e32 v0, v0, v8
	global_store_b32 v[2:3], v0, off
.LBB473_9:
	s_or_b32 exec_lo, exec_lo, s1
	v_cmp_le_i32_e64 s0, v4, v5
	s_delay_alu instid0(VALU_DEP_1) | instskip(NEXT) | instid1(SALU_CYCLE_1)
	s_and_b32 s0, vcc_lo, s0
	s_and_saveexec_b32 s1, s0
	s_cbranch_execz .LBB473_11
; %bb.10:
	v_ashrrev_i32_e32 v5, 31, v4
	s_delay_alu instid0(VALU_DEP_1) | instskip(NEXT) | instid1(VALU_DEP_1)
	v_lshlrev_b64 v[2:3], 2, v[4:5]
	v_add_co_u32 v2, vcc_lo, v6, v2
	s_delay_alu instid0(VALU_DEP_2)
	v_add_co_ci_u32_e32 v3, vcc_lo, v7, v3, vcc_lo
	global_load_b32 v0, v[2:3], off
	s_waitcnt vmcnt(0)
	v_sub_f32_e32 v0, v1, v0
	global_store_b32 v[2:3], v0, off
.LBB473_11:
	s_nop 0
	s_sendmsg sendmsg(MSG_DEALLOC_VGPRS)
	s_endpgm
	.section	.rodata,"a",@progbits
	.p2align	6, 0x0
	.amdhsa_kernel _ZL37rocblas_syrkx_herkx_restricted_kernelIifLi16ELi32ELi8ELi1ELin1ELb0ELc84ELc85EKPKfKPfEviT_PT9_S5_lS7_S5_lPT10_S5_li
		.amdhsa_group_segment_fixed_size 2048
		.amdhsa_private_segment_fixed_size 0
		.amdhsa_kernarg_size 84
		.amdhsa_user_sgpr_count 13
		.amdhsa_user_sgpr_dispatch_ptr 0
		.amdhsa_user_sgpr_queue_ptr 0
		.amdhsa_user_sgpr_kernarg_segment_ptr 1
		.amdhsa_user_sgpr_dispatch_id 0
		.amdhsa_user_sgpr_private_segment_size 0
		.amdhsa_wavefront_size32 1
		.amdhsa_uses_dynamic_stack 0
		.amdhsa_enable_private_segment 0
		.amdhsa_system_sgpr_workgroup_id_x 1
		.amdhsa_system_sgpr_workgroup_id_y 1
		.amdhsa_system_sgpr_workgroup_id_z 1
		.amdhsa_system_sgpr_workgroup_info 0
		.amdhsa_system_vgpr_workitem_id 1
		.amdhsa_next_free_vgpr 46
		.amdhsa_next_free_sgpr 17
		.amdhsa_reserve_vcc 1
		.amdhsa_float_round_mode_32 0
		.amdhsa_float_round_mode_16_64 0
		.amdhsa_float_denorm_mode_32 3
		.amdhsa_float_denorm_mode_16_64 3
		.amdhsa_dx10_clamp 1
		.amdhsa_ieee_mode 1
		.amdhsa_fp16_overflow 0
		.amdhsa_workgroup_processor_mode 1
		.amdhsa_memory_ordered 1
		.amdhsa_forward_progress 0
		.amdhsa_shared_vgpr_count 0
		.amdhsa_exception_fp_ieee_invalid_op 0
		.amdhsa_exception_fp_denorm_src 0
		.amdhsa_exception_fp_ieee_div_zero 0
		.amdhsa_exception_fp_ieee_overflow 0
		.amdhsa_exception_fp_ieee_underflow 0
		.amdhsa_exception_fp_ieee_inexact 0
		.amdhsa_exception_int_div_zero 0
	.end_amdhsa_kernel
	.section	.text._ZL37rocblas_syrkx_herkx_restricted_kernelIifLi16ELi32ELi8ELi1ELin1ELb0ELc84ELc85EKPKfKPfEviT_PT9_S5_lS7_S5_lPT10_S5_li,"axG",@progbits,_ZL37rocblas_syrkx_herkx_restricted_kernelIifLi16ELi32ELi8ELi1ELin1ELb0ELc84ELc85EKPKfKPfEviT_PT9_S5_lS7_S5_lPT10_S5_li,comdat
.Lfunc_end473:
	.size	_ZL37rocblas_syrkx_herkx_restricted_kernelIifLi16ELi32ELi8ELi1ELin1ELb0ELc84ELc85EKPKfKPfEviT_PT9_S5_lS7_S5_lPT10_S5_li, .Lfunc_end473-_ZL37rocblas_syrkx_herkx_restricted_kernelIifLi16ELi32ELi8ELi1ELin1ELb0ELc84ELc85EKPKfKPfEviT_PT9_S5_lS7_S5_lPT10_S5_li
                                        ; -- End function
	.section	.AMDGPU.csdata,"",@progbits
; Kernel info:
; codeLenInByte = 1204
; NumSgprs: 19
; NumVgprs: 46
; ScratchSize: 0
; MemoryBound: 0
; FloatMode: 240
; IeeeMode: 1
; LDSByteSize: 2048 bytes/workgroup (compile time only)
; SGPRBlocks: 2
; VGPRBlocks: 5
; NumSGPRsForWavesPerEU: 19
; NumVGPRsForWavesPerEU: 46
; Occupancy: 16
; WaveLimiterHint : 1
; COMPUTE_PGM_RSRC2:SCRATCH_EN: 0
; COMPUTE_PGM_RSRC2:USER_SGPR: 13
; COMPUTE_PGM_RSRC2:TRAP_HANDLER: 0
; COMPUTE_PGM_RSRC2:TGID_X_EN: 1
; COMPUTE_PGM_RSRC2:TGID_Y_EN: 1
; COMPUTE_PGM_RSRC2:TGID_Z_EN: 1
; COMPUTE_PGM_RSRC2:TIDIG_COMP_CNT: 1
	.section	.text._ZL37rocblas_syrkx_herkx_restricted_kernelIifLi16ELi32ELi8ELi1ELin1ELb0ELc67ELc85EKPKfKPfEviT_PT9_S5_lS7_S5_lPT10_S5_li,"axG",@progbits,_ZL37rocblas_syrkx_herkx_restricted_kernelIifLi16ELi32ELi8ELi1ELin1ELb0ELc67ELc85EKPKfKPfEviT_PT9_S5_lS7_S5_lPT10_S5_li,comdat
	.globl	_ZL37rocblas_syrkx_herkx_restricted_kernelIifLi16ELi32ELi8ELi1ELin1ELb0ELc67ELc85EKPKfKPfEviT_PT9_S5_lS7_S5_lPT10_S5_li ; -- Begin function _ZL37rocblas_syrkx_herkx_restricted_kernelIifLi16ELi32ELi8ELi1ELin1ELb0ELc67ELc85EKPKfKPfEviT_PT9_S5_lS7_S5_lPT10_S5_li
	.p2align	8
	.type	_ZL37rocblas_syrkx_herkx_restricted_kernelIifLi16ELi32ELi8ELi1ELin1ELb0ELc67ELc85EKPKfKPfEviT_PT9_S5_lS7_S5_lPT10_S5_li,@function
_ZL37rocblas_syrkx_herkx_restricted_kernelIifLi16ELi32ELi8ELi1ELin1ELb0ELc67ELc85EKPKfKPfEviT_PT9_S5_lS7_S5_lPT10_S5_li: ; @_ZL37rocblas_syrkx_herkx_restricted_kernelIifLi16ELi32ELi8ELi1ELin1ELb0ELc67ELc85EKPKfKPfEviT_PT9_S5_lS7_S5_lPT10_S5_li
; %bb.0:
	s_clause 0x1
	s_load_b64 s[4:5], s[0:1], 0x38
	s_load_b64 s[2:3], s[0:1], 0x0
	s_mov_b32 s6, s15
	s_mov_b32 s7, 0
	v_dual_mov_b32 v9, 0 :: v_dual_and_b32 v6, 0x3ff, v0
	s_lshl_b64 s[8:9], s[6:7], 3
	v_bfe_u32 v7, v0, 10, 10
	v_dual_mov_b32 v8, 0 :: v_dual_mov_b32 v1, 0
	v_mov_b32_e32 v0, 0
	s_waitcnt lgkmcnt(0)
	s_add_u32 s4, s4, s8
	s_addc_u32 s5, s5, s9
	s_lshl_b32 s6, s13, 5
	s_load_b64 s[4:5], s[4:5], 0x0
	s_lshl_b32 s10, s14, 5
	s_cmp_lt_i32 s3, 1
	s_cbranch_scc1 .LBB474_3
; %bb.1:
	s_clause 0x3
	s_load_b64 s[12:13], s[0:1], 0x8
	s_load_b64 s[14:15], s[0:1], 0x20
	s_load_b32 s11, s[0:1], 0x10
	s_load_b32 s16, s[0:1], 0x28
	v_lshl_add_u32 v2, v7, 4, v6
	v_dual_mov_b32 v1, 0 :: v_dual_and_b32 v0, 7, v6
	v_lshlrev_b32_e32 v10, 2, v6
	s_delay_alu instid0(VALU_DEP_3) | instskip(SKIP_3) | instid1(VALU_DEP_4)
	v_and_b32_e32 v9, 31, v2
	v_lshrrev_b32_e32 v8, 3, v2
	v_lshrrev_b32_e32 v2, 5, v2
	v_mov_b32_e32 v3, v1
	v_add_nc_u32_e32 v11, s6, v9
	s_delay_alu instid0(VALU_DEP_4)
	v_add_nc_u32_e32 v12, s10, v8
	s_waitcnt lgkmcnt(0)
	s_add_u32 s12, s12, s8
	s_addc_u32 s13, s13, s9
	s_add_u32 s8, s14, s8
	s_load_b64 s[12:13], s[12:13], 0x0
	s_addc_u32 s9, s15, s9
	v_mad_i64_i32 v[4:5], null, s11, v11, v[2:3]
	s_load_b64 s[8:9], s[8:9], 0x0
	v_lshlrev_b32_e32 v3, 2, v0
	v_mad_i64_i32 v[14:15], null, s16, v12, v[0:1]
	v_dual_mov_b32 v0, v1 :: v_dual_lshlrev_b32 v9, 2, v9
	s_delay_alu instid0(VALU_DEP_3)
	v_lshl_or_b32 v13, v8, 5, v3
	v_lshlrev_b64 v[3:4], 2, v[4:5]
	v_lshl_add_u32 v11, v7, 5, 0x400
	v_mov_b32_e32 v8, v1
	v_lshlrev_b64 v[14:15], 2, v[14:15]
	v_lshl_or_b32 v12, v2, 7, v9
	v_mov_b32_e32 v9, v1
	v_add_nc_u32_e32 v13, 0x400, v13
	s_waitcnt lgkmcnt(0)
	v_add_co_u32 v2, vcc_lo, s12, v3
	v_add_co_ci_u32_e32 v3, vcc_lo, s13, v4, vcc_lo
	v_add_co_u32 v4, vcc_lo, s8, v14
	v_add_co_ci_u32_e32 v5, vcc_lo, s9, v15, vcc_lo
.LBB474_2:                              ; =>This Inner Loop Header: Depth=1
	global_load_b32 v14, v[2:3], off
	global_load_b32 v15, v[4:5], off
	v_add_co_u32 v2, vcc_lo, v2, 32
	v_add_co_ci_u32_e32 v3, vcc_lo, 0, v3, vcc_lo
	v_add_co_u32 v4, vcc_lo, v4, 32
	v_add_co_ci_u32_e32 v5, vcc_lo, 0, v5, vcc_lo
	s_add_i32 s7, s7, 8
	s_waitcnt vmcnt(1)
	ds_store_b32 v12, v14
	s_waitcnt vmcnt(0)
	ds_store_b32 v13, v15
	s_waitcnt lgkmcnt(0)
	s_barrier
	buffer_gl0_inv
	ds_load_2addr_b32 v[30:31], v10 offset1:16
	ds_load_b128 v[14:17], v11
	ds_load_b128 v[18:21], v11 offset:512
	ds_load_2addr_b32 v[32:33], v10 offset0:32 offset1:48
	ds_load_2addr_b32 v[34:35], v10 offset0:64 offset1:80
	ds_load_b128 v[22:25], v11 offset:16
	ds_load_2addr_b32 v[36:37], v10 offset0:96 offset1:112
	ds_load_2addr_b32 v[38:39], v10 offset0:128 offset1:144
	ds_load_b128 v[26:29], v11 offset:528
	ds_load_2addr_b32 v[40:41], v10 offset0:160 offset1:176
	ds_load_2addr_b32 v[42:43], v10 offset0:192 offset1:208
	ds_load_2addr_b32 v[44:45], v10 offset0:224 offset1:240
	s_cmp_ge_i32 s7, s3
	s_waitcnt lgkmcnt(0)
	s_barrier
	buffer_gl0_inv
	v_fmac_f32_e32 v8, v31, v14
	v_fmac_f32_e32 v9, v30, v14
	;; [unrolled: 1-line block ×4, first 2 shown]
	s_delay_alu instid0(VALU_DEP_4) | instskip(NEXT) | instid1(VALU_DEP_4)
	v_fmac_f32_e32 v8, v33, v15
	v_fmac_f32_e32 v9, v32, v15
	s_delay_alu instid0(VALU_DEP_4) | instskip(NEXT) | instid1(VALU_DEP_4)
	v_fmac_f32_e32 v1, v33, v19
	v_fmac_f32_e32 v0, v32, v19
	;; [unrolled: 3-line block ×14, first 2 shown]
	s_cbranch_scc0 .LBB474_2
.LBB474_3:
	s_load_b32 s3, s[0:1], 0x40
	v_add_nc_u32_e32 v7, s10, v7
	v_add_nc_u32_e32 v2, s6, v6
	s_delay_alu instid0(VALU_DEP_2) | instskip(NEXT) | instid1(VALU_DEP_2)
	v_cmp_gt_i32_e32 vcc_lo, s2, v7
	v_cmp_le_i32_e64 s0, v2, v7
	s_delay_alu instid0(VALU_DEP_1) | instskip(SKIP_2) | instid1(VALU_DEP_1)
	s_and_b32 s0, vcc_lo, s0
	s_waitcnt lgkmcnt(0)
	v_mad_i64_i32 v[3:4], null, v7, s3, 0
	v_lshlrev_b64 v[3:4], 2, v[3:4]
	s_delay_alu instid0(VALU_DEP_1) | instskip(NEXT) | instid1(VALU_DEP_1)
	v_add_co_u32 v6, s1, s4, v3
	v_add_co_ci_u32_e64 v10, s1, s5, v4, s1
	s_and_saveexec_b32 s1, s0
	s_cbranch_execz .LBB474_5
; %bb.4:
	v_ashrrev_i32_e32 v3, 31, v2
	s_delay_alu instid0(VALU_DEP_1) | instskip(NEXT) | instid1(VALU_DEP_1)
	v_lshlrev_b64 v[3:4], 2, v[2:3]
	v_add_co_u32 v3, s0, v6, v3
	s_delay_alu instid0(VALU_DEP_1)
	v_add_co_ci_u32_e64 v4, s0, v10, v4, s0
	global_load_b32 v5, v[3:4], off
	s_waitcnt vmcnt(0)
	v_sub_f32_e32 v5, v9, v5
	global_store_b32 v[3:4], v5, off
.LBB474_5:
	s_or_b32 exec_lo, exec_lo, s1
	v_add_nc_u32_e32 v4, 16, v2
	s_delay_alu instid0(VALU_DEP_1) | instskip(NEXT) | instid1(VALU_DEP_1)
	v_cmp_le_i32_e64 s0, v4, v7
	s_and_b32 s1, vcc_lo, s0
	s_delay_alu instid0(SALU_CYCLE_1)
	s_and_saveexec_b32 s0, s1
	s_cbranch_execz .LBB474_7
; %bb.6:
	v_ashrrev_i32_e32 v5, 31, v4
	s_delay_alu instid0(VALU_DEP_1) | instskip(NEXT) | instid1(VALU_DEP_1)
	v_lshlrev_b64 v[11:12], 2, v[4:5]
	v_add_co_u32 v5, vcc_lo, v6, v11
	s_delay_alu instid0(VALU_DEP_2)
	v_add_co_ci_u32_e32 v6, vcc_lo, v10, v12, vcc_lo
	global_load_b32 v3, v[5:6], off
	s_waitcnt vmcnt(0)
	v_sub_f32_e32 v3, v8, v3
	global_store_b32 v[5:6], v3, off
.LBB474_7:
	s_or_b32 exec_lo, exec_lo, s0
	v_add_nc_u32_e32 v5, 16, v7
	s_delay_alu instid0(VALU_DEP_1) | instskip(SKIP_2) | instid1(VALU_DEP_1)
	v_mad_i64_i32 v[6:7], null, v5, s3, 0
	v_cmp_gt_i32_e32 vcc_lo, s2, v5
	v_cmp_le_i32_e64 s0, v2, v5
	s_and_b32 s0, vcc_lo, s0
	s_delay_alu instid0(VALU_DEP_3) | instskip(NEXT) | instid1(VALU_DEP_1)
	v_lshlrev_b64 v[6:7], 2, v[6:7]
	v_add_co_u32 v6, s1, s4, v6
	s_delay_alu instid0(VALU_DEP_1)
	v_add_co_ci_u32_e64 v7, s1, s5, v7, s1
	s_and_saveexec_b32 s1, s0
	s_cbranch_execz .LBB474_9
; %bb.8:
	v_ashrrev_i32_e32 v3, 31, v2
	s_delay_alu instid0(VALU_DEP_1) | instskip(NEXT) | instid1(VALU_DEP_1)
	v_lshlrev_b64 v[2:3], 2, v[2:3]
	v_add_co_u32 v2, s0, v6, v2
	s_delay_alu instid0(VALU_DEP_1)
	v_add_co_ci_u32_e64 v3, s0, v7, v3, s0
	global_load_b32 v8, v[2:3], off
	s_waitcnt vmcnt(0)
	v_sub_f32_e32 v0, v0, v8
	global_store_b32 v[2:3], v0, off
.LBB474_9:
	s_or_b32 exec_lo, exec_lo, s1
	v_cmp_le_i32_e64 s0, v4, v5
	s_delay_alu instid0(VALU_DEP_1) | instskip(NEXT) | instid1(SALU_CYCLE_1)
	s_and_b32 s0, vcc_lo, s0
	s_and_saveexec_b32 s1, s0
	s_cbranch_execz .LBB474_11
; %bb.10:
	v_ashrrev_i32_e32 v5, 31, v4
	s_delay_alu instid0(VALU_DEP_1) | instskip(NEXT) | instid1(VALU_DEP_1)
	v_lshlrev_b64 v[2:3], 2, v[4:5]
	v_add_co_u32 v2, vcc_lo, v6, v2
	s_delay_alu instid0(VALU_DEP_2)
	v_add_co_ci_u32_e32 v3, vcc_lo, v7, v3, vcc_lo
	global_load_b32 v0, v[2:3], off
	s_waitcnt vmcnt(0)
	v_sub_f32_e32 v0, v1, v0
	global_store_b32 v[2:3], v0, off
.LBB474_11:
	s_nop 0
	s_sendmsg sendmsg(MSG_DEALLOC_VGPRS)
	s_endpgm
	.section	.rodata,"a",@progbits
	.p2align	6, 0x0
	.amdhsa_kernel _ZL37rocblas_syrkx_herkx_restricted_kernelIifLi16ELi32ELi8ELi1ELin1ELb0ELc67ELc85EKPKfKPfEviT_PT9_S5_lS7_S5_lPT10_S5_li
		.amdhsa_group_segment_fixed_size 2048
		.amdhsa_private_segment_fixed_size 0
		.amdhsa_kernarg_size 84
		.amdhsa_user_sgpr_count 13
		.amdhsa_user_sgpr_dispatch_ptr 0
		.amdhsa_user_sgpr_queue_ptr 0
		.amdhsa_user_sgpr_kernarg_segment_ptr 1
		.amdhsa_user_sgpr_dispatch_id 0
		.amdhsa_user_sgpr_private_segment_size 0
		.amdhsa_wavefront_size32 1
		.amdhsa_uses_dynamic_stack 0
		.amdhsa_enable_private_segment 0
		.amdhsa_system_sgpr_workgroup_id_x 1
		.amdhsa_system_sgpr_workgroup_id_y 1
		.amdhsa_system_sgpr_workgroup_id_z 1
		.amdhsa_system_sgpr_workgroup_info 0
		.amdhsa_system_vgpr_workitem_id 1
		.amdhsa_next_free_vgpr 46
		.amdhsa_next_free_sgpr 17
		.amdhsa_reserve_vcc 1
		.amdhsa_float_round_mode_32 0
		.amdhsa_float_round_mode_16_64 0
		.amdhsa_float_denorm_mode_32 3
		.amdhsa_float_denorm_mode_16_64 3
		.amdhsa_dx10_clamp 1
		.amdhsa_ieee_mode 1
		.amdhsa_fp16_overflow 0
		.amdhsa_workgroup_processor_mode 1
		.amdhsa_memory_ordered 1
		.amdhsa_forward_progress 0
		.amdhsa_shared_vgpr_count 0
		.amdhsa_exception_fp_ieee_invalid_op 0
		.amdhsa_exception_fp_denorm_src 0
		.amdhsa_exception_fp_ieee_div_zero 0
		.amdhsa_exception_fp_ieee_overflow 0
		.amdhsa_exception_fp_ieee_underflow 0
		.amdhsa_exception_fp_ieee_inexact 0
		.amdhsa_exception_int_div_zero 0
	.end_amdhsa_kernel
	.section	.text._ZL37rocblas_syrkx_herkx_restricted_kernelIifLi16ELi32ELi8ELi1ELin1ELb0ELc67ELc85EKPKfKPfEviT_PT9_S5_lS7_S5_lPT10_S5_li,"axG",@progbits,_ZL37rocblas_syrkx_herkx_restricted_kernelIifLi16ELi32ELi8ELi1ELin1ELb0ELc67ELc85EKPKfKPfEviT_PT9_S5_lS7_S5_lPT10_S5_li,comdat
.Lfunc_end474:
	.size	_ZL37rocblas_syrkx_herkx_restricted_kernelIifLi16ELi32ELi8ELi1ELin1ELb0ELc67ELc85EKPKfKPfEviT_PT9_S5_lS7_S5_lPT10_S5_li, .Lfunc_end474-_ZL37rocblas_syrkx_herkx_restricted_kernelIifLi16ELi32ELi8ELi1ELin1ELb0ELc67ELc85EKPKfKPfEviT_PT9_S5_lS7_S5_lPT10_S5_li
                                        ; -- End function
	.section	.AMDGPU.csdata,"",@progbits
; Kernel info:
; codeLenInByte = 1204
; NumSgprs: 19
; NumVgprs: 46
; ScratchSize: 0
; MemoryBound: 0
; FloatMode: 240
; IeeeMode: 1
; LDSByteSize: 2048 bytes/workgroup (compile time only)
; SGPRBlocks: 2
; VGPRBlocks: 5
; NumSGPRsForWavesPerEU: 19
; NumVGPRsForWavesPerEU: 46
; Occupancy: 16
; WaveLimiterHint : 1
; COMPUTE_PGM_RSRC2:SCRATCH_EN: 0
; COMPUTE_PGM_RSRC2:USER_SGPR: 13
; COMPUTE_PGM_RSRC2:TRAP_HANDLER: 0
; COMPUTE_PGM_RSRC2:TGID_X_EN: 1
; COMPUTE_PGM_RSRC2:TGID_Y_EN: 1
; COMPUTE_PGM_RSRC2:TGID_Z_EN: 1
; COMPUTE_PGM_RSRC2:TIDIG_COMP_CNT: 1
	.section	.text._ZL37rocblas_syrkx_herkx_restricted_kernelIifLi16ELi32ELi8ELi1ELin1ELb0ELc78ELc85EKPKfKPfEviT_PT9_S5_lS7_S5_lPT10_S5_li,"axG",@progbits,_ZL37rocblas_syrkx_herkx_restricted_kernelIifLi16ELi32ELi8ELi1ELin1ELb0ELc78ELc85EKPKfKPfEviT_PT9_S5_lS7_S5_lPT10_S5_li,comdat
	.globl	_ZL37rocblas_syrkx_herkx_restricted_kernelIifLi16ELi32ELi8ELi1ELin1ELb0ELc78ELc85EKPKfKPfEviT_PT9_S5_lS7_S5_lPT10_S5_li ; -- Begin function _ZL37rocblas_syrkx_herkx_restricted_kernelIifLi16ELi32ELi8ELi1ELin1ELb0ELc78ELc85EKPKfKPfEviT_PT9_S5_lS7_S5_lPT10_S5_li
	.p2align	8
	.type	_ZL37rocblas_syrkx_herkx_restricted_kernelIifLi16ELi32ELi8ELi1ELin1ELb0ELc78ELc85EKPKfKPfEviT_PT9_S5_lS7_S5_lPT10_S5_li,@function
_ZL37rocblas_syrkx_herkx_restricted_kernelIifLi16ELi32ELi8ELi1ELin1ELb0ELc78ELc85EKPKfKPfEviT_PT9_S5_lS7_S5_lPT10_S5_li: ; @_ZL37rocblas_syrkx_herkx_restricted_kernelIifLi16ELi32ELi8ELi1ELin1ELb0ELc78ELc85EKPKfKPfEviT_PT9_S5_lS7_S5_lPT10_S5_li
; %bb.0:
	s_clause 0x1
	s_load_b64 s[4:5], s[0:1], 0x38
	s_load_b64 s[2:3], s[0:1], 0x0
	s_mov_b32 s6, s15
	s_mov_b32 s7, 0
	v_dual_mov_b32 v8, 0 :: v_dual_and_b32 v5, 0x3ff, v0
	s_lshl_b64 s[8:9], s[6:7], 3
	v_bfe_u32 v6, v0, 10, 10
	v_dual_mov_b32 v9, 0 :: v_dual_mov_b32 v4, 0
	v_mov_b32_e32 v7, 0
	s_waitcnt lgkmcnt(0)
	s_add_u32 s4, s4, s8
	s_addc_u32 s5, s5, s9
	s_lshl_b32 s6, s13, 5
	s_load_b64 s[4:5], s[4:5], 0x0
	s_lshl_b32 s12, s14, 5
	s_cmp_lt_i32 s3, 1
	s_cbranch_scc1 .LBB475_3
; %bb.1:
	s_clause 0x3
	s_load_b32 s10, s[0:1], 0x10
	s_load_b32 s14, s[0:1], 0x28
	s_load_b64 s[16:17], s[0:1], 0x8
	s_load_b64 s[18:19], s[0:1], 0x20
	v_lshl_add_u32 v0, v6, 4, v5
	v_dual_mov_b32 v4, 0 :: v_dual_and_b32 v7, 7, v5
	v_lshlrev_b32_e32 v10, 2, v5
	v_lshl_add_u32 v11, v6, 5, 0x400
	s_delay_alu instid0(VALU_DEP_4) | instskip(SKIP_3) | instid1(VALU_DEP_4)
	v_and_b32_e32 v13, 31, v0
	v_lshrrev_b32_e32 v12, 3, v0
	v_lshrrev_b32_e32 v14, 5, v0
	v_lshlrev_b32_e32 v15, 2, v7
	v_add_nc_u32_e32 v2, s6, v13
	s_delay_alu instid0(VALU_DEP_4) | instskip(NEXT) | instid1(VALU_DEP_3)
	v_add_nc_u32_e32 v0, s12, v12
	v_lshl_or_b32 v15, v12, 5, v15
	s_delay_alu instid0(VALU_DEP_3)
	v_ashrrev_i32_e32 v3, 31, v2
	s_waitcnt lgkmcnt(0)
	s_ashr_i32 s11, s10, 31
	s_ashr_i32 s15, s14, 31
	s_add_u32 s16, s16, s8
	s_addc_u32 s17, s17, s9
	s_add_u32 s8, s18, s8
	s_load_b64 s[16:17], s[16:17], 0x0
	s_addc_u32 s9, s19, s9
	v_ashrrev_i32_e32 v1, 31, v0
	s_load_b64 s[8:9], s[8:9], 0x0
	v_mad_i64_i32 v[8:9], null, s10, v14, v[2:3]
	s_delay_alu instid0(VALU_DEP_2) | instskip(SKIP_1) | instid1(VALU_DEP_3)
	v_mad_i64_i32 v[2:3], null, s14, v7, v[0:1]
	v_mov_b32_e32 v7, 0
	v_lshlrev_b64 v[0:1], 2, v[8:9]
	v_dual_mov_b32 v9, 0 :: v_dual_mov_b32 v8, 0
	s_delay_alu instid0(VALU_DEP_4) | instskip(SKIP_2) | instid1(VALU_DEP_4)
	v_lshlrev_b64 v[2:3], 2, v[2:3]
	v_lshlrev_b32_e32 v13, 2, v13
	s_waitcnt lgkmcnt(0)
	v_add_co_u32 v0, vcc_lo, s16, v0
	v_add_co_ci_u32_e32 v1, vcc_lo, s17, v1, vcc_lo
	s_delay_alu instid0(VALU_DEP_4)
	v_add_co_u32 v2, vcc_lo, s8, v2
	v_lshl_or_b32 v12, v14, 7, v13
	v_add_nc_u32_e32 v13, 0x400, v15
	v_add_co_ci_u32_e32 v3, vcc_lo, s9, v3, vcc_lo
	s_lshl_b64 s[8:9], s[10:11], 5
	s_lshl_b64 s[10:11], s[14:15], 5
.LBB475_2:                              ; =>This Inner Loop Header: Depth=1
	global_load_b32 v14, v[0:1], off
	global_load_b32 v15, v[2:3], off
	v_add_co_u32 v0, vcc_lo, v0, s8
	v_add_co_ci_u32_e32 v1, vcc_lo, s9, v1, vcc_lo
	v_add_co_u32 v2, vcc_lo, v2, s10
	v_add_co_ci_u32_e32 v3, vcc_lo, s11, v3, vcc_lo
	s_add_i32 s7, s7, 8
	s_waitcnt vmcnt(1)
	ds_store_b32 v12, v14
	s_waitcnt vmcnt(0)
	ds_store_b32 v13, v15
	s_waitcnt lgkmcnt(0)
	s_barrier
	buffer_gl0_inv
	ds_load_2addr_b32 v[30:31], v10 offset1:16
	ds_load_b128 v[14:17], v11
	ds_load_b128 v[18:21], v11 offset:512
	ds_load_2addr_b32 v[32:33], v10 offset0:32 offset1:48
	ds_load_2addr_b32 v[34:35], v10 offset0:64 offset1:80
	ds_load_b128 v[22:25], v11 offset:16
	ds_load_2addr_b32 v[36:37], v10 offset0:96 offset1:112
	ds_load_2addr_b32 v[38:39], v10 offset0:128 offset1:144
	;; [unrolled: 3-line block ×3, first 2 shown]
	ds_load_2addr_b32 v[44:45], v10 offset0:224 offset1:240
	s_cmp_ge_i32 s7, s3
	s_waitcnt lgkmcnt(0)
	s_barrier
	buffer_gl0_inv
	v_fmac_f32_e32 v8, v31, v14
	v_fmac_f32_e32 v9, v30, v14
	;; [unrolled: 1-line block ×3, first 2 shown]
	s_delay_alu instid0(VALU_DEP_3) | instskip(NEXT) | instid1(VALU_DEP_3)
	v_dual_fmac_f32 v7, v30, v18 :: v_dual_fmac_f32 v8, v33, v15
	v_fmac_f32_e32 v9, v32, v15
	s_delay_alu instid0(VALU_DEP_3) | instskip(NEXT) | instid1(VALU_DEP_3)
	v_fmac_f32_e32 v4, v33, v19
	v_dual_fmac_f32 v7, v32, v19 :: v_dual_fmac_f32 v8, v35, v16
	s_delay_alu instid0(VALU_DEP_3) | instskip(NEXT) | instid1(VALU_DEP_3)
	v_fmac_f32_e32 v9, v34, v16
	v_fmac_f32_e32 v4, v35, v20
	s_delay_alu instid0(VALU_DEP_3) | instskip(NEXT) | instid1(VALU_DEP_3)
	v_dual_fmac_f32 v7, v34, v20 :: v_dual_fmac_f32 v8, v37, v17
	v_fmac_f32_e32 v9, v36, v17
	s_delay_alu instid0(VALU_DEP_3) | instskip(NEXT) | instid1(VALU_DEP_3)
	v_fmac_f32_e32 v4, v37, v21
	v_dual_fmac_f32 v7, v36, v21 :: v_dual_fmac_f32 v8, v39, v22
	s_delay_alu instid0(VALU_DEP_3) | instskip(NEXT) | instid1(VALU_DEP_3)
	v_fmac_f32_e32 v9, v38, v22
	v_fmac_f32_e32 v4, v39, v26
	;; [unrolled: 9-line block ×3, first 2 shown]
	s_delay_alu instid0(VALU_DEP_3) | instskip(NEXT) | instid1(VALU_DEP_3)
	v_dual_fmac_f32 v7, v42, v28 :: v_dual_fmac_f32 v8, v45, v25
	v_fmac_f32_e32 v9, v44, v25
	s_delay_alu instid0(VALU_DEP_3) | instskip(NEXT) | instid1(VALU_DEP_3)
	v_fmac_f32_e32 v4, v45, v29
	v_fmac_f32_e32 v7, v44, v29
	s_cbranch_scc0 .LBB475_2
.LBB475_3:
	s_load_b32 s3, s[0:1], 0x40
	v_add_nc_u32_e32 v6, s12, v6
	v_add_nc_u32_e32 v0, s6, v5
	s_delay_alu instid0(VALU_DEP_2) | instskip(NEXT) | instid1(VALU_DEP_2)
	v_cmp_gt_i32_e32 vcc_lo, s2, v6
	v_cmp_le_i32_e64 s0, v0, v6
	s_delay_alu instid0(VALU_DEP_1) | instskip(SKIP_2) | instid1(VALU_DEP_1)
	s_and_b32 s0, vcc_lo, s0
	s_waitcnt lgkmcnt(0)
	v_mad_i64_i32 v[1:2], null, v6, s3, 0
	v_lshlrev_b64 v[1:2], 2, v[1:2]
	s_delay_alu instid0(VALU_DEP_1) | instskip(NEXT) | instid1(VALU_DEP_1)
	v_add_co_u32 v5, s1, s4, v1
	v_add_co_ci_u32_e64 v10, s1, s5, v2, s1
	s_and_saveexec_b32 s1, s0
	s_cbranch_execz .LBB475_5
; %bb.4:
	v_ashrrev_i32_e32 v1, 31, v0
	s_delay_alu instid0(VALU_DEP_1) | instskip(NEXT) | instid1(VALU_DEP_1)
	v_lshlrev_b64 v[1:2], 2, v[0:1]
	v_add_co_u32 v1, s0, v5, v1
	s_delay_alu instid0(VALU_DEP_1)
	v_add_co_ci_u32_e64 v2, s0, v10, v2, s0
	global_load_b32 v3, v[1:2], off
	s_waitcnt vmcnt(0)
	v_sub_f32_e32 v3, v9, v3
	global_store_b32 v[1:2], v3, off
.LBB475_5:
	s_or_b32 exec_lo, exec_lo, s1
	v_add_nc_u32_e32 v2, 16, v0
	s_delay_alu instid0(VALU_DEP_1) | instskip(NEXT) | instid1(VALU_DEP_1)
	v_cmp_le_i32_e64 s0, v2, v6
	s_and_b32 s1, vcc_lo, s0
	s_delay_alu instid0(SALU_CYCLE_1)
	s_and_saveexec_b32 s0, s1
	s_cbranch_execz .LBB475_7
; %bb.6:
	v_ashrrev_i32_e32 v3, 31, v2
	s_delay_alu instid0(VALU_DEP_1) | instskip(NEXT) | instid1(VALU_DEP_1)
	v_lshlrev_b64 v[11:12], 2, v[2:3]
	v_add_co_u32 v9, vcc_lo, v5, v11
	s_delay_alu instid0(VALU_DEP_2)
	v_add_co_ci_u32_e32 v10, vcc_lo, v10, v12, vcc_lo
	global_load_b32 v1, v[9:10], off
	s_waitcnt vmcnt(0)
	v_sub_f32_e32 v1, v8, v1
	global_store_b32 v[9:10], v1, off
.LBB475_7:
	s_or_b32 exec_lo, exec_lo, s0
	v_add_nc_u32_e32 v3, 16, v6
	s_delay_alu instid0(VALU_DEP_1) | instskip(SKIP_2) | instid1(VALU_DEP_1)
	v_mad_i64_i32 v[5:6], null, v3, s3, 0
	v_cmp_gt_i32_e32 vcc_lo, s2, v3
	v_cmp_le_i32_e64 s0, v0, v3
	s_and_b32 s0, vcc_lo, s0
	s_delay_alu instid0(VALU_DEP_3) | instskip(NEXT) | instid1(VALU_DEP_1)
	v_lshlrev_b64 v[5:6], 2, v[5:6]
	v_add_co_u32 v5, s1, s4, v5
	s_delay_alu instid0(VALU_DEP_1)
	v_add_co_ci_u32_e64 v6, s1, s5, v6, s1
	s_and_saveexec_b32 s1, s0
	s_cbranch_execz .LBB475_9
; %bb.8:
	v_ashrrev_i32_e32 v1, 31, v0
	s_delay_alu instid0(VALU_DEP_1) | instskip(NEXT) | instid1(VALU_DEP_1)
	v_lshlrev_b64 v[0:1], 2, v[0:1]
	v_add_co_u32 v0, s0, v5, v0
	s_delay_alu instid0(VALU_DEP_1)
	v_add_co_ci_u32_e64 v1, s0, v6, v1, s0
	global_load_b32 v8, v[0:1], off
	s_waitcnt vmcnt(0)
	v_sub_f32_e32 v7, v7, v8
	global_store_b32 v[0:1], v7, off
.LBB475_9:
	s_or_b32 exec_lo, exec_lo, s1
	v_cmp_le_i32_e64 s0, v2, v3
	s_delay_alu instid0(VALU_DEP_1) | instskip(NEXT) | instid1(SALU_CYCLE_1)
	s_and_b32 s0, vcc_lo, s0
	s_and_saveexec_b32 s1, s0
	s_cbranch_execz .LBB475_11
; %bb.10:
	v_ashrrev_i32_e32 v3, 31, v2
	s_delay_alu instid0(VALU_DEP_1) | instskip(NEXT) | instid1(VALU_DEP_1)
	v_lshlrev_b64 v[0:1], 2, v[2:3]
	v_add_co_u32 v0, vcc_lo, v5, v0
	s_delay_alu instid0(VALU_DEP_2)
	v_add_co_ci_u32_e32 v1, vcc_lo, v6, v1, vcc_lo
	global_load_b32 v2, v[0:1], off
	s_waitcnt vmcnt(0)
	v_sub_f32_e32 v2, v4, v2
	global_store_b32 v[0:1], v2, off
.LBB475_11:
	s_nop 0
	s_sendmsg sendmsg(MSG_DEALLOC_VGPRS)
	s_endpgm
	.section	.rodata,"a",@progbits
	.p2align	6, 0x0
	.amdhsa_kernel _ZL37rocblas_syrkx_herkx_restricted_kernelIifLi16ELi32ELi8ELi1ELin1ELb0ELc78ELc85EKPKfKPfEviT_PT9_S5_lS7_S5_lPT10_S5_li
		.amdhsa_group_segment_fixed_size 2048
		.amdhsa_private_segment_fixed_size 0
		.amdhsa_kernarg_size 84
		.amdhsa_user_sgpr_count 13
		.amdhsa_user_sgpr_dispatch_ptr 0
		.amdhsa_user_sgpr_queue_ptr 0
		.amdhsa_user_sgpr_kernarg_segment_ptr 1
		.amdhsa_user_sgpr_dispatch_id 0
		.amdhsa_user_sgpr_private_segment_size 0
		.amdhsa_wavefront_size32 1
		.amdhsa_uses_dynamic_stack 0
		.amdhsa_enable_private_segment 0
		.amdhsa_system_sgpr_workgroup_id_x 1
		.amdhsa_system_sgpr_workgroup_id_y 1
		.amdhsa_system_sgpr_workgroup_id_z 1
		.amdhsa_system_sgpr_workgroup_info 0
		.amdhsa_system_vgpr_workitem_id 1
		.amdhsa_next_free_vgpr 46
		.amdhsa_next_free_sgpr 20
		.amdhsa_reserve_vcc 1
		.amdhsa_float_round_mode_32 0
		.amdhsa_float_round_mode_16_64 0
		.amdhsa_float_denorm_mode_32 3
		.amdhsa_float_denorm_mode_16_64 3
		.amdhsa_dx10_clamp 1
		.amdhsa_ieee_mode 1
		.amdhsa_fp16_overflow 0
		.amdhsa_workgroup_processor_mode 1
		.amdhsa_memory_ordered 1
		.amdhsa_forward_progress 0
		.amdhsa_shared_vgpr_count 0
		.amdhsa_exception_fp_ieee_invalid_op 0
		.amdhsa_exception_fp_denorm_src 0
		.amdhsa_exception_fp_ieee_div_zero 0
		.amdhsa_exception_fp_ieee_overflow 0
		.amdhsa_exception_fp_ieee_underflow 0
		.amdhsa_exception_fp_ieee_inexact 0
		.amdhsa_exception_int_div_zero 0
	.end_amdhsa_kernel
	.section	.text._ZL37rocblas_syrkx_herkx_restricted_kernelIifLi16ELi32ELi8ELi1ELin1ELb0ELc78ELc85EKPKfKPfEviT_PT9_S5_lS7_S5_lPT10_S5_li,"axG",@progbits,_ZL37rocblas_syrkx_herkx_restricted_kernelIifLi16ELi32ELi8ELi1ELin1ELb0ELc78ELc85EKPKfKPfEviT_PT9_S5_lS7_S5_lPT10_S5_li,comdat
.Lfunc_end475:
	.size	_ZL37rocblas_syrkx_herkx_restricted_kernelIifLi16ELi32ELi8ELi1ELin1ELb0ELc78ELc85EKPKfKPfEviT_PT9_S5_lS7_S5_lPT10_S5_li, .Lfunc_end475-_ZL37rocblas_syrkx_herkx_restricted_kernelIifLi16ELi32ELi8ELi1ELin1ELb0ELc78ELc85EKPKfKPfEviT_PT9_S5_lS7_S5_lPT10_S5_li
                                        ; -- End function
	.section	.AMDGPU.csdata,"",@progbits
; Kernel info:
; codeLenInByte = 1224
; NumSgprs: 22
; NumVgprs: 46
; ScratchSize: 0
; MemoryBound: 0
; FloatMode: 240
; IeeeMode: 1
; LDSByteSize: 2048 bytes/workgroup (compile time only)
; SGPRBlocks: 2
; VGPRBlocks: 5
; NumSGPRsForWavesPerEU: 22
; NumVGPRsForWavesPerEU: 46
; Occupancy: 16
; WaveLimiterHint : 1
; COMPUTE_PGM_RSRC2:SCRATCH_EN: 0
; COMPUTE_PGM_RSRC2:USER_SGPR: 13
; COMPUTE_PGM_RSRC2:TRAP_HANDLER: 0
; COMPUTE_PGM_RSRC2:TGID_X_EN: 1
; COMPUTE_PGM_RSRC2:TGID_Y_EN: 1
; COMPUTE_PGM_RSRC2:TGID_Z_EN: 1
; COMPUTE_PGM_RSRC2:TIDIG_COMP_CNT: 1
	.section	.text._ZL37rocblas_syrkx_herkx_restricted_kernelIifLi16ELi32ELi8ELi1ELi0ELb0ELc84ELc76EKPKfKPfEviT_PT9_S5_lS7_S5_lPT10_S5_li,"axG",@progbits,_ZL37rocblas_syrkx_herkx_restricted_kernelIifLi16ELi32ELi8ELi1ELi0ELb0ELc84ELc76EKPKfKPfEviT_PT9_S5_lS7_S5_lPT10_S5_li,comdat
	.globl	_ZL37rocblas_syrkx_herkx_restricted_kernelIifLi16ELi32ELi8ELi1ELi0ELb0ELc84ELc76EKPKfKPfEviT_PT9_S5_lS7_S5_lPT10_S5_li ; -- Begin function _ZL37rocblas_syrkx_herkx_restricted_kernelIifLi16ELi32ELi8ELi1ELi0ELb0ELc84ELc76EKPKfKPfEviT_PT9_S5_lS7_S5_lPT10_S5_li
	.p2align	8
	.type	_ZL37rocblas_syrkx_herkx_restricted_kernelIifLi16ELi32ELi8ELi1ELi0ELb0ELc84ELc76EKPKfKPfEviT_PT9_S5_lS7_S5_lPT10_S5_li,@function
_ZL37rocblas_syrkx_herkx_restricted_kernelIifLi16ELi32ELi8ELi1ELi0ELb0ELc84ELc76EKPKfKPfEviT_PT9_S5_lS7_S5_lPT10_S5_li: ; @_ZL37rocblas_syrkx_herkx_restricted_kernelIifLi16ELi32ELi8ELi1ELi0ELb0ELc84ELc76EKPKfKPfEviT_PT9_S5_lS7_S5_lPT10_S5_li
; %bb.0:
	s_clause 0x1
	s_load_b64 s[2:3], s[0:1], 0x38
	s_load_b64 s[4:5], s[0:1], 0x0
	s_mov_b32 s6, s15
	s_mov_b32 s7, 0
	v_dual_mov_b32 v9, 0 :: v_dual_and_b32 v6, 0x3ff, v0
	s_lshl_b64 s[8:9], s[6:7], 3
	v_bfe_u32 v7, v0, 10, 10
	v_dual_mov_b32 v8, 0 :: v_dual_mov_b32 v1, 0
	v_mov_b32_e32 v0, 0
	s_waitcnt lgkmcnt(0)
	s_add_u32 s2, s2, s8
	s_addc_u32 s3, s3, s9
	s_lshl_b32 s6, s13, 5
	s_load_b64 s[2:3], s[2:3], 0x0
	s_lshl_b32 s10, s14, 5
	s_cmp_lt_i32 s5, 1
	s_cbranch_scc1 .LBB476_3
; %bb.1:
	s_clause 0x3
	s_load_b64 s[12:13], s[0:1], 0x8
	s_load_b64 s[14:15], s[0:1], 0x20
	s_load_b32 s11, s[0:1], 0x10
	s_load_b32 s16, s[0:1], 0x28
	v_lshl_add_u32 v2, v7, 4, v6
	v_dual_mov_b32 v1, 0 :: v_dual_and_b32 v0, 7, v6
	v_lshlrev_b32_e32 v10, 2, v6
	s_delay_alu instid0(VALU_DEP_3) | instskip(SKIP_3) | instid1(VALU_DEP_4)
	v_and_b32_e32 v9, 31, v2
	v_lshrrev_b32_e32 v8, 3, v2
	v_lshrrev_b32_e32 v2, 5, v2
	v_mov_b32_e32 v3, v1
	v_add_nc_u32_e32 v11, s6, v9
	s_delay_alu instid0(VALU_DEP_4)
	v_add_nc_u32_e32 v12, s10, v8
	s_waitcnt lgkmcnt(0)
	s_add_u32 s12, s12, s8
	s_addc_u32 s13, s13, s9
	s_add_u32 s8, s14, s8
	s_load_b64 s[12:13], s[12:13], 0x0
	s_addc_u32 s9, s15, s9
	v_mad_i64_i32 v[4:5], null, s11, v11, v[2:3]
	s_load_b64 s[8:9], s[8:9], 0x0
	v_lshlrev_b32_e32 v3, 2, v0
	v_mad_i64_i32 v[14:15], null, s16, v12, v[0:1]
	v_dual_mov_b32 v0, v1 :: v_dual_lshlrev_b32 v9, 2, v9
	s_delay_alu instid0(VALU_DEP_3)
	v_lshl_or_b32 v13, v8, 5, v3
	v_lshlrev_b64 v[3:4], 2, v[4:5]
	v_lshl_add_u32 v11, v7, 5, 0x400
	v_mov_b32_e32 v8, v1
	v_lshlrev_b64 v[14:15], 2, v[14:15]
	v_lshl_or_b32 v12, v2, 7, v9
	v_mov_b32_e32 v9, v1
	v_add_nc_u32_e32 v13, 0x400, v13
	s_waitcnt lgkmcnt(0)
	v_add_co_u32 v2, vcc_lo, s12, v3
	v_add_co_ci_u32_e32 v3, vcc_lo, s13, v4, vcc_lo
	v_add_co_u32 v4, vcc_lo, s8, v14
	v_add_co_ci_u32_e32 v5, vcc_lo, s9, v15, vcc_lo
.LBB476_2:                              ; =>This Inner Loop Header: Depth=1
	global_load_b32 v14, v[2:3], off
	global_load_b32 v15, v[4:5], off
	v_add_co_u32 v2, vcc_lo, v2, 32
	v_add_co_ci_u32_e32 v3, vcc_lo, 0, v3, vcc_lo
	v_add_co_u32 v4, vcc_lo, v4, 32
	v_add_co_ci_u32_e32 v5, vcc_lo, 0, v5, vcc_lo
	s_add_i32 s7, s7, 8
	s_waitcnt vmcnt(1)
	ds_store_b32 v12, v14
	s_waitcnt vmcnt(0)
	ds_store_b32 v13, v15
	s_waitcnt lgkmcnt(0)
	s_barrier
	buffer_gl0_inv
	ds_load_2addr_b32 v[30:31], v10 offset1:16
	ds_load_b128 v[14:17], v11
	ds_load_b128 v[18:21], v11 offset:512
	ds_load_2addr_b32 v[32:33], v10 offset0:32 offset1:48
	ds_load_2addr_b32 v[34:35], v10 offset0:64 offset1:80
	ds_load_b128 v[22:25], v11 offset:16
	ds_load_2addr_b32 v[36:37], v10 offset0:96 offset1:112
	ds_load_2addr_b32 v[38:39], v10 offset0:128 offset1:144
	;; [unrolled: 3-line block ×3, first 2 shown]
	ds_load_2addr_b32 v[44:45], v10 offset0:224 offset1:240
	s_cmp_ge_i32 s7, s5
	s_waitcnt lgkmcnt(0)
	s_barrier
	buffer_gl0_inv
	v_fmac_f32_e32 v8, v31, v14
	v_fmac_f32_e32 v9, v30, v14
	;; [unrolled: 1-line block ×4, first 2 shown]
	s_delay_alu instid0(VALU_DEP_4) | instskip(NEXT) | instid1(VALU_DEP_4)
	v_fmac_f32_e32 v8, v33, v15
	v_fmac_f32_e32 v9, v32, v15
	s_delay_alu instid0(VALU_DEP_4) | instskip(NEXT) | instid1(VALU_DEP_4)
	v_fmac_f32_e32 v1, v33, v19
	v_fmac_f32_e32 v0, v32, v19
	;; [unrolled: 3-line block ×14, first 2 shown]
	s_cbranch_scc0 .LBB476_2
.LBB476_3:
	s_load_b32 s5, s[0:1], 0x40
	v_add_nc_u32_e32 v7, s10, v7
	v_add_nc_u32_e32 v2, s6, v6
	s_delay_alu instid0(VALU_DEP_1) | instskip(SKIP_1) | instid1(VALU_DEP_2)
	v_cmp_le_i32_e64 s0, v7, v2
	v_cmp_gt_i32_e32 vcc_lo, s4, v2
	s_and_b32 s0, s0, vcc_lo
	s_waitcnt lgkmcnt(0)
	v_mad_i64_i32 v[3:4], null, v7, s5, 0
	s_delay_alu instid0(VALU_DEP_1) | instskip(NEXT) | instid1(VALU_DEP_1)
	v_lshlrev_b64 v[3:4], 2, v[3:4]
	v_add_co_u32 v6, s1, s2, v3
	s_delay_alu instid0(VALU_DEP_1)
	v_add_co_ci_u32_e64 v10, s1, s3, v4, s1
	s_and_saveexec_b32 s1, s0
	s_cbranch_execz .LBB476_5
; %bb.4:
	v_ashrrev_i32_e32 v3, 31, v2
	s_delay_alu instid0(VALU_DEP_1) | instskip(NEXT) | instid1(VALU_DEP_1)
	v_lshlrev_b64 v[3:4], 2, v[2:3]
	v_add_co_u32 v3, s0, v6, v3
	s_delay_alu instid0(VALU_DEP_1)
	v_add_co_ci_u32_e64 v4, s0, v10, v4, s0
	global_store_b32 v[3:4], v9, off
.LBB476_5:
	s_or_b32 exec_lo, exec_lo, s1
	v_add_nc_u32_e32 v4, 16, v2
	s_delay_alu instid0(VALU_DEP_1) | instskip(SKIP_1) | instid1(VALU_DEP_1)
	v_cmp_le_i32_e64 s1, v7, v4
	v_cmp_gt_i32_e64 s0, s4, v4
	s_and_b32 s1, s1, s0
	s_delay_alu instid0(SALU_CYCLE_1)
	s_and_saveexec_b32 s4, s1
	s_cbranch_execz .LBB476_7
; %bb.6:
	v_ashrrev_i32_e32 v5, 31, v4
	s_delay_alu instid0(VALU_DEP_1) | instskip(NEXT) | instid1(VALU_DEP_1)
	v_lshlrev_b64 v[11:12], 2, v[4:5]
	v_add_co_u32 v5, s1, v6, v11
	s_delay_alu instid0(VALU_DEP_1)
	v_add_co_ci_u32_e64 v6, s1, v10, v12, s1
	global_store_b32 v[5:6], v8, off
.LBB476_7:
	s_or_b32 exec_lo, exec_lo, s4
	v_add_nc_u32_e32 v5, 16, v7
	s_delay_alu instid0(VALU_DEP_1) | instskip(SKIP_1) | instid1(VALU_DEP_2)
	v_mad_i64_i32 v[6:7], null, v5, s5, 0
	v_cmp_le_i32_e64 s1, v5, v2
	v_lshlrev_b64 v[6:7], 2, v[6:7]
	s_delay_alu instid0(VALU_DEP_1) | instskip(NEXT) | instid1(VALU_DEP_1)
	v_add_co_u32 v6, s2, s2, v6
	v_add_co_ci_u32_e64 v7, s2, s3, v7, s2
	s_delay_alu instid0(VALU_DEP_4) | instskip(NEXT) | instid1(SALU_CYCLE_1)
	s_and_b32 s2, s1, vcc_lo
	s_and_saveexec_b32 s1, s2
	s_cbranch_execz .LBB476_9
; %bb.8:
	v_ashrrev_i32_e32 v3, 31, v2
	s_delay_alu instid0(VALU_DEP_1) | instskip(NEXT) | instid1(VALU_DEP_1)
	v_lshlrev_b64 v[2:3], 2, v[2:3]
	v_add_co_u32 v2, vcc_lo, v6, v2
	s_delay_alu instid0(VALU_DEP_2)
	v_add_co_ci_u32_e32 v3, vcc_lo, v7, v3, vcc_lo
	global_store_b32 v[2:3], v0, off
.LBB476_9:
	s_or_b32 exec_lo, exec_lo, s1
	v_cmp_le_i32_e32 vcc_lo, v5, v4
	s_and_b32 s0, vcc_lo, s0
	s_delay_alu instid0(SALU_CYCLE_1)
	s_and_saveexec_b32 s1, s0
	s_cbranch_execz .LBB476_11
; %bb.10:
	v_ashrrev_i32_e32 v5, 31, v4
	s_delay_alu instid0(VALU_DEP_1) | instskip(NEXT) | instid1(VALU_DEP_1)
	v_lshlrev_b64 v[2:3], 2, v[4:5]
	v_add_co_u32 v2, vcc_lo, v6, v2
	s_delay_alu instid0(VALU_DEP_2)
	v_add_co_ci_u32_e32 v3, vcc_lo, v7, v3, vcc_lo
	global_store_b32 v[2:3], v1, off
.LBB476_11:
	s_nop 0
	s_sendmsg sendmsg(MSG_DEALLOC_VGPRS)
	s_endpgm
	.section	.rodata,"a",@progbits
	.p2align	6, 0x0
	.amdhsa_kernel _ZL37rocblas_syrkx_herkx_restricted_kernelIifLi16ELi32ELi8ELi1ELi0ELb0ELc84ELc76EKPKfKPfEviT_PT9_S5_lS7_S5_lPT10_S5_li
		.amdhsa_group_segment_fixed_size 2048
		.amdhsa_private_segment_fixed_size 0
		.amdhsa_kernarg_size 84
		.amdhsa_user_sgpr_count 13
		.amdhsa_user_sgpr_dispatch_ptr 0
		.amdhsa_user_sgpr_queue_ptr 0
		.amdhsa_user_sgpr_kernarg_segment_ptr 1
		.amdhsa_user_sgpr_dispatch_id 0
		.amdhsa_user_sgpr_private_segment_size 0
		.amdhsa_wavefront_size32 1
		.amdhsa_uses_dynamic_stack 0
		.amdhsa_enable_private_segment 0
		.amdhsa_system_sgpr_workgroup_id_x 1
		.amdhsa_system_sgpr_workgroup_id_y 1
		.amdhsa_system_sgpr_workgroup_id_z 1
		.amdhsa_system_sgpr_workgroup_info 0
		.amdhsa_system_vgpr_workitem_id 1
		.amdhsa_next_free_vgpr 46
		.amdhsa_next_free_sgpr 17
		.amdhsa_reserve_vcc 1
		.amdhsa_float_round_mode_32 0
		.amdhsa_float_round_mode_16_64 0
		.amdhsa_float_denorm_mode_32 3
		.amdhsa_float_denorm_mode_16_64 3
		.amdhsa_dx10_clamp 1
		.amdhsa_ieee_mode 1
		.amdhsa_fp16_overflow 0
		.amdhsa_workgroup_processor_mode 1
		.amdhsa_memory_ordered 1
		.amdhsa_forward_progress 0
		.amdhsa_shared_vgpr_count 0
		.amdhsa_exception_fp_ieee_invalid_op 0
		.amdhsa_exception_fp_denorm_src 0
		.amdhsa_exception_fp_ieee_div_zero 0
		.amdhsa_exception_fp_ieee_overflow 0
		.amdhsa_exception_fp_ieee_underflow 0
		.amdhsa_exception_fp_ieee_inexact 0
		.amdhsa_exception_int_div_zero 0
	.end_amdhsa_kernel
	.section	.text._ZL37rocblas_syrkx_herkx_restricted_kernelIifLi16ELi32ELi8ELi1ELi0ELb0ELc84ELc76EKPKfKPfEviT_PT9_S5_lS7_S5_lPT10_S5_li,"axG",@progbits,_ZL37rocblas_syrkx_herkx_restricted_kernelIifLi16ELi32ELi8ELi1ELi0ELb0ELc84ELc76EKPKfKPfEviT_PT9_S5_lS7_S5_lPT10_S5_li,comdat
.Lfunc_end476:
	.size	_ZL37rocblas_syrkx_herkx_restricted_kernelIifLi16ELi32ELi8ELi1ELi0ELb0ELc84ELc76EKPKfKPfEviT_PT9_S5_lS7_S5_lPT10_S5_li, .Lfunc_end476-_ZL37rocblas_syrkx_herkx_restricted_kernelIifLi16ELi32ELi8ELi1ELi0ELb0ELc84ELc76EKPKfKPfEviT_PT9_S5_lS7_S5_lPT10_S5_li
                                        ; -- End function
	.section	.AMDGPU.csdata,"",@progbits
; Kernel info:
; codeLenInByte = 1140
; NumSgprs: 19
; NumVgprs: 46
; ScratchSize: 0
; MemoryBound: 0
; FloatMode: 240
; IeeeMode: 1
; LDSByteSize: 2048 bytes/workgroup (compile time only)
; SGPRBlocks: 2
; VGPRBlocks: 5
; NumSGPRsForWavesPerEU: 19
; NumVGPRsForWavesPerEU: 46
; Occupancy: 16
; WaveLimiterHint : 1
; COMPUTE_PGM_RSRC2:SCRATCH_EN: 0
; COMPUTE_PGM_RSRC2:USER_SGPR: 13
; COMPUTE_PGM_RSRC2:TRAP_HANDLER: 0
; COMPUTE_PGM_RSRC2:TGID_X_EN: 1
; COMPUTE_PGM_RSRC2:TGID_Y_EN: 1
; COMPUTE_PGM_RSRC2:TGID_Z_EN: 1
; COMPUTE_PGM_RSRC2:TIDIG_COMP_CNT: 1
	.section	.text._ZL37rocblas_syrkx_herkx_restricted_kernelIifLi16ELi32ELi8ELi1ELi0ELb0ELc67ELc76EKPKfKPfEviT_PT9_S5_lS7_S5_lPT10_S5_li,"axG",@progbits,_ZL37rocblas_syrkx_herkx_restricted_kernelIifLi16ELi32ELi8ELi1ELi0ELb0ELc67ELc76EKPKfKPfEviT_PT9_S5_lS7_S5_lPT10_S5_li,comdat
	.globl	_ZL37rocblas_syrkx_herkx_restricted_kernelIifLi16ELi32ELi8ELi1ELi0ELb0ELc67ELc76EKPKfKPfEviT_PT9_S5_lS7_S5_lPT10_S5_li ; -- Begin function _ZL37rocblas_syrkx_herkx_restricted_kernelIifLi16ELi32ELi8ELi1ELi0ELb0ELc67ELc76EKPKfKPfEviT_PT9_S5_lS7_S5_lPT10_S5_li
	.p2align	8
	.type	_ZL37rocblas_syrkx_herkx_restricted_kernelIifLi16ELi32ELi8ELi1ELi0ELb0ELc67ELc76EKPKfKPfEviT_PT9_S5_lS7_S5_lPT10_S5_li,@function
_ZL37rocblas_syrkx_herkx_restricted_kernelIifLi16ELi32ELi8ELi1ELi0ELb0ELc67ELc76EKPKfKPfEviT_PT9_S5_lS7_S5_lPT10_S5_li: ; @_ZL37rocblas_syrkx_herkx_restricted_kernelIifLi16ELi32ELi8ELi1ELi0ELb0ELc67ELc76EKPKfKPfEviT_PT9_S5_lS7_S5_lPT10_S5_li
; %bb.0:
	s_clause 0x1
	s_load_b64 s[2:3], s[0:1], 0x38
	s_load_b64 s[4:5], s[0:1], 0x0
	s_mov_b32 s6, s15
	s_mov_b32 s7, 0
	v_dual_mov_b32 v9, 0 :: v_dual_and_b32 v6, 0x3ff, v0
	s_lshl_b64 s[8:9], s[6:7], 3
	v_bfe_u32 v7, v0, 10, 10
	v_dual_mov_b32 v8, 0 :: v_dual_mov_b32 v1, 0
	v_mov_b32_e32 v0, 0
	s_waitcnt lgkmcnt(0)
	s_add_u32 s2, s2, s8
	s_addc_u32 s3, s3, s9
	s_lshl_b32 s6, s13, 5
	s_load_b64 s[2:3], s[2:3], 0x0
	s_lshl_b32 s10, s14, 5
	s_cmp_lt_i32 s5, 1
	s_cbranch_scc1 .LBB477_3
; %bb.1:
	s_clause 0x3
	s_load_b64 s[12:13], s[0:1], 0x8
	s_load_b64 s[14:15], s[0:1], 0x20
	s_load_b32 s11, s[0:1], 0x10
	s_load_b32 s16, s[0:1], 0x28
	v_lshl_add_u32 v2, v7, 4, v6
	v_dual_mov_b32 v1, 0 :: v_dual_and_b32 v0, 7, v6
	v_lshlrev_b32_e32 v10, 2, v6
	s_delay_alu instid0(VALU_DEP_3) | instskip(SKIP_3) | instid1(VALU_DEP_4)
	v_and_b32_e32 v9, 31, v2
	v_lshrrev_b32_e32 v8, 3, v2
	v_lshrrev_b32_e32 v2, 5, v2
	v_mov_b32_e32 v3, v1
	v_add_nc_u32_e32 v11, s6, v9
	s_delay_alu instid0(VALU_DEP_4)
	v_add_nc_u32_e32 v12, s10, v8
	s_waitcnt lgkmcnt(0)
	s_add_u32 s12, s12, s8
	s_addc_u32 s13, s13, s9
	s_add_u32 s8, s14, s8
	s_load_b64 s[12:13], s[12:13], 0x0
	s_addc_u32 s9, s15, s9
	v_mad_i64_i32 v[4:5], null, s11, v11, v[2:3]
	s_load_b64 s[8:9], s[8:9], 0x0
	v_lshlrev_b32_e32 v3, 2, v0
	v_mad_i64_i32 v[14:15], null, s16, v12, v[0:1]
	v_dual_mov_b32 v0, v1 :: v_dual_lshlrev_b32 v9, 2, v9
	s_delay_alu instid0(VALU_DEP_3)
	v_lshl_or_b32 v13, v8, 5, v3
	v_lshlrev_b64 v[3:4], 2, v[4:5]
	v_lshl_add_u32 v11, v7, 5, 0x400
	v_mov_b32_e32 v8, v1
	v_lshlrev_b64 v[14:15], 2, v[14:15]
	v_lshl_or_b32 v12, v2, 7, v9
	v_mov_b32_e32 v9, v1
	v_add_nc_u32_e32 v13, 0x400, v13
	s_waitcnt lgkmcnt(0)
	v_add_co_u32 v2, vcc_lo, s12, v3
	v_add_co_ci_u32_e32 v3, vcc_lo, s13, v4, vcc_lo
	v_add_co_u32 v4, vcc_lo, s8, v14
	v_add_co_ci_u32_e32 v5, vcc_lo, s9, v15, vcc_lo
.LBB477_2:                              ; =>This Inner Loop Header: Depth=1
	global_load_b32 v14, v[2:3], off
	global_load_b32 v15, v[4:5], off
	v_add_co_u32 v2, vcc_lo, v2, 32
	v_add_co_ci_u32_e32 v3, vcc_lo, 0, v3, vcc_lo
	v_add_co_u32 v4, vcc_lo, v4, 32
	v_add_co_ci_u32_e32 v5, vcc_lo, 0, v5, vcc_lo
	s_add_i32 s7, s7, 8
	s_waitcnt vmcnt(1)
	ds_store_b32 v12, v14
	s_waitcnt vmcnt(0)
	ds_store_b32 v13, v15
	s_waitcnt lgkmcnt(0)
	s_barrier
	buffer_gl0_inv
	ds_load_2addr_b32 v[30:31], v10 offset1:16
	ds_load_b128 v[14:17], v11
	ds_load_b128 v[18:21], v11 offset:512
	ds_load_2addr_b32 v[32:33], v10 offset0:32 offset1:48
	ds_load_2addr_b32 v[34:35], v10 offset0:64 offset1:80
	ds_load_b128 v[22:25], v11 offset:16
	ds_load_2addr_b32 v[36:37], v10 offset0:96 offset1:112
	ds_load_2addr_b32 v[38:39], v10 offset0:128 offset1:144
	;; [unrolled: 3-line block ×3, first 2 shown]
	ds_load_2addr_b32 v[44:45], v10 offset0:224 offset1:240
	s_cmp_ge_i32 s7, s5
	s_waitcnt lgkmcnt(0)
	s_barrier
	buffer_gl0_inv
	v_fmac_f32_e32 v8, v31, v14
	v_fmac_f32_e32 v9, v30, v14
	;; [unrolled: 1-line block ×4, first 2 shown]
	s_delay_alu instid0(VALU_DEP_4) | instskip(NEXT) | instid1(VALU_DEP_4)
	v_fmac_f32_e32 v8, v33, v15
	v_fmac_f32_e32 v9, v32, v15
	s_delay_alu instid0(VALU_DEP_4) | instskip(NEXT) | instid1(VALU_DEP_4)
	v_fmac_f32_e32 v1, v33, v19
	v_fmac_f32_e32 v0, v32, v19
	;; [unrolled: 3-line block ×14, first 2 shown]
	s_cbranch_scc0 .LBB477_2
.LBB477_3:
	s_load_b32 s5, s[0:1], 0x40
	v_add_nc_u32_e32 v7, s10, v7
	v_add_nc_u32_e32 v2, s6, v6
	s_delay_alu instid0(VALU_DEP_1) | instskip(SKIP_1) | instid1(VALU_DEP_2)
	v_cmp_le_i32_e64 s0, v7, v2
	v_cmp_gt_i32_e32 vcc_lo, s4, v2
	s_and_b32 s0, s0, vcc_lo
	s_waitcnt lgkmcnt(0)
	v_mad_i64_i32 v[3:4], null, v7, s5, 0
	s_delay_alu instid0(VALU_DEP_1) | instskip(NEXT) | instid1(VALU_DEP_1)
	v_lshlrev_b64 v[3:4], 2, v[3:4]
	v_add_co_u32 v6, s1, s2, v3
	s_delay_alu instid0(VALU_DEP_1)
	v_add_co_ci_u32_e64 v10, s1, s3, v4, s1
	s_and_saveexec_b32 s1, s0
	s_cbranch_execz .LBB477_5
; %bb.4:
	v_ashrrev_i32_e32 v3, 31, v2
	s_delay_alu instid0(VALU_DEP_1) | instskip(NEXT) | instid1(VALU_DEP_1)
	v_lshlrev_b64 v[3:4], 2, v[2:3]
	v_add_co_u32 v3, s0, v6, v3
	s_delay_alu instid0(VALU_DEP_1)
	v_add_co_ci_u32_e64 v4, s0, v10, v4, s0
	global_store_b32 v[3:4], v9, off
.LBB477_5:
	s_or_b32 exec_lo, exec_lo, s1
	v_add_nc_u32_e32 v4, 16, v2
	s_delay_alu instid0(VALU_DEP_1) | instskip(SKIP_1) | instid1(VALU_DEP_1)
	v_cmp_le_i32_e64 s1, v7, v4
	v_cmp_gt_i32_e64 s0, s4, v4
	s_and_b32 s1, s1, s0
	s_delay_alu instid0(SALU_CYCLE_1)
	s_and_saveexec_b32 s4, s1
	s_cbranch_execz .LBB477_7
; %bb.6:
	v_ashrrev_i32_e32 v5, 31, v4
	s_delay_alu instid0(VALU_DEP_1) | instskip(NEXT) | instid1(VALU_DEP_1)
	v_lshlrev_b64 v[11:12], 2, v[4:5]
	v_add_co_u32 v5, s1, v6, v11
	s_delay_alu instid0(VALU_DEP_1)
	v_add_co_ci_u32_e64 v6, s1, v10, v12, s1
	global_store_b32 v[5:6], v8, off
.LBB477_7:
	s_or_b32 exec_lo, exec_lo, s4
	v_add_nc_u32_e32 v5, 16, v7
	s_delay_alu instid0(VALU_DEP_1) | instskip(SKIP_1) | instid1(VALU_DEP_2)
	v_mad_i64_i32 v[6:7], null, v5, s5, 0
	v_cmp_le_i32_e64 s1, v5, v2
	v_lshlrev_b64 v[6:7], 2, v[6:7]
	s_delay_alu instid0(VALU_DEP_1) | instskip(NEXT) | instid1(VALU_DEP_1)
	v_add_co_u32 v6, s2, s2, v6
	v_add_co_ci_u32_e64 v7, s2, s3, v7, s2
	s_delay_alu instid0(VALU_DEP_4) | instskip(NEXT) | instid1(SALU_CYCLE_1)
	s_and_b32 s2, s1, vcc_lo
	s_and_saveexec_b32 s1, s2
	s_cbranch_execz .LBB477_9
; %bb.8:
	v_ashrrev_i32_e32 v3, 31, v2
	s_delay_alu instid0(VALU_DEP_1) | instskip(NEXT) | instid1(VALU_DEP_1)
	v_lshlrev_b64 v[2:3], 2, v[2:3]
	v_add_co_u32 v2, vcc_lo, v6, v2
	s_delay_alu instid0(VALU_DEP_2)
	v_add_co_ci_u32_e32 v3, vcc_lo, v7, v3, vcc_lo
	global_store_b32 v[2:3], v0, off
.LBB477_9:
	s_or_b32 exec_lo, exec_lo, s1
	v_cmp_le_i32_e32 vcc_lo, v5, v4
	s_and_b32 s0, vcc_lo, s0
	s_delay_alu instid0(SALU_CYCLE_1)
	s_and_saveexec_b32 s1, s0
	s_cbranch_execz .LBB477_11
; %bb.10:
	v_ashrrev_i32_e32 v5, 31, v4
	s_delay_alu instid0(VALU_DEP_1) | instskip(NEXT) | instid1(VALU_DEP_1)
	v_lshlrev_b64 v[2:3], 2, v[4:5]
	v_add_co_u32 v2, vcc_lo, v6, v2
	s_delay_alu instid0(VALU_DEP_2)
	v_add_co_ci_u32_e32 v3, vcc_lo, v7, v3, vcc_lo
	global_store_b32 v[2:3], v1, off
.LBB477_11:
	s_nop 0
	s_sendmsg sendmsg(MSG_DEALLOC_VGPRS)
	s_endpgm
	.section	.rodata,"a",@progbits
	.p2align	6, 0x0
	.amdhsa_kernel _ZL37rocblas_syrkx_herkx_restricted_kernelIifLi16ELi32ELi8ELi1ELi0ELb0ELc67ELc76EKPKfKPfEviT_PT9_S5_lS7_S5_lPT10_S5_li
		.amdhsa_group_segment_fixed_size 2048
		.amdhsa_private_segment_fixed_size 0
		.amdhsa_kernarg_size 84
		.amdhsa_user_sgpr_count 13
		.amdhsa_user_sgpr_dispatch_ptr 0
		.amdhsa_user_sgpr_queue_ptr 0
		.amdhsa_user_sgpr_kernarg_segment_ptr 1
		.amdhsa_user_sgpr_dispatch_id 0
		.amdhsa_user_sgpr_private_segment_size 0
		.amdhsa_wavefront_size32 1
		.amdhsa_uses_dynamic_stack 0
		.amdhsa_enable_private_segment 0
		.amdhsa_system_sgpr_workgroup_id_x 1
		.amdhsa_system_sgpr_workgroup_id_y 1
		.amdhsa_system_sgpr_workgroup_id_z 1
		.amdhsa_system_sgpr_workgroup_info 0
		.amdhsa_system_vgpr_workitem_id 1
		.amdhsa_next_free_vgpr 46
		.amdhsa_next_free_sgpr 17
		.amdhsa_reserve_vcc 1
		.amdhsa_float_round_mode_32 0
		.amdhsa_float_round_mode_16_64 0
		.amdhsa_float_denorm_mode_32 3
		.amdhsa_float_denorm_mode_16_64 3
		.amdhsa_dx10_clamp 1
		.amdhsa_ieee_mode 1
		.amdhsa_fp16_overflow 0
		.amdhsa_workgroup_processor_mode 1
		.amdhsa_memory_ordered 1
		.amdhsa_forward_progress 0
		.amdhsa_shared_vgpr_count 0
		.amdhsa_exception_fp_ieee_invalid_op 0
		.amdhsa_exception_fp_denorm_src 0
		.amdhsa_exception_fp_ieee_div_zero 0
		.amdhsa_exception_fp_ieee_overflow 0
		.amdhsa_exception_fp_ieee_underflow 0
		.amdhsa_exception_fp_ieee_inexact 0
		.amdhsa_exception_int_div_zero 0
	.end_amdhsa_kernel
	.section	.text._ZL37rocblas_syrkx_herkx_restricted_kernelIifLi16ELi32ELi8ELi1ELi0ELb0ELc67ELc76EKPKfKPfEviT_PT9_S5_lS7_S5_lPT10_S5_li,"axG",@progbits,_ZL37rocblas_syrkx_herkx_restricted_kernelIifLi16ELi32ELi8ELi1ELi0ELb0ELc67ELc76EKPKfKPfEviT_PT9_S5_lS7_S5_lPT10_S5_li,comdat
.Lfunc_end477:
	.size	_ZL37rocblas_syrkx_herkx_restricted_kernelIifLi16ELi32ELi8ELi1ELi0ELb0ELc67ELc76EKPKfKPfEviT_PT9_S5_lS7_S5_lPT10_S5_li, .Lfunc_end477-_ZL37rocblas_syrkx_herkx_restricted_kernelIifLi16ELi32ELi8ELi1ELi0ELb0ELc67ELc76EKPKfKPfEviT_PT9_S5_lS7_S5_lPT10_S5_li
                                        ; -- End function
	.section	.AMDGPU.csdata,"",@progbits
; Kernel info:
; codeLenInByte = 1140
; NumSgprs: 19
; NumVgprs: 46
; ScratchSize: 0
; MemoryBound: 0
; FloatMode: 240
; IeeeMode: 1
; LDSByteSize: 2048 bytes/workgroup (compile time only)
; SGPRBlocks: 2
; VGPRBlocks: 5
; NumSGPRsForWavesPerEU: 19
; NumVGPRsForWavesPerEU: 46
; Occupancy: 16
; WaveLimiterHint : 1
; COMPUTE_PGM_RSRC2:SCRATCH_EN: 0
; COMPUTE_PGM_RSRC2:USER_SGPR: 13
; COMPUTE_PGM_RSRC2:TRAP_HANDLER: 0
; COMPUTE_PGM_RSRC2:TGID_X_EN: 1
; COMPUTE_PGM_RSRC2:TGID_Y_EN: 1
; COMPUTE_PGM_RSRC2:TGID_Z_EN: 1
; COMPUTE_PGM_RSRC2:TIDIG_COMP_CNT: 1
	.section	.text._ZL37rocblas_syrkx_herkx_restricted_kernelIifLi16ELi32ELi8ELi1ELi0ELb0ELc78ELc76EKPKfKPfEviT_PT9_S5_lS7_S5_lPT10_S5_li,"axG",@progbits,_ZL37rocblas_syrkx_herkx_restricted_kernelIifLi16ELi32ELi8ELi1ELi0ELb0ELc78ELc76EKPKfKPfEviT_PT9_S5_lS7_S5_lPT10_S5_li,comdat
	.globl	_ZL37rocblas_syrkx_herkx_restricted_kernelIifLi16ELi32ELi8ELi1ELi0ELb0ELc78ELc76EKPKfKPfEviT_PT9_S5_lS7_S5_lPT10_S5_li ; -- Begin function _ZL37rocblas_syrkx_herkx_restricted_kernelIifLi16ELi32ELi8ELi1ELi0ELb0ELc78ELc76EKPKfKPfEviT_PT9_S5_lS7_S5_lPT10_S5_li
	.p2align	8
	.type	_ZL37rocblas_syrkx_herkx_restricted_kernelIifLi16ELi32ELi8ELi1ELi0ELb0ELc78ELc76EKPKfKPfEviT_PT9_S5_lS7_S5_lPT10_S5_li,@function
_ZL37rocblas_syrkx_herkx_restricted_kernelIifLi16ELi32ELi8ELi1ELi0ELb0ELc78ELc76EKPKfKPfEviT_PT9_S5_lS7_S5_lPT10_S5_li: ; @_ZL37rocblas_syrkx_herkx_restricted_kernelIifLi16ELi32ELi8ELi1ELi0ELb0ELc78ELc76EKPKfKPfEviT_PT9_S5_lS7_S5_lPT10_S5_li
; %bb.0:
	s_clause 0x1
	s_load_b64 s[2:3], s[0:1], 0x38
	s_load_b64 s[4:5], s[0:1], 0x0
	s_mov_b32 s6, s15
	s_mov_b32 s7, 0
	v_dual_mov_b32 v8, 0 :: v_dual_and_b32 v5, 0x3ff, v0
	s_lshl_b64 s[8:9], s[6:7], 3
	v_bfe_u32 v6, v0, 10, 10
	v_dual_mov_b32 v9, 0 :: v_dual_mov_b32 v4, 0
	v_mov_b32_e32 v7, 0
	s_waitcnt lgkmcnt(0)
	s_add_u32 s2, s2, s8
	s_addc_u32 s3, s3, s9
	s_lshl_b32 s6, s13, 5
	s_load_b64 s[2:3], s[2:3], 0x0
	s_lshl_b32 s12, s14, 5
	s_cmp_lt_i32 s5, 1
	s_cbranch_scc1 .LBB478_3
; %bb.1:
	s_clause 0x3
	s_load_b32 s10, s[0:1], 0x10
	s_load_b32 s14, s[0:1], 0x28
	s_load_b64 s[16:17], s[0:1], 0x8
	s_load_b64 s[18:19], s[0:1], 0x20
	v_lshl_add_u32 v0, v6, 4, v5
	v_dual_mov_b32 v4, 0 :: v_dual_and_b32 v7, 7, v5
	v_lshlrev_b32_e32 v10, 2, v5
	v_lshl_add_u32 v11, v6, 5, 0x400
	s_delay_alu instid0(VALU_DEP_4) | instskip(SKIP_3) | instid1(VALU_DEP_4)
	v_and_b32_e32 v13, 31, v0
	v_lshrrev_b32_e32 v12, 3, v0
	v_lshrrev_b32_e32 v14, 5, v0
	v_lshlrev_b32_e32 v15, 2, v7
	v_add_nc_u32_e32 v2, s6, v13
	s_delay_alu instid0(VALU_DEP_4) | instskip(NEXT) | instid1(VALU_DEP_3)
	v_add_nc_u32_e32 v0, s12, v12
	v_lshl_or_b32 v15, v12, 5, v15
	s_delay_alu instid0(VALU_DEP_3)
	v_ashrrev_i32_e32 v3, 31, v2
	s_waitcnt lgkmcnt(0)
	s_ashr_i32 s11, s10, 31
	s_ashr_i32 s15, s14, 31
	s_add_u32 s16, s16, s8
	s_addc_u32 s17, s17, s9
	s_add_u32 s8, s18, s8
	s_load_b64 s[16:17], s[16:17], 0x0
	s_addc_u32 s9, s19, s9
	v_ashrrev_i32_e32 v1, 31, v0
	s_load_b64 s[8:9], s[8:9], 0x0
	v_mad_i64_i32 v[8:9], null, s10, v14, v[2:3]
	s_delay_alu instid0(VALU_DEP_2) | instskip(SKIP_1) | instid1(VALU_DEP_3)
	v_mad_i64_i32 v[2:3], null, s14, v7, v[0:1]
	v_mov_b32_e32 v7, 0
	v_lshlrev_b64 v[0:1], 2, v[8:9]
	v_dual_mov_b32 v9, 0 :: v_dual_mov_b32 v8, 0
	s_delay_alu instid0(VALU_DEP_4) | instskip(SKIP_2) | instid1(VALU_DEP_4)
	v_lshlrev_b64 v[2:3], 2, v[2:3]
	v_lshlrev_b32_e32 v13, 2, v13
	s_waitcnt lgkmcnt(0)
	v_add_co_u32 v0, vcc_lo, s16, v0
	v_add_co_ci_u32_e32 v1, vcc_lo, s17, v1, vcc_lo
	s_delay_alu instid0(VALU_DEP_4)
	v_add_co_u32 v2, vcc_lo, s8, v2
	v_lshl_or_b32 v12, v14, 7, v13
	v_add_nc_u32_e32 v13, 0x400, v15
	v_add_co_ci_u32_e32 v3, vcc_lo, s9, v3, vcc_lo
	s_lshl_b64 s[8:9], s[10:11], 5
	s_lshl_b64 s[10:11], s[14:15], 5
.LBB478_2:                              ; =>This Inner Loop Header: Depth=1
	global_load_b32 v14, v[0:1], off
	global_load_b32 v15, v[2:3], off
	v_add_co_u32 v0, vcc_lo, v0, s8
	v_add_co_ci_u32_e32 v1, vcc_lo, s9, v1, vcc_lo
	v_add_co_u32 v2, vcc_lo, v2, s10
	v_add_co_ci_u32_e32 v3, vcc_lo, s11, v3, vcc_lo
	s_add_i32 s7, s7, 8
	s_waitcnt vmcnt(1)
	ds_store_b32 v12, v14
	s_waitcnt vmcnt(0)
	ds_store_b32 v13, v15
	s_waitcnt lgkmcnt(0)
	s_barrier
	buffer_gl0_inv
	ds_load_2addr_b32 v[30:31], v10 offset1:16
	ds_load_b128 v[14:17], v11
	ds_load_b128 v[18:21], v11 offset:512
	ds_load_2addr_b32 v[32:33], v10 offset0:32 offset1:48
	ds_load_2addr_b32 v[34:35], v10 offset0:64 offset1:80
	ds_load_b128 v[22:25], v11 offset:16
	ds_load_2addr_b32 v[36:37], v10 offset0:96 offset1:112
	ds_load_2addr_b32 v[38:39], v10 offset0:128 offset1:144
	;; [unrolled: 3-line block ×3, first 2 shown]
	ds_load_2addr_b32 v[44:45], v10 offset0:224 offset1:240
	s_cmp_ge_i32 s7, s5
	s_waitcnt lgkmcnt(0)
	s_barrier
	buffer_gl0_inv
	v_fmac_f32_e32 v8, v31, v14
	v_fmac_f32_e32 v9, v30, v14
	;; [unrolled: 1-line block ×3, first 2 shown]
	s_delay_alu instid0(VALU_DEP_3) | instskip(NEXT) | instid1(VALU_DEP_3)
	v_dual_fmac_f32 v7, v30, v18 :: v_dual_fmac_f32 v8, v33, v15
	v_fmac_f32_e32 v9, v32, v15
	s_delay_alu instid0(VALU_DEP_3) | instskip(NEXT) | instid1(VALU_DEP_3)
	v_fmac_f32_e32 v4, v33, v19
	v_dual_fmac_f32 v7, v32, v19 :: v_dual_fmac_f32 v8, v35, v16
	s_delay_alu instid0(VALU_DEP_3) | instskip(NEXT) | instid1(VALU_DEP_3)
	v_fmac_f32_e32 v9, v34, v16
	v_fmac_f32_e32 v4, v35, v20
	s_delay_alu instid0(VALU_DEP_3) | instskip(NEXT) | instid1(VALU_DEP_3)
	v_dual_fmac_f32 v7, v34, v20 :: v_dual_fmac_f32 v8, v37, v17
	v_fmac_f32_e32 v9, v36, v17
	s_delay_alu instid0(VALU_DEP_3) | instskip(NEXT) | instid1(VALU_DEP_3)
	v_fmac_f32_e32 v4, v37, v21
	v_dual_fmac_f32 v7, v36, v21 :: v_dual_fmac_f32 v8, v39, v22
	s_delay_alu instid0(VALU_DEP_3) | instskip(NEXT) | instid1(VALU_DEP_3)
	v_fmac_f32_e32 v9, v38, v22
	v_fmac_f32_e32 v4, v39, v26
	s_delay_alu instid0(VALU_DEP_3) | instskip(NEXT) | instid1(VALU_DEP_3)
	v_dual_fmac_f32 v7, v38, v26 :: v_dual_fmac_f32 v8, v41, v23
	v_fmac_f32_e32 v9, v40, v23
	s_delay_alu instid0(VALU_DEP_3) | instskip(NEXT) | instid1(VALU_DEP_3)
	v_fmac_f32_e32 v4, v41, v27
	v_dual_fmac_f32 v7, v40, v27 :: v_dual_fmac_f32 v8, v43, v24
	s_delay_alu instid0(VALU_DEP_3) | instskip(NEXT) | instid1(VALU_DEP_3)
	v_fmac_f32_e32 v9, v42, v24
	v_fmac_f32_e32 v4, v43, v28
	s_delay_alu instid0(VALU_DEP_3) | instskip(NEXT) | instid1(VALU_DEP_3)
	v_dual_fmac_f32 v7, v42, v28 :: v_dual_fmac_f32 v8, v45, v25
	v_fmac_f32_e32 v9, v44, v25
	s_delay_alu instid0(VALU_DEP_3) | instskip(NEXT) | instid1(VALU_DEP_3)
	v_fmac_f32_e32 v4, v45, v29
	v_fmac_f32_e32 v7, v44, v29
	s_cbranch_scc0 .LBB478_2
.LBB478_3:
	s_load_b32 s5, s[0:1], 0x40
	v_add_nc_u32_e32 v6, s12, v6
	v_add_nc_u32_e32 v0, s6, v5
	s_delay_alu instid0(VALU_DEP_1) | instskip(SKIP_1) | instid1(VALU_DEP_2)
	v_cmp_le_i32_e64 s0, v6, v0
	v_cmp_gt_i32_e32 vcc_lo, s4, v0
	s_and_b32 s0, s0, vcc_lo
	s_waitcnt lgkmcnt(0)
	v_mad_i64_i32 v[1:2], null, v6, s5, 0
	s_delay_alu instid0(VALU_DEP_1) | instskip(NEXT) | instid1(VALU_DEP_1)
	v_lshlrev_b64 v[1:2], 2, v[1:2]
	v_add_co_u32 v5, s1, s2, v1
	s_delay_alu instid0(VALU_DEP_1)
	v_add_co_ci_u32_e64 v10, s1, s3, v2, s1
	s_and_saveexec_b32 s1, s0
	s_cbranch_execz .LBB478_5
; %bb.4:
	v_ashrrev_i32_e32 v1, 31, v0
	s_delay_alu instid0(VALU_DEP_1) | instskip(NEXT) | instid1(VALU_DEP_1)
	v_lshlrev_b64 v[1:2], 2, v[0:1]
	v_add_co_u32 v1, s0, v5, v1
	s_delay_alu instid0(VALU_DEP_1)
	v_add_co_ci_u32_e64 v2, s0, v10, v2, s0
	global_store_b32 v[1:2], v9, off
.LBB478_5:
	s_or_b32 exec_lo, exec_lo, s1
	v_add_nc_u32_e32 v2, 16, v0
	s_delay_alu instid0(VALU_DEP_1) | instskip(SKIP_1) | instid1(VALU_DEP_1)
	v_cmp_le_i32_e64 s1, v6, v2
	v_cmp_gt_i32_e64 s0, s4, v2
	s_and_b32 s1, s1, s0
	s_delay_alu instid0(SALU_CYCLE_1)
	s_and_saveexec_b32 s4, s1
	s_cbranch_execz .LBB478_7
; %bb.6:
	v_ashrrev_i32_e32 v3, 31, v2
	s_delay_alu instid0(VALU_DEP_1) | instskip(NEXT) | instid1(VALU_DEP_1)
	v_lshlrev_b64 v[11:12], 2, v[2:3]
	v_add_co_u32 v9, s1, v5, v11
	s_delay_alu instid0(VALU_DEP_1)
	v_add_co_ci_u32_e64 v10, s1, v10, v12, s1
	global_store_b32 v[9:10], v8, off
.LBB478_7:
	s_or_b32 exec_lo, exec_lo, s4
	v_add_nc_u32_e32 v3, 16, v6
	s_delay_alu instid0(VALU_DEP_1) | instskip(SKIP_1) | instid1(VALU_DEP_2)
	v_mad_i64_i32 v[5:6], null, v3, s5, 0
	v_cmp_le_i32_e64 s1, v3, v0
	v_lshlrev_b64 v[5:6], 2, v[5:6]
	s_delay_alu instid0(VALU_DEP_1) | instskip(NEXT) | instid1(VALU_DEP_1)
	v_add_co_u32 v5, s2, s2, v5
	v_add_co_ci_u32_e64 v6, s2, s3, v6, s2
	s_delay_alu instid0(VALU_DEP_4) | instskip(NEXT) | instid1(SALU_CYCLE_1)
	s_and_b32 s2, s1, vcc_lo
	s_and_saveexec_b32 s1, s2
	s_cbranch_execz .LBB478_9
; %bb.8:
	v_ashrrev_i32_e32 v1, 31, v0
	s_delay_alu instid0(VALU_DEP_1) | instskip(NEXT) | instid1(VALU_DEP_1)
	v_lshlrev_b64 v[0:1], 2, v[0:1]
	v_add_co_u32 v0, vcc_lo, v5, v0
	s_delay_alu instid0(VALU_DEP_2)
	v_add_co_ci_u32_e32 v1, vcc_lo, v6, v1, vcc_lo
	global_store_b32 v[0:1], v7, off
.LBB478_9:
	s_or_b32 exec_lo, exec_lo, s1
	v_cmp_le_i32_e32 vcc_lo, v3, v2
	s_and_b32 s0, vcc_lo, s0
	s_delay_alu instid0(SALU_CYCLE_1)
	s_and_saveexec_b32 s1, s0
	s_cbranch_execz .LBB478_11
; %bb.10:
	v_ashrrev_i32_e32 v3, 31, v2
	s_delay_alu instid0(VALU_DEP_1) | instskip(NEXT) | instid1(VALU_DEP_1)
	v_lshlrev_b64 v[0:1], 2, v[2:3]
	v_add_co_u32 v0, vcc_lo, v5, v0
	s_delay_alu instid0(VALU_DEP_2)
	v_add_co_ci_u32_e32 v1, vcc_lo, v6, v1, vcc_lo
	global_store_b32 v[0:1], v4, off
.LBB478_11:
	s_nop 0
	s_sendmsg sendmsg(MSG_DEALLOC_VGPRS)
	s_endpgm
	.section	.rodata,"a",@progbits
	.p2align	6, 0x0
	.amdhsa_kernel _ZL37rocblas_syrkx_herkx_restricted_kernelIifLi16ELi32ELi8ELi1ELi0ELb0ELc78ELc76EKPKfKPfEviT_PT9_S5_lS7_S5_lPT10_S5_li
		.amdhsa_group_segment_fixed_size 2048
		.amdhsa_private_segment_fixed_size 0
		.amdhsa_kernarg_size 84
		.amdhsa_user_sgpr_count 13
		.amdhsa_user_sgpr_dispatch_ptr 0
		.amdhsa_user_sgpr_queue_ptr 0
		.amdhsa_user_sgpr_kernarg_segment_ptr 1
		.amdhsa_user_sgpr_dispatch_id 0
		.amdhsa_user_sgpr_private_segment_size 0
		.amdhsa_wavefront_size32 1
		.amdhsa_uses_dynamic_stack 0
		.amdhsa_enable_private_segment 0
		.amdhsa_system_sgpr_workgroup_id_x 1
		.amdhsa_system_sgpr_workgroup_id_y 1
		.amdhsa_system_sgpr_workgroup_id_z 1
		.amdhsa_system_sgpr_workgroup_info 0
		.amdhsa_system_vgpr_workitem_id 1
		.amdhsa_next_free_vgpr 46
		.amdhsa_next_free_sgpr 20
		.amdhsa_reserve_vcc 1
		.amdhsa_float_round_mode_32 0
		.amdhsa_float_round_mode_16_64 0
		.amdhsa_float_denorm_mode_32 3
		.amdhsa_float_denorm_mode_16_64 3
		.amdhsa_dx10_clamp 1
		.amdhsa_ieee_mode 1
		.amdhsa_fp16_overflow 0
		.amdhsa_workgroup_processor_mode 1
		.amdhsa_memory_ordered 1
		.amdhsa_forward_progress 0
		.amdhsa_shared_vgpr_count 0
		.amdhsa_exception_fp_ieee_invalid_op 0
		.amdhsa_exception_fp_denorm_src 0
		.amdhsa_exception_fp_ieee_div_zero 0
		.amdhsa_exception_fp_ieee_overflow 0
		.amdhsa_exception_fp_ieee_underflow 0
		.amdhsa_exception_fp_ieee_inexact 0
		.amdhsa_exception_int_div_zero 0
	.end_amdhsa_kernel
	.section	.text._ZL37rocblas_syrkx_herkx_restricted_kernelIifLi16ELi32ELi8ELi1ELi0ELb0ELc78ELc76EKPKfKPfEviT_PT9_S5_lS7_S5_lPT10_S5_li,"axG",@progbits,_ZL37rocblas_syrkx_herkx_restricted_kernelIifLi16ELi32ELi8ELi1ELi0ELb0ELc78ELc76EKPKfKPfEviT_PT9_S5_lS7_S5_lPT10_S5_li,comdat
.Lfunc_end478:
	.size	_ZL37rocblas_syrkx_herkx_restricted_kernelIifLi16ELi32ELi8ELi1ELi0ELb0ELc78ELc76EKPKfKPfEviT_PT9_S5_lS7_S5_lPT10_S5_li, .Lfunc_end478-_ZL37rocblas_syrkx_herkx_restricted_kernelIifLi16ELi32ELi8ELi1ELi0ELb0ELc78ELc76EKPKfKPfEviT_PT9_S5_lS7_S5_lPT10_S5_li
                                        ; -- End function
	.section	.AMDGPU.csdata,"",@progbits
; Kernel info:
; codeLenInByte = 1160
; NumSgprs: 22
; NumVgprs: 46
; ScratchSize: 0
; MemoryBound: 0
; FloatMode: 240
; IeeeMode: 1
; LDSByteSize: 2048 bytes/workgroup (compile time only)
; SGPRBlocks: 2
; VGPRBlocks: 5
; NumSGPRsForWavesPerEU: 22
; NumVGPRsForWavesPerEU: 46
; Occupancy: 16
; WaveLimiterHint : 1
; COMPUTE_PGM_RSRC2:SCRATCH_EN: 0
; COMPUTE_PGM_RSRC2:USER_SGPR: 13
; COMPUTE_PGM_RSRC2:TRAP_HANDLER: 0
; COMPUTE_PGM_RSRC2:TGID_X_EN: 1
; COMPUTE_PGM_RSRC2:TGID_Y_EN: 1
; COMPUTE_PGM_RSRC2:TGID_Z_EN: 1
; COMPUTE_PGM_RSRC2:TIDIG_COMP_CNT: 1
	.section	.text._ZL37rocblas_syrkx_herkx_restricted_kernelIifLi16ELi32ELi8ELi1ELi0ELb0ELc84ELc85EKPKfKPfEviT_PT9_S5_lS7_S5_lPT10_S5_li,"axG",@progbits,_ZL37rocblas_syrkx_herkx_restricted_kernelIifLi16ELi32ELi8ELi1ELi0ELb0ELc84ELc85EKPKfKPfEviT_PT9_S5_lS7_S5_lPT10_S5_li,comdat
	.globl	_ZL37rocblas_syrkx_herkx_restricted_kernelIifLi16ELi32ELi8ELi1ELi0ELb0ELc84ELc85EKPKfKPfEviT_PT9_S5_lS7_S5_lPT10_S5_li ; -- Begin function _ZL37rocblas_syrkx_herkx_restricted_kernelIifLi16ELi32ELi8ELi1ELi0ELb0ELc84ELc85EKPKfKPfEviT_PT9_S5_lS7_S5_lPT10_S5_li
	.p2align	8
	.type	_ZL37rocblas_syrkx_herkx_restricted_kernelIifLi16ELi32ELi8ELi1ELi0ELb0ELc84ELc85EKPKfKPfEviT_PT9_S5_lS7_S5_lPT10_S5_li,@function
_ZL37rocblas_syrkx_herkx_restricted_kernelIifLi16ELi32ELi8ELi1ELi0ELb0ELc84ELc85EKPKfKPfEviT_PT9_S5_lS7_S5_lPT10_S5_li: ; @_ZL37rocblas_syrkx_herkx_restricted_kernelIifLi16ELi32ELi8ELi1ELi0ELb0ELc84ELc85EKPKfKPfEviT_PT9_S5_lS7_S5_lPT10_S5_li
; %bb.0:
	s_clause 0x1
	s_load_b64 s[4:5], s[0:1], 0x38
	s_load_b64 s[2:3], s[0:1], 0x0
	s_mov_b32 s6, s15
	s_mov_b32 s7, 0
	v_dual_mov_b32 v9, 0 :: v_dual_and_b32 v6, 0x3ff, v0
	s_lshl_b64 s[8:9], s[6:7], 3
	v_bfe_u32 v7, v0, 10, 10
	v_dual_mov_b32 v8, 0 :: v_dual_mov_b32 v1, 0
	v_mov_b32_e32 v0, 0
	s_waitcnt lgkmcnt(0)
	s_add_u32 s4, s4, s8
	s_addc_u32 s5, s5, s9
	s_lshl_b32 s6, s13, 5
	s_load_b64 s[4:5], s[4:5], 0x0
	s_lshl_b32 s10, s14, 5
	s_cmp_lt_i32 s3, 1
	s_cbranch_scc1 .LBB479_3
; %bb.1:
	s_clause 0x3
	s_load_b64 s[12:13], s[0:1], 0x8
	s_load_b64 s[14:15], s[0:1], 0x20
	s_load_b32 s11, s[0:1], 0x10
	s_load_b32 s16, s[0:1], 0x28
	v_lshl_add_u32 v2, v7, 4, v6
	v_dual_mov_b32 v1, 0 :: v_dual_and_b32 v0, 7, v6
	v_lshlrev_b32_e32 v10, 2, v6
	s_delay_alu instid0(VALU_DEP_3) | instskip(SKIP_3) | instid1(VALU_DEP_4)
	v_and_b32_e32 v9, 31, v2
	v_lshrrev_b32_e32 v8, 3, v2
	v_lshrrev_b32_e32 v2, 5, v2
	v_mov_b32_e32 v3, v1
	v_add_nc_u32_e32 v11, s6, v9
	s_delay_alu instid0(VALU_DEP_4)
	v_add_nc_u32_e32 v12, s10, v8
	s_waitcnt lgkmcnt(0)
	s_add_u32 s12, s12, s8
	s_addc_u32 s13, s13, s9
	s_add_u32 s8, s14, s8
	s_load_b64 s[12:13], s[12:13], 0x0
	s_addc_u32 s9, s15, s9
	v_mad_i64_i32 v[4:5], null, s11, v11, v[2:3]
	s_load_b64 s[8:9], s[8:9], 0x0
	v_lshlrev_b32_e32 v3, 2, v0
	v_mad_i64_i32 v[14:15], null, s16, v12, v[0:1]
	v_dual_mov_b32 v0, v1 :: v_dual_lshlrev_b32 v9, 2, v9
	s_delay_alu instid0(VALU_DEP_3)
	v_lshl_or_b32 v13, v8, 5, v3
	v_lshlrev_b64 v[3:4], 2, v[4:5]
	v_lshl_add_u32 v11, v7, 5, 0x400
	v_mov_b32_e32 v8, v1
	v_lshlrev_b64 v[14:15], 2, v[14:15]
	v_lshl_or_b32 v12, v2, 7, v9
	v_mov_b32_e32 v9, v1
	v_add_nc_u32_e32 v13, 0x400, v13
	s_waitcnt lgkmcnt(0)
	v_add_co_u32 v2, vcc_lo, s12, v3
	v_add_co_ci_u32_e32 v3, vcc_lo, s13, v4, vcc_lo
	v_add_co_u32 v4, vcc_lo, s8, v14
	v_add_co_ci_u32_e32 v5, vcc_lo, s9, v15, vcc_lo
.LBB479_2:                              ; =>This Inner Loop Header: Depth=1
	global_load_b32 v14, v[2:3], off
	global_load_b32 v15, v[4:5], off
	v_add_co_u32 v2, vcc_lo, v2, 32
	v_add_co_ci_u32_e32 v3, vcc_lo, 0, v3, vcc_lo
	v_add_co_u32 v4, vcc_lo, v4, 32
	v_add_co_ci_u32_e32 v5, vcc_lo, 0, v5, vcc_lo
	s_add_i32 s7, s7, 8
	s_waitcnt vmcnt(1)
	ds_store_b32 v12, v14
	s_waitcnt vmcnt(0)
	ds_store_b32 v13, v15
	s_waitcnt lgkmcnt(0)
	s_barrier
	buffer_gl0_inv
	ds_load_2addr_b32 v[30:31], v10 offset1:16
	ds_load_b128 v[14:17], v11
	ds_load_b128 v[18:21], v11 offset:512
	ds_load_2addr_b32 v[32:33], v10 offset0:32 offset1:48
	ds_load_2addr_b32 v[34:35], v10 offset0:64 offset1:80
	ds_load_b128 v[22:25], v11 offset:16
	ds_load_2addr_b32 v[36:37], v10 offset0:96 offset1:112
	ds_load_2addr_b32 v[38:39], v10 offset0:128 offset1:144
	;; [unrolled: 3-line block ×3, first 2 shown]
	ds_load_2addr_b32 v[44:45], v10 offset0:224 offset1:240
	s_cmp_ge_i32 s7, s3
	s_waitcnt lgkmcnt(0)
	s_barrier
	buffer_gl0_inv
	v_fmac_f32_e32 v8, v31, v14
	v_fmac_f32_e32 v9, v30, v14
	;; [unrolled: 1-line block ×4, first 2 shown]
	s_delay_alu instid0(VALU_DEP_4) | instskip(NEXT) | instid1(VALU_DEP_4)
	v_fmac_f32_e32 v8, v33, v15
	v_fmac_f32_e32 v9, v32, v15
	s_delay_alu instid0(VALU_DEP_4) | instskip(NEXT) | instid1(VALU_DEP_4)
	v_fmac_f32_e32 v1, v33, v19
	v_fmac_f32_e32 v0, v32, v19
	;; [unrolled: 3-line block ×14, first 2 shown]
	s_cbranch_scc0 .LBB479_2
.LBB479_3:
	s_load_b32 s3, s[0:1], 0x40
	v_add_nc_u32_e32 v7, s10, v7
	v_add_nc_u32_e32 v2, s6, v6
	s_delay_alu instid0(VALU_DEP_2) | instskip(NEXT) | instid1(VALU_DEP_2)
	v_cmp_gt_i32_e32 vcc_lo, s2, v7
	v_cmp_le_i32_e64 s0, v2, v7
	s_delay_alu instid0(VALU_DEP_1) | instskip(SKIP_2) | instid1(VALU_DEP_1)
	s_and_b32 s0, vcc_lo, s0
	s_waitcnt lgkmcnt(0)
	v_mad_i64_i32 v[3:4], null, v7, s3, 0
	v_lshlrev_b64 v[3:4], 2, v[3:4]
	s_delay_alu instid0(VALU_DEP_1) | instskip(NEXT) | instid1(VALU_DEP_1)
	v_add_co_u32 v6, s1, s4, v3
	v_add_co_ci_u32_e64 v10, s1, s5, v4, s1
	s_and_saveexec_b32 s1, s0
	s_cbranch_execz .LBB479_5
; %bb.4:
	v_ashrrev_i32_e32 v3, 31, v2
	s_delay_alu instid0(VALU_DEP_1) | instskip(NEXT) | instid1(VALU_DEP_1)
	v_lshlrev_b64 v[3:4], 2, v[2:3]
	v_add_co_u32 v3, s0, v6, v3
	s_delay_alu instid0(VALU_DEP_1)
	v_add_co_ci_u32_e64 v4, s0, v10, v4, s0
	global_store_b32 v[3:4], v9, off
.LBB479_5:
	s_or_b32 exec_lo, exec_lo, s1
	v_add_nc_u32_e32 v4, 16, v2
	s_delay_alu instid0(VALU_DEP_1) | instskip(NEXT) | instid1(VALU_DEP_1)
	v_cmp_le_i32_e64 s0, v4, v7
	s_and_b32 s1, vcc_lo, s0
	s_delay_alu instid0(SALU_CYCLE_1)
	s_and_saveexec_b32 s0, s1
	s_cbranch_execz .LBB479_7
; %bb.6:
	v_ashrrev_i32_e32 v5, 31, v4
	s_delay_alu instid0(VALU_DEP_1) | instskip(NEXT) | instid1(VALU_DEP_1)
	v_lshlrev_b64 v[11:12], 2, v[4:5]
	v_add_co_u32 v5, vcc_lo, v6, v11
	s_delay_alu instid0(VALU_DEP_2)
	v_add_co_ci_u32_e32 v6, vcc_lo, v10, v12, vcc_lo
	global_store_b32 v[5:6], v8, off
.LBB479_7:
	s_or_b32 exec_lo, exec_lo, s0
	v_add_nc_u32_e32 v5, 16, v7
	s_delay_alu instid0(VALU_DEP_1) | instskip(SKIP_2) | instid1(VALU_DEP_1)
	v_mad_i64_i32 v[6:7], null, v5, s3, 0
	v_cmp_gt_i32_e32 vcc_lo, s2, v5
	v_cmp_le_i32_e64 s0, v2, v5
	s_and_b32 s0, vcc_lo, s0
	s_delay_alu instid0(VALU_DEP_3) | instskip(NEXT) | instid1(VALU_DEP_1)
	v_lshlrev_b64 v[6:7], 2, v[6:7]
	v_add_co_u32 v6, s1, s4, v6
	s_delay_alu instid0(VALU_DEP_1)
	v_add_co_ci_u32_e64 v7, s1, s5, v7, s1
	s_and_saveexec_b32 s1, s0
	s_cbranch_execz .LBB479_9
; %bb.8:
	v_ashrrev_i32_e32 v3, 31, v2
	s_delay_alu instid0(VALU_DEP_1) | instskip(NEXT) | instid1(VALU_DEP_1)
	v_lshlrev_b64 v[2:3], 2, v[2:3]
	v_add_co_u32 v2, s0, v6, v2
	s_delay_alu instid0(VALU_DEP_1)
	v_add_co_ci_u32_e64 v3, s0, v7, v3, s0
	global_store_b32 v[2:3], v0, off
.LBB479_9:
	s_or_b32 exec_lo, exec_lo, s1
	v_cmp_le_i32_e64 s0, v4, v5
	s_delay_alu instid0(VALU_DEP_1) | instskip(NEXT) | instid1(SALU_CYCLE_1)
	s_and_b32 s0, vcc_lo, s0
	s_and_saveexec_b32 s1, s0
	s_cbranch_execz .LBB479_11
; %bb.10:
	v_ashrrev_i32_e32 v5, 31, v4
	s_delay_alu instid0(VALU_DEP_1) | instskip(NEXT) | instid1(VALU_DEP_1)
	v_lshlrev_b64 v[2:3], 2, v[4:5]
	v_add_co_u32 v2, vcc_lo, v6, v2
	s_delay_alu instid0(VALU_DEP_2)
	v_add_co_ci_u32_e32 v3, vcc_lo, v7, v3, vcc_lo
	global_store_b32 v[2:3], v1, off
.LBB479_11:
	s_nop 0
	s_sendmsg sendmsg(MSG_DEALLOC_VGPRS)
	s_endpgm
	.section	.rodata,"a",@progbits
	.p2align	6, 0x0
	.amdhsa_kernel _ZL37rocblas_syrkx_herkx_restricted_kernelIifLi16ELi32ELi8ELi1ELi0ELb0ELc84ELc85EKPKfKPfEviT_PT9_S5_lS7_S5_lPT10_S5_li
		.amdhsa_group_segment_fixed_size 2048
		.amdhsa_private_segment_fixed_size 0
		.amdhsa_kernarg_size 84
		.amdhsa_user_sgpr_count 13
		.amdhsa_user_sgpr_dispatch_ptr 0
		.amdhsa_user_sgpr_queue_ptr 0
		.amdhsa_user_sgpr_kernarg_segment_ptr 1
		.amdhsa_user_sgpr_dispatch_id 0
		.amdhsa_user_sgpr_private_segment_size 0
		.amdhsa_wavefront_size32 1
		.amdhsa_uses_dynamic_stack 0
		.amdhsa_enable_private_segment 0
		.amdhsa_system_sgpr_workgroup_id_x 1
		.amdhsa_system_sgpr_workgroup_id_y 1
		.amdhsa_system_sgpr_workgroup_id_z 1
		.amdhsa_system_sgpr_workgroup_info 0
		.amdhsa_system_vgpr_workitem_id 1
		.amdhsa_next_free_vgpr 46
		.amdhsa_next_free_sgpr 17
		.amdhsa_reserve_vcc 1
		.amdhsa_float_round_mode_32 0
		.amdhsa_float_round_mode_16_64 0
		.amdhsa_float_denorm_mode_32 3
		.amdhsa_float_denorm_mode_16_64 3
		.amdhsa_dx10_clamp 1
		.amdhsa_ieee_mode 1
		.amdhsa_fp16_overflow 0
		.amdhsa_workgroup_processor_mode 1
		.amdhsa_memory_ordered 1
		.amdhsa_forward_progress 0
		.amdhsa_shared_vgpr_count 0
		.amdhsa_exception_fp_ieee_invalid_op 0
		.amdhsa_exception_fp_denorm_src 0
		.amdhsa_exception_fp_ieee_div_zero 0
		.amdhsa_exception_fp_ieee_overflow 0
		.amdhsa_exception_fp_ieee_underflow 0
		.amdhsa_exception_fp_ieee_inexact 0
		.amdhsa_exception_int_div_zero 0
	.end_amdhsa_kernel
	.section	.text._ZL37rocblas_syrkx_herkx_restricted_kernelIifLi16ELi32ELi8ELi1ELi0ELb0ELc84ELc85EKPKfKPfEviT_PT9_S5_lS7_S5_lPT10_S5_li,"axG",@progbits,_ZL37rocblas_syrkx_herkx_restricted_kernelIifLi16ELi32ELi8ELi1ELi0ELb0ELc84ELc85EKPKfKPfEviT_PT9_S5_lS7_S5_lPT10_S5_li,comdat
.Lfunc_end479:
	.size	_ZL37rocblas_syrkx_herkx_restricted_kernelIifLi16ELi32ELi8ELi1ELi0ELb0ELc84ELc85EKPKfKPfEviT_PT9_S5_lS7_S5_lPT10_S5_li, .Lfunc_end479-_ZL37rocblas_syrkx_herkx_restricted_kernelIifLi16ELi32ELi8ELi1ELi0ELb0ELc84ELc85EKPKfKPfEviT_PT9_S5_lS7_S5_lPT10_S5_li
                                        ; -- End function
	.section	.AMDGPU.csdata,"",@progbits
; Kernel info:
; codeLenInByte = 1140
; NumSgprs: 19
; NumVgprs: 46
; ScratchSize: 0
; MemoryBound: 0
; FloatMode: 240
; IeeeMode: 1
; LDSByteSize: 2048 bytes/workgroup (compile time only)
; SGPRBlocks: 2
; VGPRBlocks: 5
; NumSGPRsForWavesPerEU: 19
; NumVGPRsForWavesPerEU: 46
; Occupancy: 16
; WaveLimiterHint : 1
; COMPUTE_PGM_RSRC2:SCRATCH_EN: 0
; COMPUTE_PGM_RSRC2:USER_SGPR: 13
; COMPUTE_PGM_RSRC2:TRAP_HANDLER: 0
; COMPUTE_PGM_RSRC2:TGID_X_EN: 1
; COMPUTE_PGM_RSRC2:TGID_Y_EN: 1
; COMPUTE_PGM_RSRC2:TGID_Z_EN: 1
; COMPUTE_PGM_RSRC2:TIDIG_COMP_CNT: 1
	.section	.text._ZL37rocblas_syrkx_herkx_restricted_kernelIifLi16ELi32ELi8ELi1ELi0ELb0ELc67ELc85EKPKfKPfEviT_PT9_S5_lS7_S5_lPT10_S5_li,"axG",@progbits,_ZL37rocblas_syrkx_herkx_restricted_kernelIifLi16ELi32ELi8ELi1ELi0ELb0ELc67ELc85EKPKfKPfEviT_PT9_S5_lS7_S5_lPT10_S5_li,comdat
	.globl	_ZL37rocblas_syrkx_herkx_restricted_kernelIifLi16ELi32ELi8ELi1ELi0ELb0ELc67ELc85EKPKfKPfEviT_PT9_S5_lS7_S5_lPT10_S5_li ; -- Begin function _ZL37rocblas_syrkx_herkx_restricted_kernelIifLi16ELi32ELi8ELi1ELi0ELb0ELc67ELc85EKPKfKPfEviT_PT9_S5_lS7_S5_lPT10_S5_li
	.p2align	8
	.type	_ZL37rocblas_syrkx_herkx_restricted_kernelIifLi16ELi32ELi8ELi1ELi0ELb0ELc67ELc85EKPKfKPfEviT_PT9_S5_lS7_S5_lPT10_S5_li,@function
_ZL37rocblas_syrkx_herkx_restricted_kernelIifLi16ELi32ELi8ELi1ELi0ELb0ELc67ELc85EKPKfKPfEviT_PT9_S5_lS7_S5_lPT10_S5_li: ; @_ZL37rocblas_syrkx_herkx_restricted_kernelIifLi16ELi32ELi8ELi1ELi0ELb0ELc67ELc85EKPKfKPfEviT_PT9_S5_lS7_S5_lPT10_S5_li
; %bb.0:
	s_clause 0x1
	s_load_b64 s[4:5], s[0:1], 0x38
	s_load_b64 s[2:3], s[0:1], 0x0
	s_mov_b32 s6, s15
	s_mov_b32 s7, 0
	v_dual_mov_b32 v9, 0 :: v_dual_and_b32 v6, 0x3ff, v0
	s_lshl_b64 s[8:9], s[6:7], 3
	v_bfe_u32 v7, v0, 10, 10
	v_dual_mov_b32 v8, 0 :: v_dual_mov_b32 v1, 0
	v_mov_b32_e32 v0, 0
	s_waitcnt lgkmcnt(0)
	s_add_u32 s4, s4, s8
	s_addc_u32 s5, s5, s9
	s_lshl_b32 s6, s13, 5
	s_load_b64 s[4:5], s[4:5], 0x0
	s_lshl_b32 s10, s14, 5
	s_cmp_lt_i32 s3, 1
	s_cbranch_scc1 .LBB480_3
; %bb.1:
	s_clause 0x3
	s_load_b64 s[12:13], s[0:1], 0x8
	s_load_b64 s[14:15], s[0:1], 0x20
	s_load_b32 s11, s[0:1], 0x10
	s_load_b32 s16, s[0:1], 0x28
	v_lshl_add_u32 v2, v7, 4, v6
	v_dual_mov_b32 v1, 0 :: v_dual_and_b32 v0, 7, v6
	v_lshlrev_b32_e32 v10, 2, v6
	s_delay_alu instid0(VALU_DEP_3) | instskip(SKIP_3) | instid1(VALU_DEP_4)
	v_and_b32_e32 v9, 31, v2
	v_lshrrev_b32_e32 v8, 3, v2
	v_lshrrev_b32_e32 v2, 5, v2
	v_mov_b32_e32 v3, v1
	v_add_nc_u32_e32 v11, s6, v9
	s_delay_alu instid0(VALU_DEP_4)
	v_add_nc_u32_e32 v12, s10, v8
	s_waitcnt lgkmcnt(0)
	s_add_u32 s12, s12, s8
	s_addc_u32 s13, s13, s9
	s_add_u32 s8, s14, s8
	s_load_b64 s[12:13], s[12:13], 0x0
	s_addc_u32 s9, s15, s9
	v_mad_i64_i32 v[4:5], null, s11, v11, v[2:3]
	s_load_b64 s[8:9], s[8:9], 0x0
	v_lshlrev_b32_e32 v3, 2, v0
	v_mad_i64_i32 v[14:15], null, s16, v12, v[0:1]
	v_dual_mov_b32 v0, v1 :: v_dual_lshlrev_b32 v9, 2, v9
	s_delay_alu instid0(VALU_DEP_3)
	v_lshl_or_b32 v13, v8, 5, v3
	v_lshlrev_b64 v[3:4], 2, v[4:5]
	v_lshl_add_u32 v11, v7, 5, 0x400
	v_mov_b32_e32 v8, v1
	v_lshlrev_b64 v[14:15], 2, v[14:15]
	v_lshl_or_b32 v12, v2, 7, v9
	v_mov_b32_e32 v9, v1
	v_add_nc_u32_e32 v13, 0x400, v13
	s_waitcnt lgkmcnt(0)
	v_add_co_u32 v2, vcc_lo, s12, v3
	v_add_co_ci_u32_e32 v3, vcc_lo, s13, v4, vcc_lo
	v_add_co_u32 v4, vcc_lo, s8, v14
	v_add_co_ci_u32_e32 v5, vcc_lo, s9, v15, vcc_lo
.LBB480_2:                              ; =>This Inner Loop Header: Depth=1
	global_load_b32 v14, v[2:3], off
	global_load_b32 v15, v[4:5], off
	v_add_co_u32 v2, vcc_lo, v2, 32
	v_add_co_ci_u32_e32 v3, vcc_lo, 0, v3, vcc_lo
	v_add_co_u32 v4, vcc_lo, v4, 32
	v_add_co_ci_u32_e32 v5, vcc_lo, 0, v5, vcc_lo
	s_add_i32 s7, s7, 8
	s_waitcnt vmcnt(1)
	ds_store_b32 v12, v14
	s_waitcnt vmcnt(0)
	ds_store_b32 v13, v15
	s_waitcnt lgkmcnt(0)
	s_barrier
	buffer_gl0_inv
	ds_load_2addr_b32 v[30:31], v10 offset1:16
	ds_load_b128 v[14:17], v11
	ds_load_b128 v[18:21], v11 offset:512
	ds_load_2addr_b32 v[32:33], v10 offset0:32 offset1:48
	ds_load_2addr_b32 v[34:35], v10 offset0:64 offset1:80
	ds_load_b128 v[22:25], v11 offset:16
	ds_load_2addr_b32 v[36:37], v10 offset0:96 offset1:112
	ds_load_2addr_b32 v[38:39], v10 offset0:128 offset1:144
	;; [unrolled: 3-line block ×3, first 2 shown]
	ds_load_2addr_b32 v[44:45], v10 offset0:224 offset1:240
	s_cmp_ge_i32 s7, s3
	s_waitcnt lgkmcnt(0)
	s_barrier
	buffer_gl0_inv
	v_fmac_f32_e32 v8, v31, v14
	v_fmac_f32_e32 v9, v30, v14
	;; [unrolled: 1-line block ×4, first 2 shown]
	s_delay_alu instid0(VALU_DEP_4) | instskip(NEXT) | instid1(VALU_DEP_4)
	v_fmac_f32_e32 v8, v33, v15
	v_fmac_f32_e32 v9, v32, v15
	s_delay_alu instid0(VALU_DEP_4) | instskip(NEXT) | instid1(VALU_DEP_4)
	v_fmac_f32_e32 v1, v33, v19
	v_fmac_f32_e32 v0, v32, v19
	;; [unrolled: 3-line block ×14, first 2 shown]
	s_cbranch_scc0 .LBB480_2
.LBB480_3:
	s_load_b32 s3, s[0:1], 0x40
	v_add_nc_u32_e32 v7, s10, v7
	v_add_nc_u32_e32 v2, s6, v6
	s_delay_alu instid0(VALU_DEP_2) | instskip(NEXT) | instid1(VALU_DEP_2)
	v_cmp_gt_i32_e32 vcc_lo, s2, v7
	v_cmp_le_i32_e64 s0, v2, v7
	s_delay_alu instid0(VALU_DEP_1) | instskip(SKIP_2) | instid1(VALU_DEP_1)
	s_and_b32 s0, vcc_lo, s0
	s_waitcnt lgkmcnt(0)
	v_mad_i64_i32 v[3:4], null, v7, s3, 0
	v_lshlrev_b64 v[3:4], 2, v[3:4]
	s_delay_alu instid0(VALU_DEP_1) | instskip(NEXT) | instid1(VALU_DEP_1)
	v_add_co_u32 v6, s1, s4, v3
	v_add_co_ci_u32_e64 v10, s1, s5, v4, s1
	s_and_saveexec_b32 s1, s0
	s_cbranch_execz .LBB480_5
; %bb.4:
	v_ashrrev_i32_e32 v3, 31, v2
	s_delay_alu instid0(VALU_DEP_1) | instskip(NEXT) | instid1(VALU_DEP_1)
	v_lshlrev_b64 v[3:4], 2, v[2:3]
	v_add_co_u32 v3, s0, v6, v3
	s_delay_alu instid0(VALU_DEP_1)
	v_add_co_ci_u32_e64 v4, s0, v10, v4, s0
	global_store_b32 v[3:4], v9, off
.LBB480_5:
	s_or_b32 exec_lo, exec_lo, s1
	v_add_nc_u32_e32 v4, 16, v2
	s_delay_alu instid0(VALU_DEP_1) | instskip(NEXT) | instid1(VALU_DEP_1)
	v_cmp_le_i32_e64 s0, v4, v7
	s_and_b32 s1, vcc_lo, s0
	s_delay_alu instid0(SALU_CYCLE_1)
	s_and_saveexec_b32 s0, s1
	s_cbranch_execz .LBB480_7
; %bb.6:
	v_ashrrev_i32_e32 v5, 31, v4
	s_delay_alu instid0(VALU_DEP_1) | instskip(NEXT) | instid1(VALU_DEP_1)
	v_lshlrev_b64 v[11:12], 2, v[4:5]
	v_add_co_u32 v5, vcc_lo, v6, v11
	s_delay_alu instid0(VALU_DEP_2)
	v_add_co_ci_u32_e32 v6, vcc_lo, v10, v12, vcc_lo
	global_store_b32 v[5:6], v8, off
.LBB480_7:
	s_or_b32 exec_lo, exec_lo, s0
	v_add_nc_u32_e32 v5, 16, v7
	s_delay_alu instid0(VALU_DEP_1) | instskip(SKIP_2) | instid1(VALU_DEP_1)
	v_mad_i64_i32 v[6:7], null, v5, s3, 0
	v_cmp_gt_i32_e32 vcc_lo, s2, v5
	v_cmp_le_i32_e64 s0, v2, v5
	s_and_b32 s0, vcc_lo, s0
	s_delay_alu instid0(VALU_DEP_3) | instskip(NEXT) | instid1(VALU_DEP_1)
	v_lshlrev_b64 v[6:7], 2, v[6:7]
	v_add_co_u32 v6, s1, s4, v6
	s_delay_alu instid0(VALU_DEP_1)
	v_add_co_ci_u32_e64 v7, s1, s5, v7, s1
	s_and_saveexec_b32 s1, s0
	s_cbranch_execz .LBB480_9
; %bb.8:
	v_ashrrev_i32_e32 v3, 31, v2
	s_delay_alu instid0(VALU_DEP_1) | instskip(NEXT) | instid1(VALU_DEP_1)
	v_lshlrev_b64 v[2:3], 2, v[2:3]
	v_add_co_u32 v2, s0, v6, v2
	s_delay_alu instid0(VALU_DEP_1)
	v_add_co_ci_u32_e64 v3, s0, v7, v3, s0
	global_store_b32 v[2:3], v0, off
.LBB480_9:
	s_or_b32 exec_lo, exec_lo, s1
	v_cmp_le_i32_e64 s0, v4, v5
	s_delay_alu instid0(VALU_DEP_1) | instskip(NEXT) | instid1(SALU_CYCLE_1)
	s_and_b32 s0, vcc_lo, s0
	s_and_saveexec_b32 s1, s0
	s_cbranch_execz .LBB480_11
; %bb.10:
	v_ashrrev_i32_e32 v5, 31, v4
	s_delay_alu instid0(VALU_DEP_1) | instskip(NEXT) | instid1(VALU_DEP_1)
	v_lshlrev_b64 v[2:3], 2, v[4:5]
	v_add_co_u32 v2, vcc_lo, v6, v2
	s_delay_alu instid0(VALU_DEP_2)
	v_add_co_ci_u32_e32 v3, vcc_lo, v7, v3, vcc_lo
	global_store_b32 v[2:3], v1, off
.LBB480_11:
	s_nop 0
	s_sendmsg sendmsg(MSG_DEALLOC_VGPRS)
	s_endpgm
	.section	.rodata,"a",@progbits
	.p2align	6, 0x0
	.amdhsa_kernel _ZL37rocblas_syrkx_herkx_restricted_kernelIifLi16ELi32ELi8ELi1ELi0ELb0ELc67ELc85EKPKfKPfEviT_PT9_S5_lS7_S5_lPT10_S5_li
		.amdhsa_group_segment_fixed_size 2048
		.amdhsa_private_segment_fixed_size 0
		.amdhsa_kernarg_size 84
		.amdhsa_user_sgpr_count 13
		.amdhsa_user_sgpr_dispatch_ptr 0
		.amdhsa_user_sgpr_queue_ptr 0
		.amdhsa_user_sgpr_kernarg_segment_ptr 1
		.amdhsa_user_sgpr_dispatch_id 0
		.amdhsa_user_sgpr_private_segment_size 0
		.amdhsa_wavefront_size32 1
		.amdhsa_uses_dynamic_stack 0
		.amdhsa_enable_private_segment 0
		.amdhsa_system_sgpr_workgroup_id_x 1
		.amdhsa_system_sgpr_workgroup_id_y 1
		.amdhsa_system_sgpr_workgroup_id_z 1
		.amdhsa_system_sgpr_workgroup_info 0
		.amdhsa_system_vgpr_workitem_id 1
		.amdhsa_next_free_vgpr 46
		.amdhsa_next_free_sgpr 17
		.amdhsa_reserve_vcc 1
		.amdhsa_float_round_mode_32 0
		.amdhsa_float_round_mode_16_64 0
		.amdhsa_float_denorm_mode_32 3
		.amdhsa_float_denorm_mode_16_64 3
		.amdhsa_dx10_clamp 1
		.amdhsa_ieee_mode 1
		.amdhsa_fp16_overflow 0
		.amdhsa_workgroup_processor_mode 1
		.amdhsa_memory_ordered 1
		.amdhsa_forward_progress 0
		.amdhsa_shared_vgpr_count 0
		.amdhsa_exception_fp_ieee_invalid_op 0
		.amdhsa_exception_fp_denorm_src 0
		.amdhsa_exception_fp_ieee_div_zero 0
		.amdhsa_exception_fp_ieee_overflow 0
		.amdhsa_exception_fp_ieee_underflow 0
		.amdhsa_exception_fp_ieee_inexact 0
		.amdhsa_exception_int_div_zero 0
	.end_amdhsa_kernel
	.section	.text._ZL37rocblas_syrkx_herkx_restricted_kernelIifLi16ELi32ELi8ELi1ELi0ELb0ELc67ELc85EKPKfKPfEviT_PT9_S5_lS7_S5_lPT10_S5_li,"axG",@progbits,_ZL37rocblas_syrkx_herkx_restricted_kernelIifLi16ELi32ELi8ELi1ELi0ELb0ELc67ELc85EKPKfKPfEviT_PT9_S5_lS7_S5_lPT10_S5_li,comdat
.Lfunc_end480:
	.size	_ZL37rocblas_syrkx_herkx_restricted_kernelIifLi16ELi32ELi8ELi1ELi0ELb0ELc67ELc85EKPKfKPfEviT_PT9_S5_lS7_S5_lPT10_S5_li, .Lfunc_end480-_ZL37rocblas_syrkx_herkx_restricted_kernelIifLi16ELi32ELi8ELi1ELi0ELb0ELc67ELc85EKPKfKPfEviT_PT9_S5_lS7_S5_lPT10_S5_li
                                        ; -- End function
	.section	.AMDGPU.csdata,"",@progbits
; Kernel info:
; codeLenInByte = 1140
; NumSgprs: 19
; NumVgprs: 46
; ScratchSize: 0
; MemoryBound: 0
; FloatMode: 240
; IeeeMode: 1
; LDSByteSize: 2048 bytes/workgroup (compile time only)
; SGPRBlocks: 2
; VGPRBlocks: 5
; NumSGPRsForWavesPerEU: 19
; NumVGPRsForWavesPerEU: 46
; Occupancy: 16
; WaveLimiterHint : 1
; COMPUTE_PGM_RSRC2:SCRATCH_EN: 0
; COMPUTE_PGM_RSRC2:USER_SGPR: 13
; COMPUTE_PGM_RSRC2:TRAP_HANDLER: 0
; COMPUTE_PGM_RSRC2:TGID_X_EN: 1
; COMPUTE_PGM_RSRC2:TGID_Y_EN: 1
; COMPUTE_PGM_RSRC2:TGID_Z_EN: 1
; COMPUTE_PGM_RSRC2:TIDIG_COMP_CNT: 1
	.section	.text._ZL37rocblas_syrkx_herkx_restricted_kernelIifLi16ELi32ELi8ELi1ELi0ELb0ELc78ELc85EKPKfKPfEviT_PT9_S5_lS7_S5_lPT10_S5_li,"axG",@progbits,_ZL37rocblas_syrkx_herkx_restricted_kernelIifLi16ELi32ELi8ELi1ELi0ELb0ELc78ELc85EKPKfKPfEviT_PT9_S5_lS7_S5_lPT10_S5_li,comdat
	.globl	_ZL37rocblas_syrkx_herkx_restricted_kernelIifLi16ELi32ELi8ELi1ELi0ELb0ELc78ELc85EKPKfKPfEviT_PT9_S5_lS7_S5_lPT10_S5_li ; -- Begin function _ZL37rocblas_syrkx_herkx_restricted_kernelIifLi16ELi32ELi8ELi1ELi0ELb0ELc78ELc85EKPKfKPfEviT_PT9_S5_lS7_S5_lPT10_S5_li
	.p2align	8
	.type	_ZL37rocblas_syrkx_herkx_restricted_kernelIifLi16ELi32ELi8ELi1ELi0ELb0ELc78ELc85EKPKfKPfEviT_PT9_S5_lS7_S5_lPT10_S5_li,@function
_ZL37rocblas_syrkx_herkx_restricted_kernelIifLi16ELi32ELi8ELi1ELi0ELb0ELc78ELc85EKPKfKPfEviT_PT9_S5_lS7_S5_lPT10_S5_li: ; @_ZL37rocblas_syrkx_herkx_restricted_kernelIifLi16ELi32ELi8ELi1ELi0ELb0ELc78ELc85EKPKfKPfEviT_PT9_S5_lS7_S5_lPT10_S5_li
; %bb.0:
	s_clause 0x1
	s_load_b64 s[4:5], s[0:1], 0x38
	s_load_b64 s[2:3], s[0:1], 0x0
	s_mov_b32 s6, s15
	s_mov_b32 s7, 0
	v_dual_mov_b32 v8, 0 :: v_dual_and_b32 v5, 0x3ff, v0
	s_lshl_b64 s[8:9], s[6:7], 3
	v_bfe_u32 v6, v0, 10, 10
	v_dual_mov_b32 v9, 0 :: v_dual_mov_b32 v4, 0
	v_mov_b32_e32 v7, 0
	s_waitcnt lgkmcnt(0)
	s_add_u32 s4, s4, s8
	s_addc_u32 s5, s5, s9
	s_lshl_b32 s6, s13, 5
	s_load_b64 s[4:5], s[4:5], 0x0
	s_lshl_b32 s12, s14, 5
	s_cmp_lt_i32 s3, 1
	s_cbranch_scc1 .LBB481_3
; %bb.1:
	s_clause 0x3
	s_load_b32 s10, s[0:1], 0x10
	s_load_b32 s14, s[0:1], 0x28
	s_load_b64 s[16:17], s[0:1], 0x8
	s_load_b64 s[18:19], s[0:1], 0x20
	v_lshl_add_u32 v0, v6, 4, v5
	v_dual_mov_b32 v4, 0 :: v_dual_and_b32 v7, 7, v5
	v_lshlrev_b32_e32 v10, 2, v5
	v_lshl_add_u32 v11, v6, 5, 0x400
	s_delay_alu instid0(VALU_DEP_4) | instskip(SKIP_3) | instid1(VALU_DEP_4)
	v_and_b32_e32 v13, 31, v0
	v_lshrrev_b32_e32 v12, 3, v0
	v_lshrrev_b32_e32 v14, 5, v0
	v_lshlrev_b32_e32 v15, 2, v7
	v_add_nc_u32_e32 v2, s6, v13
	s_delay_alu instid0(VALU_DEP_4) | instskip(NEXT) | instid1(VALU_DEP_3)
	v_add_nc_u32_e32 v0, s12, v12
	v_lshl_or_b32 v15, v12, 5, v15
	s_delay_alu instid0(VALU_DEP_3)
	v_ashrrev_i32_e32 v3, 31, v2
	s_waitcnt lgkmcnt(0)
	s_ashr_i32 s11, s10, 31
	s_ashr_i32 s15, s14, 31
	s_add_u32 s16, s16, s8
	s_addc_u32 s17, s17, s9
	s_add_u32 s8, s18, s8
	s_load_b64 s[16:17], s[16:17], 0x0
	s_addc_u32 s9, s19, s9
	v_ashrrev_i32_e32 v1, 31, v0
	s_load_b64 s[8:9], s[8:9], 0x0
	v_mad_i64_i32 v[8:9], null, s10, v14, v[2:3]
	s_delay_alu instid0(VALU_DEP_2) | instskip(SKIP_1) | instid1(VALU_DEP_3)
	v_mad_i64_i32 v[2:3], null, s14, v7, v[0:1]
	v_mov_b32_e32 v7, 0
	v_lshlrev_b64 v[0:1], 2, v[8:9]
	v_dual_mov_b32 v9, 0 :: v_dual_mov_b32 v8, 0
	s_delay_alu instid0(VALU_DEP_4) | instskip(SKIP_2) | instid1(VALU_DEP_4)
	v_lshlrev_b64 v[2:3], 2, v[2:3]
	v_lshlrev_b32_e32 v13, 2, v13
	s_waitcnt lgkmcnt(0)
	v_add_co_u32 v0, vcc_lo, s16, v0
	v_add_co_ci_u32_e32 v1, vcc_lo, s17, v1, vcc_lo
	s_delay_alu instid0(VALU_DEP_4)
	v_add_co_u32 v2, vcc_lo, s8, v2
	v_lshl_or_b32 v12, v14, 7, v13
	v_add_nc_u32_e32 v13, 0x400, v15
	v_add_co_ci_u32_e32 v3, vcc_lo, s9, v3, vcc_lo
	s_lshl_b64 s[8:9], s[10:11], 5
	s_lshl_b64 s[10:11], s[14:15], 5
.LBB481_2:                              ; =>This Inner Loop Header: Depth=1
	global_load_b32 v14, v[0:1], off
	global_load_b32 v15, v[2:3], off
	v_add_co_u32 v0, vcc_lo, v0, s8
	v_add_co_ci_u32_e32 v1, vcc_lo, s9, v1, vcc_lo
	v_add_co_u32 v2, vcc_lo, v2, s10
	v_add_co_ci_u32_e32 v3, vcc_lo, s11, v3, vcc_lo
	s_add_i32 s7, s7, 8
	s_waitcnt vmcnt(1)
	ds_store_b32 v12, v14
	s_waitcnt vmcnt(0)
	ds_store_b32 v13, v15
	s_waitcnt lgkmcnt(0)
	s_barrier
	buffer_gl0_inv
	ds_load_2addr_b32 v[30:31], v10 offset1:16
	ds_load_b128 v[14:17], v11
	ds_load_b128 v[18:21], v11 offset:512
	ds_load_2addr_b32 v[32:33], v10 offset0:32 offset1:48
	ds_load_2addr_b32 v[34:35], v10 offset0:64 offset1:80
	ds_load_b128 v[22:25], v11 offset:16
	ds_load_2addr_b32 v[36:37], v10 offset0:96 offset1:112
	ds_load_2addr_b32 v[38:39], v10 offset0:128 offset1:144
	;; [unrolled: 3-line block ×3, first 2 shown]
	ds_load_2addr_b32 v[44:45], v10 offset0:224 offset1:240
	s_cmp_ge_i32 s7, s3
	s_waitcnt lgkmcnt(0)
	s_barrier
	buffer_gl0_inv
	v_fmac_f32_e32 v8, v31, v14
	v_fmac_f32_e32 v9, v30, v14
	;; [unrolled: 1-line block ×3, first 2 shown]
	s_delay_alu instid0(VALU_DEP_3) | instskip(NEXT) | instid1(VALU_DEP_3)
	v_dual_fmac_f32 v7, v30, v18 :: v_dual_fmac_f32 v8, v33, v15
	v_fmac_f32_e32 v9, v32, v15
	s_delay_alu instid0(VALU_DEP_3) | instskip(NEXT) | instid1(VALU_DEP_3)
	v_fmac_f32_e32 v4, v33, v19
	v_dual_fmac_f32 v7, v32, v19 :: v_dual_fmac_f32 v8, v35, v16
	s_delay_alu instid0(VALU_DEP_3) | instskip(NEXT) | instid1(VALU_DEP_3)
	v_fmac_f32_e32 v9, v34, v16
	v_fmac_f32_e32 v4, v35, v20
	s_delay_alu instid0(VALU_DEP_3) | instskip(NEXT) | instid1(VALU_DEP_3)
	v_dual_fmac_f32 v7, v34, v20 :: v_dual_fmac_f32 v8, v37, v17
	v_fmac_f32_e32 v9, v36, v17
	s_delay_alu instid0(VALU_DEP_3) | instskip(NEXT) | instid1(VALU_DEP_3)
	v_fmac_f32_e32 v4, v37, v21
	v_dual_fmac_f32 v7, v36, v21 :: v_dual_fmac_f32 v8, v39, v22
	s_delay_alu instid0(VALU_DEP_3) | instskip(NEXT) | instid1(VALU_DEP_3)
	v_fmac_f32_e32 v9, v38, v22
	v_fmac_f32_e32 v4, v39, v26
	;; [unrolled: 9-line block ×3, first 2 shown]
	s_delay_alu instid0(VALU_DEP_3) | instskip(NEXT) | instid1(VALU_DEP_3)
	v_dual_fmac_f32 v7, v42, v28 :: v_dual_fmac_f32 v8, v45, v25
	v_fmac_f32_e32 v9, v44, v25
	s_delay_alu instid0(VALU_DEP_3) | instskip(NEXT) | instid1(VALU_DEP_3)
	v_fmac_f32_e32 v4, v45, v29
	v_fmac_f32_e32 v7, v44, v29
	s_cbranch_scc0 .LBB481_2
.LBB481_3:
	s_load_b32 s3, s[0:1], 0x40
	v_add_nc_u32_e32 v6, s12, v6
	v_add_nc_u32_e32 v0, s6, v5
	s_delay_alu instid0(VALU_DEP_2) | instskip(NEXT) | instid1(VALU_DEP_2)
	v_cmp_gt_i32_e32 vcc_lo, s2, v6
	v_cmp_le_i32_e64 s0, v0, v6
	s_delay_alu instid0(VALU_DEP_1) | instskip(SKIP_2) | instid1(VALU_DEP_1)
	s_and_b32 s0, vcc_lo, s0
	s_waitcnt lgkmcnt(0)
	v_mad_i64_i32 v[1:2], null, v6, s3, 0
	v_lshlrev_b64 v[1:2], 2, v[1:2]
	s_delay_alu instid0(VALU_DEP_1) | instskip(NEXT) | instid1(VALU_DEP_1)
	v_add_co_u32 v5, s1, s4, v1
	v_add_co_ci_u32_e64 v10, s1, s5, v2, s1
	s_and_saveexec_b32 s1, s0
	s_cbranch_execz .LBB481_5
; %bb.4:
	v_ashrrev_i32_e32 v1, 31, v0
	s_delay_alu instid0(VALU_DEP_1) | instskip(NEXT) | instid1(VALU_DEP_1)
	v_lshlrev_b64 v[1:2], 2, v[0:1]
	v_add_co_u32 v1, s0, v5, v1
	s_delay_alu instid0(VALU_DEP_1)
	v_add_co_ci_u32_e64 v2, s0, v10, v2, s0
	global_store_b32 v[1:2], v9, off
.LBB481_5:
	s_or_b32 exec_lo, exec_lo, s1
	v_add_nc_u32_e32 v2, 16, v0
	s_delay_alu instid0(VALU_DEP_1) | instskip(NEXT) | instid1(VALU_DEP_1)
	v_cmp_le_i32_e64 s0, v2, v6
	s_and_b32 s1, vcc_lo, s0
	s_delay_alu instid0(SALU_CYCLE_1)
	s_and_saveexec_b32 s0, s1
	s_cbranch_execz .LBB481_7
; %bb.6:
	v_ashrrev_i32_e32 v3, 31, v2
	s_delay_alu instid0(VALU_DEP_1) | instskip(NEXT) | instid1(VALU_DEP_1)
	v_lshlrev_b64 v[11:12], 2, v[2:3]
	v_add_co_u32 v9, vcc_lo, v5, v11
	s_delay_alu instid0(VALU_DEP_2)
	v_add_co_ci_u32_e32 v10, vcc_lo, v10, v12, vcc_lo
	global_store_b32 v[9:10], v8, off
.LBB481_7:
	s_or_b32 exec_lo, exec_lo, s0
	v_add_nc_u32_e32 v3, 16, v6
	s_delay_alu instid0(VALU_DEP_1) | instskip(SKIP_2) | instid1(VALU_DEP_1)
	v_mad_i64_i32 v[5:6], null, v3, s3, 0
	v_cmp_gt_i32_e32 vcc_lo, s2, v3
	v_cmp_le_i32_e64 s0, v0, v3
	s_and_b32 s0, vcc_lo, s0
	s_delay_alu instid0(VALU_DEP_3) | instskip(NEXT) | instid1(VALU_DEP_1)
	v_lshlrev_b64 v[5:6], 2, v[5:6]
	v_add_co_u32 v5, s1, s4, v5
	s_delay_alu instid0(VALU_DEP_1)
	v_add_co_ci_u32_e64 v6, s1, s5, v6, s1
	s_and_saveexec_b32 s1, s0
	s_cbranch_execz .LBB481_9
; %bb.8:
	v_ashrrev_i32_e32 v1, 31, v0
	s_delay_alu instid0(VALU_DEP_1) | instskip(NEXT) | instid1(VALU_DEP_1)
	v_lshlrev_b64 v[0:1], 2, v[0:1]
	v_add_co_u32 v0, s0, v5, v0
	s_delay_alu instid0(VALU_DEP_1)
	v_add_co_ci_u32_e64 v1, s0, v6, v1, s0
	global_store_b32 v[0:1], v7, off
.LBB481_9:
	s_or_b32 exec_lo, exec_lo, s1
	v_cmp_le_i32_e64 s0, v2, v3
	s_delay_alu instid0(VALU_DEP_1) | instskip(NEXT) | instid1(SALU_CYCLE_1)
	s_and_b32 s0, vcc_lo, s0
	s_and_saveexec_b32 s1, s0
	s_cbranch_execz .LBB481_11
; %bb.10:
	v_ashrrev_i32_e32 v3, 31, v2
	s_delay_alu instid0(VALU_DEP_1) | instskip(NEXT) | instid1(VALU_DEP_1)
	v_lshlrev_b64 v[0:1], 2, v[2:3]
	v_add_co_u32 v0, vcc_lo, v5, v0
	s_delay_alu instid0(VALU_DEP_2)
	v_add_co_ci_u32_e32 v1, vcc_lo, v6, v1, vcc_lo
	global_store_b32 v[0:1], v4, off
.LBB481_11:
	s_nop 0
	s_sendmsg sendmsg(MSG_DEALLOC_VGPRS)
	s_endpgm
	.section	.rodata,"a",@progbits
	.p2align	6, 0x0
	.amdhsa_kernel _ZL37rocblas_syrkx_herkx_restricted_kernelIifLi16ELi32ELi8ELi1ELi0ELb0ELc78ELc85EKPKfKPfEviT_PT9_S5_lS7_S5_lPT10_S5_li
		.amdhsa_group_segment_fixed_size 2048
		.amdhsa_private_segment_fixed_size 0
		.amdhsa_kernarg_size 84
		.amdhsa_user_sgpr_count 13
		.amdhsa_user_sgpr_dispatch_ptr 0
		.amdhsa_user_sgpr_queue_ptr 0
		.amdhsa_user_sgpr_kernarg_segment_ptr 1
		.amdhsa_user_sgpr_dispatch_id 0
		.amdhsa_user_sgpr_private_segment_size 0
		.amdhsa_wavefront_size32 1
		.amdhsa_uses_dynamic_stack 0
		.amdhsa_enable_private_segment 0
		.amdhsa_system_sgpr_workgroup_id_x 1
		.amdhsa_system_sgpr_workgroup_id_y 1
		.amdhsa_system_sgpr_workgroup_id_z 1
		.amdhsa_system_sgpr_workgroup_info 0
		.amdhsa_system_vgpr_workitem_id 1
		.amdhsa_next_free_vgpr 46
		.amdhsa_next_free_sgpr 20
		.amdhsa_reserve_vcc 1
		.amdhsa_float_round_mode_32 0
		.amdhsa_float_round_mode_16_64 0
		.amdhsa_float_denorm_mode_32 3
		.amdhsa_float_denorm_mode_16_64 3
		.amdhsa_dx10_clamp 1
		.amdhsa_ieee_mode 1
		.amdhsa_fp16_overflow 0
		.amdhsa_workgroup_processor_mode 1
		.amdhsa_memory_ordered 1
		.amdhsa_forward_progress 0
		.amdhsa_shared_vgpr_count 0
		.amdhsa_exception_fp_ieee_invalid_op 0
		.amdhsa_exception_fp_denorm_src 0
		.amdhsa_exception_fp_ieee_div_zero 0
		.amdhsa_exception_fp_ieee_overflow 0
		.amdhsa_exception_fp_ieee_underflow 0
		.amdhsa_exception_fp_ieee_inexact 0
		.amdhsa_exception_int_div_zero 0
	.end_amdhsa_kernel
	.section	.text._ZL37rocblas_syrkx_herkx_restricted_kernelIifLi16ELi32ELi8ELi1ELi0ELb0ELc78ELc85EKPKfKPfEviT_PT9_S5_lS7_S5_lPT10_S5_li,"axG",@progbits,_ZL37rocblas_syrkx_herkx_restricted_kernelIifLi16ELi32ELi8ELi1ELi0ELb0ELc78ELc85EKPKfKPfEviT_PT9_S5_lS7_S5_lPT10_S5_li,comdat
.Lfunc_end481:
	.size	_ZL37rocblas_syrkx_herkx_restricted_kernelIifLi16ELi32ELi8ELi1ELi0ELb0ELc78ELc85EKPKfKPfEviT_PT9_S5_lS7_S5_lPT10_S5_li, .Lfunc_end481-_ZL37rocblas_syrkx_herkx_restricted_kernelIifLi16ELi32ELi8ELi1ELi0ELb0ELc78ELc85EKPKfKPfEviT_PT9_S5_lS7_S5_lPT10_S5_li
                                        ; -- End function
	.section	.AMDGPU.csdata,"",@progbits
; Kernel info:
; codeLenInByte = 1160
; NumSgprs: 22
; NumVgprs: 46
; ScratchSize: 0
; MemoryBound: 0
; FloatMode: 240
; IeeeMode: 1
; LDSByteSize: 2048 bytes/workgroup (compile time only)
; SGPRBlocks: 2
; VGPRBlocks: 5
; NumSGPRsForWavesPerEU: 22
; NumVGPRsForWavesPerEU: 46
; Occupancy: 16
; WaveLimiterHint : 1
; COMPUTE_PGM_RSRC2:SCRATCH_EN: 0
; COMPUTE_PGM_RSRC2:USER_SGPR: 13
; COMPUTE_PGM_RSRC2:TRAP_HANDLER: 0
; COMPUTE_PGM_RSRC2:TGID_X_EN: 1
; COMPUTE_PGM_RSRC2:TGID_Y_EN: 1
; COMPUTE_PGM_RSRC2:TGID_Z_EN: 1
; COMPUTE_PGM_RSRC2:TIDIG_COMP_CNT: 1
	.section	.text._ZL37rocblas_syrkx_herkx_restricted_kernelIifLi16ELi32ELi8ELin1ELi0ELb0ELc84ELc76EKPKfKPfEviT_PT9_S5_lS7_S5_lPT10_S5_li,"axG",@progbits,_ZL37rocblas_syrkx_herkx_restricted_kernelIifLi16ELi32ELi8ELin1ELi0ELb0ELc84ELc76EKPKfKPfEviT_PT9_S5_lS7_S5_lPT10_S5_li,comdat
	.globl	_ZL37rocblas_syrkx_herkx_restricted_kernelIifLi16ELi32ELi8ELin1ELi0ELb0ELc84ELc76EKPKfKPfEviT_PT9_S5_lS7_S5_lPT10_S5_li ; -- Begin function _ZL37rocblas_syrkx_herkx_restricted_kernelIifLi16ELi32ELi8ELin1ELi0ELb0ELc84ELc76EKPKfKPfEviT_PT9_S5_lS7_S5_lPT10_S5_li
	.p2align	8
	.type	_ZL37rocblas_syrkx_herkx_restricted_kernelIifLi16ELi32ELi8ELin1ELi0ELb0ELc84ELc76EKPKfKPfEviT_PT9_S5_lS7_S5_lPT10_S5_li,@function
_ZL37rocblas_syrkx_herkx_restricted_kernelIifLi16ELi32ELi8ELin1ELi0ELb0ELc84ELc76EKPKfKPfEviT_PT9_S5_lS7_S5_lPT10_S5_li: ; @_ZL37rocblas_syrkx_herkx_restricted_kernelIifLi16ELi32ELi8ELin1ELi0ELb0ELc84ELc76EKPKfKPfEviT_PT9_S5_lS7_S5_lPT10_S5_li
; %bb.0:
	s_clause 0x1
	s_load_b64 s[2:3], s[0:1], 0x38
	s_load_b64 s[4:5], s[0:1], 0x0
	s_mov_b32 s6, s15
	s_mov_b32 s7, 0
	v_dual_mov_b32 v9, 0 :: v_dual_and_b32 v6, 0x3ff, v0
	s_lshl_b64 s[8:9], s[6:7], 3
	v_bfe_u32 v7, v0, 10, 10
	v_dual_mov_b32 v8, 0 :: v_dual_mov_b32 v1, 0
	v_mov_b32_e32 v0, 0
	s_waitcnt lgkmcnt(0)
	s_add_u32 s2, s2, s8
	s_addc_u32 s3, s3, s9
	s_lshl_b32 s6, s13, 5
	s_load_b64 s[2:3], s[2:3], 0x0
	s_lshl_b32 s10, s14, 5
	s_cmp_lt_i32 s5, 1
	s_cbranch_scc1 .LBB482_3
; %bb.1:
	s_clause 0x3
	s_load_b64 s[12:13], s[0:1], 0x8
	s_load_b64 s[14:15], s[0:1], 0x20
	s_load_b32 s11, s[0:1], 0x10
	s_load_b32 s16, s[0:1], 0x28
	v_lshl_add_u32 v2, v7, 4, v6
	v_dual_mov_b32 v1, 0 :: v_dual_and_b32 v0, 7, v6
	v_lshlrev_b32_e32 v10, 2, v6
	s_delay_alu instid0(VALU_DEP_3) | instskip(SKIP_3) | instid1(VALU_DEP_4)
	v_and_b32_e32 v9, 31, v2
	v_lshrrev_b32_e32 v8, 3, v2
	v_lshrrev_b32_e32 v2, 5, v2
	v_mov_b32_e32 v3, v1
	v_add_nc_u32_e32 v11, s6, v9
	s_delay_alu instid0(VALU_DEP_4)
	v_add_nc_u32_e32 v12, s10, v8
	s_waitcnt lgkmcnt(0)
	s_add_u32 s12, s12, s8
	s_addc_u32 s13, s13, s9
	s_add_u32 s8, s14, s8
	s_load_b64 s[12:13], s[12:13], 0x0
	s_addc_u32 s9, s15, s9
	v_mad_i64_i32 v[4:5], null, s11, v11, v[2:3]
	s_load_b64 s[8:9], s[8:9], 0x0
	v_lshlrev_b32_e32 v3, 2, v0
	v_mad_i64_i32 v[14:15], null, s16, v12, v[0:1]
	v_dual_mov_b32 v0, v1 :: v_dual_lshlrev_b32 v9, 2, v9
	s_delay_alu instid0(VALU_DEP_3)
	v_lshl_or_b32 v13, v8, 5, v3
	v_lshlrev_b64 v[3:4], 2, v[4:5]
	v_lshl_add_u32 v11, v7, 5, 0x400
	v_mov_b32_e32 v8, v1
	v_lshlrev_b64 v[14:15], 2, v[14:15]
	v_lshl_or_b32 v12, v2, 7, v9
	v_mov_b32_e32 v9, v1
	v_add_nc_u32_e32 v13, 0x400, v13
	s_waitcnt lgkmcnt(0)
	v_add_co_u32 v2, vcc_lo, s12, v3
	v_add_co_ci_u32_e32 v3, vcc_lo, s13, v4, vcc_lo
	v_add_co_u32 v4, vcc_lo, s8, v14
	v_add_co_ci_u32_e32 v5, vcc_lo, s9, v15, vcc_lo
.LBB482_2:                              ; =>This Inner Loop Header: Depth=1
	global_load_b32 v14, v[2:3], off
	global_load_b32 v15, v[4:5], off
	v_add_co_u32 v2, vcc_lo, v2, 32
	v_add_co_ci_u32_e32 v3, vcc_lo, 0, v3, vcc_lo
	v_add_co_u32 v4, vcc_lo, v4, 32
	v_add_co_ci_u32_e32 v5, vcc_lo, 0, v5, vcc_lo
	s_add_i32 s7, s7, 8
	s_waitcnt vmcnt(1)
	ds_store_b32 v12, v14
	s_waitcnt vmcnt(0)
	ds_store_b32 v13, v15
	s_waitcnt lgkmcnt(0)
	s_barrier
	buffer_gl0_inv
	ds_load_2addr_b32 v[30:31], v10 offset1:16
	ds_load_b128 v[14:17], v11
	ds_load_b128 v[18:21], v11 offset:512
	ds_load_2addr_b32 v[32:33], v10 offset0:32 offset1:48
	ds_load_2addr_b32 v[34:35], v10 offset0:64 offset1:80
	ds_load_b128 v[22:25], v11 offset:16
	ds_load_2addr_b32 v[36:37], v10 offset0:96 offset1:112
	ds_load_2addr_b32 v[38:39], v10 offset0:128 offset1:144
	;; [unrolled: 3-line block ×3, first 2 shown]
	ds_load_2addr_b32 v[44:45], v10 offset0:224 offset1:240
	s_cmp_ge_i32 s7, s5
	s_waitcnt lgkmcnt(0)
	s_barrier
	buffer_gl0_inv
	v_fmac_f32_e32 v8, v31, v14
	v_fmac_f32_e32 v9, v30, v14
	;; [unrolled: 1-line block ×4, first 2 shown]
	s_delay_alu instid0(VALU_DEP_4) | instskip(NEXT) | instid1(VALU_DEP_4)
	v_fmac_f32_e32 v8, v33, v15
	v_fmac_f32_e32 v9, v32, v15
	s_delay_alu instid0(VALU_DEP_4) | instskip(NEXT) | instid1(VALU_DEP_4)
	v_fmac_f32_e32 v1, v33, v19
	v_fmac_f32_e32 v0, v32, v19
	;; [unrolled: 3-line block ×14, first 2 shown]
	s_cbranch_scc0 .LBB482_2
.LBB482_3:
	s_load_b32 s5, s[0:1], 0x40
	v_add_nc_u32_e32 v7, s10, v7
	v_add_nc_u32_e32 v2, s6, v6
	s_delay_alu instid0(VALU_DEP_1) | instskip(SKIP_1) | instid1(VALU_DEP_2)
	v_cmp_le_i32_e64 s0, v7, v2
	v_cmp_gt_i32_e32 vcc_lo, s4, v2
	s_and_b32 s0, s0, vcc_lo
	s_waitcnt lgkmcnt(0)
	v_mad_i64_i32 v[3:4], null, v7, s5, 0
	s_delay_alu instid0(VALU_DEP_1) | instskip(NEXT) | instid1(VALU_DEP_1)
	v_lshlrev_b64 v[3:4], 2, v[3:4]
	v_add_co_u32 v6, s1, s2, v3
	s_delay_alu instid0(VALU_DEP_1)
	v_add_co_ci_u32_e64 v10, s1, s3, v4, s1
	s_and_saveexec_b32 s1, s0
	s_cbranch_execz .LBB482_5
; %bb.4:
	v_ashrrev_i32_e32 v3, 31, v2
	v_xor_b32_e32 v5, 0x80000000, v9
	s_delay_alu instid0(VALU_DEP_2) | instskip(NEXT) | instid1(VALU_DEP_1)
	v_lshlrev_b64 v[3:4], 2, v[2:3]
	v_add_co_u32 v3, s0, v6, v3
	s_delay_alu instid0(VALU_DEP_1)
	v_add_co_ci_u32_e64 v4, s0, v10, v4, s0
	global_store_b32 v[3:4], v5, off
.LBB482_5:
	s_or_b32 exec_lo, exec_lo, s1
	v_add_nc_u32_e32 v4, 16, v2
	s_delay_alu instid0(VALU_DEP_1) | instskip(SKIP_1) | instid1(VALU_DEP_1)
	v_cmp_le_i32_e64 s1, v7, v4
	v_cmp_gt_i32_e64 s0, s4, v4
	s_and_b32 s1, s1, s0
	s_delay_alu instid0(SALU_CYCLE_1)
	s_and_saveexec_b32 s4, s1
	s_cbranch_execz .LBB482_7
; %bb.6:
	v_ashrrev_i32_e32 v5, 31, v4
	v_xor_b32_e32 v3, 0x80000000, v8
	s_delay_alu instid0(VALU_DEP_2) | instskip(NEXT) | instid1(VALU_DEP_1)
	v_lshlrev_b64 v[11:12], 2, v[4:5]
	v_add_co_u32 v5, s1, v6, v11
	s_delay_alu instid0(VALU_DEP_1)
	v_add_co_ci_u32_e64 v6, s1, v10, v12, s1
	global_store_b32 v[5:6], v3, off
.LBB482_7:
	s_or_b32 exec_lo, exec_lo, s4
	v_add_nc_u32_e32 v5, 16, v7
	s_delay_alu instid0(VALU_DEP_1) | instskip(SKIP_1) | instid1(VALU_DEP_2)
	v_mad_i64_i32 v[6:7], null, v5, s5, 0
	v_cmp_le_i32_e64 s1, v5, v2
	v_lshlrev_b64 v[6:7], 2, v[6:7]
	s_delay_alu instid0(VALU_DEP_1) | instskip(NEXT) | instid1(VALU_DEP_1)
	v_add_co_u32 v6, s2, s2, v6
	v_add_co_ci_u32_e64 v7, s2, s3, v7, s2
	s_delay_alu instid0(VALU_DEP_4) | instskip(NEXT) | instid1(SALU_CYCLE_1)
	s_and_b32 s2, s1, vcc_lo
	s_and_saveexec_b32 s1, s2
	s_cbranch_execz .LBB482_9
; %bb.8:
	v_ashrrev_i32_e32 v3, 31, v2
	v_xor_b32_e32 v0, 0x80000000, v0
	s_delay_alu instid0(VALU_DEP_2) | instskip(NEXT) | instid1(VALU_DEP_1)
	v_lshlrev_b64 v[2:3], 2, v[2:3]
	v_add_co_u32 v2, vcc_lo, v6, v2
	s_delay_alu instid0(VALU_DEP_2)
	v_add_co_ci_u32_e32 v3, vcc_lo, v7, v3, vcc_lo
	global_store_b32 v[2:3], v0, off
.LBB482_9:
	s_or_b32 exec_lo, exec_lo, s1
	v_cmp_le_i32_e32 vcc_lo, v5, v4
	s_and_b32 s0, vcc_lo, s0
	s_delay_alu instid0(SALU_CYCLE_1)
	s_and_saveexec_b32 s1, s0
	s_cbranch_execz .LBB482_11
; %bb.10:
	v_ashrrev_i32_e32 v5, 31, v4
	s_delay_alu instid0(VALU_DEP_1) | instskip(SKIP_1) | instid1(VALU_DEP_2)
	v_lshlrev_b64 v[2:3], 2, v[4:5]
	v_xor_b32_e32 v4, 0x80000000, v1
	v_add_co_u32 v0, vcc_lo, v6, v2
	s_delay_alu instid0(VALU_DEP_3)
	v_add_co_ci_u32_e32 v1, vcc_lo, v7, v3, vcc_lo
	global_store_b32 v[0:1], v4, off
.LBB482_11:
	s_nop 0
	s_sendmsg sendmsg(MSG_DEALLOC_VGPRS)
	s_endpgm
	.section	.rodata,"a",@progbits
	.p2align	6, 0x0
	.amdhsa_kernel _ZL37rocblas_syrkx_herkx_restricted_kernelIifLi16ELi32ELi8ELin1ELi0ELb0ELc84ELc76EKPKfKPfEviT_PT9_S5_lS7_S5_lPT10_S5_li
		.amdhsa_group_segment_fixed_size 2048
		.amdhsa_private_segment_fixed_size 0
		.amdhsa_kernarg_size 84
		.amdhsa_user_sgpr_count 13
		.amdhsa_user_sgpr_dispatch_ptr 0
		.amdhsa_user_sgpr_queue_ptr 0
		.amdhsa_user_sgpr_kernarg_segment_ptr 1
		.amdhsa_user_sgpr_dispatch_id 0
		.amdhsa_user_sgpr_private_segment_size 0
		.amdhsa_wavefront_size32 1
		.amdhsa_uses_dynamic_stack 0
		.amdhsa_enable_private_segment 0
		.amdhsa_system_sgpr_workgroup_id_x 1
		.amdhsa_system_sgpr_workgroup_id_y 1
		.amdhsa_system_sgpr_workgroup_id_z 1
		.amdhsa_system_sgpr_workgroup_info 0
		.amdhsa_system_vgpr_workitem_id 1
		.amdhsa_next_free_vgpr 46
		.amdhsa_next_free_sgpr 17
		.amdhsa_reserve_vcc 1
		.amdhsa_float_round_mode_32 0
		.amdhsa_float_round_mode_16_64 0
		.amdhsa_float_denorm_mode_32 3
		.amdhsa_float_denorm_mode_16_64 3
		.amdhsa_dx10_clamp 1
		.amdhsa_ieee_mode 1
		.amdhsa_fp16_overflow 0
		.amdhsa_workgroup_processor_mode 1
		.amdhsa_memory_ordered 1
		.amdhsa_forward_progress 0
		.amdhsa_shared_vgpr_count 0
		.amdhsa_exception_fp_ieee_invalid_op 0
		.amdhsa_exception_fp_denorm_src 0
		.amdhsa_exception_fp_ieee_div_zero 0
		.amdhsa_exception_fp_ieee_overflow 0
		.amdhsa_exception_fp_ieee_underflow 0
		.amdhsa_exception_fp_ieee_inexact 0
		.amdhsa_exception_int_div_zero 0
	.end_amdhsa_kernel
	.section	.text._ZL37rocblas_syrkx_herkx_restricted_kernelIifLi16ELi32ELi8ELin1ELi0ELb0ELc84ELc76EKPKfKPfEviT_PT9_S5_lS7_S5_lPT10_S5_li,"axG",@progbits,_ZL37rocblas_syrkx_herkx_restricted_kernelIifLi16ELi32ELi8ELin1ELi0ELb0ELc84ELc76EKPKfKPfEviT_PT9_S5_lS7_S5_lPT10_S5_li,comdat
.Lfunc_end482:
	.size	_ZL37rocblas_syrkx_herkx_restricted_kernelIifLi16ELi32ELi8ELin1ELi0ELb0ELc84ELc76EKPKfKPfEviT_PT9_S5_lS7_S5_lPT10_S5_li, .Lfunc_end482-_ZL37rocblas_syrkx_herkx_restricted_kernelIifLi16ELi32ELi8ELin1ELi0ELb0ELc84ELc76EKPKfKPfEviT_PT9_S5_lS7_S5_lPT10_S5_li
                                        ; -- End function
	.section	.AMDGPU.csdata,"",@progbits
; Kernel info:
; codeLenInByte = 1172
; NumSgprs: 19
; NumVgprs: 46
; ScratchSize: 0
; MemoryBound: 0
; FloatMode: 240
; IeeeMode: 1
; LDSByteSize: 2048 bytes/workgroup (compile time only)
; SGPRBlocks: 2
; VGPRBlocks: 5
; NumSGPRsForWavesPerEU: 19
; NumVGPRsForWavesPerEU: 46
; Occupancy: 16
; WaveLimiterHint : 1
; COMPUTE_PGM_RSRC2:SCRATCH_EN: 0
; COMPUTE_PGM_RSRC2:USER_SGPR: 13
; COMPUTE_PGM_RSRC2:TRAP_HANDLER: 0
; COMPUTE_PGM_RSRC2:TGID_X_EN: 1
; COMPUTE_PGM_RSRC2:TGID_Y_EN: 1
; COMPUTE_PGM_RSRC2:TGID_Z_EN: 1
; COMPUTE_PGM_RSRC2:TIDIG_COMP_CNT: 1
	.section	.text._ZL37rocblas_syrkx_herkx_restricted_kernelIifLi16ELi32ELi8ELin1ELi0ELb0ELc67ELc76EKPKfKPfEviT_PT9_S5_lS7_S5_lPT10_S5_li,"axG",@progbits,_ZL37rocblas_syrkx_herkx_restricted_kernelIifLi16ELi32ELi8ELin1ELi0ELb0ELc67ELc76EKPKfKPfEviT_PT9_S5_lS7_S5_lPT10_S5_li,comdat
	.globl	_ZL37rocblas_syrkx_herkx_restricted_kernelIifLi16ELi32ELi8ELin1ELi0ELb0ELc67ELc76EKPKfKPfEviT_PT9_S5_lS7_S5_lPT10_S5_li ; -- Begin function _ZL37rocblas_syrkx_herkx_restricted_kernelIifLi16ELi32ELi8ELin1ELi0ELb0ELc67ELc76EKPKfKPfEviT_PT9_S5_lS7_S5_lPT10_S5_li
	.p2align	8
	.type	_ZL37rocblas_syrkx_herkx_restricted_kernelIifLi16ELi32ELi8ELin1ELi0ELb0ELc67ELc76EKPKfKPfEviT_PT9_S5_lS7_S5_lPT10_S5_li,@function
_ZL37rocblas_syrkx_herkx_restricted_kernelIifLi16ELi32ELi8ELin1ELi0ELb0ELc67ELc76EKPKfKPfEviT_PT9_S5_lS7_S5_lPT10_S5_li: ; @_ZL37rocblas_syrkx_herkx_restricted_kernelIifLi16ELi32ELi8ELin1ELi0ELb0ELc67ELc76EKPKfKPfEviT_PT9_S5_lS7_S5_lPT10_S5_li
; %bb.0:
	s_clause 0x1
	s_load_b64 s[2:3], s[0:1], 0x38
	s_load_b64 s[4:5], s[0:1], 0x0
	s_mov_b32 s6, s15
	s_mov_b32 s7, 0
	v_dual_mov_b32 v9, 0 :: v_dual_and_b32 v6, 0x3ff, v0
	s_lshl_b64 s[8:9], s[6:7], 3
	v_bfe_u32 v7, v0, 10, 10
	v_dual_mov_b32 v8, 0 :: v_dual_mov_b32 v1, 0
	v_mov_b32_e32 v0, 0
	s_waitcnt lgkmcnt(0)
	s_add_u32 s2, s2, s8
	s_addc_u32 s3, s3, s9
	s_lshl_b32 s6, s13, 5
	s_load_b64 s[2:3], s[2:3], 0x0
	s_lshl_b32 s10, s14, 5
	s_cmp_lt_i32 s5, 1
	s_cbranch_scc1 .LBB483_3
; %bb.1:
	s_clause 0x3
	s_load_b64 s[12:13], s[0:1], 0x8
	s_load_b64 s[14:15], s[0:1], 0x20
	s_load_b32 s11, s[0:1], 0x10
	s_load_b32 s16, s[0:1], 0x28
	v_lshl_add_u32 v2, v7, 4, v6
	v_dual_mov_b32 v1, 0 :: v_dual_and_b32 v0, 7, v6
	v_lshlrev_b32_e32 v10, 2, v6
	s_delay_alu instid0(VALU_DEP_3) | instskip(SKIP_3) | instid1(VALU_DEP_4)
	v_and_b32_e32 v9, 31, v2
	v_lshrrev_b32_e32 v8, 3, v2
	v_lshrrev_b32_e32 v2, 5, v2
	v_mov_b32_e32 v3, v1
	v_add_nc_u32_e32 v11, s6, v9
	s_delay_alu instid0(VALU_DEP_4)
	v_add_nc_u32_e32 v12, s10, v8
	s_waitcnt lgkmcnt(0)
	s_add_u32 s12, s12, s8
	s_addc_u32 s13, s13, s9
	s_add_u32 s8, s14, s8
	s_load_b64 s[12:13], s[12:13], 0x0
	s_addc_u32 s9, s15, s9
	v_mad_i64_i32 v[4:5], null, s11, v11, v[2:3]
	s_load_b64 s[8:9], s[8:9], 0x0
	v_lshlrev_b32_e32 v3, 2, v0
	v_mad_i64_i32 v[14:15], null, s16, v12, v[0:1]
	v_dual_mov_b32 v0, v1 :: v_dual_lshlrev_b32 v9, 2, v9
	s_delay_alu instid0(VALU_DEP_3)
	v_lshl_or_b32 v13, v8, 5, v3
	v_lshlrev_b64 v[3:4], 2, v[4:5]
	v_lshl_add_u32 v11, v7, 5, 0x400
	v_mov_b32_e32 v8, v1
	v_lshlrev_b64 v[14:15], 2, v[14:15]
	v_lshl_or_b32 v12, v2, 7, v9
	v_mov_b32_e32 v9, v1
	v_add_nc_u32_e32 v13, 0x400, v13
	s_waitcnt lgkmcnt(0)
	v_add_co_u32 v2, vcc_lo, s12, v3
	v_add_co_ci_u32_e32 v3, vcc_lo, s13, v4, vcc_lo
	v_add_co_u32 v4, vcc_lo, s8, v14
	v_add_co_ci_u32_e32 v5, vcc_lo, s9, v15, vcc_lo
.LBB483_2:                              ; =>This Inner Loop Header: Depth=1
	global_load_b32 v14, v[2:3], off
	global_load_b32 v15, v[4:5], off
	v_add_co_u32 v2, vcc_lo, v2, 32
	v_add_co_ci_u32_e32 v3, vcc_lo, 0, v3, vcc_lo
	v_add_co_u32 v4, vcc_lo, v4, 32
	v_add_co_ci_u32_e32 v5, vcc_lo, 0, v5, vcc_lo
	s_add_i32 s7, s7, 8
	s_waitcnt vmcnt(1)
	ds_store_b32 v12, v14
	s_waitcnt vmcnt(0)
	ds_store_b32 v13, v15
	s_waitcnt lgkmcnt(0)
	s_barrier
	buffer_gl0_inv
	ds_load_2addr_b32 v[30:31], v10 offset1:16
	ds_load_b128 v[14:17], v11
	ds_load_b128 v[18:21], v11 offset:512
	ds_load_2addr_b32 v[32:33], v10 offset0:32 offset1:48
	ds_load_2addr_b32 v[34:35], v10 offset0:64 offset1:80
	ds_load_b128 v[22:25], v11 offset:16
	ds_load_2addr_b32 v[36:37], v10 offset0:96 offset1:112
	ds_load_2addr_b32 v[38:39], v10 offset0:128 offset1:144
	;; [unrolled: 3-line block ×3, first 2 shown]
	ds_load_2addr_b32 v[44:45], v10 offset0:224 offset1:240
	s_cmp_ge_i32 s7, s5
	s_waitcnt lgkmcnt(0)
	s_barrier
	buffer_gl0_inv
	v_fmac_f32_e32 v8, v31, v14
	v_fmac_f32_e32 v9, v30, v14
	;; [unrolled: 1-line block ×4, first 2 shown]
	s_delay_alu instid0(VALU_DEP_4) | instskip(NEXT) | instid1(VALU_DEP_4)
	v_fmac_f32_e32 v8, v33, v15
	v_fmac_f32_e32 v9, v32, v15
	s_delay_alu instid0(VALU_DEP_4) | instskip(NEXT) | instid1(VALU_DEP_4)
	v_fmac_f32_e32 v1, v33, v19
	v_fmac_f32_e32 v0, v32, v19
	;; [unrolled: 3-line block ×14, first 2 shown]
	s_cbranch_scc0 .LBB483_2
.LBB483_3:
	s_load_b32 s5, s[0:1], 0x40
	v_add_nc_u32_e32 v7, s10, v7
	v_add_nc_u32_e32 v2, s6, v6
	s_delay_alu instid0(VALU_DEP_1) | instskip(SKIP_1) | instid1(VALU_DEP_2)
	v_cmp_le_i32_e64 s0, v7, v2
	v_cmp_gt_i32_e32 vcc_lo, s4, v2
	s_and_b32 s0, s0, vcc_lo
	s_waitcnt lgkmcnt(0)
	v_mad_i64_i32 v[3:4], null, v7, s5, 0
	s_delay_alu instid0(VALU_DEP_1) | instskip(NEXT) | instid1(VALU_DEP_1)
	v_lshlrev_b64 v[3:4], 2, v[3:4]
	v_add_co_u32 v6, s1, s2, v3
	s_delay_alu instid0(VALU_DEP_1)
	v_add_co_ci_u32_e64 v10, s1, s3, v4, s1
	s_and_saveexec_b32 s1, s0
	s_cbranch_execz .LBB483_5
; %bb.4:
	v_ashrrev_i32_e32 v3, 31, v2
	v_xor_b32_e32 v5, 0x80000000, v9
	s_delay_alu instid0(VALU_DEP_2) | instskip(NEXT) | instid1(VALU_DEP_1)
	v_lshlrev_b64 v[3:4], 2, v[2:3]
	v_add_co_u32 v3, s0, v6, v3
	s_delay_alu instid0(VALU_DEP_1)
	v_add_co_ci_u32_e64 v4, s0, v10, v4, s0
	global_store_b32 v[3:4], v5, off
.LBB483_5:
	s_or_b32 exec_lo, exec_lo, s1
	v_add_nc_u32_e32 v4, 16, v2
	s_delay_alu instid0(VALU_DEP_1) | instskip(SKIP_1) | instid1(VALU_DEP_1)
	v_cmp_le_i32_e64 s1, v7, v4
	v_cmp_gt_i32_e64 s0, s4, v4
	s_and_b32 s1, s1, s0
	s_delay_alu instid0(SALU_CYCLE_1)
	s_and_saveexec_b32 s4, s1
	s_cbranch_execz .LBB483_7
; %bb.6:
	v_ashrrev_i32_e32 v5, 31, v4
	v_xor_b32_e32 v3, 0x80000000, v8
	s_delay_alu instid0(VALU_DEP_2) | instskip(NEXT) | instid1(VALU_DEP_1)
	v_lshlrev_b64 v[11:12], 2, v[4:5]
	v_add_co_u32 v5, s1, v6, v11
	s_delay_alu instid0(VALU_DEP_1)
	v_add_co_ci_u32_e64 v6, s1, v10, v12, s1
	global_store_b32 v[5:6], v3, off
.LBB483_7:
	s_or_b32 exec_lo, exec_lo, s4
	v_add_nc_u32_e32 v5, 16, v7
	s_delay_alu instid0(VALU_DEP_1) | instskip(SKIP_1) | instid1(VALU_DEP_2)
	v_mad_i64_i32 v[6:7], null, v5, s5, 0
	v_cmp_le_i32_e64 s1, v5, v2
	v_lshlrev_b64 v[6:7], 2, v[6:7]
	s_delay_alu instid0(VALU_DEP_1) | instskip(NEXT) | instid1(VALU_DEP_1)
	v_add_co_u32 v6, s2, s2, v6
	v_add_co_ci_u32_e64 v7, s2, s3, v7, s2
	s_delay_alu instid0(VALU_DEP_4) | instskip(NEXT) | instid1(SALU_CYCLE_1)
	s_and_b32 s2, s1, vcc_lo
	s_and_saveexec_b32 s1, s2
	s_cbranch_execz .LBB483_9
; %bb.8:
	v_ashrrev_i32_e32 v3, 31, v2
	v_xor_b32_e32 v0, 0x80000000, v0
	s_delay_alu instid0(VALU_DEP_2) | instskip(NEXT) | instid1(VALU_DEP_1)
	v_lshlrev_b64 v[2:3], 2, v[2:3]
	v_add_co_u32 v2, vcc_lo, v6, v2
	s_delay_alu instid0(VALU_DEP_2)
	v_add_co_ci_u32_e32 v3, vcc_lo, v7, v3, vcc_lo
	global_store_b32 v[2:3], v0, off
.LBB483_9:
	s_or_b32 exec_lo, exec_lo, s1
	v_cmp_le_i32_e32 vcc_lo, v5, v4
	s_and_b32 s0, vcc_lo, s0
	s_delay_alu instid0(SALU_CYCLE_1)
	s_and_saveexec_b32 s1, s0
	s_cbranch_execz .LBB483_11
; %bb.10:
	v_ashrrev_i32_e32 v5, 31, v4
	s_delay_alu instid0(VALU_DEP_1) | instskip(SKIP_1) | instid1(VALU_DEP_2)
	v_lshlrev_b64 v[2:3], 2, v[4:5]
	v_xor_b32_e32 v4, 0x80000000, v1
	v_add_co_u32 v0, vcc_lo, v6, v2
	s_delay_alu instid0(VALU_DEP_3)
	v_add_co_ci_u32_e32 v1, vcc_lo, v7, v3, vcc_lo
	global_store_b32 v[0:1], v4, off
.LBB483_11:
	s_nop 0
	s_sendmsg sendmsg(MSG_DEALLOC_VGPRS)
	s_endpgm
	.section	.rodata,"a",@progbits
	.p2align	6, 0x0
	.amdhsa_kernel _ZL37rocblas_syrkx_herkx_restricted_kernelIifLi16ELi32ELi8ELin1ELi0ELb0ELc67ELc76EKPKfKPfEviT_PT9_S5_lS7_S5_lPT10_S5_li
		.amdhsa_group_segment_fixed_size 2048
		.amdhsa_private_segment_fixed_size 0
		.amdhsa_kernarg_size 84
		.amdhsa_user_sgpr_count 13
		.amdhsa_user_sgpr_dispatch_ptr 0
		.amdhsa_user_sgpr_queue_ptr 0
		.amdhsa_user_sgpr_kernarg_segment_ptr 1
		.amdhsa_user_sgpr_dispatch_id 0
		.amdhsa_user_sgpr_private_segment_size 0
		.amdhsa_wavefront_size32 1
		.amdhsa_uses_dynamic_stack 0
		.amdhsa_enable_private_segment 0
		.amdhsa_system_sgpr_workgroup_id_x 1
		.amdhsa_system_sgpr_workgroup_id_y 1
		.amdhsa_system_sgpr_workgroup_id_z 1
		.amdhsa_system_sgpr_workgroup_info 0
		.amdhsa_system_vgpr_workitem_id 1
		.amdhsa_next_free_vgpr 46
		.amdhsa_next_free_sgpr 17
		.amdhsa_reserve_vcc 1
		.amdhsa_float_round_mode_32 0
		.amdhsa_float_round_mode_16_64 0
		.amdhsa_float_denorm_mode_32 3
		.amdhsa_float_denorm_mode_16_64 3
		.amdhsa_dx10_clamp 1
		.amdhsa_ieee_mode 1
		.amdhsa_fp16_overflow 0
		.amdhsa_workgroup_processor_mode 1
		.amdhsa_memory_ordered 1
		.amdhsa_forward_progress 0
		.amdhsa_shared_vgpr_count 0
		.amdhsa_exception_fp_ieee_invalid_op 0
		.amdhsa_exception_fp_denorm_src 0
		.amdhsa_exception_fp_ieee_div_zero 0
		.amdhsa_exception_fp_ieee_overflow 0
		.amdhsa_exception_fp_ieee_underflow 0
		.amdhsa_exception_fp_ieee_inexact 0
		.amdhsa_exception_int_div_zero 0
	.end_amdhsa_kernel
	.section	.text._ZL37rocblas_syrkx_herkx_restricted_kernelIifLi16ELi32ELi8ELin1ELi0ELb0ELc67ELc76EKPKfKPfEviT_PT9_S5_lS7_S5_lPT10_S5_li,"axG",@progbits,_ZL37rocblas_syrkx_herkx_restricted_kernelIifLi16ELi32ELi8ELin1ELi0ELb0ELc67ELc76EKPKfKPfEviT_PT9_S5_lS7_S5_lPT10_S5_li,comdat
.Lfunc_end483:
	.size	_ZL37rocblas_syrkx_herkx_restricted_kernelIifLi16ELi32ELi8ELin1ELi0ELb0ELc67ELc76EKPKfKPfEviT_PT9_S5_lS7_S5_lPT10_S5_li, .Lfunc_end483-_ZL37rocblas_syrkx_herkx_restricted_kernelIifLi16ELi32ELi8ELin1ELi0ELb0ELc67ELc76EKPKfKPfEviT_PT9_S5_lS7_S5_lPT10_S5_li
                                        ; -- End function
	.section	.AMDGPU.csdata,"",@progbits
; Kernel info:
; codeLenInByte = 1172
; NumSgprs: 19
; NumVgprs: 46
; ScratchSize: 0
; MemoryBound: 0
; FloatMode: 240
; IeeeMode: 1
; LDSByteSize: 2048 bytes/workgroup (compile time only)
; SGPRBlocks: 2
; VGPRBlocks: 5
; NumSGPRsForWavesPerEU: 19
; NumVGPRsForWavesPerEU: 46
; Occupancy: 16
; WaveLimiterHint : 1
; COMPUTE_PGM_RSRC2:SCRATCH_EN: 0
; COMPUTE_PGM_RSRC2:USER_SGPR: 13
; COMPUTE_PGM_RSRC2:TRAP_HANDLER: 0
; COMPUTE_PGM_RSRC2:TGID_X_EN: 1
; COMPUTE_PGM_RSRC2:TGID_Y_EN: 1
; COMPUTE_PGM_RSRC2:TGID_Z_EN: 1
; COMPUTE_PGM_RSRC2:TIDIG_COMP_CNT: 1
	.section	.text._ZL37rocblas_syrkx_herkx_restricted_kernelIifLi16ELi32ELi8ELin1ELi0ELb0ELc78ELc76EKPKfKPfEviT_PT9_S5_lS7_S5_lPT10_S5_li,"axG",@progbits,_ZL37rocblas_syrkx_herkx_restricted_kernelIifLi16ELi32ELi8ELin1ELi0ELb0ELc78ELc76EKPKfKPfEviT_PT9_S5_lS7_S5_lPT10_S5_li,comdat
	.globl	_ZL37rocblas_syrkx_herkx_restricted_kernelIifLi16ELi32ELi8ELin1ELi0ELb0ELc78ELc76EKPKfKPfEviT_PT9_S5_lS7_S5_lPT10_S5_li ; -- Begin function _ZL37rocblas_syrkx_herkx_restricted_kernelIifLi16ELi32ELi8ELin1ELi0ELb0ELc78ELc76EKPKfKPfEviT_PT9_S5_lS7_S5_lPT10_S5_li
	.p2align	8
	.type	_ZL37rocblas_syrkx_herkx_restricted_kernelIifLi16ELi32ELi8ELin1ELi0ELb0ELc78ELc76EKPKfKPfEviT_PT9_S5_lS7_S5_lPT10_S5_li,@function
_ZL37rocblas_syrkx_herkx_restricted_kernelIifLi16ELi32ELi8ELin1ELi0ELb0ELc78ELc76EKPKfKPfEviT_PT9_S5_lS7_S5_lPT10_S5_li: ; @_ZL37rocblas_syrkx_herkx_restricted_kernelIifLi16ELi32ELi8ELin1ELi0ELb0ELc78ELc76EKPKfKPfEviT_PT9_S5_lS7_S5_lPT10_S5_li
; %bb.0:
	s_clause 0x1
	s_load_b64 s[2:3], s[0:1], 0x38
	s_load_b64 s[4:5], s[0:1], 0x0
	s_mov_b32 s6, s15
	s_mov_b32 s7, 0
	v_dual_mov_b32 v8, 0 :: v_dual_and_b32 v5, 0x3ff, v0
	s_lshl_b64 s[8:9], s[6:7], 3
	v_bfe_u32 v6, v0, 10, 10
	v_dual_mov_b32 v9, 0 :: v_dual_mov_b32 v4, 0
	v_mov_b32_e32 v7, 0
	s_waitcnt lgkmcnt(0)
	s_add_u32 s2, s2, s8
	s_addc_u32 s3, s3, s9
	s_lshl_b32 s6, s13, 5
	s_load_b64 s[2:3], s[2:3], 0x0
	s_lshl_b32 s12, s14, 5
	s_cmp_lt_i32 s5, 1
	s_cbranch_scc1 .LBB484_3
; %bb.1:
	s_clause 0x3
	s_load_b32 s10, s[0:1], 0x10
	s_load_b32 s14, s[0:1], 0x28
	s_load_b64 s[16:17], s[0:1], 0x8
	s_load_b64 s[18:19], s[0:1], 0x20
	v_lshl_add_u32 v0, v6, 4, v5
	v_dual_mov_b32 v4, 0 :: v_dual_and_b32 v7, 7, v5
	v_lshlrev_b32_e32 v10, 2, v5
	v_lshl_add_u32 v11, v6, 5, 0x400
	s_delay_alu instid0(VALU_DEP_4) | instskip(SKIP_3) | instid1(VALU_DEP_4)
	v_and_b32_e32 v13, 31, v0
	v_lshrrev_b32_e32 v12, 3, v0
	v_lshrrev_b32_e32 v14, 5, v0
	v_lshlrev_b32_e32 v15, 2, v7
	v_add_nc_u32_e32 v2, s6, v13
	s_delay_alu instid0(VALU_DEP_4) | instskip(NEXT) | instid1(VALU_DEP_3)
	v_add_nc_u32_e32 v0, s12, v12
	v_lshl_or_b32 v15, v12, 5, v15
	s_delay_alu instid0(VALU_DEP_3)
	v_ashrrev_i32_e32 v3, 31, v2
	s_waitcnt lgkmcnt(0)
	s_ashr_i32 s11, s10, 31
	s_ashr_i32 s15, s14, 31
	s_add_u32 s16, s16, s8
	s_addc_u32 s17, s17, s9
	s_add_u32 s8, s18, s8
	s_load_b64 s[16:17], s[16:17], 0x0
	s_addc_u32 s9, s19, s9
	v_ashrrev_i32_e32 v1, 31, v0
	s_load_b64 s[8:9], s[8:9], 0x0
	v_mad_i64_i32 v[8:9], null, s10, v14, v[2:3]
	s_delay_alu instid0(VALU_DEP_2) | instskip(SKIP_1) | instid1(VALU_DEP_3)
	v_mad_i64_i32 v[2:3], null, s14, v7, v[0:1]
	v_mov_b32_e32 v7, 0
	v_lshlrev_b64 v[0:1], 2, v[8:9]
	v_dual_mov_b32 v9, 0 :: v_dual_mov_b32 v8, 0
	s_delay_alu instid0(VALU_DEP_4) | instskip(SKIP_2) | instid1(VALU_DEP_4)
	v_lshlrev_b64 v[2:3], 2, v[2:3]
	v_lshlrev_b32_e32 v13, 2, v13
	s_waitcnt lgkmcnt(0)
	v_add_co_u32 v0, vcc_lo, s16, v0
	v_add_co_ci_u32_e32 v1, vcc_lo, s17, v1, vcc_lo
	s_delay_alu instid0(VALU_DEP_4)
	v_add_co_u32 v2, vcc_lo, s8, v2
	v_lshl_or_b32 v12, v14, 7, v13
	v_add_nc_u32_e32 v13, 0x400, v15
	v_add_co_ci_u32_e32 v3, vcc_lo, s9, v3, vcc_lo
	s_lshl_b64 s[8:9], s[10:11], 5
	s_lshl_b64 s[10:11], s[14:15], 5
.LBB484_2:                              ; =>This Inner Loop Header: Depth=1
	global_load_b32 v14, v[0:1], off
	global_load_b32 v15, v[2:3], off
	v_add_co_u32 v0, vcc_lo, v0, s8
	v_add_co_ci_u32_e32 v1, vcc_lo, s9, v1, vcc_lo
	v_add_co_u32 v2, vcc_lo, v2, s10
	v_add_co_ci_u32_e32 v3, vcc_lo, s11, v3, vcc_lo
	s_add_i32 s7, s7, 8
	s_waitcnt vmcnt(1)
	ds_store_b32 v12, v14
	s_waitcnt vmcnt(0)
	ds_store_b32 v13, v15
	s_waitcnt lgkmcnt(0)
	s_barrier
	buffer_gl0_inv
	ds_load_2addr_b32 v[30:31], v10 offset1:16
	ds_load_b128 v[14:17], v11
	ds_load_b128 v[18:21], v11 offset:512
	ds_load_2addr_b32 v[32:33], v10 offset0:32 offset1:48
	ds_load_2addr_b32 v[34:35], v10 offset0:64 offset1:80
	ds_load_b128 v[22:25], v11 offset:16
	ds_load_2addr_b32 v[36:37], v10 offset0:96 offset1:112
	ds_load_2addr_b32 v[38:39], v10 offset0:128 offset1:144
	;; [unrolled: 3-line block ×3, first 2 shown]
	ds_load_2addr_b32 v[44:45], v10 offset0:224 offset1:240
	s_cmp_ge_i32 s7, s5
	s_waitcnt lgkmcnt(0)
	s_barrier
	buffer_gl0_inv
	v_fmac_f32_e32 v8, v31, v14
	v_fmac_f32_e32 v9, v30, v14
	;; [unrolled: 1-line block ×3, first 2 shown]
	s_delay_alu instid0(VALU_DEP_3) | instskip(NEXT) | instid1(VALU_DEP_3)
	v_dual_fmac_f32 v7, v30, v18 :: v_dual_fmac_f32 v8, v33, v15
	v_fmac_f32_e32 v9, v32, v15
	s_delay_alu instid0(VALU_DEP_3) | instskip(NEXT) | instid1(VALU_DEP_3)
	v_fmac_f32_e32 v4, v33, v19
	v_dual_fmac_f32 v7, v32, v19 :: v_dual_fmac_f32 v8, v35, v16
	s_delay_alu instid0(VALU_DEP_3) | instskip(NEXT) | instid1(VALU_DEP_3)
	v_fmac_f32_e32 v9, v34, v16
	v_fmac_f32_e32 v4, v35, v20
	s_delay_alu instid0(VALU_DEP_3) | instskip(NEXT) | instid1(VALU_DEP_3)
	v_dual_fmac_f32 v7, v34, v20 :: v_dual_fmac_f32 v8, v37, v17
	v_fmac_f32_e32 v9, v36, v17
	s_delay_alu instid0(VALU_DEP_3) | instskip(NEXT) | instid1(VALU_DEP_3)
	v_fmac_f32_e32 v4, v37, v21
	v_dual_fmac_f32 v7, v36, v21 :: v_dual_fmac_f32 v8, v39, v22
	s_delay_alu instid0(VALU_DEP_3) | instskip(NEXT) | instid1(VALU_DEP_3)
	v_fmac_f32_e32 v9, v38, v22
	v_fmac_f32_e32 v4, v39, v26
	;; [unrolled: 9-line block ×3, first 2 shown]
	s_delay_alu instid0(VALU_DEP_3) | instskip(NEXT) | instid1(VALU_DEP_3)
	v_dual_fmac_f32 v7, v42, v28 :: v_dual_fmac_f32 v8, v45, v25
	v_fmac_f32_e32 v9, v44, v25
	s_delay_alu instid0(VALU_DEP_3) | instskip(NEXT) | instid1(VALU_DEP_3)
	v_fmac_f32_e32 v4, v45, v29
	v_fmac_f32_e32 v7, v44, v29
	s_cbranch_scc0 .LBB484_2
.LBB484_3:
	s_load_b32 s5, s[0:1], 0x40
	v_add_nc_u32_e32 v6, s12, v6
	v_add_nc_u32_e32 v0, s6, v5
	s_delay_alu instid0(VALU_DEP_1) | instskip(SKIP_1) | instid1(VALU_DEP_2)
	v_cmp_le_i32_e64 s0, v6, v0
	v_cmp_gt_i32_e32 vcc_lo, s4, v0
	s_and_b32 s0, s0, vcc_lo
	s_waitcnt lgkmcnt(0)
	v_mad_i64_i32 v[1:2], null, v6, s5, 0
	s_delay_alu instid0(VALU_DEP_1) | instskip(NEXT) | instid1(VALU_DEP_1)
	v_lshlrev_b64 v[1:2], 2, v[1:2]
	v_add_co_u32 v5, s1, s2, v1
	s_delay_alu instid0(VALU_DEP_1)
	v_add_co_ci_u32_e64 v10, s1, s3, v2, s1
	s_and_saveexec_b32 s1, s0
	s_cbranch_execz .LBB484_5
; %bb.4:
	v_ashrrev_i32_e32 v1, 31, v0
	v_xor_b32_e32 v3, 0x80000000, v9
	s_delay_alu instid0(VALU_DEP_2) | instskip(NEXT) | instid1(VALU_DEP_1)
	v_lshlrev_b64 v[1:2], 2, v[0:1]
	v_add_co_u32 v1, s0, v5, v1
	s_delay_alu instid0(VALU_DEP_1)
	v_add_co_ci_u32_e64 v2, s0, v10, v2, s0
	global_store_b32 v[1:2], v3, off
.LBB484_5:
	s_or_b32 exec_lo, exec_lo, s1
	v_add_nc_u32_e32 v2, 16, v0
	s_delay_alu instid0(VALU_DEP_1) | instskip(SKIP_1) | instid1(VALU_DEP_1)
	v_cmp_le_i32_e64 s1, v6, v2
	v_cmp_gt_i32_e64 s0, s4, v2
	s_and_b32 s1, s1, s0
	s_delay_alu instid0(SALU_CYCLE_1)
	s_and_saveexec_b32 s4, s1
	s_cbranch_execz .LBB484_7
; %bb.6:
	v_ashrrev_i32_e32 v3, 31, v2
	v_xor_b32_e32 v1, 0x80000000, v8
	s_delay_alu instid0(VALU_DEP_2) | instskip(NEXT) | instid1(VALU_DEP_1)
	v_lshlrev_b64 v[11:12], 2, v[2:3]
	v_add_co_u32 v8, s1, v5, v11
	s_delay_alu instid0(VALU_DEP_1)
	v_add_co_ci_u32_e64 v9, s1, v10, v12, s1
	global_store_b32 v[8:9], v1, off
.LBB484_7:
	s_or_b32 exec_lo, exec_lo, s4
	v_add_nc_u32_e32 v3, 16, v6
	s_delay_alu instid0(VALU_DEP_1) | instskip(SKIP_1) | instid1(VALU_DEP_2)
	v_mad_i64_i32 v[5:6], null, v3, s5, 0
	v_cmp_le_i32_e64 s1, v3, v0
	v_lshlrev_b64 v[5:6], 2, v[5:6]
	s_delay_alu instid0(VALU_DEP_1) | instskip(NEXT) | instid1(VALU_DEP_1)
	v_add_co_u32 v5, s2, s2, v5
	v_add_co_ci_u32_e64 v6, s2, s3, v6, s2
	s_delay_alu instid0(VALU_DEP_4) | instskip(NEXT) | instid1(SALU_CYCLE_1)
	s_and_b32 s2, s1, vcc_lo
	s_and_saveexec_b32 s1, s2
	s_cbranch_execz .LBB484_9
; %bb.8:
	v_ashrrev_i32_e32 v1, 31, v0
	v_xor_b32_e32 v7, 0x80000000, v7
	s_delay_alu instid0(VALU_DEP_2) | instskip(NEXT) | instid1(VALU_DEP_1)
	v_lshlrev_b64 v[0:1], 2, v[0:1]
	v_add_co_u32 v0, vcc_lo, v5, v0
	s_delay_alu instid0(VALU_DEP_2)
	v_add_co_ci_u32_e32 v1, vcc_lo, v6, v1, vcc_lo
	global_store_b32 v[0:1], v7, off
.LBB484_9:
	s_or_b32 exec_lo, exec_lo, s1
	v_cmp_le_i32_e32 vcc_lo, v3, v2
	s_and_b32 s0, vcc_lo, s0
	s_delay_alu instid0(SALU_CYCLE_1)
	s_and_saveexec_b32 s1, s0
	s_cbranch_execz .LBB484_11
; %bb.10:
	v_ashrrev_i32_e32 v3, 31, v2
	s_delay_alu instid0(VALU_DEP_1) | instskip(SKIP_1) | instid1(VALU_DEP_2)
	v_lshlrev_b64 v[0:1], 2, v[2:3]
	v_xor_b32_e32 v2, 0x80000000, v4
	v_add_co_u32 v0, vcc_lo, v5, v0
	s_delay_alu instid0(VALU_DEP_3)
	v_add_co_ci_u32_e32 v1, vcc_lo, v6, v1, vcc_lo
	global_store_b32 v[0:1], v2, off
.LBB484_11:
	s_nop 0
	s_sendmsg sendmsg(MSG_DEALLOC_VGPRS)
	s_endpgm
	.section	.rodata,"a",@progbits
	.p2align	6, 0x0
	.amdhsa_kernel _ZL37rocblas_syrkx_herkx_restricted_kernelIifLi16ELi32ELi8ELin1ELi0ELb0ELc78ELc76EKPKfKPfEviT_PT9_S5_lS7_S5_lPT10_S5_li
		.amdhsa_group_segment_fixed_size 2048
		.amdhsa_private_segment_fixed_size 0
		.amdhsa_kernarg_size 84
		.amdhsa_user_sgpr_count 13
		.amdhsa_user_sgpr_dispatch_ptr 0
		.amdhsa_user_sgpr_queue_ptr 0
		.amdhsa_user_sgpr_kernarg_segment_ptr 1
		.amdhsa_user_sgpr_dispatch_id 0
		.amdhsa_user_sgpr_private_segment_size 0
		.amdhsa_wavefront_size32 1
		.amdhsa_uses_dynamic_stack 0
		.amdhsa_enable_private_segment 0
		.amdhsa_system_sgpr_workgroup_id_x 1
		.amdhsa_system_sgpr_workgroup_id_y 1
		.amdhsa_system_sgpr_workgroup_id_z 1
		.amdhsa_system_sgpr_workgroup_info 0
		.amdhsa_system_vgpr_workitem_id 1
		.amdhsa_next_free_vgpr 46
		.amdhsa_next_free_sgpr 20
		.amdhsa_reserve_vcc 1
		.amdhsa_float_round_mode_32 0
		.amdhsa_float_round_mode_16_64 0
		.amdhsa_float_denorm_mode_32 3
		.amdhsa_float_denorm_mode_16_64 3
		.amdhsa_dx10_clamp 1
		.amdhsa_ieee_mode 1
		.amdhsa_fp16_overflow 0
		.amdhsa_workgroup_processor_mode 1
		.amdhsa_memory_ordered 1
		.amdhsa_forward_progress 0
		.amdhsa_shared_vgpr_count 0
		.amdhsa_exception_fp_ieee_invalid_op 0
		.amdhsa_exception_fp_denorm_src 0
		.amdhsa_exception_fp_ieee_div_zero 0
		.amdhsa_exception_fp_ieee_overflow 0
		.amdhsa_exception_fp_ieee_underflow 0
		.amdhsa_exception_fp_ieee_inexact 0
		.amdhsa_exception_int_div_zero 0
	.end_amdhsa_kernel
	.section	.text._ZL37rocblas_syrkx_herkx_restricted_kernelIifLi16ELi32ELi8ELin1ELi0ELb0ELc78ELc76EKPKfKPfEviT_PT9_S5_lS7_S5_lPT10_S5_li,"axG",@progbits,_ZL37rocblas_syrkx_herkx_restricted_kernelIifLi16ELi32ELi8ELin1ELi0ELb0ELc78ELc76EKPKfKPfEviT_PT9_S5_lS7_S5_lPT10_S5_li,comdat
.Lfunc_end484:
	.size	_ZL37rocblas_syrkx_herkx_restricted_kernelIifLi16ELi32ELi8ELin1ELi0ELb0ELc78ELc76EKPKfKPfEviT_PT9_S5_lS7_S5_lPT10_S5_li, .Lfunc_end484-_ZL37rocblas_syrkx_herkx_restricted_kernelIifLi16ELi32ELi8ELin1ELi0ELb0ELc78ELc76EKPKfKPfEviT_PT9_S5_lS7_S5_lPT10_S5_li
                                        ; -- End function
	.section	.AMDGPU.csdata,"",@progbits
; Kernel info:
; codeLenInByte = 1192
; NumSgprs: 22
; NumVgprs: 46
; ScratchSize: 0
; MemoryBound: 0
; FloatMode: 240
; IeeeMode: 1
; LDSByteSize: 2048 bytes/workgroup (compile time only)
; SGPRBlocks: 2
; VGPRBlocks: 5
; NumSGPRsForWavesPerEU: 22
; NumVGPRsForWavesPerEU: 46
; Occupancy: 16
; WaveLimiterHint : 1
; COMPUTE_PGM_RSRC2:SCRATCH_EN: 0
; COMPUTE_PGM_RSRC2:USER_SGPR: 13
; COMPUTE_PGM_RSRC2:TRAP_HANDLER: 0
; COMPUTE_PGM_RSRC2:TGID_X_EN: 1
; COMPUTE_PGM_RSRC2:TGID_Y_EN: 1
; COMPUTE_PGM_RSRC2:TGID_Z_EN: 1
; COMPUTE_PGM_RSRC2:TIDIG_COMP_CNT: 1
	.section	.text._ZL37rocblas_syrkx_herkx_restricted_kernelIifLi16ELi32ELi8ELin1ELi0ELb0ELc84ELc85EKPKfKPfEviT_PT9_S5_lS7_S5_lPT10_S5_li,"axG",@progbits,_ZL37rocblas_syrkx_herkx_restricted_kernelIifLi16ELi32ELi8ELin1ELi0ELb0ELc84ELc85EKPKfKPfEviT_PT9_S5_lS7_S5_lPT10_S5_li,comdat
	.globl	_ZL37rocblas_syrkx_herkx_restricted_kernelIifLi16ELi32ELi8ELin1ELi0ELb0ELc84ELc85EKPKfKPfEviT_PT9_S5_lS7_S5_lPT10_S5_li ; -- Begin function _ZL37rocblas_syrkx_herkx_restricted_kernelIifLi16ELi32ELi8ELin1ELi0ELb0ELc84ELc85EKPKfKPfEviT_PT9_S5_lS7_S5_lPT10_S5_li
	.p2align	8
	.type	_ZL37rocblas_syrkx_herkx_restricted_kernelIifLi16ELi32ELi8ELin1ELi0ELb0ELc84ELc85EKPKfKPfEviT_PT9_S5_lS7_S5_lPT10_S5_li,@function
_ZL37rocblas_syrkx_herkx_restricted_kernelIifLi16ELi32ELi8ELin1ELi0ELb0ELc84ELc85EKPKfKPfEviT_PT9_S5_lS7_S5_lPT10_S5_li: ; @_ZL37rocblas_syrkx_herkx_restricted_kernelIifLi16ELi32ELi8ELin1ELi0ELb0ELc84ELc85EKPKfKPfEviT_PT9_S5_lS7_S5_lPT10_S5_li
; %bb.0:
	s_clause 0x1
	s_load_b64 s[4:5], s[0:1], 0x38
	s_load_b64 s[2:3], s[0:1], 0x0
	s_mov_b32 s6, s15
	s_mov_b32 s7, 0
	v_dual_mov_b32 v9, 0 :: v_dual_and_b32 v6, 0x3ff, v0
	s_lshl_b64 s[8:9], s[6:7], 3
	v_bfe_u32 v7, v0, 10, 10
	v_dual_mov_b32 v8, 0 :: v_dual_mov_b32 v1, 0
	v_mov_b32_e32 v0, 0
	s_waitcnt lgkmcnt(0)
	s_add_u32 s4, s4, s8
	s_addc_u32 s5, s5, s9
	s_lshl_b32 s6, s13, 5
	s_load_b64 s[4:5], s[4:5], 0x0
	s_lshl_b32 s10, s14, 5
	s_cmp_lt_i32 s3, 1
	s_cbranch_scc1 .LBB485_3
; %bb.1:
	s_clause 0x3
	s_load_b64 s[12:13], s[0:1], 0x8
	s_load_b64 s[14:15], s[0:1], 0x20
	s_load_b32 s11, s[0:1], 0x10
	s_load_b32 s16, s[0:1], 0x28
	v_lshl_add_u32 v2, v7, 4, v6
	v_dual_mov_b32 v1, 0 :: v_dual_and_b32 v0, 7, v6
	v_lshlrev_b32_e32 v10, 2, v6
	s_delay_alu instid0(VALU_DEP_3) | instskip(SKIP_3) | instid1(VALU_DEP_4)
	v_and_b32_e32 v9, 31, v2
	v_lshrrev_b32_e32 v8, 3, v2
	v_lshrrev_b32_e32 v2, 5, v2
	v_mov_b32_e32 v3, v1
	v_add_nc_u32_e32 v11, s6, v9
	s_delay_alu instid0(VALU_DEP_4)
	v_add_nc_u32_e32 v12, s10, v8
	s_waitcnt lgkmcnt(0)
	s_add_u32 s12, s12, s8
	s_addc_u32 s13, s13, s9
	s_add_u32 s8, s14, s8
	s_load_b64 s[12:13], s[12:13], 0x0
	s_addc_u32 s9, s15, s9
	v_mad_i64_i32 v[4:5], null, s11, v11, v[2:3]
	s_load_b64 s[8:9], s[8:9], 0x0
	v_lshlrev_b32_e32 v3, 2, v0
	v_mad_i64_i32 v[14:15], null, s16, v12, v[0:1]
	v_dual_mov_b32 v0, v1 :: v_dual_lshlrev_b32 v9, 2, v9
	s_delay_alu instid0(VALU_DEP_3)
	v_lshl_or_b32 v13, v8, 5, v3
	v_lshlrev_b64 v[3:4], 2, v[4:5]
	v_lshl_add_u32 v11, v7, 5, 0x400
	v_mov_b32_e32 v8, v1
	v_lshlrev_b64 v[14:15], 2, v[14:15]
	v_lshl_or_b32 v12, v2, 7, v9
	v_mov_b32_e32 v9, v1
	v_add_nc_u32_e32 v13, 0x400, v13
	s_waitcnt lgkmcnt(0)
	v_add_co_u32 v2, vcc_lo, s12, v3
	v_add_co_ci_u32_e32 v3, vcc_lo, s13, v4, vcc_lo
	v_add_co_u32 v4, vcc_lo, s8, v14
	v_add_co_ci_u32_e32 v5, vcc_lo, s9, v15, vcc_lo
.LBB485_2:                              ; =>This Inner Loop Header: Depth=1
	global_load_b32 v14, v[2:3], off
	global_load_b32 v15, v[4:5], off
	v_add_co_u32 v2, vcc_lo, v2, 32
	v_add_co_ci_u32_e32 v3, vcc_lo, 0, v3, vcc_lo
	v_add_co_u32 v4, vcc_lo, v4, 32
	v_add_co_ci_u32_e32 v5, vcc_lo, 0, v5, vcc_lo
	s_add_i32 s7, s7, 8
	s_waitcnt vmcnt(1)
	ds_store_b32 v12, v14
	s_waitcnt vmcnt(0)
	ds_store_b32 v13, v15
	s_waitcnt lgkmcnt(0)
	s_barrier
	buffer_gl0_inv
	ds_load_2addr_b32 v[30:31], v10 offset1:16
	ds_load_b128 v[14:17], v11
	ds_load_b128 v[18:21], v11 offset:512
	ds_load_2addr_b32 v[32:33], v10 offset0:32 offset1:48
	ds_load_2addr_b32 v[34:35], v10 offset0:64 offset1:80
	ds_load_b128 v[22:25], v11 offset:16
	ds_load_2addr_b32 v[36:37], v10 offset0:96 offset1:112
	ds_load_2addr_b32 v[38:39], v10 offset0:128 offset1:144
	;; [unrolled: 3-line block ×3, first 2 shown]
	ds_load_2addr_b32 v[44:45], v10 offset0:224 offset1:240
	s_cmp_ge_i32 s7, s3
	s_waitcnt lgkmcnt(0)
	s_barrier
	buffer_gl0_inv
	v_fmac_f32_e32 v8, v31, v14
	v_fmac_f32_e32 v9, v30, v14
	v_fmac_f32_e32 v1, v31, v18
	v_fmac_f32_e32 v0, v30, v18
	s_delay_alu instid0(VALU_DEP_4) | instskip(NEXT) | instid1(VALU_DEP_4)
	v_fmac_f32_e32 v8, v33, v15
	v_fmac_f32_e32 v9, v32, v15
	s_delay_alu instid0(VALU_DEP_4) | instskip(NEXT) | instid1(VALU_DEP_4)
	v_fmac_f32_e32 v1, v33, v19
	v_fmac_f32_e32 v0, v32, v19
	;; [unrolled: 3-line block ×14, first 2 shown]
	s_cbranch_scc0 .LBB485_2
.LBB485_3:
	s_load_b32 s3, s[0:1], 0x40
	v_add_nc_u32_e32 v7, s10, v7
	v_add_nc_u32_e32 v2, s6, v6
	s_delay_alu instid0(VALU_DEP_2) | instskip(NEXT) | instid1(VALU_DEP_2)
	v_cmp_gt_i32_e32 vcc_lo, s2, v7
	v_cmp_le_i32_e64 s0, v2, v7
	s_delay_alu instid0(VALU_DEP_1) | instskip(SKIP_2) | instid1(VALU_DEP_1)
	s_and_b32 s0, vcc_lo, s0
	s_waitcnt lgkmcnt(0)
	v_mad_i64_i32 v[3:4], null, v7, s3, 0
	v_lshlrev_b64 v[3:4], 2, v[3:4]
	s_delay_alu instid0(VALU_DEP_1) | instskip(NEXT) | instid1(VALU_DEP_1)
	v_add_co_u32 v6, s1, s4, v3
	v_add_co_ci_u32_e64 v10, s1, s5, v4, s1
	s_and_saveexec_b32 s1, s0
	s_cbranch_execz .LBB485_5
; %bb.4:
	v_ashrrev_i32_e32 v3, 31, v2
	v_xor_b32_e32 v5, 0x80000000, v9
	s_delay_alu instid0(VALU_DEP_2) | instskip(NEXT) | instid1(VALU_DEP_1)
	v_lshlrev_b64 v[3:4], 2, v[2:3]
	v_add_co_u32 v3, s0, v6, v3
	s_delay_alu instid0(VALU_DEP_1)
	v_add_co_ci_u32_e64 v4, s0, v10, v4, s0
	global_store_b32 v[3:4], v5, off
.LBB485_5:
	s_or_b32 exec_lo, exec_lo, s1
	v_add_nc_u32_e32 v4, 16, v2
	s_delay_alu instid0(VALU_DEP_1) | instskip(NEXT) | instid1(VALU_DEP_1)
	v_cmp_le_i32_e64 s0, v4, v7
	s_and_b32 s1, vcc_lo, s0
	s_delay_alu instid0(SALU_CYCLE_1)
	s_and_saveexec_b32 s0, s1
	s_cbranch_execz .LBB485_7
; %bb.6:
	v_ashrrev_i32_e32 v5, 31, v4
	v_xor_b32_e32 v3, 0x80000000, v8
	s_delay_alu instid0(VALU_DEP_2) | instskip(NEXT) | instid1(VALU_DEP_1)
	v_lshlrev_b64 v[11:12], 2, v[4:5]
	v_add_co_u32 v5, vcc_lo, v6, v11
	s_delay_alu instid0(VALU_DEP_2)
	v_add_co_ci_u32_e32 v6, vcc_lo, v10, v12, vcc_lo
	global_store_b32 v[5:6], v3, off
.LBB485_7:
	s_or_b32 exec_lo, exec_lo, s0
	v_add_nc_u32_e32 v5, 16, v7
	s_delay_alu instid0(VALU_DEP_1) | instskip(SKIP_2) | instid1(VALU_DEP_1)
	v_mad_i64_i32 v[6:7], null, v5, s3, 0
	v_cmp_gt_i32_e32 vcc_lo, s2, v5
	v_cmp_le_i32_e64 s0, v2, v5
	s_and_b32 s0, vcc_lo, s0
	s_delay_alu instid0(VALU_DEP_3) | instskip(NEXT) | instid1(VALU_DEP_1)
	v_lshlrev_b64 v[6:7], 2, v[6:7]
	v_add_co_u32 v6, s1, s4, v6
	s_delay_alu instid0(VALU_DEP_1)
	v_add_co_ci_u32_e64 v7, s1, s5, v7, s1
	s_and_saveexec_b32 s1, s0
	s_cbranch_execz .LBB485_9
; %bb.8:
	v_ashrrev_i32_e32 v3, 31, v2
	v_xor_b32_e32 v0, 0x80000000, v0
	s_delay_alu instid0(VALU_DEP_2) | instskip(NEXT) | instid1(VALU_DEP_1)
	v_lshlrev_b64 v[2:3], 2, v[2:3]
	v_add_co_u32 v2, s0, v6, v2
	s_delay_alu instid0(VALU_DEP_1)
	v_add_co_ci_u32_e64 v3, s0, v7, v3, s0
	global_store_b32 v[2:3], v0, off
.LBB485_9:
	s_or_b32 exec_lo, exec_lo, s1
	v_cmp_le_i32_e64 s0, v4, v5
	s_delay_alu instid0(VALU_DEP_1) | instskip(NEXT) | instid1(SALU_CYCLE_1)
	s_and_b32 s0, vcc_lo, s0
	s_and_saveexec_b32 s1, s0
	s_cbranch_execz .LBB485_11
; %bb.10:
	v_ashrrev_i32_e32 v5, 31, v4
	s_delay_alu instid0(VALU_DEP_1) | instskip(SKIP_1) | instid1(VALU_DEP_2)
	v_lshlrev_b64 v[2:3], 2, v[4:5]
	v_xor_b32_e32 v4, 0x80000000, v1
	v_add_co_u32 v0, vcc_lo, v6, v2
	s_delay_alu instid0(VALU_DEP_3)
	v_add_co_ci_u32_e32 v1, vcc_lo, v7, v3, vcc_lo
	global_store_b32 v[0:1], v4, off
.LBB485_11:
	s_nop 0
	s_sendmsg sendmsg(MSG_DEALLOC_VGPRS)
	s_endpgm
	.section	.rodata,"a",@progbits
	.p2align	6, 0x0
	.amdhsa_kernel _ZL37rocblas_syrkx_herkx_restricted_kernelIifLi16ELi32ELi8ELin1ELi0ELb0ELc84ELc85EKPKfKPfEviT_PT9_S5_lS7_S5_lPT10_S5_li
		.amdhsa_group_segment_fixed_size 2048
		.amdhsa_private_segment_fixed_size 0
		.amdhsa_kernarg_size 84
		.amdhsa_user_sgpr_count 13
		.amdhsa_user_sgpr_dispatch_ptr 0
		.amdhsa_user_sgpr_queue_ptr 0
		.amdhsa_user_sgpr_kernarg_segment_ptr 1
		.amdhsa_user_sgpr_dispatch_id 0
		.amdhsa_user_sgpr_private_segment_size 0
		.amdhsa_wavefront_size32 1
		.amdhsa_uses_dynamic_stack 0
		.amdhsa_enable_private_segment 0
		.amdhsa_system_sgpr_workgroup_id_x 1
		.amdhsa_system_sgpr_workgroup_id_y 1
		.amdhsa_system_sgpr_workgroup_id_z 1
		.amdhsa_system_sgpr_workgroup_info 0
		.amdhsa_system_vgpr_workitem_id 1
		.amdhsa_next_free_vgpr 46
		.amdhsa_next_free_sgpr 17
		.amdhsa_reserve_vcc 1
		.amdhsa_float_round_mode_32 0
		.amdhsa_float_round_mode_16_64 0
		.amdhsa_float_denorm_mode_32 3
		.amdhsa_float_denorm_mode_16_64 3
		.amdhsa_dx10_clamp 1
		.amdhsa_ieee_mode 1
		.amdhsa_fp16_overflow 0
		.amdhsa_workgroup_processor_mode 1
		.amdhsa_memory_ordered 1
		.amdhsa_forward_progress 0
		.amdhsa_shared_vgpr_count 0
		.amdhsa_exception_fp_ieee_invalid_op 0
		.amdhsa_exception_fp_denorm_src 0
		.amdhsa_exception_fp_ieee_div_zero 0
		.amdhsa_exception_fp_ieee_overflow 0
		.amdhsa_exception_fp_ieee_underflow 0
		.amdhsa_exception_fp_ieee_inexact 0
		.amdhsa_exception_int_div_zero 0
	.end_amdhsa_kernel
	.section	.text._ZL37rocblas_syrkx_herkx_restricted_kernelIifLi16ELi32ELi8ELin1ELi0ELb0ELc84ELc85EKPKfKPfEviT_PT9_S5_lS7_S5_lPT10_S5_li,"axG",@progbits,_ZL37rocblas_syrkx_herkx_restricted_kernelIifLi16ELi32ELi8ELin1ELi0ELb0ELc84ELc85EKPKfKPfEviT_PT9_S5_lS7_S5_lPT10_S5_li,comdat
.Lfunc_end485:
	.size	_ZL37rocblas_syrkx_herkx_restricted_kernelIifLi16ELi32ELi8ELin1ELi0ELb0ELc84ELc85EKPKfKPfEviT_PT9_S5_lS7_S5_lPT10_S5_li, .Lfunc_end485-_ZL37rocblas_syrkx_herkx_restricted_kernelIifLi16ELi32ELi8ELin1ELi0ELb0ELc84ELc85EKPKfKPfEviT_PT9_S5_lS7_S5_lPT10_S5_li
                                        ; -- End function
	.section	.AMDGPU.csdata,"",@progbits
; Kernel info:
; codeLenInByte = 1172
; NumSgprs: 19
; NumVgprs: 46
; ScratchSize: 0
; MemoryBound: 0
; FloatMode: 240
; IeeeMode: 1
; LDSByteSize: 2048 bytes/workgroup (compile time only)
; SGPRBlocks: 2
; VGPRBlocks: 5
; NumSGPRsForWavesPerEU: 19
; NumVGPRsForWavesPerEU: 46
; Occupancy: 16
; WaveLimiterHint : 1
; COMPUTE_PGM_RSRC2:SCRATCH_EN: 0
; COMPUTE_PGM_RSRC2:USER_SGPR: 13
; COMPUTE_PGM_RSRC2:TRAP_HANDLER: 0
; COMPUTE_PGM_RSRC2:TGID_X_EN: 1
; COMPUTE_PGM_RSRC2:TGID_Y_EN: 1
; COMPUTE_PGM_RSRC2:TGID_Z_EN: 1
; COMPUTE_PGM_RSRC2:TIDIG_COMP_CNT: 1
	.section	.text._ZL37rocblas_syrkx_herkx_restricted_kernelIifLi16ELi32ELi8ELin1ELi0ELb0ELc67ELc85EKPKfKPfEviT_PT9_S5_lS7_S5_lPT10_S5_li,"axG",@progbits,_ZL37rocblas_syrkx_herkx_restricted_kernelIifLi16ELi32ELi8ELin1ELi0ELb0ELc67ELc85EKPKfKPfEviT_PT9_S5_lS7_S5_lPT10_S5_li,comdat
	.globl	_ZL37rocblas_syrkx_herkx_restricted_kernelIifLi16ELi32ELi8ELin1ELi0ELb0ELc67ELc85EKPKfKPfEviT_PT9_S5_lS7_S5_lPT10_S5_li ; -- Begin function _ZL37rocblas_syrkx_herkx_restricted_kernelIifLi16ELi32ELi8ELin1ELi0ELb0ELc67ELc85EKPKfKPfEviT_PT9_S5_lS7_S5_lPT10_S5_li
	.p2align	8
	.type	_ZL37rocblas_syrkx_herkx_restricted_kernelIifLi16ELi32ELi8ELin1ELi0ELb0ELc67ELc85EKPKfKPfEviT_PT9_S5_lS7_S5_lPT10_S5_li,@function
_ZL37rocblas_syrkx_herkx_restricted_kernelIifLi16ELi32ELi8ELin1ELi0ELb0ELc67ELc85EKPKfKPfEviT_PT9_S5_lS7_S5_lPT10_S5_li: ; @_ZL37rocblas_syrkx_herkx_restricted_kernelIifLi16ELi32ELi8ELin1ELi0ELb0ELc67ELc85EKPKfKPfEviT_PT9_S5_lS7_S5_lPT10_S5_li
; %bb.0:
	s_clause 0x1
	s_load_b64 s[4:5], s[0:1], 0x38
	s_load_b64 s[2:3], s[0:1], 0x0
	s_mov_b32 s6, s15
	s_mov_b32 s7, 0
	v_dual_mov_b32 v9, 0 :: v_dual_and_b32 v6, 0x3ff, v0
	s_lshl_b64 s[8:9], s[6:7], 3
	v_bfe_u32 v7, v0, 10, 10
	v_dual_mov_b32 v8, 0 :: v_dual_mov_b32 v1, 0
	v_mov_b32_e32 v0, 0
	s_waitcnt lgkmcnt(0)
	s_add_u32 s4, s4, s8
	s_addc_u32 s5, s5, s9
	s_lshl_b32 s6, s13, 5
	s_load_b64 s[4:5], s[4:5], 0x0
	s_lshl_b32 s10, s14, 5
	s_cmp_lt_i32 s3, 1
	s_cbranch_scc1 .LBB486_3
; %bb.1:
	s_clause 0x3
	s_load_b64 s[12:13], s[0:1], 0x8
	s_load_b64 s[14:15], s[0:1], 0x20
	s_load_b32 s11, s[0:1], 0x10
	s_load_b32 s16, s[0:1], 0x28
	v_lshl_add_u32 v2, v7, 4, v6
	v_dual_mov_b32 v1, 0 :: v_dual_and_b32 v0, 7, v6
	v_lshlrev_b32_e32 v10, 2, v6
	s_delay_alu instid0(VALU_DEP_3) | instskip(SKIP_3) | instid1(VALU_DEP_4)
	v_and_b32_e32 v9, 31, v2
	v_lshrrev_b32_e32 v8, 3, v2
	v_lshrrev_b32_e32 v2, 5, v2
	v_mov_b32_e32 v3, v1
	v_add_nc_u32_e32 v11, s6, v9
	s_delay_alu instid0(VALU_DEP_4)
	v_add_nc_u32_e32 v12, s10, v8
	s_waitcnt lgkmcnt(0)
	s_add_u32 s12, s12, s8
	s_addc_u32 s13, s13, s9
	s_add_u32 s8, s14, s8
	s_load_b64 s[12:13], s[12:13], 0x0
	s_addc_u32 s9, s15, s9
	v_mad_i64_i32 v[4:5], null, s11, v11, v[2:3]
	s_load_b64 s[8:9], s[8:9], 0x0
	v_lshlrev_b32_e32 v3, 2, v0
	v_mad_i64_i32 v[14:15], null, s16, v12, v[0:1]
	v_dual_mov_b32 v0, v1 :: v_dual_lshlrev_b32 v9, 2, v9
	s_delay_alu instid0(VALU_DEP_3)
	v_lshl_or_b32 v13, v8, 5, v3
	v_lshlrev_b64 v[3:4], 2, v[4:5]
	v_lshl_add_u32 v11, v7, 5, 0x400
	v_mov_b32_e32 v8, v1
	v_lshlrev_b64 v[14:15], 2, v[14:15]
	v_lshl_or_b32 v12, v2, 7, v9
	v_mov_b32_e32 v9, v1
	v_add_nc_u32_e32 v13, 0x400, v13
	s_waitcnt lgkmcnt(0)
	v_add_co_u32 v2, vcc_lo, s12, v3
	v_add_co_ci_u32_e32 v3, vcc_lo, s13, v4, vcc_lo
	v_add_co_u32 v4, vcc_lo, s8, v14
	v_add_co_ci_u32_e32 v5, vcc_lo, s9, v15, vcc_lo
.LBB486_2:                              ; =>This Inner Loop Header: Depth=1
	global_load_b32 v14, v[2:3], off
	global_load_b32 v15, v[4:5], off
	v_add_co_u32 v2, vcc_lo, v2, 32
	v_add_co_ci_u32_e32 v3, vcc_lo, 0, v3, vcc_lo
	v_add_co_u32 v4, vcc_lo, v4, 32
	v_add_co_ci_u32_e32 v5, vcc_lo, 0, v5, vcc_lo
	s_add_i32 s7, s7, 8
	s_waitcnt vmcnt(1)
	ds_store_b32 v12, v14
	s_waitcnt vmcnt(0)
	ds_store_b32 v13, v15
	s_waitcnt lgkmcnt(0)
	s_barrier
	buffer_gl0_inv
	ds_load_2addr_b32 v[30:31], v10 offset1:16
	ds_load_b128 v[14:17], v11
	ds_load_b128 v[18:21], v11 offset:512
	ds_load_2addr_b32 v[32:33], v10 offset0:32 offset1:48
	ds_load_2addr_b32 v[34:35], v10 offset0:64 offset1:80
	ds_load_b128 v[22:25], v11 offset:16
	ds_load_2addr_b32 v[36:37], v10 offset0:96 offset1:112
	ds_load_2addr_b32 v[38:39], v10 offset0:128 offset1:144
	;; [unrolled: 3-line block ×3, first 2 shown]
	ds_load_2addr_b32 v[44:45], v10 offset0:224 offset1:240
	s_cmp_ge_i32 s7, s3
	s_waitcnt lgkmcnt(0)
	s_barrier
	buffer_gl0_inv
	v_fmac_f32_e32 v8, v31, v14
	v_fmac_f32_e32 v9, v30, v14
	;; [unrolled: 1-line block ×4, first 2 shown]
	s_delay_alu instid0(VALU_DEP_4) | instskip(NEXT) | instid1(VALU_DEP_4)
	v_fmac_f32_e32 v8, v33, v15
	v_fmac_f32_e32 v9, v32, v15
	s_delay_alu instid0(VALU_DEP_4) | instskip(NEXT) | instid1(VALU_DEP_4)
	v_fmac_f32_e32 v1, v33, v19
	v_fmac_f32_e32 v0, v32, v19
	;; [unrolled: 3-line block ×14, first 2 shown]
	s_cbranch_scc0 .LBB486_2
.LBB486_3:
	s_load_b32 s3, s[0:1], 0x40
	v_add_nc_u32_e32 v7, s10, v7
	v_add_nc_u32_e32 v2, s6, v6
	s_delay_alu instid0(VALU_DEP_2) | instskip(NEXT) | instid1(VALU_DEP_2)
	v_cmp_gt_i32_e32 vcc_lo, s2, v7
	v_cmp_le_i32_e64 s0, v2, v7
	s_delay_alu instid0(VALU_DEP_1) | instskip(SKIP_2) | instid1(VALU_DEP_1)
	s_and_b32 s0, vcc_lo, s0
	s_waitcnt lgkmcnt(0)
	v_mad_i64_i32 v[3:4], null, v7, s3, 0
	v_lshlrev_b64 v[3:4], 2, v[3:4]
	s_delay_alu instid0(VALU_DEP_1) | instskip(NEXT) | instid1(VALU_DEP_1)
	v_add_co_u32 v6, s1, s4, v3
	v_add_co_ci_u32_e64 v10, s1, s5, v4, s1
	s_and_saveexec_b32 s1, s0
	s_cbranch_execz .LBB486_5
; %bb.4:
	v_ashrrev_i32_e32 v3, 31, v2
	v_xor_b32_e32 v5, 0x80000000, v9
	s_delay_alu instid0(VALU_DEP_2) | instskip(NEXT) | instid1(VALU_DEP_1)
	v_lshlrev_b64 v[3:4], 2, v[2:3]
	v_add_co_u32 v3, s0, v6, v3
	s_delay_alu instid0(VALU_DEP_1)
	v_add_co_ci_u32_e64 v4, s0, v10, v4, s0
	global_store_b32 v[3:4], v5, off
.LBB486_5:
	s_or_b32 exec_lo, exec_lo, s1
	v_add_nc_u32_e32 v4, 16, v2
	s_delay_alu instid0(VALU_DEP_1) | instskip(NEXT) | instid1(VALU_DEP_1)
	v_cmp_le_i32_e64 s0, v4, v7
	s_and_b32 s1, vcc_lo, s0
	s_delay_alu instid0(SALU_CYCLE_1)
	s_and_saveexec_b32 s0, s1
	s_cbranch_execz .LBB486_7
; %bb.6:
	v_ashrrev_i32_e32 v5, 31, v4
	v_xor_b32_e32 v3, 0x80000000, v8
	s_delay_alu instid0(VALU_DEP_2) | instskip(NEXT) | instid1(VALU_DEP_1)
	v_lshlrev_b64 v[11:12], 2, v[4:5]
	v_add_co_u32 v5, vcc_lo, v6, v11
	s_delay_alu instid0(VALU_DEP_2)
	v_add_co_ci_u32_e32 v6, vcc_lo, v10, v12, vcc_lo
	global_store_b32 v[5:6], v3, off
.LBB486_7:
	s_or_b32 exec_lo, exec_lo, s0
	v_add_nc_u32_e32 v5, 16, v7
	s_delay_alu instid0(VALU_DEP_1) | instskip(SKIP_2) | instid1(VALU_DEP_1)
	v_mad_i64_i32 v[6:7], null, v5, s3, 0
	v_cmp_gt_i32_e32 vcc_lo, s2, v5
	v_cmp_le_i32_e64 s0, v2, v5
	s_and_b32 s0, vcc_lo, s0
	s_delay_alu instid0(VALU_DEP_3) | instskip(NEXT) | instid1(VALU_DEP_1)
	v_lshlrev_b64 v[6:7], 2, v[6:7]
	v_add_co_u32 v6, s1, s4, v6
	s_delay_alu instid0(VALU_DEP_1)
	v_add_co_ci_u32_e64 v7, s1, s5, v7, s1
	s_and_saveexec_b32 s1, s0
	s_cbranch_execz .LBB486_9
; %bb.8:
	v_ashrrev_i32_e32 v3, 31, v2
	v_xor_b32_e32 v0, 0x80000000, v0
	s_delay_alu instid0(VALU_DEP_2) | instskip(NEXT) | instid1(VALU_DEP_1)
	v_lshlrev_b64 v[2:3], 2, v[2:3]
	v_add_co_u32 v2, s0, v6, v2
	s_delay_alu instid0(VALU_DEP_1)
	v_add_co_ci_u32_e64 v3, s0, v7, v3, s0
	global_store_b32 v[2:3], v0, off
.LBB486_9:
	s_or_b32 exec_lo, exec_lo, s1
	v_cmp_le_i32_e64 s0, v4, v5
	s_delay_alu instid0(VALU_DEP_1) | instskip(NEXT) | instid1(SALU_CYCLE_1)
	s_and_b32 s0, vcc_lo, s0
	s_and_saveexec_b32 s1, s0
	s_cbranch_execz .LBB486_11
; %bb.10:
	v_ashrrev_i32_e32 v5, 31, v4
	s_delay_alu instid0(VALU_DEP_1) | instskip(SKIP_1) | instid1(VALU_DEP_2)
	v_lshlrev_b64 v[2:3], 2, v[4:5]
	v_xor_b32_e32 v4, 0x80000000, v1
	v_add_co_u32 v0, vcc_lo, v6, v2
	s_delay_alu instid0(VALU_DEP_3)
	v_add_co_ci_u32_e32 v1, vcc_lo, v7, v3, vcc_lo
	global_store_b32 v[0:1], v4, off
.LBB486_11:
	s_nop 0
	s_sendmsg sendmsg(MSG_DEALLOC_VGPRS)
	s_endpgm
	.section	.rodata,"a",@progbits
	.p2align	6, 0x0
	.amdhsa_kernel _ZL37rocblas_syrkx_herkx_restricted_kernelIifLi16ELi32ELi8ELin1ELi0ELb0ELc67ELc85EKPKfKPfEviT_PT9_S5_lS7_S5_lPT10_S5_li
		.amdhsa_group_segment_fixed_size 2048
		.amdhsa_private_segment_fixed_size 0
		.amdhsa_kernarg_size 84
		.amdhsa_user_sgpr_count 13
		.amdhsa_user_sgpr_dispatch_ptr 0
		.amdhsa_user_sgpr_queue_ptr 0
		.amdhsa_user_sgpr_kernarg_segment_ptr 1
		.amdhsa_user_sgpr_dispatch_id 0
		.amdhsa_user_sgpr_private_segment_size 0
		.amdhsa_wavefront_size32 1
		.amdhsa_uses_dynamic_stack 0
		.amdhsa_enable_private_segment 0
		.amdhsa_system_sgpr_workgroup_id_x 1
		.amdhsa_system_sgpr_workgroup_id_y 1
		.amdhsa_system_sgpr_workgroup_id_z 1
		.amdhsa_system_sgpr_workgroup_info 0
		.amdhsa_system_vgpr_workitem_id 1
		.amdhsa_next_free_vgpr 46
		.amdhsa_next_free_sgpr 17
		.amdhsa_reserve_vcc 1
		.amdhsa_float_round_mode_32 0
		.amdhsa_float_round_mode_16_64 0
		.amdhsa_float_denorm_mode_32 3
		.amdhsa_float_denorm_mode_16_64 3
		.amdhsa_dx10_clamp 1
		.amdhsa_ieee_mode 1
		.amdhsa_fp16_overflow 0
		.amdhsa_workgroup_processor_mode 1
		.amdhsa_memory_ordered 1
		.amdhsa_forward_progress 0
		.amdhsa_shared_vgpr_count 0
		.amdhsa_exception_fp_ieee_invalid_op 0
		.amdhsa_exception_fp_denorm_src 0
		.amdhsa_exception_fp_ieee_div_zero 0
		.amdhsa_exception_fp_ieee_overflow 0
		.amdhsa_exception_fp_ieee_underflow 0
		.amdhsa_exception_fp_ieee_inexact 0
		.amdhsa_exception_int_div_zero 0
	.end_amdhsa_kernel
	.section	.text._ZL37rocblas_syrkx_herkx_restricted_kernelIifLi16ELi32ELi8ELin1ELi0ELb0ELc67ELc85EKPKfKPfEviT_PT9_S5_lS7_S5_lPT10_S5_li,"axG",@progbits,_ZL37rocblas_syrkx_herkx_restricted_kernelIifLi16ELi32ELi8ELin1ELi0ELb0ELc67ELc85EKPKfKPfEviT_PT9_S5_lS7_S5_lPT10_S5_li,comdat
.Lfunc_end486:
	.size	_ZL37rocblas_syrkx_herkx_restricted_kernelIifLi16ELi32ELi8ELin1ELi0ELb0ELc67ELc85EKPKfKPfEviT_PT9_S5_lS7_S5_lPT10_S5_li, .Lfunc_end486-_ZL37rocblas_syrkx_herkx_restricted_kernelIifLi16ELi32ELi8ELin1ELi0ELb0ELc67ELc85EKPKfKPfEviT_PT9_S5_lS7_S5_lPT10_S5_li
                                        ; -- End function
	.section	.AMDGPU.csdata,"",@progbits
; Kernel info:
; codeLenInByte = 1172
; NumSgprs: 19
; NumVgprs: 46
; ScratchSize: 0
; MemoryBound: 0
; FloatMode: 240
; IeeeMode: 1
; LDSByteSize: 2048 bytes/workgroup (compile time only)
; SGPRBlocks: 2
; VGPRBlocks: 5
; NumSGPRsForWavesPerEU: 19
; NumVGPRsForWavesPerEU: 46
; Occupancy: 16
; WaveLimiterHint : 1
; COMPUTE_PGM_RSRC2:SCRATCH_EN: 0
; COMPUTE_PGM_RSRC2:USER_SGPR: 13
; COMPUTE_PGM_RSRC2:TRAP_HANDLER: 0
; COMPUTE_PGM_RSRC2:TGID_X_EN: 1
; COMPUTE_PGM_RSRC2:TGID_Y_EN: 1
; COMPUTE_PGM_RSRC2:TGID_Z_EN: 1
; COMPUTE_PGM_RSRC2:TIDIG_COMP_CNT: 1
	.section	.text._ZL37rocblas_syrkx_herkx_restricted_kernelIifLi16ELi32ELi8ELin1ELi0ELb0ELc78ELc85EKPKfKPfEviT_PT9_S5_lS7_S5_lPT10_S5_li,"axG",@progbits,_ZL37rocblas_syrkx_herkx_restricted_kernelIifLi16ELi32ELi8ELin1ELi0ELb0ELc78ELc85EKPKfKPfEviT_PT9_S5_lS7_S5_lPT10_S5_li,comdat
	.globl	_ZL37rocblas_syrkx_herkx_restricted_kernelIifLi16ELi32ELi8ELin1ELi0ELb0ELc78ELc85EKPKfKPfEviT_PT9_S5_lS7_S5_lPT10_S5_li ; -- Begin function _ZL37rocblas_syrkx_herkx_restricted_kernelIifLi16ELi32ELi8ELin1ELi0ELb0ELc78ELc85EKPKfKPfEviT_PT9_S5_lS7_S5_lPT10_S5_li
	.p2align	8
	.type	_ZL37rocblas_syrkx_herkx_restricted_kernelIifLi16ELi32ELi8ELin1ELi0ELb0ELc78ELc85EKPKfKPfEviT_PT9_S5_lS7_S5_lPT10_S5_li,@function
_ZL37rocblas_syrkx_herkx_restricted_kernelIifLi16ELi32ELi8ELin1ELi0ELb0ELc78ELc85EKPKfKPfEviT_PT9_S5_lS7_S5_lPT10_S5_li: ; @_ZL37rocblas_syrkx_herkx_restricted_kernelIifLi16ELi32ELi8ELin1ELi0ELb0ELc78ELc85EKPKfKPfEviT_PT9_S5_lS7_S5_lPT10_S5_li
; %bb.0:
	s_clause 0x1
	s_load_b64 s[4:5], s[0:1], 0x38
	s_load_b64 s[2:3], s[0:1], 0x0
	s_mov_b32 s6, s15
	s_mov_b32 s7, 0
	v_dual_mov_b32 v8, 0 :: v_dual_and_b32 v5, 0x3ff, v0
	s_lshl_b64 s[8:9], s[6:7], 3
	v_bfe_u32 v6, v0, 10, 10
	v_dual_mov_b32 v9, 0 :: v_dual_mov_b32 v4, 0
	v_mov_b32_e32 v7, 0
	s_waitcnt lgkmcnt(0)
	s_add_u32 s4, s4, s8
	s_addc_u32 s5, s5, s9
	s_lshl_b32 s6, s13, 5
	s_load_b64 s[4:5], s[4:5], 0x0
	s_lshl_b32 s12, s14, 5
	s_cmp_lt_i32 s3, 1
	s_cbranch_scc1 .LBB487_3
; %bb.1:
	s_clause 0x3
	s_load_b32 s10, s[0:1], 0x10
	s_load_b32 s14, s[0:1], 0x28
	s_load_b64 s[16:17], s[0:1], 0x8
	s_load_b64 s[18:19], s[0:1], 0x20
	v_lshl_add_u32 v0, v6, 4, v5
	v_dual_mov_b32 v4, 0 :: v_dual_and_b32 v7, 7, v5
	v_lshlrev_b32_e32 v10, 2, v5
	v_lshl_add_u32 v11, v6, 5, 0x400
	s_delay_alu instid0(VALU_DEP_4) | instskip(SKIP_3) | instid1(VALU_DEP_4)
	v_and_b32_e32 v13, 31, v0
	v_lshrrev_b32_e32 v12, 3, v0
	v_lshrrev_b32_e32 v14, 5, v0
	v_lshlrev_b32_e32 v15, 2, v7
	v_add_nc_u32_e32 v2, s6, v13
	s_delay_alu instid0(VALU_DEP_4) | instskip(NEXT) | instid1(VALU_DEP_3)
	v_add_nc_u32_e32 v0, s12, v12
	v_lshl_or_b32 v15, v12, 5, v15
	s_delay_alu instid0(VALU_DEP_3)
	v_ashrrev_i32_e32 v3, 31, v2
	s_waitcnt lgkmcnt(0)
	s_ashr_i32 s11, s10, 31
	s_ashr_i32 s15, s14, 31
	s_add_u32 s16, s16, s8
	s_addc_u32 s17, s17, s9
	s_add_u32 s8, s18, s8
	s_load_b64 s[16:17], s[16:17], 0x0
	s_addc_u32 s9, s19, s9
	v_ashrrev_i32_e32 v1, 31, v0
	s_load_b64 s[8:9], s[8:9], 0x0
	v_mad_i64_i32 v[8:9], null, s10, v14, v[2:3]
	s_delay_alu instid0(VALU_DEP_2) | instskip(SKIP_1) | instid1(VALU_DEP_3)
	v_mad_i64_i32 v[2:3], null, s14, v7, v[0:1]
	v_mov_b32_e32 v7, 0
	v_lshlrev_b64 v[0:1], 2, v[8:9]
	v_dual_mov_b32 v9, 0 :: v_dual_mov_b32 v8, 0
	s_delay_alu instid0(VALU_DEP_4) | instskip(SKIP_2) | instid1(VALU_DEP_4)
	v_lshlrev_b64 v[2:3], 2, v[2:3]
	v_lshlrev_b32_e32 v13, 2, v13
	s_waitcnt lgkmcnt(0)
	v_add_co_u32 v0, vcc_lo, s16, v0
	v_add_co_ci_u32_e32 v1, vcc_lo, s17, v1, vcc_lo
	s_delay_alu instid0(VALU_DEP_4)
	v_add_co_u32 v2, vcc_lo, s8, v2
	v_lshl_or_b32 v12, v14, 7, v13
	v_add_nc_u32_e32 v13, 0x400, v15
	v_add_co_ci_u32_e32 v3, vcc_lo, s9, v3, vcc_lo
	s_lshl_b64 s[8:9], s[10:11], 5
	s_lshl_b64 s[10:11], s[14:15], 5
.LBB487_2:                              ; =>This Inner Loop Header: Depth=1
	global_load_b32 v14, v[0:1], off
	global_load_b32 v15, v[2:3], off
	v_add_co_u32 v0, vcc_lo, v0, s8
	v_add_co_ci_u32_e32 v1, vcc_lo, s9, v1, vcc_lo
	v_add_co_u32 v2, vcc_lo, v2, s10
	v_add_co_ci_u32_e32 v3, vcc_lo, s11, v3, vcc_lo
	s_add_i32 s7, s7, 8
	s_waitcnt vmcnt(1)
	ds_store_b32 v12, v14
	s_waitcnt vmcnt(0)
	ds_store_b32 v13, v15
	s_waitcnt lgkmcnt(0)
	s_barrier
	buffer_gl0_inv
	ds_load_2addr_b32 v[30:31], v10 offset1:16
	ds_load_b128 v[14:17], v11
	ds_load_b128 v[18:21], v11 offset:512
	ds_load_2addr_b32 v[32:33], v10 offset0:32 offset1:48
	ds_load_2addr_b32 v[34:35], v10 offset0:64 offset1:80
	ds_load_b128 v[22:25], v11 offset:16
	ds_load_2addr_b32 v[36:37], v10 offset0:96 offset1:112
	ds_load_2addr_b32 v[38:39], v10 offset0:128 offset1:144
	;; [unrolled: 3-line block ×3, first 2 shown]
	ds_load_2addr_b32 v[44:45], v10 offset0:224 offset1:240
	s_cmp_ge_i32 s7, s3
	s_waitcnt lgkmcnt(0)
	s_barrier
	buffer_gl0_inv
	v_fmac_f32_e32 v8, v31, v14
	v_fmac_f32_e32 v9, v30, v14
	;; [unrolled: 1-line block ×3, first 2 shown]
	s_delay_alu instid0(VALU_DEP_3) | instskip(NEXT) | instid1(VALU_DEP_3)
	v_dual_fmac_f32 v7, v30, v18 :: v_dual_fmac_f32 v8, v33, v15
	v_fmac_f32_e32 v9, v32, v15
	s_delay_alu instid0(VALU_DEP_3) | instskip(NEXT) | instid1(VALU_DEP_3)
	v_fmac_f32_e32 v4, v33, v19
	v_dual_fmac_f32 v7, v32, v19 :: v_dual_fmac_f32 v8, v35, v16
	s_delay_alu instid0(VALU_DEP_3) | instskip(NEXT) | instid1(VALU_DEP_3)
	v_fmac_f32_e32 v9, v34, v16
	v_fmac_f32_e32 v4, v35, v20
	s_delay_alu instid0(VALU_DEP_3) | instskip(NEXT) | instid1(VALU_DEP_3)
	v_dual_fmac_f32 v7, v34, v20 :: v_dual_fmac_f32 v8, v37, v17
	v_fmac_f32_e32 v9, v36, v17
	s_delay_alu instid0(VALU_DEP_3) | instskip(NEXT) | instid1(VALU_DEP_3)
	v_fmac_f32_e32 v4, v37, v21
	v_dual_fmac_f32 v7, v36, v21 :: v_dual_fmac_f32 v8, v39, v22
	s_delay_alu instid0(VALU_DEP_3) | instskip(NEXT) | instid1(VALU_DEP_3)
	v_fmac_f32_e32 v9, v38, v22
	v_fmac_f32_e32 v4, v39, v26
	;; [unrolled: 9-line block ×3, first 2 shown]
	s_delay_alu instid0(VALU_DEP_3) | instskip(NEXT) | instid1(VALU_DEP_3)
	v_dual_fmac_f32 v7, v42, v28 :: v_dual_fmac_f32 v8, v45, v25
	v_fmac_f32_e32 v9, v44, v25
	s_delay_alu instid0(VALU_DEP_3) | instskip(NEXT) | instid1(VALU_DEP_3)
	v_fmac_f32_e32 v4, v45, v29
	v_fmac_f32_e32 v7, v44, v29
	s_cbranch_scc0 .LBB487_2
.LBB487_3:
	s_load_b32 s3, s[0:1], 0x40
	v_add_nc_u32_e32 v6, s12, v6
	v_add_nc_u32_e32 v0, s6, v5
	s_delay_alu instid0(VALU_DEP_2) | instskip(NEXT) | instid1(VALU_DEP_2)
	v_cmp_gt_i32_e32 vcc_lo, s2, v6
	v_cmp_le_i32_e64 s0, v0, v6
	s_delay_alu instid0(VALU_DEP_1) | instskip(SKIP_2) | instid1(VALU_DEP_1)
	s_and_b32 s0, vcc_lo, s0
	s_waitcnt lgkmcnt(0)
	v_mad_i64_i32 v[1:2], null, v6, s3, 0
	v_lshlrev_b64 v[1:2], 2, v[1:2]
	s_delay_alu instid0(VALU_DEP_1) | instskip(NEXT) | instid1(VALU_DEP_1)
	v_add_co_u32 v5, s1, s4, v1
	v_add_co_ci_u32_e64 v10, s1, s5, v2, s1
	s_and_saveexec_b32 s1, s0
	s_cbranch_execz .LBB487_5
; %bb.4:
	v_ashrrev_i32_e32 v1, 31, v0
	v_xor_b32_e32 v3, 0x80000000, v9
	s_delay_alu instid0(VALU_DEP_2) | instskip(NEXT) | instid1(VALU_DEP_1)
	v_lshlrev_b64 v[1:2], 2, v[0:1]
	v_add_co_u32 v1, s0, v5, v1
	s_delay_alu instid0(VALU_DEP_1)
	v_add_co_ci_u32_e64 v2, s0, v10, v2, s0
	global_store_b32 v[1:2], v3, off
.LBB487_5:
	s_or_b32 exec_lo, exec_lo, s1
	v_add_nc_u32_e32 v2, 16, v0
	s_delay_alu instid0(VALU_DEP_1) | instskip(NEXT) | instid1(VALU_DEP_1)
	v_cmp_le_i32_e64 s0, v2, v6
	s_and_b32 s1, vcc_lo, s0
	s_delay_alu instid0(SALU_CYCLE_1)
	s_and_saveexec_b32 s0, s1
	s_cbranch_execz .LBB487_7
; %bb.6:
	v_ashrrev_i32_e32 v3, 31, v2
	v_xor_b32_e32 v1, 0x80000000, v8
	s_delay_alu instid0(VALU_DEP_2) | instskip(NEXT) | instid1(VALU_DEP_1)
	v_lshlrev_b64 v[11:12], 2, v[2:3]
	v_add_co_u32 v8, vcc_lo, v5, v11
	s_delay_alu instid0(VALU_DEP_2)
	v_add_co_ci_u32_e32 v9, vcc_lo, v10, v12, vcc_lo
	global_store_b32 v[8:9], v1, off
.LBB487_7:
	s_or_b32 exec_lo, exec_lo, s0
	v_add_nc_u32_e32 v3, 16, v6
	s_delay_alu instid0(VALU_DEP_1) | instskip(SKIP_2) | instid1(VALU_DEP_1)
	v_mad_i64_i32 v[5:6], null, v3, s3, 0
	v_cmp_gt_i32_e32 vcc_lo, s2, v3
	v_cmp_le_i32_e64 s0, v0, v3
	s_and_b32 s0, vcc_lo, s0
	s_delay_alu instid0(VALU_DEP_3) | instskip(NEXT) | instid1(VALU_DEP_1)
	v_lshlrev_b64 v[5:6], 2, v[5:6]
	v_add_co_u32 v5, s1, s4, v5
	s_delay_alu instid0(VALU_DEP_1)
	v_add_co_ci_u32_e64 v6, s1, s5, v6, s1
	s_and_saveexec_b32 s1, s0
	s_cbranch_execz .LBB487_9
; %bb.8:
	v_ashrrev_i32_e32 v1, 31, v0
	v_xor_b32_e32 v7, 0x80000000, v7
	s_delay_alu instid0(VALU_DEP_2) | instskip(NEXT) | instid1(VALU_DEP_1)
	v_lshlrev_b64 v[0:1], 2, v[0:1]
	v_add_co_u32 v0, s0, v5, v0
	s_delay_alu instid0(VALU_DEP_1)
	v_add_co_ci_u32_e64 v1, s0, v6, v1, s0
	global_store_b32 v[0:1], v7, off
.LBB487_9:
	s_or_b32 exec_lo, exec_lo, s1
	v_cmp_le_i32_e64 s0, v2, v3
	s_delay_alu instid0(VALU_DEP_1) | instskip(NEXT) | instid1(SALU_CYCLE_1)
	s_and_b32 s0, vcc_lo, s0
	s_and_saveexec_b32 s1, s0
	s_cbranch_execz .LBB487_11
; %bb.10:
	v_ashrrev_i32_e32 v3, 31, v2
	s_delay_alu instid0(VALU_DEP_1) | instskip(SKIP_1) | instid1(VALU_DEP_2)
	v_lshlrev_b64 v[0:1], 2, v[2:3]
	v_xor_b32_e32 v2, 0x80000000, v4
	v_add_co_u32 v0, vcc_lo, v5, v0
	s_delay_alu instid0(VALU_DEP_3)
	v_add_co_ci_u32_e32 v1, vcc_lo, v6, v1, vcc_lo
	global_store_b32 v[0:1], v2, off
.LBB487_11:
	s_nop 0
	s_sendmsg sendmsg(MSG_DEALLOC_VGPRS)
	s_endpgm
	.section	.rodata,"a",@progbits
	.p2align	6, 0x0
	.amdhsa_kernel _ZL37rocblas_syrkx_herkx_restricted_kernelIifLi16ELi32ELi8ELin1ELi0ELb0ELc78ELc85EKPKfKPfEviT_PT9_S5_lS7_S5_lPT10_S5_li
		.amdhsa_group_segment_fixed_size 2048
		.amdhsa_private_segment_fixed_size 0
		.amdhsa_kernarg_size 84
		.amdhsa_user_sgpr_count 13
		.amdhsa_user_sgpr_dispatch_ptr 0
		.amdhsa_user_sgpr_queue_ptr 0
		.amdhsa_user_sgpr_kernarg_segment_ptr 1
		.amdhsa_user_sgpr_dispatch_id 0
		.amdhsa_user_sgpr_private_segment_size 0
		.amdhsa_wavefront_size32 1
		.amdhsa_uses_dynamic_stack 0
		.amdhsa_enable_private_segment 0
		.amdhsa_system_sgpr_workgroup_id_x 1
		.amdhsa_system_sgpr_workgroup_id_y 1
		.amdhsa_system_sgpr_workgroup_id_z 1
		.amdhsa_system_sgpr_workgroup_info 0
		.amdhsa_system_vgpr_workitem_id 1
		.amdhsa_next_free_vgpr 46
		.amdhsa_next_free_sgpr 20
		.amdhsa_reserve_vcc 1
		.amdhsa_float_round_mode_32 0
		.amdhsa_float_round_mode_16_64 0
		.amdhsa_float_denorm_mode_32 3
		.amdhsa_float_denorm_mode_16_64 3
		.amdhsa_dx10_clamp 1
		.amdhsa_ieee_mode 1
		.amdhsa_fp16_overflow 0
		.amdhsa_workgroup_processor_mode 1
		.amdhsa_memory_ordered 1
		.amdhsa_forward_progress 0
		.amdhsa_shared_vgpr_count 0
		.amdhsa_exception_fp_ieee_invalid_op 0
		.amdhsa_exception_fp_denorm_src 0
		.amdhsa_exception_fp_ieee_div_zero 0
		.amdhsa_exception_fp_ieee_overflow 0
		.amdhsa_exception_fp_ieee_underflow 0
		.amdhsa_exception_fp_ieee_inexact 0
		.amdhsa_exception_int_div_zero 0
	.end_amdhsa_kernel
	.section	.text._ZL37rocblas_syrkx_herkx_restricted_kernelIifLi16ELi32ELi8ELin1ELi0ELb0ELc78ELc85EKPKfKPfEviT_PT9_S5_lS7_S5_lPT10_S5_li,"axG",@progbits,_ZL37rocblas_syrkx_herkx_restricted_kernelIifLi16ELi32ELi8ELin1ELi0ELb0ELc78ELc85EKPKfKPfEviT_PT9_S5_lS7_S5_lPT10_S5_li,comdat
.Lfunc_end487:
	.size	_ZL37rocblas_syrkx_herkx_restricted_kernelIifLi16ELi32ELi8ELin1ELi0ELb0ELc78ELc85EKPKfKPfEviT_PT9_S5_lS7_S5_lPT10_S5_li, .Lfunc_end487-_ZL37rocblas_syrkx_herkx_restricted_kernelIifLi16ELi32ELi8ELin1ELi0ELb0ELc78ELc85EKPKfKPfEviT_PT9_S5_lS7_S5_lPT10_S5_li
                                        ; -- End function
	.section	.AMDGPU.csdata,"",@progbits
; Kernel info:
; codeLenInByte = 1192
; NumSgprs: 22
; NumVgprs: 46
; ScratchSize: 0
; MemoryBound: 0
; FloatMode: 240
; IeeeMode: 1
; LDSByteSize: 2048 bytes/workgroup (compile time only)
; SGPRBlocks: 2
; VGPRBlocks: 5
; NumSGPRsForWavesPerEU: 22
; NumVGPRsForWavesPerEU: 46
; Occupancy: 16
; WaveLimiterHint : 1
; COMPUTE_PGM_RSRC2:SCRATCH_EN: 0
; COMPUTE_PGM_RSRC2:USER_SGPR: 13
; COMPUTE_PGM_RSRC2:TRAP_HANDLER: 0
; COMPUTE_PGM_RSRC2:TGID_X_EN: 1
; COMPUTE_PGM_RSRC2:TGID_Y_EN: 1
; COMPUTE_PGM_RSRC2:TGID_Z_EN: 1
; COMPUTE_PGM_RSRC2:TIDIG_COMP_CNT: 1
	.section	.text._ZL37rocblas_syrkx_herkx_restricted_kernelIifLi16ELi32ELi8ELb1ELb0ELc84ELc76EKPKfKPfEviT_T0_PT8_S5_lS8_S5_lS6_PT9_S5_li,"axG",@progbits,_ZL37rocblas_syrkx_herkx_restricted_kernelIifLi16ELi32ELi8ELb1ELb0ELc84ELc76EKPKfKPfEviT_T0_PT8_S5_lS8_S5_lS6_PT9_S5_li,comdat
	.globl	_ZL37rocblas_syrkx_herkx_restricted_kernelIifLi16ELi32ELi8ELb1ELb0ELc84ELc76EKPKfKPfEviT_T0_PT8_S5_lS8_S5_lS6_PT9_S5_li ; -- Begin function _ZL37rocblas_syrkx_herkx_restricted_kernelIifLi16ELi32ELi8ELb1ELb0ELc84ELc76EKPKfKPfEviT_T0_PT8_S5_lS8_S5_lS6_PT9_S5_li
	.p2align	8
	.type	_ZL37rocblas_syrkx_herkx_restricted_kernelIifLi16ELi32ELi8ELb1ELb0ELc84ELc76EKPKfKPfEviT_T0_PT8_S5_lS8_S5_lS6_PT9_S5_li,@function
_ZL37rocblas_syrkx_herkx_restricted_kernelIifLi16ELi32ELi8ELb1ELb0ELc84ELc76EKPKfKPfEviT_T0_PT8_S5_lS8_S5_lS6_PT9_S5_li: ; @_ZL37rocblas_syrkx_herkx_restricted_kernelIifLi16ELi32ELi8ELb1ELb0ELc84ELc76EKPKfKPfEviT_T0_PT8_S5_lS8_S5_lS6_PT9_S5_li
; %bb.0:
	s_clause 0x1
	s_load_b64 s[2:3], s[0:1], 0x48
	s_load_b128 s[4:7], s[0:1], 0x0
	s_mov_b32 s8, s15
	s_mov_b32 s9, 0
	v_dual_mov_b32 v9, 0 :: v_dual_and_b32 v6, 0x3ff, v0
	s_lshl_b64 s[10:11], s[8:9], 3
	v_bfe_u32 v7, v0, 10, 10
	v_dual_mov_b32 v8, 0 :: v_dual_mov_b32 v1, 0
	v_mov_b32_e32 v0, 0
	s_waitcnt lgkmcnt(0)
	s_add_u32 s2, s2, s10
	s_addc_u32 s3, s3, s11
	s_lshl_b32 s7, s13, 5
	s_load_b64 s[2:3], s[2:3], 0x0
	s_lshl_b32 s8, s14, 5
	s_cmp_lt_i32 s5, 1
	s_cbranch_scc1 .LBB488_3
; %bb.1:
	s_clause 0x3
	s_load_b64 s[12:13], s[0:1], 0x10
	s_load_b64 s[14:15], s[0:1], 0x28
	s_load_b32 s16, s[0:1], 0x18
	s_load_b32 s17, s[0:1], 0x30
	v_lshl_add_u32 v2, v7, 4, v6
	v_dual_mov_b32 v1, 0 :: v_dual_and_b32 v0, 7, v6
	v_lshlrev_b32_e32 v10, 2, v6
	s_delay_alu instid0(VALU_DEP_3) | instskip(SKIP_3) | instid1(VALU_DEP_4)
	v_and_b32_e32 v9, 31, v2
	v_lshrrev_b32_e32 v8, 3, v2
	v_lshrrev_b32_e32 v2, 5, v2
	v_mov_b32_e32 v3, v1
	v_add_nc_u32_e32 v11, s7, v9
	s_delay_alu instid0(VALU_DEP_4)
	v_add_nc_u32_e32 v12, s8, v8
	s_waitcnt lgkmcnt(0)
	s_add_u32 s12, s12, s10
	s_addc_u32 s13, s13, s11
	s_add_u32 s10, s14, s10
	s_load_b64 s[12:13], s[12:13], 0x0
	s_addc_u32 s11, s15, s11
	v_mad_i64_i32 v[4:5], null, s16, v11, v[2:3]
	s_load_b64 s[10:11], s[10:11], 0x0
	v_lshlrev_b32_e32 v3, 2, v0
	v_mad_i64_i32 v[14:15], null, s17, v12, v[0:1]
	v_dual_mov_b32 v0, v1 :: v_dual_lshlrev_b32 v9, 2, v9
	s_delay_alu instid0(VALU_DEP_3)
	v_lshl_or_b32 v13, v8, 5, v3
	v_lshlrev_b64 v[3:4], 2, v[4:5]
	v_lshl_add_u32 v11, v7, 5, 0x400
	v_mov_b32_e32 v8, v1
	v_lshlrev_b64 v[14:15], 2, v[14:15]
	v_lshl_or_b32 v12, v2, 7, v9
	v_mov_b32_e32 v9, v1
	v_add_nc_u32_e32 v13, 0x400, v13
	s_waitcnt lgkmcnt(0)
	v_add_co_u32 v2, vcc_lo, s12, v3
	v_add_co_ci_u32_e32 v3, vcc_lo, s13, v4, vcc_lo
	v_add_co_u32 v4, vcc_lo, s10, v14
	v_add_co_ci_u32_e32 v5, vcc_lo, s11, v15, vcc_lo
.LBB488_2:                              ; =>This Inner Loop Header: Depth=1
	global_load_b32 v14, v[2:3], off
	global_load_b32 v15, v[4:5], off
	v_add_co_u32 v4, vcc_lo, v4, 32
	v_add_co_ci_u32_e32 v5, vcc_lo, 0, v5, vcc_lo
	v_add_co_u32 v2, vcc_lo, v2, 32
	v_add_co_ci_u32_e32 v3, vcc_lo, 0, v3, vcc_lo
	s_add_i32 s9, s9, 8
	s_waitcnt vmcnt(1)
	ds_store_b32 v12, v14
	s_waitcnt vmcnt(0)
	ds_store_b32 v13, v15
	s_waitcnt lgkmcnt(0)
	s_barrier
	buffer_gl0_inv
	ds_load_2addr_b32 v[30:31], v10 offset1:16
	ds_load_b128 v[14:17], v11
	ds_load_b128 v[18:21], v11 offset:512
	ds_load_2addr_b32 v[32:33], v10 offset0:32 offset1:48
	ds_load_2addr_b32 v[34:35], v10 offset0:64 offset1:80
	ds_load_b128 v[22:25], v11 offset:16
	ds_load_2addr_b32 v[36:37], v10 offset0:96 offset1:112
	ds_load_2addr_b32 v[38:39], v10 offset0:128 offset1:144
	;; [unrolled: 3-line block ×3, first 2 shown]
	ds_load_2addr_b32 v[44:45], v10 offset0:224 offset1:240
	s_cmp_ge_i32 s9, s5
	s_waitcnt lgkmcnt(0)
	s_barrier
	buffer_gl0_inv
	v_fmac_f32_e32 v8, v31, v14
	v_fmac_f32_e32 v9, v30, v14
	;; [unrolled: 1-line block ×4, first 2 shown]
	s_delay_alu instid0(VALU_DEP_4) | instskip(NEXT) | instid1(VALU_DEP_4)
	v_fmac_f32_e32 v8, v33, v15
	v_fmac_f32_e32 v9, v32, v15
	s_delay_alu instid0(VALU_DEP_4) | instskip(NEXT) | instid1(VALU_DEP_4)
	v_fmac_f32_e32 v1, v33, v19
	v_fmac_f32_e32 v0, v32, v19
	;; [unrolled: 3-line block ×14, first 2 shown]
	s_cbranch_scc0 .LBB488_2
.LBB488_3:
	s_load_b32 s5, s[0:1], 0x50
	v_add_nc_u32_e32 v7, s8, v7
	v_add_nc_u32_e32 v2, s7, v6
	s_delay_alu instid0(VALU_DEP_1) | instskip(SKIP_1) | instid1(VALU_DEP_2)
	v_cmp_le_i32_e64 s0, v7, v2
	v_cmp_gt_i32_e32 vcc_lo, s4, v2
	s_and_b32 s0, s0, vcc_lo
	s_waitcnt lgkmcnt(0)
	v_mad_i64_i32 v[3:4], null, v7, s5, 0
	s_delay_alu instid0(VALU_DEP_1) | instskip(NEXT) | instid1(VALU_DEP_1)
	v_lshlrev_b64 v[3:4], 2, v[3:4]
	v_add_co_u32 v6, s1, s2, v3
	s_delay_alu instid0(VALU_DEP_1)
	v_add_co_ci_u32_e64 v10, s1, s3, v4, s1
	s_and_saveexec_b32 s1, s0
	s_cbranch_execz .LBB488_5
; %bb.4:
	v_ashrrev_i32_e32 v3, 31, v2
	v_mul_f32_e32 v5, s6, v9
	s_delay_alu instid0(VALU_DEP_2) | instskip(NEXT) | instid1(VALU_DEP_1)
	v_lshlrev_b64 v[3:4], 2, v[2:3]
	v_add_co_u32 v3, s0, v6, v3
	s_delay_alu instid0(VALU_DEP_1)
	v_add_co_ci_u32_e64 v4, s0, v10, v4, s0
	global_store_b32 v[3:4], v5, off
.LBB488_5:
	s_or_b32 exec_lo, exec_lo, s1
	v_add_nc_u32_e32 v4, 16, v2
	s_delay_alu instid0(VALU_DEP_1) | instskip(SKIP_1) | instid1(VALU_DEP_1)
	v_cmp_le_i32_e64 s1, v7, v4
	v_cmp_gt_i32_e64 s0, s4, v4
	s_and_b32 s1, s1, s0
	s_delay_alu instid0(SALU_CYCLE_1)
	s_and_saveexec_b32 s4, s1
	s_cbranch_execz .LBB488_7
; %bb.6:
	v_ashrrev_i32_e32 v5, 31, v4
	v_mul_f32_e32 v3, s6, v8
	s_delay_alu instid0(VALU_DEP_2) | instskip(NEXT) | instid1(VALU_DEP_1)
	v_lshlrev_b64 v[11:12], 2, v[4:5]
	v_add_co_u32 v5, s1, v6, v11
	s_delay_alu instid0(VALU_DEP_1)
	v_add_co_ci_u32_e64 v6, s1, v10, v12, s1
	global_store_b32 v[5:6], v3, off
.LBB488_7:
	s_or_b32 exec_lo, exec_lo, s4
	v_add_nc_u32_e32 v5, 16, v7
	s_delay_alu instid0(VALU_DEP_1) | instskip(SKIP_1) | instid1(VALU_DEP_2)
	v_mad_i64_i32 v[6:7], null, v5, s5, 0
	v_cmp_le_i32_e64 s1, v5, v2
	v_lshlrev_b64 v[6:7], 2, v[6:7]
	s_delay_alu instid0(VALU_DEP_1) | instskip(NEXT) | instid1(VALU_DEP_1)
	v_add_co_u32 v6, s2, s2, v6
	v_add_co_ci_u32_e64 v7, s2, s3, v7, s2
	s_delay_alu instid0(VALU_DEP_4) | instskip(NEXT) | instid1(SALU_CYCLE_1)
	s_and_b32 s2, s1, vcc_lo
	s_and_saveexec_b32 s1, s2
	s_cbranch_execz .LBB488_9
; %bb.8:
	v_ashrrev_i32_e32 v3, 31, v2
	v_mul_f32_e32 v0, s6, v0
	s_delay_alu instid0(VALU_DEP_2) | instskip(NEXT) | instid1(VALU_DEP_1)
	v_lshlrev_b64 v[2:3], 2, v[2:3]
	v_add_co_u32 v2, vcc_lo, v6, v2
	s_delay_alu instid0(VALU_DEP_2)
	v_add_co_ci_u32_e32 v3, vcc_lo, v7, v3, vcc_lo
	global_store_b32 v[2:3], v0, off
.LBB488_9:
	s_or_b32 exec_lo, exec_lo, s1
	v_cmp_le_i32_e32 vcc_lo, v5, v4
	s_and_b32 s0, vcc_lo, s0
	s_delay_alu instid0(SALU_CYCLE_1)
	s_and_saveexec_b32 s1, s0
	s_cbranch_execz .LBB488_11
; %bb.10:
	v_ashrrev_i32_e32 v5, 31, v4
	s_delay_alu instid0(VALU_DEP_1) | instskip(SKIP_1) | instid1(VALU_DEP_2)
	v_lshlrev_b64 v[2:3], 2, v[4:5]
	v_mul_f32_e32 v4, s6, v1
	v_add_co_u32 v0, vcc_lo, v6, v2
	s_delay_alu instid0(VALU_DEP_3)
	v_add_co_ci_u32_e32 v1, vcc_lo, v7, v3, vcc_lo
	global_store_b32 v[0:1], v4, off
.LBB488_11:
	s_nop 0
	s_sendmsg sendmsg(MSG_DEALLOC_VGPRS)
	s_endpgm
	.section	.rodata,"a",@progbits
	.p2align	6, 0x0
	.amdhsa_kernel _ZL37rocblas_syrkx_herkx_restricted_kernelIifLi16ELi32ELi8ELb1ELb0ELc84ELc76EKPKfKPfEviT_T0_PT8_S5_lS8_S5_lS6_PT9_S5_li
		.amdhsa_group_segment_fixed_size 2048
		.amdhsa_private_segment_fixed_size 0
		.amdhsa_kernarg_size 100
		.amdhsa_user_sgpr_count 13
		.amdhsa_user_sgpr_dispatch_ptr 0
		.amdhsa_user_sgpr_queue_ptr 0
		.amdhsa_user_sgpr_kernarg_segment_ptr 1
		.amdhsa_user_sgpr_dispatch_id 0
		.amdhsa_user_sgpr_private_segment_size 0
		.amdhsa_wavefront_size32 1
		.amdhsa_uses_dynamic_stack 0
		.amdhsa_enable_private_segment 0
		.amdhsa_system_sgpr_workgroup_id_x 1
		.amdhsa_system_sgpr_workgroup_id_y 1
		.amdhsa_system_sgpr_workgroup_id_z 1
		.amdhsa_system_sgpr_workgroup_info 0
		.amdhsa_system_vgpr_workitem_id 1
		.amdhsa_next_free_vgpr 46
		.amdhsa_next_free_sgpr 18
		.amdhsa_reserve_vcc 1
		.amdhsa_float_round_mode_32 0
		.amdhsa_float_round_mode_16_64 0
		.amdhsa_float_denorm_mode_32 3
		.amdhsa_float_denorm_mode_16_64 3
		.amdhsa_dx10_clamp 1
		.amdhsa_ieee_mode 1
		.amdhsa_fp16_overflow 0
		.amdhsa_workgroup_processor_mode 1
		.amdhsa_memory_ordered 1
		.amdhsa_forward_progress 0
		.amdhsa_shared_vgpr_count 0
		.amdhsa_exception_fp_ieee_invalid_op 0
		.amdhsa_exception_fp_denorm_src 0
		.amdhsa_exception_fp_ieee_div_zero 0
		.amdhsa_exception_fp_ieee_overflow 0
		.amdhsa_exception_fp_ieee_underflow 0
		.amdhsa_exception_fp_ieee_inexact 0
		.amdhsa_exception_int_div_zero 0
	.end_amdhsa_kernel
	.section	.text._ZL37rocblas_syrkx_herkx_restricted_kernelIifLi16ELi32ELi8ELb1ELb0ELc84ELc76EKPKfKPfEviT_T0_PT8_S5_lS8_S5_lS6_PT9_S5_li,"axG",@progbits,_ZL37rocblas_syrkx_herkx_restricted_kernelIifLi16ELi32ELi8ELb1ELb0ELc84ELc76EKPKfKPfEviT_T0_PT8_S5_lS8_S5_lS6_PT9_S5_li,comdat
.Lfunc_end488:
	.size	_ZL37rocblas_syrkx_herkx_restricted_kernelIifLi16ELi32ELi8ELb1ELb0ELc84ELc76EKPKfKPfEviT_T0_PT8_S5_lS8_S5_lS6_PT9_S5_li, .Lfunc_end488-_ZL37rocblas_syrkx_herkx_restricted_kernelIifLi16ELi32ELi8ELb1ELb0ELc84ELc76EKPKfKPfEviT_T0_PT8_S5_lS8_S5_lS6_PT9_S5_li
                                        ; -- End function
	.section	.AMDGPU.csdata,"",@progbits
; Kernel info:
; codeLenInByte = 1156
; NumSgprs: 20
; NumVgprs: 46
; ScratchSize: 0
; MemoryBound: 0
; FloatMode: 240
; IeeeMode: 1
; LDSByteSize: 2048 bytes/workgroup (compile time only)
; SGPRBlocks: 2
; VGPRBlocks: 5
; NumSGPRsForWavesPerEU: 20
; NumVGPRsForWavesPerEU: 46
; Occupancy: 16
; WaveLimiterHint : 1
; COMPUTE_PGM_RSRC2:SCRATCH_EN: 0
; COMPUTE_PGM_RSRC2:USER_SGPR: 13
; COMPUTE_PGM_RSRC2:TRAP_HANDLER: 0
; COMPUTE_PGM_RSRC2:TGID_X_EN: 1
; COMPUTE_PGM_RSRC2:TGID_Y_EN: 1
; COMPUTE_PGM_RSRC2:TGID_Z_EN: 1
; COMPUTE_PGM_RSRC2:TIDIG_COMP_CNT: 1
	.section	.text._ZL37rocblas_syrkx_herkx_restricted_kernelIifLi16ELi32ELi8ELb1ELb0ELc67ELc76EKPKfKPfEviT_T0_PT8_S5_lS8_S5_lS6_PT9_S5_li,"axG",@progbits,_ZL37rocblas_syrkx_herkx_restricted_kernelIifLi16ELi32ELi8ELb1ELb0ELc67ELc76EKPKfKPfEviT_T0_PT8_S5_lS8_S5_lS6_PT9_S5_li,comdat
	.globl	_ZL37rocblas_syrkx_herkx_restricted_kernelIifLi16ELi32ELi8ELb1ELb0ELc67ELc76EKPKfKPfEviT_T0_PT8_S5_lS8_S5_lS6_PT9_S5_li ; -- Begin function _ZL37rocblas_syrkx_herkx_restricted_kernelIifLi16ELi32ELi8ELb1ELb0ELc67ELc76EKPKfKPfEviT_T0_PT8_S5_lS8_S5_lS6_PT9_S5_li
	.p2align	8
	.type	_ZL37rocblas_syrkx_herkx_restricted_kernelIifLi16ELi32ELi8ELb1ELb0ELc67ELc76EKPKfKPfEviT_T0_PT8_S5_lS8_S5_lS6_PT9_S5_li,@function
_ZL37rocblas_syrkx_herkx_restricted_kernelIifLi16ELi32ELi8ELb1ELb0ELc67ELc76EKPKfKPfEviT_T0_PT8_S5_lS8_S5_lS6_PT9_S5_li: ; @_ZL37rocblas_syrkx_herkx_restricted_kernelIifLi16ELi32ELi8ELb1ELb0ELc67ELc76EKPKfKPfEviT_T0_PT8_S5_lS8_S5_lS6_PT9_S5_li
; %bb.0:
	s_clause 0x1
	s_load_b64 s[2:3], s[0:1], 0x48
	s_load_b128 s[4:7], s[0:1], 0x0
	s_mov_b32 s8, s15
	s_mov_b32 s9, 0
	v_dual_mov_b32 v9, 0 :: v_dual_and_b32 v6, 0x3ff, v0
	s_lshl_b64 s[10:11], s[8:9], 3
	v_bfe_u32 v7, v0, 10, 10
	v_dual_mov_b32 v8, 0 :: v_dual_mov_b32 v1, 0
	v_mov_b32_e32 v0, 0
	s_waitcnt lgkmcnt(0)
	s_add_u32 s2, s2, s10
	s_addc_u32 s3, s3, s11
	s_lshl_b32 s7, s13, 5
	s_load_b64 s[2:3], s[2:3], 0x0
	s_lshl_b32 s8, s14, 5
	s_cmp_lt_i32 s5, 1
	s_cbranch_scc1 .LBB489_3
; %bb.1:
	s_clause 0x3
	s_load_b64 s[12:13], s[0:1], 0x10
	s_load_b64 s[14:15], s[0:1], 0x28
	s_load_b32 s16, s[0:1], 0x18
	s_load_b32 s17, s[0:1], 0x30
	v_lshl_add_u32 v2, v7, 4, v6
	v_dual_mov_b32 v1, 0 :: v_dual_and_b32 v0, 7, v6
	v_lshlrev_b32_e32 v10, 2, v6
	s_delay_alu instid0(VALU_DEP_3) | instskip(SKIP_3) | instid1(VALU_DEP_4)
	v_and_b32_e32 v9, 31, v2
	v_lshrrev_b32_e32 v8, 3, v2
	v_lshrrev_b32_e32 v2, 5, v2
	v_mov_b32_e32 v3, v1
	v_add_nc_u32_e32 v11, s7, v9
	s_delay_alu instid0(VALU_DEP_4)
	v_add_nc_u32_e32 v12, s8, v8
	s_waitcnt lgkmcnt(0)
	s_add_u32 s12, s12, s10
	s_addc_u32 s13, s13, s11
	s_add_u32 s10, s14, s10
	s_load_b64 s[12:13], s[12:13], 0x0
	s_addc_u32 s11, s15, s11
	v_mad_i64_i32 v[4:5], null, s16, v11, v[2:3]
	s_load_b64 s[10:11], s[10:11], 0x0
	v_lshlrev_b32_e32 v3, 2, v0
	v_mad_i64_i32 v[14:15], null, s17, v12, v[0:1]
	v_dual_mov_b32 v0, v1 :: v_dual_lshlrev_b32 v9, 2, v9
	s_delay_alu instid0(VALU_DEP_3)
	v_lshl_or_b32 v13, v8, 5, v3
	v_lshlrev_b64 v[3:4], 2, v[4:5]
	v_lshl_add_u32 v11, v7, 5, 0x400
	v_mov_b32_e32 v8, v1
	v_lshlrev_b64 v[14:15], 2, v[14:15]
	v_lshl_or_b32 v12, v2, 7, v9
	v_mov_b32_e32 v9, v1
	v_add_nc_u32_e32 v13, 0x400, v13
	s_waitcnt lgkmcnt(0)
	v_add_co_u32 v2, vcc_lo, s12, v3
	v_add_co_ci_u32_e32 v3, vcc_lo, s13, v4, vcc_lo
	v_add_co_u32 v4, vcc_lo, s10, v14
	v_add_co_ci_u32_e32 v5, vcc_lo, s11, v15, vcc_lo
.LBB489_2:                              ; =>This Inner Loop Header: Depth=1
	global_load_b32 v14, v[2:3], off
	global_load_b32 v15, v[4:5], off
	v_add_co_u32 v4, vcc_lo, v4, 32
	v_add_co_ci_u32_e32 v5, vcc_lo, 0, v5, vcc_lo
	v_add_co_u32 v2, vcc_lo, v2, 32
	v_add_co_ci_u32_e32 v3, vcc_lo, 0, v3, vcc_lo
	s_add_i32 s9, s9, 8
	s_waitcnt vmcnt(1)
	ds_store_b32 v12, v14
	s_waitcnt vmcnt(0)
	ds_store_b32 v13, v15
	s_waitcnt lgkmcnt(0)
	s_barrier
	buffer_gl0_inv
	ds_load_2addr_b32 v[30:31], v10 offset1:16
	ds_load_b128 v[14:17], v11
	ds_load_b128 v[18:21], v11 offset:512
	ds_load_2addr_b32 v[32:33], v10 offset0:32 offset1:48
	ds_load_2addr_b32 v[34:35], v10 offset0:64 offset1:80
	ds_load_b128 v[22:25], v11 offset:16
	ds_load_2addr_b32 v[36:37], v10 offset0:96 offset1:112
	ds_load_2addr_b32 v[38:39], v10 offset0:128 offset1:144
	;; [unrolled: 3-line block ×3, first 2 shown]
	ds_load_2addr_b32 v[44:45], v10 offset0:224 offset1:240
	s_cmp_ge_i32 s9, s5
	s_waitcnt lgkmcnt(0)
	s_barrier
	buffer_gl0_inv
	v_fmac_f32_e32 v8, v31, v14
	v_fmac_f32_e32 v9, v30, v14
	;; [unrolled: 1-line block ×4, first 2 shown]
	s_delay_alu instid0(VALU_DEP_4) | instskip(NEXT) | instid1(VALU_DEP_4)
	v_fmac_f32_e32 v8, v33, v15
	v_fmac_f32_e32 v9, v32, v15
	s_delay_alu instid0(VALU_DEP_4) | instskip(NEXT) | instid1(VALU_DEP_4)
	v_fmac_f32_e32 v1, v33, v19
	v_fmac_f32_e32 v0, v32, v19
	s_delay_alu instid0(VALU_DEP_4) | instskip(NEXT) | instid1(VALU_DEP_4)
	v_fmac_f32_e32 v8, v35, v16
	v_fmac_f32_e32 v9, v34, v16
	s_delay_alu instid0(VALU_DEP_4) | instskip(NEXT) | instid1(VALU_DEP_4)
	v_fmac_f32_e32 v1, v35, v20
	v_fmac_f32_e32 v0, v34, v20
	s_delay_alu instid0(VALU_DEP_4) | instskip(NEXT) | instid1(VALU_DEP_4)
	v_fmac_f32_e32 v8, v37, v17
	v_fmac_f32_e32 v9, v36, v17
	s_delay_alu instid0(VALU_DEP_4) | instskip(NEXT) | instid1(VALU_DEP_4)
	v_fmac_f32_e32 v1, v37, v21
	v_fmac_f32_e32 v0, v36, v21
	s_delay_alu instid0(VALU_DEP_4) | instskip(NEXT) | instid1(VALU_DEP_4)
	v_fmac_f32_e32 v8, v39, v22
	v_fmac_f32_e32 v9, v38, v22
	s_delay_alu instid0(VALU_DEP_4) | instskip(NEXT) | instid1(VALU_DEP_4)
	v_fmac_f32_e32 v1, v39, v26
	v_fmac_f32_e32 v0, v38, v26
	s_delay_alu instid0(VALU_DEP_4) | instskip(NEXT) | instid1(VALU_DEP_4)
	v_fmac_f32_e32 v8, v41, v23
	v_fmac_f32_e32 v9, v40, v23
	s_delay_alu instid0(VALU_DEP_4) | instskip(NEXT) | instid1(VALU_DEP_4)
	v_fmac_f32_e32 v1, v41, v27
	v_fmac_f32_e32 v0, v40, v27
	s_delay_alu instid0(VALU_DEP_4) | instskip(NEXT) | instid1(VALU_DEP_4)
	v_fmac_f32_e32 v8, v43, v24
	v_fmac_f32_e32 v9, v42, v24
	s_delay_alu instid0(VALU_DEP_4) | instskip(NEXT) | instid1(VALU_DEP_4)
	v_fmac_f32_e32 v1, v43, v28
	v_fmac_f32_e32 v0, v42, v28
	s_delay_alu instid0(VALU_DEP_4) | instskip(NEXT) | instid1(VALU_DEP_4)
	v_fmac_f32_e32 v8, v45, v25
	v_fmac_f32_e32 v9, v44, v25
	s_delay_alu instid0(VALU_DEP_4) | instskip(NEXT) | instid1(VALU_DEP_4)
	v_fmac_f32_e32 v1, v45, v29
	v_fmac_f32_e32 v0, v44, v29
	s_cbranch_scc0 .LBB489_2
.LBB489_3:
	s_load_b32 s5, s[0:1], 0x50
	v_add_nc_u32_e32 v7, s8, v7
	v_add_nc_u32_e32 v2, s7, v6
	s_delay_alu instid0(VALU_DEP_1) | instskip(SKIP_1) | instid1(VALU_DEP_2)
	v_cmp_le_i32_e64 s0, v7, v2
	v_cmp_gt_i32_e32 vcc_lo, s4, v2
	s_and_b32 s0, s0, vcc_lo
	s_waitcnt lgkmcnt(0)
	v_mad_i64_i32 v[3:4], null, v7, s5, 0
	s_delay_alu instid0(VALU_DEP_1) | instskip(NEXT) | instid1(VALU_DEP_1)
	v_lshlrev_b64 v[3:4], 2, v[3:4]
	v_add_co_u32 v6, s1, s2, v3
	s_delay_alu instid0(VALU_DEP_1)
	v_add_co_ci_u32_e64 v10, s1, s3, v4, s1
	s_and_saveexec_b32 s1, s0
	s_cbranch_execz .LBB489_5
; %bb.4:
	v_ashrrev_i32_e32 v3, 31, v2
	v_mul_f32_e32 v5, s6, v9
	s_delay_alu instid0(VALU_DEP_2) | instskip(NEXT) | instid1(VALU_DEP_1)
	v_lshlrev_b64 v[3:4], 2, v[2:3]
	v_add_co_u32 v3, s0, v6, v3
	s_delay_alu instid0(VALU_DEP_1)
	v_add_co_ci_u32_e64 v4, s0, v10, v4, s0
	global_store_b32 v[3:4], v5, off
.LBB489_5:
	s_or_b32 exec_lo, exec_lo, s1
	v_add_nc_u32_e32 v4, 16, v2
	s_delay_alu instid0(VALU_DEP_1) | instskip(SKIP_1) | instid1(VALU_DEP_1)
	v_cmp_le_i32_e64 s1, v7, v4
	v_cmp_gt_i32_e64 s0, s4, v4
	s_and_b32 s1, s1, s0
	s_delay_alu instid0(SALU_CYCLE_1)
	s_and_saveexec_b32 s4, s1
	s_cbranch_execz .LBB489_7
; %bb.6:
	v_ashrrev_i32_e32 v5, 31, v4
	v_mul_f32_e32 v3, s6, v8
	s_delay_alu instid0(VALU_DEP_2) | instskip(NEXT) | instid1(VALU_DEP_1)
	v_lshlrev_b64 v[11:12], 2, v[4:5]
	v_add_co_u32 v5, s1, v6, v11
	s_delay_alu instid0(VALU_DEP_1)
	v_add_co_ci_u32_e64 v6, s1, v10, v12, s1
	global_store_b32 v[5:6], v3, off
.LBB489_7:
	s_or_b32 exec_lo, exec_lo, s4
	v_add_nc_u32_e32 v5, 16, v7
	s_delay_alu instid0(VALU_DEP_1) | instskip(SKIP_1) | instid1(VALU_DEP_2)
	v_mad_i64_i32 v[6:7], null, v5, s5, 0
	v_cmp_le_i32_e64 s1, v5, v2
	v_lshlrev_b64 v[6:7], 2, v[6:7]
	s_delay_alu instid0(VALU_DEP_1) | instskip(NEXT) | instid1(VALU_DEP_1)
	v_add_co_u32 v6, s2, s2, v6
	v_add_co_ci_u32_e64 v7, s2, s3, v7, s2
	s_delay_alu instid0(VALU_DEP_4) | instskip(NEXT) | instid1(SALU_CYCLE_1)
	s_and_b32 s2, s1, vcc_lo
	s_and_saveexec_b32 s1, s2
	s_cbranch_execz .LBB489_9
; %bb.8:
	v_ashrrev_i32_e32 v3, 31, v2
	v_mul_f32_e32 v0, s6, v0
	s_delay_alu instid0(VALU_DEP_2) | instskip(NEXT) | instid1(VALU_DEP_1)
	v_lshlrev_b64 v[2:3], 2, v[2:3]
	v_add_co_u32 v2, vcc_lo, v6, v2
	s_delay_alu instid0(VALU_DEP_2)
	v_add_co_ci_u32_e32 v3, vcc_lo, v7, v3, vcc_lo
	global_store_b32 v[2:3], v0, off
.LBB489_9:
	s_or_b32 exec_lo, exec_lo, s1
	v_cmp_le_i32_e32 vcc_lo, v5, v4
	s_and_b32 s0, vcc_lo, s0
	s_delay_alu instid0(SALU_CYCLE_1)
	s_and_saveexec_b32 s1, s0
	s_cbranch_execz .LBB489_11
; %bb.10:
	v_ashrrev_i32_e32 v5, 31, v4
	s_delay_alu instid0(VALU_DEP_1) | instskip(SKIP_1) | instid1(VALU_DEP_2)
	v_lshlrev_b64 v[2:3], 2, v[4:5]
	v_mul_f32_e32 v4, s6, v1
	v_add_co_u32 v0, vcc_lo, v6, v2
	s_delay_alu instid0(VALU_DEP_3)
	v_add_co_ci_u32_e32 v1, vcc_lo, v7, v3, vcc_lo
	global_store_b32 v[0:1], v4, off
.LBB489_11:
	s_nop 0
	s_sendmsg sendmsg(MSG_DEALLOC_VGPRS)
	s_endpgm
	.section	.rodata,"a",@progbits
	.p2align	6, 0x0
	.amdhsa_kernel _ZL37rocblas_syrkx_herkx_restricted_kernelIifLi16ELi32ELi8ELb1ELb0ELc67ELc76EKPKfKPfEviT_T0_PT8_S5_lS8_S5_lS6_PT9_S5_li
		.amdhsa_group_segment_fixed_size 2048
		.amdhsa_private_segment_fixed_size 0
		.amdhsa_kernarg_size 100
		.amdhsa_user_sgpr_count 13
		.amdhsa_user_sgpr_dispatch_ptr 0
		.amdhsa_user_sgpr_queue_ptr 0
		.amdhsa_user_sgpr_kernarg_segment_ptr 1
		.amdhsa_user_sgpr_dispatch_id 0
		.amdhsa_user_sgpr_private_segment_size 0
		.amdhsa_wavefront_size32 1
		.amdhsa_uses_dynamic_stack 0
		.amdhsa_enable_private_segment 0
		.amdhsa_system_sgpr_workgroup_id_x 1
		.amdhsa_system_sgpr_workgroup_id_y 1
		.amdhsa_system_sgpr_workgroup_id_z 1
		.amdhsa_system_sgpr_workgroup_info 0
		.amdhsa_system_vgpr_workitem_id 1
		.amdhsa_next_free_vgpr 46
		.amdhsa_next_free_sgpr 18
		.amdhsa_reserve_vcc 1
		.amdhsa_float_round_mode_32 0
		.amdhsa_float_round_mode_16_64 0
		.amdhsa_float_denorm_mode_32 3
		.amdhsa_float_denorm_mode_16_64 3
		.amdhsa_dx10_clamp 1
		.amdhsa_ieee_mode 1
		.amdhsa_fp16_overflow 0
		.amdhsa_workgroup_processor_mode 1
		.amdhsa_memory_ordered 1
		.amdhsa_forward_progress 0
		.amdhsa_shared_vgpr_count 0
		.amdhsa_exception_fp_ieee_invalid_op 0
		.amdhsa_exception_fp_denorm_src 0
		.amdhsa_exception_fp_ieee_div_zero 0
		.amdhsa_exception_fp_ieee_overflow 0
		.amdhsa_exception_fp_ieee_underflow 0
		.amdhsa_exception_fp_ieee_inexact 0
		.amdhsa_exception_int_div_zero 0
	.end_amdhsa_kernel
	.section	.text._ZL37rocblas_syrkx_herkx_restricted_kernelIifLi16ELi32ELi8ELb1ELb0ELc67ELc76EKPKfKPfEviT_T0_PT8_S5_lS8_S5_lS6_PT9_S5_li,"axG",@progbits,_ZL37rocblas_syrkx_herkx_restricted_kernelIifLi16ELi32ELi8ELb1ELb0ELc67ELc76EKPKfKPfEviT_T0_PT8_S5_lS8_S5_lS6_PT9_S5_li,comdat
.Lfunc_end489:
	.size	_ZL37rocblas_syrkx_herkx_restricted_kernelIifLi16ELi32ELi8ELb1ELb0ELc67ELc76EKPKfKPfEviT_T0_PT8_S5_lS8_S5_lS6_PT9_S5_li, .Lfunc_end489-_ZL37rocblas_syrkx_herkx_restricted_kernelIifLi16ELi32ELi8ELb1ELb0ELc67ELc76EKPKfKPfEviT_T0_PT8_S5_lS8_S5_lS6_PT9_S5_li
                                        ; -- End function
	.section	.AMDGPU.csdata,"",@progbits
; Kernel info:
; codeLenInByte = 1156
; NumSgprs: 20
; NumVgprs: 46
; ScratchSize: 0
; MemoryBound: 0
; FloatMode: 240
; IeeeMode: 1
; LDSByteSize: 2048 bytes/workgroup (compile time only)
; SGPRBlocks: 2
; VGPRBlocks: 5
; NumSGPRsForWavesPerEU: 20
; NumVGPRsForWavesPerEU: 46
; Occupancy: 16
; WaveLimiterHint : 1
; COMPUTE_PGM_RSRC2:SCRATCH_EN: 0
; COMPUTE_PGM_RSRC2:USER_SGPR: 13
; COMPUTE_PGM_RSRC2:TRAP_HANDLER: 0
; COMPUTE_PGM_RSRC2:TGID_X_EN: 1
; COMPUTE_PGM_RSRC2:TGID_Y_EN: 1
; COMPUTE_PGM_RSRC2:TGID_Z_EN: 1
; COMPUTE_PGM_RSRC2:TIDIG_COMP_CNT: 1
	.section	.text._ZL37rocblas_syrkx_herkx_restricted_kernelIifLi16ELi32ELi8ELb1ELb0ELc78ELc76EKPKfKPfEviT_T0_PT8_S5_lS8_S5_lS6_PT9_S5_li,"axG",@progbits,_ZL37rocblas_syrkx_herkx_restricted_kernelIifLi16ELi32ELi8ELb1ELb0ELc78ELc76EKPKfKPfEviT_T0_PT8_S5_lS8_S5_lS6_PT9_S5_li,comdat
	.globl	_ZL37rocblas_syrkx_herkx_restricted_kernelIifLi16ELi32ELi8ELb1ELb0ELc78ELc76EKPKfKPfEviT_T0_PT8_S5_lS8_S5_lS6_PT9_S5_li ; -- Begin function _ZL37rocblas_syrkx_herkx_restricted_kernelIifLi16ELi32ELi8ELb1ELb0ELc78ELc76EKPKfKPfEviT_T0_PT8_S5_lS8_S5_lS6_PT9_S5_li
	.p2align	8
	.type	_ZL37rocblas_syrkx_herkx_restricted_kernelIifLi16ELi32ELi8ELb1ELb0ELc78ELc76EKPKfKPfEviT_T0_PT8_S5_lS8_S5_lS6_PT9_S5_li,@function
_ZL37rocblas_syrkx_herkx_restricted_kernelIifLi16ELi32ELi8ELb1ELb0ELc78ELc76EKPKfKPfEviT_T0_PT8_S5_lS8_S5_lS6_PT9_S5_li: ; @_ZL37rocblas_syrkx_herkx_restricted_kernelIifLi16ELi32ELi8ELb1ELb0ELc78ELc76EKPKfKPfEviT_T0_PT8_S5_lS8_S5_lS6_PT9_S5_li
; %bb.0:
	s_clause 0x1
	s_load_b64 s[2:3], s[0:1], 0x48
	s_load_b128 s[4:7], s[0:1], 0x0
	s_mov_b32 s8, s15
	s_mov_b32 s9, 0
	v_dual_mov_b32 v10, 0 :: v_dual_and_b32 v5, 0x3ff, v0
	s_lshl_b64 s[10:11], s[8:9], 3
	v_bfe_u32 v6, v0, 10, 10
	v_dual_mov_b32 v8, 0 :: v_dual_mov_b32 v7, 0
	v_mov_b32_e32 v4, 0
	s_waitcnt lgkmcnt(0)
	s_add_u32 s2, s2, s10
	s_addc_u32 s3, s3, s11
	s_lshl_b32 s7, s13, 5
	s_load_b64 s[2:3], s[2:3], 0x0
	s_lshl_b32 s8, s14, 5
	s_cmp_lt_i32 s5, 1
	s_cbranch_scc1 .LBB490_3
; %bb.1:
	s_clause 0x3
	s_load_b32 s12, s[0:1], 0x18
	s_load_b32 s14, s[0:1], 0x30
	s_load_b64 s[16:17], s[0:1], 0x10
	s_load_b64 s[18:19], s[0:1], 0x28
	v_lshl_add_u32 v0, v6, 4, v5
	v_dual_mov_b32 v4, 0 :: v_dual_and_b32 v7, 7, v5
	v_lshlrev_b32_e32 v9, 2, v5
	v_lshl_add_u32 v11, v6, 5, 0x400
	s_delay_alu instid0(VALU_DEP_4) | instskip(SKIP_3) | instid1(VALU_DEP_4)
	v_and_b32_e32 v10, 31, v0
	v_lshrrev_b32_e32 v8, 3, v0
	v_lshrrev_b32_e32 v14, 5, v0
	v_lshlrev_b32_e32 v15, 2, v7
	v_add_nc_u32_e32 v2, s7, v10
	s_delay_alu instid0(VALU_DEP_4) | instskip(NEXT) | instid1(VALU_DEP_2)
	v_add_nc_u32_e32 v0, s8, v8
	v_ashrrev_i32_e32 v3, 31, v2
	s_waitcnt lgkmcnt(0)
	s_ashr_i32 s13, s12, 31
	s_ashr_i32 s15, s14, 31
	s_add_u32 s16, s16, s10
	s_addc_u32 s17, s17, s11
	s_add_u32 s10, s18, s10
	s_load_b64 s[16:17], s[16:17], 0x0
	s_addc_u32 s11, s19, s11
	v_ashrrev_i32_e32 v1, 31, v0
	s_load_b64 s[10:11], s[10:11], 0x0
	v_mad_i64_i32 v[12:13], null, s12, v14, v[2:3]
	s_lshl_b64 s[12:13], s[12:13], 5
	s_delay_alu instid0(VALU_DEP_2) | instskip(SKIP_1) | instid1(VALU_DEP_3)
	v_mad_i64_i32 v[2:3], null, s14, v7, v[0:1]
	v_dual_mov_b32 v7, 0 :: v_dual_lshlrev_b32 v10, 2, v10
	v_lshlrev_b64 v[0:1], 2, v[12:13]
	s_delay_alu instid0(VALU_DEP_3) | instskip(NEXT) | instid1(VALU_DEP_3)
	v_lshlrev_b64 v[2:3], 2, v[2:3]
	v_lshl_or_b32 v12, v14, 7, v10
	v_mov_b32_e32 v10, 0
	v_lshl_or_b32 v15, v8, 5, v15
	v_mov_b32_e32 v8, 0
	s_waitcnt lgkmcnt(0)
	v_add_co_u32 v0, vcc_lo, s16, v0
	v_add_co_ci_u32_e32 v1, vcc_lo, s17, v1, vcc_lo
	v_add_co_u32 v2, vcc_lo, s10, v2
	v_add_nc_u32_e32 v13, 0x400, v15
	v_add_co_ci_u32_e32 v3, vcc_lo, s11, v3, vcc_lo
	s_lshl_b64 s[10:11], s[14:15], 5
.LBB490_2:                              ; =>This Inner Loop Header: Depth=1
	global_load_b32 v14, v[0:1], off
	global_load_b32 v15, v[2:3], off
	v_add_co_u32 v2, vcc_lo, v2, s10
	v_add_co_ci_u32_e32 v3, vcc_lo, s11, v3, vcc_lo
	v_add_co_u32 v0, vcc_lo, v0, s12
	v_add_co_ci_u32_e32 v1, vcc_lo, s13, v1, vcc_lo
	s_add_i32 s9, s9, 8
	s_waitcnt vmcnt(1)
	ds_store_b32 v12, v14
	s_waitcnt vmcnt(0)
	ds_store_b32 v13, v15
	s_waitcnt lgkmcnt(0)
	s_barrier
	buffer_gl0_inv
	ds_load_2addr_b32 v[30:31], v9 offset1:16
	ds_load_b128 v[14:17], v11
	ds_load_b128 v[18:21], v11 offset:512
	ds_load_2addr_b32 v[32:33], v9 offset0:32 offset1:48
	ds_load_2addr_b32 v[34:35], v9 offset0:64 offset1:80
	ds_load_b128 v[22:25], v11 offset:16
	ds_load_2addr_b32 v[36:37], v9 offset0:96 offset1:112
	ds_load_2addr_b32 v[38:39], v9 offset0:128 offset1:144
	;; [unrolled: 3-line block ×3, first 2 shown]
	ds_load_2addr_b32 v[44:45], v9 offset0:224 offset1:240
	s_cmp_ge_i32 s9, s5
	s_waitcnt lgkmcnt(0)
	s_barrier
	buffer_gl0_inv
	v_fmac_f32_e32 v7, v30, v18
	s_delay_alu instid0(VALU_DEP_1) | instskip(SKIP_1) | instid1(VALU_DEP_2)
	v_dual_fmac_f32 v10, v30, v14 :: v_dual_fmac_f32 v7, v32, v19
	v_fmac_f32_e32 v8, v31, v14
	v_dual_fmac_f32 v10, v32, v15 :: v_dual_fmac_f32 v7, v34, v20
	s_delay_alu instid0(VALU_DEP_1) | instskip(NEXT) | instid1(VALU_DEP_1)
	v_dual_fmac_f32 v4, v31, v18 :: v_dual_fmac_f32 v7, v36, v21
	v_dual_fmac_f32 v8, v33, v15 :: v_dual_fmac_f32 v7, v38, v26
	s_delay_alu instid0(VALU_DEP_1) | instskip(NEXT) | instid1(VALU_DEP_3)
	v_dual_fmac_f32 v10, v34, v16 :: v_dual_fmac_f32 v7, v40, v27
	v_fmac_f32_e32 v4, v33, v19
	s_delay_alu instid0(VALU_DEP_2) | instskip(NEXT) | instid1(VALU_DEP_4)
	v_dual_fmac_f32 v10, v36, v17 :: v_dual_fmac_f32 v7, v42, v28
	v_fmac_f32_e32 v8, v35, v16
	s_delay_alu instid0(VALU_DEP_3) | instskip(NEXT) | instid1(VALU_DEP_3)
	v_fmac_f32_e32 v4, v35, v20
	v_dual_fmac_f32 v10, v38, v22 :: v_dual_fmac_f32 v7, v44, v29
	s_delay_alu instid0(VALU_DEP_3) | instskip(NEXT) | instid1(VALU_DEP_3)
	v_fmac_f32_e32 v8, v37, v17
	v_fmac_f32_e32 v4, v37, v21
	s_delay_alu instid0(VALU_DEP_3) | instskip(NEXT) | instid1(VALU_DEP_3)
	v_fmac_f32_e32 v10, v40, v23
	v_fmac_f32_e32 v8, v39, v22
	;; [unrolled: 3-line block ×5, first 2 shown]
	s_delay_alu instid0(VALU_DEP_3) | instskip(NEXT) | instid1(VALU_DEP_2)
	v_fmac_f32_e32 v4, v43, v28
	v_fmac_f32_e32 v8, v45, v25
	s_delay_alu instid0(VALU_DEP_2)
	v_fmac_f32_e32 v4, v45, v29
	s_cbranch_scc0 .LBB490_2
.LBB490_3:
	s_load_b32 s5, s[0:1], 0x50
	v_add_nc_u32_e32 v6, s8, v6
	v_add_nc_u32_e32 v0, s7, v5
	s_delay_alu instid0(VALU_DEP_1) | instskip(SKIP_1) | instid1(VALU_DEP_2)
	v_cmp_le_i32_e64 s0, v6, v0
	v_cmp_gt_i32_e32 vcc_lo, s4, v0
	s_and_b32 s0, s0, vcc_lo
	s_waitcnt lgkmcnt(0)
	v_mad_i64_i32 v[1:2], null, v6, s5, 0
	s_delay_alu instid0(VALU_DEP_1) | instskip(NEXT) | instid1(VALU_DEP_1)
	v_lshlrev_b64 v[1:2], 2, v[1:2]
	v_add_co_u32 v5, s1, s2, v1
	s_delay_alu instid0(VALU_DEP_1)
	v_add_co_ci_u32_e64 v9, s1, s3, v2, s1
	s_and_saveexec_b32 s1, s0
	s_cbranch_execz .LBB490_5
; %bb.4:
	v_ashrrev_i32_e32 v1, 31, v0
	v_mul_f32_e32 v3, s6, v10
	s_delay_alu instid0(VALU_DEP_2) | instskip(NEXT) | instid1(VALU_DEP_1)
	v_lshlrev_b64 v[1:2], 2, v[0:1]
	v_add_co_u32 v1, s0, v5, v1
	s_delay_alu instid0(VALU_DEP_1)
	v_add_co_ci_u32_e64 v2, s0, v9, v2, s0
	global_store_b32 v[1:2], v3, off
.LBB490_5:
	s_or_b32 exec_lo, exec_lo, s1
	v_add_nc_u32_e32 v2, 16, v0
	s_delay_alu instid0(VALU_DEP_1) | instskip(SKIP_1) | instid1(VALU_DEP_1)
	v_cmp_le_i32_e64 s1, v6, v2
	v_cmp_gt_i32_e64 s0, s4, v2
	s_and_b32 s1, s1, s0
	s_delay_alu instid0(SALU_CYCLE_1)
	s_and_saveexec_b32 s4, s1
	s_cbranch_execz .LBB490_7
; %bb.6:
	v_ashrrev_i32_e32 v3, 31, v2
	v_mul_f32_e32 v1, s6, v8
	s_delay_alu instid0(VALU_DEP_2) | instskip(NEXT) | instid1(VALU_DEP_1)
	v_lshlrev_b64 v[10:11], 2, v[2:3]
	v_add_co_u32 v8, s1, v5, v10
	s_delay_alu instid0(VALU_DEP_1)
	v_add_co_ci_u32_e64 v9, s1, v9, v11, s1
	global_store_b32 v[8:9], v1, off
.LBB490_7:
	s_or_b32 exec_lo, exec_lo, s4
	v_add_nc_u32_e32 v3, 16, v6
	s_delay_alu instid0(VALU_DEP_1) | instskip(SKIP_1) | instid1(VALU_DEP_2)
	v_mad_i64_i32 v[5:6], null, v3, s5, 0
	v_cmp_le_i32_e64 s1, v3, v0
	v_lshlrev_b64 v[5:6], 2, v[5:6]
	s_delay_alu instid0(VALU_DEP_1) | instskip(NEXT) | instid1(VALU_DEP_1)
	v_add_co_u32 v5, s2, s2, v5
	v_add_co_ci_u32_e64 v6, s2, s3, v6, s2
	s_delay_alu instid0(VALU_DEP_4) | instskip(NEXT) | instid1(SALU_CYCLE_1)
	s_and_b32 s2, s1, vcc_lo
	s_and_saveexec_b32 s1, s2
	s_cbranch_execz .LBB490_9
; %bb.8:
	v_ashrrev_i32_e32 v1, 31, v0
	v_mul_f32_e32 v7, s6, v7
	s_delay_alu instid0(VALU_DEP_2) | instskip(NEXT) | instid1(VALU_DEP_1)
	v_lshlrev_b64 v[0:1], 2, v[0:1]
	v_add_co_u32 v0, vcc_lo, v5, v0
	s_delay_alu instid0(VALU_DEP_2)
	v_add_co_ci_u32_e32 v1, vcc_lo, v6, v1, vcc_lo
	global_store_b32 v[0:1], v7, off
.LBB490_9:
	s_or_b32 exec_lo, exec_lo, s1
	v_cmp_le_i32_e32 vcc_lo, v3, v2
	s_and_b32 s0, vcc_lo, s0
	s_delay_alu instid0(SALU_CYCLE_1)
	s_and_saveexec_b32 s1, s0
	s_cbranch_execz .LBB490_11
; %bb.10:
	v_ashrrev_i32_e32 v3, 31, v2
	s_delay_alu instid0(VALU_DEP_1) | instskip(SKIP_1) | instid1(VALU_DEP_2)
	v_lshlrev_b64 v[0:1], 2, v[2:3]
	v_mul_f32_e32 v2, s6, v4
	v_add_co_u32 v0, vcc_lo, v5, v0
	s_delay_alu instid0(VALU_DEP_3)
	v_add_co_ci_u32_e32 v1, vcc_lo, v6, v1, vcc_lo
	global_store_b32 v[0:1], v2, off
.LBB490_11:
	s_nop 0
	s_sendmsg sendmsg(MSG_DEALLOC_VGPRS)
	s_endpgm
	.section	.rodata,"a",@progbits
	.p2align	6, 0x0
	.amdhsa_kernel _ZL37rocblas_syrkx_herkx_restricted_kernelIifLi16ELi32ELi8ELb1ELb0ELc78ELc76EKPKfKPfEviT_T0_PT8_S5_lS8_S5_lS6_PT9_S5_li
		.amdhsa_group_segment_fixed_size 2048
		.amdhsa_private_segment_fixed_size 0
		.amdhsa_kernarg_size 100
		.amdhsa_user_sgpr_count 13
		.amdhsa_user_sgpr_dispatch_ptr 0
		.amdhsa_user_sgpr_queue_ptr 0
		.amdhsa_user_sgpr_kernarg_segment_ptr 1
		.amdhsa_user_sgpr_dispatch_id 0
		.amdhsa_user_sgpr_private_segment_size 0
		.amdhsa_wavefront_size32 1
		.amdhsa_uses_dynamic_stack 0
		.amdhsa_enable_private_segment 0
		.amdhsa_system_sgpr_workgroup_id_x 1
		.amdhsa_system_sgpr_workgroup_id_y 1
		.amdhsa_system_sgpr_workgroup_id_z 1
		.amdhsa_system_sgpr_workgroup_info 0
		.amdhsa_system_vgpr_workitem_id 1
		.amdhsa_next_free_vgpr 46
		.amdhsa_next_free_sgpr 20
		.amdhsa_reserve_vcc 1
		.amdhsa_float_round_mode_32 0
		.amdhsa_float_round_mode_16_64 0
		.amdhsa_float_denorm_mode_32 3
		.amdhsa_float_denorm_mode_16_64 3
		.amdhsa_dx10_clamp 1
		.amdhsa_ieee_mode 1
		.amdhsa_fp16_overflow 0
		.amdhsa_workgroup_processor_mode 1
		.amdhsa_memory_ordered 1
		.amdhsa_forward_progress 0
		.amdhsa_shared_vgpr_count 0
		.amdhsa_exception_fp_ieee_invalid_op 0
		.amdhsa_exception_fp_denorm_src 0
		.amdhsa_exception_fp_ieee_div_zero 0
		.amdhsa_exception_fp_ieee_overflow 0
		.amdhsa_exception_fp_ieee_underflow 0
		.amdhsa_exception_fp_ieee_inexact 0
		.amdhsa_exception_int_div_zero 0
	.end_amdhsa_kernel
	.section	.text._ZL37rocblas_syrkx_herkx_restricted_kernelIifLi16ELi32ELi8ELb1ELb0ELc78ELc76EKPKfKPfEviT_T0_PT8_S5_lS8_S5_lS6_PT9_S5_li,"axG",@progbits,_ZL37rocblas_syrkx_herkx_restricted_kernelIifLi16ELi32ELi8ELb1ELb0ELc78ELc76EKPKfKPfEviT_T0_PT8_S5_lS8_S5_lS6_PT9_S5_li,comdat
.Lfunc_end490:
	.size	_ZL37rocblas_syrkx_herkx_restricted_kernelIifLi16ELi32ELi8ELb1ELb0ELc78ELc76EKPKfKPfEviT_T0_PT8_S5_lS8_S5_lS6_PT9_S5_li, .Lfunc_end490-_ZL37rocblas_syrkx_herkx_restricted_kernelIifLi16ELi32ELi8ELb1ELb0ELc78ELc76EKPKfKPfEviT_T0_PT8_S5_lS8_S5_lS6_PT9_S5_li
                                        ; -- End function
	.section	.AMDGPU.csdata,"",@progbits
; Kernel info:
; codeLenInByte = 1172
; NumSgprs: 22
; NumVgprs: 46
; ScratchSize: 0
; MemoryBound: 0
; FloatMode: 240
; IeeeMode: 1
; LDSByteSize: 2048 bytes/workgroup (compile time only)
; SGPRBlocks: 2
; VGPRBlocks: 5
; NumSGPRsForWavesPerEU: 22
; NumVGPRsForWavesPerEU: 46
; Occupancy: 16
; WaveLimiterHint : 1
; COMPUTE_PGM_RSRC2:SCRATCH_EN: 0
; COMPUTE_PGM_RSRC2:USER_SGPR: 13
; COMPUTE_PGM_RSRC2:TRAP_HANDLER: 0
; COMPUTE_PGM_RSRC2:TGID_X_EN: 1
; COMPUTE_PGM_RSRC2:TGID_Y_EN: 1
; COMPUTE_PGM_RSRC2:TGID_Z_EN: 1
; COMPUTE_PGM_RSRC2:TIDIG_COMP_CNT: 1
	.section	.text._ZL37rocblas_syrkx_herkx_restricted_kernelIifLi16ELi32ELi8ELb1ELb0ELc84ELc85EKPKfKPfEviT_T0_PT8_S5_lS8_S5_lS6_PT9_S5_li,"axG",@progbits,_ZL37rocblas_syrkx_herkx_restricted_kernelIifLi16ELi32ELi8ELb1ELb0ELc84ELc85EKPKfKPfEviT_T0_PT8_S5_lS8_S5_lS6_PT9_S5_li,comdat
	.globl	_ZL37rocblas_syrkx_herkx_restricted_kernelIifLi16ELi32ELi8ELb1ELb0ELc84ELc85EKPKfKPfEviT_T0_PT8_S5_lS8_S5_lS6_PT9_S5_li ; -- Begin function _ZL37rocblas_syrkx_herkx_restricted_kernelIifLi16ELi32ELi8ELb1ELb0ELc84ELc85EKPKfKPfEviT_T0_PT8_S5_lS8_S5_lS6_PT9_S5_li
	.p2align	8
	.type	_ZL37rocblas_syrkx_herkx_restricted_kernelIifLi16ELi32ELi8ELb1ELb0ELc84ELc85EKPKfKPfEviT_T0_PT8_S5_lS8_S5_lS6_PT9_S5_li,@function
_ZL37rocblas_syrkx_herkx_restricted_kernelIifLi16ELi32ELi8ELb1ELb0ELc84ELc85EKPKfKPfEviT_T0_PT8_S5_lS8_S5_lS6_PT9_S5_li: ; @_ZL37rocblas_syrkx_herkx_restricted_kernelIifLi16ELi32ELi8ELb1ELb0ELc84ELc85EKPKfKPfEviT_T0_PT8_S5_lS8_S5_lS6_PT9_S5_li
; %bb.0:
	s_clause 0x1
	s_load_b64 s[2:3], s[0:1], 0x48
	s_load_b128 s[4:7], s[0:1], 0x0
	s_mov_b32 s8, s15
	s_mov_b32 s9, 0
	v_dual_mov_b32 v9, 0 :: v_dual_and_b32 v6, 0x3ff, v0
	s_lshl_b64 s[10:11], s[8:9], 3
	v_bfe_u32 v7, v0, 10, 10
	v_dual_mov_b32 v8, 0 :: v_dual_mov_b32 v1, 0
	v_mov_b32_e32 v0, 0
	s_waitcnt lgkmcnt(0)
	s_add_u32 s2, s2, s10
	s_addc_u32 s3, s3, s11
	s_lshl_b32 s7, s13, 5
	s_load_b64 s[2:3], s[2:3], 0x0
	s_lshl_b32 s8, s14, 5
	s_cmp_lt_i32 s5, 1
	s_cbranch_scc1 .LBB491_3
; %bb.1:
	s_clause 0x3
	s_load_b64 s[12:13], s[0:1], 0x10
	s_load_b64 s[14:15], s[0:1], 0x28
	s_load_b32 s16, s[0:1], 0x18
	s_load_b32 s17, s[0:1], 0x30
	v_lshl_add_u32 v2, v7, 4, v6
	v_dual_mov_b32 v1, 0 :: v_dual_and_b32 v0, 7, v6
	v_lshlrev_b32_e32 v10, 2, v6
	s_delay_alu instid0(VALU_DEP_3) | instskip(SKIP_3) | instid1(VALU_DEP_4)
	v_and_b32_e32 v9, 31, v2
	v_lshrrev_b32_e32 v8, 3, v2
	v_lshrrev_b32_e32 v2, 5, v2
	v_mov_b32_e32 v3, v1
	v_add_nc_u32_e32 v11, s7, v9
	s_delay_alu instid0(VALU_DEP_4)
	v_add_nc_u32_e32 v12, s8, v8
	s_waitcnt lgkmcnt(0)
	s_add_u32 s12, s12, s10
	s_addc_u32 s13, s13, s11
	s_add_u32 s10, s14, s10
	s_load_b64 s[12:13], s[12:13], 0x0
	s_addc_u32 s11, s15, s11
	v_mad_i64_i32 v[4:5], null, s16, v11, v[2:3]
	s_load_b64 s[10:11], s[10:11], 0x0
	v_lshlrev_b32_e32 v3, 2, v0
	v_mad_i64_i32 v[14:15], null, s17, v12, v[0:1]
	v_dual_mov_b32 v0, v1 :: v_dual_lshlrev_b32 v9, 2, v9
	s_delay_alu instid0(VALU_DEP_3)
	v_lshl_or_b32 v13, v8, 5, v3
	v_lshlrev_b64 v[3:4], 2, v[4:5]
	v_lshl_add_u32 v11, v7, 5, 0x400
	v_mov_b32_e32 v8, v1
	v_lshlrev_b64 v[14:15], 2, v[14:15]
	v_lshl_or_b32 v12, v2, 7, v9
	v_mov_b32_e32 v9, v1
	v_add_nc_u32_e32 v13, 0x400, v13
	s_waitcnt lgkmcnt(0)
	v_add_co_u32 v2, vcc_lo, s12, v3
	v_add_co_ci_u32_e32 v3, vcc_lo, s13, v4, vcc_lo
	v_add_co_u32 v4, vcc_lo, s10, v14
	v_add_co_ci_u32_e32 v5, vcc_lo, s11, v15, vcc_lo
.LBB491_2:                              ; =>This Inner Loop Header: Depth=1
	global_load_b32 v14, v[2:3], off
	global_load_b32 v15, v[4:5], off
	v_add_co_u32 v4, vcc_lo, v4, 32
	v_add_co_ci_u32_e32 v5, vcc_lo, 0, v5, vcc_lo
	v_add_co_u32 v2, vcc_lo, v2, 32
	v_add_co_ci_u32_e32 v3, vcc_lo, 0, v3, vcc_lo
	s_add_i32 s9, s9, 8
	s_waitcnt vmcnt(1)
	ds_store_b32 v12, v14
	s_waitcnt vmcnt(0)
	ds_store_b32 v13, v15
	s_waitcnt lgkmcnt(0)
	s_barrier
	buffer_gl0_inv
	ds_load_2addr_b32 v[30:31], v10 offset1:16
	ds_load_b128 v[14:17], v11
	ds_load_b128 v[18:21], v11 offset:512
	ds_load_2addr_b32 v[32:33], v10 offset0:32 offset1:48
	ds_load_2addr_b32 v[34:35], v10 offset0:64 offset1:80
	ds_load_b128 v[22:25], v11 offset:16
	ds_load_2addr_b32 v[36:37], v10 offset0:96 offset1:112
	ds_load_2addr_b32 v[38:39], v10 offset0:128 offset1:144
	;; [unrolled: 3-line block ×3, first 2 shown]
	ds_load_2addr_b32 v[44:45], v10 offset0:224 offset1:240
	s_cmp_ge_i32 s9, s5
	s_waitcnt lgkmcnt(0)
	s_barrier
	buffer_gl0_inv
	v_fmac_f32_e32 v8, v31, v14
	v_fmac_f32_e32 v9, v30, v14
	;; [unrolled: 1-line block ×4, first 2 shown]
	s_delay_alu instid0(VALU_DEP_4) | instskip(NEXT) | instid1(VALU_DEP_4)
	v_fmac_f32_e32 v8, v33, v15
	v_fmac_f32_e32 v9, v32, v15
	s_delay_alu instid0(VALU_DEP_4) | instskip(NEXT) | instid1(VALU_DEP_4)
	v_fmac_f32_e32 v1, v33, v19
	v_fmac_f32_e32 v0, v32, v19
	;; [unrolled: 3-line block ×14, first 2 shown]
	s_cbranch_scc0 .LBB491_2
.LBB491_3:
	s_load_b32 s5, s[0:1], 0x50
	v_add_nc_u32_e32 v7, s8, v7
	v_add_nc_u32_e32 v2, s7, v6
	s_delay_alu instid0(VALU_DEP_2) | instskip(NEXT) | instid1(VALU_DEP_2)
	v_cmp_gt_i32_e32 vcc_lo, s4, v7
	v_cmp_le_i32_e64 s0, v2, v7
	s_delay_alu instid0(VALU_DEP_1) | instskip(SKIP_2) | instid1(VALU_DEP_1)
	s_and_b32 s0, vcc_lo, s0
	s_waitcnt lgkmcnt(0)
	v_mad_i64_i32 v[3:4], null, v7, s5, 0
	v_lshlrev_b64 v[3:4], 2, v[3:4]
	s_delay_alu instid0(VALU_DEP_1) | instskip(NEXT) | instid1(VALU_DEP_1)
	v_add_co_u32 v6, s1, s2, v3
	v_add_co_ci_u32_e64 v10, s1, s3, v4, s1
	s_and_saveexec_b32 s1, s0
	s_cbranch_execz .LBB491_5
; %bb.4:
	v_ashrrev_i32_e32 v3, 31, v2
	v_mul_f32_e32 v5, s6, v9
	s_delay_alu instid0(VALU_DEP_2) | instskip(NEXT) | instid1(VALU_DEP_1)
	v_lshlrev_b64 v[3:4], 2, v[2:3]
	v_add_co_u32 v3, s0, v6, v3
	s_delay_alu instid0(VALU_DEP_1)
	v_add_co_ci_u32_e64 v4, s0, v10, v4, s0
	global_store_b32 v[3:4], v5, off
.LBB491_5:
	s_or_b32 exec_lo, exec_lo, s1
	v_add_nc_u32_e32 v4, 16, v2
	s_delay_alu instid0(VALU_DEP_1) | instskip(NEXT) | instid1(VALU_DEP_1)
	v_cmp_le_i32_e64 s0, v4, v7
	s_and_b32 s1, vcc_lo, s0
	s_delay_alu instid0(SALU_CYCLE_1)
	s_and_saveexec_b32 s0, s1
	s_cbranch_execz .LBB491_7
; %bb.6:
	v_ashrrev_i32_e32 v5, 31, v4
	v_mul_f32_e32 v3, s6, v8
	s_delay_alu instid0(VALU_DEP_2) | instskip(NEXT) | instid1(VALU_DEP_1)
	v_lshlrev_b64 v[11:12], 2, v[4:5]
	v_add_co_u32 v5, vcc_lo, v6, v11
	s_delay_alu instid0(VALU_DEP_2)
	v_add_co_ci_u32_e32 v6, vcc_lo, v10, v12, vcc_lo
	global_store_b32 v[5:6], v3, off
.LBB491_7:
	s_or_b32 exec_lo, exec_lo, s0
	v_add_nc_u32_e32 v5, 16, v7
	s_delay_alu instid0(VALU_DEP_1) | instskip(SKIP_2) | instid1(VALU_DEP_1)
	v_mad_i64_i32 v[6:7], null, v5, s5, 0
	v_cmp_gt_i32_e32 vcc_lo, s4, v5
	v_cmp_le_i32_e64 s0, v2, v5
	s_and_b32 s0, vcc_lo, s0
	s_delay_alu instid0(VALU_DEP_3) | instskip(NEXT) | instid1(VALU_DEP_1)
	v_lshlrev_b64 v[6:7], 2, v[6:7]
	v_add_co_u32 v6, s1, s2, v6
	s_delay_alu instid0(VALU_DEP_1)
	v_add_co_ci_u32_e64 v7, s1, s3, v7, s1
	s_and_saveexec_b32 s1, s0
	s_cbranch_execz .LBB491_9
; %bb.8:
	v_ashrrev_i32_e32 v3, 31, v2
	v_mul_f32_e32 v0, s6, v0
	s_delay_alu instid0(VALU_DEP_2) | instskip(NEXT) | instid1(VALU_DEP_1)
	v_lshlrev_b64 v[2:3], 2, v[2:3]
	v_add_co_u32 v2, s0, v6, v2
	s_delay_alu instid0(VALU_DEP_1)
	v_add_co_ci_u32_e64 v3, s0, v7, v3, s0
	global_store_b32 v[2:3], v0, off
.LBB491_9:
	s_or_b32 exec_lo, exec_lo, s1
	v_cmp_le_i32_e64 s0, v4, v5
	s_delay_alu instid0(VALU_DEP_1) | instskip(NEXT) | instid1(SALU_CYCLE_1)
	s_and_b32 s0, vcc_lo, s0
	s_and_saveexec_b32 s1, s0
	s_cbranch_execz .LBB491_11
; %bb.10:
	v_ashrrev_i32_e32 v5, 31, v4
	s_delay_alu instid0(VALU_DEP_1) | instskip(SKIP_1) | instid1(VALU_DEP_2)
	v_lshlrev_b64 v[2:3], 2, v[4:5]
	v_mul_f32_e32 v4, s6, v1
	v_add_co_u32 v0, vcc_lo, v6, v2
	s_delay_alu instid0(VALU_DEP_3)
	v_add_co_ci_u32_e32 v1, vcc_lo, v7, v3, vcc_lo
	global_store_b32 v[0:1], v4, off
.LBB491_11:
	s_nop 0
	s_sendmsg sendmsg(MSG_DEALLOC_VGPRS)
	s_endpgm
	.section	.rodata,"a",@progbits
	.p2align	6, 0x0
	.amdhsa_kernel _ZL37rocblas_syrkx_herkx_restricted_kernelIifLi16ELi32ELi8ELb1ELb0ELc84ELc85EKPKfKPfEviT_T0_PT8_S5_lS8_S5_lS6_PT9_S5_li
		.amdhsa_group_segment_fixed_size 2048
		.amdhsa_private_segment_fixed_size 0
		.amdhsa_kernarg_size 100
		.amdhsa_user_sgpr_count 13
		.amdhsa_user_sgpr_dispatch_ptr 0
		.amdhsa_user_sgpr_queue_ptr 0
		.amdhsa_user_sgpr_kernarg_segment_ptr 1
		.amdhsa_user_sgpr_dispatch_id 0
		.amdhsa_user_sgpr_private_segment_size 0
		.amdhsa_wavefront_size32 1
		.amdhsa_uses_dynamic_stack 0
		.amdhsa_enable_private_segment 0
		.amdhsa_system_sgpr_workgroup_id_x 1
		.amdhsa_system_sgpr_workgroup_id_y 1
		.amdhsa_system_sgpr_workgroup_id_z 1
		.amdhsa_system_sgpr_workgroup_info 0
		.amdhsa_system_vgpr_workitem_id 1
		.amdhsa_next_free_vgpr 46
		.amdhsa_next_free_sgpr 18
		.amdhsa_reserve_vcc 1
		.amdhsa_float_round_mode_32 0
		.amdhsa_float_round_mode_16_64 0
		.amdhsa_float_denorm_mode_32 3
		.amdhsa_float_denorm_mode_16_64 3
		.amdhsa_dx10_clamp 1
		.amdhsa_ieee_mode 1
		.amdhsa_fp16_overflow 0
		.amdhsa_workgroup_processor_mode 1
		.amdhsa_memory_ordered 1
		.amdhsa_forward_progress 0
		.amdhsa_shared_vgpr_count 0
		.amdhsa_exception_fp_ieee_invalid_op 0
		.amdhsa_exception_fp_denorm_src 0
		.amdhsa_exception_fp_ieee_div_zero 0
		.amdhsa_exception_fp_ieee_overflow 0
		.amdhsa_exception_fp_ieee_underflow 0
		.amdhsa_exception_fp_ieee_inexact 0
		.amdhsa_exception_int_div_zero 0
	.end_amdhsa_kernel
	.section	.text._ZL37rocblas_syrkx_herkx_restricted_kernelIifLi16ELi32ELi8ELb1ELb0ELc84ELc85EKPKfKPfEviT_T0_PT8_S5_lS8_S5_lS6_PT9_S5_li,"axG",@progbits,_ZL37rocblas_syrkx_herkx_restricted_kernelIifLi16ELi32ELi8ELb1ELb0ELc84ELc85EKPKfKPfEviT_T0_PT8_S5_lS8_S5_lS6_PT9_S5_li,comdat
.Lfunc_end491:
	.size	_ZL37rocblas_syrkx_herkx_restricted_kernelIifLi16ELi32ELi8ELb1ELb0ELc84ELc85EKPKfKPfEviT_T0_PT8_S5_lS8_S5_lS6_PT9_S5_li, .Lfunc_end491-_ZL37rocblas_syrkx_herkx_restricted_kernelIifLi16ELi32ELi8ELb1ELb0ELc84ELc85EKPKfKPfEviT_T0_PT8_S5_lS8_S5_lS6_PT9_S5_li
                                        ; -- End function
	.section	.AMDGPU.csdata,"",@progbits
; Kernel info:
; codeLenInByte = 1156
; NumSgprs: 20
; NumVgprs: 46
; ScratchSize: 0
; MemoryBound: 0
; FloatMode: 240
; IeeeMode: 1
; LDSByteSize: 2048 bytes/workgroup (compile time only)
; SGPRBlocks: 2
; VGPRBlocks: 5
; NumSGPRsForWavesPerEU: 20
; NumVGPRsForWavesPerEU: 46
; Occupancy: 16
; WaveLimiterHint : 1
; COMPUTE_PGM_RSRC2:SCRATCH_EN: 0
; COMPUTE_PGM_RSRC2:USER_SGPR: 13
; COMPUTE_PGM_RSRC2:TRAP_HANDLER: 0
; COMPUTE_PGM_RSRC2:TGID_X_EN: 1
; COMPUTE_PGM_RSRC2:TGID_Y_EN: 1
; COMPUTE_PGM_RSRC2:TGID_Z_EN: 1
; COMPUTE_PGM_RSRC2:TIDIG_COMP_CNT: 1
	.section	.text._ZL37rocblas_syrkx_herkx_restricted_kernelIifLi16ELi32ELi8ELb1ELb0ELc67ELc85EKPKfKPfEviT_T0_PT8_S5_lS8_S5_lS6_PT9_S5_li,"axG",@progbits,_ZL37rocblas_syrkx_herkx_restricted_kernelIifLi16ELi32ELi8ELb1ELb0ELc67ELc85EKPKfKPfEviT_T0_PT8_S5_lS8_S5_lS6_PT9_S5_li,comdat
	.globl	_ZL37rocblas_syrkx_herkx_restricted_kernelIifLi16ELi32ELi8ELb1ELb0ELc67ELc85EKPKfKPfEviT_T0_PT8_S5_lS8_S5_lS6_PT9_S5_li ; -- Begin function _ZL37rocblas_syrkx_herkx_restricted_kernelIifLi16ELi32ELi8ELb1ELb0ELc67ELc85EKPKfKPfEviT_T0_PT8_S5_lS8_S5_lS6_PT9_S5_li
	.p2align	8
	.type	_ZL37rocblas_syrkx_herkx_restricted_kernelIifLi16ELi32ELi8ELb1ELb0ELc67ELc85EKPKfKPfEviT_T0_PT8_S5_lS8_S5_lS6_PT9_S5_li,@function
_ZL37rocblas_syrkx_herkx_restricted_kernelIifLi16ELi32ELi8ELb1ELb0ELc67ELc85EKPKfKPfEviT_T0_PT8_S5_lS8_S5_lS6_PT9_S5_li: ; @_ZL37rocblas_syrkx_herkx_restricted_kernelIifLi16ELi32ELi8ELb1ELb0ELc67ELc85EKPKfKPfEviT_T0_PT8_S5_lS8_S5_lS6_PT9_S5_li
; %bb.0:
	s_clause 0x1
	s_load_b64 s[2:3], s[0:1], 0x48
	s_load_b128 s[4:7], s[0:1], 0x0
	s_mov_b32 s8, s15
	s_mov_b32 s9, 0
	v_dual_mov_b32 v9, 0 :: v_dual_and_b32 v6, 0x3ff, v0
	s_lshl_b64 s[10:11], s[8:9], 3
	v_bfe_u32 v7, v0, 10, 10
	v_dual_mov_b32 v8, 0 :: v_dual_mov_b32 v1, 0
	v_mov_b32_e32 v0, 0
	s_waitcnt lgkmcnt(0)
	s_add_u32 s2, s2, s10
	s_addc_u32 s3, s3, s11
	s_lshl_b32 s7, s13, 5
	s_load_b64 s[2:3], s[2:3], 0x0
	s_lshl_b32 s8, s14, 5
	s_cmp_lt_i32 s5, 1
	s_cbranch_scc1 .LBB492_3
; %bb.1:
	s_clause 0x3
	s_load_b64 s[12:13], s[0:1], 0x10
	s_load_b64 s[14:15], s[0:1], 0x28
	s_load_b32 s16, s[0:1], 0x18
	s_load_b32 s17, s[0:1], 0x30
	v_lshl_add_u32 v2, v7, 4, v6
	v_dual_mov_b32 v1, 0 :: v_dual_and_b32 v0, 7, v6
	v_lshlrev_b32_e32 v10, 2, v6
	s_delay_alu instid0(VALU_DEP_3) | instskip(SKIP_3) | instid1(VALU_DEP_4)
	v_and_b32_e32 v9, 31, v2
	v_lshrrev_b32_e32 v8, 3, v2
	v_lshrrev_b32_e32 v2, 5, v2
	v_mov_b32_e32 v3, v1
	v_add_nc_u32_e32 v11, s7, v9
	s_delay_alu instid0(VALU_DEP_4)
	v_add_nc_u32_e32 v12, s8, v8
	s_waitcnt lgkmcnt(0)
	s_add_u32 s12, s12, s10
	s_addc_u32 s13, s13, s11
	s_add_u32 s10, s14, s10
	s_load_b64 s[12:13], s[12:13], 0x0
	s_addc_u32 s11, s15, s11
	v_mad_i64_i32 v[4:5], null, s16, v11, v[2:3]
	s_load_b64 s[10:11], s[10:11], 0x0
	v_lshlrev_b32_e32 v3, 2, v0
	v_mad_i64_i32 v[14:15], null, s17, v12, v[0:1]
	v_dual_mov_b32 v0, v1 :: v_dual_lshlrev_b32 v9, 2, v9
	s_delay_alu instid0(VALU_DEP_3)
	v_lshl_or_b32 v13, v8, 5, v3
	v_lshlrev_b64 v[3:4], 2, v[4:5]
	v_lshl_add_u32 v11, v7, 5, 0x400
	v_mov_b32_e32 v8, v1
	v_lshlrev_b64 v[14:15], 2, v[14:15]
	v_lshl_or_b32 v12, v2, 7, v9
	v_mov_b32_e32 v9, v1
	v_add_nc_u32_e32 v13, 0x400, v13
	s_waitcnt lgkmcnt(0)
	v_add_co_u32 v2, vcc_lo, s12, v3
	v_add_co_ci_u32_e32 v3, vcc_lo, s13, v4, vcc_lo
	v_add_co_u32 v4, vcc_lo, s10, v14
	v_add_co_ci_u32_e32 v5, vcc_lo, s11, v15, vcc_lo
.LBB492_2:                              ; =>This Inner Loop Header: Depth=1
	global_load_b32 v14, v[2:3], off
	global_load_b32 v15, v[4:5], off
	v_add_co_u32 v4, vcc_lo, v4, 32
	v_add_co_ci_u32_e32 v5, vcc_lo, 0, v5, vcc_lo
	v_add_co_u32 v2, vcc_lo, v2, 32
	v_add_co_ci_u32_e32 v3, vcc_lo, 0, v3, vcc_lo
	s_add_i32 s9, s9, 8
	s_waitcnt vmcnt(1)
	ds_store_b32 v12, v14
	s_waitcnt vmcnt(0)
	ds_store_b32 v13, v15
	s_waitcnt lgkmcnt(0)
	s_barrier
	buffer_gl0_inv
	ds_load_2addr_b32 v[30:31], v10 offset1:16
	ds_load_b128 v[14:17], v11
	ds_load_b128 v[18:21], v11 offset:512
	ds_load_2addr_b32 v[32:33], v10 offset0:32 offset1:48
	ds_load_2addr_b32 v[34:35], v10 offset0:64 offset1:80
	ds_load_b128 v[22:25], v11 offset:16
	ds_load_2addr_b32 v[36:37], v10 offset0:96 offset1:112
	ds_load_2addr_b32 v[38:39], v10 offset0:128 offset1:144
	;; [unrolled: 3-line block ×3, first 2 shown]
	ds_load_2addr_b32 v[44:45], v10 offset0:224 offset1:240
	s_cmp_ge_i32 s9, s5
	s_waitcnt lgkmcnt(0)
	s_barrier
	buffer_gl0_inv
	v_fmac_f32_e32 v8, v31, v14
	v_fmac_f32_e32 v9, v30, v14
	;; [unrolled: 1-line block ×4, first 2 shown]
	s_delay_alu instid0(VALU_DEP_4) | instskip(NEXT) | instid1(VALU_DEP_4)
	v_fmac_f32_e32 v8, v33, v15
	v_fmac_f32_e32 v9, v32, v15
	s_delay_alu instid0(VALU_DEP_4) | instskip(NEXT) | instid1(VALU_DEP_4)
	v_fmac_f32_e32 v1, v33, v19
	v_fmac_f32_e32 v0, v32, v19
	;; [unrolled: 3-line block ×14, first 2 shown]
	s_cbranch_scc0 .LBB492_2
.LBB492_3:
	s_load_b32 s5, s[0:1], 0x50
	v_add_nc_u32_e32 v7, s8, v7
	v_add_nc_u32_e32 v2, s7, v6
	s_delay_alu instid0(VALU_DEP_2) | instskip(NEXT) | instid1(VALU_DEP_2)
	v_cmp_gt_i32_e32 vcc_lo, s4, v7
	v_cmp_le_i32_e64 s0, v2, v7
	s_delay_alu instid0(VALU_DEP_1) | instskip(SKIP_2) | instid1(VALU_DEP_1)
	s_and_b32 s0, vcc_lo, s0
	s_waitcnt lgkmcnt(0)
	v_mad_i64_i32 v[3:4], null, v7, s5, 0
	v_lshlrev_b64 v[3:4], 2, v[3:4]
	s_delay_alu instid0(VALU_DEP_1) | instskip(NEXT) | instid1(VALU_DEP_1)
	v_add_co_u32 v6, s1, s2, v3
	v_add_co_ci_u32_e64 v10, s1, s3, v4, s1
	s_and_saveexec_b32 s1, s0
	s_cbranch_execz .LBB492_5
; %bb.4:
	v_ashrrev_i32_e32 v3, 31, v2
	v_mul_f32_e32 v5, s6, v9
	s_delay_alu instid0(VALU_DEP_2) | instskip(NEXT) | instid1(VALU_DEP_1)
	v_lshlrev_b64 v[3:4], 2, v[2:3]
	v_add_co_u32 v3, s0, v6, v3
	s_delay_alu instid0(VALU_DEP_1)
	v_add_co_ci_u32_e64 v4, s0, v10, v4, s0
	global_store_b32 v[3:4], v5, off
.LBB492_5:
	s_or_b32 exec_lo, exec_lo, s1
	v_add_nc_u32_e32 v4, 16, v2
	s_delay_alu instid0(VALU_DEP_1) | instskip(NEXT) | instid1(VALU_DEP_1)
	v_cmp_le_i32_e64 s0, v4, v7
	s_and_b32 s1, vcc_lo, s0
	s_delay_alu instid0(SALU_CYCLE_1)
	s_and_saveexec_b32 s0, s1
	s_cbranch_execz .LBB492_7
; %bb.6:
	v_ashrrev_i32_e32 v5, 31, v4
	v_mul_f32_e32 v3, s6, v8
	s_delay_alu instid0(VALU_DEP_2) | instskip(NEXT) | instid1(VALU_DEP_1)
	v_lshlrev_b64 v[11:12], 2, v[4:5]
	v_add_co_u32 v5, vcc_lo, v6, v11
	s_delay_alu instid0(VALU_DEP_2)
	v_add_co_ci_u32_e32 v6, vcc_lo, v10, v12, vcc_lo
	global_store_b32 v[5:6], v3, off
.LBB492_7:
	s_or_b32 exec_lo, exec_lo, s0
	v_add_nc_u32_e32 v5, 16, v7
	s_delay_alu instid0(VALU_DEP_1) | instskip(SKIP_2) | instid1(VALU_DEP_1)
	v_mad_i64_i32 v[6:7], null, v5, s5, 0
	v_cmp_gt_i32_e32 vcc_lo, s4, v5
	v_cmp_le_i32_e64 s0, v2, v5
	s_and_b32 s0, vcc_lo, s0
	s_delay_alu instid0(VALU_DEP_3) | instskip(NEXT) | instid1(VALU_DEP_1)
	v_lshlrev_b64 v[6:7], 2, v[6:7]
	v_add_co_u32 v6, s1, s2, v6
	s_delay_alu instid0(VALU_DEP_1)
	v_add_co_ci_u32_e64 v7, s1, s3, v7, s1
	s_and_saveexec_b32 s1, s0
	s_cbranch_execz .LBB492_9
; %bb.8:
	v_ashrrev_i32_e32 v3, 31, v2
	v_mul_f32_e32 v0, s6, v0
	s_delay_alu instid0(VALU_DEP_2) | instskip(NEXT) | instid1(VALU_DEP_1)
	v_lshlrev_b64 v[2:3], 2, v[2:3]
	v_add_co_u32 v2, s0, v6, v2
	s_delay_alu instid0(VALU_DEP_1)
	v_add_co_ci_u32_e64 v3, s0, v7, v3, s0
	global_store_b32 v[2:3], v0, off
.LBB492_9:
	s_or_b32 exec_lo, exec_lo, s1
	v_cmp_le_i32_e64 s0, v4, v5
	s_delay_alu instid0(VALU_DEP_1) | instskip(NEXT) | instid1(SALU_CYCLE_1)
	s_and_b32 s0, vcc_lo, s0
	s_and_saveexec_b32 s1, s0
	s_cbranch_execz .LBB492_11
; %bb.10:
	v_ashrrev_i32_e32 v5, 31, v4
	s_delay_alu instid0(VALU_DEP_1) | instskip(SKIP_1) | instid1(VALU_DEP_2)
	v_lshlrev_b64 v[2:3], 2, v[4:5]
	v_mul_f32_e32 v4, s6, v1
	v_add_co_u32 v0, vcc_lo, v6, v2
	s_delay_alu instid0(VALU_DEP_3)
	v_add_co_ci_u32_e32 v1, vcc_lo, v7, v3, vcc_lo
	global_store_b32 v[0:1], v4, off
.LBB492_11:
	s_nop 0
	s_sendmsg sendmsg(MSG_DEALLOC_VGPRS)
	s_endpgm
	.section	.rodata,"a",@progbits
	.p2align	6, 0x0
	.amdhsa_kernel _ZL37rocblas_syrkx_herkx_restricted_kernelIifLi16ELi32ELi8ELb1ELb0ELc67ELc85EKPKfKPfEviT_T0_PT8_S5_lS8_S5_lS6_PT9_S5_li
		.amdhsa_group_segment_fixed_size 2048
		.amdhsa_private_segment_fixed_size 0
		.amdhsa_kernarg_size 100
		.amdhsa_user_sgpr_count 13
		.amdhsa_user_sgpr_dispatch_ptr 0
		.amdhsa_user_sgpr_queue_ptr 0
		.amdhsa_user_sgpr_kernarg_segment_ptr 1
		.amdhsa_user_sgpr_dispatch_id 0
		.amdhsa_user_sgpr_private_segment_size 0
		.amdhsa_wavefront_size32 1
		.amdhsa_uses_dynamic_stack 0
		.amdhsa_enable_private_segment 0
		.amdhsa_system_sgpr_workgroup_id_x 1
		.amdhsa_system_sgpr_workgroup_id_y 1
		.amdhsa_system_sgpr_workgroup_id_z 1
		.amdhsa_system_sgpr_workgroup_info 0
		.amdhsa_system_vgpr_workitem_id 1
		.amdhsa_next_free_vgpr 46
		.amdhsa_next_free_sgpr 18
		.amdhsa_reserve_vcc 1
		.amdhsa_float_round_mode_32 0
		.amdhsa_float_round_mode_16_64 0
		.amdhsa_float_denorm_mode_32 3
		.amdhsa_float_denorm_mode_16_64 3
		.amdhsa_dx10_clamp 1
		.amdhsa_ieee_mode 1
		.amdhsa_fp16_overflow 0
		.amdhsa_workgroup_processor_mode 1
		.amdhsa_memory_ordered 1
		.amdhsa_forward_progress 0
		.amdhsa_shared_vgpr_count 0
		.amdhsa_exception_fp_ieee_invalid_op 0
		.amdhsa_exception_fp_denorm_src 0
		.amdhsa_exception_fp_ieee_div_zero 0
		.amdhsa_exception_fp_ieee_overflow 0
		.amdhsa_exception_fp_ieee_underflow 0
		.amdhsa_exception_fp_ieee_inexact 0
		.amdhsa_exception_int_div_zero 0
	.end_amdhsa_kernel
	.section	.text._ZL37rocblas_syrkx_herkx_restricted_kernelIifLi16ELi32ELi8ELb1ELb0ELc67ELc85EKPKfKPfEviT_T0_PT8_S5_lS8_S5_lS6_PT9_S5_li,"axG",@progbits,_ZL37rocblas_syrkx_herkx_restricted_kernelIifLi16ELi32ELi8ELb1ELb0ELc67ELc85EKPKfKPfEviT_T0_PT8_S5_lS8_S5_lS6_PT9_S5_li,comdat
.Lfunc_end492:
	.size	_ZL37rocblas_syrkx_herkx_restricted_kernelIifLi16ELi32ELi8ELb1ELb0ELc67ELc85EKPKfKPfEviT_T0_PT8_S5_lS8_S5_lS6_PT9_S5_li, .Lfunc_end492-_ZL37rocblas_syrkx_herkx_restricted_kernelIifLi16ELi32ELi8ELb1ELb0ELc67ELc85EKPKfKPfEviT_T0_PT8_S5_lS8_S5_lS6_PT9_S5_li
                                        ; -- End function
	.section	.AMDGPU.csdata,"",@progbits
; Kernel info:
; codeLenInByte = 1156
; NumSgprs: 20
; NumVgprs: 46
; ScratchSize: 0
; MemoryBound: 0
; FloatMode: 240
; IeeeMode: 1
; LDSByteSize: 2048 bytes/workgroup (compile time only)
; SGPRBlocks: 2
; VGPRBlocks: 5
; NumSGPRsForWavesPerEU: 20
; NumVGPRsForWavesPerEU: 46
; Occupancy: 16
; WaveLimiterHint : 1
; COMPUTE_PGM_RSRC2:SCRATCH_EN: 0
; COMPUTE_PGM_RSRC2:USER_SGPR: 13
; COMPUTE_PGM_RSRC2:TRAP_HANDLER: 0
; COMPUTE_PGM_RSRC2:TGID_X_EN: 1
; COMPUTE_PGM_RSRC2:TGID_Y_EN: 1
; COMPUTE_PGM_RSRC2:TGID_Z_EN: 1
; COMPUTE_PGM_RSRC2:TIDIG_COMP_CNT: 1
	.section	.text._ZL37rocblas_syrkx_herkx_restricted_kernelIifLi16ELi32ELi8ELb1ELb0ELc78ELc85EKPKfKPfEviT_T0_PT8_S5_lS8_S5_lS6_PT9_S5_li,"axG",@progbits,_ZL37rocblas_syrkx_herkx_restricted_kernelIifLi16ELi32ELi8ELb1ELb0ELc78ELc85EKPKfKPfEviT_T0_PT8_S5_lS8_S5_lS6_PT9_S5_li,comdat
	.globl	_ZL37rocblas_syrkx_herkx_restricted_kernelIifLi16ELi32ELi8ELb1ELb0ELc78ELc85EKPKfKPfEviT_T0_PT8_S5_lS8_S5_lS6_PT9_S5_li ; -- Begin function _ZL37rocblas_syrkx_herkx_restricted_kernelIifLi16ELi32ELi8ELb1ELb0ELc78ELc85EKPKfKPfEviT_T0_PT8_S5_lS8_S5_lS6_PT9_S5_li
	.p2align	8
	.type	_ZL37rocblas_syrkx_herkx_restricted_kernelIifLi16ELi32ELi8ELb1ELb0ELc78ELc85EKPKfKPfEviT_T0_PT8_S5_lS8_S5_lS6_PT9_S5_li,@function
_ZL37rocblas_syrkx_herkx_restricted_kernelIifLi16ELi32ELi8ELb1ELb0ELc78ELc85EKPKfKPfEviT_T0_PT8_S5_lS8_S5_lS6_PT9_S5_li: ; @_ZL37rocblas_syrkx_herkx_restricted_kernelIifLi16ELi32ELi8ELb1ELb0ELc78ELc85EKPKfKPfEviT_T0_PT8_S5_lS8_S5_lS6_PT9_S5_li
; %bb.0:
	s_clause 0x1
	s_load_b64 s[2:3], s[0:1], 0x48
	s_load_b128 s[4:7], s[0:1], 0x0
	s_mov_b32 s8, s15
	s_mov_b32 s9, 0
	v_dual_mov_b32 v8, 0 :: v_dual_and_b32 v5, 0x3ff, v0
	s_lshl_b64 s[10:11], s[8:9], 3
	v_bfe_u32 v6, v0, 10, 10
	v_dual_mov_b32 v9, 0 :: v_dual_mov_b32 v4, 0
	v_mov_b32_e32 v7, 0
	s_waitcnt lgkmcnt(0)
	s_add_u32 s2, s2, s10
	s_addc_u32 s3, s3, s11
	s_lshl_b32 s7, s13, 5
	s_load_b64 s[2:3], s[2:3], 0x0
	s_lshl_b32 s8, s14, 5
	s_cmp_lt_i32 s5, 1
	s_cbranch_scc1 .LBB493_3
; %bb.1:
	s_clause 0x3
	s_load_b32 s12, s[0:1], 0x18
	s_load_b32 s14, s[0:1], 0x30
	s_load_b64 s[16:17], s[0:1], 0x10
	s_load_b64 s[18:19], s[0:1], 0x28
	v_lshl_add_u32 v0, v6, 4, v5
	v_dual_mov_b32 v4, 0 :: v_dual_and_b32 v7, 7, v5
	v_lshlrev_b32_e32 v10, 2, v5
	v_lshl_add_u32 v11, v6, 5, 0x400
	s_delay_alu instid0(VALU_DEP_4) | instskip(SKIP_3) | instid1(VALU_DEP_4)
	v_and_b32_e32 v13, 31, v0
	v_lshrrev_b32_e32 v12, 3, v0
	v_lshrrev_b32_e32 v14, 5, v0
	v_lshlrev_b32_e32 v15, 2, v7
	v_add_nc_u32_e32 v2, s7, v13
	s_delay_alu instid0(VALU_DEP_4) | instskip(NEXT) | instid1(VALU_DEP_3)
	v_add_nc_u32_e32 v0, s8, v12
	v_lshl_or_b32 v15, v12, 5, v15
	s_delay_alu instid0(VALU_DEP_3)
	v_ashrrev_i32_e32 v3, 31, v2
	s_waitcnt lgkmcnt(0)
	s_ashr_i32 s13, s12, 31
	s_ashr_i32 s15, s14, 31
	s_add_u32 s16, s16, s10
	s_addc_u32 s17, s17, s11
	s_add_u32 s10, s18, s10
	s_load_b64 s[16:17], s[16:17], 0x0
	s_addc_u32 s11, s19, s11
	v_ashrrev_i32_e32 v1, 31, v0
	s_load_b64 s[10:11], s[10:11], 0x0
	v_mad_i64_i32 v[8:9], null, s12, v14, v[2:3]
	s_lshl_b64 s[12:13], s[12:13], 5
	s_delay_alu instid0(VALU_DEP_2) | instskip(SKIP_1) | instid1(VALU_DEP_3)
	v_mad_i64_i32 v[2:3], null, s14, v7, v[0:1]
	v_mov_b32_e32 v7, 0
	v_lshlrev_b64 v[0:1], 2, v[8:9]
	v_dual_mov_b32 v9, 0 :: v_dual_mov_b32 v8, 0
	s_delay_alu instid0(VALU_DEP_4) | instskip(SKIP_2) | instid1(VALU_DEP_4)
	v_lshlrev_b64 v[2:3], 2, v[2:3]
	v_lshlrev_b32_e32 v13, 2, v13
	s_waitcnt lgkmcnt(0)
	v_add_co_u32 v0, vcc_lo, s16, v0
	v_add_co_ci_u32_e32 v1, vcc_lo, s17, v1, vcc_lo
	s_delay_alu instid0(VALU_DEP_4)
	v_add_co_u32 v2, vcc_lo, s10, v2
	v_lshl_or_b32 v12, v14, 7, v13
	v_add_nc_u32_e32 v13, 0x400, v15
	v_add_co_ci_u32_e32 v3, vcc_lo, s11, v3, vcc_lo
	s_lshl_b64 s[10:11], s[14:15], 5
.LBB493_2:                              ; =>This Inner Loop Header: Depth=1
	global_load_b32 v14, v[0:1], off
	global_load_b32 v15, v[2:3], off
	v_add_co_u32 v2, vcc_lo, v2, s10
	v_add_co_ci_u32_e32 v3, vcc_lo, s11, v3, vcc_lo
	v_add_co_u32 v0, vcc_lo, v0, s12
	v_add_co_ci_u32_e32 v1, vcc_lo, s13, v1, vcc_lo
	s_add_i32 s9, s9, 8
	s_waitcnt vmcnt(1)
	ds_store_b32 v12, v14
	s_waitcnt vmcnt(0)
	ds_store_b32 v13, v15
	s_waitcnt lgkmcnt(0)
	s_barrier
	buffer_gl0_inv
	ds_load_2addr_b32 v[30:31], v10 offset1:16
	ds_load_b128 v[14:17], v11
	ds_load_b128 v[18:21], v11 offset:512
	ds_load_2addr_b32 v[32:33], v10 offset0:32 offset1:48
	ds_load_2addr_b32 v[34:35], v10 offset0:64 offset1:80
	ds_load_b128 v[22:25], v11 offset:16
	ds_load_2addr_b32 v[36:37], v10 offset0:96 offset1:112
	ds_load_2addr_b32 v[38:39], v10 offset0:128 offset1:144
	;; [unrolled: 3-line block ×3, first 2 shown]
	ds_load_2addr_b32 v[44:45], v10 offset0:224 offset1:240
	s_cmp_ge_i32 s9, s5
	s_waitcnt lgkmcnt(0)
	s_barrier
	buffer_gl0_inv
	v_fmac_f32_e32 v8, v31, v14
	v_fmac_f32_e32 v9, v30, v14
	;; [unrolled: 1-line block ×3, first 2 shown]
	s_delay_alu instid0(VALU_DEP_3) | instskip(NEXT) | instid1(VALU_DEP_3)
	v_dual_fmac_f32 v7, v30, v18 :: v_dual_fmac_f32 v8, v33, v15
	v_fmac_f32_e32 v9, v32, v15
	s_delay_alu instid0(VALU_DEP_3) | instskip(NEXT) | instid1(VALU_DEP_3)
	v_fmac_f32_e32 v4, v33, v19
	v_dual_fmac_f32 v7, v32, v19 :: v_dual_fmac_f32 v8, v35, v16
	s_delay_alu instid0(VALU_DEP_3) | instskip(NEXT) | instid1(VALU_DEP_3)
	v_fmac_f32_e32 v9, v34, v16
	v_fmac_f32_e32 v4, v35, v20
	s_delay_alu instid0(VALU_DEP_3) | instskip(NEXT) | instid1(VALU_DEP_3)
	v_dual_fmac_f32 v7, v34, v20 :: v_dual_fmac_f32 v8, v37, v17
	v_fmac_f32_e32 v9, v36, v17
	s_delay_alu instid0(VALU_DEP_3) | instskip(NEXT) | instid1(VALU_DEP_3)
	v_fmac_f32_e32 v4, v37, v21
	v_dual_fmac_f32 v7, v36, v21 :: v_dual_fmac_f32 v8, v39, v22
	s_delay_alu instid0(VALU_DEP_3) | instskip(NEXT) | instid1(VALU_DEP_3)
	v_fmac_f32_e32 v9, v38, v22
	v_fmac_f32_e32 v4, v39, v26
	s_delay_alu instid0(VALU_DEP_3) | instskip(NEXT) | instid1(VALU_DEP_3)
	v_dual_fmac_f32 v7, v38, v26 :: v_dual_fmac_f32 v8, v41, v23
	v_fmac_f32_e32 v9, v40, v23
	s_delay_alu instid0(VALU_DEP_3) | instskip(NEXT) | instid1(VALU_DEP_3)
	v_fmac_f32_e32 v4, v41, v27
	v_dual_fmac_f32 v7, v40, v27 :: v_dual_fmac_f32 v8, v43, v24
	s_delay_alu instid0(VALU_DEP_3) | instskip(NEXT) | instid1(VALU_DEP_3)
	v_fmac_f32_e32 v9, v42, v24
	v_fmac_f32_e32 v4, v43, v28
	s_delay_alu instid0(VALU_DEP_3) | instskip(NEXT) | instid1(VALU_DEP_3)
	v_dual_fmac_f32 v7, v42, v28 :: v_dual_fmac_f32 v8, v45, v25
	v_fmac_f32_e32 v9, v44, v25
	s_delay_alu instid0(VALU_DEP_3) | instskip(NEXT) | instid1(VALU_DEP_3)
	v_fmac_f32_e32 v4, v45, v29
	v_fmac_f32_e32 v7, v44, v29
	s_cbranch_scc0 .LBB493_2
.LBB493_3:
	s_load_b32 s5, s[0:1], 0x50
	v_add_nc_u32_e32 v6, s8, v6
	v_add_nc_u32_e32 v0, s7, v5
	s_delay_alu instid0(VALU_DEP_2) | instskip(NEXT) | instid1(VALU_DEP_2)
	v_cmp_gt_i32_e32 vcc_lo, s4, v6
	v_cmp_le_i32_e64 s0, v0, v6
	s_delay_alu instid0(VALU_DEP_1) | instskip(SKIP_2) | instid1(VALU_DEP_1)
	s_and_b32 s0, vcc_lo, s0
	s_waitcnt lgkmcnt(0)
	v_mad_i64_i32 v[1:2], null, v6, s5, 0
	v_lshlrev_b64 v[1:2], 2, v[1:2]
	s_delay_alu instid0(VALU_DEP_1) | instskip(NEXT) | instid1(VALU_DEP_1)
	v_add_co_u32 v5, s1, s2, v1
	v_add_co_ci_u32_e64 v10, s1, s3, v2, s1
	s_and_saveexec_b32 s1, s0
	s_cbranch_execz .LBB493_5
; %bb.4:
	v_ashrrev_i32_e32 v1, 31, v0
	v_mul_f32_e32 v3, s6, v9
	s_delay_alu instid0(VALU_DEP_2) | instskip(NEXT) | instid1(VALU_DEP_1)
	v_lshlrev_b64 v[1:2], 2, v[0:1]
	v_add_co_u32 v1, s0, v5, v1
	s_delay_alu instid0(VALU_DEP_1)
	v_add_co_ci_u32_e64 v2, s0, v10, v2, s0
	global_store_b32 v[1:2], v3, off
.LBB493_5:
	s_or_b32 exec_lo, exec_lo, s1
	v_add_nc_u32_e32 v2, 16, v0
	s_delay_alu instid0(VALU_DEP_1) | instskip(NEXT) | instid1(VALU_DEP_1)
	v_cmp_le_i32_e64 s0, v2, v6
	s_and_b32 s1, vcc_lo, s0
	s_delay_alu instid0(SALU_CYCLE_1)
	s_and_saveexec_b32 s0, s1
	s_cbranch_execz .LBB493_7
; %bb.6:
	v_ashrrev_i32_e32 v3, 31, v2
	v_mul_f32_e32 v1, s6, v8
	s_delay_alu instid0(VALU_DEP_2) | instskip(NEXT) | instid1(VALU_DEP_1)
	v_lshlrev_b64 v[11:12], 2, v[2:3]
	v_add_co_u32 v8, vcc_lo, v5, v11
	s_delay_alu instid0(VALU_DEP_2)
	v_add_co_ci_u32_e32 v9, vcc_lo, v10, v12, vcc_lo
	global_store_b32 v[8:9], v1, off
.LBB493_7:
	s_or_b32 exec_lo, exec_lo, s0
	v_add_nc_u32_e32 v3, 16, v6
	s_delay_alu instid0(VALU_DEP_1) | instskip(SKIP_2) | instid1(VALU_DEP_1)
	v_mad_i64_i32 v[5:6], null, v3, s5, 0
	v_cmp_gt_i32_e32 vcc_lo, s4, v3
	v_cmp_le_i32_e64 s0, v0, v3
	s_and_b32 s0, vcc_lo, s0
	s_delay_alu instid0(VALU_DEP_3) | instskip(NEXT) | instid1(VALU_DEP_1)
	v_lshlrev_b64 v[5:6], 2, v[5:6]
	v_add_co_u32 v5, s1, s2, v5
	s_delay_alu instid0(VALU_DEP_1)
	v_add_co_ci_u32_e64 v6, s1, s3, v6, s1
	s_and_saveexec_b32 s1, s0
	s_cbranch_execz .LBB493_9
; %bb.8:
	v_ashrrev_i32_e32 v1, 31, v0
	v_mul_f32_e32 v7, s6, v7
	s_delay_alu instid0(VALU_DEP_2) | instskip(NEXT) | instid1(VALU_DEP_1)
	v_lshlrev_b64 v[0:1], 2, v[0:1]
	v_add_co_u32 v0, s0, v5, v0
	s_delay_alu instid0(VALU_DEP_1)
	v_add_co_ci_u32_e64 v1, s0, v6, v1, s0
	global_store_b32 v[0:1], v7, off
.LBB493_9:
	s_or_b32 exec_lo, exec_lo, s1
	v_cmp_le_i32_e64 s0, v2, v3
	s_delay_alu instid0(VALU_DEP_1) | instskip(NEXT) | instid1(SALU_CYCLE_1)
	s_and_b32 s0, vcc_lo, s0
	s_and_saveexec_b32 s1, s0
	s_cbranch_execz .LBB493_11
; %bb.10:
	v_ashrrev_i32_e32 v3, 31, v2
	s_delay_alu instid0(VALU_DEP_1) | instskip(SKIP_1) | instid1(VALU_DEP_2)
	v_lshlrev_b64 v[0:1], 2, v[2:3]
	v_mul_f32_e32 v2, s6, v4
	v_add_co_u32 v0, vcc_lo, v5, v0
	s_delay_alu instid0(VALU_DEP_3)
	v_add_co_ci_u32_e32 v1, vcc_lo, v6, v1, vcc_lo
	global_store_b32 v[0:1], v2, off
.LBB493_11:
	s_nop 0
	s_sendmsg sendmsg(MSG_DEALLOC_VGPRS)
	s_endpgm
	.section	.rodata,"a",@progbits
	.p2align	6, 0x0
	.amdhsa_kernel _ZL37rocblas_syrkx_herkx_restricted_kernelIifLi16ELi32ELi8ELb1ELb0ELc78ELc85EKPKfKPfEviT_T0_PT8_S5_lS8_S5_lS6_PT9_S5_li
		.amdhsa_group_segment_fixed_size 2048
		.amdhsa_private_segment_fixed_size 0
		.amdhsa_kernarg_size 100
		.amdhsa_user_sgpr_count 13
		.amdhsa_user_sgpr_dispatch_ptr 0
		.amdhsa_user_sgpr_queue_ptr 0
		.amdhsa_user_sgpr_kernarg_segment_ptr 1
		.amdhsa_user_sgpr_dispatch_id 0
		.amdhsa_user_sgpr_private_segment_size 0
		.amdhsa_wavefront_size32 1
		.amdhsa_uses_dynamic_stack 0
		.amdhsa_enable_private_segment 0
		.amdhsa_system_sgpr_workgroup_id_x 1
		.amdhsa_system_sgpr_workgroup_id_y 1
		.amdhsa_system_sgpr_workgroup_id_z 1
		.amdhsa_system_sgpr_workgroup_info 0
		.amdhsa_system_vgpr_workitem_id 1
		.amdhsa_next_free_vgpr 46
		.amdhsa_next_free_sgpr 20
		.amdhsa_reserve_vcc 1
		.amdhsa_float_round_mode_32 0
		.amdhsa_float_round_mode_16_64 0
		.amdhsa_float_denorm_mode_32 3
		.amdhsa_float_denorm_mode_16_64 3
		.amdhsa_dx10_clamp 1
		.amdhsa_ieee_mode 1
		.amdhsa_fp16_overflow 0
		.amdhsa_workgroup_processor_mode 1
		.amdhsa_memory_ordered 1
		.amdhsa_forward_progress 0
		.amdhsa_shared_vgpr_count 0
		.amdhsa_exception_fp_ieee_invalid_op 0
		.amdhsa_exception_fp_denorm_src 0
		.amdhsa_exception_fp_ieee_div_zero 0
		.amdhsa_exception_fp_ieee_overflow 0
		.amdhsa_exception_fp_ieee_underflow 0
		.amdhsa_exception_fp_ieee_inexact 0
		.amdhsa_exception_int_div_zero 0
	.end_amdhsa_kernel
	.section	.text._ZL37rocblas_syrkx_herkx_restricted_kernelIifLi16ELi32ELi8ELb1ELb0ELc78ELc85EKPKfKPfEviT_T0_PT8_S5_lS8_S5_lS6_PT9_S5_li,"axG",@progbits,_ZL37rocblas_syrkx_herkx_restricted_kernelIifLi16ELi32ELi8ELb1ELb0ELc78ELc85EKPKfKPfEviT_T0_PT8_S5_lS8_S5_lS6_PT9_S5_li,comdat
.Lfunc_end493:
	.size	_ZL37rocblas_syrkx_herkx_restricted_kernelIifLi16ELi32ELi8ELb1ELb0ELc78ELc85EKPKfKPfEviT_T0_PT8_S5_lS8_S5_lS6_PT9_S5_li, .Lfunc_end493-_ZL37rocblas_syrkx_herkx_restricted_kernelIifLi16ELi32ELi8ELb1ELb0ELc78ELc85EKPKfKPfEviT_T0_PT8_S5_lS8_S5_lS6_PT9_S5_li
                                        ; -- End function
	.section	.AMDGPU.csdata,"",@progbits
; Kernel info:
; codeLenInByte = 1176
; NumSgprs: 22
; NumVgprs: 46
; ScratchSize: 0
; MemoryBound: 0
; FloatMode: 240
; IeeeMode: 1
; LDSByteSize: 2048 bytes/workgroup (compile time only)
; SGPRBlocks: 2
; VGPRBlocks: 5
; NumSGPRsForWavesPerEU: 22
; NumVGPRsForWavesPerEU: 46
; Occupancy: 16
; WaveLimiterHint : 1
; COMPUTE_PGM_RSRC2:SCRATCH_EN: 0
; COMPUTE_PGM_RSRC2:USER_SGPR: 13
; COMPUTE_PGM_RSRC2:TRAP_HANDLER: 0
; COMPUTE_PGM_RSRC2:TGID_X_EN: 1
; COMPUTE_PGM_RSRC2:TGID_Y_EN: 1
; COMPUTE_PGM_RSRC2:TGID_Z_EN: 1
; COMPUTE_PGM_RSRC2:TIDIG_COMP_CNT: 1
	.section	.text._ZL37rocblas_syrkx_herkx_restricted_kernelIifLi16ELi32ELi8ELb0ELb0ELc84ELc76EKPKfKPfEviT_T0_PT8_S5_lS8_S5_lS6_PT9_S5_li,"axG",@progbits,_ZL37rocblas_syrkx_herkx_restricted_kernelIifLi16ELi32ELi8ELb0ELb0ELc84ELc76EKPKfKPfEviT_T0_PT8_S5_lS8_S5_lS6_PT9_S5_li,comdat
	.globl	_ZL37rocblas_syrkx_herkx_restricted_kernelIifLi16ELi32ELi8ELb0ELb0ELc84ELc76EKPKfKPfEviT_T0_PT8_S5_lS8_S5_lS6_PT9_S5_li ; -- Begin function _ZL37rocblas_syrkx_herkx_restricted_kernelIifLi16ELi32ELi8ELb0ELb0ELc84ELc76EKPKfKPfEviT_T0_PT8_S5_lS8_S5_lS6_PT9_S5_li
	.p2align	8
	.type	_ZL37rocblas_syrkx_herkx_restricted_kernelIifLi16ELi32ELi8ELb0ELb0ELc84ELc76EKPKfKPfEviT_T0_PT8_S5_lS8_S5_lS6_PT9_S5_li,@function
_ZL37rocblas_syrkx_herkx_restricted_kernelIifLi16ELi32ELi8ELb0ELb0ELc84ELc76EKPKfKPfEviT_T0_PT8_S5_lS8_S5_lS6_PT9_S5_li: ; @_ZL37rocblas_syrkx_herkx_restricted_kernelIifLi16ELi32ELi8ELb0ELb0ELc84ELc76EKPKfKPfEviT_T0_PT8_S5_lS8_S5_lS6_PT9_S5_li
; %bb.0:
	s_clause 0x1
	s_load_b64 s[2:3], s[0:1], 0x48
	s_load_b128 s[4:7], s[0:1], 0x0
	s_mov_b32 s8, s15
	s_mov_b32 s9, 0
	v_dual_mov_b32 v9, 0 :: v_dual_and_b32 v6, 0x3ff, v0
	s_lshl_b64 s[10:11], s[8:9], 3
	v_bfe_u32 v7, v0, 10, 10
	v_dual_mov_b32 v8, 0 :: v_dual_mov_b32 v1, 0
	v_mov_b32_e32 v0, 0
	s_waitcnt lgkmcnt(0)
	s_add_u32 s2, s2, s10
	s_addc_u32 s3, s3, s11
	s_lshl_b32 s7, s13, 5
	s_load_b64 s[2:3], s[2:3], 0x0
	s_lshl_b32 s8, s14, 5
	s_cmp_lt_i32 s5, 1
	s_cbranch_scc1 .LBB494_3
; %bb.1:
	s_clause 0x3
	s_load_b64 s[12:13], s[0:1], 0x10
	s_load_b64 s[14:15], s[0:1], 0x28
	s_load_b32 s16, s[0:1], 0x18
	s_load_b32 s17, s[0:1], 0x30
	v_lshl_add_u32 v2, v7, 4, v6
	v_dual_mov_b32 v1, 0 :: v_dual_and_b32 v0, 7, v6
	v_lshlrev_b32_e32 v10, 2, v6
	s_delay_alu instid0(VALU_DEP_3) | instskip(SKIP_3) | instid1(VALU_DEP_4)
	v_and_b32_e32 v9, 31, v2
	v_lshrrev_b32_e32 v8, 3, v2
	v_lshrrev_b32_e32 v2, 5, v2
	v_mov_b32_e32 v3, v1
	v_add_nc_u32_e32 v11, s7, v9
	s_delay_alu instid0(VALU_DEP_4)
	v_add_nc_u32_e32 v12, s8, v8
	s_waitcnt lgkmcnt(0)
	s_add_u32 s12, s12, s10
	s_addc_u32 s13, s13, s11
	s_add_u32 s10, s14, s10
	s_load_b64 s[12:13], s[12:13], 0x0
	s_addc_u32 s11, s15, s11
	v_mad_i64_i32 v[4:5], null, s16, v11, v[2:3]
	s_load_b64 s[10:11], s[10:11], 0x0
	v_lshlrev_b32_e32 v3, 2, v0
	v_mad_i64_i32 v[14:15], null, s17, v12, v[0:1]
	v_dual_mov_b32 v0, v1 :: v_dual_lshlrev_b32 v9, 2, v9
	s_delay_alu instid0(VALU_DEP_3)
	v_lshl_or_b32 v13, v8, 5, v3
	v_lshlrev_b64 v[3:4], 2, v[4:5]
	v_lshl_add_u32 v11, v7, 5, 0x400
	v_mov_b32_e32 v8, v1
	v_lshlrev_b64 v[14:15], 2, v[14:15]
	v_lshl_or_b32 v12, v2, 7, v9
	v_mov_b32_e32 v9, v1
	v_add_nc_u32_e32 v13, 0x400, v13
	s_waitcnt lgkmcnt(0)
	v_add_co_u32 v2, vcc_lo, s12, v3
	v_add_co_ci_u32_e32 v3, vcc_lo, s13, v4, vcc_lo
	v_add_co_u32 v4, vcc_lo, s10, v14
	v_add_co_ci_u32_e32 v5, vcc_lo, s11, v15, vcc_lo
.LBB494_2:                              ; =>This Inner Loop Header: Depth=1
	global_load_b32 v14, v[2:3], off
	global_load_b32 v15, v[4:5], off
	v_add_co_u32 v4, vcc_lo, v4, 32
	v_add_co_ci_u32_e32 v5, vcc_lo, 0, v5, vcc_lo
	v_add_co_u32 v2, vcc_lo, v2, 32
	v_add_co_ci_u32_e32 v3, vcc_lo, 0, v3, vcc_lo
	s_add_i32 s9, s9, 8
	s_waitcnt vmcnt(1)
	ds_store_b32 v12, v14
	s_waitcnt vmcnt(0)
	ds_store_b32 v13, v15
	s_waitcnt lgkmcnt(0)
	s_barrier
	buffer_gl0_inv
	ds_load_2addr_b32 v[30:31], v10 offset1:16
	ds_load_b128 v[14:17], v11
	ds_load_b128 v[18:21], v11 offset:512
	ds_load_2addr_b32 v[32:33], v10 offset0:32 offset1:48
	ds_load_2addr_b32 v[34:35], v10 offset0:64 offset1:80
	ds_load_b128 v[22:25], v11 offset:16
	ds_load_2addr_b32 v[36:37], v10 offset0:96 offset1:112
	ds_load_2addr_b32 v[38:39], v10 offset0:128 offset1:144
	ds_load_b128 v[26:29], v11 offset:528
	ds_load_2addr_b32 v[40:41], v10 offset0:160 offset1:176
	ds_load_2addr_b32 v[42:43], v10 offset0:192 offset1:208
	ds_load_2addr_b32 v[44:45], v10 offset0:224 offset1:240
	s_cmp_ge_i32 s9, s5
	s_waitcnt lgkmcnt(0)
	s_barrier
	buffer_gl0_inv
	v_fmac_f32_e32 v8, v31, v14
	v_fmac_f32_e32 v9, v30, v14
	;; [unrolled: 1-line block ×4, first 2 shown]
	s_delay_alu instid0(VALU_DEP_4) | instskip(NEXT) | instid1(VALU_DEP_4)
	v_fmac_f32_e32 v8, v33, v15
	v_fmac_f32_e32 v9, v32, v15
	s_delay_alu instid0(VALU_DEP_4) | instskip(NEXT) | instid1(VALU_DEP_4)
	v_fmac_f32_e32 v1, v33, v19
	v_fmac_f32_e32 v0, v32, v19
	;; [unrolled: 3-line block ×14, first 2 shown]
	s_cbranch_scc0 .LBB494_2
.LBB494_3:
	s_clause 0x1
	s_load_b32 s9, s[0:1], 0x50
	s_load_b32 s5, s[0:1], 0x40
	v_add_nc_u32_e32 v7, s8, v7
	v_add_nc_u32_e32 v2, s7, v6
	s_delay_alu instid0(VALU_DEP_1) | instskip(SKIP_1) | instid1(VALU_DEP_2)
	v_cmp_le_i32_e64 s0, v7, v2
	v_cmp_gt_i32_e32 vcc_lo, s4, v2
	s_and_b32 s0, s0, vcc_lo
	s_waitcnt lgkmcnt(0)
	v_mad_i64_i32 v[3:4], null, v7, s9, 0
	s_delay_alu instid0(VALU_DEP_1) | instskip(NEXT) | instid1(VALU_DEP_1)
	v_lshlrev_b64 v[3:4], 2, v[3:4]
	v_add_co_u32 v6, s1, s2, v3
	s_delay_alu instid0(VALU_DEP_1)
	v_add_co_ci_u32_e64 v10, s1, s3, v4, s1
	s_and_saveexec_b32 s1, s0
	s_cbranch_execz .LBB494_5
; %bb.4:
	v_ashrrev_i32_e32 v3, 31, v2
	s_delay_alu instid0(VALU_DEP_1) | instskip(NEXT) | instid1(VALU_DEP_1)
	v_lshlrev_b64 v[3:4], 2, v[2:3]
	v_add_co_u32 v3, s0, v6, v3
	s_delay_alu instid0(VALU_DEP_1) | instskip(SKIP_3) | instid1(VALU_DEP_1)
	v_add_co_ci_u32_e64 v4, s0, v10, v4, s0
	global_load_b32 v5, v[3:4], off
	s_waitcnt vmcnt(0)
	v_mul_f32_e32 v5, s5, v5
	v_fmac_f32_e32 v5, s6, v9
	global_store_b32 v[3:4], v5, off
.LBB494_5:
	s_or_b32 exec_lo, exec_lo, s1
	v_add_nc_u32_e32 v4, 16, v2
	s_delay_alu instid0(VALU_DEP_1) | instskip(SKIP_1) | instid1(VALU_DEP_1)
	v_cmp_le_i32_e64 s1, v7, v4
	v_cmp_gt_i32_e64 s0, s4, v4
	s_and_b32 s1, s1, s0
	s_delay_alu instid0(SALU_CYCLE_1)
	s_and_saveexec_b32 s4, s1
	s_cbranch_execz .LBB494_7
; %bb.6:
	v_ashrrev_i32_e32 v5, 31, v4
	s_delay_alu instid0(VALU_DEP_1) | instskip(NEXT) | instid1(VALU_DEP_1)
	v_lshlrev_b64 v[11:12], 2, v[4:5]
	v_add_co_u32 v5, s1, v6, v11
	s_delay_alu instid0(VALU_DEP_1) | instskip(SKIP_3) | instid1(VALU_DEP_1)
	v_add_co_ci_u32_e64 v6, s1, v10, v12, s1
	global_load_b32 v3, v[5:6], off
	s_waitcnt vmcnt(0)
	v_mul_f32_e32 v3, s5, v3
	v_fmac_f32_e32 v3, s6, v8
	global_store_b32 v[5:6], v3, off
.LBB494_7:
	s_or_b32 exec_lo, exec_lo, s4
	v_add_nc_u32_e32 v5, 16, v7
	s_delay_alu instid0(VALU_DEP_1) | instskip(SKIP_1) | instid1(VALU_DEP_2)
	v_mad_i64_i32 v[6:7], null, v5, s9, 0
	v_cmp_le_i32_e64 s1, v5, v2
	v_lshlrev_b64 v[6:7], 2, v[6:7]
	s_delay_alu instid0(VALU_DEP_1) | instskip(NEXT) | instid1(VALU_DEP_1)
	v_add_co_u32 v6, s2, s2, v6
	v_add_co_ci_u32_e64 v7, s2, s3, v7, s2
	s_delay_alu instid0(VALU_DEP_4) | instskip(NEXT) | instid1(SALU_CYCLE_1)
	s_and_b32 s2, s1, vcc_lo
	s_and_saveexec_b32 s1, s2
	s_cbranch_execz .LBB494_9
; %bb.8:
	v_ashrrev_i32_e32 v3, 31, v2
	s_delay_alu instid0(VALU_DEP_1) | instskip(NEXT) | instid1(VALU_DEP_1)
	v_lshlrev_b64 v[2:3], 2, v[2:3]
	v_add_co_u32 v2, vcc_lo, v6, v2
	s_delay_alu instid0(VALU_DEP_2) | instskip(SKIP_3) | instid1(VALU_DEP_1)
	v_add_co_ci_u32_e32 v3, vcc_lo, v7, v3, vcc_lo
	global_load_b32 v8, v[2:3], off
	s_waitcnt vmcnt(0)
	v_mul_f32_e32 v8, s5, v8
	v_fmac_f32_e32 v8, s6, v0
	global_store_b32 v[2:3], v8, off
.LBB494_9:
	s_or_b32 exec_lo, exec_lo, s1
	v_cmp_le_i32_e32 vcc_lo, v5, v4
	s_and_b32 s0, vcc_lo, s0
	s_delay_alu instid0(SALU_CYCLE_1)
	s_and_saveexec_b32 s1, s0
	s_cbranch_execz .LBB494_11
; %bb.10:
	v_ashrrev_i32_e32 v5, 31, v4
	s_delay_alu instid0(VALU_DEP_1) | instskip(NEXT) | instid1(VALU_DEP_1)
	v_lshlrev_b64 v[2:3], 2, v[4:5]
	v_add_co_u32 v2, vcc_lo, v6, v2
	s_delay_alu instid0(VALU_DEP_2) | instskip(SKIP_3) | instid1(VALU_DEP_1)
	v_add_co_ci_u32_e32 v3, vcc_lo, v7, v3, vcc_lo
	global_load_b32 v0, v[2:3], off
	s_waitcnt vmcnt(0)
	v_mul_f32_e32 v0, s5, v0
	v_fmac_f32_e32 v0, s6, v1
	global_store_b32 v[2:3], v0, off
.LBB494_11:
	s_nop 0
	s_sendmsg sendmsg(MSG_DEALLOC_VGPRS)
	s_endpgm
	.section	.rodata,"a",@progbits
	.p2align	6, 0x0
	.amdhsa_kernel _ZL37rocblas_syrkx_herkx_restricted_kernelIifLi16ELi32ELi8ELb0ELb0ELc84ELc76EKPKfKPfEviT_T0_PT8_S5_lS8_S5_lS6_PT9_S5_li
		.amdhsa_group_segment_fixed_size 2048
		.amdhsa_private_segment_fixed_size 0
		.amdhsa_kernarg_size 100
		.amdhsa_user_sgpr_count 13
		.amdhsa_user_sgpr_dispatch_ptr 0
		.amdhsa_user_sgpr_queue_ptr 0
		.amdhsa_user_sgpr_kernarg_segment_ptr 1
		.amdhsa_user_sgpr_dispatch_id 0
		.amdhsa_user_sgpr_private_segment_size 0
		.amdhsa_wavefront_size32 1
		.amdhsa_uses_dynamic_stack 0
		.amdhsa_enable_private_segment 0
		.amdhsa_system_sgpr_workgroup_id_x 1
		.amdhsa_system_sgpr_workgroup_id_y 1
		.amdhsa_system_sgpr_workgroup_id_z 1
		.amdhsa_system_sgpr_workgroup_info 0
		.amdhsa_system_vgpr_workitem_id 1
		.amdhsa_next_free_vgpr 46
		.amdhsa_next_free_sgpr 18
		.amdhsa_reserve_vcc 1
		.amdhsa_float_round_mode_32 0
		.amdhsa_float_round_mode_16_64 0
		.amdhsa_float_denorm_mode_32 3
		.amdhsa_float_denorm_mode_16_64 3
		.amdhsa_dx10_clamp 1
		.amdhsa_ieee_mode 1
		.amdhsa_fp16_overflow 0
		.amdhsa_workgroup_processor_mode 1
		.amdhsa_memory_ordered 1
		.amdhsa_forward_progress 0
		.amdhsa_shared_vgpr_count 0
		.amdhsa_exception_fp_ieee_invalid_op 0
		.amdhsa_exception_fp_denorm_src 0
		.amdhsa_exception_fp_ieee_div_zero 0
		.amdhsa_exception_fp_ieee_overflow 0
		.amdhsa_exception_fp_ieee_underflow 0
		.amdhsa_exception_fp_ieee_inexact 0
		.amdhsa_exception_int_div_zero 0
	.end_amdhsa_kernel
	.section	.text._ZL37rocblas_syrkx_herkx_restricted_kernelIifLi16ELi32ELi8ELb0ELb0ELc84ELc76EKPKfKPfEviT_T0_PT8_S5_lS8_S5_lS6_PT9_S5_li,"axG",@progbits,_ZL37rocblas_syrkx_herkx_restricted_kernelIifLi16ELi32ELi8ELb0ELb0ELc84ELc76EKPKfKPfEviT_T0_PT8_S5_lS8_S5_lS6_PT9_S5_li,comdat
.Lfunc_end494:
	.size	_ZL37rocblas_syrkx_herkx_restricted_kernelIifLi16ELi32ELi8ELb0ELb0ELc84ELc76EKPKfKPfEviT_T0_PT8_S5_lS8_S5_lS6_PT9_S5_li, .Lfunc_end494-_ZL37rocblas_syrkx_herkx_restricted_kernelIifLi16ELi32ELi8ELb0ELb0ELc84ELc76EKPKfKPfEviT_T0_PT8_S5_lS8_S5_lS6_PT9_S5_li
                                        ; -- End function
	.section	.AMDGPU.csdata,"",@progbits
; Kernel info:
; codeLenInByte = 1232
; NumSgprs: 20
; NumVgprs: 46
; ScratchSize: 0
; MemoryBound: 0
; FloatMode: 240
; IeeeMode: 1
; LDSByteSize: 2048 bytes/workgroup (compile time only)
; SGPRBlocks: 2
; VGPRBlocks: 5
; NumSGPRsForWavesPerEU: 20
; NumVGPRsForWavesPerEU: 46
; Occupancy: 16
; WaveLimiterHint : 1
; COMPUTE_PGM_RSRC2:SCRATCH_EN: 0
; COMPUTE_PGM_RSRC2:USER_SGPR: 13
; COMPUTE_PGM_RSRC2:TRAP_HANDLER: 0
; COMPUTE_PGM_RSRC2:TGID_X_EN: 1
; COMPUTE_PGM_RSRC2:TGID_Y_EN: 1
; COMPUTE_PGM_RSRC2:TGID_Z_EN: 1
; COMPUTE_PGM_RSRC2:TIDIG_COMP_CNT: 1
	.section	.text._ZL37rocblas_syrkx_herkx_restricted_kernelIifLi16ELi32ELi8ELb0ELb0ELc67ELc76EKPKfKPfEviT_T0_PT8_S5_lS8_S5_lS6_PT9_S5_li,"axG",@progbits,_ZL37rocblas_syrkx_herkx_restricted_kernelIifLi16ELi32ELi8ELb0ELb0ELc67ELc76EKPKfKPfEviT_T0_PT8_S5_lS8_S5_lS6_PT9_S5_li,comdat
	.globl	_ZL37rocblas_syrkx_herkx_restricted_kernelIifLi16ELi32ELi8ELb0ELb0ELc67ELc76EKPKfKPfEviT_T0_PT8_S5_lS8_S5_lS6_PT9_S5_li ; -- Begin function _ZL37rocblas_syrkx_herkx_restricted_kernelIifLi16ELi32ELi8ELb0ELb0ELc67ELc76EKPKfKPfEviT_T0_PT8_S5_lS8_S5_lS6_PT9_S5_li
	.p2align	8
	.type	_ZL37rocblas_syrkx_herkx_restricted_kernelIifLi16ELi32ELi8ELb0ELb0ELc67ELc76EKPKfKPfEviT_T0_PT8_S5_lS8_S5_lS6_PT9_S5_li,@function
_ZL37rocblas_syrkx_herkx_restricted_kernelIifLi16ELi32ELi8ELb0ELb0ELc67ELc76EKPKfKPfEviT_T0_PT8_S5_lS8_S5_lS6_PT9_S5_li: ; @_ZL37rocblas_syrkx_herkx_restricted_kernelIifLi16ELi32ELi8ELb0ELb0ELc67ELc76EKPKfKPfEviT_T0_PT8_S5_lS8_S5_lS6_PT9_S5_li
; %bb.0:
	s_clause 0x1
	s_load_b64 s[2:3], s[0:1], 0x48
	s_load_b128 s[4:7], s[0:1], 0x0
	s_mov_b32 s8, s15
	s_mov_b32 s9, 0
	v_dual_mov_b32 v9, 0 :: v_dual_and_b32 v6, 0x3ff, v0
	s_lshl_b64 s[10:11], s[8:9], 3
	v_bfe_u32 v7, v0, 10, 10
	v_dual_mov_b32 v8, 0 :: v_dual_mov_b32 v1, 0
	v_mov_b32_e32 v0, 0
	s_waitcnt lgkmcnt(0)
	s_add_u32 s2, s2, s10
	s_addc_u32 s3, s3, s11
	s_lshl_b32 s7, s13, 5
	s_load_b64 s[2:3], s[2:3], 0x0
	s_lshl_b32 s8, s14, 5
	s_cmp_lt_i32 s5, 1
	s_cbranch_scc1 .LBB495_3
; %bb.1:
	s_clause 0x3
	s_load_b64 s[12:13], s[0:1], 0x10
	s_load_b64 s[14:15], s[0:1], 0x28
	s_load_b32 s16, s[0:1], 0x18
	s_load_b32 s17, s[0:1], 0x30
	v_lshl_add_u32 v2, v7, 4, v6
	v_dual_mov_b32 v1, 0 :: v_dual_and_b32 v0, 7, v6
	v_lshlrev_b32_e32 v10, 2, v6
	s_delay_alu instid0(VALU_DEP_3) | instskip(SKIP_3) | instid1(VALU_DEP_4)
	v_and_b32_e32 v9, 31, v2
	v_lshrrev_b32_e32 v8, 3, v2
	v_lshrrev_b32_e32 v2, 5, v2
	v_mov_b32_e32 v3, v1
	v_add_nc_u32_e32 v11, s7, v9
	s_delay_alu instid0(VALU_DEP_4)
	v_add_nc_u32_e32 v12, s8, v8
	s_waitcnt lgkmcnt(0)
	s_add_u32 s12, s12, s10
	s_addc_u32 s13, s13, s11
	s_add_u32 s10, s14, s10
	s_load_b64 s[12:13], s[12:13], 0x0
	s_addc_u32 s11, s15, s11
	v_mad_i64_i32 v[4:5], null, s16, v11, v[2:3]
	s_load_b64 s[10:11], s[10:11], 0x0
	v_lshlrev_b32_e32 v3, 2, v0
	v_mad_i64_i32 v[14:15], null, s17, v12, v[0:1]
	v_dual_mov_b32 v0, v1 :: v_dual_lshlrev_b32 v9, 2, v9
	s_delay_alu instid0(VALU_DEP_3)
	v_lshl_or_b32 v13, v8, 5, v3
	v_lshlrev_b64 v[3:4], 2, v[4:5]
	v_lshl_add_u32 v11, v7, 5, 0x400
	v_mov_b32_e32 v8, v1
	v_lshlrev_b64 v[14:15], 2, v[14:15]
	v_lshl_or_b32 v12, v2, 7, v9
	v_mov_b32_e32 v9, v1
	v_add_nc_u32_e32 v13, 0x400, v13
	s_waitcnt lgkmcnt(0)
	v_add_co_u32 v2, vcc_lo, s12, v3
	v_add_co_ci_u32_e32 v3, vcc_lo, s13, v4, vcc_lo
	v_add_co_u32 v4, vcc_lo, s10, v14
	v_add_co_ci_u32_e32 v5, vcc_lo, s11, v15, vcc_lo
.LBB495_2:                              ; =>This Inner Loop Header: Depth=1
	global_load_b32 v14, v[2:3], off
	global_load_b32 v15, v[4:5], off
	v_add_co_u32 v4, vcc_lo, v4, 32
	v_add_co_ci_u32_e32 v5, vcc_lo, 0, v5, vcc_lo
	v_add_co_u32 v2, vcc_lo, v2, 32
	v_add_co_ci_u32_e32 v3, vcc_lo, 0, v3, vcc_lo
	s_add_i32 s9, s9, 8
	s_waitcnt vmcnt(1)
	ds_store_b32 v12, v14
	s_waitcnt vmcnt(0)
	ds_store_b32 v13, v15
	s_waitcnt lgkmcnt(0)
	s_barrier
	buffer_gl0_inv
	ds_load_2addr_b32 v[30:31], v10 offset1:16
	ds_load_b128 v[14:17], v11
	ds_load_b128 v[18:21], v11 offset:512
	ds_load_2addr_b32 v[32:33], v10 offset0:32 offset1:48
	ds_load_2addr_b32 v[34:35], v10 offset0:64 offset1:80
	ds_load_b128 v[22:25], v11 offset:16
	ds_load_2addr_b32 v[36:37], v10 offset0:96 offset1:112
	ds_load_2addr_b32 v[38:39], v10 offset0:128 offset1:144
	;; [unrolled: 3-line block ×3, first 2 shown]
	ds_load_2addr_b32 v[44:45], v10 offset0:224 offset1:240
	s_cmp_ge_i32 s9, s5
	s_waitcnt lgkmcnt(0)
	s_barrier
	buffer_gl0_inv
	v_fmac_f32_e32 v8, v31, v14
	v_fmac_f32_e32 v9, v30, v14
	;; [unrolled: 1-line block ×4, first 2 shown]
	s_delay_alu instid0(VALU_DEP_4) | instskip(NEXT) | instid1(VALU_DEP_4)
	v_fmac_f32_e32 v8, v33, v15
	v_fmac_f32_e32 v9, v32, v15
	s_delay_alu instid0(VALU_DEP_4) | instskip(NEXT) | instid1(VALU_DEP_4)
	v_fmac_f32_e32 v1, v33, v19
	v_fmac_f32_e32 v0, v32, v19
	;; [unrolled: 3-line block ×14, first 2 shown]
	s_cbranch_scc0 .LBB495_2
.LBB495_3:
	s_clause 0x1
	s_load_b32 s9, s[0:1], 0x50
	s_load_b32 s5, s[0:1], 0x40
	v_add_nc_u32_e32 v7, s8, v7
	v_add_nc_u32_e32 v2, s7, v6
	s_delay_alu instid0(VALU_DEP_1) | instskip(SKIP_1) | instid1(VALU_DEP_2)
	v_cmp_le_i32_e64 s0, v7, v2
	v_cmp_gt_i32_e32 vcc_lo, s4, v2
	s_and_b32 s0, s0, vcc_lo
	s_waitcnt lgkmcnt(0)
	v_mad_i64_i32 v[3:4], null, v7, s9, 0
	s_delay_alu instid0(VALU_DEP_1) | instskip(NEXT) | instid1(VALU_DEP_1)
	v_lshlrev_b64 v[3:4], 2, v[3:4]
	v_add_co_u32 v6, s1, s2, v3
	s_delay_alu instid0(VALU_DEP_1)
	v_add_co_ci_u32_e64 v10, s1, s3, v4, s1
	s_and_saveexec_b32 s1, s0
	s_cbranch_execz .LBB495_5
; %bb.4:
	v_ashrrev_i32_e32 v3, 31, v2
	s_delay_alu instid0(VALU_DEP_1) | instskip(NEXT) | instid1(VALU_DEP_1)
	v_lshlrev_b64 v[3:4], 2, v[2:3]
	v_add_co_u32 v3, s0, v6, v3
	s_delay_alu instid0(VALU_DEP_1) | instskip(SKIP_3) | instid1(VALU_DEP_1)
	v_add_co_ci_u32_e64 v4, s0, v10, v4, s0
	global_load_b32 v5, v[3:4], off
	s_waitcnt vmcnt(0)
	v_mul_f32_e32 v5, s5, v5
	v_fmac_f32_e32 v5, s6, v9
	global_store_b32 v[3:4], v5, off
.LBB495_5:
	s_or_b32 exec_lo, exec_lo, s1
	v_add_nc_u32_e32 v4, 16, v2
	s_delay_alu instid0(VALU_DEP_1) | instskip(SKIP_1) | instid1(VALU_DEP_1)
	v_cmp_le_i32_e64 s1, v7, v4
	v_cmp_gt_i32_e64 s0, s4, v4
	s_and_b32 s1, s1, s0
	s_delay_alu instid0(SALU_CYCLE_1)
	s_and_saveexec_b32 s4, s1
	s_cbranch_execz .LBB495_7
; %bb.6:
	v_ashrrev_i32_e32 v5, 31, v4
	s_delay_alu instid0(VALU_DEP_1) | instskip(NEXT) | instid1(VALU_DEP_1)
	v_lshlrev_b64 v[11:12], 2, v[4:5]
	v_add_co_u32 v5, s1, v6, v11
	s_delay_alu instid0(VALU_DEP_1) | instskip(SKIP_3) | instid1(VALU_DEP_1)
	v_add_co_ci_u32_e64 v6, s1, v10, v12, s1
	global_load_b32 v3, v[5:6], off
	s_waitcnt vmcnt(0)
	v_mul_f32_e32 v3, s5, v3
	v_fmac_f32_e32 v3, s6, v8
	global_store_b32 v[5:6], v3, off
.LBB495_7:
	s_or_b32 exec_lo, exec_lo, s4
	v_add_nc_u32_e32 v5, 16, v7
	s_delay_alu instid0(VALU_DEP_1) | instskip(SKIP_1) | instid1(VALU_DEP_2)
	v_mad_i64_i32 v[6:7], null, v5, s9, 0
	v_cmp_le_i32_e64 s1, v5, v2
	v_lshlrev_b64 v[6:7], 2, v[6:7]
	s_delay_alu instid0(VALU_DEP_1) | instskip(NEXT) | instid1(VALU_DEP_1)
	v_add_co_u32 v6, s2, s2, v6
	v_add_co_ci_u32_e64 v7, s2, s3, v7, s2
	s_delay_alu instid0(VALU_DEP_4) | instskip(NEXT) | instid1(SALU_CYCLE_1)
	s_and_b32 s2, s1, vcc_lo
	s_and_saveexec_b32 s1, s2
	s_cbranch_execz .LBB495_9
; %bb.8:
	v_ashrrev_i32_e32 v3, 31, v2
	s_delay_alu instid0(VALU_DEP_1) | instskip(NEXT) | instid1(VALU_DEP_1)
	v_lshlrev_b64 v[2:3], 2, v[2:3]
	v_add_co_u32 v2, vcc_lo, v6, v2
	s_delay_alu instid0(VALU_DEP_2) | instskip(SKIP_3) | instid1(VALU_DEP_1)
	v_add_co_ci_u32_e32 v3, vcc_lo, v7, v3, vcc_lo
	global_load_b32 v8, v[2:3], off
	s_waitcnt vmcnt(0)
	v_mul_f32_e32 v8, s5, v8
	v_fmac_f32_e32 v8, s6, v0
	global_store_b32 v[2:3], v8, off
.LBB495_9:
	s_or_b32 exec_lo, exec_lo, s1
	v_cmp_le_i32_e32 vcc_lo, v5, v4
	s_and_b32 s0, vcc_lo, s0
	s_delay_alu instid0(SALU_CYCLE_1)
	s_and_saveexec_b32 s1, s0
	s_cbranch_execz .LBB495_11
; %bb.10:
	v_ashrrev_i32_e32 v5, 31, v4
	s_delay_alu instid0(VALU_DEP_1) | instskip(NEXT) | instid1(VALU_DEP_1)
	v_lshlrev_b64 v[2:3], 2, v[4:5]
	v_add_co_u32 v2, vcc_lo, v6, v2
	s_delay_alu instid0(VALU_DEP_2) | instskip(SKIP_3) | instid1(VALU_DEP_1)
	v_add_co_ci_u32_e32 v3, vcc_lo, v7, v3, vcc_lo
	global_load_b32 v0, v[2:3], off
	s_waitcnt vmcnt(0)
	v_mul_f32_e32 v0, s5, v0
	v_fmac_f32_e32 v0, s6, v1
	global_store_b32 v[2:3], v0, off
.LBB495_11:
	s_nop 0
	s_sendmsg sendmsg(MSG_DEALLOC_VGPRS)
	s_endpgm
	.section	.rodata,"a",@progbits
	.p2align	6, 0x0
	.amdhsa_kernel _ZL37rocblas_syrkx_herkx_restricted_kernelIifLi16ELi32ELi8ELb0ELb0ELc67ELc76EKPKfKPfEviT_T0_PT8_S5_lS8_S5_lS6_PT9_S5_li
		.amdhsa_group_segment_fixed_size 2048
		.amdhsa_private_segment_fixed_size 0
		.amdhsa_kernarg_size 100
		.amdhsa_user_sgpr_count 13
		.amdhsa_user_sgpr_dispatch_ptr 0
		.amdhsa_user_sgpr_queue_ptr 0
		.amdhsa_user_sgpr_kernarg_segment_ptr 1
		.amdhsa_user_sgpr_dispatch_id 0
		.amdhsa_user_sgpr_private_segment_size 0
		.amdhsa_wavefront_size32 1
		.amdhsa_uses_dynamic_stack 0
		.amdhsa_enable_private_segment 0
		.amdhsa_system_sgpr_workgroup_id_x 1
		.amdhsa_system_sgpr_workgroup_id_y 1
		.amdhsa_system_sgpr_workgroup_id_z 1
		.amdhsa_system_sgpr_workgroup_info 0
		.amdhsa_system_vgpr_workitem_id 1
		.amdhsa_next_free_vgpr 46
		.amdhsa_next_free_sgpr 18
		.amdhsa_reserve_vcc 1
		.amdhsa_float_round_mode_32 0
		.amdhsa_float_round_mode_16_64 0
		.amdhsa_float_denorm_mode_32 3
		.amdhsa_float_denorm_mode_16_64 3
		.amdhsa_dx10_clamp 1
		.amdhsa_ieee_mode 1
		.amdhsa_fp16_overflow 0
		.amdhsa_workgroup_processor_mode 1
		.amdhsa_memory_ordered 1
		.amdhsa_forward_progress 0
		.amdhsa_shared_vgpr_count 0
		.amdhsa_exception_fp_ieee_invalid_op 0
		.amdhsa_exception_fp_denorm_src 0
		.amdhsa_exception_fp_ieee_div_zero 0
		.amdhsa_exception_fp_ieee_overflow 0
		.amdhsa_exception_fp_ieee_underflow 0
		.amdhsa_exception_fp_ieee_inexact 0
		.amdhsa_exception_int_div_zero 0
	.end_amdhsa_kernel
	.section	.text._ZL37rocblas_syrkx_herkx_restricted_kernelIifLi16ELi32ELi8ELb0ELb0ELc67ELc76EKPKfKPfEviT_T0_PT8_S5_lS8_S5_lS6_PT9_S5_li,"axG",@progbits,_ZL37rocblas_syrkx_herkx_restricted_kernelIifLi16ELi32ELi8ELb0ELb0ELc67ELc76EKPKfKPfEviT_T0_PT8_S5_lS8_S5_lS6_PT9_S5_li,comdat
.Lfunc_end495:
	.size	_ZL37rocblas_syrkx_herkx_restricted_kernelIifLi16ELi32ELi8ELb0ELb0ELc67ELc76EKPKfKPfEviT_T0_PT8_S5_lS8_S5_lS6_PT9_S5_li, .Lfunc_end495-_ZL37rocblas_syrkx_herkx_restricted_kernelIifLi16ELi32ELi8ELb0ELb0ELc67ELc76EKPKfKPfEviT_T0_PT8_S5_lS8_S5_lS6_PT9_S5_li
                                        ; -- End function
	.section	.AMDGPU.csdata,"",@progbits
; Kernel info:
; codeLenInByte = 1232
; NumSgprs: 20
; NumVgprs: 46
; ScratchSize: 0
; MemoryBound: 0
; FloatMode: 240
; IeeeMode: 1
; LDSByteSize: 2048 bytes/workgroup (compile time only)
; SGPRBlocks: 2
; VGPRBlocks: 5
; NumSGPRsForWavesPerEU: 20
; NumVGPRsForWavesPerEU: 46
; Occupancy: 16
; WaveLimiterHint : 1
; COMPUTE_PGM_RSRC2:SCRATCH_EN: 0
; COMPUTE_PGM_RSRC2:USER_SGPR: 13
; COMPUTE_PGM_RSRC2:TRAP_HANDLER: 0
; COMPUTE_PGM_RSRC2:TGID_X_EN: 1
; COMPUTE_PGM_RSRC2:TGID_Y_EN: 1
; COMPUTE_PGM_RSRC2:TGID_Z_EN: 1
; COMPUTE_PGM_RSRC2:TIDIG_COMP_CNT: 1
	.section	.text._ZL37rocblas_syrkx_herkx_restricted_kernelIifLi16ELi32ELi8ELb0ELb0ELc78ELc76EKPKfKPfEviT_T0_PT8_S5_lS8_S5_lS6_PT9_S5_li,"axG",@progbits,_ZL37rocblas_syrkx_herkx_restricted_kernelIifLi16ELi32ELi8ELb0ELb0ELc78ELc76EKPKfKPfEviT_T0_PT8_S5_lS8_S5_lS6_PT9_S5_li,comdat
	.globl	_ZL37rocblas_syrkx_herkx_restricted_kernelIifLi16ELi32ELi8ELb0ELb0ELc78ELc76EKPKfKPfEviT_T0_PT8_S5_lS8_S5_lS6_PT9_S5_li ; -- Begin function _ZL37rocblas_syrkx_herkx_restricted_kernelIifLi16ELi32ELi8ELb0ELb0ELc78ELc76EKPKfKPfEviT_T0_PT8_S5_lS8_S5_lS6_PT9_S5_li
	.p2align	8
	.type	_ZL37rocblas_syrkx_herkx_restricted_kernelIifLi16ELi32ELi8ELb0ELb0ELc78ELc76EKPKfKPfEviT_T0_PT8_S5_lS8_S5_lS6_PT9_S5_li,@function
_ZL37rocblas_syrkx_herkx_restricted_kernelIifLi16ELi32ELi8ELb0ELb0ELc78ELc76EKPKfKPfEviT_T0_PT8_S5_lS8_S5_lS6_PT9_S5_li: ; @_ZL37rocblas_syrkx_herkx_restricted_kernelIifLi16ELi32ELi8ELb0ELb0ELc78ELc76EKPKfKPfEviT_T0_PT8_S5_lS8_S5_lS6_PT9_S5_li
; %bb.0:
	s_clause 0x1
	s_load_b64 s[2:3], s[0:1], 0x48
	s_load_b128 s[4:7], s[0:1], 0x0
	s_mov_b32 s8, s15
	s_mov_b32 s9, 0
	v_dual_mov_b32 v8, 0 :: v_dual_and_b32 v5, 0x3ff, v0
	s_lshl_b64 s[10:11], s[8:9], 3
	v_bfe_u32 v7, v0, 10, 10
	v_dual_mov_b32 v9, 0 :: v_dual_mov_b32 v6, 0
	v_mov_b32_e32 v4, 0
	s_waitcnt lgkmcnt(0)
	s_add_u32 s2, s2, s10
	s_addc_u32 s3, s3, s11
	s_lshl_b32 s7, s13, 5
	s_load_b64 s[2:3], s[2:3], 0x0
	s_lshl_b32 s8, s14, 5
	s_cmp_lt_i32 s5, 1
	s_cbranch_scc1 .LBB496_3
; %bb.1:
	s_clause 0x3
	s_load_b32 s12, s[0:1], 0x18
	s_load_b32 s14, s[0:1], 0x30
	s_load_b64 s[16:17], s[0:1], 0x10
	s_load_b64 s[18:19], s[0:1], 0x28
	v_lshl_add_u32 v0, v7, 4, v5
	v_and_b32_e32 v6, 7, v5
	v_lshlrev_b32_e32 v10, 2, v5
	v_lshl_add_u32 v11, v7, 5, 0x400
	s_delay_alu instid0(VALU_DEP_4) | instskip(SKIP_2) | instid1(VALU_DEP_3)
	v_dual_mov_b32 v4, 0 :: v_dual_and_b32 v13, 31, v0
	v_lshrrev_b32_e32 v12, 3, v0
	v_lshrrev_b32_e32 v14, 5, v0
	v_add_nc_u32_e32 v2, s7, v13
	s_delay_alu instid0(VALU_DEP_3) | instskip(SKIP_1) | instid1(VALU_DEP_3)
	v_add_nc_u32_e32 v0, s8, v12
	v_lshlrev_b32_e32 v13, 2, v13
	v_ashrrev_i32_e32 v3, 31, v2
	s_waitcnt lgkmcnt(0)
	s_ashr_i32 s13, s12, 31
	s_ashr_i32 s15, s14, 31
	s_add_u32 s16, s16, s10
	s_addc_u32 s17, s17, s11
	s_add_u32 s10, s18, s10
	s_load_b64 s[16:17], s[16:17], 0x0
	s_addc_u32 s11, s19, s11
	v_ashrrev_i32_e32 v1, 31, v0
	s_load_b64 s[10:11], s[10:11], 0x0
	v_mad_i64_i32 v[8:9], null, s12, v14, v[2:3]
	s_lshl_b64 s[12:13], s[12:13], 5
	s_delay_alu instid0(VALU_DEP_2) | instskip(NEXT) | instid1(VALU_DEP_2)
	v_mad_i64_i32 v[2:3], null, s14, v6, v[0:1]
	v_lshlrev_b64 v[0:1], 2, v[8:9]
	v_dual_mov_b32 v8, 0 :: v_dual_mov_b32 v9, 0
	v_dual_mov_b32 v6, 0 :: v_dual_lshlrev_b32 v15, 2, v6
	s_delay_alu instid0(VALU_DEP_4) | instskip(NEXT) | instid1(VALU_DEP_2)
	v_lshlrev_b64 v[2:3], 2, v[2:3]
	v_lshl_or_b32 v15, v12, 5, v15
	s_waitcnt lgkmcnt(0)
	v_add_co_u32 v0, vcc_lo, s16, v0
	v_add_co_ci_u32_e32 v1, vcc_lo, s17, v1, vcc_lo
	s_delay_alu instid0(VALU_DEP_4)
	v_add_co_u32 v2, vcc_lo, s10, v2
	v_lshl_or_b32 v12, v14, 7, v13
	v_add_nc_u32_e32 v13, 0x400, v15
	v_add_co_ci_u32_e32 v3, vcc_lo, s11, v3, vcc_lo
	s_lshl_b64 s[10:11], s[14:15], 5
.LBB496_2:                              ; =>This Inner Loop Header: Depth=1
	global_load_b32 v14, v[0:1], off
	global_load_b32 v15, v[2:3], off
	v_add_co_u32 v2, vcc_lo, v2, s10
	v_add_co_ci_u32_e32 v3, vcc_lo, s11, v3, vcc_lo
	v_add_co_u32 v0, vcc_lo, v0, s12
	v_add_co_ci_u32_e32 v1, vcc_lo, s13, v1, vcc_lo
	s_add_i32 s9, s9, 8
	s_waitcnt vmcnt(1)
	ds_store_b32 v12, v14
	s_waitcnt vmcnt(0)
	ds_store_b32 v13, v15
	s_waitcnt lgkmcnt(0)
	s_barrier
	buffer_gl0_inv
	ds_load_2addr_b32 v[30:31], v10 offset1:16
	ds_load_b128 v[14:17], v11
	ds_load_b128 v[18:21], v11 offset:512
	ds_load_2addr_b32 v[32:33], v10 offset0:32 offset1:48
	ds_load_2addr_b32 v[34:35], v10 offset0:64 offset1:80
	ds_load_b128 v[22:25], v11 offset:16
	ds_load_2addr_b32 v[36:37], v10 offset0:96 offset1:112
	ds_load_2addr_b32 v[38:39], v10 offset0:128 offset1:144
	;; [unrolled: 3-line block ×3, first 2 shown]
	ds_load_2addr_b32 v[44:45], v10 offset0:224 offset1:240
	s_cmp_ge_i32 s9, s5
	s_waitcnt lgkmcnt(0)
	s_barrier
	buffer_gl0_inv
	v_fmac_f32_e32 v8, v31, v14
	s_delay_alu instid0(VALU_DEP_1) | instskip(NEXT) | instid1(VALU_DEP_1)
	v_dual_fmac_f32 v9, v30, v14 :: v_dual_fmac_f32 v8, v33, v15
	v_dual_fmac_f32 v9, v32, v15 :: v_dual_fmac_f32 v4, v31, v18
	s_delay_alu instid0(VALU_DEP_1) | instskip(NEXT) | instid1(VALU_DEP_1)
	v_fmac_f32_e32 v9, v34, v16
	v_dual_fmac_f32 v6, v30, v18 :: v_dual_fmac_f32 v9, v36, v17
	s_delay_alu instid0(VALU_DEP_1) | instskip(NEXT) | instid1(VALU_DEP_1)
	v_dual_fmac_f32 v6, v32, v19 :: v_dual_fmac_f32 v9, v38, v22
	v_dual_fmac_f32 v8, v35, v16 :: v_dual_fmac_f32 v9, v40, v23
	v_fmac_f32_e32 v4, v33, v19
	s_delay_alu instid0(VALU_DEP_2) | instskip(NEXT) | instid1(VALU_DEP_4)
	v_dual_fmac_f32 v8, v37, v17 :: v_dual_fmac_f32 v9, v42, v24
	v_fmac_f32_e32 v6, v34, v20
	s_delay_alu instid0(VALU_DEP_3) | instskip(NEXT) | instid1(VALU_DEP_3)
	v_fmac_f32_e32 v4, v35, v20
	v_dual_fmac_f32 v8, v39, v22 :: v_dual_fmac_f32 v9, v44, v25
	s_delay_alu instid0(VALU_DEP_3) | instskip(NEXT) | instid1(VALU_DEP_3)
	v_fmac_f32_e32 v6, v36, v21
	v_fmac_f32_e32 v4, v37, v21
	s_delay_alu instid0(VALU_DEP_3) | instskip(NEXT) | instid1(VALU_DEP_3)
	v_fmac_f32_e32 v8, v41, v23
	v_fmac_f32_e32 v6, v38, v26
	;; [unrolled: 3-line block ×5, first 2 shown]
	s_delay_alu instid0(VALU_DEP_3) | instskip(NEXT) | instid1(VALU_DEP_2)
	v_fmac_f32_e32 v4, v43, v28
	v_fmac_f32_e32 v6, v44, v29
	s_delay_alu instid0(VALU_DEP_2)
	v_fmac_f32_e32 v4, v45, v29
	s_cbranch_scc0 .LBB496_2
.LBB496_3:
	s_clause 0x1
	s_load_b32 s9, s[0:1], 0x50
	s_load_b32 s5, s[0:1], 0x40
	v_add_nc_u32_e32 v7, s8, v7
	v_add_nc_u32_e32 v0, s7, v5
	s_delay_alu instid0(VALU_DEP_1) | instskip(SKIP_1) | instid1(VALU_DEP_2)
	v_cmp_le_i32_e64 s0, v7, v0
	v_cmp_gt_i32_e32 vcc_lo, s4, v0
	s_and_b32 s0, s0, vcc_lo
	s_waitcnt lgkmcnt(0)
	v_mad_i64_i32 v[1:2], null, v7, s9, 0
	s_delay_alu instid0(VALU_DEP_1) | instskip(NEXT) | instid1(VALU_DEP_1)
	v_lshlrev_b64 v[1:2], 2, v[1:2]
	v_add_co_u32 v5, s1, s2, v1
	s_delay_alu instid0(VALU_DEP_1)
	v_add_co_ci_u32_e64 v10, s1, s3, v2, s1
	s_and_saveexec_b32 s1, s0
	s_cbranch_execz .LBB496_5
; %bb.4:
	v_ashrrev_i32_e32 v1, 31, v0
	s_delay_alu instid0(VALU_DEP_1) | instskip(NEXT) | instid1(VALU_DEP_1)
	v_lshlrev_b64 v[1:2], 2, v[0:1]
	v_add_co_u32 v1, s0, v5, v1
	s_delay_alu instid0(VALU_DEP_1) | instskip(SKIP_3) | instid1(VALU_DEP_1)
	v_add_co_ci_u32_e64 v2, s0, v10, v2, s0
	global_load_b32 v3, v[1:2], off
	s_waitcnt vmcnt(0)
	v_mul_f32_e32 v3, s5, v3
	v_fmac_f32_e32 v3, s6, v9
	global_store_b32 v[1:2], v3, off
.LBB496_5:
	s_or_b32 exec_lo, exec_lo, s1
	v_add_nc_u32_e32 v2, 16, v0
	s_delay_alu instid0(VALU_DEP_1) | instskip(SKIP_1) | instid1(VALU_DEP_1)
	v_cmp_le_i32_e64 s1, v7, v2
	v_cmp_gt_i32_e64 s0, s4, v2
	s_and_b32 s1, s1, s0
	s_delay_alu instid0(SALU_CYCLE_1)
	s_and_saveexec_b32 s4, s1
	s_cbranch_execz .LBB496_7
; %bb.6:
	v_ashrrev_i32_e32 v3, 31, v2
	s_delay_alu instid0(VALU_DEP_1) | instskip(NEXT) | instid1(VALU_DEP_1)
	v_lshlrev_b64 v[11:12], 2, v[2:3]
	v_add_co_u32 v9, s1, v5, v11
	s_delay_alu instid0(VALU_DEP_1) | instskip(SKIP_3) | instid1(VALU_DEP_1)
	v_add_co_ci_u32_e64 v10, s1, v10, v12, s1
	global_load_b32 v1, v[9:10], off
	s_waitcnt vmcnt(0)
	v_mul_f32_e32 v1, s5, v1
	v_fmac_f32_e32 v1, s6, v8
	global_store_b32 v[9:10], v1, off
.LBB496_7:
	s_or_b32 exec_lo, exec_lo, s4
	v_add_nc_u32_e32 v3, 16, v7
	s_delay_alu instid0(VALU_DEP_1) | instskip(SKIP_1) | instid1(VALU_DEP_2)
	v_mad_i64_i32 v[7:8], null, v3, s9, 0
	v_cmp_le_i32_e64 s1, v3, v0
	v_lshlrev_b64 v[7:8], 2, v[7:8]
	s_delay_alu instid0(VALU_DEP_1) | instskip(NEXT) | instid1(VALU_DEP_1)
	v_add_co_u32 v5, s2, s2, v7
	v_add_co_ci_u32_e64 v7, s2, s3, v8, s2
	s_delay_alu instid0(VALU_DEP_4) | instskip(NEXT) | instid1(SALU_CYCLE_1)
	s_and_b32 s2, s1, vcc_lo
	s_and_saveexec_b32 s1, s2
	s_cbranch_execz .LBB496_9
; %bb.8:
	v_ashrrev_i32_e32 v1, 31, v0
	s_delay_alu instid0(VALU_DEP_1) | instskip(NEXT) | instid1(VALU_DEP_1)
	v_lshlrev_b64 v[0:1], 2, v[0:1]
	v_add_co_u32 v0, vcc_lo, v5, v0
	s_delay_alu instid0(VALU_DEP_2) | instskip(SKIP_3) | instid1(VALU_DEP_1)
	v_add_co_ci_u32_e32 v1, vcc_lo, v7, v1, vcc_lo
	global_load_b32 v8, v[0:1], off
	s_waitcnt vmcnt(0)
	v_mul_f32_e32 v8, s5, v8
	v_fmac_f32_e32 v8, s6, v6
	global_store_b32 v[0:1], v8, off
.LBB496_9:
	s_or_b32 exec_lo, exec_lo, s1
	v_cmp_le_i32_e32 vcc_lo, v3, v2
	s_and_b32 s0, vcc_lo, s0
	s_delay_alu instid0(SALU_CYCLE_1)
	s_and_saveexec_b32 s1, s0
	s_cbranch_execz .LBB496_11
; %bb.10:
	v_ashrrev_i32_e32 v3, 31, v2
	s_delay_alu instid0(VALU_DEP_1) | instskip(NEXT) | instid1(VALU_DEP_1)
	v_lshlrev_b64 v[0:1], 2, v[2:3]
	v_add_co_u32 v0, vcc_lo, v5, v0
	s_delay_alu instid0(VALU_DEP_2) | instskip(SKIP_3) | instid1(VALU_DEP_1)
	v_add_co_ci_u32_e32 v1, vcc_lo, v7, v1, vcc_lo
	global_load_b32 v2, v[0:1], off
	s_waitcnt vmcnt(0)
	v_mul_f32_e32 v2, s5, v2
	v_fmac_f32_e32 v2, s6, v4
	global_store_b32 v[0:1], v2, off
.LBB496_11:
	s_nop 0
	s_sendmsg sendmsg(MSG_DEALLOC_VGPRS)
	s_endpgm
	.section	.rodata,"a",@progbits
	.p2align	6, 0x0
	.amdhsa_kernel _ZL37rocblas_syrkx_herkx_restricted_kernelIifLi16ELi32ELi8ELb0ELb0ELc78ELc76EKPKfKPfEviT_T0_PT8_S5_lS8_S5_lS6_PT9_S5_li
		.amdhsa_group_segment_fixed_size 2048
		.amdhsa_private_segment_fixed_size 0
		.amdhsa_kernarg_size 100
		.amdhsa_user_sgpr_count 13
		.amdhsa_user_sgpr_dispatch_ptr 0
		.amdhsa_user_sgpr_queue_ptr 0
		.amdhsa_user_sgpr_kernarg_segment_ptr 1
		.amdhsa_user_sgpr_dispatch_id 0
		.amdhsa_user_sgpr_private_segment_size 0
		.amdhsa_wavefront_size32 1
		.amdhsa_uses_dynamic_stack 0
		.amdhsa_enable_private_segment 0
		.amdhsa_system_sgpr_workgroup_id_x 1
		.amdhsa_system_sgpr_workgroup_id_y 1
		.amdhsa_system_sgpr_workgroup_id_z 1
		.amdhsa_system_sgpr_workgroup_info 0
		.amdhsa_system_vgpr_workitem_id 1
		.amdhsa_next_free_vgpr 46
		.amdhsa_next_free_sgpr 20
		.amdhsa_reserve_vcc 1
		.amdhsa_float_round_mode_32 0
		.amdhsa_float_round_mode_16_64 0
		.amdhsa_float_denorm_mode_32 3
		.amdhsa_float_denorm_mode_16_64 3
		.amdhsa_dx10_clamp 1
		.amdhsa_ieee_mode 1
		.amdhsa_fp16_overflow 0
		.amdhsa_workgroup_processor_mode 1
		.amdhsa_memory_ordered 1
		.amdhsa_forward_progress 0
		.amdhsa_shared_vgpr_count 0
		.amdhsa_exception_fp_ieee_invalid_op 0
		.amdhsa_exception_fp_denorm_src 0
		.amdhsa_exception_fp_ieee_div_zero 0
		.amdhsa_exception_fp_ieee_overflow 0
		.amdhsa_exception_fp_ieee_underflow 0
		.amdhsa_exception_fp_ieee_inexact 0
		.amdhsa_exception_int_div_zero 0
	.end_amdhsa_kernel
	.section	.text._ZL37rocblas_syrkx_herkx_restricted_kernelIifLi16ELi32ELi8ELb0ELb0ELc78ELc76EKPKfKPfEviT_T0_PT8_S5_lS8_S5_lS6_PT9_S5_li,"axG",@progbits,_ZL37rocblas_syrkx_herkx_restricted_kernelIifLi16ELi32ELi8ELb0ELb0ELc78ELc76EKPKfKPfEviT_T0_PT8_S5_lS8_S5_lS6_PT9_S5_li,comdat
.Lfunc_end496:
	.size	_ZL37rocblas_syrkx_herkx_restricted_kernelIifLi16ELi32ELi8ELb0ELb0ELc78ELc76EKPKfKPfEviT_T0_PT8_S5_lS8_S5_lS6_PT9_S5_li, .Lfunc_end496-_ZL37rocblas_syrkx_herkx_restricted_kernelIifLi16ELi32ELi8ELb0ELb0ELc78ELc76EKPKfKPfEviT_T0_PT8_S5_lS8_S5_lS6_PT9_S5_li
                                        ; -- End function
	.section	.AMDGPU.csdata,"",@progbits
; Kernel info:
; codeLenInByte = 1252
; NumSgprs: 22
; NumVgprs: 46
; ScratchSize: 0
; MemoryBound: 0
; FloatMode: 240
; IeeeMode: 1
; LDSByteSize: 2048 bytes/workgroup (compile time only)
; SGPRBlocks: 2
; VGPRBlocks: 5
; NumSGPRsForWavesPerEU: 22
; NumVGPRsForWavesPerEU: 46
; Occupancy: 16
; WaveLimiterHint : 1
; COMPUTE_PGM_RSRC2:SCRATCH_EN: 0
; COMPUTE_PGM_RSRC2:USER_SGPR: 13
; COMPUTE_PGM_RSRC2:TRAP_HANDLER: 0
; COMPUTE_PGM_RSRC2:TGID_X_EN: 1
; COMPUTE_PGM_RSRC2:TGID_Y_EN: 1
; COMPUTE_PGM_RSRC2:TGID_Z_EN: 1
; COMPUTE_PGM_RSRC2:TIDIG_COMP_CNT: 1
	.section	.text._ZL37rocblas_syrkx_herkx_restricted_kernelIifLi16ELi32ELi8ELb0ELb0ELc84ELc85EKPKfKPfEviT_T0_PT8_S5_lS8_S5_lS6_PT9_S5_li,"axG",@progbits,_ZL37rocblas_syrkx_herkx_restricted_kernelIifLi16ELi32ELi8ELb0ELb0ELc84ELc85EKPKfKPfEviT_T0_PT8_S5_lS8_S5_lS6_PT9_S5_li,comdat
	.globl	_ZL37rocblas_syrkx_herkx_restricted_kernelIifLi16ELi32ELi8ELb0ELb0ELc84ELc85EKPKfKPfEviT_T0_PT8_S5_lS8_S5_lS6_PT9_S5_li ; -- Begin function _ZL37rocblas_syrkx_herkx_restricted_kernelIifLi16ELi32ELi8ELb0ELb0ELc84ELc85EKPKfKPfEviT_T0_PT8_S5_lS8_S5_lS6_PT9_S5_li
	.p2align	8
	.type	_ZL37rocblas_syrkx_herkx_restricted_kernelIifLi16ELi32ELi8ELb0ELb0ELc84ELc85EKPKfKPfEviT_T0_PT8_S5_lS8_S5_lS6_PT9_S5_li,@function
_ZL37rocblas_syrkx_herkx_restricted_kernelIifLi16ELi32ELi8ELb0ELb0ELc84ELc85EKPKfKPfEviT_T0_PT8_S5_lS8_S5_lS6_PT9_S5_li: ; @_ZL37rocblas_syrkx_herkx_restricted_kernelIifLi16ELi32ELi8ELb0ELb0ELc84ELc85EKPKfKPfEviT_T0_PT8_S5_lS8_S5_lS6_PT9_S5_li
; %bb.0:
	s_clause 0x1
	s_load_b64 s[2:3], s[0:1], 0x48
	s_load_b128 s[4:7], s[0:1], 0x0
	s_mov_b32 s8, s15
	s_mov_b32 s9, 0
	v_dual_mov_b32 v9, 0 :: v_dual_and_b32 v6, 0x3ff, v0
	s_lshl_b64 s[10:11], s[8:9], 3
	v_bfe_u32 v7, v0, 10, 10
	v_dual_mov_b32 v8, 0 :: v_dual_mov_b32 v1, 0
	v_mov_b32_e32 v0, 0
	s_waitcnt lgkmcnt(0)
	s_add_u32 s2, s2, s10
	s_addc_u32 s3, s3, s11
	s_lshl_b32 s7, s13, 5
	s_load_b64 s[2:3], s[2:3], 0x0
	s_lshl_b32 s8, s14, 5
	s_cmp_lt_i32 s5, 1
	s_cbranch_scc1 .LBB497_3
; %bb.1:
	s_clause 0x3
	s_load_b64 s[12:13], s[0:1], 0x10
	s_load_b64 s[14:15], s[0:1], 0x28
	s_load_b32 s16, s[0:1], 0x18
	s_load_b32 s17, s[0:1], 0x30
	v_lshl_add_u32 v2, v7, 4, v6
	v_dual_mov_b32 v1, 0 :: v_dual_and_b32 v0, 7, v6
	v_lshlrev_b32_e32 v10, 2, v6
	s_delay_alu instid0(VALU_DEP_3) | instskip(SKIP_3) | instid1(VALU_DEP_4)
	v_and_b32_e32 v9, 31, v2
	v_lshrrev_b32_e32 v8, 3, v2
	v_lshrrev_b32_e32 v2, 5, v2
	v_mov_b32_e32 v3, v1
	v_add_nc_u32_e32 v11, s7, v9
	s_delay_alu instid0(VALU_DEP_4)
	v_add_nc_u32_e32 v12, s8, v8
	s_waitcnt lgkmcnt(0)
	s_add_u32 s12, s12, s10
	s_addc_u32 s13, s13, s11
	s_add_u32 s10, s14, s10
	s_load_b64 s[12:13], s[12:13], 0x0
	s_addc_u32 s11, s15, s11
	v_mad_i64_i32 v[4:5], null, s16, v11, v[2:3]
	s_load_b64 s[10:11], s[10:11], 0x0
	v_lshlrev_b32_e32 v3, 2, v0
	v_mad_i64_i32 v[14:15], null, s17, v12, v[0:1]
	v_dual_mov_b32 v0, v1 :: v_dual_lshlrev_b32 v9, 2, v9
	s_delay_alu instid0(VALU_DEP_3)
	v_lshl_or_b32 v13, v8, 5, v3
	v_lshlrev_b64 v[3:4], 2, v[4:5]
	v_lshl_add_u32 v11, v7, 5, 0x400
	v_mov_b32_e32 v8, v1
	v_lshlrev_b64 v[14:15], 2, v[14:15]
	v_lshl_or_b32 v12, v2, 7, v9
	v_mov_b32_e32 v9, v1
	v_add_nc_u32_e32 v13, 0x400, v13
	s_waitcnt lgkmcnt(0)
	v_add_co_u32 v2, vcc_lo, s12, v3
	v_add_co_ci_u32_e32 v3, vcc_lo, s13, v4, vcc_lo
	v_add_co_u32 v4, vcc_lo, s10, v14
	v_add_co_ci_u32_e32 v5, vcc_lo, s11, v15, vcc_lo
.LBB497_2:                              ; =>This Inner Loop Header: Depth=1
	global_load_b32 v14, v[2:3], off
	global_load_b32 v15, v[4:5], off
	v_add_co_u32 v4, vcc_lo, v4, 32
	v_add_co_ci_u32_e32 v5, vcc_lo, 0, v5, vcc_lo
	v_add_co_u32 v2, vcc_lo, v2, 32
	v_add_co_ci_u32_e32 v3, vcc_lo, 0, v3, vcc_lo
	s_add_i32 s9, s9, 8
	s_waitcnt vmcnt(1)
	ds_store_b32 v12, v14
	s_waitcnt vmcnt(0)
	ds_store_b32 v13, v15
	s_waitcnt lgkmcnt(0)
	s_barrier
	buffer_gl0_inv
	ds_load_2addr_b32 v[30:31], v10 offset1:16
	ds_load_b128 v[14:17], v11
	ds_load_b128 v[18:21], v11 offset:512
	ds_load_2addr_b32 v[32:33], v10 offset0:32 offset1:48
	ds_load_2addr_b32 v[34:35], v10 offset0:64 offset1:80
	ds_load_b128 v[22:25], v11 offset:16
	ds_load_2addr_b32 v[36:37], v10 offset0:96 offset1:112
	ds_load_2addr_b32 v[38:39], v10 offset0:128 offset1:144
	;; [unrolled: 3-line block ×3, first 2 shown]
	ds_load_2addr_b32 v[44:45], v10 offset0:224 offset1:240
	s_cmp_ge_i32 s9, s5
	s_waitcnt lgkmcnt(0)
	s_barrier
	buffer_gl0_inv
	v_fmac_f32_e32 v8, v31, v14
	v_fmac_f32_e32 v9, v30, v14
	;; [unrolled: 1-line block ×4, first 2 shown]
	s_delay_alu instid0(VALU_DEP_4) | instskip(NEXT) | instid1(VALU_DEP_4)
	v_fmac_f32_e32 v8, v33, v15
	v_fmac_f32_e32 v9, v32, v15
	s_delay_alu instid0(VALU_DEP_4) | instskip(NEXT) | instid1(VALU_DEP_4)
	v_fmac_f32_e32 v1, v33, v19
	v_fmac_f32_e32 v0, v32, v19
	;; [unrolled: 3-line block ×14, first 2 shown]
	s_cbranch_scc0 .LBB497_2
.LBB497_3:
	s_clause 0x1
	s_load_b32 s9, s[0:1], 0x50
	s_load_b32 s5, s[0:1], 0x40
	v_add_nc_u32_e32 v7, s8, v7
	v_add_nc_u32_e32 v2, s7, v6
	s_delay_alu instid0(VALU_DEP_2) | instskip(NEXT) | instid1(VALU_DEP_2)
	v_cmp_gt_i32_e32 vcc_lo, s4, v7
	v_cmp_le_i32_e64 s0, v2, v7
	s_delay_alu instid0(VALU_DEP_1) | instskip(SKIP_2) | instid1(VALU_DEP_1)
	s_and_b32 s0, vcc_lo, s0
	s_waitcnt lgkmcnt(0)
	v_mad_i64_i32 v[3:4], null, v7, s9, 0
	v_lshlrev_b64 v[3:4], 2, v[3:4]
	s_delay_alu instid0(VALU_DEP_1) | instskip(NEXT) | instid1(VALU_DEP_1)
	v_add_co_u32 v6, s1, s2, v3
	v_add_co_ci_u32_e64 v10, s1, s3, v4, s1
	s_and_saveexec_b32 s1, s0
	s_cbranch_execz .LBB497_5
; %bb.4:
	v_ashrrev_i32_e32 v3, 31, v2
	s_delay_alu instid0(VALU_DEP_1) | instskip(NEXT) | instid1(VALU_DEP_1)
	v_lshlrev_b64 v[3:4], 2, v[2:3]
	v_add_co_u32 v3, s0, v6, v3
	s_delay_alu instid0(VALU_DEP_1) | instskip(SKIP_3) | instid1(VALU_DEP_1)
	v_add_co_ci_u32_e64 v4, s0, v10, v4, s0
	global_load_b32 v5, v[3:4], off
	s_waitcnt vmcnt(0)
	v_mul_f32_e32 v5, s5, v5
	v_fmac_f32_e32 v5, s6, v9
	global_store_b32 v[3:4], v5, off
.LBB497_5:
	s_or_b32 exec_lo, exec_lo, s1
	v_add_nc_u32_e32 v4, 16, v2
	s_delay_alu instid0(VALU_DEP_1) | instskip(NEXT) | instid1(VALU_DEP_1)
	v_cmp_le_i32_e64 s0, v4, v7
	s_and_b32 s1, vcc_lo, s0
	s_delay_alu instid0(SALU_CYCLE_1)
	s_and_saveexec_b32 s0, s1
	s_cbranch_execz .LBB497_7
; %bb.6:
	v_ashrrev_i32_e32 v5, 31, v4
	s_delay_alu instid0(VALU_DEP_1) | instskip(NEXT) | instid1(VALU_DEP_1)
	v_lshlrev_b64 v[11:12], 2, v[4:5]
	v_add_co_u32 v5, vcc_lo, v6, v11
	s_delay_alu instid0(VALU_DEP_2) | instskip(SKIP_3) | instid1(VALU_DEP_1)
	v_add_co_ci_u32_e32 v6, vcc_lo, v10, v12, vcc_lo
	global_load_b32 v3, v[5:6], off
	s_waitcnt vmcnt(0)
	v_mul_f32_e32 v3, s5, v3
	v_fmac_f32_e32 v3, s6, v8
	global_store_b32 v[5:6], v3, off
.LBB497_7:
	s_or_b32 exec_lo, exec_lo, s0
	v_add_nc_u32_e32 v5, 16, v7
	s_delay_alu instid0(VALU_DEP_1) | instskip(SKIP_2) | instid1(VALU_DEP_1)
	v_mad_i64_i32 v[6:7], null, v5, s9, 0
	v_cmp_gt_i32_e32 vcc_lo, s4, v5
	v_cmp_le_i32_e64 s0, v2, v5
	s_and_b32 s0, vcc_lo, s0
	s_delay_alu instid0(VALU_DEP_3) | instskip(NEXT) | instid1(VALU_DEP_1)
	v_lshlrev_b64 v[6:7], 2, v[6:7]
	v_add_co_u32 v6, s1, s2, v6
	s_delay_alu instid0(VALU_DEP_1)
	v_add_co_ci_u32_e64 v7, s1, s3, v7, s1
	s_and_saveexec_b32 s1, s0
	s_cbranch_execz .LBB497_9
; %bb.8:
	v_ashrrev_i32_e32 v3, 31, v2
	s_delay_alu instid0(VALU_DEP_1) | instskip(NEXT) | instid1(VALU_DEP_1)
	v_lshlrev_b64 v[2:3], 2, v[2:3]
	v_add_co_u32 v2, s0, v6, v2
	s_delay_alu instid0(VALU_DEP_1) | instskip(SKIP_3) | instid1(VALU_DEP_1)
	v_add_co_ci_u32_e64 v3, s0, v7, v3, s0
	global_load_b32 v8, v[2:3], off
	s_waitcnt vmcnt(0)
	v_mul_f32_e32 v8, s5, v8
	v_fmac_f32_e32 v8, s6, v0
	global_store_b32 v[2:3], v8, off
.LBB497_9:
	s_or_b32 exec_lo, exec_lo, s1
	v_cmp_le_i32_e64 s0, v4, v5
	s_delay_alu instid0(VALU_DEP_1) | instskip(NEXT) | instid1(SALU_CYCLE_1)
	s_and_b32 s0, vcc_lo, s0
	s_and_saveexec_b32 s1, s0
	s_cbranch_execz .LBB497_11
; %bb.10:
	v_ashrrev_i32_e32 v5, 31, v4
	s_delay_alu instid0(VALU_DEP_1) | instskip(NEXT) | instid1(VALU_DEP_1)
	v_lshlrev_b64 v[2:3], 2, v[4:5]
	v_add_co_u32 v2, vcc_lo, v6, v2
	s_delay_alu instid0(VALU_DEP_2) | instskip(SKIP_3) | instid1(VALU_DEP_1)
	v_add_co_ci_u32_e32 v3, vcc_lo, v7, v3, vcc_lo
	global_load_b32 v0, v[2:3], off
	s_waitcnt vmcnt(0)
	v_mul_f32_e32 v0, s5, v0
	v_fmac_f32_e32 v0, s6, v1
	global_store_b32 v[2:3], v0, off
.LBB497_11:
	s_nop 0
	s_sendmsg sendmsg(MSG_DEALLOC_VGPRS)
	s_endpgm
	.section	.rodata,"a",@progbits
	.p2align	6, 0x0
	.amdhsa_kernel _ZL37rocblas_syrkx_herkx_restricted_kernelIifLi16ELi32ELi8ELb0ELb0ELc84ELc85EKPKfKPfEviT_T0_PT8_S5_lS8_S5_lS6_PT9_S5_li
		.amdhsa_group_segment_fixed_size 2048
		.amdhsa_private_segment_fixed_size 0
		.amdhsa_kernarg_size 100
		.amdhsa_user_sgpr_count 13
		.amdhsa_user_sgpr_dispatch_ptr 0
		.amdhsa_user_sgpr_queue_ptr 0
		.amdhsa_user_sgpr_kernarg_segment_ptr 1
		.amdhsa_user_sgpr_dispatch_id 0
		.amdhsa_user_sgpr_private_segment_size 0
		.amdhsa_wavefront_size32 1
		.amdhsa_uses_dynamic_stack 0
		.amdhsa_enable_private_segment 0
		.amdhsa_system_sgpr_workgroup_id_x 1
		.amdhsa_system_sgpr_workgroup_id_y 1
		.amdhsa_system_sgpr_workgroup_id_z 1
		.amdhsa_system_sgpr_workgroup_info 0
		.amdhsa_system_vgpr_workitem_id 1
		.amdhsa_next_free_vgpr 46
		.amdhsa_next_free_sgpr 18
		.amdhsa_reserve_vcc 1
		.amdhsa_float_round_mode_32 0
		.amdhsa_float_round_mode_16_64 0
		.amdhsa_float_denorm_mode_32 3
		.amdhsa_float_denorm_mode_16_64 3
		.amdhsa_dx10_clamp 1
		.amdhsa_ieee_mode 1
		.amdhsa_fp16_overflow 0
		.amdhsa_workgroup_processor_mode 1
		.amdhsa_memory_ordered 1
		.amdhsa_forward_progress 0
		.amdhsa_shared_vgpr_count 0
		.amdhsa_exception_fp_ieee_invalid_op 0
		.amdhsa_exception_fp_denorm_src 0
		.amdhsa_exception_fp_ieee_div_zero 0
		.amdhsa_exception_fp_ieee_overflow 0
		.amdhsa_exception_fp_ieee_underflow 0
		.amdhsa_exception_fp_ieee_inexact 0
		.amdhsa_exception_int_div_zero 0
	.end_amdhsa_kernel
	.section	.text._ZL37rocblas_syrkx_herkx_restricted_kernelIifLi16ELi32ELi8ELb0ELb0ELc84ELc85EKPKfKPfEviT_T0_PT8_S5_lS8_S5_lS6_PT9_S5_li,"axG",@progbits,_ZL37rocblas_syrkx_herkx_restricted_kernelIifLi16ELi32ELi8ELb0ELb0ELc84ELc85EKPKfKPfEviT_T0_PT8_S5_lS8_S5_lS6_PT9_S5_li,comdat
.Lfunc_end497:
	.size	_ZL37rocblas_syrkx_herkx_restricted_kernelIifLi16ELi32ELi8ELb0ELb0ELc84ELc85EKPKfKPfEviT_T0_PT8_S5_lS8_S5_lS6_PT9_S5_li, .Lfunc_end497-_ZL37rocblas_syrkx_herkx_restricted_kernelIifLi16ELi32ELi8ELb0ELb0ELc84ELc85EKPKfKPfEviT_T0_PT8_S5_lS8_S5_lS6_PT9_S5_li
                                        ; -- End function
	.section	.AMDGPU.csdata,"",@progbits
; Kernel info:
; codeLenInByte = 1232
; NumSgprs: 20
; NumVgprs: 46
; ScratchSize: 0
; MemoryBound: 0
; FloatMode: 240
; IeeeMode: 1
; LDSByteSize: 2048 bytes/workgroup (compile time only)
; SGPRBlocks: 2
; VGPRBlocks: 5
; NumSGPRsForWavesPerEU: 20
; NumVGPRsForWavesPerEU: 46
; Occupancy: 16
; WaveLimiterHint : 1
; COMPUTE_PGM_RSRC2:SCRATCH_EN: 0
; COMPUTE_PGM_RSRC2:USER_SGPR: 13
; COMPUTE_PGM_RSRC2:TRAP_HANDLER: 0
; COMPUTE_PGM_RSRC2:TGID_X_EN: 1
; COMPUTE_PGM_RSRC2:TGID_Y_EN: 1
; COMPUTE_PGM_RSRC2:TGID_Z_EN: 1
; COMPUTE_PGM_RSRC2:TIDIG_COMP_CNT: 1
	.section	.text._ZL37rocblas_syrkx_herkx_restricted_kernelIifLi16ELi32ELi8ELb0ELb0ELc67ELc85EKPKfKPfEviT_T0_PT8_S5_lS8_S5_lS6_PT9_S5_li,"axG",@progbits,_ZL37rocblas_syrkx_herkx_restricted_kernelIifLi16ELi32ELi8ELb0ELb0ELc67ELc85EKPKfKPfEviT_T0_PT8_S5_lS8_S5_lS6_PT9_S5_li,comdat
	.globl	_ZL37rocblas_syrkx_herkx_restricted_kernelIifLi16ELi32ELi8ELb0ELb0ELc67ELc85EKPKfKPfEviT_T0_PT8_S5_lS8_S5_lS6_PT9_S5_li ; -- Begin function _ZL37rocblas_syrkx_herkx_restricted_kernelIifLi16ELi32ELi8ELb0ELb0ELc67ELc85EKPKfKPfEviT_T0_PT8_S5_lS8_S5_lS6_PT9_S5_li
	.p2align	8
	.type	_ZL37rocblas_syrkx_herkx_restricted_kernelIifLi16ELi32ELi8ELb0ELb0ELc67ELc85EKPKfKPfEviT_T0_PT8_S5_lS8_S5_lS6_PT9_S5_li,@function
_ZL37rocblas_syrkx_herkx_restricted_kernelIifLi16ELi32ELi8ELb0ELb0ELc67ELc85EKPKfKPfEviT_T0_PT8_S5_lS8_S5_lS6_PT9_S5_li: ; @_ZL37rocblas_syrkx_herkx_restricted_kernelIifLi16ELi32ELi8ELb0ELb0ELc67ELc85EKPKfKPfEviT_T0_PT8_S5_lS8_S5_lS6_PT9_S5_li
; %bb.0:
	s_clause 0x1
	s_load_b64 s[2:3], s[0:1], 0x48
	s_load_b128 s[4:7], s[0:1], 0x0
	s_mov_b32 s8, s15
	s_mov_b32 s9, 0
	v_dual_mov_b32 v9, 0 :: v_dual_and_b32 v6, 0x3ff, v0
	s_lshl_b64 s[10:11], s[8:9], 3
	v_bfe_u32 v7, v0, 10, 10
	v_dual_mov_b32 v8, 0 :: v_dual_mov_b32 v1, 0
	v_mov_b32_e32 v0, 0
	s_waitcnt lgkmcnt(0)
	s_add_u32 s2, s2, s10
	s_addc_u32 s3, s3, s11
	s_lshl_b32 s7, s13, 5
	s_load_b64 s[2:3], s[2:3], 0x0
	s_lshl_b32 s8, s14, 5
	s_cmp_lt_i32 s5, 1
	s_cbranch_scc1 .LBB498_3
; %bb.1:
	s_clause 0x3
	s_load_b64 s[12:13], s[0:1], 0x10
	s_load_b64 s[14:15], s[0:1], 0x28
	s_load_b32 s16, s[0:1], 0x18
	s_load_b32 s17, s[0:1], 0x30
	v_lshl_add_u32 v2, v7, 4, v6
	v_dual_mov_b32 v1, 0 :: v_dual_and_b32 v0, 7, v6
	v_lshlrev_b32_e32 v10, 2, v6
	s_delay_alu instid0(VALU_DEP_3) | instskip(SKIP_3) | instid1(VALU_DEP_4)
	v_and_b32_e32 v9, 31, v2
	v_lshrrev_b32_e32 v8, 3, v2
	v_lshrrev_b32_e32 v2, 5, v2
	v_mov_b32_e32 v3, v1
	v_add_nc_u32_e32 v11, s7, v9
	s_delay_alu instid0(VALU_DEP_4)
	v_add_nc_u32_e32 v12, s8, v8
	s_waitcnt lgkmcnt(0)
	s_add_u32 s12, s12, s10
	s_addc_u32 s13, s13, s11
	s_add_u32 s10, s14, s10
	s_load_b64 s[12:13], s[12:13], 0x0
	s_addc_u32 s11, s15, s11
	v_mad_i64_i32 v[4:5], null, s16, v11, v[2:3]
	s_load_b64 s[10:11], s[10:11], 0x0
	v_lshlrev_b32_e32 v3, 2, v0
	v_mad_i64_i32 v[14:15], null, s17, v12, v[0:1]
	v_dual_mov_b32 v0, v1 :: v_dual_lshlrev_b32 v9, 2, v9
	s_delay_alu instid0(VALU_DEP_3)
	v_lshl_or_b32 v13, v8, 5, v3
	v_lshlrev_b64 v[3:4], 2, v[4:5]
	v_lshl_add_u32 v11, v7, 5, 0x400
	v_mov_b32_e32 v8, v1
	v_lshlrev_b64 v[14:15], 2, v[14:15]
	v_lshl_or_b32 v12, v2, 7, v9
	v_mov_b32_e32 v9, v1
	v_add_nc_u32_e32 v13, 0x400, v13
	s_waitcnt lgkmcnt(0)
	v_add_co_u32 v2, vcc_lo, s12, v3
	v_add_co_ci_u32_e32 v3, vcc_lo, s13, v4, vcc_lo
	v_add_co_u32 v4, vcc_lo, s10, v14
	v_add_co_ci_u32_e32 v5, vcc_lo, s11, v15, vcc_lo
.LBB498_2:                              ; =>This Inner Loop Header: Depth=1
	global_load_b32 v14, v[2:3], off
	global_load_b32 v15, v[4:5], off
	v_add_co_u32 v4, vcc_lo, v4, 32
	v_add_co_ci_u32_e32 v5, vcc_lo, 0, v5, vcc_lo
	v_add_co_u32 v2, vcc_lo, v2, 32
	v_add_co_ci_u32_e32 v3, vcc_lo, 0, v3, vcc_lo
	s_add_i32 s9, s9, 8
	s_waitcnt vmcnt(1)
	ds_store_b32 v12, v14
	s_waitcnt vmcnt(0)
	ds_store_b32 v13, v15
	s_waitcnt lgkmcnt(0)
	s_barrier
	buffer_gl0_inv
	ds_load_2addr_b32 v[30:31], v10 offset1:16
	ds_load_b128 v[14:17], v11
	ds_load_b128 v[18:21], v11 offset:512
	ds_load_2addr_b32 v[32:33], v10 offset0:32 offset1:48
	ds_load_2addr_b32 v[34:35], v10 offset0:64 offset1:80
	ds_load_b128 v[22:25], v11 offset:16
	ds_load_2addr_b32 v[36:37], v10 offset0:96 offset1:112
	ds_load_2addr_b32 v[38:39], v10 offset0:128 offset1:144
	;; [unrolled: 3-line block ×3, first 2 shown]
	ds_load_2addr_b32 v[44:45], v10 offset0:224 offset1:240
	s_cmp_ge_i32 s9, s5
	s_waitcnt lgkmcnt(0)
	s_barrier
	buffer_gl0_inv
	v_fmac_f32_e32 v8, v31, v14
	v_fmac_f32_e32 v9, v30, v14
	;; [unrolled: 1-line block ×4, first 2 shown]
	s_delay_alu instid0(VALU_DEP_4) | instskip(NEXT) | instid1(VALU_DEP_4)
	v_fmac_f32_e32 v8, v33, v15
	v_fmac_f32_e32 v9, v32, v15
	s_delay_alu instid0(VALU_DEP_4) | instskip(NEXT) | instid1(VALU_DEP_4)
	v_fmac_f32_e32 v1, v33, v19
	v_fmac_f32_e32 v0, v32, v19
	;; [unrolled: 3-line block ×14, first 2 shown]
	s_cbranch_scc0 .LBB498_2
.LBB498_3:
	s_clause 0x1
	s_load_b32 s9, s[0:1], 0x50
	s_load_b32 s5, s[0:1], 0x40
	v_add_nc_u32_e32 v7, s8, v7
	v_add_nc_u32_e32 v2, s7, v6
	s_delay_alu instid0(VALU_DEP_2) | instskip(NEXT) | instid1(VALU_DEP_2)
	v_cmp_gt_i32_e32 vcc_lo, s4, v7
	v_cmp_le_i32_e64 s0, v2, v7
	s_delay_alu instid0(VALU_DEP_1) | instskip(SKIP_2) | instid1(VALU_DEP_1)
	s_and_b32 s0, vcc_lo, s0
	s_waitcnt lgkmcnt(0)
	v_mad_i64_i32 v[3:4], null, v7, s9, 0
	v_lshlrev_b64 v[3:4], 2, v[3:4]
	s_delay_alu instid0(VALU_DEP_1) | instskip(NEXT) | instid1(VALU_DEP_1)
	v_add_co_u32 v6, s1, s2, v3
	v_add_co_ci_u32_e64 v10, s1, s3, v4, s1
	s_and_saveexec_b32 s1, s0
	s_cbranch_execz .LBB498_5
; %bb.4:
	v_ashrrev_i32_e32 v3, 31, v2
	s_delay_alu instid0(VALU_DEP_1) | instskip(NEXT) | instid1(VALU_DEP_1)
	v_lshlrev_b64 v[3:4], 2, v[2:3]
	v_add_co_u32 v3, s0, v6, v3
	s_delay_alu instid0(VALU_DEP_1) | instskip(SKIP_3) | instid1(VALU_DEP_1)
	v_add_co_ci_u32_e64 v4, s0, v10, v4, s0
	global_load_b32 v5, v[3:4], off
	s_waitcnt vmcnt(0)
	v_mul_f32_e32 v5, s5, v5
	v_fmac_f32_e32 v5, s6, v9
	global_store_b32 v[3:4], v5, off
.LBB498_5:
	s_or_b32 exec_lo, exec_lo, s1
	v_add_nc_u32_e32 v4, 16, v2
	s_delay_alu instid0(VALU_DEP_1) | instskip(NEXT) | instid1(VALU_DEP_1)
	v_cmp_le_i32_e64 s0, v4, v7
	s_and_b32 s1, vcc_lo, s0
	s_delay_alu instid0(SALU_CYCLE_1)
	s_and_saveexec_b32 s0, s1
	s_cbranch_execz .LBB498_7
; %bb.6:
	v_ashrrev_i32_e32 v5, 31, v4
	s_delay_alu instid0(VALU_DEP_1) | instskip(NEXT) | instid1(VALU_DEP_1)
	v_lshlrev_b64 v[11:12], 2, v[4:5]
	v_add_co_u32 v5, vcc_lo, v6, v11
	s_delay_alu instid0(VALU_DEP_2) | instskip(SKIP_3) | instid1(VALU_DEP_1)
	v_add_co_ci_u32_e32 v6, vcc_lo, v10, v12, vcc_lo
	global_load_b32 v3, v[5:6], off
	s_waitcnt vmcnt(0)
	v_mul_f32_e32 v3, s5, v3
	v_fmac_f32_e32 v3, s6, v8
	global_store_b32 v[5:6], v3, off
.LBB498_7:
	s_or_b32 exec_lo, exec_lo, s0
	v_add_nc_u32_e32 v5, 16, v7
	s_delay_alu instid0(VALU_DEP_1) | instskip(SKIP_2) | instid1(VALU_DEP_1)
	v_mad_i64_i32 v[6:7], null, v5, s9, 0
	v_cmp_gt_i32_e32 vcc_lo, s4, v5
	v_cmp_le_i32_e64 s0, v2, v5
	s_and_b32 s0, vcc_lo, s0
	s_delay_alu instid0(VALU_DEP_3) | instskip(NEXT) | instid1(VALU_DEP_1)
	v_lshlrev_b64 v[6:7], 2, v[6:7]
	v_add_co_u32 v6, s1, s2, v6
	s_delay_alu instid0(VALU_DEP_1)
	v_add_co_ci_u32_e64 v7, s1, s3, v7, s1
	s_and_saveexec_b32 s1, s0
	s_cbranch_execz .LBB498_9
; %bb.8:
	v_ashrrev_i32_e32 v3, 31, v2
	s_delay_alu instid0(VALU_DEP_1) | instskip(NEXT) | instid1(VALU_DEP_1)
	v_lshlrev_b64 v[2:3], 2, v[2:3]
	v_add_co_u32 v2, s0, v6, v2
	s_delay_alu instid0(VALU_DEP_1) | instskip(SKIP_3) | instid1(VALU_DEP_1)
	v_add_co_ci_u32_e64 v3, s0, v7, v3, s0
	global_load_b32 v8, v[2:3], off
	s_waitcnt vmcnt(0)
	v_mul_f32_e32 v8, s5, v8
	v_fmac_f32_e32 v8, s6, v0
	global_store_b32 v[2:3], v8, off
.LBB498_9:
	s_or_b32 exec_lo, exec_lo, s1
	v_cmp_le_i32_e64 s0, v4, v5
	s_delay_alu instid0(VALU_DEP_1) | instskip(NEXT) | instid1(SALU_CYCLE_1)
	s_and_b32 s0, vcc_lo, s0
	s_and_saveexec_b32 s1, s0
	s_cbranch_execz .LBB498_11
; %bb.10:
	v_ashrrev_i32_e32 v5, 31, v4
	s_delay_alu instid0(VALU_DEP_1) | instskip(NEXT) | instid1(VALU_DEP_1)
	v_lshlrev_b64 v[2:3], 2, v[4:5]
	v_add_co_u32 v2, vcc_lo, v6, v2
	s_delay_alu instid0(VALU_DEP_2) | instskip(SKIP_3) | instid1(VALU_DEP_1)
	v_add_co_ci_u32_e32 v3, vcc_lo, v7, v3, vcc_lo
	global_load_b32 v0, v[2:3], off
	s_waitcnt vmcnt(0)
	v_mul_f32_e32 v0, s5, v0
	v_fmac_f32_e32 v0, s6, v1
	global_store_b32 v[2:3], v0, off
.LBB498_11:
	s_nop 0
	s_sendmsg sendmsg(MSG_DEALLOC_VGPRS)
	s_endpgm
	.section	.rodata,"a",@progbits
	.p2align	6, 0x0
	.amdhsa_kernel _ZL37rocblas_syrkx_herkx_restricted_kernelIifLi16ELi32ELi8ELb0ELb0ELc67ELc85EKPKfKPfEviT_T0_PT8_S5_lS8_S5_lS6_PT9_S5_li
		.amdhsa_group_segment_fixed_size 2048
		.amdhsa_private_segment_fixed_size 0
		.amdhsa_kernarg_size 100
		.amdhsa_user_sgpr_count 13
		.amdhsa_user_sgpr_dispatch_ptr 0
		.amdhsa_user_sgpr_queue_ptr 0
		.amdhsa_user_sgpr_kernarg_segment_ptr 1
		.amdhsa_user_sgpr_dispatch_id 0
		.amdhsa_user_sgpr_private_segment_size 0
		.amdhsa_wavefront_size32 1
		.amdhsa_uses_dynamic_stack 0
		.amdhsa_enable_private_segment 0
		.amdhsa_system_sgpr_workgroup_id_x 1
		.amdhsa_system_sgpr_workgroup_id_y 1
		.amdhsa_system_sgpr_workgroup_id_z 1
		.amdhsa_system_sgpr_workgroup_info 0
		.amdhsa_system_vgpr_workitem_id 1
		.amdhsa_next_free_vgpr 46
		.amdhsa_next_free_sgpr 18
		.amdhsa_reserve_vcc 1
		.amdhsa_float_round_mode_32 0
		.amdhsa_float_round_mode_16_64 0
		.amdhsa_float_denorm_mode_32 3
		.amdhsa_float_denorm_mode_16_64 3
		.amdhsa_dx10_clamp 1
		.amdhsa_ieee_mode 1
		.amdhsa_fp16_overflow 0
		.amdhsa_workgroup_processor_mode 1
		.amdhsa_memory_ordered 1
		.amdhsa_forward_progress 0
		.amdhsa_shared_vgpr_count 0
		.amdhsa_exception_fp_ieee_invalid_op 0
		.amdhsa_exception_fp_denorm_src 0
		.amdhsa_exception_fp_ieee_div_zero 0
		.amdhsa_exception_fp_ieee_overflow 0
		.amdhsa_exception_fp_ieee_underflow 0
		.amdhsa_exception_fp_ieee_inexact 0
		.amdhsa_exception_int_div_zero 0
	.end_amdhsa_kernel
	.section	.text._ZL37rocblas_syrkx_herkx_restricted_kernelIifLi16ELi32ELi8ELb0ELb0ELc67ELc85EKPKfKPfEviT_T0_PT8_S5_lS8_S5_lS6_PT9_S5_li,"axG",@progbits,_ZL37rocblas_syrkx_herkx_restricted_kernelIifLi16ELi32ELi8ELb0ELb0ELc67ELc85EKPKfKPfEviT_T0_PT8_S5_lS8_S5_lS6_PT9_S5_li,comdat
.Lfunc_end498:
	.size	_ZL37rocblas_syrkx_herkx_restricted_kernelIifLi16ELi32ELi8ELb0ELb0ELc67ELc85EKPKfKPfEviT_T0_PT8_S5_lS8_S5_lS6_PT9_S5_li, .Lfunc_end498-_ZL37rocblas_syrkx_herkx_restricted_kernelIifLi16ELi32ELi8ELb0ELb0ELc67ELc85EKPKfKPfEviT_T0_PT8_S5_lS8_S5_lS6_PT9_S5_li
                                        ; -- End function
	.section	.AMDGPU.csdata,"",@progbits
; Kernel info:
; codeLenInByte = 1232
; NumSgprs: 20
; NumVgprs: 46
; ScratchSize: 0
; MemoryBound: 0
; FloatMode: 240
; IeeeMode: 1
; LDSByteSize: 2048 bytes/workgroup (compile time only)
; SGPRBlocks: 2
; VGPRBlocks: 5
; NumSGPRsForWavesPerEU: 20
; NumVGPRsForWavesPerEU: 46
; Occupancy: 16
; WaveLimiterHint : 1
; COMPUTE_PGM_RSRC2:SCRATCH_EN: 0
; COMPUTE_PGM_RSRC2:USER_SGPR: 13
; COMPUTE_PGM_RSRC2:TRAP_HANDLER: 0
; COMPUTE_PGM_RSRC2:TGID_X_EN: 1
; COMPUTE_PGM_RSRC2:TGID_Y_EN: 1
; COMPUTE_PGM_RSRC2:TGID_Z_EN: 1
; COMPUTE_PGM_RSRC2:TIDIG_COMP_CNT: 1
	.section	.text._ZL37rocblas_syrkx_herkx_restricted_kernelIifLi16ELi32ELi8ELb0ELb0ELc78ELc85EKPKfKPfEviT_T0_PT8_S5_lS8_S5_lS6_PT9_S5_li,"axG",@progbits,_ZL37rocblas_syrkx_herkx_restricted_kernelIifLi16ELi32ELi8ELb0ELb0ELc78ELc85EKPKfKPfEviT_T0_PT8_S5_lS8_S5_lS6_PT9_S5_li,comdat
	.globl	_ZL37rocblas_syrkx_herkx_restricted_kernelIifLi16ELi32ELi8ELb0ELb0ELc78ELc85EKPKfKPfEviT_T0_PT8_S5_lS8_S5_lS6_PT9_S5_li ; -- Begin function _ZL37rocblas_syrkx_herkx_restricted_kernelIifLi16ELi32ELi8ELb0ELb0ELc78ELc85EKPKfKPfEviT_T0_PT8_S5_lS8_S5_lS6_PT9_S5_li
	.p2align	8
	.type	_ZL37rocblas_syrkx_herkx_restricted_kernelIifLi16ELi32ELi8ELb0ELb0ELc78ELc85EKPKfKPfEviT_T0_PT8_S5_lS8_S5_lS6_PT9_S5_li,@function
_ZL37rocblas_syrkx_herkx_restricted_kernelIifLi16ELi32ELi8ELb0ELb0ELc78ELc85EKPKfKPfEviT_T0_PT8_S5_lS8_S5_lS6_PT9_S5_li: ; @_ZL37rocblas_syrkx_herkx_restricted_kernelIifLi16ELi32ELi8ELb0ELb0ELc78ELc85EKPKfKPfEviT_T0_PT8_S5_lS8_S5_lS6_PT9_S5_li
; %bb.0:
	s_clause 0x1
	s_load_b64 s[2:3], s[0:1], 0x48
	s_load_b128 s[4:7], s[0:1], 0x0
	s_mov_b32 s8, s15
	s_mov_b32 s9, 0
	v_dual_mov_b32 v9, 0 :: v_dual_and_b32 v6, 0x3ff, v0
	s_lshl_b64 s[10:11], s[8:9], 3
	v_bfe_u32 v7, v0, 10, 10
	v_dual_mov_b32 v8, 0 :: v_dual_mov_b32 v5, 0
	v_mov_b32_e32 v4, 0
	s_waitcnt lgkmcnt(0)
	s_add_u32 s2, s2, s10
	s_addc_u32 s3, s3, s11
	s_lshl_b32 s7, s13, 5
	s_load_b64 s[2:3], s[2:3], 0x0
	s_lshl_b32 s8, s14, 5
	s_cmp_lt_i32 s5, 1
	s_cbranch_scc1 .LBB499_3
; %bb.1:
	s_clause 0x3
	s_load_b32 s12, s[0:1], 0x18
	s_load_b32 s14, s[0:1], 0x30
	s_load_b64 s[16:17], s[0:1], 0x10
	s_load_b64 s[18:19], s[0:1], 0x28
	v_lshl_add_u32 v0, v7, 4, v6
	v_dual_mov_b32 v4, 0 :: v_dual_and_b32 v5, 7, v6
	v_lshlrev_b32_e32 v10, 2, v6
	v_lshl_add_u32 v11, v7, 5, 0x400
	s_delay_alu instid0(VALU_DEP_4) | instskip(SKIP_3) | instid1(VALU_DEP_4)
	v_and_b32_e32 v13, 31, v0
	v_lshrrev_b32_e32 v12, 3, v0
	v_lshrrev_b32_e32 v14, 5, v0
	v_lshlrev_b32_e32 v15, 2, v5
	v_add_nc_u32_e32 v2, s7, v13
	s_delay_alu instid0(VALU_DEP_4) | instskip(NEXT) | instid1(VALU_DEP_3)
	v_add_nc_u32_e32 v0, s8, v12
	v_lshl_or_b32 v15, v12, 5, v15
	s_delay_alu instid0(VALU_DEP_3)
	v_ashrrev_i32_e32 v3, 31, v2
	s_waitcnt lgkmcnt(0)
	s_ashr_i32 s13, s12, 31
	s_ashr_i32 s15, s14, 31
	s_add_u32 s16, s16, s10
	s_addc_u32 s17, s17, s11
	s_add_u32 s10, s18, s10
	s_load_b64 s[16:17], s[16:17], 0x0
	s_addc_u32 s11, s19, s11
	v_ashrrev_i32_e32 v1, 31, v0
	s_load_b64 s[10:11], s[10:11], 0x0
	v_mad_i64_i32 v[8:9], null, s12, v14, v[2:3]
	s_lshl_b64 s[12:13], s[12:13], 5
	s_delay_alu instid0(VALU_DEP_2) | instskip(SKIP_1) | instid1(VALU_DEP_3)
	v_mad_i64_i32 v[2:3], null, s14, v5, v[0:1]
	v_mov_b32_e32 v5, 0
	v_lshlrev_b64 v[0:1], 2, v[8:9]
	v_dual_mov_b32 v9, 0 :: v_dual_mov_b32 v8, 0
	s_delay_alu instid0(VALU_DEP_4) | instskip(SKIP_2) | instid1(VALU_DEP_4)
	v_lshlrev_b64 v[2:3], 2, v[2:3]
	v_lshlrev_b32_e32 v13, 2, v13
	s_waitcnt lgkmcnt(0)
	v_add_co_u32 v0, vcc_lo, s16, v0
	v_add_co_ci_u32_e32 v1, vcc_lo, s17, v1, vcc_lo
	s_delay_alu instid0(VALU_DEP_4)
	v_add_co_u32 v2, vcc_lo, s10, v2
	v_lshl_or_b32 v12, v14, 7, v13
	v_add_nc_u32_e32 v13, 0x400, v15
	v_add_co_ci_u32_e32 v3, vcc_lo, s11, v3, vcc_lo
	s_lshl_b64 s[10:11], s[14:15], 5
.LBB499_2:                              ; =>This Inner Loop Header: Depth=1
	global_load_b32 v14, v[0:1], off
	global_load_b32 v15, v[2:3], off
	v_add_co_u32 v2, vcc_lo, v2, s10
	v_add_co_ci_u32_e32 v3, vcc_lo, s11, v3, vcc_lo
	v_add_co_u32 v0, vcc_lo, v0, s12
	v_add_co_ci_u32_e32 v1, vcc_lo, s13, v1, vcc_lo
	s_add_i32 s9, s9, 8
	s_waitcnt vmcnt(1)
	ds_store_b32 v12, v14
	s_waitcnt vmcnt(0)
	ds_store_b32 v13, v15
	s_waitcnt lgkmcnt(0)
	s_barrier
	buffer_gl0_inv
	ds_load_2addr_b32 v[30:31], v10 offset1:16
	ds_load_b128 v[14:17], v11
	ds_load_b128 v[18:21], v11 offset:512
	ds_load_2addr_b32 v[32:33], v10 offset0:32 offset1:48
	ds_load_2addr_b32 v[34:35], v10 offset0:64 offset1:80
	ds_load_b128 v[22:25], v11 offset:16
	ds_load_2addr_b32 v[36:37], v10 offset0:96 offset1:112
	ds_load_2addr_b32 v[38:39], v10 offset0:128 offset1:144
	;; [unrolled: 3-line block ×3, first 2 shown]
	ds_load_2addr_b32 v[44:45], v10 offset0:224 offset1:240
	s_cmp_ge_i32 s9, s5
	s_waitcnt lgkmcnt(0)
	s_barrier
	buffer_gl0_inv
	v_fmac_f32_e32 v8, v31, v14
	v_fmac_f32_e32 v9, v30, v14
	;; [unrolled: 1-line block ×3, first 2 shown]
	s_delay_alu instid0(VALU_DEP_3) | instskip(NEXT) | instid1(VALU_DEP_3)
	v_dual_fmac_f32 v5, v30, v18 :: v_dual_fmac_f32 v8, v33, v15
	v_fmac_f32_e32 v9, v32, v15
	s_delay_alu instid0(VALU_DEP_3) | instskip(NEXT) | instid1(VALU_DEP_3)
	v_fmac_f32_e32 v4, v33, v19
	v_dual_fmac_f32 v5, v32, v19 :: v_dual_fmac_f32 v8, v35, v16
	s_delay_alu instid0(VALU_DEP_3) | instskip(NEXT) | instid1(VALU_DEP_3)
	v_fmac_f32_e32 v9, v34, v16
	v_fmac_f32_e32 v4, v35, v20
	s_delay_alu instid0(VALU_DEP_3) | instskip(NEXT) | instid1(VALU_DEP_3)
	v_dual_fmac_f32 v5, v34, v20 :: v_dual_fmac_f32 v8, v37, v17
	v_fmac_f32_e32 v9, v36, v17
	s_delay_alu instid0(VALU_DEP_3) | instskip(NEXT) | instid1(VALU_DEP_3)
	v_fmac_f32_e32 v4, v37, v21
	v_dual_fmac_f32 v5, v36, v21 :: v_dual_fmac_f32 v8, v39, v22
	s_delay_alu instid0(VALU_DEP_3) | instskip(NEXT) | instid1(VALU_DEP_3)
	v_fmac_f32_e32 v9, v38, v22
	v_fmac_f32_e32 v4, v39, v26
	;; [unrolled: 9-line block ×3, first 2 shown]
	s_delay_alu instid0(VALU_DEP_3) | instskip(NEXT) | instid1(VALU_DEP_3)
	v_dual_fmac_f32 v5, v42, v28 :: v_dual_fmac_f32 v8, v45, v25
	v_fmac_f32_e32 v9, v44, v25
	s_delay_alu instid0(VALU_DEP_3) | instskip(NEXT) | instid1(VALU_DEP_3)
	v_fmac_f32_e32 v4, v45, v29
	v_fmac_f32_e32 v5, v44, v29
	s_cbranch_scc0 .LBB499_2
.LBB499_3:
	s_clause 0x1
	s_load_b32 s9, s[0:1], 0x50
	s_load_b32 s5, s[0:1], 0x40
	v_add_nc_u32_e32 v7, s8, v7
	v_add_nc_u32_e32 v0, s7, v6
	s_delay_alu instid0(VALU_DEP_2) | instskip(NEXT) | instid1(VALU_DEP_2)
	v_cmp_gt_i32_e32 vcc_lo, s4, v7
	v_cmp_le_i32_e64 s0, v0, v7
	s_delay_alu instid0(VALU_DEP_1) | instskip(SKIP_2) | instid1(VALU_DEP_1)
	s_and_b32 s0, vcc_lo, s0
	s_waitcnt lgkmcnt(0)
	v_mad_i64_i32 v[1:2], null, v7, s9, 0
	v_lshlrev_b64 v[1:2], 2, v[1:2]
	s_delay_alu instid0(VALU_DEP_1) | instskip(NEXT) | instid1(VALU_DEP_1)
	v_add_co_u32 v6, s1, s2, v1
	v_add_co_ci_u32_e64 v10, s1, s3, v2, s1
	s_and_saveexec_b32 s1, s0
	s_cbranch_execz .LBB499_5
; %bb.4:
	v_ashrrev_i32_e32 v1, 31, v0
	s_delay_alu instid0(VALU_DEP_1) | instskip(NEXT) | instid1(VALU_DEP_1)
	v_lshlrev_b64 v[1:2], 2, v[0:1]
	v_add_co_u32 v1, s0, v6, v1
	s_delay_alu instid0(VALU_DEP_1) | instskip(SKIP_3) | instid1(VALU_DEP_1)
	v_add_co_ci_u32_e64 v2, s0, v10, v2, s0
	global_load_b32 v3, v[1:2], off
	s_waitcnt vmcnt(0)
	v_mul_f32_e32 v3, s5, v3
	v_fmac_f32_e32 v3, s6, v9
	global_store_b32 v[1:2], v3, off
.LBB499_5:
	s_or_b32 exec_lo, exec_lo, s1
	v_add_nc_u32_e32 v2, 16, v0
	s_delay_alu instid0(VALU_DEP_1) | instskip(NEXT) | instid1(VALU_DEP_1)
	v_cmp_le_i32_e64 s0, v2, v7
	s_and_b32 s1, vcc_lo, s0
	s_delay_alu instid0(SALU_CYCLE_1)
	s_and_saveexec_b32 s0, s1
	s_cbranch_execz .LBB499_7
; %bb.6:
	v_ashrrev_i32_e32 v3, 31, v2
	s_delay_alu instid0(VALU_DEP_1) | instskip(NEXT) | instid1(VALU_DEP_1)
	v_lshlrev_b64 v[11:12], 2, v[2:3]
	v_add_co_u32 v9, vcc_lo, v6, v11
	s_delay_alu instid0(VALU_DEP_2) | instskip(SKIP_3) | instid1(VALU_DEP_1)
	v_add_co_ci_u32_e32 v10, vcc_lo, v10, v12, vcc_lo
	global_load_b32 v1, v[9:10], off
	s_waitcnt vmcnt(0)
	v_mul_f32_e32 v1, s5, v1
	v_fmac_f32_e32 v1, s6, v8
	global_store_b32 v[9:10], v1, off
.LBB499_7:
	s_or_b32 exec_lo, exec_lo, s0
	v_add_nc_u32_e32 v3, 16, v7
	s_delay_alu instid0(VALU_DEP_1) | instskip(SKIP_2) | instid1(VALU_DEP_1)
	v_mad_i64_i32 v[6:7], null, v3, s9, 0
	v_cmp_gt_i32_e32 vcc_lo, s4, v3
	v_cmp_le_i32_e64 s0, v0, v3
	s_and_b32 s0, vcc_lo, s0
	s_delay_alu instid0(VALU_DEP_3) | instskip(NEXT) | instid1(VALU_DEP_1)
	v_lshlrev_b64 v[6:7], 2, v[6:7]
	v_add_co_u32 v6, s1, s2, v6
	s_delay_alu instid0(VALU_DEP_1)
	v_add_co_ci_u32_e64 v7, s1, s3, v7, s1
	s_and_saveexec_b32 s1, s0
	s_cbranch_execz .LBB499_9
; %bb.8:
	v_ashrrev_i32_e32 v1, 31, v0
	s_delay_alu instid0(VALU_DEP_1) | instskip(NEXT) | instid1(VALU_DEP_1)
	v_lshlrev_b64 v[0:1], 2, v[0:1]
	v_add_co_u32 v0, s0, v6, v0
	s_delay_alu instid0(VALU_DEP_1) | instskip(SKIP_3) | instid1(VALU_DEP_1)
	v_add_co_ci_u32_e64 v1, s0, v7, v1, s0
	global_load_b32 v8, v[0:1], off
	s_waitcnt vmcnt(0)
	v_mul_f32_e32 v8, s5, v8
	v_fmac_f32_e32 v8, s6, v5
	global_store_b32 v[0:1], v8, off
.LBB499_9:
	s_or_b32 exec_lo, exec_lo, s1
	v_cmp_le_i32_e64 s0, v2, v3
	s_delay_alu instid0(VALU_DEP_1) | instskip(NEXT) | instid1(SALU_CYCLE_1)
	s_and_b32 s0, vcc_lo, s0
	s_and_saveexec_b32 s1, s0
	s_cbranch_execz .LBB499_11
; %bb.10:
	v_ashrrev_i32_e32 v3, 31, v2
	s_delay_alu instid0(VALU_DEP_1) | instskip(NEXT) | instid1(VALU_DEP_1)
	v_lshlrev_b64 v[0:1], 2, v[2:3]
	v_add_co_u32 v0, vcc_lo, v6, v0
	s_delay_alu instid0(VALU_DEP_2) | instskip(SKIP_3) | instid1(VALU_DEP_1)
	v_add_co_ci_u32_e32 v1, vcc_lo, v7, v1, vcc_lo
	global_load_b32 v2, v[0:1], off
	s_waitcnt vmcnt(0)
	v_mul_f32_e32 v2, s5, v2
	v_fmac_f32_e32 v2, s6, v4
	global_store_b32 v[0:1], v2, off
.LBB499_11:
	s_nop 0
	s_sendmsg sendmsg(MSG_DEALLOC_VGPRS)
	s_endpgm
	.section	.rodata,"a",@progbits
	.p2align	6, 0x0
	.amdhsa_kernel _ZL37rocblas_syrkx_herkx_restricted_kernelIifLi16ELi32ELi8ELb0ELb0ELc78ELc85EKPKfKPfEviT_T0_PT8_S5_lS8_S5_lS6_PT9_S5_li
		.amdhsa_group_segment_fixed_size 2048
		.amdhsa_private_segment_fixed_size 0
		.amdhsa_kernarg_size 100
		.amdhsa_user_sgpr_count 13
		.amdhsa_user_sgpr_dispatch_ptr 0
		.amdhsa_user_sgpr_queue_ptr 0
		.amdhsa_user_sgpr_kernarg_segment_ptr 1
		.amdhsa_user_sgpr_dispatch_id 0
		.amdhsa_user_sgpr_private_segment_size 0
		.amdhsa_wavefront_size32 1
		.amdhsa_uses_dynamic_stack 0
		.amdhsa_enable_private_segment 0
		.amdhsa_system_sgpr_workgroup_id_x 1
		.amdhsa_system_sgpr_workgroup_id_y 1
		.amdhsa_system_sgpr_workgroup_id_z 1
		.amdhsa_system_sgpr_workgroup_info 0
		.amdhsa_system_vgpr_workitem_id 1
		.amdhsa_next_free_vgpr 46
		.amdhsa_next_free_sgpr 20
		.amdhsa_reserve_vcc 1
		.amdhsa_float_round_mode_32 0
		.amdhsa_float_round_mode_16_64 0
		.amdhsa_float_denorm_mode_32 3
		.amdhsa_float_denorm_mode_16_64 3
		.amdhsa_dx10_clamp 1
		.amdhsa_ieee_mode 1
		.amdhsa_fp16_overflow 0
		.amdhsa_workgroup_processor_mode 1
		.amdhsa_memory_ordered 1
		.amdhsa_forward_progress 0
		.amdhsa_shared_vgpr_count 0
		.amdhsa_exception_fp_ieee_invalid_op 0
		.amdhsa_exception_fp_denorm_src 0
		.amdhsa_exception_fp_ieee_div_zero 0
		.amdhsa_exception_fp_ieee_overflow 0
		.amdhsa_exception_fp_ieee_underflow 0
		.amdhsa_exception_fp_ieee_inexact 0
		.amdhsa_exception_int_div_zero 0
	.end_amdhsa_kernel
	.section	.text._ZL37rocblas_syrkx_herkx_restricted_kernelIifLi16ELi32ELi8ELb0ELb0ELc78ELc85EKPKfKPfEviT_T0_PT8_S5_lS8_S5_lS6_PT9_S5_li,"axG",@progbits,_ZL37rocblas_syrkx_herkx_restricted_kernelIifLi16ELi32ELi8ELb0ELb0ELc78ELc85EKPKfKPfEviT_T0_PT8_S5_lS8_S5_lS6_PT9_S5_li,comdat
.Lfunc_end499:
	.size	_ZL37rocblas_syrkx_herkx_restricted_kernelIifLi16ELi32ELi8ELb0ELb0ELc78ELc85EKPKfKPfEviT_T0_PT8_S5_lS8_S5_lS6_PT9_S5_li, .Lfunc_end499-_ZL37rocblas_syrkx_herkx_restricted_kernelIifLi16ELi32ELi8ELb0ELb0ELc78ELc85EKPKfKPfEviT_T0_PT8_S5_lS8_S5_lS6_PT9_S5_li
                                        ; -- End function
	.section	.AMDGPU.csdata,"",@progbits
; Kernel info:
; codeLenInByte = 1252
; NumSgprs: 22
; NumVgprs: 46
; ScratchSize: 0
; MemoryBound: 0
; FloatMode: 240
; IeeeMode: 1
; LDSByteSize: 2048 bytes/workgroup (compile time only)
; SGPRBlocks: 2
; VGPRBlocks: 5
; NumSGPRsForWavesPerEU: 22
; NumVGPRsForWavesPerEU: 46
; Occupancy: 16
; WaveLimiterHint : 1
; COMPUTE_PGM_RSRC2:SCRATCH_EN: 0
; COMPUTE_PGM_RSRC2:USER_SGPR: 13
; COMPUTE_PGM_RSRC2:TRAP_HANDLER: 0
; COMPUTE_PGM_RSRC2:TGID_X_EN: 1
; COMPUTE_PGM_RSRC2:TGID_Y_EN: 1
; COMPUTE_PGM_RSRC2:TGID_Z_EN: 1
; COMPUTE_PGM_RSRC2:TIDIG_COMP_CNT: 1
	.section	.text._ZL41rocblas_syrkx_herkx_small_restrict_kernelIifLi16ELb1ELb0ELc84ELc76EKPKfKPfEviT_T0_PT6_S5_lS8_S5_lS6_PT7_S5_li,"axG",@progbits,_ZL41rocblas_syrkx_herkx_small_restrict_kernelIifLi16ELb1ELb0ELc84ELc76EKPKfKPfEviT_T0_PT6_S5_lS8_S5_lS6_PT7_S5_li,comdat
	.globl	_ZL41rocblas_syrkx_herkx_small_restrict_kernelIifLi16ELb1ELb0ELc84ELc76EKPKfKPfEviT_T0_PT6_S5_lS8_S5_lS6_PT7_S5_li ; -- Begin function _ZL41rocblas_syrkx_herkx_small_restrict_kernelIifLi16ELb1ELb0ELc84ELc76EKPKfKPfEviT_T0_PT6_S5_lS8_S5_lS6_PT7_S5_li
	.p2align	8
	.type	_ZL41rocblas_syrkx_herkx_small_restrict_kernelIifLi16ELb1ELb0ELc84ELc76EKPKfKPfEviT_T0_PT6_S5_lS8_S5_lS6_PT7_S5_li,@function
_ZL41rocblas_syrkx_herkx_small_restrict_kernelIifLi16ELb1ELb0ELc84ELc76EKPKfKPfEviT_T0_PT6_S5_lS8_S5_lS6_PT7_S5_li: ; @_ZL41rocblas_syrkx_herkx_small_restrict_kernelIifLi16ELb1ELb0ELc84ELc76EKPKfKPfEviT_T0_PT6_S5_lS8_S5_lS6_PT7_S5_li
; %bb.0:
	s_clause 0x1
	s_load_b64 s[4:5], s[0:1], 0x48
	s_load_b64 s[2:3], s[0:1], 0x4
	s_mov_b32 s6, s15
	s_mov_b32 s7, 0
	v_and_b32_e32 v2, 0x3ff, v0
	s_lshl_b64 s[8:9], s[6:7], 3
	v_bfe_u32 v1, v0, 10, 10
	s_delay_alu instid0(VALU_DEP_2) | instskip(NEXT) | instid1(VALU_DEP_2)
	v_lshl_add_u32 v0, s13, 4, v2
	v_lshl_add_u32 v5, s14, 4, v1
	s_waitcnt lgkmcnt(0)
	s_add_u32 s4, s4, s8
	s_addc_u32 s5, s5, s9
	s_cmp_lt_i32 s2, 1
	s_load_b64 s[4:5], s[4:5], 0x0
	s_cbranch_scc1 .LBB500_6
; %bb.1:
	s_clause 0x3
	s_load_b64 s[10:11], s[0:1], 0x28
	s_load_b32 s6, s[0:1], 0x30
	s_load_b32 s14, s[0:1], 0x18
	s_load_b64 s[12:13], s[0:1], 0x10
	v_lshlrev_b32_e32 v6, 2, v2
	v_lshlrev_b32_e32 v4, 6, v1
	;; [unrolled: 1-line block ×3, first 2 shown]
	s_delay_alu instid0(VALU_DEP_2) | instskip(NEXT) | instid1(VALU_DEP_4)
	v_add_nc_u32_e32 v8, 0x400, v4
	v_add_nc_u32_e32 v9, v6, v4
	s_delay_alu instid0(VALU_DEP_2)
	v_add_nc_u32_e32 v10, v8, v6
	s_waitcnt lgkmcnt(0)
	s_add_u32 s10, s10, s8
	s_addc_u32 s11, s11, s9
	v_mad_i64_i32 v[2:3], null, s6, v5, 0
	s_load_b64 s[10:11], s[10:11], 0x0
	s_add_u32 s8, s12, s8
	s_addc_u32 s9, s13, s9
	v_mad_i64_i32 v[11:12], null, s14, v0, 0
	s_load_b64 s[8:9], s[8:9], 0x0
	s_delay_alu instid0(VALU_DEP_2) | instskip(NEXT) | instid1(VALU_DEP_2)
	v_lshlrev_b64 v[2:3], 2, v[2:3]
	v_lshlrev_b64 v[11:12], 2, v[11:12]
	s_delay_alu instid0(VALU_DEP_2) | instskip(NEXT) | instid1(VALU_DEP_3)
	v_add_co_u32 v2, vcc_lo, v2, v6
	v_add_co_ci_u32_e32 v3, vcc_lo, 0, v3, vcc_lo
	s_delay_alu instid0(VALU_DEP_3) | instskip(NEXT) | instid1(VALU_DEP_4)
	v_add_co_u32 v4, vcc_lo, v11, v1
	v_add_co_ci_u32_e32 v7, vcc_lo, 0, v12, vcc_lo
	s_waitcnt lgkmcnt(0)
	v_add_co_u32 v1, vcc_lo, s10, v2
	v_add_co_ci_u32_e32 v2, vcc_lo, s11, v3, vcc_lo
	v_add_co_u32 v3, vcc_lo, s8, v4
	v_add_co_ci_u32_e32 v4, vcc_lo, s9, v7, vcc_lo
	v_mov_b32_e32 v7, 0
.LBB500_2:                              ; =>This Inner Loop Header: Depth=1
	global_load_b32 v11, v[3:4], off
	global_load_b32 v12, v[1:2], off
	v_add_co_u32 v1, vcc_lo, v1, 64
	v_add_co_ci_u32_e32 v2, vcc_lo, 0, v2, vcc_lo
	v_add_co_u32 v3, vcc_lo, v3, 64
	v_add_co_ci_u32_e32 v4, vcc_lo, 0, v4, vcc_lo
	s_add_i32 s7, s7, 16
	s_waitcnt vmcnt(1)
	ds_store_b32 v9, v11
	s_waitcnt vmcnt(0)
	ds_store_b32 v10, v12
	s_waitcnt lgkmcnt(0)
	s_barrier
	buffer_gl0_inv
	ds_load_2addr_b32 v[19:20], v6 offset1:16
	ds_load_b128 v[11:14], v8
	ds_load_2addr_b32 v[21:22], v6 offset0:32 offset1:48
	ds_load_b128 v[15:18], v8 offset:16
	ds_load_2addr_b32 v[23:24], v6 offset0:64 offset1:80
	s_cmp_lt_i32 s7, s2
	s_waitcnt lgkmcnt(3)
	v_fmac_f32_e32 v7, v19, v11
	s_delay_alu instid0(VALU_DEP_1) | instskip(SKIP_3) | instid1(VALU_DEP_1)
	v_fmac_f32_e32 v7, v20, v12
	ds_load_2addr_b32 v[19:20], v6 offset0:96 offset1:112
	s_waitcnt lgkmcnt(3)
	v_fmac_f32_e32 v7, v21, v13
	v_fmac_f32_e32 v7, v22, v14
	ds_load_2addr_b32 v[21:22], v6 offset0:128 offset1:144
	ds_load_b128 v[11:14], v8 offset:32
	s_waitcnt lgkmcnt(3)
	v_fmac_f32_e32 v7, v23, v15
	s_delay_alu instid0(VALU_DEP_1) | instskip(SKIP_3) | instid1(VALU_DEP_1)
	v_fmac_f32_e32 v7, v24, v16
	ds_load_2addr_b32 v[23:24], v6 offset0:160 offset1:176
	s_waitcnt lgkmcnt(3)
	v_fmac_f32_e32 v7, v19, v17
	v_fmac_f32_e32 v7, v20, v18
	ds_load_b128 v[15:18], v8 offset:48
	ds_load_2addr_b32 v[19:20], v6 offset0:192 offset1:208
	s_waitcnt lgkmcnt(3)
	v_fmac_f32_e32 v7, v21, v11
	s_delay_alu instid0(VALU_DEP_1)
	v_fmac_f32_e32 v7, v22, v12
	ds_load_2addr_b32 v[11:12], v6 offset0:224 offset1:240
	s_waitcnt lgkmcnt(0)
	s_barrier
	buffer_gl0_inv
	v_fmac_f32_e32 v7, v23, v13
	s_delay_alu instid0(VALU_DEP_1) | instskip(NEXT) | instid1(VALU_DEP_1)
	v_fmac_f32_e32 v7, v24, v14
	v_fmac_f32_e32 v7, v19, v15
	s_delay_alu instid0(VALU_DEP_1) | instskip(NEXT) | instid1(VALU_DEP_1)
	v_fmac_f32_e32 v7, v20, v16
	v_fmac_f32_e32 v7, v11, v17
	s_delay_alu instid0(VALU_DEP_1)
	v_fmac_f32_e32 v7, v12, v18
	s_cbranch_scc1 .LBB500_2
; %bb.3:
	s_mov_b32 s2, exec_lo
	v_cmpx_le_i32_e64 v5, v0
	s_cbranch_execz .LBB500_5
.LBB500_4:
	s_load_b32 s0, s[0:1], 0x50
	v_ashrrev_i32_e32 v1, 31, v0
	v_mul_f32_e32 v4, s3, v7
	s_delay_alu instid0(VALU_DEP_2) | instskip(SKIP_2) | instid1(VALU_DEP_1)
	v_lshlrev_b64 v[0:1], 2, v[0:1]
	s_waitcnt lgkmcnt(0)
	v_mad_i64_i32 v[2:3], null, s0, v5, 0
	v_lshlrev_b64 v[2:3], 2, v[2:3]
	s_delay_alu instid0(VALU_DEP_1) | instskip(NEXT) | instid1(VALU_DEP_2)
	v_add_co_u32 v2, vcc_lo, s4, v2
	v_add_co_ci_u32_e32 v3, vcc_lo, s5, v3, vcc_lo
	s_delay_alu instid0(VALU_DEP_2) | instskip(NEXT) | instid1(VALU_DEP_2)
	v_add_co_u32 v0, vcc_lo, v2, v0
	v_add_co_ci_u32_e32 v1, vcc_lo, v3, v1, vcc_lo
	global_store_b32 v[0:1], v4, off
.LBB500_5:
	s_nop 0
	s_sendmsg sendmsg(MSG_DEALLOC_VGPRS)
	s_endpgm
.LBB500_6:
	v_mov_b32_e32 v7, 0
	s_mov_b32 s2, exec_lo
	v_cmpx_le_i32_e64 v5, v0
	s_cbranch_execnz .LBB500_4
	s_branch .LBB500_5
	.section	.rodata,"a",@progbits
	.p2align	6, 0x0
	.amdhsa_kernel _ZL41rocblas_syrkx_herkx_small_restrict_kernelIifLi16ELb1ELb0ELc84ELc76EKPKfKPfEviT_T0_PT6_S5_lS8_S5_lS6_PT7_S5_li
		.amdhsa_group_segment_fixed_size 2048
		.amdhsa_private_segment_fixed_size 0
		.amdhsa_kernarg_size 100
		.amdhsa_user_sgpr_count 13
		.amdhsa_user_sgpr_dispatch_ptr 0
		.amdhsa_user_sgpr_queue_ptr 0
		.amdhsa_user_sgpr_kernarg_segment_ptr 1
		.amdhsa_user_sgpr_dispatch_id 0
		.amdhsa_user_sgpr_private_segment_size 0
		.amdhsa_wavefront_size32 1
		.amdhsa_uses_dynamic_stack 0
		.amdhsa_enable_private_segment 0
		.amdhsa_system_sgpr_workgroup_id_x 1
		.amdhsa_system_sgpr_workgroup_id_y 1
		.amdhsa_system_sgpr_workgroup_id_z 1
		.amdhsa_system_sgpr_workgroup_info 0
		.amdhsa_system_vgpr_workitem_id 1
		.amdhsa_next_free_vgpr 25
		.amdhsa_next_free_sgpr 16
		.amdhsa_reserve_vcc 1
		.amdhsa_float_round_mode_32 0
		.amdhsa_float_round_mode_16_64 0
		.amdhsa_float_denorm_mode_32 3
		.amdhsa_float_denorm_mode_16_64 3
		.amdhsa_dx10_clamp 1
		.amdhsa_ieee_mode 1
		.amdhsa_fp16_overflow 0
		.amdhsa_workgroup_processor_mode 1
		.amdhsa_memory_ordered 1
		.amdhsa_forward_progress 0
		.amdhsa_shared_vgpr_count 0
		.amdhsa_exception_fp_ieee_invalid_op 0
		.amdhsa_exception_fp_denorm_src 0
		.amdhsa_exception_fp_ieee_div_zero 0
		.amdhsa_exception_fp_ieee_overflow 0
		.amdhsa_exception_fp_ieee_underflow 0
		.amdhsa_exception_fp_ieee_inexact 0
		.amdhsa_exception_int_div_zero 0
	.end_amdhsa_kernel
	.section	.text._ZL41rocblas_syrkx_herkx_small_restrict_kernelIifLi16ELb1ELb0ELc84ELc76EKPKfKPfEviT_T0_PT6_S5_lS8_S5_lS6_PT7_S5_li,"axG",@progbits,_ZL41rocblas_syrkx_herkx_small_restrict_kernelIifLi16ELb1ELb0ELc84ELc76EKPKfKPfEviT_T0_PT6_S5_lS8_S5_lS6_PT7_S5_li,comdat
.Lfunc_end500:
	.size	_ZL41rocblas_syrkx_herkx_small_restrict_kernelIifLi16ELb1ELb0ELc84ELc76EKPKfKPfEviT_T0_PT6_S5_lS8_S5_lS6_PT7_S5_li, .Lfunc_end500-_ZL41rocblas_syrkx_herkx_small_restrict_kernelIifLi16ELb1ELb0ELc84ELc76EKPKfKPfEviT_T0_PT6_S5_lS8_S5_lS6_PT7_S5_li
                                        ; -- End function
	.section	.AMDGPU.csdata,"",@progbits
; Kernel info:
; codeLenInByte = 756
; NumSgprs: 18
; NumVgprs: 25
; ScratchSize: 0
; MemoryBound: 0
; FloatMode: 240
; IeeeMode: 1
; LDSByteSize: 2048 bytes/workgroup (compile time only)
; SGPRBlocks: 2
; VGPRBlocks: 3
; NumSGPRsForWavesPerEU: 18
; NumVGPRsForWavesPerEU: 25
; Occupancy: 16
; WaveLimiterHint : 1
; COMPUTE_PGM_RSRC2:SCRATCH_EN: 0
; COMPUTE_PGM_RSRC2:USER_SGPR: 13
; COMPUTE_PGM_RSRC2:TRAP_HANDLER: 0
; COMPUTE_PGM_RSRC2:TGID_X_EN: 1
; COMPUTE_PGM_RSRC2:TGID_Y_EN: 1
; COMPUTE_PGM_RSRC2:TGID_Z_EN: 1
; COMPUTE_PGM_RSRC2:TIDIG_COMP_CNT: 1
	.section	.text._ZL41rocblas_syrkx_herkx_small_restrict_kernelIifLi16ELb1ELb0ELc67ELc76EKPKfKPfEviT_T0_PT6_S5_lS8_S5_lS6_PT7_S5_li,"axG",@progbits,_ZL41rocblas_syrkx_herkx_small_restrict_kernelIifLi16ELb1ELb0ELc67ELc76EKPKfKPfEviT_T0_PT6_S5_lS8_S5_lS6_PT7_S5_li,comdat
	.globl	_ZL41rocblas_syrkx_herkx_small_restrict_kernelIifLi16ELb1ELb0ELc67ELc76EKPKfKPfEviT_T0_PT6_S5_lS8_S5_lS6_PT7_S5_li ; -- Begin function _ZL41rocblas_syrkx_herkx_small_restrict_kernelIifLi16ELb1ELb0ELc67ELc76EKPKfKPfEviT_T0_PT6_S5_lS8_S5_lS6_PT7_S5_li
	.p2align	8
	.type	_ZL41rocblas_syrkx_herkx_small_restrict_kernelIifLi16ELb1ELb0ELc67ELc76EKPKfKPfEviT_T0_PT6_S5_lS8_S5_lS6_PT7_S5_li,@function
_ZL41rocblas_syrkx_herkx_small_restrict_kernelIifLi16ELb1ELb0ELc67ELc76EKPKfKPfEviT_T0_PT6_S5_lS8_S5_lS6_PT7_S5_li: ; @_ZL41rocblas_syrkx_herkx_small_restrict_kernelIifLi16ELb1ELb0ELc67ELc76EKPKfKPfEviT_T0_PT6_S5_lS8_S5_lS6_PT7_S5_li
; %bb.0:
	s_clause 0x1
	s_load_b64 s[4:5], s[0:1], 0x48
	s_load_b64 s[2:3], s[0:1], 0x4
	s_mov_b32 s6, s15
	s_mov_b32 s7, 0
	v_and_b32_e32 v2, 0x3ff, v0
	s_lshl_b64 s[8:9], s[6:7], 3
	v_bfe_u32 v1, v0, 10, 10
	s_delay_alu instid0(VALU_DEP_2) | instskip(NEXT) | instid1(VALU_DEP_2)
	v_lshl_add_u32 v0, s13, 4, v2
	v_lshl_add_u32 v5, s14, 4, v1
	s_waitcnt lgkmcnt(0)
	s_add_u32 s4, s4, s8
	s_addc_u32 s5, s5, s9
	s_cmp_lt_i32 s2, 1
	s_load_b64 s[4:5], s[4:5], 0x0
	s_cbranch_scc1 .LBB501_6
; %bb.1:
	s_clause 0x3
	s_load_b64 s[10:11], s[0:1], 0x28
	s_load_b32 s6, s[0:1], 0x30
	s_load_b32 s14, s[0:1], 0x18
	s_load_b64 s[12:13], s[0:1], 0x10
	v_lshlrev_b32_e32 v6, 2, v2
	v_lshlrev_b32_e32 v4, 6, v1
	;; [unrolled: 1-line block ×3, first 2 shown]
	s_delay_alu instid0(VALU_DEP_2) | instskip(NEXT) | instid1(VALU_DEP_4)
	v_add_nc_u32_e32 v8, 0x400, v4
	v_add_nc_u32_e32 v9, v6, v4
	s_delay_alu instid0(VALU_DEP_2)
	v_add_nc_u32_e32 v10, v8, v6
	s_waitcnt lgkmcnt(0)
	s_add_u32 s10, s10, s8
	s_addc_u32 s11, s11, s9
	v_mad_i64_i32 v[2:3], null, s6, v5, 0
	s_load_b64 s[10:11], s[10:11], 0x0
	s_add_u32 s8, s12, s8
	s_addc_u32 s9, s13, s9
	v_mad_i64_i32 v[11:12], null, s14, v0, 0
	s_load_b64 s[8:9], s[8:9], 0x0
	s_delay_alu instid0(VALU_DEP_2) | instskip(NEXT) | instid1(VALU_DEP_2)
	v_lshlrev_b64 v[2:3], 2, v[2:3]
	v_lshlrev_b64 v[11:12], 2, v[11:12]
	s_delay_alu instid0(VALU_DEP_2) | instskip(NEXT) | instid1(VALU_DEP_3)
	v_add_co_u32 v2, vcc_lo, v2, v6
	v_add_co_ci_u32_e32 v3, vcc_lo, 0, v3, vcc_lo
	s_delay_alu instid0(VALU_DEP_3) | instskip(NEXT) | instid1(VALU_DEP_4)
	v_add_co_u32 v4, vcc_lo, v11, v1
	v_add_co_ci_u32_e32 v7, vcc_lo, 0, v12, vcc_lo
	s_waitcnt lgkmcnt(0)
	v_add_co_u32 v1, vcc_lo, s10, v2
	v_add_co_ci_u32_e32 v2, vcc_lo, s11, v3, vcc_lo
	v_add_co_u32 v3, vcc_lo, s8, v4
	v_add_co_ci_u32_e32 v4, vcc_lo, s9, v7, vcc_lo
	v_mov_b32_e32 v7, 0
.LBB501_2:                              ; =>This Inner Loop Header: Depth=1
	global_load_b32 v11, v[3:4], off
	global_load_b32 v12, v[1:2], off
	v_add_co_u32 v1, vcc_lo, v1, 64
	v_add_co_ci_u32_e32 v2, vcc_lo, 0, v2, vcc_lo
	v_add_co_u32 v3, vcc_lo, v3, 64
	v_add_co_ci_u32_e32 v4, vcc_lo, 0, v4, vcc_lo
	s_add_i32 s7, s7, 16
	s_waitcnt vmcnt(1)
	ds_store_b32 v9, v11
	s_waitcnt vmcnt(0)
	ds_store_b32 v10, v12
	s_waitcnt lgkmcnt(0)
	s_barrier
	buffer_gl0_inv
	ds_load_2addr_b32 v[19:20], v6 offset1:16
	ds_load_b128 v[11:14], v8
	ds_load_2addr_b32 v[21:22], v6 offset0:32 offset1:48
	ds_load_b128 v[15:18], v8 offset:16
	ds_load_2addr_b32 v[23:24], v6 offset0:64 offset1:80
	s_cmp_lt_i32 s7, s2
	s_waitcnt lgkmcnt(3)
	v_fmac_f32_e32 v7, v19, v11
	s_delay_alu instid0(VALU_DEP_1) | instskip(SKIP_3) | instid1(VALU_DEP_1)
	v_fmac_f32_e32 v7, v20, v12
	ds_load_2addr_b32 v[19:20], v6 offset0:96 offset1:112
	s_waitcnt lgkmcnt(3)
	v_fmac_f32_e32 v7, v21, v13
	v_fmac_f32_e32 v7, v22, v14
	ds_load_2addr_b32 v[21:22], v6 offset0:128 offset1:144
	ds_load_b128 v[11:14], v8 offset:32
	s_waitcnt lgkmcnt(3)
	v_fmac_f32_e32 v7, v23, v15
	s_delay_alu instid0(VALU_DEP_1) | instskip(SKIP_3) | instid1(VALU_DEP_1)
	v_fmac_f32_e32 v7, v24, v16
	ds_load_2addr_b32 v[23:24], v6 offset0:160 offset1:176
	s_waitcnt lgkmcnt(3)
	v_fmac_f32_e32 v7, v19, v17
	v_fmac_f32_e32 v7, v20, v18
	ds_load_b128 v[15:18], v8 offset:48
	ds_load_2addr_b32 v[19:20], v6 offset0:192 offset1:208
	s_waitcnt lgkmcnt(3)
	v_fmac_f32_e32 v7, v21, v11
	s_delay_alu instid0(VALU_DEP_1)
	v_fmac_f32_e32 v7, v22, v12
	ds_load_2addr_b32 v[11:12], v6 offset0:224 offset1:240
	s_waitcnt lgkmcnt(0)
	s_barrier
	buffer_gl0_inv
	v_fmac_f32_e32 v7, v23, v13
	s_delay_alu instid0(VALU_DEP_1) | instskip(NEXT) | instid1(VALU_DEP_1)
	v_fmac_f32_e32 v7, v24, v14
	v_fmac_f32_e32 v7, v19, v15
	s_delay_alu instid0(VALU_DEP_1) | instskip(NEXT) | instid1(VALU_DEP_1)
	v_fmac_f32_e32 v7, v20, v16
	v_fmac_f32_e32 v7, v11, v17
	s_delay_alu instid0(VALU_DEP_1)
	v_fmac_f32_e32 v7, v12, v18
	s_cbranch_scc1 .LBB501_2
; %bb.3:
	s_mov_b32 s2, exec_lo
	v_cmpx_le_i32_e64 v5, v0
	s_cbranch_execz .LBB501_5
.LBB501_4:
	s_load_b32 s0, s[0:1], 0x50
	v_ashrrev_i32_e32 v1, 31, v0
	v_mul_f32_e32 v4, s3, v7
	s_delay_alu instid0(VALU_DEP_2) | instskip(SKIP_2) | instid1(VALU_DEP_1)
	v_lshlrev_b64 v[0:1], 2, v[0:1]
	s_waitcnt lgkmcnt(0)
	v_mad_i64_i32 v[2:3], null, s0, v5, 0
	v_lshlrev_b64 v[2:3], 2, v[2:3]
	s_delay_alu instid0(VALU_DEP_1) | instskip(NEXT) | instid1(VALU_DEP_2)
	v_add_co_u32 v2, vcc_lo, s4, v2
	v_add_co_ci_u32_e32 v3, vcc_lo, s5, v3, vcc_lo
	s_delay_alu instid0(VALU_DEP_2) | instskip(NEXT) | instid1(VALU_DEP_2)
	v_add_co_u32 v0, vcc_lo, v2, v0
	v_add_co_ci_u32_e32 v1, vcc_lo, v3, v1, vcc_lo
	global_store_b32 v[0:1], v4, off
.LBB501_5:
	s_nop 0
	s_sendmsg sendmsg(MSG_DEALLOC_VGPRS)
	s_endpgm
.LBB501_6:
	v_mov_b32_e32 v7, 0
	s_mov_b32 s2, exec_lo
	v_cmpx_le_i32_e64 v5, v0
	s_cbranch_execnz .LBB501_4
	s_branch .LBB501_5
	.section	.rodata,"a",@progbits
	.p2align	6, 0x0
	.amdhsa_kernel _ZL41rocblas_syrkx_herkx_small_restrict_kernelIifLi16ELb1ELb0ELc67ELc76EKPKfKPfEviT_T0_PT6_S5_lS8_S5_lS6_PT7_S5_li
		.amdhsa_group_segment_fixed_size 2048
		.amdhsa_private_segment_fixed_size 0
		.amdhsa_kernarg_size 100
		.amdhsa_user_sgpr_count 13
		.amdhsa_user_sgpr_dispatch_ptr 0
		.amdhsa_user_sgpr_queue_ptr 0
		.amdhsa_user_sgpr_kernarg_segment_ptr 1
		.amdhsa_user_sgpr_dispatch_id 0
		.amdhsa_user_sgpr_private_segment_size 0
		.amdhsa_wavefront_size32 1
		.amdhsa_uses_dynamic_stack 0
		.amdhsa_enable_private_segment 0
		.amdhsa_system_sgpr_workgroup_id_x 1
		.amdhsa_system_sgpr_workgroup_id_y 1
		.amdhsa_system_sgpr_workgroup_id_z 1
		.amdhsa_system_sgpr_workgroup_info 0
		.amdhsa_system_vgpr_workitem_id 1
		.amdhsa_next_free_vgpr 25
		.amdhsa_next_free_sgpr 16
		.amdhsa_reserve_vcc 1
		.amdhsa_float_round_mode_32 0
		.amdhsa_float_round_mode_16_64 0
		.amdhsa_float_denorm_mode_32 3
		.amdhsa_float_denorm_mode_16_64 3
		.amdhsa_dx10_clamp 1
		.amdhsa_ieee_mode 1
		.amdhsa_fp16_overflow 0
		.amdhsa_workgroup_processor_mode 1
		.amdhsa_memory_ordered 1
		.amdhsa_forward_progress 0
		.amdhsa_shared_vgpr_count 0
		.amdhsa_exception_fp_ieee_invalid_op 0
		.amdhsa_exception_fp_denorm_src 0
		.amdhsa_exception_fp_ieee_div_zero 0
		.amdhsa_exception_fp_ieee_overflow 0
		.amdhsa_exception_fp_ieee_underflow 0
		.amdhsa_exception_fp_ieee_inexact 0
		.amdhsa_exception_int_div_zero 0
	.end_amdhsa_kernel
	.section	.text._ZL41rocblas_syrkx_herkx_small_restrict_kernelIifLi16ELb1ELb0ELc67ELc76EKPKfKPfEviT_T0_PT6_S5_lS8_S5_lS6_PT7_S5_li,"axG",@progbits,_ZL41rocblas_syrkx_herkx_small_restrict_kernelIifLi16ELb1ELb0ELc67ELc76EKPKfKPfEviT_T0_PT6_S5_lS8_S5_lS6_PT7_S5_li,comdat
.Lfunc_end501:
	.size	_ZL41rocblas_syrkx_herkx_small_restrict_kernelIifLi16ELb1ELb0ELc67ELc76EKPKfKPfEviT_T0_PT6_S5_lS8_S5_lS6_PT7_S5_li, .Lfunc_end501-_ZL41rocblas_syrkx_herkx_small_restrict_kernelIifLi16ELb1ELb0ELc67ELc76EKPKfKPfEviT_T0_PT6_S5_lS8_S5_lS6_PT7_S5_li
                                        ; -- End function
	.section	.AMDGPU.csdata,"",@progbits
; Kernel info:
; codeLenInByte = 756
; NumSgprs: 18
; NumVgprs: 25
; ScratchSize: 0
; MemoryBound: 0
; FloatMode: 240
; IeeeMode: 1
; LDSByteSize: 2048 bytes/workgroup (compile time only)
; SGPRBlocks: 2
; VGPRBlocks: 3
; NumSGPRsForWavesPerEU: 18
; NumVGPRsForWavesPerEU: 25
; Occupancy: 16
; WaveLimiterHint : 1
; COMPUTE_PGM_RSRC2:SCRATCH_EN: 0
; COMPUTE_PGM_RSRC2:USER_SGPR: 13
; COMPUTE_PGM_RSRC2:TRAP_HANDLER: 0
; COMPUTE_PGM_RSRC2:TGID_X_EN: 1
; COMPUTE_PGM_RSRC2:TGID_Y_EN: 1
; COMPUTE_PGM_RSRC2:TGID_Z_EN: 1
; COMPUTE_PGM_RSRC2:TIDIG_COMP_CNT: 1
	.section	.text._ZL41rocblas_syrkx_herkx_small_restrict_kernelIifLi16ELb1ELb0ELc78ELc76EKPKfKPfEviT_T0_PT6_S5_lS8_S5_lS6_PT7_S5_li,"axG",@progbits,_ZL41rocblas_syrkx_herkx_small_restrict_kernelIifLi16ELb1ELb0ELc78ELc76EKPKfKPfEviT_T0_PT6_S5_lS8_S5_lS6_PT7_S5_li,comdat
	.globl	_ZL41rocblas_syrkx_herkx_small_restrict_kernelIifLi16ELb1ELb0ELc78ELc76EKPKfKPfEviT_T0_PT6_S5_lS8_S5_lS6_PT7_S5_li ; -- Begin function _ZL41rocblas_syrkx_herkx_small_restrict_kernelIifLi16ELb1ELb0ELc78ELc76EKPKfKPfEviT_T0_PT6_S5_lS8_S5_lS6_PT7_S5_li
	.p2align	8
	.type	_ZL41rocblas_syrkx_herkx_small_restrict_kernelIifLi16ELb1ELb0ELc78ELc76EKPKfKPfEviT_T0_PT6_S5_lS8_S5_lS6_PT7_S5_li,@function
_ZL41rocblas_syrkx_herkx_small_restrict_kernelIifLi16ELb1ELb0ELc78ELc76EKPKfKPfEviT_T0_PT6_S5_lS8_S5_lS6_PT7_S5_li: ; @_ZL41rocblas_syrkx_herkx_small_restrict_kernelIifLi16ELb1ELb0ELc78ELc76EKPKfKPfEviT_T0_PT6_S5_lS8_S5_lS6_PT7_S5_li
; %bb.0:
	s_clause 0x1
	s_load_b64 s[4:5], s[0:1], 0x48
	s_load_b64 s[2:3], s[0:1], 0x4
	s_mov_b32 s6, s15
	s_mov_b32 s7, 0
	v_and_b32_e32 v5, 0x3ff, v0
	s_lshl_b64 s[8:9], s[6:7], 3
	v_bfe_u32 v4, v0, 10, 10
	s_delay_alu instid0(VALU_DEP_2) | instskip(NEXT) | instid1(VALU_DEP_2)
	v_lshl_add_u32 v0, s13, 4, v5
	v_lshl_add_u32 v2, s14, 4, v4
	s_delay_alu instid0(VALU_DEP_2)
	v_ashrrev_i32_e32 v1, 31, v0
	s_waitcnt lgkmcnt(0)
	s_add_u32 s4, s4, s8
	s_addc_u32 s5, s5, s9
	s_cmp_lt_i32 s2, 1
	s_load_b64 s[4:5], s[4:5], 0x0
	s_cbranch_scc1 .LBB502_6
; %bb.1:
	s_clause 0x3
	s_load_b32 s10, s[0:1], 0x18
	s_load_b32 s12, s[0:1], 0x30
	s_load_b64 s[14:15], s[0:1], 0x28
	s_load_b64 s[16:17], s[0:1], 0x10
	v_lshlrev_b32_e32 v7, 2, v5
	v_ashrrev_i32_e32 v3, 31, v2
	v_lshlrev_b32_e32 v8, 6, v4
	v_lshlrev_b64 v[14:15], 2, v[0:1]
	s_delay_alu instid0(VALU_DEP_2)
	v_add_nc_u32_e32 v9, 0x400, v8
	s_waitcnt lgkmcnt(0)
	s_ashr_i32 s11, s10, 31
	s_ashr_i32 s13, s12, 31
	s_add_u32 s14, s14, s8
	s_addc_u32 s15, s15, s9
	v_mad_i64_i32 v[10:11], null, s12, v5, 0
	s_load_b64 s[14:15], s[14:15], 0x0
	s_add_u32 s8, s16, s8
	s_addc_u32 s9, s17, s9
	v_mad_i64_i32 v[5:6], null, s10, v4, 0
	s_load_b64 s[8:9], s[8:9], 0x0
	v_lshlrev_b64 v[3:4], 2, v[2:3]
	s_delay_alu instid0(VALU_DEP_3) | instskip(SKIP_4) | instid1(VALU_DEP_4)
	v_lshlrev_b64 v[12:13], 2, v[10:11]
	v_add_nc_u32_e32 v10, v7, v8
	v_dual_mov_b32 v8, 0 :: v_dual_add_nc_u32 v11, v9, v7
	v_lshlrev_b64 v[5:6], 2, v[5:6]
	s_lshl_b64 s[10:11], s[10:11], 6
	v_add_co_u32 v3, vcc_lo, v12, v3
	v_add_co_ci_u32_e32 v4, vcc_lo, v13, v4, vcc_lo
	s_delay_alu instid0(VALU_DEP_3) | instskip(NEXT) | instid1(VALU_DEP_4)
	v_add_co_u32 v5, vcc_lo, v5, v14
	v_add_co_ci_u32_e32 v6, vcc_lo, v6, v15, vcc_lo
	s_waitcnt lgkmcnt(0)
	v_add_co_u32 v3, vcc_lo, s14, v3
	v_add_co_ci_u32_e32 v4, vcc_lo, s15, v4, vcc_lo
	v_add_co_u32 v5, vcc_lo, s8, v5
	v_add_co_ci_u32_e32 v6, vcc_lo, s9, v6, vcc_lo
	s_lshl_b64 s[8:9], s[12:13], 6
.LBB502_2:                              ; =>This Inner Loop Header: Depth=1
	global_load_b32 v12, v[5:6], off
	global_load_b32 v13, v[3:4], off
	v_add_co_u32 v3, vcc_lo, v3, s8
	v_add_co_ci_u32_e32 v4, vcc_lo, s9, v4, vcc_lo
	v_add_co_u32 v5, vcc_lo, v5, s10
	v_add_co_ci_u32_e32 v6, vcc_lo, s11, v6, vcc_lo
	s_add_i32 s7, s7, 16
	s_waitcnt vmcnt(1)
	ds_store_b32 v10, v12
	s_waitcnt vmcnt(0)
	ds_store_b32 v11, v13
	s_waitcnt lgkmcnt(0)
	s_barrier
	buffer_gl0_inv
	ds_load_2addr_b32 v[20:21], v7 offset1:16
	ds_load_b128 v[12:15], v9
	ds_load_2addr_b32 v[22:23], v7 offset0:32 offset1:48
	ds_load_b128 v[16:19], v9 offset:16
	ds_load_2addr_b32 v[24:25], v7 offset0:64 offset1:80
	s_cmp_lt_i32 s7, s2
	s_waitcnt lgkmcnt(3)
	v_fmac_f32_e32 v8, v20, v12
	s_delay_alu instid0(VALU_DEP_1) | instskip(SKIP_3) | instid1(VALU_DEP_1)
	v_fmac_f32_e32 v8, v21, v13
	ds_load_2addr_b32 v[20:21], v7 offset0:96 offset1:112
	s_waitcnt lgkmcnt(3)
	v_fmac_f32_e32 v8, v22, v14
	v_fmac_f32_e32 v8, v23, v15
	ds_load_2addr_b32 v[22:23], v7 offset0:128 offset1:144
	ds_load_b128 v[12:15], v9 offset:32
	s_waitcnt lgkmcnt(3)
	v_fmac_f32_e32 v8, v24, v16
	s_delay_alu instid0(VALU_DEP_1) | instskip(SKIP_3) | instid1(VALU_DEP_1)
	v_fmac_f32_e32 v8, v25, v17
	ds_load_2addr_b32 v[24:25], v7 offset0:160 offset1:176
	s_waitcnt lgkmcnt(3)
	v_fmac_f32_e32 v8, v20, v18
	v_fmac_f32_e32 v8, v21, v19
	ds_load_b128 v[16:19], v9 offset:48
	ds_load_2addr_b32 v[20:21], v7 offset0:192 offset1:208
	s_waitcnt lgkmcnt(3)
	v_fmac_f32_e32 v8, v22, v12
	s_delay_alu instid0(VALU_DEP_1)
	v_fmac_f32_e32 v8, v23, v13
	ds_load_2addr_b32 v[12:13], v7 offset0:224 offset1:240
	s_waitcnt lgkmcnt(0)
	s_barrier
	buffer_gl0_inv
	v_fmac_f32_e32 v8, v24, v14
	s_delay_alu instid0(VALU_DEP_1) | instskip(NEXT) | instid1(VALU_DEP_1)
	v_fmac_f32_e32 v8, v25, v15
	v_fmac_f32_e32 v8, v20, v16
	s_delay_alu instid0(VALU_DEP_1) | instskip(NEXT) | instid1(VALU_DEP_1)
	v_fmac_f32_e32 v8, v21, v17
	v_fmac_f32_e32 v8, v12, v18
	s_delay_alu instid0(VALU_DEP_1)
	v_fmac_f32_e32 v8, v13, v19
	s_cbranch_scc1 .LBB502_2
; %bb.3:
	s_mov_b32 s2, exec_lo
	v_cmpx_le_i32_e64 v2, v0
	s_cbranch_execz .LBB502_5
.LBB502_4:
	s_load_b32 s0, s[0:1], 0x50
	v_lshlrev_b64 v[0:1], 2, v[0:1]
	s_waitcnt lgkmcnt(0)
	v_mad_i64_i32 v[3:4], null, s0, v2, 0
	s_delay_alu instid0(VALU_DEP_1) | instskip(SKIP_1) | instid1(VALU_DEP_2)
	v_lshlrev_b64 v[2:3], 2, v[3:4]
	v_mul_f32_e32 v4, s3, v8
	v_add_co_u32 v2, vcc_lo, s4, v2
	s_delay_alu instid0(VALU_DEP_3) | instskip(NEXT) | instid1(VALU_DEP_2)
	v_add_co_ci_u32_e32 v3, vcc_lo, s5, v3, vcc_lo
	v_add_co_u32 v0, vcc_lo, v2, v0
	s_delay_alu instid0(VALU_DEP_2)
	v_add_co_ci_u32_e32 v1, vcc_lo, v3, v1, vcc_lo
	global_store_b32 v[0:1], v4, off
.LBB502_5:
	s_nop 0
	s_sendmsg sendmsg(MSG_DEALLOC_VGPRS)
	s_endpgm
.LBB502_6:
	v_mov_b32_e32 v8, 0
	s_mov_b32 s2, exec_lo
	v_cmpx_le_i32_e64 v2, v0
	s_cbranch_execnz .LBB502_4
	s_branch .LBB502_5
	.section	.rodata,"a",@progbits
	.p2align	6, 0x0
	.amdhsa_kernel _ZL41rocblas_syrkx_herkx_small_restrict_kernelIifLi16ELb1ELb0ELc78ELc76EKPKfKPfEviT_T0_PT6_S5_lS8_S5_lS6_PT7_S5_li
		.amdhsa_group_segment_fixed_size 2048
		.amdhsa_private_segment_fixed_size 0
		.amdhsa_kernarg_size 100
		.amdhsa_user_sgpr_count 13
		.amdhsa_user_sgpr_dispatch_ptr 0
		.amdhsa_user_sgpr_queue_ptr 0
		.amdhsa_user_sgpr_kernarg_segment_ptr 1
		.amdhsa_user_sgpr_dispatch_id 0
		.amdhsa_user_sgpr_private_segment_size 0
		.amdhsa_wavefront_size32 1
		.amdhsa_uses_dynamic_stack 0
		.amdhsa_enable_private_segment 0
		.amdhsa_system_sgpr_workgroup_id_x 1
		.amdhsa_system_sgpr_workgroup_id_y 1
		.amdhsa_system_sgpr_workgroup_id_z 1
		.amdhsa_system_sgpr_workgroup_info 0
		.amdhsa_system_vgpr_workitem_id 1
		.amdhsa_next_free_vgpr 26
		.amdhsa_next_free_sgpr 18
		.amdhsa_reserve_vcc 1
		.amdhsa_float_round_mode_32 0
		.amdhsa_float_round_mode_16_64 0
		.amdhsa_float_denorm_mode_32 3
		.amdhsa_float_denorm_mode_16_64 3
		.amdhsa_dx10_clamp 1
		.amdhsa_ieee_mode 1
		.amdhsa_fp16_overflow 0
		.amdhsa_workgroup_processor_mode 1
		.amdhsa_memory_ordered 1
		.amdhsa_forward_progress 0
		.amdhsa_shared_vgpr_count 0
		.amdhsa_exception_fp_ieee_invalid_op 0
		.amdhsa_exception_fp_denorm_src 0
		.amdhsa_exception_fp_ieee_div_zero 0
		.amdhsa_exception_fp_ieee_overflow 0
		.amdhsa_exception_fp_ieee_underflow 0
		.amdhsa_exception_fp_ieee_inexact 0
		.amdhsa_exception_int_div_zero 0
	.end_amdhsa_kernel
	.section	.text._ZL41rocblas_syrkx_herkx_small_restrict_kernelIifLi16ELb1ELb0ELc78ELc76EKPKfKPfEviT_T0_PT6_S5_lS8_S5_lS6_PT7_S5_li,"axG",@progbits,_ZL41rocblas_syrkx_herkx_small_restrict_kernelIifLi16ELb1ELb0ELc78ELc76EKPKfKPfEviT_T0_PT6_S5_lS8_S5_lS6_PT7_S5_li,comdat
.Lfunc_end502:
	.size	_ZL41rocblas_syrkx_herkx_small_restrict_kernelIifLi16ELb1ELb0ELc78ELc76EKPKfKPfEviT_T0_PT6_S5_lS8_S5_lS6_PT7_S5_li, .Lfunc_end502-_ZL41rocblas_syrkx_herkx_small_restrict_kernelIifLi16ELb1ELb0ELc78ELc76EKPKfKPfEviT_T0_PT6_S5_lS8_S5_lS6_PT7_S5_li
                                        ; -- End function
	.section	.AMDGPU.csdata,"",@progbits
; Kernel info:
; codeLenInByte = 784
; NumSgprs: 20
; NumVgprs: 26
; ScratchSize: 0
; MemoryBound: 0
; FloatMode: 240
; IeeeMode: 1
; LDSByteSize: 2048 bytes/workgroup (compile time only)
; SGPRBlocks: 2
; VGPRBlocks: 3
; NumSGPRsForWavesPerEU: 20
; NumVGPRsForWavesPerEU: 26
; Occupancy: 16
; WaveLimiterHint : 1
; COMPUTE_PGM_RSRC2:SCRATCH_EN: 0
; COMPUTE_PGM_RSRC2:USER_SGPR: 13
; COMPUTE_PGM_RSRC2:TRAP_HANDLER: 0
; COMPUTE_PGM_RSRC2:TGID_X_EN: 1
; COMPUTE_PGM_RSRC2:TGID_Y_EN: 1
; COMPUTE_PGM_RSRC2:TGID_Z_EN: 1
; COMPUTE_PGM_RSRC2:TIDIG_COMP_CNT: 1
	.section	.text._ZL41rocblas_syrkx_herkx_small_restrict_kernelIifLi16ELb1ELb0ELc84ELc85EKPKfKPfEviT_T0_PT6_S5_lS8_S5_lS6_PT7_S5_li,"axG",@progbits,_ZL41rocblas_syrkx_herkx_small_restrict_kernelIifLi16ELb1ELb0ELc84ELc85EKPKfKPfEviT_T0_PT6_S5_lS8_S5_lS6_PT7_S5_li,comdat
	.globl	_ZL41rocblas_syrkx_herkx_small_restrict_kernelIifLi16ELb1ELb0ELc84ELc85EKPKfKPfEviT_T0_PT6_S5_lS8_S5_lS6_PT7_S5_li ; -- Begin function _ZL41rocblas_syrkx_herkx_small_restrict_kernelIifLi16ELb1ELb0ELc84ELc85EKPKfKPfEviT_T0_PT6_S5_lS8_S5_lS6_PT7_S5_li
	.p2align	8
	.type	_ZL41rocblas_syrkx_herkx_small_restrict_kernelIifLi16ELb1ELb0ELc84ELc85EKPKfKPfEviT_T0_PT6_S5_lS8_S5_lS6_PT7_S5_li,@function
_ZL41rocblas_syrkx_herkx_small_restrict_kernelIifLi16ELb1ELb0ELc84ELc85EKPKfKPfEviT_T0_PT6_S5_lS8_S5_lS6_PT7_S5_li: ; @_ZL41rocblas_syrkx_herkx_small_restrict_kernelIifLi16ELb1ELb0ELc84ELc85EKPKfKPfEviT_T0_PT6_S5_lS8_S5_lS6_PT7_S5_li
; %bb.0:
	s_clause 0x1
	s_load_b64 s[4:5], s[0:1], 0x48
	s_load_b64 s[2:3], s[0:1], 0x4
	s_mov_b32 s6, s15
	s_mov_b32 s7, 0
	v_and_b32_e32 v2, 0x3ff, v0
	s_lshl_b64 s[8:9], s[6:7], 3
	v_bfe_u32 v1, v0, 10, 10
	s_delay_alu instid0(VALU_DEP_2) | instskip(NEXT) | instid1(VALU_DEP_2)
	v_lshl_add_u32 v0, s13, 4, v2
	v_lshl_add_u32 v5, s14, 4, v1
	s_waitcnt lgkmcnt(0)
	s_add_u32 s4, s4, s8
	s_addc_u32 s5, s5, s9
	s_cmp_lt_i32 s2, 1
	s_load_b64 s[4:5], s[4:5], 0x0
	s_cbranch_scc1 .LBB503_6
; %bb.1:
	s_clause 0x3
	s_load_b64 s[10:11], s[0:1], 0x28
	s_load_b32 s6, s[0:1], 0x30
	s_load_b32 s14, s[0:1], 0x18
	s_load_b64 s[12:13], s[0:1], 0x10
	v_lshlrev_b32_e32 v6, 2, v2
	v_lshlrev_b32_e32 v4, 6, v1
	;; [unrolled: 1-line block ×3, first 2 shown]
	s_delay_alu instid0(VALU_DEP_2) | instskip(NEXT) | instid1(VALU_DEP_4)
	v_add_nc_u32_e32 v8, 0x400, v4
	v_add_nc_u32_e32 v9, v6, v4
	s_delay_alu instid0(VALU_DEP_2)
	v_add_nc_u32_e32 v10, v8, v6
	s_waitcnt lgkmcnt(0)
	s_add_u32 s10, s10, s8
	s_addc_u32 s11, s11, s9
	v_mad_i64_i32 v[2:3], null, s6, v5, 0
	s_load_b64 s[10:11], s[10:11], 0x0
	s_add_u32 s8, s12, s8
	s_addc_u32 s9, s13, s9
	v_mad_i64_i32 v[11:12], null, s14, v0, 0
	s_load_b64 s[8:9], s[8:9], 0x0
	s_delay_alu instid0(VALU_DEP_2) | instskip(NEXT) | instid1(VALU_DEP_2)
	v_lshlrev_b64 v[2:3], 2, v[2:3]
	v_lshlrev_b64 v[11:12], 2, v[11:12]
	s_delay_alu instid0(VALU_DEP_2) | instskip(NEXT) | instid1(VALU_DEP_3)
	v_add_co_u32 v2, vcc_lo, v2, v6
	v_add_co_ci_u32_e32 v3, vcc_lo, 0, v3, vcc_lo
	s_delay_alu instid0(VALU_DEP_3) | instskip(NEXT) | instid1(VALU_DEP_4)
	v_add_co_u32 v4, vcc_lo, v11, v1
	v_add_co_ci_u32_e32 v7, vcc_lo, 0, v12, vcc_lo
	s_waitcnt lgkmcnt(0)
	v_add_co_u32 v1, vcc_lo, s10, v2
	v_add_co_ci_u32_e32 v2, vcc_lo, s11, v3, vcc_lo
	v_add_co_u32 v3, vcc_lo, s8, v4
	v_add_co_ci_u32_e32 v4, vcc_lo, s9, v7, vcc_lo
	v_mov_b32_e32 v7, 0
.LBB503_2:                              ; =>This Inner Loop Header: Depth=1
	global_load_b32 v11, v[3:4], off
	global_load_b32 v12, v[1:2], off
	v_add_co_u32 v1, vcc_lo, v1, 64
	v_add_co_ci_u32_e32 v2, vcc_lo, 0, v2, vcc_lo
	v_add_co_u32 v3, vcc_lo, v3, 64
	v_add_co_ci_u32_e32 v4, vcc_lo, 0, v4, vcc_lo
	s_add_i32 s7, s7, 16
	s_waitcnt vmcnt(1)
	ds_store_b32 v9, v11
	s_waitcnt vmcnt(0)
	ds_store_b32 v10, v12
	s_waitcnt lgkmcnt(0)
	s_barrier
	buffer_gl0_inv
	ds_load_2addr_b32 v[19:20], v6 offset1:16
	ds_load_b128 v[11:14], v8
	ds_load_2addr_b32 v[21:22], v6 offset0:32 offset1:48
	ds_load_b128 v[15:18], v8 offset:16
	ds_load_2addr_b32 v[23:24], v6 offset0:64 offset1:80
	s_cmp_lt_i32 s7, s2
	s_waitcnt lgkmcnt(3)
	v_fmac_f32_e32 v7, v19, v11
	s_delay_alu instid0(VALU_DEP_1) | instskip(SKIP_3) | instid1(VALU_DEP_1)
	v_fmac_f32_e32 v7, v20, v12
	ds_load_2addr_b32 v[19:20], v6 offset0:96 offset1:112
	s_waitcnt lgkmcnt(3)
	v_fmac_f32_e32 v7, v21, v13
	v_fmac_f32_e32 v7, v22, v14
	ds_load_2addr_b32 v[21:22], v6 offset0:128 offset1:144
	ds_load_b128 v[11:14], v8 offset:32
	s_waitcnt lgkmcnt(3)
	v_fmac_f32_e32 v7, v23, v15
	s_delay_alu instid0(VALU_DEP_1) | instskip(SKIP_3) | instid1(VALU_DEP_1)
	v_fmac_f32_e32 v7, v24, v16
	ds_load_2addr_b32 v[23:24], v6 offset0:160 offset1:176
	s_waitcnt lgkmcnt(3)
	v_fmac_f32_e32 v7, v19, v17
	v_fmac_f32_e32 v7, v20, v18
	ds_load_b128 v[15:18], v8 offset:48
	ds_load_2addr_b32 v[19:20], v6 offset0:192 offset1:208
	s_waitcnt lgkmcnt(3)
	v_fmac_f32_e32 v7, v21, v11
	s_delay_alu instid0(VALU_DEP_1)
	v_fmac_f32_e32 v7, v22, v12
	ds_load_2addr_b32 v[11:12], v6 offset0:224 offset1:240
	s_waitcnt lgkmcnt(0)
	s_barrier
	buffer_gl0_inv
	v_fmac_f32_e32 v7, v23, v13
	s_delay_alu instid0(VALU_DEP_1) | instskip(NEXT) | instid1(VALU_DEP_1)
	v_fmac_f32_e32 v7, v24, v14
	v_fmac_f32_e32 v7, v19, v15
	s_delay_alu instid0(VALU_DEP_1) | instskip(NEXT) | instid1(VALU_DEP_1)
	v_fmac_f32_e32 v7, v20, v16
	v_fmac_f32_e32 v7, v11, v17
	s_delay_alu instid0(VALU_DEP_1)
	v_fmac_f32_e32 v7, v12, v18
	s_cbranch_scc1 .LBB503_2
; %bb.3:
	s_mov_b32 s2, exec_lo
	v_cmpx_le_i32_e64 v0, v5
	s_cbranch_execz .LBB503_5
.LBB503_4:
	s_load_b32 s0, s[0:1], 0x50
	v_ashrrev_i32_e32 v1, 31, v0
	v_mul_f32_e32 v4, s3, v7
	s_delay_alu instid0(VALU_DEP_2) | instskip(SKIP_2) | instid1(VALU_DEP_1)
	v_lshlrev_b64 v[0:1], 2, v[0:1]
	s_waitcnt lgkmcnt(0)
	v_mad_i64_i32 v[2:3], null, s0, v5, 0
	v_lshlrev_b64 v[2:3], 2, v[2:3]
	s_delay_alu instid0(VALU_DEP_1) | instskip(NEXT) | instid1(VALU_DEP_2)
	v_add_co_u32 v2, vcc_lo, s4, v2
	v_add_co_ci_u32_e32 v3, vcc_lo, s5, v3, vcc_lo
	s_delay_alu instid0(VALU_DEP_2) | instskip(NEXT) | instid1(VALU_DEP_2)
	v_add_co_u32 v0, vcc_lo, v2, v0
	v_add_co_ci_u32_e32 v1, vcc_lo, v3, v1, vcc_lo
	global_store_b32 v[0:1], v4, off
.LBB503_5:
	s_nop 0
	s_sendmsg sendmsg(MSG_DEALLOC_VGPRS)
	s_endpgm
.LBB503_6:
	v_mov_b32_e32 v7, 0
	s_mov_b32 s2, exec_lo
	v_cmpx_le_i32_e64 v0, v5
	s_cbranch_execnz .LBB503_4
	s_branch .LBB503_5
	.section	.rodata,"a",@progbits
	.p2align	6, 0x0
	.amdhsa_kernel _ZL41rocblas_syrkx_herkx_small_restrict_kernelIifLi16ELb1ELb0ELc84ELc85EKPKfKPfEviT_T0_PT6_S5_lS8_S5_lS6_PT7_S5_li
		.amdhsa_group_segment_fixed_size 2048
		.amdhsa_private_segment_fixed_size 0
		.amdhsa_kernarg_size 100
		.amdhsa_user_sgpr_count 13
		.amdhsa_user_sgpr_dispatch_ptr 0
		.amdhsa_user_sgpr_queue_ptr 0
		.amdhsa_user_sgpr_kernarg_segment_ptr 1
		.amdhsa_user_sgpr_dispatch_id 0
		.amdhsa_user_sgpr_private_segment_size 0
		.amdhsa_wavefront_size32 1
		.amdhsa_uses_dynamic_stack 0
		.amdhsa_enable_private_segment 0
		.amdhsa_system_sgpr_workgroup_id_x 1
		.amdhsa_system_sgpr_workgroup_id_y 1
		.amdhsa_system_sgpr_workgroup_id_z 1
		.amdhsa_system_sgpr_workgroup_info 0
		.amdhsa_system_vgpr_workitem_id 1
		.amdhsa_next_free_vgpr 25
		.amdhsa_next_free_sgpr 16
		.amdhsa_reserve_vcc 1
		.amdhsa_float_round_mode_32 0
		.amdhsa_float_round_mode_16_64 0
		.amdhsa_float_denorm_mode_32 3
		.amdhsa_float_denorm_mode_16_64 3
		.amdhsa_dx10_clamp 1
		.amdhsa_ieee_mode 1
		.amdhsa_fp16_overflow 0
		.amdhsa_workgroup_processor_mode 1
		.amdhsa_memory_ordered 1
		.amdhsa_forward_progress 0
		.amdhsa_shared_vgpr_count 0
		.amdhsa_exception_fp_ieee_invalid_op 0
		.amdhsa_exception_fp_denorm_src 0
		.amdhsa_exception_fp_ieee_div_zero 0
		.amdhsa_exception_fp_ieee_overflow 0
		.amdhsa_exception_fp_ieee_underflow 0
		.amdhsa_exception_fp_ieee_inexact 0
		.amdhsa_exception_int_div_zero 0
	.end_amdhsa_kernel
	.section	.text._ZL41rocblas_syrkx_herkx_small_restrict_kernelIifLi16ELb1ELb0ELc84ELc85EKPKfKPfEviT_T0_PT6_S5_lS8_S5_lS6_PT7_S5_li,"axG",@progbits,_ZL41rocblas_syrkx_herkx_small_restrict_kernelIifLi16ELb1ELb0ELc84ELc85EKPKfKPfEviT_T0_PT6_S5_lS8_S5_lS6_PT7_S5_li,comdat
.Lfunc_end503:
	.size	_ZL41rocblas_syrkx_herkx_small_restrict_kernelIifLi16ELb1ELb0ELc84ELc85EKPKfKPfEviT_T0_PT6_S5_lS8_S5_lS6_PT7_S5_li, .Lfunc_end503-_ZL41rocblas_syrkx_herkx_small_restrict_kernelIifLi16ELb1ELb0ELc84ELc85EKPKfKPfEviT_T0_PT6_S5_lS8_S5_lS6_PT7_S5_li
                                        ; -- End function
	.section	.AMDGPU.csdata,"",@progbits
; Kernel info:
; codeLenInByte = 756
; NumSgprs: 18
; NumVgprs: 25
; ScratchSize: 0
; MemoryBound: 0
; FloatMode: 240
; IeeeMode: 1
; LDSByteSize: 2048 bytes/workgroup (compile time only)
; SGPRBlocks: 2
; VGPRBlocks: 3
; NumSGPRsForWavesPerEU: 18
; NumVGPRsForWavesPerEU: 25
; Occupancy: 16
; WaveLimiterHint : 1
; COMPUTE_PGM_RSRC2:SCRATCH_EN: 0
; COMPUTE_PGM_RSRC2:USER_SGPR: 13
; COMPUTE_PGM_RSRC2:TRAP_HANDLER: 0
; COMPUTE_PGM_RSRC2:TGID_X_EN: 1
; COMPUTE_PGM_RSRC2:TGID_Y_EN: 1
; COMPUTE_PGM_RSRC2:TGID_Z_EN: 1
; COMPUTE_PGM_RSRC2:TIDIG_COMP_CNT: 1
	.section	.text._ZL41rocblas_syrkx_herkx_small_restrict_kernelIifLi16ELb1ELb0ELc67ELc85EKPKfKPfEviT_T0_PT6_S5_lS8_S5_lS6_PT7_S5_li,"axG",@progbits,_ZL41rocblas_syrkx_herkx_small_restrict_kernelIifLi16ELb1ELb0ELc67ELc85EKPKfKPfEviT_T0_PT6_S5_lS8_S5_lS6_PT7_S5_li,comdat
	.globl	_ZL41rocblas_syrkx_herkx_small_restrict_kernelIifLi16ELb1ELb0ELc67ELc85EKPKfKPfEviT_T0_PT6_S5_lS8_S5_lS6_PT7_S5_li ; -- Begin function _ZL41rocblas_syrkx_herkx_small_restrict_kernelIifLi16ELb1ELb0ELc67ELc85EKPKfKPfEviT_T0_PT6_S5_lS8_S5_lS6_PT7_S5_li
	.p2align	8
	.type	_ZL41rocblas_syrkx_herkx_small_restrict_kernelIifLi16ELb1ELb0ELc67ELc85EKPKfKPfEviT_T0_PT6_S5_lS8_S5_lS6_PT7_S5_li,@function
_ZL41rocblas_syrkx_herkx_small_restrict_kernelIifLi16ELb1ELb0ELc67ELc85EKPKfKPfEviT_T0_PT6_S5_lS8_S5_lS6_PT7_S5_li: ; @_ZL41rocblas_syrkx_herkx_small_restrict_kernelIifLi16ELb1ELb0ELc67ELc85EKPKfKPfEviT_T0_PT6_S5_lS8_S5_lS6_PT7_S5_li
; %bb.0:
	s_clause 0x1
	s_load_b64 s[4:5], s[0:1], 0x48
	s_load_b64 s[2:3], s[0:1], 0x4
	s_mov_b32 s6, s15
	s_mov_b32 s7, 0
	v_and_b32_e32 v2, 0x3ff, v0
	s_lshl_b64 s[8:9], s[6:7], 3
	v_bfe_u32 v1, v0, 10, 10
	s_delay_alu instid0(VALU_DEP_2) | instskip(NEXT) | instid1(VALU_DEP_2)
	v_lshl_add_u32 v0, s13, 4, v2
	v_lshl_add_u32 v5, s14, 4, v1
	s_waitcnt lgkmcnt(0)
	s_add_u32 s4, s4, s8
	s_addc_u32 s5, s5, s9
	s_cmp_lt_i32 s2, 1
	s_load_b64 s[4:5], s[4:5], 0x0
	s_cbranch_scc1 .LBB504_6
; %bb.1:
	s_clause 0x3
	s_load_b64 s[10:11], s[0:1], 0x28
	s_load_b32 s6, s[0:1], 0x30
	s_load_b32 s14, s[0:1], 0x18
	s_load_b64 s[12:13], s[0:1], 0x10
	v_lshlrev_b32_e32 v6, 2, v2
	v_lshlrev_b32_e32 v4, 6, v1
	;; [unrolled: 1-line block ×3, first 2 shown]
	s_delay_alu instid0(VALU_DEP_2) | instskip(NEXT) | instid1(VALU_DEP_4)
	v_add_nc_u32_e32 v8, 0x400, v4
	v_add_nc_u32_e32 v9, v6, v4
	s_delay_alu instid0(VALU_DEP_2)
	v_add_nc_u32_e32 v10, v8, v6
	s_waitcnt lgkmcnt(0)
	s_add_u32 s10, s10, s8
	s_addc_u32 s11, s11, s9
	v_mad_i64_i32 v[2:3], null, s6, v5, 0
	s_load_b64 s[10:11], s[10:11], 0x0
	s_add_u32 s8, s12, s8
	s_addc_u32 s9, s13, s9
	v_mad_i64_i32 v[11:12], null, s14, v0, 0
	s_load_b64 s[8:9], s[8:9], 0x0
	s_delay_alu instid0(VALU_DEP_2) | instskip(NEXT) | instid1(VALU_DEP_2)
	v_lshlrev_b64 v[2:3], 2, v[2:3]
	v_lshlrev_b64 v[11:12], 2, v[11:12]
	s_delay_alu instid0(VALU_DEP_2) | instskip(NEXT) | instid1(VALU_DEP_3)
	v_add_co_u32 v2, vcc_lo, v2, v6
	v_add_co_ci_u32_e32 v3, vcc_lo, 0, v3, vcc_lo
	s_delay_alu instid0(VALU_DEP_3) | instskip(NEXT) | instid1(VALU_DEP_4)
	v_add_co_u32 v4, vcc_lo, v11, v1
	v_add_co_ci_u32_e32 v7, vcc_lo, 0, v12, vcc_lo
	s_waitcnt lgkmcnt(0)
	v_add_co_u32 v1, vcc_lo, s10, v2
	v_add_co_ci_u32_e32 v2, vcc_lo, s11, v3, vcc_lo
	v_add_co_u32 v3, vcc_lo, s8, v4
	v_add_co_ci_u32_e32 v4, vcc_lo, s9, v7, vcc_lo
	v_mov_b32_e32 v7, 0
.LBB504_2:                              ; =>This Inner Loop Header: Depth=1
	global_load_b32 v11, v[3:4], off
	global_load_b32 v12, v[1:2], off
	v_add_co_u32 v1, vcc_lo, v1, 64
	v_add_co_ci_u32_e32 v2, vcc_lo, 0, v2, vcc_lo
	v_add_co_u32 v3, vcc_lo, v3, 64
	v_add_co_ci_u32_e32 v4, vcc_lo, 0, v4, vcc_lo
	s_add_i32 s7, s7, 16
	s_waitcnt vmcnt(1)
	ds_store_b32 v9, v11
	s_waitcnt vmcnt(0)
	ds_store_b32 v10, v12
	s_waitcnt lgkmcnt(0)
	s_barrier
	buffer_gl0_inv
	ds_load_2addr_b32 v[19:20], v6 offset1:16
	ds_load_b128 v[11:14], v8
	ds_load_2addr_b32 v[21:22], v6 offset0:32 offset1:48
	ds_load_b128 v[15:18], v8 offset:16
	ds_load_2addr_b32 v[23:24], v6 offset0:64 offset1:80
	s_cmp_lt_i32 s7, s2
	s_waitcnt lgkmcnt(3)
	v_fmac_f32_e32 v7, v19, v11
	s_delay_alu instid0(VALU_DEP_1) | instskip(SKIP_3) | instid1(VALU_DEP_1)
	v_fmac_f32_e32 v7, v20, v12
	ds_load_2addr_b32 v[19:20], v6 offset0:96 offset1:112
	s_waitcnt lgkmcnt(3)
	v_fmac_f32_e32 v7, v21, v13
	v_fmac_f32_e32 v7, v22, v14
	ds_load_2addr_b32 v[21:22], v6 offset0:128 offset1:144
	ds_load_b128 v[11:14], v8 offset:32
	s_waitcnt lgkmcnt(3)
	v_fmac_f32_e32 v7, v23, v15
	s_delay_alu instid0(VALU_DEP_1) | instskip(SKIP_3) | instid1(VALU_DEP_1)
	v_fmac_f32_e32 v7, v24, v16
	ds_load_2addr_b32 v[23:24], v6 offset0:160 offset1:176
	s_waitcnt lgkmcnt(3)
	v_fmac_f32_e32 v7, v19, v17
	v_fmac_f32_e32 v7, v20, v18
	ds_load_b128 v[15:18], v8 offset:48
	ds_load_2addr_b32 v[19:20], v6 offset0:192 offset1:208
	s_waitcnt lgkmcnt(3)
	v_fmac_f32_e32 v7, v21, v11
	s_delay_alu instid0(VALU_DEP_1)
	v_fmac_f32_e32 v7, v22, v12
	ds_load_2addr_b32 v[11:12], v6 offset0:224 offset1:240
	s_waitcnt lgkmcnt(0)
	s_barrier
	buffer_gl0_inv
	v_fmac_f32_e32 v7, v23, v13
	s_delay_alu instid0(VALU_DEP_1) | instskip(NEXT) | instid1(VALU_DEP_1)
	v_fmac_f32_e32 v7, v24, v14
	v_fmac_f32_e32 v7, v19, v15
	s_delay_alu instid0(VALU_DEP_1) | instskip(NEXT) | instid1(VALU_DEP_1)
	v_fmac_f32_e32 v7, v20, v16
	v_fmac_f32_e32 v7, v11, v17
	s_delay_alu instid0(VALU_DEP_1)
	v_fmac_f32_e32 v7, v12, v18
	s_cbranch_scc1 .LBB504_2
; %bb.3:
	s_mov_b32 s2, exec_lo
	v_cmpx_le_i32_e64 v0, v5
	s_cbranch_execz .LBB504_5
.LBB504_4:
	s_load_b32 s0, s[0:1], 0x50
	v_ashrrev_i32_e32 v1, 31, v0
	v_mul_f32_e32 v4, s3, v7
	s_delay_alu instid0(VALU_DEP_2) | instskip(SKIP_2) | instid1(VALU_DEP_1)
	v_lshlrev_b64 v[0:1], 2, v[0:1]
	s_waitcnt lgkmcnt(0)
	v_mad_i64_i32 v[2:3], null, s0, v5, 0
	v_lshlrev_b64 v[2:3], 2, v[2:3]
	s_delay_alu instid0(VALU_DEP_1) | instskip(NEXT) | instid1(VALU_DEP_2)
	v_add_co_u32 v2, vcc_lo, s4, v2
	v_add_co_ci_u32_e32 v3, vcc_lo, s5, v3, vcc_lo
	s_delay_alu instid0(VALU_DEP_2) | instskip(NEXT) | instid1(VALU_DEP_2)
	v_add_co_u32 v0, vcc_lo, v2, v0
	v_add_co_ci_u32_e32 v1, vcc_lo, v3, v1, vcc_lo
	global_store_b32 v[0:1], v4, off
.LBB504_5:
	s_nop 0
	s_sendmsg sendmsg(MSG_DEALLOC_VGPRS)
	s_endpgm
.LBB504_6:
	v_mov_b32_e32 v7, 0
	s_mov_b32 s2, exec_lo
	v_cmpx_le_i32_e64 v0, v5
	s_cbranch_execnz .LBB504_4
	s_branch .LBB504_5
	.section	.rodata,"a",@progbits
	.p2align	6, 0x0
	.amdhsa_kernel _ZL41rocblas_syrkx_herkx_small_restrict_kernelIifLi16ELb1ELb0ELc67ELc85EKPKfKPfEviT_T0_PT6_S5_lS8_S5_lS6_PT7_S5_li
		.amdhsa_group_segment_fixed_size 2048
		.amdhsa_private_segment_fixed_size 0
		.amdhsa_kernarg_size 100
		.amdhsa_user_sgpr_count 13
		.amdhsa_user_sgpr_dispatch_ptr 0
		.amdhsa_user_sgpr_queue_ptr 0
		.amdhsa_user_sgpr_kernarg_segment_ptr 1
		.amdhsa_user_sgpr_dispatch_id 0
		.amdhsa_user_sgpr_private_segment_size 0
		.amdhsa_wavefront_size32 1
		.amdhsa_uses_dynamic_stack 0
		.amdhsa_enable_private_segment 0
		.amdhsa_system_sgpr_workgroup_id_x 1
		.amdhsa_system_sgpr_workgroup_id_y 1
		.amdhsa_system_sgpr_workgroup_id_z 1
		.amdhsa_system_sgpr_workgroup_info 0
		.amdhsa_system_vgpr_workitem_id 1
		.amdhsa_next_free_vgpr 25
		.amdhsa_next_free_sgpr 16
		.amdhsa_reserve_vcc 1
		.amdhsa_float_round_mode_32 0
		.amdhsa_float_round_mode_16_64 0
		.amdhsa_float_denorm_mode_32 3
		.amdhsa_float_denorm_mode_16_64 3
		.amdhsa_dx10_clamp 1
		.amdhsa_ieee_mode 1
		.amdhsa_fp16_overflow 0
		.amdhsa_workgroup_processor_mode 1
		.amdhsa_memory_ordered 1
		.amdhsa_forward_progress 0
		.amdhsa_shared_vgpr_count 0
		.amdhsa_exception_fp_ieee_invalid_op 0
		.amdhsa_exception_fp_denorm_src 0
		.amdhsa_exception_fp_ieee_div_zero 0
		.amdhsa_exception_fp_ieee_overflow 0
		.amdhsa_exception_fp_ieee_underflow 0
		.amdhsa_exception_fp_ieee_inexact 0
		.amdhsa_exception_int_div_zero 0
	.end_amdhsa_kernel
	.section	.text._ZL41rocblas_syrkx_herkx_small_restrict_kernelIifLi16ELb1ELb0ELc67ELc85EKPKfKPfEviT_T0_PT6_S5_lS8_S5_lS6_PT7_S5_li,"axG",@progbits,_ZL41rocblas_syrkx_herkx_small_restrict_kernelIifLi16ELb1ELb0ELc67ELc85EKPKfKPfEviT_T0_PT6_S5_lS8_S5_lS6_PT7_S5_li,comdat
.Lfunc_end504:
	.size	_ZL41rocblas_syrkx_herkx_small_restrict_kernelIifLi16ELb1ELb0ELc67ELc85EKPKfKPfEviT_T0_PT6_S5_lS8_S5_lS6_PT7_S5_li, .Lfunc_end504-_ZL41rocblas_syrkx_herkx_small_restrict_kernelIifLi16ELb1ELb0ELc67ELc85EKPKfKPfEviT_T0_PT6_S5_lS8_S5_lS6_PT7_S5_li
                                        ; -- End function
	.section	.AMDGPU.csdata,"",@progbits
; Kernel info:
; codeLenInByte = 756
; NumSgprs: 18
; NumVgprs: 25
; ScratchSize: 0
; MemoryBound: 0
; FloatMode: 240
; IeeeMode: 1
; LDSByteSize: 2048 bytes/workgroup (compile time only)
; SGPRBlocks: 2
; VGPRBlocks: 3
; NumSGPRsForWavesPerEU: 18
; NumVGPRsForWavesPerEU: 25
; Occupancy: 16
; WaveLimiterHint : 1
; COMPUTE_PGM_RSRC2:SCRATCH_EN: 0
; COMPUTE_PGM_RSRC2:USER_SGPR: 13
; COMPUTE_PGM_RSRC2:TRAP_HANDLER: 0
; COMPUTE_PGM_RSRC2:TGID_X_EN: 1
; COMPUTE_PGM_RSRC2:TGID_Y_EN: 1
; COMPUTE_PGM_RSRC2:TGID_Z_EN: 1
; COMPUTE_PGM_RSRC2:TIDIG_COMP_CNT: 1
	.section	.text._ZL41rocblas_syrkx_herkx_small_restrict_kernelIifLi16ELb1ELb0ELc78ELc85EKPKfKPfEviT_T0_PT6_S5_lS8_S5_lS6_PT7_S5_li,"axG",@progbits,_ZL41rocblas_syrkx_herkx_small_restrict_kernelIifLi16ELb1ELb0ELc78ELc85EKPKfKPfEviT_T0_PT6_S5_lS8_S5_lS6_PT7_S5_li,comdat
	.globl	_ZL41rocblas_syrkx_herkx_small_restrict_kernelIifLi16ELb1ELb0ELc78ELc85EKPKfKPfEviT_T0_PT6_S5_lS8_S5_lS6_PT7_S5_li ; -- Begin function _ZL41rocblas_syrkx_herkx_small_restrict_kernelIifLi16ELb1ELb0ELc78ELc85EKPKfKPfEviT_T0_PT6_S5_lS8_S5_lS6_PT7_S5_li
	.p2align	8
	.type	_ZL41rocblas_syrkx_herkx_small_restrict_kernelIifLi16ELb1ELb0ELc78ELc85EKPKfKPfEviT_T0_PT6_S5_lS8_S5_lS6_PT7_S5_li,@function
_ZL41rocblas_syrkx_herkx_small_restrict_kernelIifLi16ELb1ELb0ELc78ELc85EKPKfKPfEviT_T0_PT6_S5_lS8_S5_lS6_PT7_S5_li: ; @_ZL41rocblas_syrkx_herkx_small_restrict_kernelIifLi16ELb1ELb0ELc78ELc85EKPKfKPfEviT_T0_PT6_S5_lS8_S5_lS6_PT7_S5_li
; %bb.0:
	s_clause 0x1
	s_load_b64 s[4:5], s[0:1], 0x48
	s_load_b64 s[2:3], s[0:1], 0x4
	s_mov_b32 s6, s15
	s_mov_b32 s7, 0
	v_and_b32_e32 v5, 0x3ff, v0
	s_lshl_b64 s[8:9], s[6:7], 3
	v_bfe_u32 v4, v0, 10, 10
	s_delay_alu instid0(VALU_DEP_2) | instskip(NEXT) | instid1(VALU_DEP_2)
	v_lshl_add_u32 v0, s13, 4, v5
	v_lshl_add_u32 v2, s14, 4, v4
	s_delay_alu instid0(VALU_DEP_2)
	v_ashrrev_i32_e32 v1, 31, v0
	s_waitcnt lgkmcnt(0)
	s_add_u32 s4, s4, s8
	s_addc_u32 s5, s5, s9
	s_cmp_lt_i32 s2, 1
	s_load_b64 s[4:5], s[4:5], 0x0
	s_cbranch_scc1 .LBB505_6
; %bb.1:
	s_clause 0x3
	s_load_b32 s10, s[0:1], 0x18
	s_load_b32 s12, s[0:1], 0x30
	s_load_b64 s[14:15], s[0:1], 0x28
	s_load_b64 s[16:17], s[0:1], 0x10
	v_lshlrev_b32_e32 v7, 2, v5
	v_ashrrev_i32_e32 v3, 31, v2
	v_lshlrev_b32_e32 v8, 6, v4
	v_lshlrev_b64 v[14:15], 2, v[0:1]
	s_delay_alu instid0(VALU_DEP_2)
	v_add_nc_u32_e32 v9, 0x400, v8
	s_waitcnt lgkmcnt(0)
	s_ashr_i32 s11, s10, 31
	s_ashr_i32 s13, s12, 31
	s_add_u32 s14, s14, s8
	s_addc_u32 s15, s15, s9
	v_mad_i64_i32 v[10:11], null, s12, v5, 0
	s_load_b64 s[14:15], s[14:15], 0x0
	s_add_u32 s8, s16, s8
	s_addc_u32 s9, s17, s9
	v_mad_i64_i32 v[5:6], null, s10, v4, 0
	s_load_b64 s[8:9], s[8:9], 0x0
	v_lshlrev_b64 v[3:4], 2, v[2:3]
	s_delay_alu instid0(VALU_DEP_3) | instskip(SKIP_4) | instid1(VALU_DEP_4)
	v_lshlrev_b64 v[12:13], 2, v[10:11]
	v_add_nc_u32_e32 v10, v7, v8
	v_dual_mov_b32 v8, 0 :: v_dual_add_nc_u32 v11, v9, v7
	v_lshlrev_b64 v[5:6], 2, v[5:6]
	s_lshl_b64 s[10:11], s[10:11], 6
	v_add_co_u32 v3, vcc_lo, v12, v3
	v_add_co_ci_u32_e32 v4, vcc_lo, v13, v4, vcc_lo
	s_delay_alu instid0(VALU_DEP_3) | instskip(NEXT) | instid1(VALU_DEP_4)
	v_add_co_u32 v5, vcc_lo, v5, v14
	v_add_co_ci_u32_e32 v6, vcc_lo, v6, v15, vcc_lo
	s_waitcnt lgkmcnt(0)
	v_add_co_u32 v3, vcc_lo, s14, v3
	v_add_co_ci_u32_e32 v4, vcc_lo, s15, v4, vcc_lo
	v_add_co_u32 v5, vcc_lo, s8, v5
	v_add_co_ci_u32_e32 v6, vcc_lo, s9, v6, vcc_lo
	s_lshl_b64 s[8:9], s[12:13], 6
.LBB505_2:                              ; =>This Inner Loop Header: Depth=1
	global_load_b32 v12, v[5:6], off
	global_load_b32 v13, v[3:4], off
	v_add_co_u32 v3, vcc_lo, v3, s8
	v_add_co_ci_u32_e32 v4, vcc_lo, s9, v4, vcc_lo
	v_add_co_u32 v5, vcc_lo, v5, s10
	v_add_co_ci_u32_e32 v6, vcc_lo, s11, v6, vcc_lo
	s_add_i32 s7, s7, 16
	s_waitcnt vmcnt(1)
	ds_store_b32 v10, v12
	s_waitcnt vmcnt(0)
	ds_store_b32 v11, v13
	s_waitcnt lgkmcnt(0)
	s_barrier
	buffer_gl0_inv
	ds_load_2addr_b32 v[20:21], v7 offset1:16
	ds_load_b128 v[12:15], v9
	ds_load_2addr_b32 v[22:23], v7 offset0:32 offset1:48
	ds_load_b128 v[16:19], v9 offset:16
	ds_load_2addr_b32 v[24:25], v7 offset0:64 offset1:80
	s_cmp_lt_i32 s7, s2
	s_waitcnt lgkmcnt(3)
	v_fmac_f32_e32 v8, v20, v12
	s_delay_alu instid0(VALU_DEP_1) | instskip(SKIP_3) | instid1(VALU_DEP_1)
	v_fmac_f32_e32 v8, v21, v13
	ds_load_2addr_b32 v[20:21], v7 offset0:96 offset1:112
	s_waitcnt lgkmcnt(3)
	v_fmac_f32_e32 v8, v22, v14
	v_fmac_f32_e32 v8, v23, v15
	ds_load_2addr_b32 v[22:23], v7 offset0:128 offset1:144
	ds_load_b128 v[12:15], v9 offset:32
	s_waitcnt lgkmcnt(3)
	v_fmac_f32_e32 v8, v24, v16
	s_delay_alu instid0(VALU_DEP_1) | instskip(SKIP_3) | instid1(VALU_DEP_1)
	v_fmac_f32_e32 v8, v25, v17
	ds_load_2addr_b32 v[24:25], v7 offset0:160 offset1:176
	s_waitcnt lgkmcnt(3)
	v_fmac_f32_e32 v8, v20, v18
	v_fmac_f32_e32 v8, v21, v19
	ds_load_b128 v[16:19], v9 offset:48
	ds_load_2addr_b32 v[20:21], v7 offset0:192 offset1:208
	s_waitcnt lgkmcnt(3)
	v_fmac_f32_e32 v8, v22, v12
	s_delay_alu instid0(VALU_DEP_1)
	v_fmac_f32_e32 v8, v23, v13
	ds_load_2addr_b32 v[12:13], v7 offset0:224 offset1:240
	s_waitcnt lgkmcnt(0)
	s_barrier
	buffer_gl0_inv
	v_fmac_f32_e32 v8, v24, v14
	s_delay_alu instid0(VALU_DEP_1) | instskip(NEXT) | instid1(VALU_DEP_1)
	v_fmac_f32_e32 v8, v25, v15
	v_fmac_f32_e32 v8, v20, v16
	s_delay_alu instid0(VALU_DEP_1) | instskip(NEXT) | instid1(VALU_DEP_1)
	v_fmac_f32_e32 v8, v21, v17
	v_fmac_f32_e32 v8, v12, v18
	s_delay_alu instid0(VALU_DEP_1)
	v_fmac_f32_e32 v8, v13, v19
	s_cbranch_scc1 .LBB505_2
; %bb.3:
	s_mov_b32 s2, exec_lo
	v_cmpx_le_i32_e64 v0, v2
	s_cbranch_execz .LBB505_5
.LBB505_4:
	s_load_b32 s0, s[0:1], 0x50
	v_lshlrev_b64 v[0:1], 2, v[0:1]
	s_waitcnt lgkmcnt(0)
	v_mad_i64_i32 v[3:4], null, s0, v2, 0
	s_delay_alu instid0(VALU_DEP_1) | instskip(SKIP_1) | instid1(VALU_DEP_2)
	v_lshlrev_b64 v[2:3], 2, v[3:4]
	v_mul_f32_e32 v4, s3, v8
	v_add_co_u32 v2, vcc_lo, s4, v2
	s_delay_alu instid0(VALU_DEP_3) | instskip(NEXT) | instid1(VALU_DEP_2)
	v_add_co_ci_u32_e32 v3, vcc_lo, s5, v3, vcc_lo
	v_add_co_u32 v0, vcc_lo, v2, v0
	s_delay_alu instid0(VALU_DEP_2)
	v_add_co_ci_u32_e32 v1, vcc_lo, v3, v1, vcc_lo
	global_store_b32 v[0:1], v4, off
.LBB505_5:
	s_nop 0
	s_sendmsg sendmsg(MSG_DEALLOC_VGPRS)
	s_endpgm
.LBB505_6:
	v_mov_b32_e32 v8, 0
	s_mov_b32 s2, exec_lo
	v_cmpx_le_i32_e64 v0, v2
	s_cbranch_execnz .LBB505_4
	s_branch .LBB505_5
	.section	.rodata,"a",@progbits
	.p2align	6, 0x0
	.amdhsa_kernel _ZL41rocblas_syrkx_herkx_small_restrict_kernelIifLi16ELb1ELb0ELc78ELc85EKPKfKPfEviT_T0_PT6_S5_lS8_S5_lS6_PT7_S5_li
		.amdhsa_group_segment_fixed_size 2048
		.amdhsa_private_segment_fixed_size 0
		.amdhsa_kernarg_size 100
		.amdhsa_user_sgpr_count 13
		.amdhsa_user_sgpr_dispatch_ptr 0
		.amdhsa_user_sgpr_queue_ptr 0
		.amdhsa_user_sgpr_kernarg_segment_ptr 1
		.amdhsa_user_sgpr_dispatch_id 0
		.amdhsa_user_sgpr_private_segment_size 0
		.amdhsa_wavefront_size32 1
		.amdhsa_uses_dynamic_stack 0
		.amdhsa_enable_private_segment 0
		.amdhsa_system_sgpr_workgroup_id_x 1
		.amdhsa_system_sgpr_workgroup_id_y 1
		.amdhsa_system_sgpr_workgroup_id_z 1
		.amdhsa_system_sgpr_workgroup_info 0
		.amdhsa_system_vgpr_workitem_id 1
		.amdhsa_next_free_vgpr 26
		.amdhsa_next_free_sgpr 18
		.amdhsa_reserve_vcc 1
		.amdhsa_float_round_mode_32 0
		.amdhsa_float_round_mode_16_64 0
		.amdhsa_float_denorm_mode_32 3
		.amdhsa_float_denorm_mode_16_64 3
		.amdhsa_dx10_clamp 1
		.amdhsa_ieee_mode 1
		.amdhsa_fp16_overflow 0
		.amdhsa_workgroup_processor_mode 1
		.amdhsa_memory_ordered 1
		.amdhsa_forward_progress 0
		.amdhsa_shared_vgpr_count 0
		.amdhsa_exception_fp_ieee_invalid_op 0
		.amdhsa_exception_fp_denorm_src 0
		.amdhsa_exception_fp_ieee_div_zero 0
		.amdhsa_exception_fp_ieee_overflow 0
		.amdhsa_exception_fp_ieee_underflow 0
		.amdhsa_exception_fp_ieee_inexact 0
		.amdhsa_exception_int_div_zero 0
	.end_amdhsa_kernel
	.section	.text._ZL41rocblas_syrkx_herkx_small_restrict_kernelIifLi16ELb1ELb0ELc78ELc85EKPKfKPfEviT_T0_PT6_S5_lS8_S5_lS6_PT7_S5_li,"axG",@progbits,_ZL41rocblas_syrkx_herkx_small_restrict_kernelIifLi16ELb1ELb0ELc78ELc85EKPKfKPfEviT_T0_PT6_S5_lS8_S5_lS6_PT7_S5_li,comdat
.Lfunc_end505:
	.size	_ZL41rocblas_syrkx_herkx_small_restrict_kernelIifLi16ELb1ELb0ELc78ELc85EKPKfKPfEviT_T0_PT6_S5_lS8_S5_lS6_PT7_S5_li, .Lfunc_end505-_ZL41rocblas_syrkx_herkx_small_restrict_kernelIifLi16ELb1ELb0ELc78ELc85EKPKfKPfEviT_T0_PT6_S5_lS8_S5_lS6_PT7_S5_li
                                        ; -- End function
	.section	.AMDGPU.csdata,"",@progbits
; Kernel info:
; codeLenInByte = 784
; NumSgprs: 20
; NumVgprs: 26
; ScratchSize: 0
; MemoryBound: 0
; FloatMode: 240
; IeeeMode: 1
; LDSByteSize: 2048 bytes/workgroup (compile time only)
; SGPRBlocks: 2
; VGPRBlocks: 3
; NumSGPRsForWavesPerEU: 20
; NumVGPRsForWavesPerEU: 26
; Occupancy: 16
; WaveLimiterHint : 1
; COMPUTE_PGM_RSRC2:SCRATCH_EN: 0
; COMPUTE_PGM_RSRC2:USER_SGPR: 13
; COMPUTE_PGM_RSRC2:TRAP_HANDLER: 0
; COMPUTE_PGM_RSRC2:TGID_X_EN: 1
; COMPUTE_PGM_RSRC2:TGID_Y_EN: 1
; COMPUTE_PGM_RSRC2:TGID_Z_EN: 1
; COMPUTE_PGM_RSRC2:TIDIG_COMP_CNT: 1
	.section	.text._ZL41rocblas_syrkx_herkx_small_restrict_kernelIifLi16ELb0ELb0ELc84ELc76EKPKfKPfEviT_T0_PT6_S5_lS8_S5_lS6_PT7_S5_li,"axG",@progbits,_ZL41rocblas_syrkx_herkx_small_restrict_kernelIifLi16ELb0ELb0ELc84ELc76EKPKfKPfEviT_T0_PT6_S5_lS8_S5_lS6_PT7_S5_li,comdat
	.globl	_ZL41rocblas_syrkx_herkx_small_restrict_kernelIifLi16ELb0ELb0ELc84ELc76EKPKfKPfEviT_T0_PT6_S5_lS8_S5_lS6_PT7_S5_li ; -- Begin function _ZL41rocblas_syrkx_herkx_small_restrict_kernelIifLi16ELb0ELb0ELc84ELc76EKPKfKPfEviT_T0_PT6_S5_lS8_S5_lS6_PT7_S5_li
	.p2align	8
	.type	_ZL41rocblas_syrkx_herkx_small_restrict_kernelIifLi16ELb0ELb0ELc84ELc76EKPKfKPfEviT_T0_PT6_S5_lS8_S5_lS6_PT7_S5_li,@function
_ZL41rocblas_syrkx_herkx_small_restrict_kernelIifLi16ELb0ELb0ELc84ELc76EKPKfKPfEviT_T0_PT6_S5_lS8_S5_lS6_PT7_S5_li: ; @_ZL41rocblas_syrkx_herkx_small_restrict_kernelIifLi16ELb0ELb0ELc84ELc76EKPKfKPfEviT_T0_PT6_S5_lS8_S5_lS6_PT7_S5_li
; %bb.0:
	s_clause 0x1
	s_load_b64 s[4:5], s[0:1], 0x48
	s_load_b64 s[2:3], s[0:1], 0x4
	s_mov_b32 s6, s15
	s_mov_b32 s7, 0
	v_and_b32_e32 v2, 0x3ff, v0
	s_lshl_b64 s[8:9], s[6:7], 3
	v_bfe_u32 v1, v0, 10, 10
	s_delay_alu instid0(VALU_DEP_2) | instskip(NEXT) | instid1(VALU_DEP_2)
	v_lshl_add_u32 v0, s13, 4, v2
	v_lshl_add_u32 v5, s14, 4, v1
	s_waitcnt lgkmcnt(0)
	s_add_u32 s4, s4, s8
	s_addc_u32 s5, s5, s9
	s_cmp_lt_i32 s2, 1
	s_load_b64 s[4:5], s[4:5], 0x0
	s_cbranch_scc1 .LBB506_6
; %bb.1:
	s_clause 0x3
	s_load_b64 s[10:11], s[0:1], 0x28
	s_load_b32 s6, s[0:1], 0x30
	s_load_b32 s14, s[0:1], 0x18
	s_load_b64 s[12:13], s[0:1], 0x10
	v_lshlrev_b32_e32 v6, 2, v2
	v_lshlrev_b32_e32 v4, 6, v1
	;; [unrolled: 1-line block ×3, first 2 shown]
	s_delay_alu instid0(VALU_DEP_2) | instskip(NEXT) | instid1(VALU_DEP_4)
	v_add_nc_u32_e32 v8, 0x400, v4
	v_add_nc_u32_e32 v9, v6, v4
	s_delay_alu instid0(VALU_DEP_2)
	v_add_nc_u32_e32 v10, v8, v6
	s_waitcnt lgkmcnt(0)
	s_add_u32 s10, s10, s8
	s_addc_u32 s11, s11, s9
	v_mad_i64_i32 v[2:3], null, s6, v5, 0
	s_load_b64 s[10:11], s[10:11], 0x0
	s_add_u32 s8, s12, s8
	s_addc_u32 s9, s13, s9
	v_mad_i64_i32 v[11:12], null, s14, v0, 0
	s_load_b64 s[8:9], s[8:9], 0x0
	s_delay_alu instid0(VALU_DEP_2) | instskip(NEXT) | instid1(VALU_DEP_2)
	v_lshlrev_b64 v[2:3], 2, v[2:3]
	v_lshlrev_b64 v[11:12], 2, v[11:12]
	s_delay_alu instid0(VALU_DEP_2) | instskip(NEXT) | instid1(VALU_DEP_3)
	v_add_co_u32 v2, vcc_lo, v2, v6
	v_add_co_ci_u32_e32 v3, vcc_lo, 0, v3, vcc_lo
	s_delay_alu instid0(VALU_DEP_3) | instskip(NEXT) | instid1(VALU_DEP_4)
	v_add_co_u32 v4, vcc_lo, v11, v1
	v_add_co_ci_u32_e32 v7, vcc_lo, 0, v12, vcc_lo
	s_waitcnt lgkmcnt(0)
	v_add_co_u32 v1, vcc_lo, s10, v2
	v_add_co_ci_u32_e32 v2, vcc_lo, s11, v3, vcc_lo
	v_add_co_u32 v3, vcc_lo, s8, v4
	v_add_co_ci_u32_e32 v4, vcc_lo, s9, v7, vcc_lo
	v_mov_b32_e32 v7, 0
.LBB506_2:                              ; =>This Inner Loop Header: Depth=1
	global_load_b32 v11, v[3:4], off
	global_load_b32 v12, v[1:2], off
	v_add_co_u32 v1, vcc_lo, v1, 64
	v_add_co_ci_u32_e32 v2, vcc_lo, 0, v2, vcc_lo
	v_add_co_u32 v3, vcc_lo, v3, 64
	v_add_co_ci_u32_e32 v4, vcc_lo, 0, v4, vcc_lo
	s_add_i32 s7, s7, 16
	s_waitcnt vmcnt(1)
	ds_store_b32 v9, v11
	s_waitcnt vmcnt(0)
	ds_store_b32 v10, v12
	s_waitcnt lgkmcnt(0)
	s_barrier
	buffer_gl0_inv
	ds_load_2addr_b32 v[19:20], v6 offset1:16
	ds_load_b128 v[11:14], v8
	ds_load_2addr_b32 v[21:22], v6 offset0:32 offset1:48
	ds_load_b128 v[15:18], v8 offset:16
	ds_load_2addr_b32 v[23:24], v6 offset0:64 offset1:80
	s_cmp_lt_i32 s7, s2
	s_waitcnt lgkmcnt(3)
	v_fmac_f32_e32 v7, v19, v11
	s_delay_alu instid0(VALU_DEP_1) | instskip(SKIP_3) | instid1(VALU_DEP_1)
	v_fmac_f32_e32 v7, v20, v12
	ds_load_2addr_b32 v[19:20], v6 offset0:96 offset1:112
	s_waitcnt lgkmcnt(3)
	v_fmac_f32_e32 v7, v21, v13
	v_fmac_f32_e32 v7, v22, v14
	ds_load_2addr_b32 v[21:22], v6 offset0:128 offset1:144
	ds_load_b128 v[11:14], v8 offset:32
	s_waitcnt lgkmcnt(3)
	v_fmac_f32_e32 v7, v23, v15
	s_delay_alu instid0(VALU_DEP_1) | instskip(SKIP_3) | instid1(VALU_DEP_1)
	v_fmac_f32_e32 v7, v24, v16
	ds_load_2addr_b32 v[23:24], v6 offset0:160 offset1:176
	s_waitcnt lgkmcnt(3)
	v_fmac_f32_e32 v7, v19, v17
	v_fmac_f32_e32 v7, v20, v18
	ds_load_b128 v[15:18], v8 offset:48
	ds_load_2addr_b32 v[19:20], v6 offset0:192 offset1:208
	s_waitcnt lgkmcnt(3)
	v_fmac_f32_e32 v7, v21, v11
	s_delay_alu instid0(VALU_DEP_1)
	v_fmac_f32_e32 v7, v22, v12
	ds_load_2addr_b32 v[11:12], v6 offset0:224 offset1:240
	s_waitcnt lgkmcnt(0)
	s_barrier
	buffer_gl0_inv
	v_fmac_f32_e32 v7, v23, v13
	s_delay_alu instid0(VALU_DEP_1) | instskip(NEXT) | instid1(VALU_DEP_1)
	v_fmac_f32_e32 v7, v24, v14
	v_fmac_f32_e32 v7, v19, v15
	s_delay_alu instid0(VALU_DEP_1) | instskip(NEXT) | instid1(VALU_DEP_1)
	v_fmac_f32_e32 v7, v20, v16
	v_fmac_f32_e32 v7, v11, v17
	s_delay_alu instid0(VALU_DEP_1)
	v_fmac_f32_e32 v7, v12, v18
	s_cbranch_scc1 .LBB506_2
; %bb.3:
	s_mov_b32 s2, exec_lo
	v_cmpx_le_i32_e64 v5, v0
	s_cbranch_execz .LBB506_5
.LBB506_4:
	s_load_b32 s2, s[0:1], 0x50
	v_ashrrev_i32_e32 v1, 31, v0
	s_load_b32 s0, s[0:1], 0x40
	s_delay_alu instid0(VALU_DEP_1) | instskip(SKIP_2) | instid1(VALU_DEP_1)
	v_lshlrev_b64 v[0:1], 2, v[0:1]
	s_waitcnt lgkmcnt(0)
	v_mad_i64_i32 v[2:3], null, s2, v5, 0
	v_lshlrev_b64 v[2:3], 2, v[2:3]
	s_delay_alu instid0(VALU_DEP_1) | instskip(NEXT) | instid1(VALU_DEP_2)
	v_add_co_u32 v2, vcc_lo, s4, v2
	v_add_co_ci_u32_e32 v3, vcc_lo, s5, v3, vcc_lo
	s_delay_alu instid0(VALU_DEP_2) | instskip(NEXT) | instid1(VALU_DEP_2)
	v_add_co_u32 v0, vcc_lo, v2, v0
	v_add_co_ci_u32_e32 v1, vcc_lo, v3, v1, vcc_lo
	global_load_b32 v2, v[0:1], off
	s_waitcnt vmcnt(0)
	v_mul_f32_e32 v2, s0, v2
	s_delay_alu instid0(VALU_DEP_1)
	v_fmac_f32_e32 v2, s3, v7
	global_store_b32 v[0:1], v2, off
.LBB506_5:
	s_nop 0
	s_sendmsg sendmsg(MSG_DEALLOC_VGPRS)
	s_endpgm
.LBB506_6:
	v_mov_b32_e32 v7, 0
	s_mov_b32 s2, exec_lo
	v_cmpx_le_i32_e64 v5, v0
	s_cbranch_execnz .LBB506_4
	s_branch .LBB506_5
	.section	.rodata,"a",@progbits
	.p2align	6, 0x0
	.amdhsa_kernel _ZL41rocblas_syrkx_herkx_small_restrict_kernelIifLi16ELb0ELb0ELc84ELc76EKPKfKPfEviT_T0_PT6_S5_lS8_S5_lS6_PT7_S5_li
		.amdhsa_group_segment_fixed_size 2048
		.amdhsa_private_segment_fixed_size 0
		.amdhsa_kernarg_size 100
		.amdhsa_user_sgpr_count 13
		.amdhsa_user_sgpr_dispatch_ptr 0
		.amdhsa_user_sgpr_queue_ptr 0
		.amdhsa_user_sgpr_kernarg_segment_ptr 1
		.amdhsa_user_sgpr_dispatch_id 0
		.amdhsa_user_sgpr_private_segment_size 0
		.amdhsa_wavefront_size32 1
		.amdhsa_uses_dynamic_stack 0
		.amdhsa_enable_private_segment 0
		.amdhsa_system_sgpr_workgroup_id_x 1
		.amdhsa_system_sgpr_workgroup_id_y 1
		.amdhsa_system_sgpr_workgroup_id_z 1
		.amdhsa_system_sgpr_workgroup_info 0
		.amdhsa_system_vgpr_workitem_id 1
		.amdhsa_next_free_vgpr 25
		.amdhsa_next_free_sgpr 16
		.amdhsa_reserve_vcc 1
		.amdhsa_float_round_mode_32 0
		.amdhsa_float_round_mode_16_64 0
		.amdhsa_float_denorm_mode_32 3
		.amdhsa_float_denorm_mode_16_64 3
		.amdhsa_dx10_clamp 1
		.amdhsa_ieee_mode 1
		.amdhsa_fp16_overflow 0
		.amdhsa_workgroup_processor_mode 1
		.amdhsa_memory_ordered 1
		.amdhsa_forward_progress 0
		.amdhsa_shared_vgpr_count 0
		.amdhsa_exception_fp_ieee_invalid_op 0
		.amdhsa_exception_fp_denorm_src 0
		.amdhsa_exception_fp_ieee_div_zero 0
		.amdhsa_exception_fp_ieee_overflow 0
		.amdhsa_exception_fp_ieee_underflow 0
		.amdhsa_exception_fp_ieee_inexact 0
		.amdhsa_exception_int_div_zero 0
	.end_amdhsa_kernel
	.section	.text._ZL41rocblas_syrkx_herkx_small_restrict_kernelIifLi16ELb0ELb0ELc84ELc76EKPKfKPfEviT_T0_PT6_S5_lS8_S5_lS6_PT7_S5_li,"axG",@progbits,_ZL41rocblas_syrkx_herkx_small_restrict_kernelIifLi16ELb0ELb0ELc84ELc76EKPKfKPfEviT_T0_PT6_S5_lS8_S5_lS6_PT7_S5_li,comdat
.Lfunc_end506:
	.size	_ZL41rocblas_syrkx_herkx_small_restrict_kernelIifLi16ELb0ELb0ELc84ELc76EKPKfKPfEviT_T0_PT6_S5_lS8_S5_lS6_PT7_S5_li, .Lfunc_end506-_ZL41rocblas_syrkx_herkx_small_restrict_kernelIifLi16ELb0ELb0ELc84ELc76EKPKfKPfEviT_T0_PT6_S5_lS8_S5_lS6_PT7_S5_li
                                        ; -- End function
	.section	.AMDGPU.csdata,"",@progbits
; Kernel info:
; codeLenInByte = 784
; NumSgprs: 18
; NumVgprs: 25
; ScratchSize: 0
; MemoryBound: 0
; FloatMode: 240
; IeeeMode: 1
; LDSByteSize: 2048 bytes/workgroup (compile time only)
; SGPRBlocks: 2
; VGPRBlocks: 3
; NumSGPRsForWavesPerEU: 18
; NumVGPRsForWavesPerEU: 25
; Occupancy: 16
; WaveLimiterHint : 1
; COMPUTE_PGM_RSRC2:SCRATCH_EN: 0
; COMPUTE_PGM_RSRC2:USER_SGPR: 13
; COMPUTE_PGM_RSRC2:TRAP_HANDLER: 0
; COMPUTE_PGM_RSRC2:TGID_X_EN: 1
; COMPUTE_PGM_RSRC2:TGID_Y_EN: 1
; COMPUTE_PGM_RSRC2:TGID_Z_EN: 1
; COMPUTE_PGM_RSRC2:TIDIG_COMP_CNT: 1
	.section	.text._ZL41rocblas_syrkx_herkx_small_restrict_kernelIifLi16ELb0ELb0ELc67ELc76EKPKfKPfEviT_T0_PT6_S5_lS8_S5_lS6_PT7_S5_li,"axG",@progbits,_ZL41rocblas_syrkx_herkx_small_restrict_kernelIifLi16ELb0ELb0ELc67ELc76EKPKfKPfEviT_T0_PT6_S5_lS8_S5_lS6_PT7_S5_li,comdat
	.globl	_ZL41rocblas_syrkx_herkx_small_restrict_kernelIifLi16ELb0ELb0ELc67ELc76EKPKfKPfEviT_T0_PT6_S5_lS8_S5_lS6_PT7_S5_li ; -- Begin function _ZL41rocblas_syrkx_herkx_small_restrict_kernelIifLi16ELb0ELb0ELc67ELc76EKPKfKPfEviT_T0_PT6_S5_lS8_S5_lS6_PT7_S5_li
	.p2align	8
	.type	_ZL41rocblas_syrkx_herkx_small_restrict_kernelIifLi16ELb0ELb0ELc67ELc76EKPKfKPfEviT_T0_PT6_S5_lS8_S5_lS6_PT7_S5_li,@function
_ZL41rocblas_syrkx_herkx_small_restrict_kernelIifLi16ELb0ELb0ELc67ELc76EKPKfKPfEviT_T0_PT6_S5_lS8_S5_lS6_PT7_S5_li: ; @_ZL41rocblas_syrkx_herkx_small_restrict_kernelIifLi16ELb0ELb0ELc67ELc76EKPKfKPfEviT_T0_PT6_S5_lS8_S5_lS6_PT7_S5_li
; %bb.0:
	s_clause 0x1
	s_load_b64 s[4:5], s[0:1], 0x48
	s_load_b64 s[2:3], s[0:1], 0x4
	s_mov_b32 s6, s15
	s_mov_b32 s7, 0
	v_and_b32_e32 v2, 0x3ff, v0
	s_lshl_b64 s[8:9], s[6:7], 3
	v_bfe_u32 v1, v0, 10, 10
	s_delay_alu instid0(VALU_DEP_2) | instskip(NEXT) | instid1(VALU_DEP_2)
	v_lshl_add_u32 v0, s13, 4, v2
	v_lshl_add_u32 v5, s14, 4, v1
	s_waitcnt lgkmcnt(0)
	s_add_u32 s4, s4, s8
	s_addc_u32 s5, s5, s9
	s_cmp_lt_i32 s2, 1
	s_load_b64 s[4:5], s[4:5], 0x0
	s_cbranch_scc1 .LBB507_6
; %bb.1:
	s_clause 0x3
	s_load_b64 s[10:11], s[0:1], 0x28
	s_load_b32 s6, s[0:1], 0x30
	s_load_b32 s14, s[0:1], 0x18
	s_load_b64 s[12:13], s[0:1], 0x10
	v_lshlrev_b32_e32 v6, 2, v2
	v_lshlrev_b32_e32 v4, 6, v1
	;; [unrolled: 1-line block ×3, first 2 shown]
	s_delay_alu instid0(VALU_DEP_2) | instskip(NEXT) | instid1(VALU_DEP_4)
	v_add_nc_u32_e32 v8, 0x400, v4
	v_add_nc_u32_e32 v9, v6, v4
	s_delay_alu instid0(VALU_DEP_2)
	v_add_nc_u32_e32 v10, v8, v6
	s_waitcnt lgkmcnt(0)
	s_add_u32 s10, s10, s8
	s_addc_u32 s11, s11, s9
	v_mad_i64_i32 v[2:3], null, s6, v5, 0
	s_load_b64 s[10:11], s[10:11], 0x0
	s_add_u32 s8, s12, s8
	s_addc_u32 s9, s13, s9
	v_mad_i64_i32 v[11:12], null, s14, v0, 0
	s_load_b64 s[8:9], s[8:9], 0x0
	s_delay_alu instid0(VALU_DEP_2) | instskip(NEXT) | instid1(VALU_DEP_2)
	v_lshlrev_b64 v[2:3], 2, v[2:3]
	v_lshlrev_b64 v[11:12], 2, v[11:12]
	s_delay_alu instid0(VALU_DEP_2) | instskip(NEXT) | instid1(VALU_DEP_3)
	v_add_co_u32 v2, vcc_lo, v2, v6
	v_add_co_ci_u32_e32 v3, vcc_lo, 0, v3, vcc_lo
	s_delay_alu instid0(VALU_DEP_3) | instskip(NEXT) | instid1(VALU_DEP_4)
	v_add_co_u32 v4, vcc_lo, v11, v1
	v_add_co_ci_u32_e32 v7, vcc_lo, 0, v12, vcc_lo
	s_waitcnt lgkmcnt(0)
	v_add_co_u32 v1, vcc_lo, s10, v2
	v_add_co_ci_u32_e32 v2, vcc_lo, s11, v3, vcc_lo
	v_add_co_u32 v3, vcc_lo, s8, v4
	v_add_co_ci_u32_e32 v4, vcc_lo, s9, v7, vcc_lo
	v_mov_b32_e32 v7, 0
.LBB507_2:                              ; =>This Inner Loop Header: Depth=1
	global_load_b32 v11, v[3:4], off
	global_load_b32 v12, v[1:2], off
	v_add_co_u32 v1, vcc_lo, v1, 64
	v_add_co_ci_u32_e32 v2, vcc_lo, 0, v2, vcc_lo
	v_add_co_u32 v3, vcc_lo, v3, 64
	v_add_co_ci_u32_e32 v4, vcc_lo, 0, v4, vcc_lo
	s_add_i32 s7, s7, 16
	s_waitcnt vmcnt(1)
	ds_store_b32 v9, v11
	s_waitcnt vmcnt(0)
	ds_store_b32 v10, v12
	s_waitcnt lgkmcnt(0)
	s_barrier
	buffer_gl0_inv
	ds_load_2addr_b32 v[19:20], v6 offset1:16
	ds_load_b128 v[11:14], v8
	ds_load_2addr_b32 v[21:22], v6 offset0:32 offset1:48
	ds_load_b128 v[15:18], v8 offset:16
	ds_load_2addr_b32 v[23:24], v6 offset0:64 offset1:80
	s_cmp_lt_i32 s7, s2
	s_waitcnt lgkmcnt(3)
	v_fmac_f32_e32 v7, v19, v11
	s_delay_alu instid0(VALU_DEP_1) | instskip(SKIP_3) | instid1(VALU_DEP_1)
	v_fmac_f32_e32 v7, v20, v12
	ds_load_2addr_b32 v[19:20], v6 offset0:96 offset1:112
	s_waitcnt lgkmcnt(3)
	v_fmac_f32_e32 v7, v21, v13
	v_fmac_f32_e32 v7, v22, v14
	ds_load_2addr_b32 v[21:22], v6 offset0:128 offset1:144
	ds_load_b128 v[11:14], v8 offset:32
	s_waitcnt lgkmcnt(3)
	v_fmac_f32_e32 v7, v23, v15
	s_delay_alu instid0(VALU_DEP_1) | instskip(SKIP_3) | instid1(VALU_DEP_1)
	v_fmac_f32_e32 v7, v24, v16
	ds_load_2addr_b32 v[23:24], v6 offset0:160 offset1:176
	s_waitcnt lgkmcnt(3)
	v_fmac_f32_e32 v7, v19, v17
	v_fmac_f32_e32 v7, v20, v18
	ds_load_b128 v[15:18], v8 offset:48
	ds_load_2addr_b32 v[19:20], v6 offset0:192 offset1:208
	s_waitcnt lgkmcnt(3)
	v_fmac_f32_e32 v7, v21, v11
	s_delay_alu instid0(VALU_DEP_1)
	v_fmac_f32_e32 v7, v22, v12
	ds_load_2addr_b32 v[11:12], v6 offset0:224 offset1:240
	s_waitcnt lgkmcnt(0)
	s_barrier
	buffer_gl0_inv
	v_fmac_f32_e32 v7, v23, v13
	s_delay_alu instid0(VALU_DEP_1) | instskip(NEXT) | instid1(VALU_DEP_1)
	v_fmac_f32_e32 v7, v24, v14
	v_fmac_f32_e32 v7, v19, v15
	s_delay_alu instid0(VALU_DEP_1) | instskip(NEXT) | instid1(VALU_DEP_1)
	v_fmac_f32_e32 v7, v20, v16
	v_fmac_f32_e32 v7, v11, v17
	s_delay_alu instid0(VALU_DEP_1)
	v_fmac_f32_e32 v7, v12, v18
	s_cbranch_scc1 .LBB507_2
; %bb.3:
	s_mov_b32 s2, exec_lo
	v_cmpx_le_i32_e64 v5, v0
	s_cbranch_execz .LBB507_5
.LBB507_4:
	s_load_b32 s2, s[0:1], 0x50
	v_ashrrev_i32_e32 v1, 31, v0
	s_load_b32 s0, s[0:1], 0x40
	s_delay_alu instid0(VALU_DEP_1) | instskip(SKIP_2) | instid1(VALU_DEP_1)
	v_lshlrev_b64 v[0:1], 2, v[0:1]
	s_waitcnt lgkmcnt(0)
	v_mad_i64_i32 v[2:3], null, s2, v5, 0
	v_lshlrev_b64 v[2:3], 2, v[2:3]
	s_delay_alu instid0(VALU_DEP_1) | instskip(NEXT) | instid1(VALU_DEP_2)
	v_add_co_u32 v2, vcc_lo, s4, v2
	v_add_co_ci_u32_e32 v3, vcc_lo, s5, v3, vcc_lo
	s_delay_alu instid0(VALU_DEP_2) | instskip(NEXT) | instid1(VALU_DEP_2)
	v_add_co_u32 v0, vcc_lo, v2, v0
	v_add_co_ci_u32_e32 v1, vcc_lo, v3, v1, vcc_lo
	global_load_b32 v2, v[0:1], off
	s_waitcnt vmcnt(0)
	v_mul_f32_e32 v2, s0, v2
	s_delay_alu instid0(VALU_DEP_1)
	v_fmac_f32_e32 v2, s3, v7
	global_store_b32 v[0:1], v2, off
.LBB507_5:
	s_nop 0
	s_sendmsg sendmsg(MSG_DEALLOC_VGPRS)
	s_endpgm
.LBB507_6:
	v_mov_b32_e32 v7, 0
	s_mov_b32 s2, exec_lo
	v_cmpx_le_i32_e64 v5, v0
	s_cbranch_execnz .LBB507_4
	s_branch .LBB507_5
	.section	.rodata,"a",@progbits
	.p2align	6, 0x0
	.amdhsa_kernel _ZL41rocblas_syrkx_herkx_small_restrict_kernelIifLi16ELb0ELb0ELc67ELc76EKPKfKPfEviT_T0_PT6_S5_lS8_S5_lS6_PT7_S5_li
		.amdhsa_group_segment_fixed_size 2048
		.amdhsa_private_segment_fixed_size 0
		.amdhsa_kernarg_size 100
		.amdhsa_user_sgpr_count 13
		.amdhsa_user_sgpr_dispatch_ptr 0
		.amdhsa_user_sgpr_queue_ptr 0
		.amdhsa_user_sgpr_kernarg_segment_ptr 1
		.amdhsa_user_sgpr_dispatch_id 0
		.amdhsa_user_sgpr_private_segment_size 0
		.amdhsa_wavefront_size32 1
		.amdhsa_uses_dynamic_stack 0
		.amdhsa_enable_private_segment 0
		.amdhsa_system_sgpr_workgroup_id_x 1
		.amdhsa_system_sgpr_workgroup_id_y 1
		.amdhsa_system_sgpr_workgroup_id_z 1
		.amdhsa_system_sgpr_workgroup_info 0
		.amdhsa_system_vgpr_workitem_id 1
		.amdhsa_next_free_vgpr 25
		.amdhsa_next_free_sgpr 16
		.amdhsa_reserve_vcc 1
		.amdhsa_float_round_mode_32 0
		.amdhsa_float_round_mode_16_64 0
		.amdhsa_float_denorm_mode_32 3
		.amdhsa_float_denorm_mode_16_64 3
		.amdhsa_dx10_clamp 1
		.amdhsa_ieee_mode 1
		.amdhsa_fp16_overflow 0
		.amdhsa_workgroup_processor_mode 1
		.amdhsa_memory_ordered 1
		.amdhsa_forward_progress 0
		.amdhsa_shared_vgpr_count 0
		.amdhsa_exception_fp_ieee_invalid_op 0
		.amdhsa_exception_fp_denorm_src 0
		.amdhsa_exception_fp_ieee_div_zero 0
		.amdhsa_exception_fp_ieee_overflow 0
		.amdhsa_exception_fp_ieee_underflow 0
		.amdhsa_exception_fp_ieee_inexact 0
		.amdhsa_exception_int_div_zero 0
	.end_amdhsa_kernel
	.section	.text._ZL41rocblas_syrkx_herkx_small_restrict_kernelIifLi16ELb0ELb0ELc67ELc76EKPKfKPfEviT_T0_PT6_S5_lS8_S5_lS6_PT7_S5_li,"axG",@progbits,_ZL41rocblas_syrkx_herkx_small_restrict_kernelIifLi16ELb0ELb0ELc67ELc76EKPKfKPfEviT_T0_PT6_S5_lS8_S5_lS6_PT7_S5_li,comdat
.Lfunc_end507:
	.size	_ZL41rocblas_syrkx_herkx_small_restrict_kernelIifLi16ELb0ELb0ELc67ELc76EKPKfKPfEviT_T0_PT6_S5_lS8_S5_lS6_PT7_S5_li, .Lfunc_end507-_ZL41rocblas_syrkx_herkx_small_restrict_kernelIifLi16ELb0ELb0ELc67ELc76EKPKfKPfEviT_T0_PT6_S5_lS8_S5_lS6_PT7_S5_li
                                        ; -- End function
	.section	.AMDGPU.csdata,"",@progbits
; Kernel info:
; codeLenInByte = 784
; NumSgprs: 18
; NumVgprs: 25
; ScratchSize: 0
; MemoryBound: 0
; FloatMode: 240
; IeeeMode: 1
; LDSByteSize: 2048 bytes/workgroup (compile time only)
; SGPRBlocks: 2
; VGPRBlocks: 3
; NumSGPRsForWavesPerEU: 18
; NumVGPRsForWavesPerEU: 25
; Occupancy: 16
; WaveLimiterHint : 1
; COMPUTE_PGM_RSRC2:SCRATCH_EN: 0
; COMPUTE_PGM_RSRC2:USER_SGPR: 13
; COMPUTE_PGM_RSRC2:TRAP_HANDLER: 0
; COMPUTE_PGM_RSRC2:TGID_X_EN: 1
; COMPUTE_PGM_RSRC2:TGID_Y_EN: 1
; COMPUTE_PGM_RSRC2:TGID_Z_EN: 1
; COMPUTE_PGM_RSRC2:TIDIG_COMP_CNT: 1
	.section	.text._ZL41rocblas_syrkx_herkx_small_restrict_kernelIifLi16ELb0ELb0ELc78ELc76EKPKfKPfEviT_T0_PT6_S5_lS8_S5_lS6_PT7_S5_li,"axG",@progbits,_ZL41rocblas_syrkx_herkx_small_restrict_kernelIifLi16ELb0ELb0ELc78ELc76EKPKfKPfEviT_T0_PT6_S5_lS8_S5_lS6_PT7_S5_li,comdat
	.globl	_ZL41rocblas_syrkx_herkx_small_restrict_kernelIifLi16ELb0ELb0ELc78ELc76EKPKfKPfEviT_T0_PT6_S5_lS8_S5_lS6_PT7_S5_li ; -- Begin function _ZL41rocblas_syrkx_herkx_small_restrict_kernelIifLi16ELb0ELb0ELc78ELc76EKPKfKPfEviT_T0_PT6_S5_lS8_S5_lS6_PT7_S5_li
	.p2align	8
	.type	_ZL41rocblas_syrkx_herkx_small_restrict_kernelIifLi16ELb0ELb0ELc78ELc76EKPKfKPfEviT_T0_PT6_S5_lS8_S5_lS6_PT7_S5_li,@function
_ZL41rocblas_syrkx_herkx_small_restrict_kernelIifLi16ELb0ELb0ELc78ELc76EKPKfKPfEviT_T0_PT6_S5_lS8_S5_lS6_PT7_S5_li: ; @_ZL41rocblas_syrkx_herkx_small_restrict_kernelIifLi16ELb0ELb0ELc78ELc76EKPKfKPfEviT_T0_PT6_S5_lS8_S5_lS6_PT7_S5_li
; %bb.0:
	s_clause 0x1
	s_load_b64 s[4:5], s[0:1], 0x48
	s_load_b64 s[2:3], s[0:1], 0x4
	s_mov_b32 s6, s15
	s_mov_b32 s7, 0
	v_and_b32_e32 v5, 0x3ff, v0
	s_lshl_b64 s[8:9], s[6:7], 3
	v_bfe_u32 v4, v0, 10, 10
	s_delay_alu instid0(VALU_DEP_2) | instskip(NEXT) | instid1(VALU_DEP_2)
	v_lshl_add_u32 v0, s13, 4, v5
	v_lshl_add_u32 v2, s14, 4, v4
	s_delay_alu instid0(VALU_DEP_2)
	v_ashrrev_i32_e32 v1, 31, v0
	s_waitcnt lgkmcnt(0)
	s_add_u32 s4, s4, s8
	s_addc_u32 s5, s5, s9
	s_cmp_lt_i32 s2, 1
	s_load_b64 s[4:5], s[4:5], 0x0
	s_cbranch_scc1 .LBB508_6
; %bb.1:
	s_clause 0x3
	s_load_b32 s10, s[0:1], 0x18
	s_load_b32 s12, s[0:1], 0x30
	s_load_b64 s[14:15], s[0:1], 0x28
	s_load_b64 s[16:17], s[0:1], 0x10
	v_lshlrev_b32_e32 v7, 2, v5
	v_ashrrev_i32_e32 v3, 31, v2
	v_lshlrev_b32_e32 v8, 6, v4
	v_lshlrev_b64 v[14:15], 2, v[0:1]
	s_delay_alu instid0(VALU_DEP_2)
	v_add_nc_u32_e32 v9, 0x400, v8
	s_waitcnt lgkmcnt(0)
	s_ashr_i32 s11, s10, 31
	s_ashr_i32 s13, s12, 31
	s_add_u32 s14, s14, s8
	s_addc_u32 s15, s15, s9
	v_mad_i64_i32 v[10:11], null, s12, v5, 0
	s_load_b64 s[14:15], s[14:15], 0x0
	s_add_u32 s8, s16, s8
	s_addc_u32 s9, s17, s9
	v_mad_i64_i32 v[5:6], null, s10, v4, 0
	s_load_b64 s[8:9], s[8:9], 0x0
	v_lshlrev_b64 v[3:4], 2, v[2:3]
	s_delay_alu instid0(VALU_DEP_3) | instskip(SKIP_4) | instid1(VALU_DEP_4)
	v_lshlrev_b64 v[12:13], 2, v[10:11]
	v_add_nc_u32_e32 v10, v7, v8
	v_dual_mov_b32 v8, 0 :: v_dual_add_nc_u32 v11, v9, v7
	v_lshlrev_b64 v[5:6], 2, v[5:6]
	s_lshl_b64 s[10:11], s[10:11], 6
	v_add_co_u32 v3, vcc_lo, v12, v3
	v_add_co_ci_u32_e32 v4, vcc_lo, v13, v4, vcc_lo
	s_delay_alu instid0(VALU_DEP_3) | instskip(NEXT) | instid1(VALU_DEP_4)
	v_add_co_u32 v5, vcc_lo, v5, v14
	v_add_co_ci_u32_e32 v6, vcc_lo, v6, v15, vcc_lo
	s_waitcnt lgkmcnt(0)
	v_add_co_u32 v3, vcc_lo, s14, v3
	v_add_co_ci_u32_e32 v4, vcc_lo, s15, v4, vcc_lo
	v_add_co_u32 v5, vcc_lo, s8, v5
	v_add_co_ci_u32_e32 v6, vcc_lo, s9, v6, vcc_lo
	s_lshl_b64 s[8:9], s[12:13], 6
.LBB508_2:                              ; =>This Inner Loop Header: Depth=1
	global_load_b32 v12, v[5:6], off
	global_load_b32 v13, v[3:4], off
	v_add_co_u32 v3, vcc_lo, v3, s8
	v_add_co_ci_u32_e32 v4, vcc_lo, s9, v4, vcc_lo
	v_add_co_u32 v5, vcc_lo, v5, s10
	v_add_co_ci_u32_e32 v6, vcc_lo, s11, v6, vcc_lo
	s_add_i32 s7, s7, 16
	s_waitcnt vmcnt(1)
	ds_store_b32 v10, v12
	s_waitcnt vmcnt(0)
	ds_store_b32 v11, v13
	s_waitcnt lgkmcnt(0)
	s_barrier
	buffer_gl0_inv
	ds_load_2addr_b32 v[20:21], v7 offset1:16
	ds_load_b128 v[12:15], v9
	ds_load_2addr_b32 v[22:23], v7 offset0:32 offset1:48
	ds_load_b128 v[16:19], v9 offset:16
	ds_load_2addr_b32 v[24:25], v7 offset0:64 offset1:80
	s_cmp_lt_i32 s7, s2
	s_waitcnt lgkmcnt(3)
	v_fmac_f32_e32 v8, v20, v12
	s_delay_alu instid0(VALU_DEP_1) | instskip(SKIP_3) | instid1(VALU_DEP_1)
	v_fmac_f32_e32 v8, v21, v13
	ds_load_2addr_b32 v[20:21], v7 offset0:96 offset1:112
	s_waitcnt lgkmcnt(3)
	v_fmac_f32_e32 v8, v22, v14
	v_fmac_f32_e32 v8, v23, v15
	ds_load_2addr_b32 v[22:23], v7 offset0:128 offset1:144
	ds_load_b128 v[12:15], v9 offset:32
	s_waitcnt lgkmcnt(3)
	v_fmac_f32_e32 v8, v24, v16
	s_delay_alu instid0(VALU_DEP_1) | instskip(SKIP_3) | instid1(VALU_DEP_1)
	v_fmac_f32_e32 v8, v25, v17
	ds_load_2addr_b32 v[24:25], v7 offset0:160 offset1:176
	s_waitcnt lgkmcnt(3)
	v_fmac_f32_e32 v8, v20, v18
	v_fmac_f32_e32 v8, v21, v19
	ds_load_b128 v[16:19], v9 offset:48
	ds_load_2addr_b32 v[20:21], v7 offset0:192 offset1:208
	s_waitcnt lgkmcnt(3)
	v_fmac_f32_e32 v8, v22, v12
	s_delay_alu instid0(VALU_DEP_1)
	v_fmac_f32_e32 v8, v23, v13
	ds_load_2addr_b32 v[12:13], v7 offset0:224 offset1:240
	s_waitcnt lgkmcnt(0)
	s_barrier
	buffer_gl0_inv
	v_fmac_f32_e32 v8, v24, v14
	s_delay_alu instid0(VALU_DEP_1) | instskip(NEXT) | instid1(VALU_DEP_1)
	v_fmac_f32_e32 v8, v25, v15
	v_fmac_f32_e32 v8, v20, v16
	s_delay_alu instid0(VALU_DEP_1) | instskip(NEXT) | instid1(VALU_DEP_1)
	v_fmac_f32_e32 v8, v21, v17
	v_fmac_f32_e32 v8, v12, v18
	s_delay_alu instid0(VALU_DEP_1)
	v_fmac_f32_e32 v8, v13, v19
	s_cbranch_scc1 .LBB508_2
; %bb.3:
	s_mov_b32 s2, exec_lo
	v_cmpx_le_i32_e64 v2, v0
	s_cbranch_execz .LBB508_5
.LBB508_4:
	s_load_b32 s2, s[0:1], 0x50
	v_lshlrev_b64 v[0:1], 2, v[0:1]
	s_load_b32 s0, s[0:1], 0x40
	s_waitcnt lgkmcnt(0)
	v_mad_i64_i32 v[3:4], null, s2, v2, 0
	s_delay_alu instid0(VALU_DEP_1) | instskip(NEXT) | instid1(VALU_DEP_1)
	v_lshlrev_b64 v[2:3], 2, v[3:4]
	v_add_co_u32 v2, vcc_lo, s4, v2
	s_delay_alu instid0(VALU_DEP_2) | instskip(NEXT) | instid1(VALU_DEP_2)
	v_add_co_ci_u32_e32 v3, vcc_lo, s5, v3, vcc_lo
	v_add_co_u32 v0, vcc_lo, v2, v0
	s_delay_alu instid0(VALU_DEP_2) | instskip(SKIP_3) | instid1(VALU_DEP_1)
	v_add_co_ci_u32_e32 v1, vcc_lo, v3, v1, vcc_lo
	global_load_b32 v2, v[0:1], off
	s_waitcnt vmcnt(0)
	v_mul_f32_e32 v2, s0, v2
	v_fmac_f32_e32 v2, s3, v8
	global_store_b32 v[0:1], v2, off
.LBB508_5:
	s_nop 0
	s_sendmsg sendmsg(MSG_DEALLOC_VGPRS)
	s_endpgm
.LBB508_6:
	v_mov_b32_e32 v8, 0
	s_mov_b32 s2, exec_lo
	v_cmpx_le_i32_e64 v2, v0
	s_cbranch_execnz .LBB508_4
	s_branch .LBB508_5
	.section	.rodata,"a",@progbits
	.p2align	6, 0x0
	.amdhsa_kernel _ZL41rocblas_syrkx_herkx_small_restrict_kernelIifLi16ELb0ELb0ELc78ELc76EKPKfKPfEviT_T0_PT6_S5_lS8_S5_lS6_PT7_S5_li
		.amdhsa_group_segment_fixed_size 2048
		.amdhsa_private_segment_fixed_size 0
		.amdhsa_kernarg_size 100
		.amdhsa_user_sgpr_count 13
		.amdhsa_user_sgpr_dispatch_ptr 0
		.amdhsa_user_sgpr_queue_ptr 0
		.amdhsa_user_sgpr_kernarg_segment_ptr 1
		.amdhsa_user_sgpr_dispatch_id 0
		.amdhsa_user_sgpr_private_segment_size 0
		.amdhsa_wavefront_size32 1
		.amdhsa_uses_dynamic_stack 0
		.amdhsa_enable_private_segment 0
		.amdhsa_system_sgpr_workgroup_id_x 1
		.amdhsa_system_sgpr_workgroup_id_y 1
		.amdhsa_system_sgpr_workgroup_id_z 1
		.amdhsa_system_sgpr_workgroup_info 0
		.amdhsa_system_vgpr_workitem_id 1
		.amdhsa_next_free_vgpr 26
		.amdhsa_next_free_sgpr 18
		.amdhsa_reserve_vcc 1
		.amdhsa_float_round_mode_32 0
		.amdhsa_float_round_mode_16_64 0
		.amdhsa_float_denorm_mode_32 3
		.amdhsa_float_denorm_mode_16_64 3
		.amdhsa_dx10_clamp 1
		.amdhsa_ieee_mode 1
		.amdhsa_fp16_overflow 0
		.amdhsa_workgroup_processor_mode 1
		.amdhsa_memory_ordered 1
		.amdhsa_forward_progress 0
		.amdhsa_shared_vgpr_count 0
		.amdhsa_exception_fp_ieee_invalid_op 0
		.amdhsa_exception_fp_denorm_src 0
		.amdhsa_exception_fp_ieee_div_zero 0
		.amdhsa_exception_fp_ieee_overflow 0
		.amdhsa_exception_fp_ieee_underflow 0
		.amdhsa_exception_fp_ieee_inexact 0
		.amdhsa_exception_int_div_zero 0
	.end_amdhsa_kernel
	.section	.text._ZL41rocblas_syrkx_herkx_small_restrict_kernelIifLi16ELb0ELb0ELc78ELc76EKPKfKPfEviT_T0_PT6_S5_lS8_S5_lS6_PT7_S5_li,"axG",@progbits,_ZL41rocblas_syrkx_herkx_small_restrict_kernelIifLi16ELb0ELb0ELc78ELc76EKPKfKPfEviT_T0_PT6_S5_lS8_S5_lS6_PT7_S5_li,comdat
.Lfunc_end508:
	.size	_ZL41rocblas_syrkx_herkx_small_restrict_kernelIifLi16ELb0ELb0ELc78ELc76EKPKfKPfEviT_T0_PT6_S5_lS8_S5_lS6_PT7_S5_li, .Lfunc_end508-_ZL41rocblas_syrkx_herkx_small_restrict_kernelIifLi16ELb0ELb0ELc78ELc76EKPKfKPfEviT_T0_PT6_S5_lS8_S5_lS6_PT7_S5_li
                                        ; -- End function
	.section	.AMDGPU.csdata,"",@progbits
; Kernel info:
; codeLenInByte = 808
; NumSgprs: 20
; NumVgprs: 26
; ScratchSize: 0
; MemoryBound: 0
; FloatMode: 240
; IeeeMode: 1
; LDSByteSize: 2048 bytes/workgroup (compile time only)
; SGPRBlocks: 2
; VGPRBlocks: 3
; NumSGPRsForWavesPerEU: 20
; NumVGPRsForWavesPerEU: 26
; Occupancy: 16
; WaveLimiterHint : 1
; COMPUTE_PGM_RSRC2:SCRATCH_EN: 0
; COMPUTE_PGM_RSRC2:USER_SGPR: 13
; COMPUTE_PGM_RSRC2:TRAP_HANDLER: 0
; COMPUTE_PGM_RSRC2:TGID_X_EN: 1
; COMPUTE_PGM_RSRC2:TGID_Y_EN: 1
; COMPUTE_PGM_RSRC2:TGID_Z_EN: 1
; COMPUTE_PGM_RSRC2:TIDIG_COMP_CNT: 1
	.section	.text._ZL41rocblas_syrkx_herkx_small_restrict_kernelIifLi16ELb0ELb0ELc84ELc85EKPKfKPfEviT_T0_PT6_S5_lS8_S5_lS6_PT7_S5_li,"axG",@progbits,_ZL41rocblas_syrkx_herkx_small_restrict_kernelIifLi16ELb0ELb0ELc84ELc85EKPKfKPfEviT_T0_PT6_S5_lS8_S5_lS6_PT7_S5_li,comdat
	.globl	_ZL41rocblas_syrkx_herkx_small_restrict_kernelIifLi16ELb0ELb0ELc84ELc85EKPKfKPfEviT_T0_PT6_S5_lS8_S5_lS6_PT7_S5_li ; -- Begin function _ZL41rocblas_syrkx_herkx_small_restrict_kernelIifLi16ELb0ELb0ELc84ELc85EKPKfKPfEviT_T0_PT6_S5_lS8_S5_lS6_PT7_S5_li
	.p2align	8
	.type	_ZL41rocblas_syrkx_herkx_small_restrict_kernelIifLi16ELb0ELb0ELc84ELc85EKPKfKPfEviT_T0_PT6_S5_lS8_S5_lS6_PT7_S5_li,@function
_ZL41rocblas_syrkx_herkx_small_restrict_kernelIifLi16ELb0ELb0ELc84ELc85EKPKfKPfEviT_T0_PT6_S5_lS8_S5_lS6_PT7_S5_li: ; @_ZL41rocblas_syrkx_herkx_small_restrict_kernelIifLi16ELb0ELb0ELc84ELc85EKPKfKPfEviT_T0_PT6_S5_lS8_S5_lS6_PT7_S5_li
; %bb.0:
	s_clause 0x1
	s_load_b64 s[4:5], s[0:1], 0x48
	s_load_b64 s[2:3], s[0:1], 0x4
	s_mov_b32 s6, s15
	s_mov_b32 s7, 0
	v_and_b32_e32 v2, 0x3ff, v0
	s_lshl_b64 s[8:9], s[6:7], 3
	v_bfe_u32 v1, v0, 10, 10
	s_delay_alu instid0(VALU_DEP_2) | instskip(NEXT) | instid1(VALU_DEP_2)
	v_lshl_add_u32 v0, s13, 4, v2
	v_lshl_add_u32 v5, s14, 4, v1
	s_waitcnt lgkmcnt(0)
	s_add_u32 s4, s4, s8
	s_addc_u32 s5, s5, s9
	s_cmp_lt_i32 s2, 1
	s_load_b64 s[4:5], s[4:5], 0x0
	s_cbranch_scc1 .LBB509_6
; %bb.1:
	s_clause 0x3
	s_load_b64 s[10:11], s[0:1], 0x28
	s_load_b32 s6, s[0:1], 0x30
	s_load_b32 s14, s[0:1], 0x18
	s_load_b64 s[12:13], s[0:1], 0x10
	v_lshlrev_b32_e32 v6, 2, v2
	v_lshlrev_b32_e32 v4, 6, v1
	;; [unrolled: 1-line block ×3, first 2 shown]
	s_delay_alu instid0(VALU_DEP_2) | instskip(NEXT) | instid1(VALU_DEP_4)
	v_add_nc_u32_e32 v8, 0x400, v4
	v_add_nc_u32_e32 v9, v6, v4
	s_delay_alu instid0(VALU_DEP_2)
	v_add_nc_u32_e32 v10, v8, v6
	s_waitcnt lgkmcnt(0)
	s_add_u32 s10, s10, s8
	s_addc_u32 s11, s11, s9
	v_mad_i64_i32 v[2:3], null, s6, v5, 0
	s_load_b64 s[10:11], s[10:11], 0x0
	s_add_u32 s8, s12, s8
	s_addc_u32 s9, s13, s9
	v_mad_i64_i32 v[11:12], null, s14, v0, 0
	s_load_b64 s[8:9], s[8:9], 0x0
	s_delay_alu instid0(VALU_DEP_2) | instskip(NEXT) | instid1(VALU_DEP_2)
	v_lshlrev_b64 v[2:3], 2, v[2:3]
	v_lshlrev_b64 v[11:12], 2, v[11:12]
	s_delay_alu instid0(VALU_DEP_2) | instskip(NEXT) | instid1(VALU_DEP_3)
	v_add_co_u32 v2, vcc_lo, v2, v6
	v_add_co_ci_u32_e32 v3, vcc_lo, 0, v3, vcc_lo
	s_delay_alu instid0(VALU_DEP_3) | instskip(NEXT) | instid1(VALU_DEP_4)
	v_add_co_u32 v4, vcc_lo, v11, v1
	v_add_co_ci_u32_e32 v7, vcc_lo, 0, v12, vcc_lo
	s_waitcnt lgkmcnt(0)
	v_add_co_u32 v1, vcc_lo, s10, v2
	v_add_co_ci_u32_e32 v2, vcc_lo, s11, v3, vcc_lo
	v_add_co_u32 v3, vcc_lo, s8, v4
	v_add_co_ci_u32_e32 v4, vcc_lo, s9, v7, vcc_lo
	v_mov_b32_e32 v7, 0
.LBB509_2:                              ; =>This Inner Loop Header: Depth=1
	global_load_b32 v11, v[3:4], off
	global_load_b32 v12, v[1:2], off
	v_add_co_u32 v1, vcc_lo, v1, 64
	v_add_co_ci_u32_e32 v2, vcc_lo, 0, v2, vcc_lo
	v_add_co_u32 v3, vcc_lo, v3, 64
	v_add_co_ci_u32_e32 v4, vcc_lo, 0, v4, vcc_lo
	s_add_i32 s7, s7, 16
	s_waitcnt vmcnt(1)
	ds_store_b32 v9, v11
	s_waitcnt vmcnt(0)
	ds_store_b32 v10, v12
	s_waitcnt lgkmcnt(0)
	s_barrier
	buffer_gl0_inv
	ds_load_2addr_b32 v[19:20], v6 offset1:16
	ds_load_b128 v[11:14], v8
	ds_load_2addr_b32 v[21:22], v6 offset0:32 offset1:48
	ds_load_b128 v[15:18], v8 offset:16
	ds_load_2addr_b32 v[23:24], v6 offset0:64 offset1:80
	s_cmp_lt_i32 s7, s2
	s_waitcnt lgkmcnt(3)
	v_fmac_f32_e32 v7, v19, v11
	s_delay_alu instid0(VALU_DEP_1) | instskip(SKIP_3) | instid1(VALU_DEP_1)
	v_fmac_f32_e32 v7, v20, v12
	ds_load_2addr_b32 v[19:20], v6 offset0:96 offset1:112
	s_waitcnt lgkmcnt(3)
	v_fmac_f32_e32 v7, v21, v13
	v_fmac_f32_e32 v7, v22, v14
	ds_load_2addr_b32 v[21:22], v6 offset0:128 offset1:144
	ds_load_b128 v[11:14], v8 offset:32
	s_waitcnt lgkmcnt(3)
	v_fmac_f32_e32 v7, v23, v15
	s_delay_alu instid0(VALU_DEP_1) | instskip(SKIP_3) | instid1(VALU_DEP_1)
	v_fmac_f32_e32 v7, v24, v16
	ds_load_2addr_b32 v[23:24], v6 offset0:160 offset1:176
	s_waitcnt lgkmcnt(3)
	v_fmac_f32_e32 v7, v19, v17
	v_fmac_f32_e32 v7, v20, v18
	ds_load_b128 v[15:18], v8 offset:48
	ds_load_2addr_b32 v[19:20], v6 offset0:192 offset1:208
	s_waitcnt lgkmcnt(3)
	v_fmac_f32_e32 v7, v21, v11
	s_delay_alu instid0(VALU_DEP_1)
	v_fmac_f32_e32 v7, v22, v12
	ds_load_2addr_b32 v[11:12], v6 offset0:224 offset1:240
	s_waitcnt lgkmcnt(0)
	s_barrier
	buffer_gl0_inv
	v_fmac_f32_e32 v7, v23, v13
	s_delay_alu instid0(VALU_DEP_1) | instskip(NEXT) | instid1(VALU_DEP_1)
	v_fmac_f32_e32 v7, v24, v14
	v_fmac_f32_e32 v7, v19, v15
	s_delay_alu instid0(VALU_DEP_1) | instskip(NEXT) | instid1(VALU_DEP_1)
	v_fmac_f32_e32 v7, v20, v16
	v_fmac_f32_e32 v7, v11, v17
	s_delay_alu instid0(VALU_DEP_1)
	v_fmac_f32_e32 v7, v12, v18
	s_cbranch_scc1 .LBB509_2
; %bb.3:
	s_mov_b32 s2, exec_lo
	v_cmpx_le_i32_e64 v0, v5
	s_cbranch_execz .LBB509_5
.LBB509_4:
	s_load_b32 s2, s[0:1], 0x50
	v_ashrrev_i32_e32 v1, 31, v0
	s_load_b32 s0, s[0:1], 0x40
	s_delay_alu instid0(VALU_DEP_1) | instskip(SKIP_2) | instid1(VALU_DEP_1)
	v_lshlrev_b64 v[0:1], 2, v[0:1]
	s_waitcnt lgkmcnt(0)
	v_mad_i64_i32 v[2:3], null, s2, v5, 0
	v_lshlrev_b64 v[2:3], 2, v[2:3]
	s_delay_alu instid0(VALU_DEP_1) | instskip(NEXT) | instid1(VALU_DEP_2)
	v_add_co_u32 v2, vcc_lo, s4, v2
	v_add_co_ci_u32_e32 v3, vcc_lo, s5, v3, vcc_lo
	s_delay_alu instid0(VALU_DEP_2) | instskip(NEXT) | instid1(VALU_DEP_2)
	v_add_co_u32 v0, vcc_lo, v2, v0
	v_add_co_ci_u32_e32 v1, vcc_lo, v3, v1, vcc_lo
	global_load_b32 v2, v[0:1], off
	s_waitcnt vmcnt(0)
	v_mul_f32_e32 v2, s0, v2
	s_delay_alu instid0(VALU_DEP_1)
	v_fmac_f32_e32 v2, s3, v7
	global_store_b32 v[0:1], v2, off
.LBB509_5:
	s_nop 0
	s_sendmsg sendmsg(MSG_DEALLOC_VGPRS)
	s_endpgm
.LBB509_6:
	v_mov_b32_e32 v7, 0
	s_mov_b32 s2, exec_lo
	v_cmpx_le_i32_e64 v0, v5
	s_cbranch_execnz .LBB509_4
	s_branch .LBB509_5
	.section	.rodata,"a",@progbits
	.p2align	6, 0x0
	.amdhsa_kernel _ZL41rocblas_syrkx_herkx_small_restrict_kernelIifLi16ELb0ELb0ELc84ELc85EKPKfKPfEviT_T0_PT6_S5_lS8_S5_lS6_PT7_S5_li
		.amdhsa_group_segment_fixed_size 2048
		.amdhsa_private_segment_fixed_size 0
		.amdhsa_kernarg_size 100
		.amdhsa_user_sgpr_count 13
		.amdhsa_user_sgpr_dispatch_ptr 0
		.amdhsa_user_sgpr_queue_ptr 0
		.amdhsa_user_sgpr_kernarg_segment_ptr 1
		.amdhsa_user_sgpr_dispatch_id 0
		.amdhsa_user_sgpr_private_segment_size 0
		.amdhsa_wavefront_size32 1
		.amdhsa_uses_dynamic_stack 0
		.amdhsa_enable_private_segment 0
		.amdhsa_system_sgpr_workgroup_id_x 1
		.amdhsa_system_sgpr_workgroup_id_y 1
		.amdhsa_system_sgpr_workgroup_id_z 1
		.amdhsa_system_sgpr_workgroup_info 0
		.amdhsa_system_vgpr_workitem_id 1
		.amdhsa_next_free_vgpr 25
		.amdhsa_next_free_sgpr 16
		.amdhsa_reserve_vcc 1
		.amdhsa_float_round_mode_32 0
		.amdhsa_float_round_mode_16_64 0
		.amdhsa_float_denorm_mode_32 3
		.amdhsa_float_denorm_mode_16_64 3
		.amdhsa_dx10_clamp 1
		.amdhsa_ieee_mode 1
		.amdhsa_fp16_overflow 0
		.amdhsa_workgroup_processor_mode 1
		.amdhsa_memory_ordered 1
		.amdhsa_forward_progress 0
		.amdhsa_shared_vgpr_count 0
		.amdhsa_exception_fp_ieee_invalid_op 0
		.amdhsa_exception_fp_denorm_src 0
		.amdhsa_exception_fp_ieee_div_zero 0
		.amdhsa_exception_fp_ieee_overflow 0
		.amdhsa_exception_fp_ieee_underflow 0
		.amdhsa_exception_fp_ieee_inexact 0
		.amdhsa_exception_int_div_zero 0
	.end_amdhsa_kernel
	.section	.text._ZL41rocblas_syrkx_herkx_small_restrict_kernelIifLi16ELb0ELb0ELc84ELc85EKPKfKPfEviT_T0_PT6_S5_lS8_S5_lS6_PT7_S5_li,"axG",@progbits,_ZL41rocblas_syrkx_herkx_small_restrict_kernelIifLi16ELb0ELb0ELc84ELc85EKPKfKPfEviT_T0_PT6_S5_lS8_S5_lS6_PT7_S5_li,comdat
.Lfunc_end509:
	.size	_ZL41rocblas_syrkx_herkx_small_restrict_kernelIifLi16ELb0ELb0ELc84ELc85EKPKfKPfEviT_T0_PT6_S5_lS8_S5_lS6_PT7_S5_li, .Lfunc_end509-_ZL41rocblas_syrkx_herkx_small_restrict_kernelIifLi16ELb0ELb0ELc84ELc85EKPKfKPfEviT_T0_PT6_S5_lS8_S5_lS6_PT7_S5_li
                                        ; -- End function
	.section	.AMDGPU.csdata,"",@progbits
; Kernel info:
; codeLenInByte = 784
; NumSgprs: 18
; NumVgprs: 25
; ScratchSize: 0
; MemoryBound: 0
; FloatMode: 240
; IeeeMode: 1
; LDSByteSize: 2048 bytes/workgroup (compile time only)
; SGPRBlocks: 2
; VGPRBlocks: 3
; NumSGPRsForWavesPerEU: 18
; NumVGPRsForWavesPerEU: 25
; Occupancy: 16
; WaveLimiterHint : 1
; COMPUTE_PGM_RSRC2:SCRATCH_EN: 0
; COMPUTE_PGM_RSRC2:USER_SGPR: 13
; COMPUTE_PGM_RSRC2:TRAP_HANDLER: 0
; COMPUTE_PGM_RSRC2:TGID_X_EN: 1
; COMPUTE_PGM_RSRC2:TGID_Y_EN: 1
; COMPUTE_PGM_RSRC2:TGID_Z_EN: 1
; COMPUTE_PGM_RSRC2:TIDIG_COMP_CNT: 1
	.section	.text._ZL41rocblas_syrkx_herkx_small_restrict_kernelIifLi16ELb0ELb0ELc67ELc85EKPKfKPfEviT_T0_PT6_S5_lS8_S5_lS6_PT7_S5_li,"axG",@progbits,_ZL41rocblas_syrkx_herkx_small_restrict_kernelIifLi16ELb0ELb0ELc67ELc85EKPKfKPfEviT_T0_PT6_S5_lS8_S5_lS6_PT7_S5_li,comdat
	.globl	_ZL41rocblas_syrkx_herkx_small_restrict_kernelIifLi16ELb0ELb0ELc67ELc85EKPKfKPfEviT_T0_PT6_S5_lS8_S5_lS6_PT7_S5_li ; -- Begin function _ZL41rocblas_syrkx_herkx_small_restrict_kernelIifLi16ELb0ELb0ELc67ELc85EKPKfKPfEviT_T0_PT6_S5_lS8_S5_lS6_PT7_S5_li
	.p2align	8
	.type	_ZL41rocblas_syrkx_herkx_small_restrict_kernelIifLi16ELb0ELb0ELc67ELc85EKPKfKPfEviT_T0_PT6_S5_lS8_S5_lS6_PT7_S5_li,@function
_ZL41rocblas_syrkx_herkx_small_restrict_kernelIifLi16ELb0ELb0ELc67ELc85EKPKfKPfEviT_T0_PT6_S5_lS8_S5_lS6_PT7_S5_li: ; @_ZL41rocblas_syrkx_herkx_small_restrict_kernelIifLi16ELb0ELb0ELc67ELc85EKPKfKPfEviT_T0_PT6_S5_lS8_S5_lS6_PT7_S5_li
; %bb.0:
	s_clause 0x1
	s_load_b64 s[4:5], s[0:1], 0x48
	s_load_b64 s[2:3], s[0:1], 0x4
	s_mov_b32 s6, s15
	s_mov_b32 s7, 0
	v_and_b32_e32 v2, 0x3ff, v0
	s_lshl_b64 s[8:9], s[6:7], 3
	v_bfe_u32 v1, v0, 10, 10
	s_delay_alu instid0(VALU_DEP_2) | instskip(NEXT) | instid1(VALU_DEP_2)
	v_lshl_add_u32 v0, s13, 4, v2
	v_lshl_add_u32 v5, s14, 4, v1
	s_waitcnt lgkmcnt(0)
	s_add_u32 s4, s4, s8
	s_addc_u32 s5, s5, s9
	s_cmp_lt_i32 s2, 1
	s_load_b64 s[4:5], s[4:5], 0x0
	s_cbranch_scc1 .LBB510_6
; %bb.1:
	s_clause 0x3
	s_load_b64 s[10:11], s[0:1], 0x28
	s_load_b32 s6, s[0:1], 0x30
	s_load_b32 s14, s[0:1], 0x18
	s_load_b64 s[12:13], s[0:1], 0x10
	v_lshlrev_b32_e32 v6, 2, v2
	v_lshlrev_b32_e32 v4, 6, v1
	;; [unrolled: 1-line block ×3, first 2 shown]
	s_delay_alu instid0(VALU_DEP_2) | instskip(NEXT) | instid1(VALU_DEP_4)
	v_add_nc_u32_e32 v8, 0x400, v4
	v_add_nc_u32_e32 v9, v6, v4
	s_delay_alu instid0(VALU_DEP_2)
	v_add_nc_u32_e32 v10, v8, v6
	s_waitcnt lgkmcnt(0)
	s_add_u32 s10, s10, s8
	s_addc_u32 s11, s11, s9
	v_mad_i64_i32 v[2:3], null, s6, v5, 0
	s_load_b64 s[10:11], s[10:11], 0x0
	s_add_u32 s8, s12, s8
	s_addc_u32 s9, s13, s9
	v_mad_i64_i32 v[11:12], null, s14, v0, 0
	s_load_b64 s[8:9], s[8:9], 0x0
	s_delay_alu instid0(VALU_DEP_2) | instskip(NEXT) | instid1(VALU_DEP_2)
	v_lshlrev_b64 v[2:3], 2, v[2:3]
	v_lshlrev_b64 v[11:12], 2, v[11:12]
	s_delay_alu instid0(VALU_DEP_2) | instskip(NEXT) | instid1(VALU_DEP_3)
	v_add_co_u32 v2, vcc_lo, v2, v6
	v_add_co_ci_u32_e32 v3, vcc_lo, 0, v3, vcc_lo
	s_delay_alu instid0(VALU_DEP_3) | instskip(NEXT) | instid1(VALU_DEP_4)
	v_add_co_u32 v4, vcc_lo, v11, v1
	v_add_co_ci_u32_e32 v7, vcc_lo, 0, v12, vcc_lo
	s_waitcnt lgkmcnt(0)
	v_add_co_u32 v1, vcc_lo, s10, v2
	v_add_co_ci_u32_e32 v2, vcc_lo, s11, v3, vcc_lo
	v_add_co_u32 v3, vcc_lo, s8, v4
	v_add_co_ci_u32_e32 v4, vcc_lo, s9, v7, vcc_lo
	v_mov_b32_e32 v7, 0
.LBB510_2:                              ; =>This Inner Loop Header: Depth=1
	global_load_b32 v11, v[3:4], off
	global_load_b32 v12, v[1:2], off
	v_add_co_u32 v1, vcc_lo, v1, 64
	v_add_co_ci_u32_e32 v2, vcc_lo, 0, v2, vcc_lo
	v_add_co_u32 v3, vcc_lo, v3, 64
	v_add_co_ci_u32_e32 v4, vcc_lo, 0, v4, vcc_lo
	s_add_i32 s7, s7, 16
	s_waitcnt vmcnt(1)
	ds_store_b32 v9, v11
	s_waitcnt vmcnt(0)
	ds_store_b32 v10, v12
	s_waitcnt lgkmcnt(0)
	s_barrier
	buffer_gl0_inv
	ds_load_2addr_b32 v[19:20], v6 offset1:16
	ds_load_b128 v[11:14], v8
	ds_load_2addr_b32 v[21:22], v6 offset0:32 offset1:48
	ds_load_b128 v[15:18], v8 offset:16
	ds_load_2addr_b32 v[23:24], v6 offset0:64 offset1:80
	s_cmp_lt_i32 s7, s2
	s_waitcnt lgkmcnt(3)
	v_fmac_f32_e32 v7, v19, v11
	s_delay_alu instid0(VALU_DEP_1) | instskip(SKIP_3) | instid1(VALU_DEP_1)
	v_fmac_f32_e32 v7, v20, v12
	ds_load_2addr_b32 v[19:20], v6 offset0:96 offset1:112
	s_waitcnt lgkmcnt(3)
	v_fmac_f32_e32 v7, v21, v13
	v_fmac_f32_e32 v7, v22, v14
	ds_load_2addr_b32 v[21:22], v6 offset0:128 offset1:144
	ds_load_b128 v[11:14], v8 offset:32
	s_waitcnt lgkmcnt(3)
	v_fmac_f32_e32 v7, v23, v15
	s_delay_alu instid0(VALU_DEP_1) | instskip(SKIP_3) | instid1(VALU_DEP_1)
	v_fmac_f32_e32 v7, v24, v16
	ds_load_2addr_b32 v[23:24], v6 offset0:160 offset1:176
	s_waitcnt lgkmcnt(3)
	v_fmac_f32_e32 v7, v19, v17
	v_fmac_f32_e32 v7, v20, v18
	ds_load_b128 v[15:18], v8 offset:48
	ds_load_2addr_b32 v[19:20], v6 offset0:192 offset1:208
	s_waitcnt lgkmcnt(3)
	v_fmac_f32_e32 v7, v21, v11
	s_delay_alu instid0(VALU_DEP_1)
	v_fmac_f32_e32 v7, v22, v12
	ds_load_2addr_b32 v[11:12], v6 offset0:224 offset1:240
	s_waitcnt lgkmcnt(0)
	s_barrier
	buffer_gl0_inv
	v_fmac_f32_e32 v7, v23, v13
	s_delay_alu instid0(VALU_DEP_1) | instskip(NEXT) | instid1(VALU_DEP_1)
	v_fmac_f32_e32 v7, v24, v14
	v_fmac_f32_e32 v7, v19, v15
	s_delay_alu instid0(VALU_DEP_1) | instskip(NEXT) | instid1(VALU_DEP_1)
	v_fmac_f32_e32 v7, v20, v16
	v_fmac_f32_e32 v7, v11, v17
	s_delay_alu instid0(VALU_DEP_1)
	v_fmac_f32_e32 v7, v12, v18
	s_cbranch_scc1 .LBB510_2
; %bb.3:
	s_mov_b32 s2, exec_lo
	v_cmpx_le_i32_e64 v0, v5
	s_cbranch_execz .LBB510_5
.LBB510_4:
	s_load_b32 s2, s[0:1], 0x50
	v_ashrrev_i32_e32 v1, 31, v0
	s_load_b32 s0, s[0:1], 0x40
	s_delay_alu instid0(VALU_DEP_1) | instskip(SKIP_2) | instid1(VALU_DEP_1)
	v_lshlrev_b64 v[0:1], 2, v[0:1]
	s_waitcnt lgkmcnt(0)
	v_mad_i64_i32 v[2:3], null, s2, v5, 0
	v_lshlrev_b64 v[2:3], 2, v[2:3]
	s_delay_alu instid0(VALU_DEP_1) | instskip(NEXT) | instid1(VALU_DEP_2)
	v_add_co_u32 v2, vcc_lo, s4, v2
	v_add_co_ci_u32_e32 v3, vcc_lo, s5, v3, vcc_lo
	s_delay_alu instid0(VALU_DEP_2) | instskip(NEXT) | instid1(VALU_DEP_2)
	v_add_co_u32 v0, vcc_lo, v2, v0
	v_add_co_ci_u32_e32 v1, vcc_lo, v3, v1, vcc_lo
	global_load_b32 v2, v[0:1], off
	s_waitcnt vmcnt(0)
	v_mul_f32_e32 v2, s0, v2
	s_delay_alu instid0(VALU_DEP_1)
	v_fmac_f32_e32 v2, s3, v7
	global_store_b32 v[0:1], v2, off
.LBB510_5:
	s_nop 0
	s_sendmsg sendmsg(MSG_DEALLOC_VGPRS)
	s_endpgm
.LBB510_6:
	v_mov_b32_e32 v7, 0
	s_mov_b32 s2, exec_lo
	v_cmpx_le_i32_e64 v0, v5
	s_cbranch_execnz .LBB510_4
	s_branch .LBB510_5
	.section	.rodata,"a",@progbits
	.p2align	6, 0x0
	.amdhsa_kernel _ZL41rocblas_syrkx_herkx_small_restrict_kernelIifLi16ELb0ELb0ELc67ELc85EKPKfKPfEviT_T0_PT6_S5_lS8_S5_lS6_PT7_S5_li
		.amdhsa_group_segment_fixed_size 2048
		.amdhsa_private_segment_fixed_size 0
		.amdhsa_kernarg_size 100
		.amdhsa_user_sgpr_count 13
		.amdhsa_user_sgpr_dispatch_ptr 0
		.amdhsa_user_sgpr_queue_ptr 0
		.amdhsa_user_sgpr_kernarg_segment_ptr 1
		.amdhsa_user_sgpr_dispatch_id 0
		.amdhsa_user_sgpr_private_segment_size 0
		.amdhsa_wavefront_size32 1
		.amdhsa_uses_dynamic_stack 0
		.amdhsa_enable_private_segment 0
		.amdhsa_system_sgpr_workgroup_id_x 1
		.amdhsa_system_sgpr_workgroup_id_y 1
		.amdhsa_system_sgpr_workgroup_id_z 1
		.amdhsa_system_sgpr_workgroup_info 0
		.amdhsa_system_vgpr_workitem_id 1
		.amdhsa_next_free_vgpr 25
		.amdhsa_next_free_sgpr 16
		.amdhsa_reserve_vcc 1
		.amdhsa_float_round_mode_32 0
		.amdhsa_float_round_mode_16_64 0
		.amdhsa_float_denorm_mode_32 3
		.amdhsa_float_denorm_mode_16_64 3
		.amdhsa_dx10_clamp 1
		.amdhsa_ieee_mode 1
		.amdhsa_fp16_overflow 0
		.amdhsa_workgroup_processor_mode 1
		.amdhsa_memory_ordered 1
		.amdhsa_forward_progress 0
		.amdhsa_shared_vgpr_count 0
		.amdhsa_exception_fp_ieee_invalid_op 0
		.amdhsa_exception_fp_denorm_src 0
		.amdhsa_exception_fp_ieee_div_zero 0
		.amdhsa_exception_fp_ieee_overflow 0
		.amdhsa_exception_fp_ieee_underflow 0
		.amdhsa_exception_fp_ieee_inexact 0
		.amdhsa_exception_int_div_zero 0
	.end_amdhsa_kernel
	.section	.text._ZL41rocblas_syrkx_herkx_small_restrict_kernelIifLi16ELb0ELb0ELc67ELc85EKPKfKPfEviT_T0_PT6_S5_lS8_S5_lS6_PT7_S5_li,"axG",@progbits,_ZL41rocblas_syrkx_herkx_small_restrict_kernelIifLi16ELb0ELb0ELc67ELc85EKPKfKPfEviT_T0_PT6_S5_lS8_S5_lS6_PT7_S5_li,comdat
.Lfunc_end510:
	.size	_ZL41rocblas_syrkx_herkx_small_restrict_kernelIifLi16ELb0ELb0ELc67ELc85EKPKfKPfEviT_T0_PT6_S5_lS8_S5_lS6_PT7_S5_li, .Lfunc_end510-_ZL41rocblas_syrkx_herkx_small_restrict_kernelIifLi16ELb0ELb0ELc67ELc85EKPKfKPfEviT_T0_PT6_S5_lS8_S5_lS6_PT7_S5_li
                                        ; -- End function
	.section	.AMDGPU.csdata,"",@progbits
; Kernel info:
; codeLenInByte = 784
; NumSgprs: 18
; NumVgprs: 25
; ScratchSize: 0
; MemoryBound: 0
; FloatMode: 240
; IeeeMode: 1
; LDSByteSize: 2048 bytes/workgroup (compile time only)
; SGPRBlocks: 2
; VGPRBlocks: 3
; NumSGPRsForWavesPerEU: 18
; NumVGPRsForWavesPerEU: 25
; Occupancy: 16
; WaveLimiterHint : 1
; COMPUTE_PGM_RSRC2:SCRATCH_EN: 0
; COMPUTE_PGM_RSRC2:USER_SGPR: 13
; COMPUTE_PGM_RSRC2:TRAP_HANDLER: 0
; COMPUTE_PGM_RSRC2:TGID_X_EN: 1
; COMPUTE_PGM_RSRC2:TGID_Y_EN: 1
; COMPUTE_PGM_RSRC2:TGID_Z_EN: 1
; COMPUTE_PGM_RSRC2:TIDIG_COMP_CNT: 1
	.section	.text._ZL41rocblas_syrkx_herkx_small_restrict_kernelIifLi16ELb0ELb0ELc78ELc85EKPKfKPfEviT_T0_PT6_S5_lS8_S5_lS6_PT7_S5_li,"axG",@progbits,_ZL41rocblas_syrkx_herkx_small_restrict_kernelIifLi16ELb0ELb0ELc78ELc85EKPKfKPfEviT_T0_PT6_S5_lS8_S5_lS6_PT7_S5_li,comdat
	.globl	_ZL41rocblas_syrkx_herkx_small_restrict_kernelIifLi16ELb0ELb0ELc78ELc85EKPKfKPfEviT_T0_PT6_S5_lS8_S5_lS6_PT7_S5_li ; -- Begin function _ZL41rocblas_syrkx_herkx_small_restrict_kernelIifLi16ELb0ELb0ELc78ELc85EKPKfKPfEviT_T0_PT6_S5_lS8_S5_lS6_PT7_S5_li
	.p2align	8
	.type	_ZL41rocblas_syrkx_herkx_small_restrict_kernelIifLi16ELb0ELb0ELc78ELc85EKPKfKPfEviT_T0_PT6_S5_lS8_S5_lS6_PT7_S5_li,@function
_ZL41rocblas_syrkx_herkx_small_restrict_kernelIifLi16ELb0ELb0ELc78ELc85EKPKfKPfEviT_T0_PT6_S5_lS8_S5_lS6_PT7_S5_li: ; @_ZL41rocblas_syrkx_herkx_small_restrict_kernelIifLi16ELb0ELb0ELc78ELc85EKPKfKPfEviT_T0_PT6_S5_lS8_S5_lS6_PT7_S5_li
; %bb.0:
	s_clause 0x1
	s_load_b64 s[4:5], s[0:1], 0x48
	s_load_b64 s[2:3], s[0:1], 0x4
	s_mov_b32 s6, s15
	s_mov_b32 s7, 0
	v_and_b32_e32 v5, 0x3ff, v0
	s_lshl_b64 s[8:9], s[6:7], 3
	v_bfe_u32 v4, v0, 10, 10
	s_delay_alu instid0(VALU_DEP_2) | instskip(NEXT) | instid1(VALU_DEP_2)
	v_lshl_add_u32 v0, s13, 4, v5
	v_lshl_add_u32 v2, s14, 4, v4
	s_delay_alu instid0(VALU_DEP_2)
	v_ashrrev_i32_e32 v1, 31, v0
	s_waitcnt lgkmcnt(0)
	s_add_u32 s4, s4, s8
	s_addc_u32 s5, s5, s9
	s_cmp_lt_i32 s2, 1
	s_load_b64 s[4:5], s[4:5], 0x0
	s_cbranch_scc1 .LBB511_6
; %bb.1:
	s_clause 0x3
	s_load_b32 s10, s[0:1], 0x18
	s_load_b32 s12, s[0:1], 0x30
	s_load_b64 s[14:15], s[0:1], 0x28
	s_load_b64 s[16:17], s[0:1], 0x10
	v_lshlrev_b32_e32 v7, 2, v5
	v_ashrrev_i32_e32 v3, 31, v2
	v_lshlrev_b32_e32 v8, 6, v4
	v_lshlrev_b64 v[14:15], 2, v[0:1]
	s_delay_alu instid0(VALU_DEP_2)
	v_add_nc_u32_e32 v9, 0x400, v8
	s_waitcnt lgkmcnt(0)
	s_ashr_i32 s11, s10, 31
	s_ashr_i32 s13, s12, 31
	s_add_u32 s14, s14, s8
	s_addc_u32 s15, s15, s9
	v_mad_i64_i32 v[10:11], null, s12, v5, 0
	s_load_b64 s[14:15], s[14:15], 0x0
	s_add_u32 s8, s16, s8
	s_addc_u32 s9, s17, s9
	v_mad_i64_i32 v[5:6], null, s10, v4, 0
	s_load_b64 s[8:9], s[8:9], 0x0
	v_lshlrev_b64 v[3:4], 2, v[2:3]
	s_delay_alu instid0(VALU_DEP_3) | instskip(SKIP_4) | instid1(VALU_DEP_4)
	v_lshlrev_b64 v[12:13], 2, v[10:11]
	v_add_nc_u32_e32 v10, v7, v8
	v_dual_mov_b32 v8, 0 :: v_dual_add_nc_u32 v11, v9, v7
	v_lshlrev_b64 v[5:6], 2, v[5:6]
	s_lshl_b64 s[10:11], s[10:11], 6
	v_add_co_u32 v3, vcc_lo, v12, v3
	v_add_co_ci_u32_e32 v4, vcc_lo, v13, v4, vcc_lo
	s_delay_alu instid0(VALU_DEP_3) | instskip(NEXT) | instid1(VALU_DEP_4)
	v_add_co_u32 v5, vcc_lo, v5, v14
	v_add_co_ci_u32_e32 v6, vcc_lo, v6, v15, vcc_lo
	s_waitcnt lgkmcnt(0)
	v_add_co_u32 v3, vcc_lo, s14, v3
	v_add_co_ci_u32_e32 v4, vcc_lo, s15, v4, vcc_lo
	v_add_co_u32 v5, vcc_lo, s8, v5
	v_add_co_ci_u32_e32 v6, vcc_lo, s9, v6, vcc_lo
	s_lshl_b64 s[8:9], s[12:13], 6
.LBB511_2:                              ; =>This Inner Loop Header: Depth=1
	global_load_b32 v12, v[5:6], off
	global_load_b32 v13, v[3:4], off
	v_add_co_u32 v3, vcc_lo, v3, s8
	v_add_co_ci_u32_e32 v4, vcc_lo, s9, v4, vcc_lo
	v_add_co_u32 v5, vcc_lo, v5, s10
	v_add_co_ci_u32_e32 v6, vcc_lo, s11, v6, vcc_lo
	s_add_i32 s7, s7, 16
	s_waitcnt vmcnt(1)
	ds_store_b32 v10, v12
	s_waitcnt vmcnt(0)
	ds_store_b32 v11, v13
	s_waitcnt lgkmcnt(0)
	s_barrier
	buffer_gl0_inv
	ds_load_2addr_b32 v[20:21], v7 offset1:16
	ds_load_b128 v[12:15], v9
	ds_load_2addr_b32 v[22:23], v7 offset0:32 offset1:48
	ds_load_b128 v[16:19], v9 offset:16
	ds_load_2addr_b32 v[24:25], v7 offset0:64 offset1:80
	s_cmp_lt_i32 s7, s2
	s_waitcnt lgkmcnt(3)
	v_fmac_f32_e32 v8, v20, v12
	s_delay_alu instid0(VALU_DEP_1) | instskip(SKIP_3) | instid1(VALU_DEP_1)
	v_fmac_f32_e32 v8, v21, v13
	ds_load_2addr_b32 v[20:21], v7 offset0:96 offset1:112
	s_waitcnt lgkmcnt(3)
	v_fmac_f32_e32 v8, v22, v14
	v_fmac_f32_e32 v8, v23, v15
	ds_load_2addr_b32 v[22:23], v7 offset0:128 offset1:144
	ds_load_b128 v[12:15], v9 offset:32
	s_waitcnt lgkmcnt(3)
	v_fmac_f32_e32 v8, v24, v16
	s_delay_alu instid0(VALU_DEP_1) | instskip(SKIP_3) | instid1(VALU_DEP_1)
	v_fmac_f32_e32 v8, v25, v17
	ds_load_2addr_b32 v[24:25], v7 offset0:160 offset1:176
	s_waitcnt lgkmcnt(3)
	v_fmac_f32_e32 v8, v20, v18
	v_fmac_f32_e32 v8, v21, v19
	ds_load_b128 v[16:19], v9 offset:48
	ds_load_2addr_b32 v[20:21], v7 offset0:192 offset1:208
	s_waitcnt lgkmcnt(3)
	v_fmac_f32_e32 v8, v22, v12
	s_delay_alu instid0(VALU_DEP_1)
	v_fmac_f32_e32 v8, v23, v13
	ds_load_2addr_b32 v[12:13], v7 offset0:224 offset1:240
	s_waitcnt lgkmcnt(0)
	s_barrier
	buffer_gl0_inv
	v_fmac_f32_e32 v8, v24, v14
	s_delay_alu instid0(VALU_DEP_1) | instskip(NEXT) | instid1(VALU_DEP_1)
	v_fmac_f32_e32 v8, v25, v15
	v_fmac_f32_e32 v8, v20, v16
	s_delay_alu instid0(VALU_DEP_1) | instskip(NEXT) | instid1(VALU_DEP_1)
	v_fmac_f32_e32 v8, v21, v17
	v_fmac_f32_e32 v8, v12, v18
	s_delay_alu instid0(VALU_DEP_1)
	v_fmac_f32_e32 v8, v13, v19
	s_cbranch_scc1 .LBB511_2
; %bb.3:
	s_mov_b32 s2, exec_lo
	v_cmpx_le_i32_e64 v0, v2
	s_cbranch_execz .LBB511_5
.LBB511_4:
	s_load_b32 s2, s[0:1], 0x50
	v_lshlrev_b64 v[0:1], 2, v[0:1]
	s_load_b32 s0, s[0:1], 0x40
	s_waitcnt lgkmcnt(0)
	v_mad_i64_i32 v[3:4], null, s2, v2, 0
	s_delay_alu instid0(VALU_DEP_1) | instskip(NEXT) | instid1(VALU_DEP_1)
	v_lshlrev_b64 v[2:3], 2, v[3:4]
	v_add_co_u32 v2, vcc_lo, s4, v2
	s_delay_alu instid0(VALU_DEP_2) | instskip(NEXT) | instid1(VALU_DEP_2)
	v_add_co_ci_u32_e32 v3, vcc_lo, s5, v3, vcc_lo
	v_add_co_u32 v0, vcc_lo, v2, v0
	s_delay_alu instid0(VALU_DEP_2) | instskip(SKIP_3) | instid1(VALU_DEP_1)
	v_add_co_ci_u32_e32 v1, vcc_lo, v3, v1, vcc_lo
	global_load_b32 v2, v[0:1], off
	s_waitcnt vmcnt(0)
	v_mul_f32_e32 v2, s0, v2
	v_fmac_f32_e32 v2, s3, v8
	global_store_b32 v[0:1], v2, off
.LBB511_5:
	s_nop 0
	s_sendmsg sendmsg(MSG_DEALLOC_VGPRS)
	s_endpgm
.LBB511_6:
	v_mov_b32_e32 v8, 0
	s_mov_b32 s2, exec_lo
	v_cmpx_le_i32_e64 v0, v2
	s_cbranch_execnz .LBB511_4
	s_branch .LBB511_5
	.section	.rodata,"a",@progbits
	.p2align	6, 0x0
	.amdhsa_kernel _ZL41rocblas_syrkx_herkx_small_restrict_kernelIifLi16ELb0ELb0ELc78ELc85EKPKfKPfEviT_T0_PT6_S5_lS8_S5_lS6_PT7_S5_li
		.amdhsa_group_segment_fixed_size 2048
		.amdhsa_private_segment_fixed_size 0
		.amdhsa_kernarg_size 100
		.amdhsa_user_sgpr_count 13
		.amdhsa_user_sgpr_dispatch_ptr 0
		.amdhsa_user_sgpr_queue_ptr 0
		.amdhsa_user_sgpr_kernarg_segment_ptr 1
		.amdhsa_user_sgpr_dispatch_id 0
		.amdhsa_user_sgpr_private_segment_size 0
		.amdhsa_wavefront_size32 1
		.amdhsa_uses_dynamic_stack 0
		.amdhsa_enable_private_segment 0
		.amdhsa_system_sgpr_workgroup_id_x 1
		.amdhsa_system_sgpr_workgroup_id_y 1
		.amdhsa_system_sgpr_workgroup_id_z 1
		.amdhsa_system_sgpr_workgroup_info 0
		.amdhsa_system_vgpr_workitem_id 1
		.amdhsa_next_free_vgpr 26
		.amdhsa_next_free_sgpr 18
		.amdhsa_reserve_vcc 1
		.amdhsa_float_round_mode_32 0
		.amdhsa_float_round_mode_16_64 0
		.amdhsa_float_denorm_mode_32 3
		.amdhsa_float_denorm_mode_16_64 3
		.amdhsa_dx10_clamp 1
		.amdhsa_ieee_mode 1
		.amdhsa_fp16_overflow 0
		.amdhsa_workgroup_processor_mode 1
		.amdhsa_memory_ordered 1
		.amdhsa_forward_progress 0
		.amdhsa_shared_vgpr_count 0
		.amdhsa_exception_fp_ieee_invalid_op 0
		.amdhsa_exception_fp_denorm_src 0
		.amdhsa_exception_fp_ieee_div_zero 0
		.amdhsa_exception_fp_ieee_overflow 0
		.amdhsa_exception_fp_ieee_underflow 0
		.amdhsa_exception_fp_ieee_inexact 0
		.amdhsa_exception_int_div_zero 0
	.end_amdhsa_kernel
	.section	.text._ZL41rocblas_syrkx_herkx_small_restrict_kernelIifLi16ELb0ELb0ELc78ELc85EKPKfKPfEviT_T0_PT6_S5_lS8_S5_lS6_PT7_S5_li,"axG",@progbits,_ZL41rocblas_syrkx_herkx_small_restrict_kernelIifLi16ELb0ELb0ELc78ELc85EKPKfKPfEviT_T0_PT6_S5_lS8_S5_lS6_PT7_S5_li,comdat
.Lfunc_end511:
	.size	_ZL41rocblas_syrkx_herkx_small_restrict_kernelIifLi16ELb0ELb0ELc78ELc85EKPKfKPfEviT_T0_PT6_S5_lS8_S5_lS6_PT7_S5_li, .Lfunc_end511-_ZL41rocblas_syrkx_herkx_small_restrict_kernelIifLi16ELb0ELb0ELc78ELc85EKPKfKPfEviT_T0_PT6_S5_lS8_S5_lS6_PT7_S5_li
                                        ; -- End function
	.section	.AMDGPU.csdata,"",@progbits
; Kernel info:
; codeLenInByte = 808
; NumSgprs: 20
; NumVgprs: 26
; ScratchSize: 0
; MemoryBound: 0
; FloatMode: 240
; IeeeMode: 1
; LDSByteSize: 2048 bytes/workgroup (compile time only)
; SGPRBlocks: 2
; VGPRBlocks: 3
; NumSGPRsForWavesPerEU: 20
; NumVGPRsForWavesPerEU: 26
; Occupancy: 16
; WaveLimiterHint : 1
; COMPUTE_PGM_RSRC2:SCRATCH_EN: 0
; COMPUTE_PGM_RSRC2:USER_SGPR: 13
; COMPUTE_PGM_RSRC2:TRAP_HANDLER: 0
; COMPUTE_PGM_RSRC2:TGID_X_EN: 1
; COMPUTE_PGM_RSRC2:TGID_Y_EN: 1
; COMPUTE_PGM_RSRC2:TGID_Z_EN: 1
; COMPUTE_PGM_RSRC2:TIDIG_COMP_CNT: 1
	.section	.text._ZL32rocblas_syrkx_herkx_small_kernelIifLi16ELb1ELb0ELc84ELc76EKPKfKPfEviT_T0_PT6_S5_lS8_S5_lS6_PT7_S5_li,"axG",@progbits,_ZL32rocblas_syrkx_herkx_small_kernelIifLi16ELb1ELb0ELc84ELc76EKPKfKPfEviT_T0_PT6_S5_lS8_S5_lS6_PT7_S5_li,comdat
	.globl	_ZL32rocblas_syrkx_herkx_small_kernelIifLi16ELb1ELb0ELc84ELc76EKPKfKPfEviT_T0_PT6_S5_lS8_S5_lS6_PT7_S5_li ; -- Begin function _ZL32rocblas_syrkx_herkx_small_kernelIifLi16ELb1ELb0ELc84ELc76EKPKfKPfEviT_T0_PT6_S5_lS8_S5_lS6_PT7_S5_li
	.p2align	8
	.type	_ZL32rocblas_syrkx_herkx_small_kernelIifLi16ELb1ELb0ELc84ELc76EKPKfKPfEviT_T0_PT6_S5_lS8_S5_lS6_PT7_S5_li,@function
_ZL32rocblas_syrkx_herkx_small_kernelIifLi16ELb1ELb0ELc84ELc76EKPKfKPfEviT_T0_PT6_S5_lS8_S5_lS6_PT7_S5_li: ; @_ZL32rocblas_syrkx_herkx_small_kernelIifLi16ELb1ELb0ELc84ELc76EKPKfKPfEviT_T0_PT6_S5_lS8_S5_lS6_PT7_S5_li
; %bb.0:
	s_clause 0x1
	s_load_b64 s[8:9], s[0:1], 0x48
	s_load_b128 s[4:7], s[0:1], 0x0
	s_mov_b32 s10, s15
	s_mov_b32 s11, 0
	v_and_b32_e32 v6, 0x3ff, v0
	s_lshl_b64 s[2:3], s[10:11], 3
	v_bfe_u32 v7, v0, 10, 10
	s_delay_alu instid0(VALU_DEP_2) | instskip(NEXT) | instid1(VALU_DEP_2)
	v_lshl_add_u32 v0, s13, 4, v6
	v_lshl_add_u32 v5, s14, 4, v7
	s_waitcnt lgkmcnt(0)
	s_add_u32 s8, s8, s2
	s_addc_u32 s9, s9, s3
	v_cmp_gt_i32_e32 vcc_lo, s4, v0
	s_load_b64 s[8:9], s[8:9], 0x0
	s_cmp_lt_i32 s5, 1
	s_cbranch_scc1 .LBB512_7
; %bb.1:
	s_clause 0x3
	s_load_b64 s[12:13], s[0:1], 0x28
	s_load_b32 s7, s[0:1], 0x30
	s_load_b32 s10, s[0:1], 0x18
	s_load_b64 s[14:15], s[0:1], 0x10
	v_lshlrev_b32_e32 v9, 6, v7
	v_lshlrev_b32_e32 v8, 2, v6
	;; [unrolled: 1-line block ×3, first 2 shown]
	s_delay_alu instid0(VALU_DEP_3) | instskip(NEXT) | instid1(VALU_DEP_3)
	v_add_nc_u32_e32 v10, 0x400, v9
	v_add_nc_u32_e32 v11, v8, v9
	s_delay_alu instid0(VALU_DEP_2)
	v_dual_mov_b32 v9, 0 :: v_dual_add_nc_u32 v12, v10, v8
	s_waitcnt lgkmcnt(0)
	s_add_u32 s12, s12, s2
	s_addc_u32 s13, s13, s3
	v_mad_i64_i32 v[1:2], null, s7, v5, 0
	s_load_b64 s[12:13], s[12:13], 0x0
	s_add_u32 s2, s14, s2
	s_addc_u32 s3, s15, s3
	v_mad_i64_i32 v[3:4], null, s10, v0, 0
	s_load_b64 s[14:15], s[2:3], 0x0
	s_delay_alu instid0(VALU_DEP_2) | instskip(SKIP_1) | instid1(VALU_DEP_3)
	v_lshlrev_b64 v[1:2], 2, v[1:2]
	v_cmp_gt_i32_e64 s2, s4, v5
	v_lshlrev_b64 v[3:4], 2, v[3:4]
	s_delay_alu instid0(VALU_DEP_3) | instskip(NEXT) | instid1(VALU_DEP_1)
	v_add_co_u32 v1, s3, v1, v8
	v_add_co_ci_u32_e64 v2, s3, 0, v2, s3
	s_delay_alu instid0(VALU_DEP_3) | instskip(NEXT) | instid1(VALU_DEP_1)
	v_add_co_u32 v3, s3, v3, v13
	v_add_co_ci_u32_e64 v4, s3, 0, v4, s3
	s_waitcnt lgkmcnt(0)
	v_add_co_u32 v1, s3, s12, v1
	s_delay_alu instid0(VALU_DEP_1) | instskip(SKIP_1) | instid1(VALU_DEP_1)
	v_add_co_ci_u32_e64 v2, s3, s13, v2, s3
	v_add_co_u32 v3, s3, s14, v3
	v_add_co_ci_u32_e64 v4, s3, s15, v4, s3
	s_branch .LBB512_3
.LBB512_2:                              ;   in Loop: Header=BB512_3 Depth=1
	s_or_b32 exec_lo, exec_lo, s3
	s_waitcnt vmcnt(0)
	ds_store_b32 v12, v14
	s_waitcnt lgkmcnt(0)
	s_barrier
	buffer_gl0_inv
	ds_load_2addr_b32 v[21:22], v8 offset1:16
	ds_load_b128 v[13:16], v10
	ds_load_2addr_b32 v[23:24], v8 offset0:32 offset1:48
	ds_load_b128 v[17:20], v10 offset:16
	ds_load_2addr_b32 v[25:26], v8 offset0:64 offset1:80
	v_add_co_u32 v1, s3, v1, 64
	s_delay_alu instid0(VALU_DEP_1) | instskip(SKIP_1) | instid1(VALU_DEP_1)
	v_add_co_ci_u32_e64 v2, s3, 0, v2, s3
	v_add_co_u32 v3, s3, v3, 64
	v_add_co_ci_u32_e64 v4, s3, 0, v4, s3
	s_add_i32 s11, s11, 16
	s_delay_alu instid0(SALU_CYCLE_1) | instskip(SKIP_2) | instid1(VALU_DEP_1)
	s_cmp_ge_i32 s11, s5
	s_waitcnt lgkmcnt(3)
	v_fmac_f32_e32 v9, v21, v13
	v_fmac_f32_e32 v9, v22, v14
	ds_load_2addr_b32 v[21:22], v8 offset0:96 offset1:112
	s_waitcnt lgkmcnt(3)
	v_fmac_f32_e32 v9, v23, v15
	s_delay_alu instid0(VALU_DEP_1) | instskip(SKIP_4) | instid1(VALU_DEP_1)
	v_fmac_f32_e32 v9, v24, v16
	ds_load_2addr_b32 v[23:24], v8 offset0:128 offset1:144
	ds_load_b128 v[13:16], v10 offset:32
	s_waitcnt lgkmcnt(3)
	v_fmac_f32_e32 v9, v25, v17
	v_fmac_f32_e32 v9, v26, v18
	ds_load_2addr_b32 v[25:26], v8 offset0:160 offset1:176
	s_waitcnt lgkmcnt(3)
	v_fmac_f32_e32 v9, v21, v19
	s_delay_alu instid0(VALU_DEP_1) | instskip(SKIP_4) | instid1(VALU_DEP_1)
	v_fmac_f32_e32 v9, v22, v20
	ds_load_b128 v[17:20], v10 offset:48
	ds_load_2addr_b32 v[21:22], v8 offset0:192 offset1:208
	s_waitcnt lgkmcnt(3)
	v_fmac_f32_e32 v9, v23, v13
	v_fmac_f32_e32 v9, v24, v14
	ds_load_2addr_b32 v[13:14], v8 offset0:224 offset1:240
	s_waitcnt lgkmcnt(0)
	s_barrier
	buffer_gl0_inv
	v_fmac_f32_e32 v9, v25, v15
	s_delay_alu instid0(VALU_DEP_1) | instskip(NEXT) | instid1(VALU_DEP_1)
	v_fmac_f32_e32 v9, v26, v16
	v_fmac_f32_e32 v9, v21, v17
	s_delay_alu instid0(VALU_DEP_1) | instskip(NEXT) | instid1(VALU_DEP_1)
	v_fmac_f32_e32 v9, v22, v18
	v_fmac_f32_e32 v9, v13, v19
	s_delay_alu instid0(VALU_DEP_1)
	v_fmac_f32_e32 v9, v14, v20
	s_cbranch_scc1 .LBB512_8
.LBB512_3:                              ; =>This Inner Loop Header: Depth=1
	v_add_nc_u32_e32 v13, s11, v7
	s_delay_alu instid0(VALU_DEP_1) | instskip(SKIP_1) | instid1(VALU_DEP_2)
	v_cmp_gt_i32_e64 s3, s5, v13
	v_mov_b32_e32 v13, 0
	s_and_b32 s7, vcc_lo, s3
	s_delay_alu instid0(SALU_CYCLE_1)
	s_and_saveexec_b32 s3, s7
	s_cbranch_execz .LBB512_5
; %bb.4:                                ;   in Loop: Header=BB512_3 Depth=1
	global_load_b32 v13, v[3:4], off
.LBB512_5:                              ;   in Loop: Header=BB512_3 Depth=1
	s_or_b32 exec_lo, exec_lo, s3
	v_add_nc_u32_e32 v14, s11, v6
	s_waitcnt vmcnt(0)
	ds_store_b32 v11, v13
	v_cmp_gt_i32_e64 s3, s5, v14
	v_mov_b32_e32 v14, 0
	s_delay_alu instid0(VALU_DEP_2) | instskip(NEXT) | instid1(SALU_CYCLE_1)
	s_and_b32 s7, s2, s3
	s_and_saveexec_b32 s3, s7
	s_cbranch_execz .LBB512_2
; %bb.6:                                ;   in Loop: Header=BB512_3 Depth=1
	global_load_b32 v14, v[1:2], off
	s_branch .LBB512_2
.LBB512_7:
	v_mov_b32_e32 v9, 0
.LBB512_8:
	v_cmp_le_i32_e32 vcc_lo, v5, v0
	v_cmp_gt_i32_e64 s2, s4, v0
	s_delay_alu instid0(VALU_DEP_1) | instskip(NEXT) | instid1(SALU_CYCLE_1)
	s_and_b32 s2, vcc_lo, s2
	s_and_saveexec_b32 s3, s2
	s_cbranch_execz .LBB512_10
; %bb.9:
	s_load_b32 s0, s[0:1], 0x50
	v_ashrrev_i32_e32 v1, 31, v0
	v_mul_f32_e32 v4, s6, v9
	s_delay_alu instid0(VALU_DEP_2) | instskip(SKIP_2) | instid1(VALU_DEP_1)
	v_lshlrev_b64 v[0:1], 2, v[0:1]
	s_waitcnt lgkmcnt(0)
	v_mad_i64_i32 v[2:3], null, s0, v5, 0
	v_lshlrev_b64 v[2:3], 2, v[2:3]
	s_delay_alu instid0(VALU_DEP_1) | instskip(NEXT) | instid1(VALU_DEP_2)
	v_add_co_u32 v2, vcc_lo, s8, v2
	v_add_co_ci_u32_e32 v3, vcc_lo, s9, v3, vcc_lo
	s_delay_alu instid0(VALU_DEP_2) | instskip(NEXT) | instid1(VALU_DEP_2)
	v_add_co_u32 v0, vcc_lo, v2, v0
	v_add_co_ci_u32_e32 v1, vcc_lo, v3, v1, vcc_lo
	global_store_b32 v[0:1], v4, off
.LBB512_10:
	s_nop 0
	s_sendmsg sendmsg(MSG_DEALLOC_VGPRS)
	s_endpgm
	.section	.rodata,"a",@progbits
	.p2align	6, 0x0
	.amdhsa_kernel _ZL32rocblas_syrkx_herkx_small_kernelIifLi16ELb1ELb0ELc84ELc76EKPKfKPfEviT_T0_PT6_S5_lS8_S5_lS6_PT7_S5_li
		.amdhsa_group_segment_fixed_size 2048
		.amdhsa_private_segment_fixed_size 0
		.amdhsa_kernarg_size 100
		.amdhsa_user_sgpr_count 13
		.amdhsa_user_sgpr_dispatch_ptr 0
		.amdhsa_user_sgpr_queue_ptr 0
		.amdhsa_user_sgpr_kernarg_segment_ptr 1
		.amdhsa_user_sgpr_dispatch_id 0
		.amdhsa_user_sgpr_private_segment_size 0
		.amdhsa_wavefront_size32 1
		.amdhsa_uses_dynamic_stack 0
		.amdhsa_enable_private_segment 0
		.amdhsa_system_sgpr_workgroup_id_x 1
		.amdhsa_system_sgpr_workgroup_id_y 1
		.amdhsa_system_sgpr_workgroup_id_z 1
		.amdhsa_system_sgpr_workgroup_info 0
		.amdhsa_system_vgpr_workitem_id 1
		.amdhsa_next_free_vgpr 27
		.amdhsa_next_free_sgpr 16
		.amdhsa_reserve_vcc 1
		.amdhsa_float_round_mode_32 0
		.amdhsa_float_round_mode_16_64 0
		.amdhsa_float_denorm_mode_32 3
		.amdhsa_float_denorm_mode_16_64 3
		.amdhsa_dx10_clamp 1
		.amdhsa_ieee_mode 1
		.amdhsa_fp16_overflow 0
		.amdhsa_workgroup_processor_mode 1
		.amdhsa_memory_ordered 1
		.amdhsa_forward_progress 0
		.amdhsa_shared_vgpr_count 0
		.amdhsa_exception_fp_ieee_invalid_op 0
		.amdhsa_exception_fp_denorm_src 0
		.amdhsa_exception_fp_ieee_div_zero 0
		.amdhsa_exception_fp_ieee_overflow 0
		.amdhsa_exception_fp_ieee_underflow 0
		.amdhsa_exception_fp_ieee_inexact 0
		.amdhsa_exception_int_div_zero 0
	.end_amdhsa_kernel
	.section	.text._ZL32rocblas_syrkx_herkx_small_kernelIifLi16ELb1ELb0ELc84ELc76EKPKfKPfEviT_T0_PT6_S5_lS8_S5_lS6_PT7_S5_li,"axG",@progbits,_ZL32rocblas_syrkx_herkx_small_kernelIifLi16ELb1ELb0ELc84ELc76EKPKfKPfEviT_T0_PT6_S5_lS8_S5_lS6_PT7_S5_li,comdat
.Lfunc_end512:
	.size	_ZL32rocblas_syrkx_herkx_small_kernelIifLi16ELb1ELb0ELc84ELc76EKPKfKPfEviT_T0_PT6_S5_lS8_S5_lS6_PT7_S5_li, .Lfunc_end512-_ZL32rocblas_syrkx_herkx_small_kernelIifLi16ELb1ELb0ELc84ELc76EKPKfKPfEviT_T0_PT6_S5_lS8_S5_lS6_PT7_S5_li
                                        ; -- End function
	.section	.AMDGPU.csdata,"",@progbits
; Kernel info:
; codeLenInByte = 876
; NumSgprs: 18
; NumVgprs: 27
; ScratchSize: 0
; MemoryBound: 0
; FloatMode: 240
; IeeeMode: 1
; LDSByteSize: 2048 bytes/workgroup (compile time only)
; SGPRBlocks: 2
; VGPRBlocks: 3
; NumSGPRsForWavesPerEU: 18
; NumVGPRsForWavesPerEU: 27
; Occupancy: 16
; WaveLimiterHint : 1
; COMPUTE_PGM_RSRC2:SCRATCH_EN: 0
; COMPUTE_PGM_RSRC2:USER_SGPR: 13
; COMPUTE_PGM_RSRC2:TRAP_HANDLER: 0
; COMPUTE_PGM_RSRC2:TGID_X_EN: 1
; COMPUTE_PGM_RSRC2:TGID_Y_EN: 1
; COMPUTE_PGM_RSRC2:TGID_Z_EN: 1
; COMPUTE_PGM_RSRC2:TIDIG_COMP_CNT: 1
	.section	.text._ZL32rocblas_syrkx_herkx_small_kernelIifLi16ELb1ELb0ELc67ELc76EKPKfKPfEviT_T0_PT6_S5_lS8_S5_lS6_PT7_S5_li,"axG",@progbits,_ZL32rocblas_syrkx_herkx_small_kernelIifLi16ELb1ELb0ELc67ELc76EKPKfKPfEviT_T0_PT6_S5_lS8_S5_lS6_PT7_S5_li,comdat
	.globl	_ZL32rocblas_syrkx_herkx_small_kernelIifLi16ELb1ELb0ELc67ELc76EKPKfKPfEviT_T0_PT6_S5_lS8_S5_lS6_PT7_S5_li ; -- Begin function _ZL32rocblas_syrkx_herkx_small_kernelIifLi16ELb1ELb0ELc67ELc76EKPKfKPfEviT_T0_PT6_S5_lS8_S5_lS6_PT7_S5_li
	.p2align	8
	.type	_ZL32rocblas_syrkx_herkx_small_kernelIifLi16ELb1ELb0ELc67ELc76EKPKfKPfEviT_T0_PT6_S5_lS8_S5_lS6_PT7_S5_li,@function
_ZL32rocblas_syrkx_herkx_small_kernelIifLi16ELb1ELb0ELc67ELc76EKPKfKPfEviT_T0_PT6_S5_lS8_S5_lS6_PT7_S5_li: ; @_ZL32rocblas_syrkx_herkx_small_kernelIifLi16ELb1ELb0ELc67ELc76EKPKfKPfEviT_T0_PT6_S5_lS8_S5_lS6_PT7_S5_li
; %bb.0:
	s_clause 0x1
	s_load_b64 s[8:9], s[0:1], 0x48
	s_load_b128 s[4:7], s[0:1], 0x0
	s_mov_b32 s10, s15
	s_mov_b32 s11, 0
	v_and_b32_e32 v6, 0x3ff, v0
	s_lshl_b64 s[2:3], s[10:11], 3
	v_bfe_u32 v7, v0, 10, 10
	s_delay_alu instid0(VALU_DEP_2) | instskip(NEXT) | instid1(VALU_DEP_2)
	v_lshl_add_u32 v0, s13, 4, v6
	v_lshl_add_u32 v5, s14, 4, v7
	s_waitcnt lgkmcnt(0)
	s_add_u32 s8, s8, s2
	s_addc_u32 s9, s9, s3
	v_cmp_gt_i32_e32 vcc_lo, s4, v0
	s_load_b64 s[8:9], s[8:9], 0x0
	s_cmp_lt_i32 s5, 1
	s_cbranch_scc1 .LBB513_7
; %bb.1:
	s_clause 0x3
	s_load_b64 s[12:13], s[0:1], 0x28
	s_load_b32 s7, s[0:1], 0x30
	s_load_b32 s10, s[0:1], 0x18
	s_load_b64 s[14:15], s[0:1], 0x10
	v_lshlrev_b32_e32 v9, 6, v7
	v_lshlrev_b32_e32 v8, 2, v6
	;; [unrolled: 1-line block ×3, first 2 shown]
	s_delay_alu instid0(VALU_DEP_3) | instskip(NEXT) | instid1(VALU_DEP_3)
	v_add_nc_u32_e32 v10, 0x400, v9
	v_add_nc_u32_e32 v11, v8, v9
	s_delay_alu instid0(VALU_DEP_2)
	v_dual_mov_b32 v9, 0 :: v_dual_add_nc_u32 v12, v10, v8
	s_waitcnt lgkmcnt(0)
	s_add_u32 s12, s12, s2
	s_addc_u32 s13, s13, s3
	v_mad_i64_i32 v[1:2], null, s7, v5, 0
	s_load_b64 s[12:13], s[12:13], 0x0
	s_add_u32 s2, s14, s2
	s_addc_u32 s3, s15, s3
	v_mad_i64_i32 v[3:4], null, s10, v0, 0
	s_load_b64 s[14:15], s[2:3], 0x0
	s_delay_alu instid0(VALU_DEP_2) | instskip(SKIP_1) | instid1(VALU_DEP_3)
	v_lshlrev_b64 v[1:2], 2, v[1:2]
	v_cmp_gt_i32_e64 s2, s4, v5
	v_lshlrev_b64 v[3:4], 2, v[3:4]
	s_delay_alu instid0(VALU_DEP_3) | instskip(NEXT) | instid1(VALU_DEP_1)
	v_add_co_u32 v1, s3, v1, v8
	v_add_co_ci_u32_e64 v2, s3, 0, v2, s3
	s_delay_alu instid0(VALU_DEP_3) | instskip(NEXT) | instid1(VALU_DEP_1)
	v_add_co_u32 v3, s3, v3, v13
	v_add_co_ci_u32_e64 v4, s3, 0, v4, s3
	s_waitcnt lgkmcnt(0)
	v_add_co_u32 v1, s3, s12, v1
	s_delay_alu instid0(VALU_DEP_1) | instskip(SKIP_1) | instid1(VALU_DEP_1)
	v_add_co_ci_u32_e64 v2, s3, s13, v2, s3
	v_add_co_u32 v3, s3, s14, v3
	v_add_co_ci_u32_e64 v4, s3, s15, v4, s3
	s_branch .LBB513_3
.LBB513_2:                              ;   in Loop: Header=BB513_3 Depth=1
	s_or_b32 exec_lo, exec_lo, s3
	s_waitcnt vmcnt(0)
	ds_store_b32 v12, v14
	s_waitcnt lgkmcnt(0)
	s_barrier
	buffer_gl0_inv
	ds_load_2addr_b32 v[21:22], v8 offset1:16
	ds_load_b128 v[13:16], v10
	ds_load_2addr_b32 v[23:24], v8 offset0:32 offset1:48
	ds_load_b128 v[17:20], v10 offset:16
	ds_load_2addr_b32 v[25:26], v8 offset0:64 offset1:80
	v_add_co_u32 v1, s3, v1, 64
	s_delay_alu instid0(VALU_DEP_1) | instskip(SKIP_1) | instid1(VALU_DEP_1)
	v_add_co_ci_u32_e64 v2, s3, 0, v2, s3
	v_add_co_u32 v3, s3, v3, 64
	v_add_co_ci_u32_e64 v4, s3, 0, v4, s3
	s_add_i32 s11, s11, 16
	s_delay_alu instid0(SALU_CYCLE_1) | instskip(SKIP_2) | instid1(VALU_DEP_1)
	s_cmp_ge_i32 s11, s5
	s_waitcnt lgkmcnt(3)
	v_fmac_f32_e32 v9, v21, v13
	v_fmac_f32_e32 v9, v22, v14
	ds_load_2addr_b32 v[21:22], v8 offset0:96 offset1:112
	s_waitcnt lgkmcnt(3)
	v_fmac_f32_e32 v9, v23, v15
	s_delay_alu instid0(VALU_DEP_1) | instskip(SKIP_4) | instid1(VALU_DEP_1)
	v_fmac_f32_e32 v9, v24, v16
	ds_load_2addr_b32 v[23:24], v8 offset0:128 offset1:144
	ds_load_b128 v[13:16], v10 offset:32
	s_waitcnt lgkmcnt(3)
	v_fmac_f32_e32 v9, v25, v17
	v_fmac_f32_e32 v9, v26, v18
	ds_load_2addr_b32 v[25:26], v8 offset0:160 offset1:176
	s_waitcnt lgkmcnt(3)
	v_fmac_f32_e32 v9, v21, v19
	s_delay_alu instid0(VALU_DEP_1) | instskip(SKIP_4) | instid1(VALU_DEP_1)
	v_fmac_f32_e32 v9, v22, v20
	ds_load_b128 v[17:20], v10 offset:48
	ds_load_2addr_b32 v[21:22], v8 offset0:192 offset1:208
	s_waitcnt lgkmcnt(3)
	v_fmac_f32_e32 v9, v23, v13
	v_fmac_f32_e32 v9, v24, v14
	ds_load_2addr_b32 v[13:14], v8 offset0:224 offset1:240
	s_waitcnt lgkmcnt(0)
	s_barrier
	buffer_gl0_inv
	v_fmac_f32_e32 v9, v25, v15
	s_delay_alu instid0(VALU_DEP_1) | instskip(NEXT) | instid1(VALU_DEP_1)
	v_fmac_f32_e32 v9, v26, v16
	v_fmac_f32_e32 v9, v21, v17
	s_delay_alu instid0(VALU_DEP_1) | instskip(NEXT) | instid1(VALU_DEP_1)
	v_fmac_f32_e32 v9, v22, v18
	v_fmac_f32_e32 v9, v13, v19
	s_delay_alu instid0(VALU_DEP_1)
	v_fmac_f32_e32 v9, v14, v20
	s_cbranch_scc1 .LBB513_8
.LBB513_3:                              ; =>This Inner Loop Header: Depth=1
	v_add_nc_u32_e32 v13, s11, v7
	s_delay_alu instid0(VALU_DEP_1) | instskip(SKIP_1) | instid1(VALU_DEP_2)
	v_cmp_gt_i32_e64 s3, s5, v13
	v_mov_b32_e32 v13, 0
	s_and_b32 s7, vcc_lo, s3
	s_delay_alu instid0(SALU_CYCLE_1)
	s_and_saveexec_b32 s3, s7
	s_cbranch_execz .LBB513_5
; %bb.4:                                ;   in Loop: Header=BB513_3 Depth=1
	global_load_b32 v13, v[3:4], off
.LBB513_5:                              ;   in Loop: Header=BB513_3 Depth=1
	s_or_b32 exec_lo, exec_lo, s3
	v_add_nc_u32_e32 v14, s11, v6
	s_waitcnt vmcnt(0)
	ds_store_b32 v11, v13
	v_cmp_gt_i32_e64 s3, s5, v14
	v_mov_b32_e32 v14, 0
	s_delay_alu instid0(VALU_DEP_2) | instskip(NEXT) | instid1(SALU_CYCLE_1)
	s_and_b32 s7, s2, s3
	s_and_saveexec_b32 s3, s7
	s_cbranch_execz .LBB513_2
; %bb.6:                                ;   in Loop: Header=BB513_3 Depth=1
	global_load_b32 v14, v[1:2], off
	s_branch .LBB513_2
.LBB513_7:
	v_mov_b32_e32 v9, 0
.LBB513_8:
	v_cmp_le_i32_e32 vcc_lo, v5, v0
	v_cmp_gt_i32_e64 s2, s4, v0
	s_delay_alu instid0(VALU_DEP_1) | instskip(NEXT) | instid1(SALU_CYCLE_1)
	s_and_b32 s2, vcc_lo, s2
	s_and_saveexec_b32 s3, s2
	s_cbranch_execz .LBB513_10
; %bb.9:
	s_load_b32 s0, s[0:1], 0x50
	v_ashrrev_i32_e32 v1, 31, v0
	v_mul_f32_e32 v4, s6, v9
	s_delay_alu instid0(VALU_DEP_2) | instskip(SKIP_2) | instid1(VALU_DEP_1)
	v_lshlrev_b64 v[0:1], 2, v[0:1]
	s_waitcnt lgkmcnt(0)
	v_mad_i64_i32 v[2:3], null, s0, v5, 0
	v_lshlrev_b64 v[2:3], 2, v[2:3]
	s_delay_alu instid0(VALU_DEP_1) | instskip(NEXT) | instid1(VALU_DEP_2)
	v_add_co_u32 v2, vcc_lo, s8, v2
	v_add_co_ci_u32_e32 v3, vcc_lo, s9, v3, vcc_lo
	s_delay_alu instid0(VALU_DEP_2) | instskip(NEXT) | instid1(VALU_DEP_2)
	v_add_co_u32 v0, vcc_lo, v2, v0
	v_add_co_ci_u32_e32 v1, vcc_lo, v3, v1, vcc_lo
	global_store_b32 v[0:1], v4, off
.LBB513_10:
	s_nop 0
	s_sendmsg sendmsg(MSG_DEALLOC_VGPRS)
	s_endpgm
	.section	.rodata,"a",@progbits
	.p2align	6, 0x0
	.amdhsa_kernel _ZL32rocblas_syrkx_herkx_small_kernelIifLi16ELb1ELb0ELc67ELc76EKPKfKPfEviT_T0_PT6_S5_lS8_S5_lS6_PT7_S5_li
		.amdhsa_group_segment_fixed_size 2048
		.amdhsa_private_segment_fixed_size 0
		.amdhsa_kernarg_size 100
		.amdhsa_user_sgpr_count 13
		.amdhsa_user_sgpr_dispatch_ptr 0
		.amdhsa_user_sgpr_queue_ptr 0
		.amdhsa_user_sgpr_kernarg_segment_ptr 1
		.amdhsa_user_sgpr_dispatch_id 0
		.amdhsa_user_sgpr_private_segment_size 0
		.amdhsa_wavefront_size32 1
		.amdhsa_uses_dynamic_stack 0
		.amdhsa_enable_private_segment 0
		.amdhsa_system_sgpr_workgroup_id_x 1
		.amdhsa_system_sgpr_workgroup_id_y 1
		.amdhsa_system_sgpr_workgroup_id_z 1
		.amdhsa_system_sgpr_workgroup_info 0
		.amdhsa_system_vgpr_workitem_id 1
		.amdhsa_next_free_vgpr 27
		.amdhsa_next_free_sgpr 16
		.amdhsa_reserve_vcc 1
		.amdhsa_float_round_mode_32 0
		.amdhsa_float_round_mode_16_64 0
		.amdhsa_float_denorm_mode_32 3
		.amdhsa_float_denorm_mode_16_64 3
		.amdhsa_dx10_clamp 1
		.amdhsa_ieee_mode 1
		.amdhsa_fp16_overflow 0
		.amdhsa_workgroup_processor_mode 1
		.amdhsa_memory_ordered 1
		.amdhsa_forward_progress 0
		.amdhsa_shared_vgpr_count 0
		.amdhsa_exception_fp_ieee_invalid_op 0
		.amdhsa_exception_fp_denorm_src 0
		.amdhsa_exception_fp_ieee_div_zero 0
		.amdhsa_exception_fp_ieee_overflow 0
		.amdhsa_exception_fp_ieee_underflow 0
		.amdhsa_exception_fp_ieee_inexact 0
		.amdhsa_exception_int_div_zero 0
	.end_amdhsa_kernel
	.section	.text._ZL32rocblas_syrkx_herkx_small_kernelIifLi16ELb1ELb0ELc67ELc76EKPKfKPfEviT_T0_PT6_S5_lS8_S5_lS6_PT7_S5_li,"axG",@progbits,_ZL32rocblas_syrkx_herkx_small_kernelIifLi16ELb1ELb0ELc67ELc76EKPKfKPfEviT_T0_PT6_S5_lS8_S5_lS6_PT7_S5_li,comdat
.Lfunc_end513:
	.size	_ZL32rocblas_syrkx_herkx_small_kernelIifLi16ELb1ELb0ELc67ELc76EKPKfKPfEviT_T0_PT6_S5_lS8_S5_lS6_PT7_S5_li, .Lfunc_end513-_ZL32rocblas_syrkx_herkx_small_kernelIifLi16ELb1ELb0ELc67ELc76EKPKfKPfEviT_T0_PT6_S5_lS8_S5_lS6_PT7_S5_li
                                        ; -- End function
	.section	.AMDGPU.csdata,"",@progbits
; Kernel info:
; codeLenInByte = 876
; NumSgprs: 18
; NumVgprs: 27
; ScratchSize: 0
; MemoryBound: 0
; FloatMode: 240
; IeeeMode: 1
; LDSByteSize: 2048 bytes/workgroup (compile time only)
; SGPRBlocks: 2
; VGPRBlocks: 3
; NumSGPRsForWavesPerEU: 18
; NumVGPRsForWavesPerEU: 27
; Occupancy: 16
; WaveLimiterHint : 1
; COMPUTE_PGM_RSRC2:SCRATCH_EN: 0
; COMPUTE_PGM_RSRC2:USER_SGPR: 13
; COMPUTE_PGM_RSRC2:TRAP_HANDLER: 0
; COMPUTE_PGM_RSRC2:TGID_X_EN: 1
; COMPUTE_PGM_RSRC2:TGID_Y_EN: 1
; COMPUTE_PGM_RSRC2:TGID_Z_EN: 1
; COMPUTE_PGM_RSRC2:TIDIG_COMP_CNT: 1
	.section	.text._ZL32rocblas_syrkx_herkx_small_kernelIifLi16ELb1ELb0ELc78ELc76EKPKfKPfEviT_T0_PT6_S5_lS8_S5_lS6_PT7_S5_li,"axG",@progbits,_ZL32rocblas_syrkx_herkx_small_kernelIifLi16ELb1ELb0ELc78ELc76EKPKfKPfEviT_T0_PT6_S5_lS8_S5_lS6_PT7_S5_li,comdat
	.globl	_ZL32rocblas_syrkx_herkx_small_kernelIifLi16ELb1ELb0ELc78ELc76EKPKfKPfEviT_T0_PT6_S5_lS8_S5_lS6_PT7_S5_li ; -- Begin function _ZL32rocblas_syrkx_herkx_small_kernelIifLi16ELb1ELb0ELc78ELc76EKPKfKPfEviT_T0_PT6_S5_lS8_S5_lS6_PT7_S5_li
	.p2align	8
	.type	_ZL32rocblas_syrkx_herkx_small_kernelIifLi16ELb1ELb0ELc78ELc76EKPKfKPfEviT_T0_PT6_S5_lS8_S5_lS6_PT7_S5_li,@function
_ZL32rocblas_syrkx_herkx_small_kernelIifLi16ELb1ELb0ELc78ELc76EKPKfKPfEviT_T0_PT6_S5_lS8_S5_lS6_PT7_S5_li: ; @_ZL32rocblas_syrkx_herkx_small_kernelIifLi16ELb1ELb0ELc78ELc76EKPKfKPfEviT_T0_PT6_S5_lS8_S5_lS6_PT7_S5_li
; %bb.0:
	s_clause 0x1
	s_load_b64 s[2:3], s[0:1], 0x48
	s_load_b128 s[4:7], s[0:1], 0x0
	s_mov_b32 s10, s15
	s_mov_b32 s11, 0
	v_and_b32_e32 v7, 0x3ff, v0
	s_lshl_b64 s[16:17], s[10:11], 3
	v_bfe_u32 v8, v0, 10, 10
	s_delay_alu instid0(VALU_DEP_2) | instskip(NEXT) | instid1(VALU_DEP_2)
	v_lshl_add_u32 v0, s13, 4, v7
	v_lshl_add_u32 v2, s14, 4, v8
	s_delay_alu instid0(VALU_DEP_2)
	v_ashrrev_i32_e32 v1, 31, v0
	s_waitcnt lgkmcnt(0)
	s_add_u32 s2, s2, s16
	s_addc_u32 s3, s3, s17
	v_cmp_gt_i32_e32 vcc_lo, s4, v0
	s_load_b64 s[8:9], s[2:3], 0x0
	s_cmp_lt_i32 s5, 1
	s_cbranch_scc1 .LBB514_7
; %bb.1:
	s_clause 0x3
	s_load_b32 s14, s[0:1], 0x18
	s_load_b32 s12, s[0:1], 0x30
	s_load_b64 s[18:19], s[0:1], 0x28
	s_load_b64 s[20:21], s[0:1], 0x10
	v_ashrrev_i32_e32 v3, 31, v2
	v_lshlrev_b32_e32 v10, 6, v8
	v_lshlrev_b32_e32 v9, 2, v7
	v_cmp_gt_i32_e64 s2, s4, v2
	s_delay_alu instid0(VALU_DEP_4) | instskip(NEXT) | instid1(VALU_DEP_4)
	v_lshlrev_b64 v[16:17], 2, v[2:3]
	v_add_nc_u32_e32 v11, 0x400, v10
	s_delay_alu instid0(VALU_DEP_4) | instskip(NEXT) | instid1(VALU_DEP_2)
	v_add_nc_u32_e32 v12, v9, v10
	v_dual_mov_b32 v10, 0 :: v_dual_add_nc_u32 v13, v11, v9
	s_waitcnt lgkmcnt(0)
	s_ashr_i32 s15, s14, 31
	s_ashr_i32 s13, s12, 31
	s_add_u32 s18, s18, s16
	s_addc_u32 s19, s19, s17
	v_mad_i64_i32 v[4:5], null, s12, v7, 0
	s_load_b64 s[18:19], s[18:19], 0x0
	s_add_u32 s16, s20, s16
	s_addc_u32 s17, s21, s17
	v_mad_i64_i32 v[14:15], null, s14, v8, 0
	s_load_b64 s[16:17], s[16:17], 0x0
	s_delay_alu instid0(VALU_DEP_2) | instskip(SKIP_3) | instid1(VALU_DEP_3)
	v_lshlrev_b64 v[3:4], 2, v[4:5]
	v_lshlrev_b64 v[5:6], 2, v[0:1]
	s_lshl_b64 s[12:13], s[12:13], 6
	s_lshl_b64 s[14:15], s[14:15], 6
	v_lshlrev_b64 v[14:15], 2, v[14:15]
	s_delay_alu instid0(VALU_DEP_3) | instskip(NEXT) | instid1(VALU_DEP_1)
	v_add_co_u32 v3, s3, v3, v16
	v_add_co_ci_u32_e64 v4, s3, v4, v17, s3
	s_delay_alu instid0(VALU_DEP_3) | instskip(NEXT) | instid1(VALU_DEP_1)
	v_add_co_u32 v5, s3, v14, v5
	v_add_co_ci_u32_e64 v6, s3, v15, v6, s3
	s_waitcnt lgkmcnt(0)
	v_add_co_u32 v3, s3, s18, v3
	s_delay_alu instid0(VALU_DEP_1) | instskip(SKIP_1) | instid1(VALU_DEP_1)
	v_add_co_ci_u32_e64 v4, s3, s19, v4, s3
	v_add_co_u32 v5, s3, s16, v5
	v_add_co_ci_u32_e64 v6, s3, s17, v6, s3
	s_branch .LBB514_3
.LBB514_2:                              ;   in Loop: Header=BB514_3 Depth=1
	s_or_b32 exec_lo, exec_lo, s3
	s_waitcnt vmcnt(0)
	ds_store_b32 v13, v15
	s_waitcnt lgkmcnt(0)
	s_barrier
	buffer_gl0_inv
	ds_load_2addr_b32 v[22:23], v9 offset1:16
	ds_load_b128 v[14:17], v11
	ds_load_2addr_b32 v[24:25], v9 offset0:32 offset1:48
	ds_load_b128 v[18:21], v11 offset:16
	ds_load_2addr_b32 v[26:27], v9 offset0:64 offset1:80
	v_add_co_u32 v3, s3, v3, s12
	s_delay_alu instid0(VALU_DEP_1) | instskip(SKIP_1) | instid1(VALU_DEP_1)
	v_add_co_ci_u32_e64 v4, s3, s13, v4, s3
	v_add_co_u32 v5, s3, v5, s14
	v_add_co_ci_u32_e64 v6, s3, s15, v6, s3
	s_add_i32 s11, s11, 16
	s_delay_alu instid0(SALU_CYCLE_1) | instskip(SKIP_2) | instid1(VALU_DEP_1)
	s_cmp_ge_i32 s11, s5
	s_waitcnt lgkmcnt(3)
	v_fmac_f32_e32 v10, v22, v14
	v_fmac_f32_e32 v10, v23, v15
	ds_load_2addr_b32 v[22:23], v9 offset0:96 offset1:112
	s_waitcnt lgkmcnt(3)
	v_fmac_f32_e32 v10, v24, v16
	s_delay_alu instid0(VALU_DEP_1) | instskip(SKIP_4) | instid1(VALU_DEP_1)
	v_fmac_f32_e32 v10, v25, v17
	ds_load_2addr_b32 v[24:25], v9 offset0:128 offset1:144
	ds_load_b128 v[14:17], v11 offset:32
	s_waitcnt lgkmcnt(3)
	v_fmac_f32_e32 v10, v26, v18
	v_fmac_f32_e32 v10, v27, v19
	ds_load_2addr_b32 v[26:27], v9 offset0:160 offset1:176
	s_waitcnt lgkmcnt(3)
	v_fmac_f32_e32 v10, v22, v20
	s_delay_alu instid0(VALU_DEP_1) | instskip(SKIP_4) | instid1(VALU_DEP_1)
	v_fmac_f32_e32 v10, v23, v21
	ds_load_b128 v[18:21], v11 offset:48
	ds_load_2addr_b32 v[22:23], v9 offset0:192 offset1:208
	s_waitcnt lgkmcnt(3)
	v_fmac_f32_e32 v10, v24, v14
	v_fmac_f32_e32 v10, v25, v15
	ds_load_2addr_b32 v[14:15], v9 offset0:224 offset1:240
	s_waitcnt lgkmcnt(0)
	s_barrier
	buffer_gl0_inv
	v_fmac_f32_e32 v10, v26, v16
	s_delay_alu instid0(VALU_DEP_1) | instskip(NEXT) | instid1(VALU_DEP_1)
	v_fmac_f32_e32 v10, v27, v17
	v_fmac_f32_e32 v10, v22, v18
	s_delay_alu instid0(VALU_DEP_1) | instskip(NEXT) | instid1(VALU_DEP_1)
	v_fmac_f32_e32 v10, v23, v19
	v_fmac_f32_e32 v10, v14, v20
	s_delay_alu instid0(VALU_DEP_1)
	v_fmac_f32_e32 v10, v15, v21
	s_cbranch_scc1 .LBB514_8
.LBB514_3:                              ; =>This Inner Loop Header: Depth=1
	v_add_nc_u32_e32 v14, s11, v8
	s_delay_alu instid0(VALU_DEP_1) | instskip(SKIP_1) | instid1(VALU_DEP_2)
	v_cmp_gt_i32_e64 s3, s5, v14
	v_mov_b32_e32 v14, 0
	s_and_b32 s7, vcc_lo, s3
	s_delay_alu instid0(SALU_CYCLE_1)
	s_and_saveexec_b32 s3, s7
	s_cbranch_execz .LBB514_5
; %bb.4:                                ;   in Loop: Header=BB514_3 Depth=1
	global_load_b32 v14, v[5:6], off
.LBB514_5:                              ;   in Loop: Header=BB514_3 Depth=1
	s_or_b32 exec_lo, exec_lo, s3
	v_add_nc_u32_e32 v15, s11, v7
	s_waitcnt vmcnt(0)
	ds_store_b32 v12, v14
	v_cmp_gt_i32_e64 s3, s5, v15
	v_mov_b32_e32 v15, 0
	s_delay_alu instid0(VALU_DEP_2) | instskip(NEXT) | instid1(SALU_CYCLE_1)
	s_and_b32 s7, s2, s3
	s_and_saveexec_b32 s3, s7
	s_cbranch_execz .LBB514_2
; %bb.6:                                ;   in Loop: Header=BB514_3 Depth=1
	global_load_b32 v15, v[3:4], off
	s_branch .LBB514_2
.LBB514_7:
	v_mov_b32_e32 v10, 0
.LBB514_8:
	v_cmp_le_i32_e32 vcc_lo, v2, v0
	v_cmp_gt_i32_e64 s2, s4, v0
	s_delay_alu instid0(VALU_DEP_1) | instskip(NEXT) | instid1(SALU_CYCLE_1)
	s_and_b32 s2, vcc_lo, s2
	s_and_saveexec_b32 s3, s2
	s_cbranch_execz .LBB514_10
; %bb.9:
	s_load_b32 s0, s[0:1], 0x50
	v_lshlrev_b64 v[0:1], 2, v[0:1]
	s_waitcnt lgkmcnt(0)
	v_mad_i64_i32 v[3:4], null, s0, v2, 0
	s_delay_alu instid0(VALU_DEP_1) | instskip(SKIP_1) | instid1(VALU_DEP_2)
	v_lshlrev_b64 v[2:3], 2, v[3:4]
	v_mul_f32_e32 v4, s6, v10
	v_add_co_u32 v2, vcc_lo, s8, v2
	s_delay_alu instid0(VALU_DEP_3) | instskip(NEXT) | instid1(VALU_DEP_2)
	v_add_co_ci_u32_e32 v3, vcc_lo, s9, v3, vcc_lo
	v_add_co_u32 v0, vcc_lo, v2, v0
	s_delay_alu instid0(VALU_DEP_2)
	v_add_co_ci_u32_e32 v1, vcc_lo, v3, v1, vcc_lo
	global_store_b32 v[0:1], v4, off
.LBB514_10:
	s_nop 0
	s_sendmsg sendmsg(MSG_DEALLOC_VGPRS)
	s_endpgm
	.section	.rodata,"a",@progbits
	.p2align	6, 0x0
	.amdhsa_kernel _ZL32rocblas_syrkx_herkx_small_kernelIifLi16ELb1ELb0ELc78ELc76EKPKfKPfEviT_T0_PT6_S5_lS8_S5_lS6_PT7_S5_li
		.amdhsa_group_segment_fixed_size 2048
		.amdhsa_private_segment_fixed_size 0
		.amdhsa_kernarg_size 100
		.amdhsa_user_sgpr_count 13
		.amdhsa_user_sgpr_dispatch_ptr 0
		.amdhsa_user_sgpr_queue_ptr 0
		.amdhsa_user_sgpr_kernarg_segment_ptr 1
		.amdhsa_user_sgpr_dispatch_id 0
		.amdhsa_user_sgpr_private_segment_size 0
		.amdhsa_wavefront_size32 1
		.amdhsa_uses_dynamic_stack 0
		.amdhsa_enable_private_segment 0
		.amdhsa_system_sgpr_workgroup_id_x 1
		.amdhsa_system_sgpr_workgroup_id_y 1
		.amdhsa_system_sgpr_workgroup_id_z 1
		.amdhsa_system_sgpr_workgroup_info 0
		.amdhsa_system_vgpr_workitem_id 1
		.amdhsa_next_free_vgpr 28
		.amdhsa_next_free_sgpr 22
		.amdhsa_reserve_vcc 1
		.amdhsa_float_round_mode_32 0
		.amdhsa_float_round_mode_16_64 0
		.amdhsa_float_denorm_mode_32 3
		.amdhsa_float_denorm_mode_16_64 3
		.amdhsa_dx10_clamp 1
		.amdhsa_ieee_mode 1
		.amdhsa_fp16_overflow 0
		.amdhsa_workgroup_processor_mode 1
		.amdhsa_memory_ordered 1
		.amdhsa_forward_progress 0
		.amdhsa_shared_vgpr_count 0
		.amdhsa_exception_fp_ieee_invalid_op 0
		.amdhsa_exception_fp_denorm_src 0
		.amdhsa_exception_fp_ieee_div_zero 0
		.amdhsa_exception_fp_ieee_overflow 0
		.amdhsa_exception_fp_ieee_underflow 0
		.amdhsa_exception_fp_ieee_inexact 0
		.amdhsa_exception_int_div_zero 0
	.end_amdhsa_kernel
	.section	.text._ZL32rocblas_syrkx_herkx_small_kernelIifLi16ELb1ELb0ELc78ELc76EKPKfKPfEviT_T0_PT6_S5_lS8_S5_lS6_PT7_S5_li,"axG",@progbits,_ZL32rocblas_syrkx_herkx_small_kernelIifLi16ELb1ELb0ELc78ELc76EKPKfKPfEviT_T0_PT6_S5_lS8_S5_lS6_PT7_S5_li,comdat
.Lfunc_end514:
	.size	_ZL32rocblas_syrkx_herkx_small_kernelIifLi16ELb1ELb0ELc78ELc76EKPKfKPfEviT_T0_PT6_S5_lS8_S5_lS6_PT7_S5_li, .Lfunc_end514-_ZL32rocblas_syrkx_herkx_small_kernelIifLi16ELb1ELb0ELc78ELc76EKPKfKPfEviT_T0_PT6_S5_lS8_S5_lS6_PT7_S5_li
                                        ; -- End function
	.section	.AMDGPU.csdata,"",@progbits
; Kernel info:
; codeLenInByte = 912
; NumSgprs: 24
; NumVgprs: 28
; ScratchSize: 0
; MemoryBound: 0
; FloatMode: 240
; IeeeMode: 1
; LDSByteSize: 2048 bytes/workgroup (compile time only)
; SGPRBlocks: 2
; VGPRBlocks: 3
; NumSGPRsForWavesPerEU: 24
; NumVGPRsForWavesPerEU: 28
; Occupancy: 16
; WaveLimiterHint : 1
; COMPUTE_PGM_RSRC2:SCRATCH_EN: 0
; COMPUTE_PGM_RSRC2:USER_SGPR: 13
; COMPUTE_PGM_RSRC2:TRAP_HANDLER: 0
; COMPUTE_PGM_RSRC2:TGID_X_EN: 1
; COMPUTE_PGM_RSRC2:TGID_Y_EN: 1
; COMPUTE_PGM_RSRC2:TGID_Z_EN: 1
; COMPUTE_PGM_RSRC2:TIDIG_COMP_CNT: 1
	.section	.text._ZL32rocblas_syrkx_herkx_small_kernelIifLi16ELb1ELb0ELc84ELc85EKPKfKPfEviT_T0_PT6_S5_lS8_S5_lS6_PT7_S5_li,"axG",@progbits,_ZL32rocblas_syrkx_herkx_small_kernelIifLi16ELb1ELb0ELc84ELc85EKPKfKPfEviT_T0_PT6_S5_lS8_S5_lS6_PT7_S5_li,comdat
	.globl	_ZL32rocblas_syrkx_herkx_small_kernelIifLi16ELb1ELb0ELc84ELc85EKPKfKPfEviT_T0_PT6_S5_lS8_S5_lS6_PT7_S5_li ; -- Begin function _ZL32rocblas_syrkx_herkx_small_kernelIifLi16ELb1ELb0ELc84ELc85EKPKfKPfEviT_T0_PT6_S5_lS8_S5_lS6_PT7_S5_li
	.p2align	8
	.type	_ZL32rocblas_syrkx_herkx_small_kernelIifLi16ELb1ELb0ELc84ELc85EKPKfKPfEviT_T0_PT6_S5_lS8_S5_lS6_PT7_S5_li,@function
_ZL32rocblas_syrkx_herkx_small_kernelIifLi16ELb1ELb0ELc84ELc85EKPKfKPfEviT_T0_PT6_S5_lS8_S5_lS6_PT7_S5_li: ; @_ZL32rocblas_syrkx_herkx_small_kernelIifLi16ELb1ELb0ELc84ELc85EKPKfKPfEviT_T0_PT6_S5_lS8_S5_lS6_PT7_S5_li
; %bb.0:
	s_clause 0x1
	s_load_b64 s[8:9], s[0:1], 0x48
	s_load_b128 s[4:7], s[0:1], 0x0
	s_mov_b32 s10, s15
	s_mov_b32 s11, 0
	v_bfe_u32 v6, v0, 10, 10
	s_lshl_b64 s[2:3], s[10:11], 3
	v_and_b32_e32 v7, 0x3ff, v0
	s_delay_alu instid0(VALU_DEP_2) | instskip(NEXT) | instid1(VALU_DEP_2)
	v_lshl_add_u32 v5, s14, 4, v6
	v_lshl_add_u32 v0, s13, 4, v7
	s_waitcnt lgkmcnt(0)
	s_add_u32 s8, s8, s2
	s_addc_u32 s9, s9, s3
	v_cmp_gt_i32_e32 vcc_lo, s4, v5
	s_load_b64 s[8:9], s[8:9], 0x0
	s_cmp_lt_i32 s5, 1
	s_cbranch_scc1 .LBB515_7
; %bb.1:
	s_clause 0x3
	s_load_b64 s[12:13], s[0:1], 0x28
	s_load_b32 s7, s[0:1], 0x30
	s_load_b32 s10, s[0:1], 0x18
	s_load_b64 s[14:15], s[0:1], 0x10
	v_lshlrev_b32_e32 v9, 6, v6
	v_lshlrev_b32_e32 v8, 2, v7
	v_lshlrev_b32_e32 v13, 2, v6
	s_delay_alu instid0(VALU_DEP_3) | instskip(NEXT) | instid1(VALU_DEP_3)
	v_add_nc_u32_e32 v10, 0x400, v9
	v_add_nc_u32_e32 v11, v8, v9
	s_delay_alu instid0(VALU_DEP_2)
	v_dual_mov_b32 v9, 0 :: v_dual_add_nc_u32 v12, v10, v8
	s_waitcnt lgkmcnt(0)
	s_add_u32 s12, s12, s2
	s_addc_u32 s13, s13, s3
	v_mad_i64_i32 v[1:2], null, s7, v5, 0
	s_load_b64 s[12:13], s[12:13], 0x0
	s_add_u32 s2, s14, s2
	s_addc_u32 s3, s15, s3
	v_mad_i64_i32 v[3:4], null, s10, v0, 0
	s_load_b64 s[14:15], s[2:3], 0x0
	s_delay_alu instid0(VALU_DEP_2) | instskip(SKIP_1) | instid1(VALU_DEP_3)
	v_lshlrev_b64 v[1:2], 2, v[1:2]
	v_cmp_gt_i32_e64 s2, s4, v0
	v_lshlrev_b64 v[3:4], 2, v[3:4]
	s_delay_alu instid0(VALU_DEP_3) | instskip(NEXT) | instid1(VALU_DEP_1)
	v_add_co_u32 v1, s3, v1, v8
	v_add_co_ci_u32_e64 v2, s3, 0, v2, s3
	s_delay_alu instid0(VALU_DEP_3) | instskip(NEXT) | instid1(VALU_DEP_1)
	v_add_co_u32 v3, s3, v3, v13
	v_add_co_ci_u32_e64 v4, s3, 0, v4, s3
	s_waitcnt lgkmcnt(0)
	v_add_co_u32 v1, s3, s12, v1
	s_delay_alu instid0(VALU_DEP_1) | instskip(SKIP_1) | instid1(VALU_DEP_1)
	v_add_co_ci_u32_e64 v2, s3, s13, v2, s3
	v_add_co_u32 v3, s3, s14, v3
	v_add_co_ci_u32_e64 v4, s3, s15, v4, s3
	s_branch .LBB515_3
.LBB515_2:                              ;   in Loop: Header=BB515_3 Depth=1
	s_or_b32 exec_lo, exec_lo, s3
	s_waitcnt vmcnt(0)
	ds_store_b32 v12, v14
	s_waitcnt lgkmcnt(0)
	s_barrier
	buffer_gl0_inv
	ds_load_2addr_b32 v[21:22], v8 offset1:16
	ds_load_b128 v[13:16], v10
	ds_load_2addr_b32 v[23:24], v8 offset0:32 offset1:48
	ds_load_b128 v[17:20], v10 offset:16
	ds_load_2addr_b32 v[25:26], v8 offset0:64 offset1:80
	v_add_co_u32 v1, s3, v1, 64
	s_delay_alu instid0(VALU_DEP_1) | instskip(SKIP_1) | instid1(VALU_DEP_1)
	v_add_co_ci_u32_e64 v2, s3, 0, v2, s3
	v_add_co_u32 v3, s3, v3, 64
	v_add_co_ci_u32_e64 v4, s3, 0, v4, s3
	s_add_i32 s11, s11, 16
	s_delay_alu instid0(SALU_CYCLE_1) | instskip(SKIP_2) | instid1(VALU_DEP_1)
	s_cmp_ge_i32 s11, s5
	s_waitcnt lgkmcnt(3)
	v_fmac_f32_e32 v9, v21, v13
	v_fmac_f32_e32 v9, v22, v14
	ds_load_2addr_b32 v[21:22], v8 offset0:96 offset1:112
	s_waitcnt lgkmcnt(3)
	v_fmac_f32_e32 v9, v23, v15
	s_delay_alu instid0(VALU_DEP_1) | instskip(SKIP_4) | instid1(VALU_DEP_1)
	v_fmac_f32_e32 v9, v24, v16
	ds_load_2addr_b32 v[23:24], v8 offset0:128 offset1:144
	ds_load_b128 v[13:16], v10 offset:32
	s_waitcnt lgkmcnt(3)
	v_fmac_f32_e32 v9, v25, v17
	v_fmac_f32_e32 v9, v26, v18
	ds_load_2addr_b32 v[25:26], v8 offset0:160 offset1:176
	s_waitcnt lgkmcnt(3)
	v_fmac_f32_e32 v9, v21, v19
	s_delay_alu instid0(VALU_DEP_1) | instskip(SKIP_4) | instid1(VALU_DEP_1)
	v_fmac_f32_e32 v9, v22, v20
	ds_load_b128 v[17:20], v10 offset:48
	ds_load_2addr_b32 v[21:22], v8 offset0:192 offset1:208
	s_waitcnt lgkmcnt(3)
	v_fmac_f32_e32 v9, v23, v13
	v_fmac_f32_e32 v9, v24, v14
	ds_load_2addr_b32 v[13:14], v8 offset0:224 offset1:240
	s_waitcnt lgkmcnt(0)
	s_barrier
	buffer_gl0_inv
	v_fmac_f32_e32 v9, v25, v15
	s_delay_alu instid0(VALU_DEP_1) | instskip(NEXT) | instid1(VALU_DEP_1)
	v_fmac_f32_e32 v9, v26, v16
	v_fmac_f32_e32 v9, v21, v17
	s_delay_alu instid0(VALU_DEP_1) | instskip(NEXT) | instid1(VALU_DEP_1)
	v_fmac_f32_e32 v9, v22, v18
	v_fmac_f32_e32 v9, v13, v19
	s_delay_alu instid0(VALU_DEP_1)
	v_fmac_f32_e32 v9, v14, v20
	s_cbranch_scc1 .LBB515_8
.LBB515_3:                              ; =>This Inner Loop Header: Depth=1
	v_add_nc_u32_e32 v13, s11, v6
	s_delay_alu instid0(VALU_DEP_1) | instskip(SKIP_1) | instid1(VALU_DEP_2)
	v_cmp_gt_i32_e64 s3, s5, v13
	v_mov_b32_e32 v13, 0
	s_and_b32 s7, s2, s3
	s_delay_alu instid0(SALU_CYCLE_1)
	s_and_saveexec_b32 s3, s7
	s_cbranch_execz .LBB515_5
; %bb.4:                                ;   in Loop: Header=BB515_3 Depth=1
	global_load_b32 v13, v[3:4], off
.LBB515_5:                              ;   in Loop: Header=BB515_3 Depth=1
	s_or_b32 exec_lo, exec_lo, s3
	v_add_nc_u32_e32 v14, s11, v7
	s_waitcnt vmcnt(0)
	ds_store_b32 v11, v13
	v_cmp_gt_i32_e64 s3, s5, v14
	v_mov_b32_e32 v14, 0
	s_delay_alu instid0(VALU_DEP_2) | instskip(NEXT) | instid1(SALU_CYCLE_1)
	s_and_b32 s7, vcc_lo, s3
	s_and_saveexec_b32 s3, s7
	s_cbranch_execz .LBB515_2
; %bb.6:                                ;   in Loop: Header=BB515_3 Depth=1
	global_load_b32 v14, v[1:2], off
	s_branch .LBB515_2
.LBB515_7:
	v_mov_b32_e32 v9, 0
.LBB515_8:
	v_cmp_le_i32_e32 vcc_lo, v0, v5
	v_cmp_gt_i32_e64 s2, s4, v5
	s_delay_alu instid0(VALU_DEP_1) | instskip(NEXT) | instid1(SALU_CYCLE_1)
	s_and_b32 s2, vcc_lo, s2
	s_and_saveexec_b32 s3, s2
	s_cbranch_execz .LBB515_10
; %bb.9:
	s_load_b32 s0, s[0:1], 0x50
	v_ashrrev_i32_e32 v1, 31, v0
	v_mul_f32_e32 v4, s6, v9
	s_delay_alu instid0(VALU_DEP_2) | instskip(SKIP_2) | instid1(VALU_DEP_1)
	v_lshlrev_b64 v[0:1], 2, v[0:1]
	s_waitcnt lgkmcnt(0)
	v_mad_i64_i32 v[2:3], null, s0, v5, 0
	v_lshlrev_b64 v[2:3], 2, v[2:3]
	s_delay_alu instid0(VALU_DEP_1) | instskip(NEXT) | instid1(VALU_DEP_2)
	v_add_co_u32 v2, vcc_lo, s8, v2
	v_add_co_ci_u32_e32 v3, vcc_lo, s9, v3, vcc_lo
	s_delay_alu instid0(VALU_DEP_2) | instskip(NEXT) | instid1(VALU_DEP_2)
	v_add_co_u32 v0, vcc_lo, v2, v0
	v_add_co_ci_u32_e32 v1, vcc_lo, v3, v1, vcc_lo
	global_store_b32 v[0:1], v4, off
.LBB515_10:
	s_nop 0
	s_sendmsg sendmsg(MSG_DEALLOC_VGPRS)
	s_endpgm
	.section	.rodata,"a",@progbits
	.p2align	6, 0x0
	.amdhsa_kernel _ZL32rocblas_syrkx_herkx_small_kernelIifLi16ELb1ELb0ELc84ELc85EKPKfKPfEviT_T0_PT6_S5_lS8_S5_lS6_PT7_S5_li
		.amdhsa_group_segment_fixed_size 2048
		.amdhsa_private_segment_fixed_size 0
		.amdhsa_kernarg_size 100
		.amdhsa_user_sgpr_count 13
		.amdhsa_user_sgpr_dispatch_ptr 0
		.amdhsa_user_sgpr_queue_ptr 0
		.amdhsa_user_sgpr_kernarg_segment_ptr 1
		.amdhsa_user_sgpr_dispatch_id 0
		.amdhsa_user_sgpr_private_segment_size 0
		.amdhsa_wavefront_size32 1
		.amdhsa_uses_dynamic_stack 0
		.amdhsa_enable_private_segment 0
		.amdhsa_system_sgpr_workgroup_id_x 1
		.amdhsa_system_sgpr_workgroup_id_y 1
		.amdhsa_system_sgpr_workgroup_id_z 1
		.amdhsa_system_sgpr_workgroup_info 0
		.amdhsa_system_vgpr_workitem_id 1
		.amdhsa_next_free_vgpr 27
		.amdhsa_next_free_sgpr 16
		.amdhsa_reserve_vcc 1
		.amdhsa_float_round_mode_32 0
		.amdhsa_float_round_mode_16_64 0
		.amdhsa_float_denorm_mode_32 3
		.amdhsa_float_denorm_mode_16_64 3
		.amdhsa_dx10_clamp 1
		.amdhsa_ieee_mode 1
		.amdhsa_fp16_overflow 0
		.amdhsa_workgroup_processor_mode 1
		.amdhsa_memory_ordered 1
		.amdhsa_forward_progress 0
		.amdhsa_shared_vgpr_count 0
		.amdhsa_exception_fp_ieee_invalid_op 0
		.amdhsa_exception_fp_denorm_src 0
		.amdhsa_exception_fp_ieee_div_zero 0
		.amdhsa_exception_fp_ieee_overflow 0
		.amdhsa_exception_fp_ieee_underflow 0
		.amdhsa_exception_fp_ieee_inexact 0
		.amdhsa_exception_int_div_zero 0
	.end_amdhsa_kernel
	.section	.text._ZL32rocblas_syrkx_herkx_small_kernelIifLi16ELb1ELb0ELc84ELc85EKPKfKPfEviT_T0_PT6_S5_lS8_S5_lS6_PT7_S5_li,"axG",@progbits,_ZL32rocblas_syrkx_herkx_small_kernelIifLi16ELb1ELb0ELc84ELc85EKPKfKPfEviT_T0_PT6_S5_lS8_S5_lS6_PT7_S5_li,comdat
.Lfunc_end515:
	.size	_ZL32rocblas_syrkx_herkx_small_kernelIifLi16ELb1ELb0ELc84ELc85EKPKfKPfEviT_T0_PT6_S5_lS8_S5_lS6_PT7_S5_li, .Lfunc_end515-_ZL32rocblas_syrkx_herkx_small_kernelIifLi16ELb1ELb0ELc84ELc85EKPKfKPfEviT_T0_PT6_S5_lS8_S5_lS6_PT7_S5_li
                                        ; -- End function
	.section	.AMDGPU.csdata,"",@progbits
; Kernel info:
; codeLenInByte = 876
; NumSgprs: 18
; NumVgprs: 27
; ScratchSize: 0
; MemoryBound: 0
; FloatMode: 240
; IeeeMode: 1
; LDSByteSize: 2048 bytes/workgroup (compile time only)
; SGPRBlocks: 2
; VGPRBlocks: 3
; NumSGPRsForWavesPerEU: 18
; NumVGPRsForWavesPerEU: 27
; Occupancy: 16
; WaveLimiterHint : 1
; COMPUTE_PGM_RSRC2:SCRATCH_EN: 0
; COMPUTE_PGM_RSRC2:USER_SGPR: 13
; COMPUTE_PGM_RSRC2:TRAP_HANDLER: 0
; COMPUTE_PGM_RSRC2:TGID_X_EN: 1
; COMPUTE_PGM_RSRC2:TGID_Y_EN: 1
; COMPUTE_PGM_RSRC2:TGID_Z_EN: 1
; COMPUTE_PGM_RSRC2:TIDIG_COMP_CNT: 1
	.section	.text._ZL32rocblas_syrkx_herkx_small_kernelIifLi16ELb1ELb0ELc67ELc85EKPKfKPfEviT_T0_PT6_S5_lS8_S5_lS6_PT7_S5_li,"axG",@progbits,_ZL32rocblas_syrkx_herkx_small_kernelIifLi16ELb1ELb0ELc67ELc85EKPKfKPfEviT_T0_PT6_S5_lS8_S5_lS6_PT7_S5_li,comdat
	.globl	_ZL32rocblas_syrkx_herkx_small_kernelIifLi16ELb1ELb0ELc67ELc85EKPKfKPfEviT_T0_PT6_S5_lS8_S5_lS6_PT7_S5_li ; -- Begin function _ZL32rocblas_syrkx_herkx_small_kernelIifLi16ELb1ELb0ELc67ELc85EKPKfKPfEviT_T0_PT6_S5_lS8_S5_lS6_PT7_S5_li
	.p2align	8
	.type	_ZL32rocblas_syrkx_herkx_small_kernelIifLi16ELb1ELb0ELc67ELc85EKPKfKPfEviT_T0_PT6_S5_lS8_S5_lS6_PT7_S5_li,@function
_ZL32rocblas_syrkx_herkx_small_kernelIifLi16ELb1ELb0ELc67ELc85EKPKfKPfEviT_T0_PT6_S5_lS8_S5_lS6_PT7_S5_li: ; @_ZL32rocblas_syrkx_herkx_small_kernelIifLi16ELb1ELb0ELc67ELc85EKPKfKPfEviT_T0_PT6_S5_lS8_S5_lS6_PT7_S5_li
; %bb.0:
	s_clause 0x1
	s_load_b64 s[8:9], s[0:1], 0x48
	s_load_b128 s[4:7], s[0:1], 0x0
	s_mov_b32 s10, s15
	s_mov_b32 s11, 0
	v_bfe_u32 v6, v0, 10, 10
	s_lshl_b64 s[2:3], s[10:11], 3
	v_and_b32_e32 v7, 0x3ff, v0
	s_delay_alu instid0(VALU_DEP_2) | instskip(NEXT) | instid1(VALU_DEP_2)
	v_lshl_add_u32 v5, s14, 4, v6
	v_lshl_add_u32 v0, s13, 4, v7
	s_waitcnt lgkmcnt(0)
	s_add_u32 s8, s8, s2
	s_addc_u32 s9, s9, s3
	v_cmp_gt_i32_e32 vcc_lo, s4, v5
	s_load_b64 s[8:9], s[8:9], 0x0
	s_cmp_lt_i32 s5, 1
	s_cbranch_scc1 .LBB516_7
; %bb.1:
	s_clause 0x3
	s_load_b64 s[12:13], s[0:1], 0x28
	s_load_b32 s7, s[0:1], 0x30
	s_load_b32 s10, s[0:1], 0x18
	s_load_b64 s[14:15], s[0:1], 0x10
	v_lshlrev_b32_e32 v9, 6, v6
	v_lshlrev_b32_e32 v8, 2, v7
	;; [unrolled: 1-line block ×3, first 2 shown]
	s_delay_alu instid0(VALU_DEP_3) | instskip(NEXT) | instid1(VALU_DEP_3)
	v_add_nc_u32_e32 v10, 0x400, v9
	v_add_nc_u32_e32 v11, v8, v9
	s_delay_alu instid0(VALU_DEP_2)
	v_dual_mov_b32 v9, 0 :: v_dual_add_nc_u32 v12, v10, v8
	s_waitcnt lgkmcnt(0)
	s_add_u32 s12, s12, s2
	s_addc_u32 s13, s13, s3
	v_mad_i64_i32 v[1:2], null, s7, v5, 0
	s_load_b64 s[12:13], s[12:13], 0x0
	s_add_u32 s2, s14, s2
	s_addc_u32 s3, s15, s3
	v_mad_i64_i32 v[3:4], null, s10, v0, 0
	s_load_b64 s[14:15], s[2:3], 0x0
	s_delay_alu instid0(VALU_DEP_2) | instskip(SKIP_1) | instid1(VALU_DEP_3)
	v_lshlrev_b64 v[1:2], 2, v[1:2]
	v_cmp_gt_i32_e64 s2, s4, v0
	v_lshlrev_b64 v[3:4], 2, v[3:4]
	s_delay_alu instid0(VALU_DEP_3) | instskip(NEXT) | instid1(VALU_DEP_1)
	v_add_co_u32 v1, s3, v1, v8
	v_add_co_ci_u32_e64 v2, s3, 0, v2, s3
	s_delay_alu instid0(VALU_DEP_3) | instskip(NEXT) | instid1(VALU_DEP_1)
	v_add_co_u32 v3, s3, v3, v13
	v_add_co_ci_u32_e64 v4, s3, 0, v4, s3
	s_waitcnt lgkmcnt(0)
	v_add_co_u32 v1, s3, s12, v1
	s_delay_alu instid0(VALU_DEP_1) | instskip(SKIP_1) | instid1(VALU_DEP_1)
	v_add_co_ci_u32_e64 v2, s3, s13, v2, s3
	v_add_co_u32 v3, s3, s14, v3
	v_add_co_ci_u32_e64 v4, s3, s15, v4, s3
	s_branch .LBB516_3
.LBB516_2:                              ;   in Loop: Header=BB516_3 Depth=1
	s_or_b32 exec_lo, exec_lo, s3
	s_waitcnt vmcnt(0)
	ds_store_b32 v12, v14
	s_waitcnt lgkmcnt(0)
	s_barrier
	buffer_gl0_inv
	ds_load_2addr_b32 v[21:22], v8 offset1:16
	ds_load_b128 v[13:16], v10
	ds_load_2addr_b32 v[23:24], v8 offset0:32 offset1:48
	ds_load_b128 v[17:20], v10 offset:16
	ds_load_2addr_b32 v[25:26], v8 offset0:64 offset1:80
	v_add_co_u32 v1, s3, v1, 64
	s_delay_alu instid0(VALU_DEP_1) | instskip(SKIP_1) | instid1(VALU_DEP_1)
	v_add_co_ci_u32_e64 v2, s3, 0, v2, s3
	v_add_co_u32 v3, s3, v3, 64
	v_add_co_ci_u32_e64 v4, s3, 0, v4, s3
	s_add_i32 s11, s11, 16
	s_delay_alu instid0(SALU_CYCLE_1) | instskip(SKIP_2) | instid1(VALU_DEP_1)
	s_cmp_ge_i32 s11, s5
	s_waitcnt lgkmcnt(3)
	v_fmac_f32_e32 v9, v21, v13
	v_fmac_f32_e32 v9, v22, v14
	ds_load_2addr_b32 v[21:22], v8 offset0:96 offset1:112
	s_waitcnt lgkmcnt(3)
	v_fmac_f32_e32 v9, v23, v15
	s_delay_alu instid0(VALU_DEP_1) | instskip(SKIP_4) | instid1(VALU_DEP_1)
	v_fmac_f32_e32 v9, v24, v16
	ds_load_2addr_b32 v[23:24], v8 offset0:128 offset1:144
	ds_load_b128 v[13:16], v10 offset:32
	s_waitcnt lgkmcnt(3)
	v_fmac_f32_e32 v9, v25, v17
	v_fmac_f32_e32 v9, v26, v18
	ds_load_2addr_b32 v[25:26], v8 offset0:160 offset1:176
	s_waitcnt lgkmcnt(3)
	v_fmac_f32_e32 v9, v21, v19
	s_delay_alu instid0(VALU_DEP_1) | instskip(SKIP_4) | instid1(VALU_DEP_1)
	v_fmac_f32_e32 v9, v22, v20
	ds_load_b128 v[17:20], v10 offset:48
	ds_load_2addr_b32 v[21:22], v8 offset0:192 offset1:208
	s_waitcnt lgkmcnt(3)
	v_fmac_f32_e32 v9, v23, v13
	v_fmac_f32_e32 v9, v24, v14
	ds_load_2addr_b32 v[13:14], v8 offset0:224 offset1:240
	s_waitcnt lgkmcnt(0)
	s_barrier
	buffer_gl0_inv
	v_fmac_f32_e32 v9, v25, v15
	s_delay_alu instid0(VALU_DEP_1) | instskip(NEXT) | instid1(VALU_DEP_1)
	v_fmac_f32_e32 v9, v26, v16
	v_fmac_f32_e32 v9, v21, v17
	s_delay_alu instid0(VALU_DEP_1) | instskip(NEXT) | instid1(VALU_DEP_1)
	v_fmac_f32_e32 v9, v22, v18
	v_fmac_f32_e32 v9, v13, v19
	s_delay_alu instid0(VALU_DEP_1)
	v_fmac_f32_e32 v9, v14, v20
	s_cbranch_scc1 .LBB516_8
.LBB516_3:                              ; =>This Inner Loop Header: Depth=1
	v_add_nc_u32_e32 v13, s11, v6
	s_delay_alu instid0(VALU_DEP_1) | instskip(SKIP_1) | instid1(VALU_DEP_2)
	v_cmp_gt_i32_e64 s3, s5, v13
	v_mov_b32_e32 v13, 0
	s_and_b32 s7, s2, s3
	s_delay_alu instid0(SALU_CYCLE_1)
	s_and_saveexec_b32 s3, s7
	s_cbranch_execz .LBB516_5
; %bb.4:                                ;   in Loop: Header=BB516_3 Depth=1
	global_load_b32 v13, v[3:4], off
.LBB516_5:                              ;   in Loop: Header=BB516_3 Depth=1
	s_or_b32 exec_lo, exec_lo, s3
	v_add_nc_u32_e32 v14, s11, v7
	s_waitcnt vmcnt(0)
	ds_store_b32 v11, v13
	v_cmp_gt_i32_e64 s3, s5, v14
	v_mov_b32_e32 v14, 0
	s_delay_alu instid0(VALU_DEP_2) | instskip(NEXT) | instid1(SALU_CYCLE_1)
	s_and_b32 s7, vcc_lo, s3
	s_and_saveexec_b32 s3, s7
	s_cbranch_execz .LBB516_2
; %bb.6:                                ;   in Loop: Header=BB516_3 Depth=1
	global_load_b32 v14, v[1:2], off
	s_branch .LBB516_2
.LBB516_7:
	v_mov_b32_e32 v9, 0
.LBB516_8:
	v_cmp_le_i32_e32 vcc_lo, v0, v5
	v_cmp_gt_i32_e64 s2, s4, v5
	s_delay_alu instid0(VALU_DEP_1) | instskip(NEXT) | instid1(SALU_CYCLE_1)
	s_and_b32 s2, vcc_lo, s2
	s_and_saveexec_b32 s3, s2
	s_cbranch_execz .LBB516_10
; %bb.9:
	s_load_b32 s0, s[0:1], 0x50
	v_ashrrev_i32_e32 v1, 31, v0
	v_mul_f32_e32 v4, s6, v9
	s_delay_alu instid0(VALU_DEP_2) | instskip(SKIP_2) | instid1(VALU_DEP_1)
	v_lshlrev_b64 v[0:1], 2, v[0:1]
	s_waitcnt lgkmcnt(0)
	v_mad_i64_i32 v[2:3], null, s0, v5, 0
	v_lshlrev_b64 v[2:3], 2, v[2:3]
	s_delay_alu instid0(VALU_DEP_1) | instskip(NEXT) | instid1(VALU_DEP_2)
	v_add_co_u32 v2, vcc_lo, s8, v2
	v_add_co_ci_u32_e32 v3, vcc_lo, s9, v3, vcc_lo
	s_delay_alu instid0(VALU_DEP_2) | instskip(NEXT) | instid1(VALU_DEP_2)
	v_add_co_u32 v0, vcc_lo, v2, v0
	v_add_co_ci_u32_e32 v1, vcc_lo, v3, v1, vcc_lo
	global_store_b32 v[0:1], v4, off
.LBB516_10:
	s_nop 0
	s_sendmsg sendmsg(MSG_DEALLOC_VGPRS)
	s_endpgm
	.section	.rodata,"a",@progbits
	.p2align	6, 0x0
	.amdhsa_kernel _ZL32rocblas_syrkx_herkx_small_kernelIifLi16ELb1ELb0ELc67ELc85EKPKfKPfEviT_T0_PT6_S5_lS8_S5_lS6_PT7_S5_li
		.amdhsa_group_segment_fixed_size 2048
		.amdhsa_private_segment_fixed_size 0
		.amdhsa_kernarg_size 100
		.amdhsa_user_sgpr_count 13
		.amdhsa_user_sgpr_dispatch_ptr 0
		.amdhsa_user_sgpr_queue_ptr 0
		.amdhsa_user_sgpr_kernarg_segment_ptr 1
		.amdhsa_user_sgpr_dispatch_id 0
		.amdhsa_user_sgpr_private_segment_size 0
		.amdhsa_wavefront_size32 1
		.amdhsa_uses_dynamic_stack 0
		.amdhsa_enable_private_segment 0
		.amdhsa_system_sgpr_workgroup_id_x 1
		.amdhsa_system_sgpr_workgroup_id_y 1
		.amdhsa_system_sgpr_workgroup_id_z 1
		.amdhsa_system_sgpr_workgroup_info 0
		.amdhsa_system_vgpr_workitem_id 1
		.amdhsa_next_free_vgpr 27
		.amdhsa_next_free_sgpr 16
		.amdhsa_reserve_vcc 1
		.amdhsa_float_round_mode_32 0
		.amdhsa_float_round_mode_16_64 0
		.amdhsa_float_denorm_mode_32 3
		.amdhsa_float_denorm_mode_16_64 3
		.amdhsa_dx10_clamp 1
		.amdhsa_ieee_mode 1
		.amdhsa_fp16_overflow 0
		.amdhsa_workgroup_processor_mode 1
		.amdhsa_memory_ordered 1
		.amdhsa_forward_progress 0
		.amdhsa_shared_vgpr_count 0
		.amdhsa_exception_fp_ieee_invalid_op 0
		.amdhsa_exception_fp_denorm_src 0
		.amdhsa_exception_fp_ieee_div_zero 0
		.amdhsa_exception_fp_ieee_overflow 0
		.amdhsa_exception_fp_ieee_underflow 0
		.amdhsa_exception_fp_ieee_inexact 0
		.amdhsa_exception_int_div_zero 0
	.end_amdhsa_kernel
	.section	.text._ZL32rocblas_syrkx_herkx_small_kernelIifLi16ELb1ELb0ELc67ELc85EKPKfKPfEviT_T0_PT6_S5_lS8_S5_lS6_PT7_S5_li,"axG",@progbits,_ZL32rocblas_syrkx_herkx_small_kernelIifLi16ELb1ELb0ELc67ELc85EKPKfKPfEviT_T0_PT6_S5_lS8_S5_lS6_PT7_S5_li,comdat
.Lfunc_end516:
	.size	_ZL32rocblas_syrkx_herkx_small_kernelIifLi16ELb1ELb0ELc67ELc85EKPKfKPfEviT_T0_PT6_S5_lS8_S5_lS6_PT7_S5_li, .Lfunc_end516-_ZL32rocblas_syrkx_herkx_small_kernelIifLi16ELb1ELb0ELc67ELc85EKPKfKPfEviT_T0_PT6_S5_lS8_S5_lS6_PT7_S5_li
                                        ; -- End function
	.section	.AMDGPU.csdata,"",@progbits
; Kernel info:
; codeLenInByte = 876
; NumSgprs: 18
; NumVgprs: 27
; ScratchSize: 0
; MemoryBound: 0
; FloatMode: 240
; IeeeMode: 1
; LDSByteSize: 2048 bytes/workgroup (compile time only)
; SGPRBlocks: 2
; VGPRBlocks: 3
; NumSGPRsForWavesPerEU: 18
; NumVGPRsForWavesPerEU: 27
; Occupancy: 16
; WaveLimiterHint : 1
; COMPUTE_PGM_RSRC2:SCRATCH_EN: 0
; COMPUTE_PGM_RSRC2:USER_SGPR: 13
; COMPUTE_PGM_RSRC2:TRAP_HANDLER: 0
; COMPUTE_PGM_RSRC2:TGID_X_EN: 1
; COMPUTE_PGM_RSRC2:TGID_Y_EN: 1
; COMPUTE_PGM_RSRC2:TGID_Z_EN: 1
; COMPUTE_PGM_RSRC2:TIDIG_COMP_CNT: 1
	.section	.text._ZL32rocblas_syrkx_herkx_small_kernelIifLi16ELb1ELb0ELc78ELc85EKPKfKPfEviT_T0_PT6_S5_lS8_S5_lS6_PT7_S5_li,"axG",@progbits,_ZL32rocblas_syrkx_herkx_small_kernelIifLi16ELb1ELb0ELc78ELc85EKPKfKPfEviT_T0_PT6_S5_lS8_S5_lS6_PT7_S5_li,comdat
	.globl	_ZL32rocblas_syrkx_herkx_small_kernelIifLi16ELb1ELb0ELc78ELc85EKPKfKPfEviT_T0_PT6_S5_lS8_S5_lS6_PT7_S5_li ; -- Begin function _ZL32rocblas_syrkx_herkx_small_kernelIifLi16ELb1ELb0ELc78ELc85EKPKfKPfEviT_T0_PT6_S5_lS8_S5_lS6_PT7_S5_li
	.p2align	8
	.type	_ZL32rocblas_syrkx_herkx_small_kernelIifLi16ELb1ELb0ELc78ELc85EKPKfKPfEviT_T0_PT6_S5_lS8_S5_lS6_PT7_S5_li,@function
_ZL32rocblas_syrkx_herkx_small_kernelIifLi16ELb1ELb0ELc78ELc85EKPKfKPfEviT_T0_PT6_S5_lS8_S5_lS6_PT7_S5_li: ; @_ZL32rocblas_syrkx_herkx_small_kernelIifLi16ELb1ELb0ELc78ELc85EKPKfKPfEviT_T0_PT6_S5_lS8_S5_lS6_PT7_S5_li
; %bb.0:
	s_clause 0x1
	s_load_b64 s[2:3], s[0:1], 0x48
	s_load_b128 s[4:7], s[0:1], 0x0
	s_mov_b32 s10, s15
	s_mov_b32 s11, 0
	v_and_b32_e32 v7, 0x3ff, v0
	s_lshl_b64 s[16:17], s[10:11], 3
	v_bfe_u32 v8, v0, 10, 10
	s_delay_alu instid0(VALU_DEP_2) | instskip(NEXT) | instid1(VALU_DEP_2)
	v_lshl_add_u32 v0, s13, 4, v7
	v_lshl_add_u32 v2, s14, 4, v8
	s_delay_alu instid0(VALU_DEP_2)
	v_ashrrev_i32_e32 v1, 31, v0
	s_waitcnt lgkmcnt(0)
	s_add_u32 s2, s2, s16
	s_addc_u32 s3, s3, s17
	v_cmp_gt_i32_e32 vcc_lo, s4, v2
	s_load_b64 s[8:9], s[2:3], 0x0
	s_cmp_lt_i32 s5, 1
	s_cbranch_scc1 .LBB517_7
; %bb.1:
	s_clause 0x3
	s_load_b32 s14, s[0:1], 0x18
	s_load_b32 s12, s[0:1], 0x30
	s_load_b64 s[18:19], s[0:1], 0x28
	s_load_b64 s[20:21], s[0:1], 0x10
	v_ashrrev_i32_e32 v3, 31, v2
	v_lshlrev_b32_e32 v10, 6, v8
	v_lshlrev_b32_e32 v9, 2, v7
	v_cmp_gt_i32_e64 s2, s4, v0
	s_delay_alu instid0(VALU_DEP_4) | instskip(NEXT) | instid1(VALU_DEP_4)
	v_lshlrev_b64 v[16:17], 2, v[2:3]
	v_add_nc_u32_e32 v11, 0x400, v10
	s_delay_alu instid0(VALU_DEP_4) | instskip(NEXT) | instid1(VALU_DEP_2)
	v_add_nc_u32_e32 v12, v9, v10
	v_dual_mov_b32 v10, 0 :: v_dual_add_nc_u32 v13, v11, v9
	s_waitcnt lgkmcnt(0)
	s_ashr_i32 s15, s14, 31
	s_ashr_i32 s13, s12, 31
	s_add_u32 s18, s18, s16
	s_addc_u32 s19, s19, s17
	v_mad_i64_i32 v[4:5], null, s12, v7, 0
	s_load_b64 s[18:19], s[18:19], 0x0
	s_add_u32 s16, s20, s16
	s_addc_u32 s17, s21, s17
	v_mad_i64_i32 v[14:15], null, s14, v8, 0
	s_load_b64 s[16:17], s[16:17], 0x0
	s_delay_alu instid0(VALU_DEP_2) | instskip(SKIP_3) | instid1(VALU_DEP_3)
	v_lshlrev_b64 v[3:4], 2, v[4:5]
	v_lshlrev_b64 v[5:6], 2, v[0:1]
	s_lshl_b64 s[12:13], s[12:13], 6
	s_lshl_b64 s[14:15], s[14:15], 6
	v_lshlrev_b64 v[14:15], 2, v[14:15]
	s_delay_alu instid0(VALU_DEP_3) | instskip(NEXT) | instid1(VALU_DEP_1)
	v_add_co_u32 v3, s3, v3, v16
	v_add_co_ci_u32_e64 v4, s3, v4, v17, s3
	s_delay_alu instid0(VALU_DEP_3) | instskip(NEXT) | instid1(VALU_DEP_1)
	v_add_co_u32 v5, s3, v14, v5
	v_add_co_ci_u32_e64 v6, s3, v15, v6, s3
	s_waitcnt lgkmcnt(0)
	v_add_co_u32 v3, s3, s18, v3
	s_delay_alu instid0(VALU_DEP_1) | instskip(SKIP_1) | instid1(VALU_DEP_1)
	v_add_co_ci_u32_e64 v4, s3, s19, v4, s3
	v_add_co_u32 v5, s3, s16, v5
	v_add_co_ci_u32_e64 v6, s3, s17, v6, s3
	s_branch .LBB517_3
.LBB517_2:                              ;   in Loop: Header=BB517_3 Depth=1
	s_or_b32 exec_lo, exec_lo, s3
	s_waitcnt vmcnt(0)
	ds_store_b32 v13, v15
	s_waitcnt lgkmcnt(0)
	s_barrier
	buffer_gl0_inv
	ds_load_2addr_b32 v[22:23], v9 offset1:16
	ds_load_b128 v[14:17], v11
	ds_load_2addr_b32 v[24:25], v9 offset0:32 offset1:48
	ds_load_b128 v[18:21], v11 offset:16
	ds_load_2addr_b32 v[26:27], v9 offset0:64 offset1:80
	v_add_co_u32 v3, s3, v3, s12
	s_delay_alu instid0(VALU_DEP_1) | instskip(SKIP_1) | instid1(VALU_DEP_1)
	v_add_co_ci_u32_e64 v4, s3, s13, v4, s3
	v_add_co_u32 v5, s3, v5, s14
	v_add_co_ci_u32_e64 v6, s3, s15, v6, s3
	s_add_i32 s11, s11, 16
	s_delay_alu instid0(SALU_CYCLE_1) | instskip(SKIP_2) | instid1(VALU_DEP_1)
	s_cmp_ge_i32 s11, s5
	s_waitcnt lgkmcnt(3)
	v_fmac_f32_e32 v10, v22, v14
	v_fmac_f32_e32 v10, v23, v15
	ds_load_2addr_b32 v[22:23], v9 offset0:96 offset1:112
	s_waitcnt lgkmcnt(3)
	v_fmac_f32_e32 v10, v24, v16
	s_delay_alu instid0(VALU_DEP_1) | instskip(SKIP_4) | instid1(VALU_DEP_1)
	v_fmac_f32_e32 v10, v25, v17
	ds_load_2addr_b32 v[24:25], v9 offset0:128 offset1:144
	ds_load_b128 v[14:17], v11 offset:32
	s_waitcnt lgkmcnt(3)
	v_fmac_f32_e32 v10, v26, v18
	v_fmac_f32_e32 v10, v27, v19
	ds_load_2addr_b32 v[26:27], v9 offset0:160 offset1:176
	s_waitcnt lgkmcnt(3)
	v_fmac_f32_e32 v10, v22, v20
	s_delay_alu instid0(VALU_DEP_1) | instskip(SKIP_4) | instid1(VALU_DEP_1)
	v_fmac_f32_e32 v10, v23, v21
	ds_load_b128 v[18:21], v11 offset:48
	ds_load_2addr_b32 v[22:23], v9 offset0:192 offset1:208
	s_waitcnt lgkmcnt(3)
	v_fmac_f32_e32 v10, v24, v14
	v_fmac_f32_e32 v10, v25, v15
	ds_load_2addr_b32 v[14:15], v9 offset0:224 offset1:240
	s_waitcnt lgkmcnt(0)
	s_barrier
	buffer_gl0_inv
	v_fmac_f32_e32 v10, v26, v16
	s_delay_alu instid0(VALU_DEP_1) | instskip(NEXT) | instid1(VALU_DEP_1)
	v_fmac_f32_e32 v10, v27, v17
	v_fmac_f32_e32 v10, v22, v18
	s_delay_alu instid0(VALU_DEP_1) | instskip(NEXT) | instid1(VALU_DEP_1)
	v_fmac_f32_e32 v10, v23, v19
	v_fmac_f32_e32 v10, v14, v20
	s_delay_alu instid0(VALU_DEP_1)
	v_fmac_f32_e32 v10, v15, v21
	s_cbranch_scc1 .LBB517_8
.LBB517_3:                              ; =>This Inner Loop Header: Depth=1
	v_add_nc_u32_e32 v14, s11, v8
	s_delay_alu instid0(VALU_DEP_1) | instskip(SKIP_1) | instid1(VALU_DEP_2)
	v_cmp_gt_i32_e64 s3, s5, v14
	v_mov_b32_e32 v14, 0
	s_and_b32 s7, s2, s3
	s_delay_alu instid0(SALU_CYCLE_1)
	s_and_saveexec_b32 s3, s7
	s_cbranch_execz .LBB517_5
; %bb.4:                                ;   in Loop: Header=BB517_3 Depth=1
	global_load_b32 v14, v[5:6], off
.LBB517_5:                              ;   in Loop: Header=BB517_3 Depth=1
	s_or_b32 exec_lo, exec_lo, s3
	v_add_nc_u32_e32 v15, s11, v7
	s_waitcnt vmcnt(0)
	ds_store_b32 v12, v14
	v_cmp_gt_i32_e64 s3, s5, v15
	v_mov_b32_e32 v15, 0
	s_delay_alu instid0(VALU_DEP_2) | instskip(NEXT) | instid1(SALU_CYCLE_1)
	s_and_b32 s7, vcc_lo, s3
	s_and_saveexec_b32 s3, s7
	s_cbranch_execz .LBB517_2
; %bb.6:                                ;   in Loop: Header=BB517_3 Depth=1
	global_load_b32 v15, v[3:4], off
	s_branch .LBB517_2
.LBB517_7:
	v_mov_b32_e32 v10, 0
.LBB517_8:
	v_cmp_le_i32_e32 vcc_lo, v0, v2
	v_cmp_gt_i32_e64 s2, s4, v2
	s_delay_alu instid0(VALU_DEP_1) | instskip(NEXT) | instid1(SALU_CYCLE_1)
	s_and_b32 s2, vcc_lo, s2
	s_and_saveexec_b32 s3, s2
	s_cbranch_execz .LBB517_10
; %bb.9:
	s_load_b32 s0, s[0:1], 0x50
	v_lshlrev_b64 v[0:1], 2, v[0:1]
	s_waitcnt lgkmcnt(0)
	v_mad_i64_i32 v[3:4], null, s0, v2, 0
	s_delay_alu instid0(VALU_DEP_1) | instskip(SKIP_1) | instid1(VALU_DEP_2)
	v_lshlrev_b64 v[2:3], 2, v[3:4]
	v_mul_f32_e32 v4, s6, v10
	v_add_co_u32 v2, vcc_lo, s8, v2
	s_delay_alu instid0(VALU_DEP_3) | instskip(NEXT) | instid1(VALU_DEP_2)
	v_add_co_ci_u32_e32 v3, vcc_lo, s9, v3, vcc_lo
	v_add_co_u32 v0, vcc_lo, v2, v0
	s_delay_alu instid0(VALU_DEP_2)
	v_add_co_ci_u32_e32 v1, vcc_lo, v3, v1, vcc_lo
	global_store_b32 v[0:1], v4, off
.LBB517_10:
	s_nop 0
	s_sendmsg sendmsg(MSG_DEALLOC_VGPRS)
	s_endpgm
	.section	.rodata,"a",@progbits
	.p2align	6, 0x0
	.amdhsa_kernel _ZL32rocblas_syrkx_herkx_small_kernelIifLi16ELb1ELb0ELc78ELc85EKPKfKPfEviT_T0_PT6_S5_lS8_S5_lS6_PT7_S5_li
		.amdhsa_group_segment_fixed_size 2048
		.amdhsa_private_segment_fixed_size 0
		.amdhsa_kernarg_size 100
		.amdhsa_user_sgpr_count 13
		.amdhsa_user_sgpr_dispatch_ptr 0
		.amdhsa_user_sgpr_queue_ptr 0
		.amdhsa_user_sgpr_kernarg_segment_ptr 1
		.amdhsa_user_sgpr_dispatch_id 0
		.amdhsa_user_sgpr_private_segment_size 0
		.amdhsa_wavefront_size32 1
		.amdhsa_uses_dynamic_stack 0
		.amdhsa_enable_private_segment 0
		.amdhsa_system_sgpr_workgroup_id_x 1
		.amdhsa_system_sgpr_workgroup_id_y 1
		.amdhsa_system_sgpr_workgroup_id_z 1
		.amdhsa_system_sgpr_workgroup_info 0
		.amdhsa_system_vgpr_workitem_id 1
		.amdhsa_next_free_vgpr 28
		.amdhsa_next_free_sgpr 22
		.amdhsa_reserve_vcc 1
		.amdhsa_float_round_mode_32 0
		.amdhsa_float_round_mode_16_64 0
		.amdhsa_float_denorm_mode_32 3
		.amdhsa_float_denorm_mode_16_64 3
		.amdhsa_dx10_clamp 1
		.amdhsa_ieee_mode 1
		.amdhsa_fp16_overflow 0
		.amdhsa_workgroup_processor_mode 1
		.amdhsa_memory_ordered 1
		.amdhsa_forward_progress 0
		.amdhsa_shared_vgpr_count 0
		.amdhsa_exception_fp_ieee_invalid_op 0
		.amdhsa_exception_fp_denorm_src 0
		.amdhsa_exception_fp_ieee_div_zero 0
		.amdhsa_exception_fp_ieee_overflow 0
		.amdhsa_exception_fp_ieee_underflow 0
		.amdhsa_exception_fp_ieee_inexact 0
		.amdhsa_exception_int_div_zero 0
	.end_amdhsa_kernel
	.section	.text._ZL32rocblas_syrkx_herkx_small_kernelIifLi16ELb1ELb0ELc78ELc85EKPKfKPfEviT_T0_PT6_S5_lS8_S5_lS6_PT7_S5_li,"axG",@progbits,_ZL32rocblas_syrkx_herkx_small_kernelIifLi16ELb1ELb0ELc78ELc85EKPKfKPfEviT_T0_PT6_S5_lS8_S5_lS6_PT7_S5_li,comdat
.Lfunc_end517:
	.size	_ZL32rocblas_syrkx_herkx_small_kernelIifLi16ELb1ELb0ELc78ELc85EKPKfKPfEviT_T0_PT6_S5_lS8_S5_lS6_PT7_S5_li, .Lfunc_end517-_ZL32rocblas_syrkx_herkx_small_kernelIifLi16ELb1ELb0ELc78ELc85EKPKfKPfEviT_T0_PT6_S5_lS8_S5_lS6_PT7_S5_li
                                        ; -- End function
	.section	.AMDGPU.csdata,"",@progbits
; Kernel info:
; codeLenInByte = 912
; NumSgprs: 24
; NumVgprs: 28
; ScratchSize: 0
; MemoryBound: 0
; FloatMode: 240
; IeeeMode: 1
; LDSByteSize: 2048 bytes/workgroup (compile time only)
; SGPRBlocks: 2
; VGPRBlocks: 3
; NumSGPRsForWavesPerEU: 24
; NumVGPRsForWavesPerEU: 28
; Occupancy: 16
; WaveLimiterHint : 1
; COMPUTE_PGM_RSRC2:SCRATCH_EN: 0
; COMPUTE_PGM_RSRC2:USER_SGPR: 13
; COMPUTE_PGM_RSRC2:TRAP_HANDLER: 0
; COMPUTE_PGM_RSRC2:TGID_X_EN: 1
; COMPUTE_PGM_RSRC2:TGID_Y_EN: 1
; COMPUTE_PGM_RSRC2:TGID_Z_EN: 1
; COMPUTE_PGM_RSRC2:TIDIG_COMP_CNT: 1
	.section	.text._ZL32rocblas_syrkx_herkx_small_kernelIifLi16ELb0ELb0ELc84ELc76EKPKfKPfEviT_T0_PT6_S5_lS8_S5_lS6_PT7_S5_li,"axG",@progbits,_ZL32rocblas_syrkx_herkx_small_kernelIifLi16ELb0ELb0ELc84ELc76EKPKfKPfEviT_T0_PT6_S5_lS8_S5_lS6_PT7_S5_li,comdat
	.globl	_ZL32rocblas_syrkx_herkx_small_kernelIifLi16ELb0ELb0ELc84ELc76EKPKfKPfEviT_T0_PT6_S5_lS8_S5_lS6_PT7_S5_li ; -- Begin function _ZL32rocblas_syrkx_herkx_small_kernelIifLi16ELb0ELb0ELc84ELc76EKPKfKPfEviT_T0_PT6_S5_lS8_S5_lS6_PT7_S5_li
	.p2align	8
	.type	_ZL32rocblas_syrkx_herkx_small_kernelIifLi16ELb0ELb0ELc84ELc76EKPKfKPfEviT_T0_PT6_S5_lS8_S5_lS6_PT7_S5_li,@function
_ZL32rocblas_syrkx_herkx_small_kernelIifLi16ELb0ELb0ELc84ELc76EKPKfKPfEviT_T0_PT6_S5_lS8_S5_lS6_PT7_S5_li: ; @_ZL32rocblas_syrkx_herkx_small_kernelIifLi16ELb0ELb0ELc84ELc76EKPKfKPfEviT_T0_PT6_S5_lS8_S5_lS6_PT7_S5_li
; %bb.0:
	s_clause 0x1
	s_load_b64 s[8:9], s[0:1], 0x48
	s_load_b128 s[4:7], s[0:1], 0x0
	s_mov_b32 s10, s15
	s_mov_b32 s11, 0
	v_and_b32_e32 v6, 0x3ff, v0
	s_lshl_b64 s[2:3], s[10:11], 3
	v_bfe_u32 v7, v0, 10, 10
	s_delay_alu instid0(VALU_DEP_2) | instskip(NEXT) | instid1(VALU_DEP_2)
	v_lshl_add_u32 v0, s13, 4, v6
	v_lshl_add_u32 v5, s14, 4, v7
	s_waitcnt lgkmcnt(0)
	s_add_u32 s8, s8, s2
	s_addc_u32 s9, s9, s3
	v_cmp_gt_i32_e32 vcc_lo, s4, v0
	s_load_b64 s[8:9], s[8:9], 0x0
	s_cmp_lt_i32 s5, 1
	s_cbranch_scc1 .LBB518_7
; %bb.1:
	s_clause 0x3
	s_load_b64 s[12:13], s[0:1], 0x28
	s_load_b32 s7, s[0:1], 0x30
	s_load_b32 s10, s[0:1], 0x18
	s_load_b64 s[14:15], s[0:1], 0x10
	v_lshlrev_b32_e32 v9, 6, v7
	v_lshlrev_b32_e32 v8, 2, v6
	;; [unrolled: 1-line block ×3, first 2 shown]
	s_delay_alu instid0(VALU_DEP_3) | instskip(NEXT) | instid1(VALU_DEP_3)
	v_add_nc_u32_e32 v10, 0x400, v9
	v_add_nc_u32_e32 v11, v8, v9
	s_delay_alu instid0(VALU_DEP_2)
	v_dual_mov_b32 v9, 0 :: v_dual_add_nc_u32 v12, v10, v8
	s_waitcnt lgkmcnt(0)
	s_add_u32 s12, s12, s2
	s_addc_u32 s13, s13, s3
	v_mad_i64_i32 v[1:2], null, s7, v5, 0
	s_load_b64 s[12:13], s[12:13], 0x0
	s_add_u32 s2, s14, s2
	s_addc_u32 s3, s15, s3
	v_mad_i64_i32 v[3:4], null, s10, v0, 0
	s_load_b64 s[14:15], s[2:3], 0x0
	s_delay_alu instid0(VALU_DEP_2) | instskip(SKIP_1) | instid1(VALU_DEP_3)
	v_lshlrev_b64 v[1:2], 2, v[1:2]
	v_cmp_gt_i32_e64 s2, s4, v5
	v_lshlrev_b64 v[3:4], 2, v[3:4]
	s_delay_alu instid0(VALU_DEP_3) | instskip(NEXT) | instid1(VALU_DEP_1)
	v_add_co_u32 v1, s3, v1, v8
	v_add_co_ci_u32_e64 v2, s3, 0, v2, s3
	s_delay_alu instid0(VALU_DEP_3) | instskip(NEXT) | instid1(VALU_DEP_1)
	v_add_co_u32 v3, s3, v3, v13
	v_add_co_ci_u32_e64 v4, s3, 0, v4, s3
	s_waitcnt lgkmcnt(0)
	v_add_co_u32 v1, s3, s12, v1
	s_delay_alu instid0(VALU_DEP_1) | instskip(SKIP_1) | instid1(VALU_DEP_1)
	v_add_co_ci_u32_e64 v2, s3, s13, v2, s3
	v_add_co_u32 v3, s3, s14, v3
	v_add_co_ci_u32_e64 v4, s3, s15, v4, s3
	s_branch .LBB518_3
.LBB518_2:                              ;   in Loop: Header=BB518_3 Depth=1
	s_or_b32 exec_lo, exec_lo, s3
	s_waitcnt vmcnt(0)
	ds_store_b32 v12, v14
	s_waitcnt lgkmcnt(0)
	s_barrier
	buffer_gl0_inv
	ds_load_2addr_b32 v[21:22], v8 offset1:16
	ds_load_b128 v[13:16], v10
	ds_load_2addr_b32 v[23:24], v8 offset0:32 offset1:48
	ds_load_b128 v[17:20], v10 offset:16
	ds_load_2addr_b32 v[25:26], v8 offset0:64 offset1:80
	v_add_co_u32 v1, s3, v1, 64
	s_delay_alu instid0(VALU_DEP_1) | instskip(SKIP_1) | instid1(VALU_DEP_1)
	v_add_co_ci_u32_e64 v2, s3, 0, v2, s3
	v_add_co_u32 v3, s3, v3, 64
	v_add_co_ci_u32_e64 v4, s3, 0, v4, s3
	s_add_i32 s11, s11, 16
	s_delay_alu instid0(SALU_CYCLE_1) | instskip(SKIP_2) | instid1(VALU_DEP_1)
	s_cmp_ge_i32 s11, s5
	s_waitcnt lgkmcnt(3)
	v_fmac_f32_e32 v9, v21, v13
	v_fmac_f32_e32 v9, v22, v14
	ds_load_2addr_b32 v[21:22], v8 offset0:96 offset1:112
	s_waitcnt lgkmcnt(3)
	v_fmac_f32_e32 v9, v23, v15
	s_delay_alu instid0(VALU_DEP_1) | instskip(SKIP_4) | instid1(VALU_DEP_1)
	v_fmac_f32_e32 v9, v24, v16
	ds_load_2addr_b32 v[23:24], v8 offset0:128 offset1:144
	ds_load_b128 v[13:16], v10 offset:32
	s_waitcnt lgkmcnt(3)
	v_fmac_f32_e32 v9, v25, v17
	v_fmac_f32_e32 v9, v26, v18
	ds_load_2addr_b32 v[25:26], v8 offset0:160 offset1:176
	s_waitcnt lgkmcnt(3)
	v_fmac_f32_e32 v9, v21, v19
	s_delay_alu instid0(VALU_DEP_1) | instskip(SKIP_4) | instid1(VALU_DEP_1)
	v_fmac_f32_e32 v9, v22, v20
	ds_load_b128 v[17:20], v10 offset:48
	ds_load_2addr_b32 v[21:22], v8 offset0:192 offset1:208
	s_waitcnt lgkmcnt(3)
	v_fmac_f32_e32 v9, v23, v13
	v_fmac_f32_e32 v9, v24, v14
	ds_load_2addr_b32 v[13:14], v8 offset0:224 offset1:240
	s_waitcnt lgkmcnt(0)
	s_barrier
	buffer_gl0_inv
	v_fmac_f32_e32 v9, v25, v15
	s_delay_alu instid0(VALU_DEP_1) | instskip(NEXT) | instid1(VALU_DEP_1)
	v_fmac_f32_e32 v9, v26, v16
	v_fmac_f32_e32 v9, v21, v17
	s_delay_alu instid0(VALU_DEP_1) | instskip(NEXT) | instid1(VALU_DEP_1)
	v_fmac_f32_e32 v9, v22, v18
	v_fmac_f32_e32 v9, v13, v19
	s_delay_alu instid0(VALU_DEP_1)
	v_fmac_f32_e32 v9, v14, v20
	s_cbranch_scc1 .LBB518_8
.LBB518_3:                              ; =>This Inner Loop Header: Depth=1
	v_add_nc_u32_e32 v13, s11, v7
	s_delay_alu instid0(VALU_DEP_1) | instskip(SKIP_1) | instid1(VALU_DEP_2)
	v_cmp_gt_i32_e64 s3, s5, v13
	v_mov_b32_e32 v13, 0
	s_and_b32 s7, vcc_lo, s3
	s_delay_alu instid0(SALU_CYCLE_1)
	s_and_saveexec_b32 s3, s7
	s_cbranch_execz .LBB518_5
; %bb.4:                                ;   in Loop: Header=BB518_3 Depth=1
	global_load_b32 v13, v[3:4], off
.LBB518_5:                              ;   in Loop: Header=BB518_3 Depth=1
	s_or_b32 exec_lo, exec_lo, s3
	v_add_nc_u32_e32 v14, s11, v6
	s_waitcnt vmcnt(0)
	ds_store_b32 v11, v13
	v_cmp_gt_i32_e64 s3, s5, v14
	v_mov_b32_e32 v14, 0
	s_delay_alu instid0(VALU_DEP_2) | instskip(NEXT) | instid1(SALU_CYCLE_1)
	s_and_b32 s7, s2, s3
	s_and_saveexec_b32 s3, s7
	s_cbranch_execz .LBB518_2
; %bb.6:                                ;   in Loop: Header=BB518_3 Depth=1
	global_load_b32 v14, v[1:2], off
	s_branch .LBB518_2
.LBB518_7:
	v_mov_b32_e32 v9, 0
.LBB518_8:
	v_cmp_le_i32_e32 vcc_lo, v5, v0
	v_cmp_gt_i32_e64 s2, s4, v0
	s_delay_alu instid0(VALU_DEP_1) | instskip(NEXT) | instid1(SALU_CYCLE_1)
	s_and_b32 s2, vcc_lo, s2
	s_and_saveexec_b32 s3, s2
	s_cbranch_execz .LBB518_10
; %bb.9:
	s_load_b32 s2, s[0:1], 0x50
	v_ashrrev_i32_e32 v1, 31, v0
	s_load_b32 s0, s[0:1], 0x40
	s_delay_alu instid0(VALU_DEP_1) | instskip(SKIP_2) | instid1(VALU_DEP_1)
	v_lshlrev_b64 v[0:1], 2, v[0:1]
	s_waitcnt lgkmcnt(0)
	v_mad_i64_i32 v[2:3], null, s2, v5, 0
	v_lshlrev_b64 v[2:3], 2, v[2:3]
	s_delay_alu instid0(VALU_DEP_1) | instskip(NEXT) | instid1(VALU_DEP_2)
	v_add_co_u32 v2, vcc_lo, s8, v2
	v_add_co_ci_u32_e32 v3, vcc_lo, s9, v3, vcc_lo
	s_delay_alu instid0(VALU_DEP_2) | instskip(NEXT) | instid1(VALU_DEP_2)
	v_add_co_u32 v0, vcc_lo, v2, v0
	v_add_co_ci_u32_e32 v1, vcc_lo, v3, v1, vcc_lo
	global_load_b32 v2, v[0:1], off
	s_waitcnt vmcnt(0)
	v_mul_f32_e32 v2, s0, v2
	s_delay_alu instid0(VALU_DEP_1)
	v_fmac_f32_e32 v2, s6, v9
	global_store_b32 v[0:1], v2, off
.LBB518_10:
	s_nop 0
	s_sendmsg sendmsg(MSG_DEALLOC_VGPRS)
	s_endpgm
	.section	.rodata,"a",@progbits
	.p2align	6, 0x0
	.amdhsa_kernel _ZL32rocblas_syrkx_herkx_small_kernelIifLi16ELb0ELb0ELc84ELc76EKPKfKPfEviT_T0_PT6_S5_lS8_S5_lS6_PT7_S5_li
		.amdhsa_group_segment_fixed_size 2048
		.amdhsa_private_segment_fixed_size 0
		.amdhsa_kernarg_size 100
		.amdhsa_user_sgpr_count 13
		.amdhsa_user_sgpr_dispatch_ptr 0
		.amdhsa_user_sgpr_queue_ptr 0
		.amdhsa_user_sgpr_kernarg_segment_ptr 1
		.amdhsa_user_sgpr_dispatch_id 0
		.amdhsa_user_sgpr_private_segment_size 0
		.amdhsa_wavefront_size32 1
		.amdhsa_uses_dynamic_stack 0
		.amdhsa_enable_private_segment 0
		.amdhsa_system_sgpr_workgroup_id_x 1
		.amdhsa_system_sgpr_workgroup_id_y 1
		.amdhsa_system_sgpr_workgroup_id_z 1
		.amdhsa_system_sgpr_workgroup_info 0
		.amdhsa_system_vgpr_workitem_id 1
		.amdhsa_next_free_vgpr 27
		.amdhsa_next_free_sgpr 16
		.amdhsa_reserve_vcc 1
		.amdhsa_float_round_mode_32 0
		.amdhsa_float_round_mode_16_64 0
		.amdhsa_float_denorm_mode_32 3
		.amdhsa_float_denorm_mode_16_64 3
		.amdhsa_dx10_clamp 1
		.amdhsa_ieee_mode 1
		.amdhsa_fp16_overflow 0
		.amdhsa_workgroup_processor_mode 1
		.amdhsa_memory_ordered 1
		.amdhsa_forward_progress 0
		.amdhsa_shared_vgpr_count 0
		.amdhsa_exception_fp_ieee_invalid_op 0
		.amdhsa_exception_fp_denorm_src 0
		.amdhsa_exception_fp_ieee_div_zero 0
		.amdhsa_exception_fp_ieee_overflow 0
		.amdhsa_exception_fp_ieee_underflow 0
		.amdhsa_exception_fp_ieee_inexact 0
		.amdhsa_exception_int_div_zero 0
	.end_amdhsa_kernel
	.section	.text._ZL32rocblas_syrkx_herkx_small_kernelIifLi16ELb0ELb0ELc84ELc76EKPKfKPfEviT_T0_PT6_S5_lS8_S5_lS6_PT7_S5_li,"axG",@progbits,_ZL32rocblas_syrkx_herkx_small_kernelIifLi16ELb0ELb0ELc84ELc76EKPKfKPfEviT_T0_PT6_S5_lS8_S5_lS6_PT7_S5_li,comdat
.Lfunc_end518:
	.size	_ZL32rocblas_syrkx_herkx_small_kernelIifLi16ELb0ELb0ELc84ELc76EKPKfKPfEviT_T0_PT6_S5_lS8_S5_lS6_PT7_S5_li, .Lfunc_end518-_ZL32rocblas_syrkx_herkx_small_kernelIifLi16ELb0ELb0ELc84ELc76EKPKfKPfEviT_T0_PT6_S5_lS8_S5_lS6_PT7_S5_li
                                        ; -- End function
	.section	.AMDGPU.csdata,"",@progbits
; Kernel info:
; codeLenInByte = 904
; NumSgprs: 18
; NumVgprs: 27
; ScratchSize: 0
; MemoryBound: 0
; FloatMode: 240
; IeeeMode: 1
; LDSByteSize: 2048 bytes/workgroup (compile time only)
; SGPRBlocks: 2
; VGPRBlocks: 3
; NumSGPRsForWavesPerEU: 18
; NumVGPRsForWavesPerEU: 27
; Occupancy: 16
; WaveLimiterHint : 1
; COMPUTE_PGM_RSRC2:SCRATCH_EN: 0
; COMPUTE_PGM_RSRC2:USER_SGPR: 13
; COMPUTE_PGM_RSRC2:TRAP_HANDLER: 0
; COMPUTE_PGM_RSRC2:TGID_X_EN: 1
; COMPUTE_PGM_RSRC2:TGID_Y_EN: 1
; COMPUTE_PGM_RSRC2:TGID_Z_EN: 1
; COMPUTE_PGM_RSRC2:TIDIG_COMP_CNT: 1
	.section	.text._ZL32rocblas_syrkx_herkx_small_kernelIifLi16ELb0ELb0ELc67ELc76EKPKfKPfEviT_T0_PT6_S5_lS8_S5_lS6_PT7_S5_li,"axG",@progbits,_ZL32rocblas_syrkx_herkx_small_kernelIifLi16ELb0ELb0ELc67ELc76EKPKfKPfEviT_T0_PT6_S5_lS8_S5_lS6_PT7_S5_li,comdat
	.globl	_ZL32rocblas_syrkx_herkx_small_kernelIifLi16ELb0ELb0ELc67ELc76EKPKfKPfEviT_T0_PT6_S5_lS8_S5_lS6_PT7_S5_li ; -- Begin function _ZL32rocblas_syrkx_herkx_small_kernelIifLi16ELb0ELb0ELc67ELc76EKPKfKPfEviT_T0_PT6_S5_lS8_S5_lS6_PT7_S5_li
	.p2align	8
	.type	_ZL32rocblas_syrkx_herkx_small_kernelIifLi16ELb0ELb0ELc67ELc76EKPKfKPfEviT_T0_PT6_S5_lS8_S5_lS6_PT7_S5_li,@function
_ZL32rocblas_syrkx_herkx_small_kernelIifLi16ELb0ELb0ELc67ELc76EKPKfKPfEviT_T0_PT6_S5_lS8_S5_lS6_PT7_S5_li: ; @_ZL32rocblas_syrkx_herkx_small_kernelIifLi16ELb0ELb0ELc67ELc76EKPKfKPfEviT_T0_PT6_S5_lS8_S5_lS6_PT7_S5_li
; %bb.0:
	s_clause 0x1
	s_load_b64 s[8:9], s[0:1], 0x48
	s_load_b128 s[4:7], s[0:1], 0x0
	s_mov_b32 s10, s15
	s_mov_b32 s11, 0
	v_and_b32_e32 v6, 0x3ff, v0
	s_lshl_b64 s[2:3], s[10:11], 3
	v_bfe_u32 v7, v0, 10, 10
	s_delay_alu instid0(VALU_DEP_2) | instskip(NEXT) | instid1(VALU_DEP_2)
	v_lshl_add_u32 v0, s13, 4, v6
	v_lshl_add_u32 v5, s14, 4, v7
	s_waitcnt lgkmcnt(0)
	s_add_u32 s8, s8, s2
	s_addc_u32 s9, s9, s3
	v_cmp_gt_i32_e32 vcc_lo, s4, v0
	s_load_b64 s[8:9], s[8:9], 0x0
	s_cmp_lt_i32 s5, 1
	s_cbranch_scc1 .LBB519_7
; %bb.1:
	s_clause 0x3
	s_load_b64 s[12:13], s[0:1], 0x28
	s_load_b32 s7, s[0:1], 0x30
	s_load_b32 s10, s[0:1], 0x18
	s_load_b64 s[14:15], s[0:1], 0x10
	v_lshlrev_b32_e32 v9, 6, v7
	v_lshlrev_b32_e32 v8, 2, v6
	;; [unrolled: 1-line block ×3, first 2 shown]
	s_delay_alu instid0(VALU_DEP_3) | instskip(NEXT) | instid1(VALU_DEP_3)
	v_add_nc_u32_e32 v10, 0x400, v9
	v_add_nc_u32_e32 v11, v8, v9
	s_delay_alu instid0(VALU_DEP_2)
	v_dual_mov_b32 v9, 0 :: v_dual_add_nc_u32 v12, v10, v8
	s_waitcnt lgkmcnt(0)
	s_add_u32 s12, s12, s2
	s_addc_u32 s13, s13, s3
	v_mad_i64_i32 v[1:2], null, s7, v5, 0
	s_load_b64 s[12:13], s[12:13], 0x0
	s_add_u32 s2, s14, s2
	s_addc_u32 s3, s15, s3
	v_mad_i64_i32 v[3:4], null, s10, v0, 0
	s_load_b64 s[14:15], s[2:3], 0x0
	s_delay_alu instid0(VALU_DEP_2) | instskip(SKIP_1) | instid1(VALU_DEP_3)
	v_lshlrev_b64 v[1:2], 2, v[1:2]
	v_cmp_gt_i32_e64 s2, s4, v5
	v_lshlrev_b64 v[3:4], 2, v[3:4]
	s_delay_alu instid0(VALU_DEP_3) | instskip(NEXT) | instid1(VALU_DEP_1)
	v_add_co_u32 v1, s3, v1, v8
	v_add_co_ci_u32_e64 v2, s3, 0, v2, s3
	s_delay_alu instid0(VALU_DEP_3) | instskip(NEXT) | instid1(VALU_DEP_1)
	v_add_co_u32 v3, s3, v3, v13
	v_add_co_ci_u32_e64 v4, s3, 0, v4, s3
	s_waitcnt lgkmcnt(0)
	v_add_co_u32 v1, s3, s12, v1
	s_delay_alu instid0(VALU_DEP_1) | instskip(SKIP_1) | instid1(VALU_DEP_1)
	v_add_co_ci_u32_e64 v2, s3, s13, v2, s3
	v_add_co_u32 v3, s3, s14, v3
	v_add_co_ci_u32_e64 v4, s3, s15, v4, s3
	s_branch .LBB519_3
.LBB519_2:                              ;   in Loop: Header=BB519_3 Depth=1
	s_or_b32 exec_lo, exec_lo, s3
	s_waitcnt vmcnt(0)
	ds_store_b32 v12, v14
	s_waitcnt lgkmcnt(0)
	s_barrier
	buffer_gl0_inv
	ds_load_2addr_b32 v[21:22], v8 offset1:16
	ds_load_b128 v[13:16], v10
	ds_load_2addr_b32 v[23:24], v8 offset0:32 offset1:48
	ds_load_b128 v[17:20], v10 offset:16
	ds_load_2addr_b32 v[25:26], v8 offset0:64 offset1:80
	v_add_co_u32 v1, s3, v1, 64
	s_delay_alu instid0(VALU_DEP_1) | instskip(SKIP_1) | instid1(VALU_DEP_1)
	v_add_co_ci_u32_e64 v2, s3, 0, v2, s3
	v_add_co_u32 v3, s3, v3, 64
	v_add_co_ci_u32_e64 v4, s3, 0, v4, s3
	s_add_i32 s11, s11, 16
	s_delay_alu instid0(SALU_CYCLE_1) | instskip(SKIP_2) | instid1(VALU_DEP_1)
	s_cmp_ge_i32 s11, s5
	s_waitcnt lgkmcnt(3)
	v_fmac_f32_e32 v9, v21, v13
	v_fmac_f32_e32 v9, v22, v14
	ds_load_2addr_b32 v[21:22], v8 offset0:96 offset1:112
	s_waitcnt lgkmcnt(3)
	v_fmac_f32_e32 v9, v23, v15
	s_delay_alu instid0(VALU_DEP_1) | instskip(SKIP_4) | instid1(VALU_DEP_1)
	v_fmac_f32_e32 v9, v24, v16
	ds_load_2addr_b32 v[23:24], v8 offset0:128 offset1:144
	ds_load_b128 v[13:16], v10 offset:32
	s_waitcnt lgkmcnt(3)
	v_fmac_f32_e32 v9, v25, v17
	v_fmac_f32_e32 v9, v26, v18
	ds_load_2addr_b32 v[25:26], v8 offset0:160 offset1:176
	s_waitcnt lgkmcnt(3)
	v_fmac_f32_e32 v9, v21, v19
	s_delay_alu instid0(VALU_DEP_1) | instskip(SKIP_4) | instid1(VALU_DEP_1)
	v_fmac_f32_e32 v9, v22, v20
	ds_load_b128 v[17:20], v10 offset:48
	ds_load_2addr_b32 v[21:22], v8 offset0:192 offset1:208
	s_waitcnt lgkmcnt(3)
	v_fmac_f32_e32 v9, v23, v13
	v_fmac_f32_e32 v9, v24, v14
	ds_load_2addr_b32 v[13:14], v8 offset0:224 offset1:240
	s_waitcnt lgkmcnt(0)
	s_barrier
	buffer_gl0_inv
	v_fmac_f32_e32 v9, v25, v15
	s_delay_alu instid0(VALU_DEP_1) | instskip(NEXT) | instid1(VALU_DEP_1)
	v_fmac_f32_e32 v9, v26, v16
	v_fmac_f32_e32 v9, v21, v17
	s_delay_alu instid0(VALU_DEP_1) | instskip(NEXT) | instid1(VALU_DEP_1)
	v_fmac_f32_e32 v9, v22, v18
	v_fmac_f32_e32 v9, v13, v19
	s_delay_alu instid0(VALU_DEP_1)
	v_fmac_f32_e32 v9, v14, v20
	s_cbranch_scc1 .LBB519_8
.LBB519_3:                              ; =>This Inner Loop Header: Depth=1
	v_add_nc_u32_e32 v13, s11, v7
	s_delay_alu instid0(VALU_DEP_1) | instskip(SKIP_1) | instid1(VALU_DEP_2)
	v_cmp_gt_i32_e64 s3, s5, v13
	v_mov_b32_e32 v13, 0
	s_and_b32 s7, vcc_lo, s3
	s_delay_alu instid0(SALU_CYCLE_1)
	s_and_saveexec_b32 s3, s7
	s_cbranch_execz .LBB519_5
; %bb.4:                                ;   in Loop: Header=BB519_3 Depth=1
	global_load_b32 v13, v[3:4], off
.LBB519_5:                              ;   in Loop: Header=BB519_3 Depth=1
	s_or_b32 exec_lo, exec_lo, s3
	v_add_nc_u32_e32 v14, s11, v6
	s_waitcnt vmcnt(0)
	ds_store_b32 v11, v13
	v_cmp_gt_i32_e64 s3, s5, v14
	v_mov_b32_e32 v14, 0
	s_delay_alu instid0(VALU_DEP_2) | instskip(NEXT) | instid1(SALU_CYCLE_1)
	s_and_b32 s7, s2, s3
	s_and_saveexec_b32 s3, s7
	s_cbranch_execz .LBB519_2
; %bb.6:                                ;   in Loop: Header=BB519_3 Depth=1
	global_load_b32 v14, v[1:2], off
	s_branch .LBB519_2
.LBB519_7:
	v_mov_b32_e32 v9, 0
.LBB519_8:
	v_cmp_le_i32_e32 vcc_lo, v5, v0
	v_cmp_gt_i32_e64 s2, s4, v0
	s_delay_alu instid0(VALU_DEP_1) | instskip(NEXT) | instid1(SALU_CYCLE_1)
	s_and_b32 s2, vcc_lo, s2
	s_and_saveexec_b32 s3, s2
	s_cbranch_execz .LBB519_10
; %bb.9:
	s_load_b32 s2, s[0:1], 0x50
	v_ashrrev_i32_e32 v1, 31, v0
	s_load_b32 s0, s[0:1], 0x40
	s_delay_alu instid0(VALU_DEP_1) | instskip(SKIP_2) | instid1(VALU_DEP_1)
	v_lshlrev_b64 v[0:1], 2, v[0:1]
	s_waitcnt lgkmcnt(0)
	v_mad_i64_i32 v[2:3], null, s2, v5, 0
	v_lshlrev_b64 v[2:3], 2, v[2:3]
	s_delay_alu instid0(VALU_DEP_1) | instskip(NEXT) | instid1(VALU_DEP_2)
	v_add_co_u32 v2, vcc_lo, s8, v2
	v_add_co_ci_u32_e32 v3, vcc_lo, s9, v3, vcc_lo
	s_delay_alu instid0(VALU_DEP_2) | instskip(NEXT) | instid1(VALU_DEP_2)
	v_add_co_u32 v0, vcc_lo, v2, v0
	v_add_co_ci_u32_e32 v1, vcc_lo, v3, v1, vcc_lo
	global_load_b32 v2, v[0:1], off
	s_waitcnt vmcnt(0)
	v_mul_f32_e32 v2, s0, v2
	s_delay_alu instid0(VALU_DEP_1)
	v_fmac_f32_e32 v2, s6, v9
	global_store_b32 v[0:1], v2, off
.LBB519_10:
	s_nop 0
	s_sendmsg sendmsg(MSG_DEALLOC_VGPRS)
	s_endpgm
	.section	.rodata,"a",@progbits
	.p2align	6, 0x0
	.amdhsa_kernel _ZL32rocblas_syrkx_herkx_small_kernelIifLi16ELb0ELb0ELc67ELc76EKPKfKPfEviT_T0_PT6_S5_lS8_S5_lS6_PT7_S5_li
		.amdhsa_group_segment_fixed_size 2048
		.amdhsa_private_segment_fixed_size 0
		.amdhsa_kernarg_size 100
		.amdhsa_user_sgpr_count 13
		.amdhsa_user_sgpr_dispatch_ptr 0
		.amdhsa_user_sgpr_queue_ptr 0
		.amdhsa_user_sgpr_kernarg_segment_ptr 1
		.amdhsa_user_sgpr_dispatch_id 0
		.amdhsa_user_sgpr_private_segment_size 0
		.amdhsa_wavefront_size32 1
		.amdhsa_uses_dynamic_stack 0
		.amdhsa_enable_private_segment 0
		.amdhsa_system_sgpr_workgroup_id_x 1
		.amdhsa_system_sgpr_workgroup_id_y 1
		.amdhsa_system_sgpr_workgroup_id_z 1
		.amdhsa_system_sgpr_workgroup_info 0
		.amdhsa_system_vgpr_workitem_id 1
		.amdhsa_next_free_vgpr 27
		.amdhsa_next_free_sgpr 16
		.amdhsa_reserve_vcc 1
		.amdhsa_float_round_mode_32 0
		.amdhsa_float_round_mode_16_64 0
		.amdhsa_float_denorm_mode_32 3
		.amdhsa_float_denorm_mode_16_64 3
		.amdhsa_dx10_clamp 1
		.amdhsa_ieee_mode 1
		.amdhsa_fp16_overflow 0
		.amdhsa_workgroup_processor_mode 1
		.amdhsa_memory_ordered 1
		.amdhsa_forward_progress 0
		.amdhsa_shared_vgpr_count 0
		.amdhsa_exception_fp_ieee_invalid_op 0
		.amdhsa_exception_fp_denorm_src 0
		.amdhsa_exception_fp_ieee_div_zero 0
		.amdhsa_exception_fp_ieee_overflow 0
		.amdhsa_exception_fp_ieee_underflow 0
		.amdhsa_exception_fp_ieee_inexact 0
		.amdhsa_exception_int_div_zero 0
	.end_amdhsa_kernel
	.section	.text._ZL32rocblas_syrkx_herkx_small_kernelIifLi16ELb0ELb0ELc67ELc76EKPKfKPfEviT_T0_PT6_S5_lS8_S5_lS6_PT7_S5_li,"axG",@progbits,_ZL32rocblas_syrkx_herkx_small_kernelIifLi16ELb0ELb0ELc67ELc76EKPKfKPfEviT_T0_PT6_S5_lS8_S5_lS6_PT7_S5_li,comdat
.Lfunc_end519:
	.size	_ZL32rocblas_syrkx_herkx_small_kernelIifLi16ELb0ELb0ELc67ELc76EKPKfKPfEviT_T0_PT6_S5_lS8_S5_lS6_PT7_S5_li, .Lfunc_end519-_ZL32rocblas_syrkx_herkx_small_kernelIifLi16ELb0ELb0ELc67ELc76EKPKfKPfEviT_T0_PT6_S5_lS8_S5_lS6_PT7_S5_li
                                        ; -- End function
	.section	.AMDGPU.csdata,"",@progbits
; Kernel info:
; codeLenInByte = 904
; NumSgprs: 18
; NumVgprs: 27
; ScratchSize: 0
; MemoryBound: 0
; FloatMode: 240
; IeeeMode: 1
; LDSByteSize: 2048 bytes/workgroup (compile time only)
; SGPRBlocks: 2
; VGPRBlocks: 3
; NumSGPRsForWavesPerEU: 18
; NumVGPRsForWavesPerEU: 27
; Occupancy: 16
; WaveLimiterHint : 1
; COMPUTE_PGM_RSRC2:SCRATCH_EN: 0
; COMPUTE_PGM_RSRC2:USER_SGPR: 13
; COMPUTE_PGM_RSRC2:TRAP_HANDLER: 0
; COMPUTE_PGM_RSRC2:TGID_X_EN: 1
; COMPUTE_PGM_RSRC2:TGID_Y_EN: 1
; COMPUTE_PGM_RSRC2:TGID_Z_EN: 1
; COMPUTE_PGM_RSRC2:TIDIG_COMP_CNT: 1
	.section	.text._ZL32rocblas_syrkx_herkx_small_kernelIifLi16ELb0ELb0ELc78ELc76EKPKfKPfEviT_T0_PT6_S5_lS8_S5_lS6_PT7_S5_li,"axG",@progbits,_ZL32rocblas_syrkx_herkx_small_kernelIifLi16ELb0ELb0ELc78ELc76EKPKfKPfEviT_T0_PT6_S5_lS8_S5_lS6_PT7_S5_li,comdat
	.globl	_ZL32rocblas_syrkx_herkx_small_kernelIifLi16ELb0ELb0ELc78ELc76EKPKfKPfEviT_T0_PT6_S5_lS8_S5_lS6_PT7_S5_li ; -- Begin function _ZL32rocblas_syrkx_herkx_small_kernelIifLi16ELb0ELb0ELc78ELc76EKPKfKPfEviT_T0_PT6_S5_lS8_S5_lS6_PT7_S5_li
	.p2align	8
	.type	_ZL32rocblas_syrkx_herkx_small_kernelIifLi16ELb0ELb0ELc78ELc76EKPKfKPfEviT_T0_PT6_S5_lS8_S5_lS6_PT7_S5_li,@function
_ZL32rocblas_syrkx_herkx_small_kernelIifLi16ELb0ELb0ELc78ELc76EKPKfKPfEviT_T0_PT6_S5_lS8_S5_lS6_PT7_S5_li: ; @_ZL32rocblas_syrkx_herkx_small_kernelIifLi16ELb0ELb0ELc78ELc76EKPKfKPfEviT_T0_PT6_S5_lS8_S5_lS6_PT7_S5_li
; %bb.0:
	s_clause 0x1
	s_load_b64 s[2:3], s[0:1], 0x48
	s_load_b128 s[4:7], s[0:1], 0x0
	s_mov_b32 s10, s15
	s_mov_b32 s11, 0
	v_and_b32_e32 v7, 0x3ff, v0
	s_lshl_b64 s[16:17], s[10:11], 3
	v_bfe_u32 v8, v0, 10, 10
	s_delay_alu instid0(VALU_DEP_2) | instskip(NEXT) | instid1(VALU_DEP_2)
	v_lshl_add_u32 v0, s13, 4, v7
	v_lshl_add_u32 v2, s14, 4, v8
	s_delay_alu instid0(VALU_DEP_2)
	v_ashrrev_i32_e32 v1, 31, v0
	s_waitcnt lgkmcnt(0)
	s_add_u32 s2, s2, s16
	s_addc_u32 s3, s3, s17
	v_cmp_gt_i32_e32 vcc_lo, s4, v0
	s_load_b64 s[8:9], s[2:3], 0x0
	s_cmp_lt_i32 s5, 1
	s_cbranch_scc1 .LBB520_7
; %bb.1:
	s_clause 0x3
	s_load_b32 s14, s[0:1], 0x18
	s_load_b32 s12, s[0:1], 0x30
	s_load_b64 s[18:19], s[0:1], 0x28
	s_load_b64 s[20:21], s[0:1], 0x10
	v_ashrrev_i32_e32 v3, 31, v2
	v_lshlrev_b32_e32 v10, 6, v8
	v_lshlrev_b32_e32 v9, 2, v7
	v_cmp_gt_i32_e64 s2, s4, v2
	s_delay_alu instid0(VALU_DEP_4) | instskip(NEXT) | instid1(VALU_DEP_4)
	v_lshlrev_b64 v[16:17], 2, v[2:3]
	v_add_nc_u32_e32 v11, 0x400, v10
	s_delay_alu instid0(VALU_DEP_4) | instskip(NEXT) | instid1(VALU_DEP_2)
	v_add_nc_u32_e32 v12, v9, v10
	v_dual_mov_b32 v10, 0 :: v_dual_add_nc_u32 v13, v11, v9
	s_waitcnt lgkmcnt(0)
	s_ashr_i32 s15, s14, 31
	s_ashr_i32 s13, s12, 31
	s_add_u32 s18, s18, s16
	s_addc_u32 s19, s19, s17
	v_mad_i64_i32 v[4:5], null, s12, v7, 0
	s_load_b64 s[18:19], s[18:19], 0x0
	s_add_u32 s16, s20, s16
	s_addc_u32 s17, s21, s17
	v_mad_i64_i32 v[14:15], null, s14, v8, 0
	s_load_b64 s[16:17], s[16:17], 0x0
	s_delay_alu instid0(VALU_DEP_2) | instskip(SKIP_3) | instid1(VALU_DEP_3)
	v_lshlrev_b64 v[3:4], 2, v[4:5]
	v_lshlrev_b64 v[5:6], 2, v[0:1]
	s_lshl_b64 s[12:13], s[12:13], 6
	s_lshl_b64 s[14:15], s[14:15], 6
	v_lshlrev_b64 v[14:15], 2, v[14:15]
	s_delay_alu instid0(VALU_DEP_3) | instskip(NEXT) | instid1(VALU_DEP_1)
	v_add_co_u32 v3, s3, v3, v16
	v_add_co_ci_u32_e64 v4, s3, v4, v17, s3
	s_delay_alu instid0(VALU_DEP_3) | instskip(NEXT) | instid1(VALU_DEP_1)
	v_add_co_u32 v5, s3, v14, v5
	v_add_co_ci_u32_e64 v6, s3, v15, v6, s3
	s_waitcnt lgkmcnt(0)
	v_add_co_u32 v3, s3, s18, v3
	s_delay_alu instid0(VALU_DEP_1) | instskip(SKIP_1) | instid1(VALU_DEP_1)
	v_add_co_ci_u32_e64 v4, s3, s19, v4, s3
	v_add_co_u32 v5, s3, s16, v5
	v_add_co_ci_u32_e64 v6, s3, s17, v6, s3
	s_branch .LBB520_3
.LBB520_2:                              ;   in Loop: Header=BB520_3 Depth=1
	s_or_b32 exec_lo, exec_lo, s3
	s_waitcnt vmcnt(0)
	ds_store_b32 v13, v15
	s_waitcnt lgkmcnt(0)
	s_barrier
	buffer_gl0_inv
	ds_load_2addr_b32 v[22:23], v9 offset1:16
	ds_load_b128 v[14:17], v11
	ds_load_2addr_b32 v[24:25], v9 offset0:32 offset1:48
	ds_load_b128 v[18:21], v11 offset:16
	ds_load_2addr_b32 v[26:27], v9 offset0:64 offset1:80
	v_add_co_u32 v3, s3, v3, s12
	s_delay_alu instid0(VALU_DEP_1) | instskip(SKIP_1) | instid1(VALU_DEP_1)
	v_add_co_ci_u32_e64 v4, s3, s13, v4, s3
	v_add_co_u32 v5, s3, v5, s14
	v_add_co_ci_u32_e64 v6, s3, s15, v6, s3
	s_add_i32 s11, s11, 16
	s_delay_alu instid0(SALU_CYCLE_1) | instskip(SKIP_2) | instid1(VALU_DEP_1)
	s_cmp_ge_i32 s11, s5
	s_waitcnt lgkmcnt(3)
	v_fmac_f32_e32 v10, v22, v14
	v_fmac_f32_e32 v10, v23, v15
	ds_load_2addr_b32 v[22:23], v9 offset0:96 offset1:112
	s_waitcnt lgkmcnt(3)
	v_fmac_f32_e32 v10, v24, v16
	s_delay_alu instid0(VALU_DEP_1) | instskip(SKIP_4) | instid1(VALU_DEP_1)
	v_fmac_f32_e32 v10, v25, v17
	ds_load_2addr_b32 v[24:25], v9 offset0:128 offset1:144
	ds_load_b128 v[14:17], v11 offset:32
	s_waitcnt lgkmcnt(3)
	v_fmac_f32_e32 v10, v26, v18
	v_fmac_f32_e32 v10, v27, v19
	ds_load_2addr_b32 v[26:27], v9 offset0:160 offset1:176
	s_waitcnt lgkmcnt(3)
	v_fmac_f32_e32 v10, v22, v20
	s_delay_alu instid0(VALU_DEP_1) | instskip(SKIP_4) | instid1(VALU_DEP_1)
	v_fmac_f32_e32 v10, v23, v21
	ds_load_b128 v[18:21], v11 offset:48
	ds_load_2addr_b32 v[22:23], v9 offset0:192 offset1:208
	s_waitcnt lgkmcnt(3)
	v_fmac_f32_e32 v10, v24, v14
	v_fmac_f32_e32 v10, v25, v15
	ds_load_2addr_b32 v[14:15], v9 offset0:224 offset1:240
	s_waitcnt lgkmcnt(0)
	s_barrier
	buffer_gl0_inv
	v_fmac_f32_e32 v10, v26, v16
	s_delay_alu instid0(VALU_DEP_1) | instskip(NEXT) | instid1(VALU_DEP_1)
	v_fmac_f32_e32 v10, v27, v17
	v_fmac_f32_e32 v10, v22, v18
	s_delay_alu instid0(VALU_DEP_1) | instskip(NEXT) | instid1(VALU_DEP_1)
	v_fmac_f32_e32 v10, v23, v19
	v_fmac_f32_e32 v10, v14, v20
	s_delay_alu instid0(VALU_DEP_1)
	v_fmac_f32_e32 v10, v15, v21
	s_cbranch_scc1 .LBB520_8
.LBB520_3:                              ; =>This Inner Loop Header: Depth=1
	v_add_nc_u32_e32 v14, s11, v8
	s_delay_alu instid0(VALU_DEP_1) | instskip(SKIP_1) | instid1(VALU_DEP_2)
	v_cmp_gt_i32_e64 s3, s5, v14
	v_mov_b32_e32 v14, 0
	s_and_b32 s7, vcc_lo, s3
	s_delay_alu instid0(SALU_CYCLE_1)
	s_and_saveexec_b32 s3, s7
	s_cbranch_execz .LBB520_5
; %bb.4:                                ;   in Loop: Header=BB520_3 Depth=1
	global_load_b32 v14, v[5:6], off
.LBB520_5:                              ;   in Loop: Header=BB520_3 Depth=1
	s_or_b32 exec_lo, exec_lo, s3
	v_add_nc_u32_e32 v15, s11, v7
	s_waitcnt vmcnt(0)
	ds_store_b32 v12, v14
	v_cmp_gt_i32_e64 s3, s5, v15
	v_mov_b32_e32 v15, 0
	s_delay_alu instid0(VALU_DEP_2) | instskip(NEXT) | instid1(SALU_CYCLE_1)
	s_and_b32 s7, s2, s3
	s_and_saveexec_b32 s3, s7
	s_cbranch_execz .LBB520_2
; %bb.6:                                ;   in Loop: Header=BB520_3 Depth=1
	global_load_b32 v15, v[3:4], off
	s_branch .LBB520_2
.LBB520_7:
	v_mov_b32_e32 v10, 0
.LBB520_8:
	v_cmp_le_i32_e32 vcc_lo, v2, v0
	v_cmp_gt_i32_e64 s2, s4, v0
	s_delay_alu instid0(VALU_DEP_1) | instskip(NEXT) | instid1(SALU_CYCLE_1)
	s_and_b32 s2, vcc_lo, s2
	s_and_saveexec_b32 s3, s2
	s_cbranch_execz .LBB520_10
; %bb.9:
	s_load_b32 s2, s[0:1], 0x50
	v_lshlrev_b64 v[0:1], 2, v[0:1]
	s_load_b32 s0, s[0:1], 0x40
	s_waitcnt lgkmcnt(0)
	v_mad_i64_i32 v[3:4], null, s2, v2, 0
	s_delay_alu instid0(VALU_DEP_1) | instskip(NEXT) | instid1(VALU_DEP_1)
	v_lshlrev_b64 v[2:3], 2, v[3:4]
	v_add_co_u32 v2, vcc_lo, s8, v2
	s_delay_alu instid0(VALU_DEP_2) | instskip(NEXT) | instid1(VALU_DEP_2)
	v_add_co_ci_u32_e32 v3, vcc_lo, s9, v3, vcc_lo
	v_add_co_u32 v0, vcc_lo, v2, v0
	s_delay_alu instid0(VALU_DEP_2) | instskip(SKIP_3) | instid1(VALU_DEP_1)
	v_add_co_ci_u32_e32 v1, vcc_lo, v3, v1, vcc_lo
	global_load_b32 v2, v[0:1], off
	s_waitcnt vmcnt(0)
	v_mul_f32_e32 v2, s0, v2
	v_fmac_f32_e32 v2, s6, v10
	global_store_b32 v[0:1], v2, off
.LBB520_10:
	s_nop 0
	s_sendmsg sendmsg(MSG_DEALLOC_VGPRS)
	s_endpgm
	.section	.rodata,"a",@progbits
	.p2align	6, 0x0
	.amdhsa_kernel _ZL32rocblas_syrkx_herkx_small_kernelIifLi16ELb0ELb0ELc78ELc76EKPKfKPfEviT_T0_PT6_S5_lS8_S5_lS6_PT7_S5_li
		.amdhsa_group_segment_fixed_size 2048
		.amdhsa_private_segment_fixed_size 0
		.amdhsa_kernarg_size 100
		.amdhsa_user_sgpr_count 13
		.amdhsa_user_sgpr_dispatch_ptr 0
		.amdhsa_user_sgpr_queue_ptr 0
		.amdhsa_user_sgpr_kernarg_segment_ptr 1
		.amdhsa_user_sgpr_dispatch_id 0
		.amdhsa_user_sgpr_private_segment_size 0
		.amdhsa_wavefront_size32 1
		.amdhsa_uses_dynamic_stack 0
		.amdhsa_enable_private_segment 0
		.amdhsa_system_sgpr_workgroup_id_x 1
		.amdhsa_system_sgpr_workgroup_id_y 1
		.amdhsa_system_sgpr_workgroup_id_z 1
		.amdhsa_system_sgpr_workgroup_info 0
		.amdhsa_system_vgpr_workitem_id 1
		.amdhsa_next_free_vgpr 28
		.amdhsa_next_free_sgpr 22
		.amdhsa_reserve_vcc 1
		.amdhsa_float_round_mode_32 0
		.amdhsa_float_round_mode_16_64 0
		.amdhsa_float_denorm_mode_32 3
		.amdhsa_float_denorm_mode_16_64 3
		.amdhsa_dx10_clamp 1
		.amdhsa_ieee_mode 1
		.amdhsa_fp16_overflow 0
		.amdhsa_workgroup_processor_mode 1
		.amdhsa_memory_ordered 1
		.amdhsa_forward_progress 0
		.amdhsa_shared_vgpr_count 0
		.amdhsa_exception_fp_ieee_invalid_op 0
		.amdhsa_exception_fp_denorm_src 0
		.amdhsa_exception_fp_ieee_div_zero 0
		.amdhsa_exception_fp_ieee_overflow 0
		.amdhsa_exception_fp_ieee_underflow 0
		.amdhsa_exception_fp_ieee_inexact 0
		.amdhsa_exception_int_div_zero 0
	.end_amdhsa_kernel
	.section	.text._ZL32rocblas_syrkx_herkx_small_kernelIifLi16ELb0ELb0ELc78ELc76EKPKfKPfEviT_T0_PT6_S5_lS8_S5_lS6_PT7_S5_li,"axG",@progbits,_ZL32rocblas_syrkx_herkx_small_kernelIifLi16ELb0ELb0ELc78ELc76EKPKfKPfEviT_T0_PT6_S5_lS8_S5_lS6_PT7_S5_li,comdat
.Lfunc_end520:
	.size	_ZL32rocblas_syrkx_herkx_small_kernelIifLi16ELb0ELb0ELc78ELc76EKPKfKPfEviT_T0_PT6_S5_lS8_S5_lS6_PT7_S5_li, .Lfunc_end520-_ZL32rocblas_syrkx_herkx_small_kernelIifLi16ELb0ELb0ELc78ELc76EKPKfKPfEviT_T0_PT6_S5_lS8_S5_lS6_PT7_S5_li
                                        ; -- End function
	.section	.AMDGPU.csdata,"",@progbits
; Kernel info:
; codeLenInByte = 936
; NumSgprs: 24
; NumVgprs: 28
; ScratchSize: 0
; MemoryBound: 0
; FloatMode: 240
; IeeeMode: 1
; LDSByteSize: 2048 bytes/workgroup (compile time only)
; SGPRBlocks: 2
; VGPRBlocks: 3
; NumSGPRsForWavesPerEU: 24
; NumVGPRsForWavesPerEU: 28
; Occupancy: 16
; WaveLimiterHint : 1
; COMPUTE_PGM_RSRC2:SCRATCH_EN: 0
; COMPUTE_PGM_RSRC2:USER_SGPR: 13
; COMPUTE_PGM_RSRC2:TRAP_HANDLER: 0
; COMPUTE_PGM_RSRC2:TGID_X_EN: 1
; COMPUTE_PGM_RSRC2:TGID_Y_EN: 1
; COMPUTE_PGM_RSRC2:TGID_Z_EN: 1
; COMPUTE_PGM_RSRC2:TIDIG_COMP_CNT: 1
	.section	.text._ZL32rocblas_syrkx_herkx_small_kernelIifLi16ELb0ELb0ELc84ELc85EKPKfKPfEviT_T0_PT6_S5_lS8_S5_lS6_PT7_S5_li,"axG",@progbits,_ZL32rocblas_syrkx_herkx_small_kernelIifLi16ELb0ELb0ELc84ELc85EKPKfKPfEviT_T0_PT6_S5_lS8_S5_lS6_PT7_S5_li,comdat
	.globl	_ZL32rocblas_syrkx_herkx_small_kernelIifLi16ELb0ELb0ELc84ELc85EKPKfKPfEviT_T0_PT6_S5_lS8_S5_lS6_PT7_S5_li ; -- Begin function _ZL32rocblas_syrkx_herkx_small_kernelIifLi16ELb0ELb0ELc84ELc85EKPKfKPfEviT_T0_PT6_S5_lS8_S5_lS6_PT7_S5_li
	.p2align	8
	.type	_ZL32rocblas_syrkx_herkx_small_kernelIifLi16ELb0ELb0ELc84ELc85EKPKfKPfEviT_T0_PT6_S5_lS8_S5_lS6_PT7_S5_li,@function
_ZL32rocblas_syrkx_herkx_small_kernelIifLi16ELb0ELb0ELc84ELc85EKPKfKPfEviT_T0_PT6_S5_lS8_S5_lS6_PT7_S5_li: ; @_ZL32rocblas_syrkx_herkx_small_kernelIifLi16ELb0ELb0ELc84ELc85EKPKfKPfEviT_T0_PT6_S5_lS8_S5_lS6_PT7_S5_li
; %bb.0:
	s_clause 0x1
	s_load_b64 s[8:9], s[0:1], 0x48
	s_load_b128 s[4:7], s[0:1], 0x0
	s_mov_b32 s10, s15
	s_mov_b32 s11, 0
	v_bfe_u32 v6, v0, 10, 10
	s_lshl_b64 s[2:3], s[10:11], 3
	v_and_b32_e32 v7, 0x3ff, v0
	s_delay_alu instid0(VALU_DEP_2) | instskip(NEXT) | instid1(VALU_DEP_2)
	v_lshl_add_u32 v5, s14, 4, v6
	v_lshl_add_u32 v0, s13, 4, v7
	s_waitcnt lgkmcnt(0)
	s_add_u32 s8, s8, s2
	s_addc_u32 s9, s9, s3
	v_cmp_gt_i32_e32 vcc_lo, s4, v5
	s_load_b64 s[8:9], s[8:9], 0x0
	s_cmp_lt_i32 s5, 1
	s_cbranch_scc1 .LBB521_7
; %bb.1:
	s_clause 0x3
	s_load_b64 s[12:13], s[0:1], 0x28
	s_load_b32 s7, s[0:1], 0x30
	s_load_b32 s10, s[0:1], 0x18
	s_load_b64 s[14:15], s[0:1], 0x10
	v_lshlrev_b32_e32 v8, 6, v6
	v_lshlrev_b32_e32 v9, 2, v7
	;; [unrolled: 1-line block ×3, first 2 shown]
	s_delay_alu instid0(VALU_DEP_3) | instskip(NEXT) | instid1(VALU_DEP_3)
	v_add_nc_u32_e32 v10, 0x400, v8
	v_dual_mov_b32 v8, 0 :: v_dual_add_nc_u32 v11, v9, v8
	s_delay_alu instid0(VALU_DEP_2)
	v_add_nc_u32_e32 v12, v10, v9
	s_waitcnt lgkmcnt(0)
	s_add_u32 s12, s12, s2
	s_addc_u32 s13, s13, s3
	v_mad_i64_i32 v[1:2], null, s7, v5, 0
	s_load_b64 s[12:13], s[12:13], 0x0
	s_add_u32 s2, s14, s2
	s_addc_u32 s3, s15, s3
	v_mad_i64_i32 v[3:4], null, s10, v0, 0
	s_load_b64 s[14:15], s[2:3], 0x0
	s_delay_alu instid0(VALU_DEP_2) | instskip(SKIP_1) | instid1(VALU_DEP_3)
	v_lshlrev_b64 v[1:2], 2, v[1:2]
	v_cmp_gt_i32_e64 s2, s4, v0
	v_lshlrev_b64 v[3:4], 2, v[3:4]
	s_delay_alu instid0(VALU_DEP_3) | instskip(NEXT) | instid1(VALU_DEP_1)
	v_add_co_u32 v1, s3, v1, v9
	v_add_co_ci_u32_e64 v2, s3, 0, v2, s3
	s_delay_alu instid0(VALU_DEP_3) | instskip(NEXT) | instid1(VALU_DEP_1)
	v_add_co_u32 v3, s3, v3, v13
	v_add_co_ci_u32_e64 v4, s3, 0, v4, s3
	s_waitcnt lgkmcnt(0)
	v_add_co_u32 v1, s3, s12, v1
	s_delay_alu instid0(VALU_DEP_1) | instskip(SKIP_1) | instid1(VALU_DEP_1)
	v_add_co_ci_u32_e64 v2, s3, s13, v2, s3
	v_add_co_u32 v3, s3, s14, v3
	v_add_co_ci_u32_e64 v4, s3, s15, v4, s3
	s_branch .LBB521_3
.LBB521_2:                              ;   in Loop: Header=BB521_3 Depth=1
	s_or_b32 exec_lo, exec_lo, s3
	s_waitcnt vmcnt(0)
	ds_store_b32 v12, v14
	s_waitcnt lgkmcnt(0)
	s_barrier
	buffer_gl0_inv
	ds_load_2addr_b32 v[21:22], v9 offset1:16
	ds_load_b128 v[13:16], v10
	ds_load_2addr_b32 v[23:24], v9 offset0:32 offset1:48
	ds_load_b128 v[17:20], v10 offset:16
	ds_load_2addr_b32 v[25:26], v9 offset0:64 offset1:80
	v_add_co_u32 v1, s3, v1, 64
	s_delay_alu instid0(VALU_DEP_1) | instskip(SKIP_1) | instid1(VALU_DEP_1)
	v_add_co_ci_u32_e64 v2, s3, 0, v2, s3
	v_add_co_u32 v3, s3, v3, 64
	v_add_co_ci_u32_e64 v4, s3, 0, v4, s3
	s_add_i32 s11, s11, 16
	s_delay_alu instid0(SALU_CYCLE_1) | instskip(SKIP_2) | instid1(VALU_DEP_1)
	s_cmp_ge_i32 s11, s5
	s_waitcnt lgkmcnt(3)
	v_fmac_f32_e32 v8, v21, v13
	v_fmac_f32_e32 v8, v22, v14
	ds_load_2addr_b32 v[21:22], v9 offset0:96 offset1:112
	s_waitcnt lgkmcnt(3)
	v_fmac_f32_e32 v8, v23, v15
	s_delay_alu instid0(VALU_DEP_1) | instskip(SKIP_4) | instid1(VALU_DEP_1)
	v_fmac_f32_e32 v8, v24, v16
	ds_load_2addr_b32 v[23:24], v9 offset0:128 offset1:144
	ds_load_b128 v[13:16], v10 offset:32
	s_waitcnt lgkmcnt(3)
	v_fmac_f32_e32 v8, v25, v17
	v_fmac_f32_e32 v8, v26, v18
	ds_load_2addr_b32 v[25:26], v9 offset0:160 offset1:176
	s_waitcnt lgkmcnt(3)
	v_fmac_f32_e32 v8, v21, v19
	s_delay_alu instid0(VALU_DEP_1) | instskip(SKIP_4) | instid1(VALU_DEP_1)
	v_fmac_f32_e32 v8, v22, v20
	ds_load_b128 v[17:20], v10 offset:48
	ds_load_2addr_b32 v[21:22], v9 offset0:192 offset1:208
	s_waitcnt lgkmcnt(3)
	v_fmac_f32_e32 v8, v23, v13
	v_fmac_f32_e32 v8, v24, v14
	ds_load_2addr_b32 v[13:14], v9 offset0:224 offset1:240
	s_waitcnt lgkmcnt(0)
	s_barrier
	buffer_gl0_inv
	v_fmac_f32_e32 v8, v25, v15
	s_delay_alu instid0(VALU_DEP_1) | instskip(NEXT) | instid1(VALU_DEP_1)
	v_fmac_f32_e32 v8, v26, v16
	v_fmac_f32_e32 v8, v21, v17
	s_delay_alu instid0(VALU_DEP_1) | instskip(NEXT) | instid1(VALU_DEP_1)
	v_fmac_f32_e32 v8, v22, v18
	v_fmac_f32_e32 v8, v13, v19
	s_delay_alu instid0(VALU_DEP_1)
	v_fmac_f32_e32 v8, v14, v20
	s_cbranch_scc1 .LBB521_8
.LBB521_3:                              ; =>This Inner Loop Header: Depth=1
	v_add_nc_u32_e32 v13, s11, v6
	s_delay_alu instid0(VALU_DEP_1) | instskip(SKIP_1) | instid1(VALU_DEP_2)
	v_cmp_gt_i32_e64 s3, s5, v13
	v_mov_b32_e32 v13, 0
	s_and_b32 s7, s2, s3
	s_delay_alu instid0(SALU_CYCLE_1)
	s_and_saveexec_b32 s3, s7
	s_cbranch_execz .LBB521_5
; %bb.4:                                ;   in Loop: Header=BB521_3 Depth=1
	global_load_b32 v13, v[3:4], off
.LBB521_5:                              ;   in Loop: Header=BB521_3 Depth=1
	s_or_b32 exec_lo, exec_lo, s3
	v_add_nc_u32_e32 v14, s11, v7
	s_waitcnt vmcnt(0)
	ds_store_b32 v11, v13
	v_cmp_gt_i32_e64 s3, s5, v14
	v_mov_b32_e32 v14, 0
	s_delay_alu instid0(VALU_DEP_2) | instskip(NEXT) | instid1(SALU_CYCLE_1)
	s_and_b32 s7, vcc_lo, s3
	s_and_saveexec_b32 s3, s7
	s_cbranch_execz .LBB521_2
; %bb.6:                                ;   in Loop: Header=BB521_3 Depth=1
	global_load_b32 v14, v[1:2], off
	s_branch .LBB521_2
.LBB521_7:
	v_mov_b32_e32 v8, 0
.LBB521_8:
	v_cmp_le_i32_e32 vcc_lo, v0, v5
	v_cmp_gt_i32_e64 s2, s4, v5
	s_delay_alu instid0(VALU_DEP_1) | instskip(NEXT) | instid1(SALU_CYCLE_1)
	s_and_b32 s2, vcc_lo, s2
	s_and_saveexec_b32 s3, s2
	s_cbranch_execz .LBB521_10
; %bb.9:
	s_load_b32 s2, s[0:1], 0x50
	v_ashrrev_i32_e32 v1, 31, v0
	s_load_b32 s0, s[0:1], 0x40
	s_delay_alu instid0(VALU_DEP_1) | instskip(SKIP_2) | instid1(VALU_DEP_1)
	v_lshlrev_b64 v[0:1], 2, v[0:1]
	s_waitcnt lgkmcnt(0)
	v_mad_i64_i32 v[2:3], null, s2, v5, 0
	v_lshlrev_b64 v[2:3], 2, v[2:3]
	s_delay_alu instid0(VALU_DEP_1) | instskip(NEXT) | instid1(VALU_DEP_2)
	v_add_co_u32 v2, vcc_lo, s8, v2
	v_add_co_ci_u32_e32 v3, vcc_lo, s9, v3, vcc_lo
	s_delay_alu instid0(VALU_DEP_2) | instskip(NEXT) | instid1(VALU_DEP_2)
	v_add_co_u32 v0, vcc_lo, v2, v0
	v_add_co_ci_u32_e32 v1, vcc_lo, v3, v1, vcc_lo
	global_load_b32 v2, v[0:1], off
	s_waitcnt vmcnt(0)
	v_mul_f32_e32 v2, s0, v2
	s_delay_alu instid0(VALU_DEP_1)
	v_fmac_f32_e32 v2, s6, v8
	global_store_b32 v[0:1], v2, off
.LBB521_10:
	s_nop 0
	s_sendmsg sendmsg(MSG_DEALLOC_VGPRS)
	s_endpgm
	.section	.rodata,"a",@progbits
	.p2align	6, 0x0
	.amdhsa_kernel _ZL32rocblas_syrkx_herkx_small_kernelIifLi16ELb0ELb0ELc84ELc85EKPKfKPfEviT_T0_PT6_S5_lS8_S5_lS6_PT7_S5_li
		.amdhsa_group_segment_fixed_size 2048
		.amdhsa_private_segment_fixed_size 0
		.amdhsa_kernarg_size 100
		.amdhsa_user_sgpr_count 13
		.amdhsa_user_sgpr_dispatch_ptr 0
		.amdhsa_user_sgpr_queue_ptr 0
		.amdhsa_user_sgpr_kernarg_segment_ptr 1
		.amdhsa_user_sgpr_dispatch_id 0
		.amdhsa_user_sgpr_private_segment_size 0
		.amdhsa_wavefront_size32 1
		.amdhsa_uses_dynamic_stack 0
		.amdhsa_enable_private_segment 0
		.amdhsa_system_sgpr_workgroup_id_x 1
		.amdhsa_system_sgpr_workgroup_id_y 1
		.amdhsa_system_sgpr_workgroup_id_z 1
		.amdhsa_system_sgpr_workgroup_info 0
		.amdhsa_system_vgpr_workitem_id 1
		.amdhsa_next_free_vgpr 27
		.amdhsa_next_free_sgpr 16
		.amdhsa_reserve_vcc 1
		.amdhsa_float_round_mode_32 0
		.amdhsa_float_round_mode_16_64 0
		.amdhsa_float_denorm_mode_32 3
		.amdhsa_float_denorm_mode_16_64 3
		.amdhsa_dx10_clamp 1
		.amdhsa_ieee_mode 1
		.amdhsa_fp16_overflow 0
		.amdhsa_workgroup_processor_mode 1
		.amdhsa_memory_ordered 1
		.amdhsa_forward_progress 0
		.amdhsa_shared_vgpr_count 0
		.amdhsa_exception_fp_ieee_invalid_op 0
		.amdhsa_exception_fp_denorm_src 0
		.amdhsa_exception_fp_ieee_div_zero 0
		.amdhsa_exception_fp_ieee_overflow 0
		.amdhsa_exception_fp_ieee_underflow 0
		.amdhsa_exception_fp_ieee_inexact 0
		.amdhsa_exception_int_div_zero 0
	.end_amdhsa_kernel
	.section	.text._ZL32rocblas_syrkx_herkx_small_kernelIifLi16ELb0ELb0ELc84ELc85EKPKfKPfEviT_T0_PT6_S5_lS8_S5_lS6_PT7_S5_li,"axG",@progbits,_ZL32rocblas_syrkx_herkx_small_kernelIifLi16ELb0ELb0ELc84ELc85EKPKfKPfEviT_T0_PT6_S5_lS8_S5_lS6_PT7_S5_li,comdat
.Lfunc_end521:
	.size	_ZL32rocblas_syrkx_herkx_small_kernelIifLi16ELb0ELb0ELc84ELc85EKPKfKPfEviT_T0_PT6_S5_lS8_S5_lS6_PT7_S5_li, .Lfunc_end521-_ZL32rocblas_syrkx_herkx_small_kernelIifLi16ELb0ELb0ELc84ELc85EKPKfKPfEviT_T0_PT6_S5_lS8_S5_lS6_PT7_S5_li
                                        ; -- End function
	.section	.AMDGPU.csdata,"",@progbits
; Kernel info:
; codeLenInByte = 904
; NumSgprs: 18
; NumVgprs: 27
; ScratchSize: 0
; MemoryBound: 0
; FloatMode: 240
; IeeeMode: 1
; LDSByteSize: 2048 bytes/workgroup (compile time only)
; SGPRBlocks: 2
; VGPRBlocks: 3
; NumSGPRsForWavesPerEU: 18
; NumVGPRsForWavesPerEU: 27
; Occupancy: 16
; WaveLimiterHint : 1
; COMPUTE_PGM_RSRC2:SCRATCH_EN: 0
; COMPUTE_PGM_RSRC2:USER_SGPR: 13
; COMPUTE_PGM_RSRC2:TRAP_HANDLER: 0
; COMPUTE_PGM_RSRC2:TGID_X_EN: 1
; COMPUTE_PGM_RSRC2:TGID_Y_EN: 1
; COMPUTE_PGM_RSRC2:TGID_Z_EN: 1
; COMPUTE_PGM_RSRC2:TIDIG_COMP_CNT: 1
	.section	.text._ZL32rocblas_syrkx_herkx_small_kernelIifLi16ELb0ELb0ELc67ELc85EKPKfKPfEviT_T0_PT6_S5_lS8_S5_lS6_PT7_S5_li,"axG",@progbits,_ZL32rocblas_syrkx_herkx_small_kernelIifLi16ELb0ELb0ELc67ELc85EKPKfKPfEviT_T0_PT6_S5_lS8_S5_lS6_PT7_S5_li,comdat
	.globl	_ZL32rocblas_syrkx_herkx_small_kernelIifLi16ELb0ELb0ELc67ELc85EKPKfKPfEviT_T0_PT6_S5_lS8_S5_lS6_PT7_S5_li ; -- Begin function _ZL32rocblas_syrkx_herkx_small_kernelIifLi16ELb0ELb0ELc67ELc85EKPKfKPfEviT_T0_PT6_S5_lS8_S5_lS6_PT7_S5_li
	.p2align	8
	.type	_ZL32rocblas_syrkx_herkx_small_kernelIifLi16ELb0ELb0ELc67ELc85EKPKfKPfEviT_T0_PT6_S5_lS8_S5_lS6_PT7_S5_li,@function
_ZL32rocblas_syrkx_herkx_small_kernelIifLi16ELb0ELb0ELc67ELc85EKPKfKPfEviT_T0_PT6_S5_lS8_S5_lS6_PT7_S5_li: ; @_ZL32rocblas_syrkx_herkx_small_kernelIifLi16ELb0ELb0ELc67ELc85EKPKfKPfEviT_T0_PT6_S5_lS8_S5_lS6_PT7_S5_li
; %bb.0:
	s_clause 0x1
	s_load_b64 s[8:9], s[0:1], 0x48
	s_load_b128 s[4:7], s[0:1], 0x0
	s_mov_b32 s10, s15
	s_mov_b32 s11, 0
	v_bfe_u32 v6, v0, 10, 10
	s_lshl_b64 s[2:3], s[10:11], 3
	v_and_b32_e32 v7, 0x3ff, v0
	s_delay_alu instid0(VALU_DEP_2) | instskip(NEXT) | instid1(VALU_DEP_2)
	v_lshl_add_u32 v5, s14, 4, v6
	v_lshl_add_u32 v0, s13, 4, v7
	s_waitcnt lgkmcnt(0)
	s_add_u32 s8, s8, s2
	s_addc_u32 s9, s9, s3
	v_cmp_gt_i32_e32 vcc_lo, s4, v5
	s_load_b64 s[8:9], s[8:9], 0x0
	s_cmp_lt_i32 s5, 1
	s_cbranch_scc1 .LBB522_7
; %bb.1:
	s_clause 0x3
	s_load_b64 s[12:13], s[0:1], 0x28
	s_load_b32 s7, s[0:1], 0x30
	s_load_b32 s10, s[0:1], 0x18
	s_load_b64 s[14:15], s[0:1], 0x10
	v_lshlrev_b32_e32 v8, 6, v6
	v_lshlrev_b32_e32 v9, 2, v7
	;; [unrolled: 1-line block ×3, first 2 shown]
	s_delay_alu instid0(VALU_DEP_3) | instskip(NEXT) | instid1(VALU_DEP_3)
	v_add_nc_u32_e32 v10, 0x400, v8
	v_dual_mov_b32 v8, 0 :: v_dual_add_nc_u32 v11, v9, v8
	s_delay_alu instid0(VALU_DEP_2)
	v_add_nc_u32_e32 v12, v10, v9
	s_waitcnt lgkmcnt(0)
	s_add_u32 s12, s12, s2
	s_addc_u32 s13, s13, s3
	v_mad_i64_i32 v[1:2], null, s7, v5, 0
	s_load_b64 s[12:13], s[12:13], 0x0
	s_add_u32 s2, s14, s2
	s_addc_u32 s3, s15, s3
	v_mad_i64_i32 v[3:4], null, s10, v0, 0
	s_load_b64 s[14:15], s[2:3], 0x0
	s_delay_alu instid0(VALU_DEP_2) | instskip(SKIP_1) | instid1(VALU_DEP_3)
	v_lshlrev_b64 v[1:2], 2, v[1:2]
	v_cmp_gt_i32_e64 s2, s4, v0
	v_lshlrev_b64 v[3:4], 2, v[3:4]
	s_delay_alu instid0(VALU_DEP_3) | instskip(NEXT) | instid1(VALU_DEP_1)
	v_add_co_u32 v1, s3, v1, v9
	v_add_co_ci_u32_e64 v2, s3, 0, v2, s3
	s_delay_alu instid0(VALU_DEP_3) | instskip(NEXT) | instid1(VALU_DEP_1)
	v_add_co_u32 v3, s3, v3, v13
	v_add_co_ci_u32_e64 v4, s3, 0, v4, s3
	s_waitcnt lgkmcnt(0)
	v_add_co_u32 v1, s3, s12, v1
	s_delay_alu instid0(VALU_DEP_1) | instskip(SKIP_1) | instid1(VALU_DEP_1)
	v_add_co_ci_u32_e64 v2, s3, s13, v2, s3
	v_add_co_u32 v3, s3, s14, v3
	v_add_co_ci_u32_e64 v4, s3, s15, v4, s3
	s_branch .LBB522_3
.LBB522_2:                              ;   in Loop: Header=BB522_3 Depth=1
	s_or_b32 exec_lo, exec_lo, s3
	s_waitcnt vmcnt(0)
	ds_store_b32 v12, v14
	s_waitcnt lgkmcnt(0)
	s_barrier
	buffer_gl0_inv
	ds_load_2addr_b32 v[21:22], v9 offset1:16
	ds_load_b128 v[13:16], v10
	ds_load_2addr_b32 v[23:24], v9 offset0:32 offset1:48
	ds_load_b128 v[17:20], v10 offset:16
	ds_load_2addr_b32 v[25:26], v9 offset0:64 offset1:80
	v_add_co_u32 v1, s3, v1, 64
	s_delay_alu instid0(VALU_DEP_1) | instskip(SKIP_1) | instid1(VALU_DEP_1)
	v_add_co_ci_u32_e64 v2, s3, 0, v2, s3
	v_add_co_u32 v3, s3, v3, 64
	v_add_co_ci_u32_e64 v4, s3, 0, v4, s3
	s_add_i32 s11, s11, 16
	s_delay_alu instid0(SALU_CYCLE_1) | instskip(SKIP_2) | instid1(VALU_DEP_1)
	s_cmp_ge_i32 s11, s5
	s_waitcnt lgkmcnt(3)
	v_fmac_f32_e32 v8, v21, v13
	v_fmac_f32_e32 v8, v22, v14
	ds_load_2addr_b32 v[21:22], v9 offset0:96 offset1:112
	s_waitcnt lgkmcnt(3)
	v_fmac_f32_e32 v8, v23, v15
	s_delay_alu instid0(VALU_DEP_1) | instskip(SKIP_4) | instid1(VALU_DEP_1)
	v_fmac_f32_e32 v8, v24, v16
	ds_load_2addr_b32 v[23:24], v9 offset0:128 offset1:144
	ds_load_b128 v[13:16], v10 offset:32
	s_waitcnt lgkmcnt(3)
	v_fmac_f32_e32 v8, v25, v17
	v_fmac_f32_e32 v8, v26, v18
	ds_load_2addr_b32 v[25:26], v9 offset0:160 offset1:176
	s_waitcnt lgkmcnt(3)
	v_fmac_f32_e32 v8, v21, v19
	s_delay_alu instid0(VALU_DEP_1) | instskip(SKIP_4) | instid1(VALU_DEP_1)
	v_fmac_f32_e32 v8, v22, v20
	ds_load_b128 v[17:20], v10 offset:48
	ds_load_2addr_b32 v[21:22], v9 offset0:192 offset1:208
	s_waitcnt lgkmcnt(3)
	v_fmac_f32_e32 v8, v23, v13
	v_fmac_f32_e32 v8, v24, v14
	ds_load_2addr_b32 v[13:14], v9 offset0:224 offset1:240
	s_waitcnt lgkmcnt(0)
	s_barrier
	buffer_gl0_inv
	v_fmac_f32_e32 v8, v25, v15
	s_delay_alu instid0(VALU_DEP_1) | instskip(NEXT) | instid1(VALU_DEP_1)
	v_fmac_f32_e32 v8, v26, v16
	v_fmac_f32_e32 v8, v21, v17
	s_delay_alu instid0(VALU_DEP_1) | instskip(NEXT) | instid1(VALU_DEP_1)
	v_fmac_f32_e32 v8, v22, v18
	v_fmac_f32_e32 v8, v13, v19
	s_delay_alu instid0(VALU_DEP_1)
	v_fmac_f32_e32 v8, v14, v20
	s_cbranch_scc1 .LBB522_8
.LBB522_3:                              ; =>This Inner Loop Header: Depth=1
	v_add_nc_u32_e32 v13, s11, v6
	s_delay_alu instid0(VALU_DEP_1) | instskip(SKIP_1) | instid1(VALU_DEP_2)
	v_cmp_gt_i32_e64 s3, s5, v13
	v_mov_b32_e32 v13, 0
	s_and_b32 s7, s2, s3
	s_delay_alu instid0(SALU_CYCLE_1)
	s_and_saveexec_b32 s3, s7
	s_cbranch_execz .LBB522_5
; %bb.4:                                ;   in Loop: Header=BB522_3 Depth=1
	global_load_b32 v13, v[3:4], off
.LBB522_5:                              ;   in Loop: Header=BB522_3 Depth=1
	s_or_b32 exec_lo, exec_lo, s3
	v_add_nc_u32_e32 v14, s11, v7
	s_waitcnt vmcnt(0)
	ds_store_b32 v11, v13
	v_cmp_gt_i32_e64 s3, s5, v14
	v_mov_b32_e32 v14, 0
	s_delay_alu instid0(VALU_DEP_2) | instskip(NEXT) | instid1(SALU_CYCLE_1)
	s_and_b32 s7, vcc_lo, s3
	s_and_saveexec_b32 s3, s7
	s_cbranch_execz .LBB522_2
; %bb.6:                                ;   in Loop: Header=BB522_3 Depth=1
	global_load_b32 v14, v[1:2], off
	s_branch .LBB522_2
.LBB522_7:
	v_mov_b32_e32 v8, 0
.LBB522_8:
	v_cmp_le_i32_e32 vcc_lo, v0, v5
	v_cmp_gt_i32_e64 s2, s4, v5
	s_delay_alu instid0(VALU_DEP_1) | instskip(NEXT) | instid1(SALU_CYCLE_1)
	s_and_b32 s2, vcc_lo, s2
	s_and_saveexec_b32 s3, s2
	s_cbranch_execz .LBB522_10
; %bb.9:
	s_load_b32 s2, s[0:1], 0x50
	v_ashrrev_i32_e32 v1, 31, v0
	s_load_b32 s0, s[0:1], 0x40
	s_delay_alu instid0(VALU_DEP_1) | instskip(SKIP_2) | instid1(VALU_DEP_1)
	v_lshlrev_b64 v[0:1], 2, v[0:1]
	s_waitcnt lgkmcnt(0)
	v_mad_i64_i32 v[2:3], null, s2, v5, 0
	v_lshlrev_b64 v[2:3], 2, v[2:3]
	s_delay_alu instid0(VALU_DEP_1) | instskip(NEXT) | instid1(VALU_DEP_2)
	v_add_co_u32 v2, vcc_lo, s8, v2
	v_add_co_ci_u32_e32 v3, vcc_lo, s9, v3, vcc_lo
	s_delay_alu instid0(VALU_DEP_2) | instskip(NEXT) | instid1(VALU_DEP_2)
	v_add_co_u32 v0, vcc_lo, v2, v0
	v_add_co_ci_u32_e32 v1, vcc_lo, v3, v1, vcc_lo
	global_load_b32 v2, v[0:1], off
	s_waitcnt vmcnt(0)
	v_mul_f32_e32 v2, s0, v2
	s_delay_alu instid0(VALU_DEP_1)
	v_fmac_f32_e32 v2, s6, v8
	global_store_b32 v[0:1], v2, off
.LBB522_10:
	s_nop 0
	s_sendmsg sendmsg(MSG_DEALLOC_VGPRS)
	s_endpgm
	.section	.rodata,"a",@progbits
	.p2align	6, 0x0
	.amdhsa_kernel _ZL32rocblas_syrkx_herkx_small_kernelIifLi16ELb0ELb0ELc67ELc85EKPKfKPfEviT_T0_PT6_S5_lS8_S5_lS6_PT7_S5_li
		.amdhsa_group_segment_fixed_size 2048
		.amdhsa_private_segment_fixed_size 0
		.amdhsa_kernarg_size 100
		.amdhsa_user_sgpr_count 13
		.amdhsa_user_sgpr_dispatch_ptr 0
		.amdhsa_user_sgpr_queue_ptr 0
		.amdhsa_user_sgpr_kernarg_segment_ptr 1
		.amdhsa_user_sgpr_dispatch_id 0
		.amdhsa_user_sgpr_private_segment_size 0
		.amdhsa_wavefront_size32 1
		.amdhsa_uses_dynamic_stack 0
		.amdhsa_enable_private_segment 0
		.amdhsa_system_sgpr_workgroup_id_x 1
		.amdhsa_system_sgpr_workgroup_id_y 1
		.amdhsa_system_sgpr_workgroup_id_z 1
		.amdhsa_system_sgpr_workgroup_info 0
		.amdhsa_system_vgpr_workitem_id 1
		.amdhsa_next_free_vgpr 27
		.amdhsa_next_free_sgpr 16
		.amdhsa_reserve_vcc 1
		.amdhsa_float_round_mode_32 0
		.amdhsa_float_round_mode_16_64 0
		.amdhsa_float_denorm_mode_32 3
		.amdhsa_float_denorm_mode_16_64 3
		.amdhsa_dx10_clamp 1
		.amdhsa_ieee_mode 1
		.amdhsa_fp16_overflow 0
		.amdhsa_workgroup_processor_mode 1
		.amdhsa_memory_ordered 1
		.amdhsa_forward_progress 0
		.amdhsa_shared_vgpr_count 0
		.amdhsa_exception_fp_ieee_invalid_op 0
		.amdhsa_exception_fp_denorm_src 0
		.amdhsa_exception_fp_ieee_div_zero 0
		.amdhsa_exception_fp_ieee_overflow 0
		.amdhsa_exception_fp_ieee_underflow 0
		.amdhsa_exception_fp_ieee_inexact 0
		.amdhsa_exception_int_div_zero 0
	.end_amdhsa_kernel
	.section	.text._ZL32rocblas_syrkx_herkx_small_kernelIifLi16ELb0ELb0ELc67ELc85EKPKfKPfEviT_T0_PT6_S5_lS8_S5_lS6_PT7_S5_li,"axG",@progbits,_ZL32rocblas_syrkx_herkx_small_kernelIifLi16ELb0ELb0ELc67ELc85EKPKfKPfEviT_T0_PT6_S5_lS8_S5_lS6_PT7_S5_li,comdat
.Lfunc_end522:
	.size	_ZL32rocblas_syrkx_herkx_small_kernelIifLi16ELb0ELb0ELc67ELc85EKPKfKPfEviT_T0_PT6_S5_lS8_S5_lS6_PT7_S5_li, .Lfunc_end522-_ZL32rocblas_syrkx_herkx_small_kernelIifLi16ELb0ELb0ELc67ELc85EKPKfKPfEviT_T0_PT6_S5_lS8_S5_lS6_PT7_S5_li
                                        ; -- End function
	.section	.AMDGPU.csdata,"",@progbits
; Kernel info:
; codeLenInByte = 904
; NumSgprs: 18
; NumVgprs: 27
; ScratchSize: 0
; MemoryBound: 0
; FloatMode: 240
; IeeeMode: 1
; LDSByteSize: 2048 bytes/workgroup (compile time only)
; SGPRBlocks: 2
; VGPRBlocks: 3
; NumSGPRsForWavesPerEU: 18
; NumVGPRsForWavesPerEU: 27
; Occupancy: 16
; WaveLimiterHint : 1
; COMPUTE_PGM_RSRC2:SCRATCH_EN: 0
; COMPUTE_PGM_RSRC2:USER_SGPR: 13
; COMPUTE_PGM_RSRC2:TRAP_HANDLER: 0
; COMPUTE_PGM_RSRC2:TGID_X_EN: 1
; COMPUTE_PGM_RSRC2:TGID_Y_EN: 1
; COMPUTE_PGM_RSRC2:TGID_Z_EN: 1
; COMPUTE_PGM_RSRC2:TIDIG_COMP_CNT: 1
	.section	.text._ZL32rocblas_syrkx_herkx_small_kernelIifLi16ELb0ELb0ELc78ELc85EKPKfKPfEviT_T0_PT6_S5_lS8_S5_lS6_PT7_S5_li,"axG",@progbits,_ZL32rocblas_syrkx_herkx_small_kernelIifLi16ELb0ELb0ELc78ELc85EKPKfKPfEviT_T0_PT6_S5_lS8_S5_lS6_PT7_S5_li,comdat
	.globl	_ZL32rocblas_syrkx_herkx_small_kernelIifLi16ELb0ELb0ELc78ELc85EKPKfKPfEviT_T0_PT6_S5_lS8_S5_lS6_PT7_S5_li ; -- Begin function _ZL32rocblas_syrkx_herkx_small_kernelIifLi16ELb0ELb0ELc78ELc85EKPKfKPfEviT_T0_PT6_S5_lS8_S5_lS6_PT7_S5_li
	.p2align	8
	.type	_ZL32rocblas_syrkx_herkx_small_kernelIifLi16ELb0ELb0ELc78ELc85EKPKfKPfEviT_T0_PT6_S5_lS8_S5_lS6_PT7_S5_li,@function
_ZL32rocblas_syrkx_herkx_small_kernelIifLi16ELb0ELb0ELc78ELc85EKPKfKPfEviT_T0_PT6_S5_lS8_S5_lS6_PT7_S5_li: ; @_ZL32rocblas_syrkx_herkx_small_kernelIifLi16ELb0ELb0ELc78ELc85EKPKfKPfEviT_T0_PT6_S5_lS8_S5_lS6_PT7_S5_li
; %bb.0:
	s_clause 0x1
	s_load_b64 s[2:3], s[0:1], 0x48
	s_load_b128 s[4:7], s[0:1], 0x0
	s_mov_b32 s10, s15
	s_mov_b32 s11, 0
	v_and_b32_e32 v7, 0x3ff, v0
	s_lshl_b64 s[16:17], s[10:11], 3
	v_bfe_u32 v8, v0, 10, 10
	s_delay_alu instid0(VALU_DEP_2) | instskip(NEXT) | instid1(VALU_DEP_2)
	v_lshl_add_u32 v0, s13, 4, v7
	v_lshl_add_u32 v2, s14, 4, v8
	s_delay_alu instid0(VALU_DEP_2)
	v_ashrrev_i32_e32 v1, 31, v0
	s_waitcnt lgkmcnt(0)
	s_add_u32 s2, s2, s16
	s_addc_u32 s3, s3, s17
	v_cmp_gt_i32_e32 vcc_lo, s4, v2
	s_load_b64 s[8:9], s[2:3], 0x0
	s_cmp_lt_i32 s5, 1
	s_cbranch_scc1 .LBB523_7
; %bb.1:
	s_clause 0x3
	s_load_b32 s14, s[0:1], 0x18
	s_load_b32 s12, s[0:1], 0x30
	s_load_b64 s[18:19], s[0:1], 0x28
	s_load_b64 s[20:21], s[0:1], 0x10
	v_ashrrev_i32_e32 v3, 31, v2
	v_lshlrev_b32_e32 v10, 6, v8
	v_lshlrev_b32_e32 v9, 2, v7
	v_cmp_gt_i32_e64 s2, s4, v0
	s_delay_alu instid0(VALU_DEP_4) | instskip(NEXT) | instid1(VALU_DEP_4)
	v_lshlrev_b64 v[16:17], 2, v[2:3]
	v_add_nc_u32_e32 v11, 0x400, v10
	s_delay_alu instid0(VALU_DEP_4) | instskip(NEXT) | instid1(VALU_DEP_2)
	v_add_nc_u32_e32 v12, v9, v10
	v_dual_mov_b32 v10, 0 :: v_dual_add_nc_u32 v13, v11, v9
	s_waitcnt lgkmcnt(0)
	s_ashr_i32 s15, s14, 31
	s_ashr_i32 s13, s12, 31
	s_add_u32 s18, s18, s16
	s_addc_u32 s19, s19, s17
	v_mad_i64_i32 v[4:5], null, s12, v7, 0
	s_load_b64 s[18:19], s[18:19], 0x0
	s_add_u32 s16, s20, s16
	s_addc_u32 s17, s21, s17
	v_mad_i64_i32 v[14:15], null, s14, v8, 0
	s_load_b64 s[16:17], s[16:17], 0x0
	s_delay_alu instid0(VALU_DEP_2) | instskip(SKIP_3) | instid1(VALU_DEP_3)
	v_lshlrev_b64 v[3:4], 2, v[4:5]
	v_lshlrev_b64 v[5:6], 2, v[0:1]
	s_lshl_b64 s[12:13], s[12:13], 6
	s_lshl_b64 s[14:15], s[14:15], 6
	v_lshlrev_b64 v[14:15], 2, v[14:15]
	s_delay_alu instid0(VALU_DEP_3) | instskip(NEXT) | instid1(VALU_DEP_1)
	v_add_co_u32 v3, s3, v3, v16
	v_add_co_ci_u32_e64 v4, s3, v4, v17, s3
	s_delay_alu instid0(VALU_DEP_3) | instskip(NEXT) | instid1(VALU_DEP_1)
	v_add_co_u32 v5, s3, v14, v5
	v_add_co_ci_u32_e64 v6, s3, v15, v6, s3
	s_waitcnt lgkmcnt(0)
	v_add_co_u32 v3, s3, s18, v3
	s_delay_alu instid0(VALU_DEP_1) | instskip(SKIP_1) | instid1(VALU_DEP_1)
	v_add_co_ci_u32_e64 v4, s3, s19, v4, s3
	v_add_co_u32 v5, s3, s16, v5
	v_add_co_ci_u32_e64 v6, s3, s17, v6, s3
	s_branch .LBB523_3
.LBB523_2:                              ;   in Loop: Header=BB523_3 Depth=1
	s_or_b32 exec_lo, exec_lo, s3
	s_waitcnt vmcnt(0)
	ds_store_b32 v13, v15
	s_waitcnt lgkmcnt(0)
	s_barrier
	buffer_gl0_inv
	ds_load_2addr_b32 v[22:23], v9 offset1:16
	ds_load_b128 v[14:17], v11
	ds_load_2addr_b32 v[24:25], v9 offset0:32 offset1:48
	ds_load_b128 v[18:21], v11 offset:16
	ds_load_2addr_b32 v[26:27], v9 offset0:64 offset1:80
	v_add_co_u32 v3, s3, v3, s12
	s_delay_alu instid0(VALU_DEP_1) | instskip(SKIP_1) | instid1(VALU_DEP_1)
	v_add_co_ci_u32_e64 v4, s3, s13, v4, s3
	v_add_co_u32 v5, s3, v5, s14
	v_add_co_ci_u32_e64 v6, s3, s15, v6, s3
	s_add_i32 s11, s11, 16
	s_delay_alu instid0(SALU_CYCLE_1) | instskip(SKIP_2) | instid1(VALU_DEP_1)
	s_cmp_ge_i32 s11, s5
	s_waitcnt lgkmcnt(3)
	v_fmac_f32_e32 v10, v22, v14
	v_fmac_f32_e32 v10, v23, v15
	ds_load_2addr_b32 v[22:23], v9 offset0:96 offset1:112
	s_waitcnt lgkmcnt(3)
	v_fmac_f32_e32 v10, v24, v16
	s_delay_alu instid0(VALU_DEP_1) | instskip(SKIP_4) | instid1(VALU_DEP_1)
	v_fmac_f32_e32 v10, v25, v17
	ds_load_2addr_b32 v[24:25], v9 offset0:128 offset1:144
	ds_load_b128 v[14:17], v11 offset:32
	s_waitcnt lgkmcnt(3)
	v_fmac_f32_e32 v10, v26, v18
	v_fmac_f32_e32 v10, v27, v19
	ds_load_2addr_b32 v[26:27], v9 offset0:160 offset1:176
	s_waitcnt lgkmcnt(3)
	v_fmac_f32_e32 v10, v22, v20
	s_delay_alu instid0(VALU_DEP_1) | instskip(SKIP_4) | instid1(VALU_DEP_1)
	v_fmac_f32_e32 v10, v23, v21
	ds_load_b128 v[18:21], v11 offset:48
	ds_load_2addr_b32 v[22:23], v9 offset0:192 offset1:208
	s_waitcnt lgkmcnt(3)
	v_fmac_f32_e32 v10, v24, v14
	v_fmac_f32_e32 v10, v25, v15
	ds_load_2addr_b32 v[14:15], v9 offset0:224 offset1:240
	s_waitcnt lgkmcnt(0)
	s_barrier
	buffer_gl0_inv
	v_fmac_f32_e32 v10, v26, v16
	s_delay_alu instid0(VALU_DEP_1) | instskip(NEXT) | instid1(VALU_DEP_1)
	v_fmac_f32_e32 v10, v27, v17
	v_fmac_f32_e32 v10, v22, v18
	s_delay_alu instid0(VALU_DEP_1) | instskip(NEXT) | instid1(VALU_DEP_1)
	v_fmac_f32_e32 v10, v23, v19
	v_fmac_f32_e32 v10, v14, v20
	s_delay_alu instid0(VALU_DEP_1)
	v_fmac_f32_e32 v10, v15, v21
	s_cbranch_scc1 .LBB523_8
.LBB523_3:                              ; =>This Inner Loop Header: Depth=1
	v_add_nc_u32_e32 v14, s11, v8
	s_delay_alu instid0(VALU_DEP_1) | instskip(SKIP_1) | instid1(VALU_DEP_2)
	v_cmp_gt_i32_e64 s3, s5, v14
	v_mov_b32_e32 v14, 0
	s_and_b32 s7, s2, s3
	s_delay_alu instid0(SALU_CYCLE_1)
	s_and_saveexec_b32 s3, s7
	s_cbranch_execz .LBB523_5
; %bb.4:                                ;   in Loop: Header=BB523_3 Depth=1
	global_load_b32 v14, v[5:6], off
.LBB523_5:                              ;   in Loop: Header=BB523_3 Depth=1
	s_or_b32 exec_lo, exec_lo, s3
	v_add_nc_u32_e32 v15, s11, v7
	s_waitcnt vmcnt(0)
	ds_store_b32 v12, v14
	v_cmp_gt_i32_e64 s3, s5, v15
	v_mov_b32_e32 v15, 0
	s_delay_alu instid0(VALU_DEP_2) | instskip(NEXT) | instid1(SALU_CYCLE_1)
	s_and_b32 s7, vcc_lo, s3
	s_and_saveexec_b32 s3, s7
	s_cbranch_execz .LBB523_2
; %bb.6:                                ;   in Loop: Header=BB523_3 Depth=1
	global_load_b32 v15, v[3:4], off
	s_branch .LBB523_2
.LBB523_7:
	v_mov_b32_e32 v10, 0
.LBB523_8:
	v_cmp_le_i32_e32 vcc_lo, v0, v2
	v_cmp_gt_i32_e64 s2, s4, v2
	s_delay_alu instid0(VALU_DEP_1) | instskip(NEXT) | instid1(SALU_CYCLE_1)
	s_and_b32 s2, vcc_lo, s2
	s_and_saveexec_b32 s3, s2
	s_cbranch_execz .LBB523_10
; %bb.9:
	s_load_b32 s2, s[0:1], 0x50
	v_lshlrev_b64 v[0:1], 2, v[0:1]
	s_load_b32 s0, s[0:1], 0x40
	s_waitcnt lgkmcnt(0)
	v_mad_i64_i32 v[3:4], null, s2, v2, 0
	s_delay_alu instid0(VALU_DEP_1) | instskip(NEXT) | instid1(VALU_DEP_1)
	v_lshlrev_b64 v[2:3], 2, v[3:4]
	v_add_co_u32 v2, vcc_lo, s8, v2
	s_delay_alu instid0(VALU_DEP_2) | instskip(NEXT) | instid1(VALU_DEP_2)
	v_add_co_ci_u32_e32 v3, vcc_lo, s9, v3, vcc_lo
	v_add_co_u32 v0, vcc_lo, v2, v0
	s_delay_alu instid0(VALU_DEP_2) | instskip(SKIP_3) | instid1(VALU_DEP_1)
	v_add_co_ci_u32_e32 v1, vcc_lo, v3, v1, vcc_lo
	global_load_b32 v2, v[0:1], off
	s_waitcnt vmcnt(0)
	v_mul_f32_e32 v2, s0, v2
	v_fmac_f32_e32 v2, s6, v10
	global_store_b32 v[0:1], v2, off
.LBB523_10:
	s_nop 0
	s_sendmsg sendmsg(MSG_DEALLOC_VGPRS)
	s_endpgm
	.section	.rodata,"a",@progbits
	.p2align	6, 0x0
	.amdhsa_kernel _ZL32rocblas_syrkx_herkx_small_kernelIifLi16ELb0ELb0ELc78ELc85EKPKfKPfEviT_T0_PT6_S5_lS8_S5_lS6_PT7_S5_li
		.amdhsa_group_segment_fixed_size 2048
		.amdhsa_private_segment_fixed_size 0
		.amdhsa_kernarg_size 100
		.amdhsa_user_sgpr_count 13
		.amdhsa_user_sgpr_dispatch_ptr 0
		.amdhsa_user_sgpr_queue_ptr 0
		.amdhsa_user_sgpr_kernarg_segment_ptr 1
		.amdhsa_user_sgpr_dispatch_id 0
		.amdhsa_user_sgpr_private_segment_size 0
		.amdhsa_wavefront_size32 1
		.amdhsa_uses_dynamic_stack 0
		.amdhsa_enable_private_segment 0
		.amdhsa_system_sgpr_workgroup_id_x 1
		.amdhsa_system_sgpr_workgroup_id_y 1
		.amdhsa_system_sgpr_workgroup_id_z 1
		.amdhsa_system_sgpr_workgroup_info 0
		.amdhsa_system_vgpr_workitem_id 1
		.amdhsa_next_free_vgpr 28
		.amdhsa_next_free_sgpr 22
		.amdhsa_reserve_vcc 1
		.amdhsa_float_round_mode_32 0
		.amdhsa_float_round_mode_16_64 0
		.amdhsa_float_denorm_mode_32 3
		.amdhsa_float_denorm_mode_16_64 3
		.amdhsa_dx10_clamp 1
		.amdhsa_ieee_mode 1
		.amdhsa_fp16_overflow 0
		.amdhsa_workgroup_processor_mode 1
		.amdhsa_memory_ordered 1
		.amdhsa_forward_progress 0
		.amdhsa_shared_vgpr_count 0
		.amdhsa_exception_fp_ieee_invalid_op 0
		.amdhsa_exception_fp_denorm_src 0
		.amdhsa_exception_fp_ieee_div_zero 0
		.amdhsa_exception_fp_ieee_overflow 0
		.amdhsa_exception_fp_ieee_underflow 0
		.amdhsa_exception_fp_ieee_inexact 0
		.amdhsa_exception_int_div_zero 0
	.end_amdhsa_kernel
	.section	.text._ZL32rocblas_syrkx_herkx_small_kernelIifLi16ELb0ELb0ELc78ELc85EKPKfKPfEviT_T0_PT6_S5_lS8_S5_lS6_PT7_S5_li,"axG",@progbits,_ZL32rocblas_syrkx_herkx_small_kernelIifLi16ELb0ELb0ELc78ELc85EKPKfKPfEviT_T0_PT6_S5_lS8_S5_lS6_PT7_S5_li,comdat
.Lfunc_end523:
	.size	_ZL32rocblas_syrkx_herkx_small_kernelIifLi16ELb0ELb0ELc78ELc85EKPKfKPfEviT_T0_PT6_S5_lS8_S5_lS6_PT7_S5_li, .Lfunc_end523-_ZL32rocblas_syrkx_herkx_small_kernelIifLi16ELb0ELb0ELc78ELc85EKPKfKPfEviT_T0_PT6_S5_lS8_S5_lS6_PT7_S5_li
                                        ; -- End function
	.section	.AMDGPU.csdata,"",@progbits
; Kernel info:
; codeLenInByte = 936
; NumSgprs: 24
; NumVgprs: 28
; ScratchSize: 0
; MemoryBound: 0
; FloatMode: 240
; IeeeMode: 1
; LDSByteSize: 2048 bytes/workgroup (compile time only)
; SGPRBlocks: 2
; VGPRBlocks: 3
; NumSGPRsForWavesPerEU: 24
; NumVGPRsForWavesPerEU: 28
; Occupancy: 16
; WaveLimiterHint : 1
; COMPUTE_PGM_RSRC2:SCRATCH_EN: 0
; COMPUTE_PGM_RSRC2:USER_SGPR: 13
; COMPUTE_PGM_RSRC2:TRAP_HANDLER: 0
; COMPUTE_PGM_RSRC2:TGID_X_EN: 1
; COMPUTE_PGM_RSRC2:TGID_Y_EN: 1
; COMPUTE_PGM_RSRC2:TGID_Z_EN: 1
; COMPUTE_PGM_RSRC2:TIDIG_COMP_CNT: 1
	.section	.text._ZL34rocblas_syrkx_herkx_general_kernelIifLi16ELi32ELi8ELb1ELb0ELc84ELc76EKPKfKPfEviT_T0_PT8_S5_lS8_S5_lS6_PT9_S5_li,"axG",@progbits,_ZL34rocblas_syrkx_herkx_general_kernelIifLi16ELi32ELi8ELb1ELb0ELc84ELc76EKPKfKPfEviT_T0_PT8_S5_lS8_S5_lS6_PT9_S5_li,comdat
	.globl	_ZL34rocblas_syrkx_herkx_general_kernelIifLi16ELi32ELi8ELb1ELb0ELc84ELc76EKPKfKPfEviT_T0_PT8_S5_lS8_S5_lS6_PT9_S5_li ; -- Begin function _ZL34rocblas_syrkx_herkx_general_kernelIifLi16ELi32ELi8ELb1ELb0ELc84ELc76EKPKfKPfEviT_T0_PT8_S5_lS8_S5_lS6_PT9_S5_li
	.p2align	8
	.type	_ZL34rocblas_syrkx_herkx_general_kernelIifLi16ELi32ELi8ELb1ELb0ELc84ELc76EKPKfKPfEviT_T0_PT8_S5_lS8_S5_lS6_PT9_S5_li,@function
_ZL34rocblas_syrkx_herkx_general_kernelIifLi16ELi32ELi8ELb1ELb0ELc84ELc76EKPKfKPfEviT_T0_PT8_S5_lS8_S5_lS6_PT9_S5_li: ; @_ZL34rocblas_syrkx_herkx_general_kernelIifLi16ELi32ELi8ELb1ELb0ELc84ELc76EKPKfKPfEviT_T0_PT8_S5_lS8_S5_lS6_PT9_S5_li
; %bb.0:
	s_clause 0x1
	s_load_b64 s[8:9], s[0:1], 0x48
	s_load_b128 s[4:7], s[0:1], 0x0
	s_mov_b32 s10, s15
	s_mov_b32 s11, 0
	v_dual_mov_b32 v4, 0 :: v_dual_and_b32 v5, 0x3ff, v0
	s_lshl_b64 s[2:3], s[10:11], 3
	v_bfe_u32 v6, v0, 10, 10
	v_mov_b32_e32 v13, 0
	v_mov_b32_e32 v9, 0
	;; [unrolled: 1-line block ×3, first 2 shown]
	s_waitcnt lgkmcnt(0)
	s_add_u32 s8, s8, s2
	s_addc_u32 s9, s9, s3
	s_lshl_b32 s7, s13, 5
	s_load_b64 s[8:9], s[8:9], 0x0
	s_lshl_b32 s10, s14, 5
	s_cmp_lt_i32 s5, 1
	s_cbranch_scc1 .LBB524_7
; %bb.1:
	s_clause 0x3
	s_load_b64 s[12:13], s[0:1], 0x28
	s_load_b32 s16, s[0:1], 0x18
	s_load_b64 s[14:15], s[0:1], 0x10
	s_load_b32 s17, s[0:1], 0x30
	v_lshl_add_u32 v0, v6, 4, v5
	v_and_b32_e32 v8, 7, v5
	v_lshlrev_b32_e32 v10, 2, v5
	v_lshl_add_u32 v11, v6, 5, 0x400
	s_delay_alu instid0(VALU_DEP_4) | instskip(SKIP_3) | instid1(VALU_DEP_4)
	v_and_b32_e32 v1, 31, v0
	v_lshrrev_b32_e32 v2, 3, v0
	v_lshrrev_b32_e32 v12, 5, v0
	v_lshlrev_b32_e32 v4, 2, v8
	v_add_nc_u32_e32 v3, s7, v1
	s_delay_alu instid0(VALU_DEP_4)
	v_add_nc_u32_e32 v7, s10, v2
	v_lshlrev_b32_e32 v13, 2, v1
	v_or_b32_e32 v9, s7, v1
	v_lshlrev_b32_e32 v16, 2, v12
	s_waitcnt lgkmcnt(0)
	s_add_u32 s12, s12, s2
	s_addc_u32 s13, s13, s3
	s_add_u32 s2, s14, s2
	s_addc_u32 s3, s15, s3
	v_mad_i64_i32 v[0:1], null, s16, v3, 0
	s_load_b64 s[14:15], s[2:3], 0x0
	s_load_b64 s[12:13], s[12:13], 0x0
	v_lshl_or_b32 v14, v12, 7, v13
	v_mov_b32_e32 v13, 0
	v_lshl_or_b32 v15, v2, 5, v4
	v_mad_i64_i32 v[2:3], null, s17, v7, 0
	v_lshlrev_b64 v[0:1], 2, v[0:1]
	v_cmp_gt_i32_e32 vcc_lo, s4, v9
	v_cmp_gt_i32_e64 s2, s4, v7
	v_add_nc_u32_e32 v15, 0x400, v15
	v_mov_b32_e32 v7, 0
	v_mov_b32_e32 v9, 0
	v_lshlrev_b64 v[2:3], 2, v[2:3]
	v_add_co_u32 v0, s3, v0, v16
	s_delay_alu instid0(VALU_DEP_1) | instskip(NEXT) | instid1(VALU_DEP_3)
	v_add_co_ci_u32_e64 v1, s3, 0, v1, s3
	v_add_co_u32 v2, s3, v2, v4
	s_delay_alu instid0(VALU_DEP_1) | instskip(SKIP_2) | instid1(VALU_DEP_1)
	v_add_co_ci_u32_e64 v3, s3, 0, v3, s3
	s_waitcnt lgkmcnt(0)
	v_add_co_u32 v0, s3, s14, v0
	v_add_co_ci_u32_e64 v1, s3, s15, v1, s3
	v_add_co_u32 v2, s3, s12, v2
	s_delay_alu instid0(VALU_DEP_1)
	v_add_co_ci_u32_e64 v3, s3, s13, v3, s3
	v_mov_b32_e32 v4, 0
	s_branch .LBB524_3
.LBB524_2:                              ;   in Loop: Header=BB524_3 Depth=1
	s_or_b32 exec_lo, exec_lo, s3
	s_waitcnt vmcnt(0)
	ds_store_b32 v15, v17
	s_waitcnt lgkmcnt(0)
	s_barrier
	buffer_gl0_inv
	ds_load_2addr_b32 v[32:33], v10 offset1:16
	ds_load_b128 v[16:19], v11
	ds_load_b128 v[20:23], v11 offset:512
	ds_load_2addr_b32 v[34:35], v10 offset0:32 offset1:48
	ds_load_2addr_b32 v[36:37], v10 offset0:64 offset1:80
	;; [unrolled: 1-line block ×3, first 2 shown]
	ds_load_b128 v[24:27], v11 offset:16
	ds_load_2addr_b32 v[40:41], v10 offset0:128 offset1:144
	ds_load_b128 v[28:31], v11 offset:528
	v_add_co_u32 v0, s3, v0, 32
	s_delay_alu instid0(VALU_DEP_1) | instskip(SKIP_1) | instid1(VALU_DEP_1)
	v_add_co_ci_u32_e64 v1, s3, 0, v1, s3
	v_add_co_u32 v2, s3, v2, 32
	v_add_co_ci_u32_e64 v3, s3, 0, v3, s3
	s_add_i32 s11, s11, 8
	s_delay_alu instid0(SALU_CYCLE_1) | instskip(SKIP_3) | instid1(VALU_DEP_1)
	s_cmp_ge_i32 s11, s5
	s_waitcnt lgkmcnt(6)
	v_fmac_f32_e32 v4, v33, v20
	s_waitcnt lgkmcnt(5)
	v_dual_fmac_f32 v13, v32, v16 :: v_dual_fmac_f32 v4, v35, v21
	v_fmac_f32_e32 v7, v32, v20
	s_waitcnt lgkmcnt(4)
	s_delay_alu instid0(VALU_DEP_2)
	v_dual_fmac_f32 v13, v34, v17 :: v_dual_fmac_f32 v4, v37, v22
	v_fmac_f32_e32 v9, v33, v16
	ds_load_2addr_b32 v[32:33], v10 offset0:160 offset1:176
	s_waitcnt lgkmcnt(4)
	v_fmac_f32_e32 v4, v39, v23
	v_fmac_f32_e32 v9, v35, v17
	ds_load_2addr_b32 v[16:17], v10 offset0:192 offset1:208
	s_waitcnt lgkmcnt(2)
	v_dual_fmac_f32 v4, v41, v28 :: v_dual_fmac_f32 v13, v36, v18
	v_fmac_f32_e32 v9, v37, v18
	s_waitcnt lgkmcnt(1)
	s_delay_alu instid0(VALU_DEP_1)
	v_dual_fmac_f32 v9, v39, v19 :: v_dual_fmac_f32 v4, v33, v29
	v_fmac_f32_e32 v7, v34, v21
	ds_load_2addr_b32 v[20:21], v10 offset0:224 offset1:240
	v_fmac_f32_e32 v13, v38, v19
	v_fmac_f32_e32 v9, v41, v24
	s_waitcnt lgkmcnt(1)
	v_fmac_f32_e32 v4, v17, v30
	v_fmac_f32_e32 v7, v36, v22
	s_waitcnt lgkmcnt(0)
	v_fmac_f32_e32 v13, v40, v24
	v_fmac_f32_e32 v9, v33, v25
	s_barrier
	buffer_gl0_inv
	v_fmac_f32_e32 v13, v32, v25
	v_fmac_f32_e32 v9, v17, v26
	s_delay_alu instid0(VALU_DEP_2) | instskip(SKIP_1) | instid1(VALU_DEP_2)
	v_dual_fmac_f32 v13, v16, v26 :: v_dual_fmac_f32 v4, v21, v31
	v_fmac_f32_e32 v7, v38, v23
	v_fmac_f32_e32 v13, v20, v27
	s_delay_alu instid0(VALU_DEP_4) | instskip(NEXT) | instid1(VALU_DEP_3)
	v_fmac_f32_e32 v9, v21, v27
	v_fmac_f32_e32 v7, v40, v28
	s_delay_alu instid0(VALU_DEP_1) | instskip(NEXT) | instid1(VALU_DEP_1)
	v_fmac_f32_e32 v7, v32, v29
	v_fmac_f32_e32 v7, v16, v30
	s_delay_alu instid0(VALU_DEP_1)
	v_fmac_f32_e32 v7, v20, v31
	s_cbranch_scc1 .LBB524_7
.LBB524_3:                              ; =>This Inner Loop Header: Depth=1
	v_add_nc_u32_e32 v16, s11, v12
	s_delay_alu instid0(VALU_DEP_1) | instskip(SKIP_1) | instid1(VALU_DEP_2)
	v_cmp_gt_i32_e64 s3, s5, v16
	v_mov_b32_e32 v16, 0
	s_and_b32 s12, vcc_lo, s3
	s_delay_alu instid0(SALU_CYCLE_1)
	s_and_saveexec_b32 s3, s12
	s_cbranch_execz .LBB524_5
; %bb.4:                                ;   in Loop: Header=BB524_3 Depth=1
	global_load_b32 v16, v[0:1], off
.LBB524_5:                              ;   in Loop: Header=BB524_3 Depth=1
	s_or_b32 exec_lo, exec_lo, s3
	v_add_nc_u32_e32 v17, s11, v8
	s_waitcnt vmcnt(0)
	ds_store_b32 v14, v16
	v_cmp_gt_i32_e64 s3, s5, v17
	v_mov_b32_e32 v17, 0
	s_delay_alu instid0(VALU_DEP_2) | instskip(NEXT) | instid1(SALU_CYCLE_1)
	s_and_b32 s12, s3, s2
	s_and_saveexec_b32 s3, s12
	s_cbranch_execz .LBB524_2
; %bb.6:                                ;   in Loop: Header=BB524_3 Depth=1
	global_load_b32 v17, v[2:3], off
	s_branch .LBB524_2
.LBB524_7:
	s_load_b32 s2, s[0:1], 0x50
	v_add_nc_u32_e32 v6, s10, v6
	v_add_nc_u32_e32 v0, s7, v5
	s_delay_alu instid0(VALU_DEP_1) | instskip(SKIP_1) | instid1(VALU_DEP_2)
	v_cmp_le_i32_e64 s0, v6, v0
	v_cmp_gt_i32_e32 vcc_lo, s4, v0
	s_and_b32 s0, s0, vcc_lo
	s_waitcnt lgkmcnt(0)
	v_mad_i64_i32 v[1:2], null, v6, s2, 0
	s_delay_alu instid0(VALU_DEP_1) | instskip(NEXT) | instid1(VALU_DEP_1)
	v_lshlrev_b64 v[1:2], 2, v[1:2]
	v_add_co_u32 v5, s1, s8, v1
	s_delay_alu instid0(VALU_DEP_1)
	v_add_co_ci_u32_e64 v8, s1, s9, v2, s1
	s_and_saveexec_b32 s1, s0
	s_cbranch_execz .LBB524_9
; %bb.8:
	v_ashrrev_i32_e32 v1, 31, v0
	v_mul_f32_e32 v3, s6, v13
	s_delay_alu instid0(VALU_DEP_2) | instskip(NEXT) | instid1(VALU_DEP_1)
	v_lshlrev_b64 v[1:2], 2, v[0:1]
	v_add_co_u32 v1, s0, v5, v1
	s_delay_alu instid0(VALU_DEP_1)
	v_add_co_ci_u32_e64 v2, s0, v8, v2, s0
	global_store_b32 v[1:2], v3, off
.LBB524_9:
	s_or_b32 exec_lo, exec_lo, s1
	v_add_nc_u32_e32 v2, 16, v0
	s_delay_alu instid0(VALU_DEP_1) | instskip(SKIP_1) | instid1(VALU_DEP_1)
	v_cmp_le_i32_e64 s1, v6, v2
	v_cmp_gt_i32_e64 s0, s4, v2
	s_and_b32 s1, s1, s0
	s_delay_alu instid0(SALU_CYCLE_1)
	s_and_saveexec_b32 s3, s1
	s_cbranch_execz .LBB524_11
; %bb.10:
	v_ashrrev_i32_e32 v3, 31, v2
	v_mul_f32_e32 v1, s6, v9
	s_delay_alu instid0(VALU_DEP_2) | instskip(NEXT) | instid1(VALU_DEP_1)
	v_lshlrev_b64 v[10:11], 2, v[2:3]
	v_add_co_u32 v9, s1, v5, v10
	s_delay_alu instid0(VALU_DEP_1)
	v_add_co_ci_u32_e64 v10, s1, v8, v11, s1
	global_store_b32 v[9:10], v1, off
.LBB524_11:
	s_or_b32 exec_lo, exec_lo, s3
	v_add_nc_u32_e32 v3, 16, v6
	s_delay_alu instid0(VALU_DEP_1) | instskip(SKIP_1) | instid1(VALU_DEP_2)
	v_mad_i64_i32 v[5:6], null, v3, s2, 0
	v_cmp_le_i32_e64 s1, v3, v0
	v_lshlrev_b64 v[5:6], 2, v[5:6]
	s_delay_alu instid0(VALU_DEP_1) | instskip(NEXT) | instid1(VALU_DEP_1)
	v_add_co_u32 v5, s2, s8, v5
	v_add_co_ci_u32_e64 v6, s2, s9, v6, s2
	s_delay_alu instid0(VALU_DEP_4) | instskip(NEXT) | instid1(SALU_CYCLE_1)
	s_and_b32 s2, s1, vcc_lo
	s_and_saveexec_b32 s1, s2
	s_cbranch_execz .LBB524_13
; %bb.12:
	v_ashrrev_i32_e32 v1, 31, v0
	v_mul_f32_e32 v7, s6, v7
	s_delay_alu instid0(VALU_DEP_2) | instskip(NEXT) | instid1(VALU_DEP_1)
	v_lshlrev_b64 v[0:1], 2, v[0:1]
	v_add_co_u32 v0, vcc_lo, v5, v0
	s_delay_alu instid0(VALU_DEP_2)
	v_add_co_ci_u32_e32 v1, vcc_lo, v6, v1, vcc_lo
	global_store_b32 v[0:1], v7, off
.LBB524_13:
	s_or_b32 exec_lo, exec_lo, s1
	v_cmp_le_i32_e32 vcc_lo, v3, v2
	s_and_b32 s0, vcc_lo, s0
	s_delay_alu instid0(SALU_CYCLE_1)
	s_and_saveexec_b32 s1, s0
	s_cbranch_execz .LBB524_15
; %bb.14:
	v_ashrrev_i32_e32 v3, 31, v2
	s_delay_alu instid0(VALU_DEP_1) | instskip(SKIP_1) | instid1(VALU_DEP_2)
	v_lshlrev_b64 v[0:1], 2, v[2:3]
	v_mul_f32_e32 v2, s6, v4
	v_add_co_u32 v0, vcc_lo, v5, v0
	s_delay_alu instid0(VALU_DEP_3)
	v_add_co_ci_u32_e32 v1, vcc_lo, v6, v1, vcc_lo
	global_store_b32 v[0:1], v2, off
.LBB524_15:
	s_nop 0
	s_sendmsg sendmsg(MSG_DEALLOC_VGPRS)
	s_endpgm
	.section	.rodata,"a",@progbits
	.p2align	6, 0x0
	.amdhsa_kernel _ZL34rocblas_syrkx_herkx_general_kernelIifLi16ELi32ELi8ELb1ELb0ELc84ELc76EKPKfKPfEviT_T0_PT8_S5_lS8_S5_lS6_PT9_S5_li
		.amdhsa_group_segment_fixed_size 2048
		.amdhsa_private_segment_fixed_size 0
		.amdhsa_kernarg_size 100
		.amdhsa_user_sgpr_count 13
		.amdhsa_user_sgpr_dispatch_ptr 0
		.amdhsa_user_sgpr_queue_ptr 0
		.amdhsa_user_sgpr_kernarg_segment_ptr 1
		.amdhsa_user_sgpr_dispatch_id 0
		.amdhsa_user_sgpr_private_segment_size 0
		.amdhsa_wavefront_size32 1
		.amdhsa_uses_dynamic_stack 0
		.amdhsa_enable_private_segment 0
		.amdhsa_system_sgpr_workgroup_id_x 1
		.amdhsa_system_sgpr_workgroup_id_y 1
		.amdhsa_system_sgpr_workgroup_id_z 1
		.amdhsa_system_sgpr_workgroup_info 0
		.amdhsa_system_vgpr_workitem_id 1
		.amdhsa_next_free_vgpr 42
		.amdhsa_next_free_sgpr 18
		.amdhsa_reserve_vcc 1
		.amdhsa_float_round_mode_32 0
		.amdhsa_float_round_mode_16_64 0
		.amdhsa_float_denorm_mode_32 3
		.amdhsa_float_denorm_mode_16_64 3
		.amdhsa_dx10_clamp 1
		.amdhsa_ieee_mode 1
		.amdhsa_fp16_overflow 0
		.amdhsa_workgroup_processor_mode 1
		.amdhsa_memory_ordered 1
		.amdhsa_forward_progress 0
		.amdhsa_shared_vgpr_count 0
		.amdhsa_exception_fp_ieee_invalid_op 0
		.amdhsa_exception_fp_denorm_src 0
		.amdhsa_exception_fp_ieee_div_zero 0
		.amdhsa_exception_fp_ieee_overflow 0
		.amdhsa_exception_fp_ieee_underflow 0
		.amdhsa_exception_fp_ieee_inexact 0
		.amdhsa_exception_int_div_zero 0
	.end_amdhsa_kernel
	.section	.text._ZL34rocblas_syrkx_herkx_general_kernelIifLi16ELi32ELi8ELb1ELb0ELc84ELc76EKPKfKPfEviT_T0_PT8_S5_lS8_S5_lS6_PT9_S5_li,"axG",@progbits,_ZL34rocblas_syrkx_herkx_general_kernelIifLi16ELi32ELi8ELb1ELb0ELc84ELc76EKPKfKPfEviT_T0_PT8_S5_lS8_S5_lS6_PT9_S5_li,comdat
.Lfunc_end524:
	.size	_ZL34rocblas_syrkx_herkx_general_kernelIifLi16ELi32ELi8ELb1ELb0ELc84ELc76EKPKfKPfEviT_T0_PT8_S5_lS8_S5_lS6_PT9_S5_li, .Lfunc_end524-_ZL34rocblas_syrkx_herkx_general_kernelIifLi16ELi32ELi8ELb1ELb0ELc84ELc76EKPKfKPfEviT_T0_PT8_S5_lS8_S5_lS6_PT9_S5_li
                                        ; -- End function
	.section	.AMDGPU.csdata,"",@progbits
; Kernel info:
; codeLenInByte = 1316
; NumSgprs: 20
; NumVgprs: 42
; ScratchSize: 0
; MemoryBound: 0
; FloatMode: 240
; IeeeMode: 1
; LDSByteSize: 2048 bytes/workgroup (compile time only)
; SGPRBlocks: 2
; VGPRBlocks: 5
; NumSGPRsForWavesPerEU: 20
; NumVGPRsForWavesPerEU: 42
; Occupancy: 16
; WaveLimiterHint : 1
; COMPUTE_PGM_RSRC2:SCRATCH_EN: 0
; COMPUTE_PGM_RSRC2:USER_SGPR: 13
; COMPUTE_PGM_RSRC2:TRAP_HANDLER: 0
; COMPUTE_PGM_RSRC2:TGID_X_EN: 1
; COMPUTE_PGM_RSRC2:TGID_Y_EN: 1
; COMPUTE_PGM_RSRC2:TGID_Z_EN: 1
; COMPUTE_PGM_RSRC2:TIDIG_COMP_CNT: 1
	.section	.text._ZL34rocblas_syrkx_herkx_general_kernelIifLi16ELi32ELi8ELb1ELb0ELc67ELc76EKPKfKPfEviT_T0_PT8_S5_lS8_S5_lS6_PT9_S5_li,"axG",@progbits,_ZL34rocblas_syrkx_herkx_general_kernelIifLi16ELi32ELi8ELb1ELb0ELc67ELc76EKPKfKPfEviT_T0_PT8_S5_lS8_S5_lS6_PT9_S5_li,comdat
	.globl	_ZL34rocblas_syrkx_herkx_general_kernelIifLi16ELi32ELi8ELb1ELb0ELc67ELc76EKPKfKPfEviT_T0_PT8_S5_lS8_S5_lS6_PT9_S5_li ; -- Begin function _ZL34rocblas_syrkx_herkx_general_kernelIifLi16ELi32ELi8ELb1ELb0ELc67ELc76EKPKfKPfEviT_T0_PT8_S5_lS8_S5_lS6_PT9_S5_li
	.p2align	8
	.type	_ZL34rocblas_syrkx_herkx_general_kernelIifLi16ELi32ELi8ELb1ELb0ELc67ELc76EKPKfKPfEviT_T0_PT8_S5_lS8_S5_lS6_PT9_S5_li,@function
_ZL34rocblas_syrkx_herkx_general_kernelIifLi16ELi32ELi8ELb1ELb0ELc67ELc76EKPKfKPfEviT_T0_PT8_S5_lS8_S5_lS6_PT9_S5_li: ; @_ZL34rocblas_syrkx_herkx_general_kernelIifLi16ELi32ELi8ELb1ELb0ELc67ELc76EKPKfKPfEviT_T0_PT8_S5_lS8_S5_lS6_PT9_S5_li
; %bb.0:
	s_clause 0x1
	s_load_b64 s[8:9], s[0:1], 0x48
	s_load_b128 s[4:7], s[0:1], 0x0
	s_mov_b32 s10, s15
	s_mov_b32 s11, 0
	v_dual_mov_b32 v4, 0 :: v_dual_and_b32 v5, 0x3ff, v0
	s_lshl_b64 s[2:3], s[10:11], 3
	v_bfe_u32 v6, v0, 10, 10
	v_mov_b32_e32 v13, 0
	v_mov_b32_e32 v9, 0
	v_mov_b32_e32 v7, 0
	s_waitcnt lgkmcnt(0)
	s_add_u32 s8, s8, s2
	s_addc_u32 s9, s9, s3
	s_lshl_b32 s7, s13, 5
	s_load_b64 s[8:9], s[8:9], 0x0
	s_lshl_b32 s10, s14, 5
	s_cmp_lt_i32 s5, 1
	s_cbranch_scc1 .LBB525_7
; %bb.1:
	s_clause 0x3
	s_load_b64 s[12:13], s[0:1], 0x28
	s_load_b32 s16, s[0:1], 0x18
	s_load_b64 s[14:15], s[0:1], 0x10
	s_load_b32 s17, s[0:1], 0x30
	v_lshl_add_u32 v0, v6, 4, v5
	v_and_b32_e32 v8, 7, v5
	v_lshlrev_b32_e32 v10, 2, v5
	v_lshl_add_u32 v11, v6, 5, 0x400
	s_delay_alu instid0(VALU_DEP_4) | instskip(SKIP_3) | instid1(VALU_DEP_4)
	v_and_b32_e32 v1, 31, v0
	v_lshrrev_b32_e32 v2, 3, v0
	v_lshrrev_b32_e32 v12, 5, v0
	v_lshlrev_b32_e32 v4, 2, v8
	v_add_nc_u32_e32 v3, s7, v1
	s_delay_alu instid0(VALU_DEP_4)
	v_add_nc_u32_e32 v7, s10, v2
	v_lshlrev_b32_e32 v13, 2, v1
	v_or_b32_e32 v9, s7, v1
	v_lshlrev_b32_e32 v16, 2, v12
	s_waitcnt lgkmcnt(0)
	s_add_u32 s12, s12, s2
	s_addc_u32 s13, s13, s3
	s_add_u32 s2, s14, s2
	s_addc_u32 s3, s15, s3
	v_mad_i64_i32 v[0:1], null, s16, v3, 0
	s_load_b64 s[14:15], s[2:3], 0x0
	s_load_b64 s[12:13], s[12:13], 0x0
	v_lshl_or_b32 v14, v12, 7, v13
	v_mov_b32_e32 v13, 0
	v_lshl_or_b32 v15, v2, 5, v4
	v_mad_i64_i32 v[2:3], null, s17, v7, 0
	v_lshlrev_b64 v[0:1], 2, v[0:1]
	v_cmp_gt_i32_e32 vcc_lo, s4, v9
	v_cmp_gt_i32_e64 s2, s4, v7
	v_add_nc_u32_e32 v15, 0x400, v15
	v_mov_b32_e32 v7, 0
	v_mov_b32_e32 v9, 0
	v_lshlrev_b64 v[2:3], 2, v[2:3]
	v_add_co_u32 v0, s3, v0, v16
	s_delay_alu instid0(VALU_DEP_1) | instskip(NEXT) | instid1(VALU_DEP_3)
	v_add_co_ci_u32_e64 v1, s3, 0, v1, s3
	v_add_co_u32 v2, s3, v2, v4
	s_delay_alu instid0(VALU_DEP_1) | instskip(SKIP_2) | instid1(VALU_DEP_1)
	v_add_co_ci_u32_e64 v3, s3, 0, v3, s3
	s_waitcnt lgkmcnt(0)
	v_add_co_u32 v0, s3, s14, v0
	v_add_co_ci_u32_e64 v1, s3, s15, v1, s3
	v_add_co_u32 v2, s3, s12, v2
	s_delay_alu instid0(VALU_DEP_1)
	v_add_co_ci_u32_e64 v3, s3, s13, v3, s3
	v_mov_b32_e32 v4, 0
	s_branch .LBB525_3
.LBB525_2:                              ;   in Loop: Header=BB525_3 Depth=1
	s_or_b32 exec_lo, exec_lo, s3
	s_waitcnt vmcnt(0)
	ds_store_b32 v15, v17
	s_waitcnt lgkmcnt(0)
	s_barrier
	buffer_gl0_inv
	ds_load_2addr_b32 v[32:33], v10 offset1:16
	ds_load_b128 v[16:19], v11
	ds_load_b128 v[20:23], v11 offset:512
	ds_load_2addr_b32 v[34:35], v10 offset0:32 offset1:48
	ds_load_2addr_b32 v[36:37], v10 offset0:64 offset1:80
	;; [unrolled: 1-line block ×3, first 2 shown]
	ds_load_b128 v[24:27], v11 offset:16
	ds_load_2addr_b32 v[40:41], v10 offset0:128 offset1:144
	ds_load_b128 v[28:31], v11 offset:528
	v_add_co_u32 v0, s3, v0, 32
	s_delay_alu instid0(VALU_DEP_1) | instskip(SKIP_1) | instid1(VALU_DEP_1)
	v_add_co_ci_u32_e64 v1, s3, 0, v1, s3
	v_add_co_u32 v2, s3, v2, 32
	v_add_co_ci_u32_e64 v3, s3, 0, v3, s3
	s_add_i32 s11, s11, 8
	s_delay_alu instid0(SALU_CYCLE_1) | instskip(SKIP_3) | instid1(VALU_DEP_1)
	s_cmp_ge_i32 s11, s5
	s_waitcnt lgkmcnt(6)
	v_fmac_f32_e32 v4, v33, v20
	s_waitcnt lgkmcnt(5)
	v_dual_fmac_f32 v13, v32, v16 :: v_dual_fmac_f32 v4, v35, v21
	v_fmac_f32_e32 v7, v32, v20
	s_waitcnt lgkmcnt(4)
	s_delay_alu instid0(VALU_DEP_2)
	v_dual_fmac_f32 v13, v34, v17 :: v_dual_fmac_f32 v4, v37, v22
	v_fmac_f32_e32 v9, v33, v16
	ds_load_2addr_b32 v[32:33], v10 offset0:160 offset1:176
	s_waitcnt lgkmcnt(4)
	v_fmac_f32_e32 v4, v39, v23
	v_fmac_f32_e32 v9, v35, v17
	ds_load_2addr_b32 v[16:17], v10 offset0:192 offset1:208
	s_waitcnt lgkmcnt(2)
	v_dual_fmac_f32 v4, v41, v28 :: v_dual_fmac_f32 v13, v36, v18
	v_fmac_f32_e32 v9, v37, v18
	s_waitcnt lgkmcnt(1)
	s_delay_alu instid0(VALU_DEP_1)
	v_dual_fmac_f32 v9, v39, v19 :: v_dual_fmac_f32 v4, v33, v29
	v_fmac_f32_e32 v7, v34, v21
	ds_load_2addr_b32 v[20:21], v10 offset0:224 offset1:240
	v_fmac_f32_e32 v13, v38, v19
	v_fmac_f32_e32 v9, v41, v24
	s_waitcnt lgkmcnt(1)
	v_fmac_f32_e32 v4, v17, v30
	v_fmac_f32_e32 v7, v36, v22
	s_waitcnt lgkmcnt(0)
	v_fmac_f32_e32 v13, v40, v24
	v_fmac_f32_e32 v9, v33, v25
	s_barrier
	buffer_gl0_inv
	v_fmac_f32_e32 v13, v32, v25
	v_fmac_f32_e32 v9, v17, v26
	s_delay_alu instid0(VALU_DEP_2) | instskip(SKIP_1) | instid1(VALU_DEP_2)
	v_dual_fmac_f32 v13, v16, v26 :: v_dual_fmac_f32 v4, v21, v31
	v_fmac_f32_e32 v7, v38, v23
	v_fmac_f32_e32 v13, v20, v27
	s_delay_alu instid0(VALU_DEP_4) | instskip(NEXT) | instid1(VALU_DEP_3)
	v_fmac_f32_e32 v9, v21, v27
	v_fmac_f32_e32 v7, v40, v28
	s_delay_alu instid0(VALU_DEP_1) | instskip(NEXT) | instid1(VALU_DEP_1)
	v_fmac_f32_e32 v7, v32, v29
	v_fmac_f32_e32 v7, v16, v30
	s_delay_alu instid0(VALU_DEP_1)
	v_fmac_f32_e32 v7, v20, v31
	s_cbranch_scc1 .LBB525_7
.LBB525_3:                              ; =>This Inner Loop Header: Depth=1
	v_add_nc_u32_e32 v16, s11, v12
	s_delay_alu instid0(VALU_DEP_1) | instskip(SKIP_1) | instid1(VALU_DEP_2)
	v_cmp_gt_i32_e64 s3, s5, v16
	v_mov_b32_e32 v16, 0
	s_and_b32 s12, vcc_lo, s3
	s_delay_alu instid0(SALU_CYCLE_1)
	s_and_saveexec_b32 s3, s12
	s_cbranch_execz .LBB525_5
; %bb.4:                                ;   in Loop: Header=BB525_3 Depth=1
	global_load_b32 v16, v[0:1], off
.LBB525_5:                              ;   in Loop: Header=BB525_3 Depth=1
	s_or_b32 exec_lo, exec_lo, s3
	v_add_nc_u32_e32 v17, s11, v8
	s_waitcnt vmcnt(0)
	ds_store_b32 v14, v16
	v_cmp_gt_i32_e64 s3, s5, v17
	v_mov_b32_e32 v17, 0
	s_delay_alu instid0(VALU_DEP_2) | instskip(NEXT) | instid1(SALU_CYCLE_1)
	s_and_b32 s12, s3, s2
	s_and_saveexec_b32 s3, s12
	s_cbranch_execz .LBB525_2
; %bb.6:                                ;   in Loop: Header=BB525_3 Depth=1
	global_load_b32 v17, v[2:3], off
	s_branch .LBB525_2
.LBB525_7:
	s_load_b32 s2, s[0:1], 0x50
	v_add_nc_u32_e32 v6, s10, v6
	v_add_nc_u32_e32 v0, s7, v5
	s_delay_alu instid0(VALU_DEP_1) | instskip(SKIP_1) | instid1(VALU_DEP_2)
	v_cmp_le_i32_e64 s0, v6, v0
	v_cmp_gt_i32_e32 vcc_lo, s4, v0
	s_and_b32 s0, s0, vcc_lo
	s_waitcnt lgkmcnt(0)
	v_mad_i64_i32 v[1:2], null, v6, s2, 0
	s_delay_alu instid0(VALU_DEP_1) | instskip(NEXT) | instid1(VALU_DEP_1)
	v_lshlrev_b64 v[1:2], 2, v[1:2]
	v_add_co_u32 v5, s1, s8, v1
	s_delay_alu instid0(VALU_DEP_1)
	v_add_co_ci_u32_e64 v8, s1, s9, v2, s1
	s_and_saveexec_b32 s1, s0
	s_cbranch_execz .LBB525_9
; %bb.8:
	v_ashrrev_i32_e32 v1, 31, v0
	v_mul_f32_e32 v3, s6, v13
	s_delay_alu instid0(VALU_DEP_2) | instskip(NEXT) | instid1(VALU_DEP_1)
	v_lshlrev_b64 v[1:2], 2, v[0:1]
	v_add_co_u32 v1, s0, v5, v1
	s_delay_alu instid0(VALU_DEP_1)
	v_add_co_ci_u32_e64 v2, s0, v8, v2, s0
	global_store_b32 v[1:2], v3, off
.LBB525_9:
	s_or_b32 exec_lo, exec_lo, s1
	v_add_nc_u32_e32 v2, 16, v0
	s_delay_alu instid0(VALU_DEP_1) | instskip(SKIP_1) | instid1(VALU_DEP_1)
	v_cmp_le_i32_e64 s1, v6, v2
	v_cmp_gt_i32_e64 s0, s4, v2
	s_and_b32 s1, s1, s0
	s_delay_alu instid0(SALU_CYCLE_1)
	s_and_saveexec_b32 s3, s1
	s_cbranch_execz .LBB525_11
; %bb.10:
	v_ashrrev_i32_e32 v3, 31, v2
	v_mul_f32_e32 v1, s6, v9
	s_delay_alu instid0(VALU_DEP_2) | instskip(NEXT) | instid1(VALU_DEP_1)
	v_lshlrev_b64 v[10:11], 2, v[2:3]
	v_add_co_u32 v9, s1, v5, v10
	s_delay_alu instid0(VALU_DEP_1)
	v_add_co_ci_u32_e64 v10, s1, v8, v11, s1
	global_store_b32 v[9:10], v1, off
.LBB525_11:
	s_or_b32 exec_lo, exec_lo, s3
	v_add_nc_u32_e32 v3, 16, v6
	s_delay_alu instid0(VALU_DEP_1) | instskip(SKIP_1) | instid1(VALU_DEP_2)
	v_mad_i64_i32 v[5:6], null, v3, s2, 0
	v_cmp_le_i32_e64 s1, v3, v0
	v_lshlrev_b64 v[5:6], 2, v[5:6]
	s_delay_alu instid0(VALU_DEP_1) | instskip(NEXT) | instid1(VALU_DEP_1)
	v_add_co_u32 v5, s2, s8, v5
	v_add_co_ci_u32_e64 v6, s2, s9, v6, s2
	s_delay_alu instid0(VALU_DEP_4) | instskip(NEXT) | instid1(SALU_CYCLE_1)
	s_and_b32 s2, s1, vcc_lo
	s_and_saveexec_b32 s1, s2
	s_cbranch_execz .LBB525_13
; %bb.12:
	v_ashrrev_i32_e32 v1, 31, v0
	v_mul_f32_e32 v7, s6, v7
	s_delay_alu instid0(VALU_DEP_2) | instskip(NEXT) | instid1(VALU_DEP_1)
	v_lshlrev_b64 v[0:1], 2, v[0:1]
	v_add_co_u32 v0, vcc_lo, v5, v0
	s_delay_alu instid0(VALU_DEP_2)
	v_add_co_ci_u32_e32 v1, vcc_lo, v6, v1, vcc_lo
	global_store_b32 v[0:1], v7, off
.LBB525_13:
	s_or_b32 exec_lo, exec_lo, s1
	v_cmp_le_i32_e32 vcc_lo, v3, v2
	s_and_b32 s0, vcc_lo, s0
	s_delay_alu instid0(SALU_CYCLE_1)
	s_and_saveexec_b32 s1, s0
	s_cbranch_execz .LBB525_15
; %bb.14:
	v_ashrrev_i32_e32 v3, 31, v2
	s_delay_alu instid0(VALU_DEP_1) | instskip(SKIP_1) | instid1(VALU_DEP_2)
	v_lshlrev_b64 v[0:1], 2, v[2:3]
	v_mul_f32_e32 v2, s6, v4
	v_add_co_u32 v0, vcc_lo, v5, v0
	s_delay_alu instid0(VALU_DEP_3)
	v_add_co_ci_u32_e32 v1, vcc_lo, v6, v1, vcc_lo
	global_store_b32 v[0:1], v2, off
.LBB525_15:
	s_nop 0
	s_sendmsg sendmsg(MSG_DEALLOC_VGPRS)
	s_endpgm
	.section	.rodata,"a",@progbits
	.p2align	6, 0x0
	.amdhsa_kernel _ZL34rocblas_syrkx_herkx_general_kernelIifLi16ELi32ELi8ELb1ELb0ELc67ELc76EKPKfKPfEviT_T0_PT8_S5_lS8_S5_lS6_PT9_S5_li
		.amdhsa_group_segment_fixed_size 2048
		.amdhsa_private_segment_fixed_size 0
		.amdhsa_kernarg_size 100
		.amdhsa_user_sgpr_count 13
		.amdhsa_user_sgpr_dispatch_ptr 0
		.amdhsa_user_sgpr_queue_ptr 0
		.amdhsa_user_sgpr_kernarg_segment_ptr 1
		.amdhsa_user_sgpr_dispatch_id 0
		.amdhsa_user_sgpr_private_segment_size 0
		.amdhsa_wavefront_size32 1
		.amdhsa_uses_dynamic_stack 0
		.amdhsa_enable_private_segment 0
		.amdhsa_system_sgpr_workgroup_id_x 1
		.amdhsa_system_sgpr_workgroup_id_y 1
		.amdhsa_system_sgpr_workgroup_id_z 1
		.amdhsa_system_sgpr_workgroup_info 0
		.amdhsa_system_vgpr_workitem_id 1
		.amdhsa_next_free_vgpr 42
		.amdhsa_next_free_sgpr 18
		.amdhsa_reserve_vcc 1
		.amdhsa_float_round_mode_32 0
		.amdhsa_float_round_mode_16_64 0
		.amdhsa_float_denorm_mode_32 3
		.amdhsa_float_denorm_mode_16_64 3
		.amdhsa_dx10_clamp 1
		.amdhsa_ieee_mode 1
		.amdhsa_fp16_overflow 0
		.amdhsa_workgroup_processor_mode 1
		.amdhsa_memory_ordered 1
		.amdhsa_forward_progress 0
		.amdhsa_shared_vgpr_count 0
		.amdhsa_exception_fp_ieee_invalid_op 0
		.amdhsa_exception_fp_denorm_src 0
		.amdhsa_exception_fp_ieee_div_zero 0
		.amdhsa_exception_fp_ieee_overflow 0
		.amdhsa_exception_fp_ieee_underflow 0
		.amdhsa_exception_fp_ieee_inexact 0
		.amdhsa_exception_int_div_zero 0
	.end_amdhsa_kernel
	.section	.text._ZL34rocblas_syrkx_herkx_general_kernelIifLi16ELi32ELi8ELb1ELb0ELc67ELc76EKPKfKPfEviT_T0_PT8_S5_lS8_S5_lS6_PT9_S5_li,"axG",@progbits,_ZL34rocblas_syrkx_herkx_general_kernelIifLi16ELi32ELi8ELb1ELb0ELc67ELc76EKPKfKPfEviT_T0_PT8_S5_lS8_S5_lS6_PT9_S5_li,comdat
.Lfunc_end525:
	.size	_ZL34rocblas_syrkx_herkx_general_kernelIifLi16ELi32ELi8ELb1ELb0ELc67ELc76EKPKfKPfEviT_T0_PT8_S5_lS8_S5_lS6_PT9_S5_li, .Lfunc_end525-_ZL34rocblas_syrkx_herkx_general_kernelIifLi16ELi32ELi8ELb1ELb0ELc67ELc76EKPKfKPfEviT_T0_PT8_S5_lS8_S5_lS6_PT9_S5_li
                                        ; -- End function
	.section	.AMDGPU.csdata,"",@progbits
; Kernel info:
; codeLenInByte = 1316
; NumSgprs: 20
; NumVgprs: 42
; ScratchSize: 0
; MemoryBound: 0
; FloatMode: 240
; IeeeMode: 1
; LDSByteSize: 2048 bytes/workgroup (compile time only)
; SGPRBlocks: 2
; VGPRBlocks: 5
; NumSGPRsForWavesPerEU: 20
; NumVGPRsForWavesPerEU: 42
; Occupancy: 16
; WaveLimiterHint : 1
; COMPUTE_PGM_RSRC2:SCRATCH_EN: 0
; COMPUTE_PGM_RSRC2:USER_SGPR: 13
; COMPUTE_PGM_RSRC2:TRAP_HANDLER: 0
; COMPUTE_PGM_RSRC2:TGID_X_EN: 1
; COMPUTE_PGM_RSRC2:TGID_Y_EN: 1
; COMPUTE_PGM_RSRC2:TGID_Z_EN: 1
; COMPUTE_PGM_RSRC2:TIDIG_COMP_CNT: 1
	.section	.text._ZL34rocblas_syrkx_herkx_general_kernelIifLi16ELi32ELi8ELb1ELb0ELc78ELc76EKPKfKPfEviT_T0_PT8_S5_lS8_S5_lS6_PT9_S5_li,"axG",@progbits,_ZL34rocblas_syrkx_herkx_general_kernelIifLi16ELi32ELi8ELb1ELb0ELc78ELc76EKPKfKPfEviT_T0_PT8_S5_lS8_S5_lS6_PT9_S5_li,comdat
	.globl	_ZL34rocblas_syrkx_herkx_general_kernelIifLi16ELi32ELi8ELb1ELb0ELc78ELc76EKPKfKPfEviT_T0_PT8_S5_lS8_S5_lS6_PT9_S5_li ; -- Begin function _ZL34rocblas_syrkx_herkx_general_kernelIifLi16ELi32ELi8ELb1ELb0ELc78ELc76EKPKfKPfEviT_T0_PT8_S5_lS8_S5_lS6_PT9_S5_li
	.p2align	8
	.type	_ZL34rocblas_syrkx_herkx_general_kernelIifLi16ELi32ELi8ELb1ELb0ELc78ELc76EKPKfKPfEviT_T0_PT8_S5_lS8_S5_lS6_PT9_S5_li,@function
_ZL34rocblas_syrkx_herkx_general_kernelIifLi16ELi32ELi8ELb1ELb0ELc78ELc76EKPKfKPfEviT_T0_PT8_S5_lS8_S5_lS6_PT9_S5_li: ; @_ZL34rocblas_syrkx_herkx_general_kernelIifLi16ELi32ELi8ELb1ELb0ELc78ELc76EKPKfKPfEviT_T0_PT8_S5_lS8_S5_lS6_PT9_S5_li
; %bb.0:
	s_clause 0x1
	s_load_b64 s[8:9], s[0:1], 0x48
	s_load_b128 s[4:7], s[0:1], 0x0
	s_mov_b32 s10, s15
	s_mov_b32 s11, 0
	v_dual_mov_b32 v9, 0 :: v_dual_and_b32 v4, 0x3ff, v0
	s_lshl_b64 s[2:3], s[10:11], 3
	v_bfe_u32 v5, v0, 10, 10
	v_dual_mov_b32 v12, 0 :: v_dual_mov_b32 v7, 0
	v_mov_b32_e32 v6, 0
	s_waitcnt lgkmcnt(0)
	s_add_u32 s8, s8, s2
	s_addc_u32 s9, s9, s3
	s_lshl_b32 s7, s13, 5
	s_load_b64 s[8:9], s[8:9], 0x0
	s_lshl_b32 s10, s14, 5
	s_cmp_lt_i32 s5, 1
	s_cbranch_scc1 .LBB526_7
; %bb.1:
	s_clause 0x3
	s_load_b32 s12, s[0:1], 0x18
	s_load_b32 s14, s[0:1], 0x30
	s_load_b64 s[16:17], s[0:1], 0x28
	s_load_b64 s[18:19], s[0:1], 0x10
	v_lshl_add_u32 v0, v5, 4, v4
	v_and_b32_e32 v8, 7, v4
	v_lshlrev_b32_e32 v14, 2, v4
	v_mov_b32_e32 v12, 0
	v_lshl_add_u32 v15, v5, 5, 0x400
	v_and_b32_e32 v1, 31, v0
	v_lshrrev_b32_e32 v2, 3, v0
	v_lshlrev_b32_e32 v3, 2, v8
	v_lshrrev_b32_e32 v10, 5, v0
	s_delay_alu instid0(VALU_DEP_4)
	v_or_b32_e32 v6, s7, v1
	v_lshlrev_b32_e32 v7, 2, v1
	v_add_nc_u32_e32 v0, s10, v2
	v_lshl_or_b32 v9, v2, 5, v3
	v_add_nc_u32_e32 v2, s7, v1
	v_cmp_gt_i32_e32 vcc_lo, s4, v6
	v_lshl_or_b32 v11, v10, 7, v7
	s_waitcnt lgkmcnt(0)
	s_ashr_i32 s13, s12, 31
	s_ashr_i32 s15, s14, 31
	s_add_u32 s16, s16, s2
	s_addc_u32 s17, s17, s3
	s_add_u32 s2, s18, s2
	s_addc_u32 s3, s19, s3
	v_mad_i64_i32 v[6:7], null, v10, s12, 0
	s_load_b64 s[16:17], s[16:17], 0x0
	s_load_b64 s[18:19], s[2:3], 0x0
	v_ashrrev_i32_e32 v3, 31, v2
	v_mad_i64_i32 v[16:17], null, s14, v8, 0
	v_add_nc_u32_e32 v13, 0x400, v9
	v_mov_b32_e32 v9, 0
	v_ashrrev_i32_e32 v1, 31, v0
	v_lshlrev_b64 v[6:7], 2, v[6:7]
	v_lshlrev_b64 v[2:3], 2, v[2:3]
	v_cmp_gt_i32_e64 s2, s4, v0
	v_lshlrev_b64 v[16:17], 2, v[16:17]
	v_lshlrev_b64 v[0:1], 2, v[0:1]
	s_lshl_b64 s[12:13], s[12:13], 5
	s_lshl_b64 s[14:15], s[14:15], 5
	v_add_co_u32 v2, s3, v6, v2
	s_delay_alu instid0(VALU_DEP_1) | instskip(NEXT) | instid1(VALU_DEP_3)
	v_add_co_ci_u32_e64 v3, s3, v7, v3, s3
	v_add_co_u32 v6, s3, v16, v0
	s_delay_alu instid0(VALU_DEP_1) | instskip(SKIP_2) | instid1(VALU_DEP_1)
	v_add_co_ci_u32_e64 v7, s3, v17, v1, s3
	s_waitcnt lgkmcnt(0)
	v_add_co_u32 v0, s3, s18, v2
	v_add_co_ci_u32_e64 v1, s3, s19, v3, s3
	v_add_co_u32 v2, s3, s16, v6
	s_delay_alu instid0(VALU_DEP_1)
	v_add_co_ci_u32_e64 v3, s3, s17, v7, s3
	v_dual_mov_b32 v6, 0 :: v_dual_mov_b32 v7, 0
	s_branch .LBB526_3
.LBB526_2:                              ;   in Loop: Header=BB526_3 Depth=1
	s_or_b32 exec_lo, exec_lo, s3
	s_waitcnt vmcnt(0)
	ds_store_b32 v13, v17
	s_waitcnt lgkmcnt(0)
	s_barrier
	buffer_gl0_inv
	ds_load_2addr_b32 v[32:33], v14 offset1:16
	ds_load_b128 v[16:19], v15
	ds_load_b128 v[20:23], v15 offset:512
	ds_load_2addr_b32 v[34:35], v14 offset0:32 offset1:48
	ds_load_2addr_b32 v[36:37], v14 offset0:64 offset1:80
	;; [unrolled: 1-line block ×3, first 2 shown]
	ds_load_b128 v[24:27], v15 offset:16
	ds_load_2addr_b32 v[40:41], v14 offset0:128 offset1:144
	ds_load_b128 v[28:31], v15 offset:528
	v_add_co_u32 v0, s3, v0, s12
	s_delay_alu instid0(VALU_DEP_1) | instskip(SKIP_1) | instid1(VALU_DEP_1)
	v_add_co_ci_u32_e64 v1, s3, s13, v1, s3
	v_add_co_u32 v2, s3, v2, s14
	v_add_co_ci_u32_e64 v3, s3, s15, v3, s3
	s_add_i32 s11, s11, 8
	s_delay_alu instid0(SALU_CYCLE_1)
	s_cmp_ge_i32 s11, s5
	s_waitcnt lgkmcnt(7)
	v_fmac_f32_e32 v9, v33, v16
	v_fmac_f32_e32 v12, v32, v16
	s_waitcnt lgkmcnt(6)
	v_fmac_f32_e32 v6, v33, v20
	v_fmac_f32_e32 v7, v32, v20
	ds_load_2addr_b32 v[32:33], v14 offset0:160 offset1:176
	s_waitcnt lgkmcnt(6)
	v_fmac_f32_e32 v9, v35, v17
	v_fmac_f32_e32 v12, v34, v17
	v_fmac_f32_e32 v6, v35, v21
	v_fmac_f32_e32 v7, v34, v21
	ds_load_2addr_b32 v[16:17], v14 offset0:192 offset1:208
	s_waitcnt lgkmcnt(6)
	v_fmac_f32_e32 v9, v37, v18
	v_fmac_f32_e32 v12, v36, v18
	;; [unrolled: 6-line block ×3, first 2 shown]
	v_fmac_f32_e32 v6, v39, v23
	v_fmac_f32_e32 v7, v38, v23
	s_waitcnt lgkmcnt(0)
	v_fmac_f32_e32 v9, v41, v24
	v_fmac_f32_e32 v12, v40, v24
	;; [unrolled: 1-line block ×4, first 2 shown]
	s_barrier
	v_fmac_f32_e32 v9, v33, v25
	v_fmac_f32_e32 v12, v32, v25
	;; [unrolled: 1-line block ×4, first 2 shown]
	buffer_gl0_inv
	v_fmac_f32_e32 v9, v17, v26
	v_fmac_f32_e32 v12, v16, v26
	;; [unrolled: 1-line block ×4, first 2 shown]
	s_delay_alu instid0(VALU_DEP_4) | instskip(NEXT) | instid1(VALU_DEP_4)
	v_fmac_f32_e32 v9, v21, v27
	v_fmac_f32_e32 v12, v20, v27
	s_delay_alu instid0(VALU_DEP_4) | instskip(NEXT) | instid1(VALU_DEP_4)
	v_fmac_f32_e32 v6, v21, v31
	v_fmac_f32_e32 v7, v20, v31
	s_cbranch_scc1 .LBB526_7
.LBB526_3:                              ; =>This Inner Loop Header: Depth=1
	v_add_nc_u32_e32 v16, s11, v10
	s_delay_alu instid0(VALU_DEP_1) | instskip(SKIP_1) | instid1(VALU_DEP_2)
	v_cmp_gt_i32_e64 s3, s5, v16
	v_mov_b32_e32 v16, 0
	s_and_b32 s16, vcc_lo, s3
	s_delay_alu instid0(SALU_CYCLE_1)
	s_and_saveexec_b32 s3, s16
	s_cbranch_execz .LBB526_5
; %bb.4:                                ;   in Loop: Header=BB526_3 Depth=1
	global_load_b32 v16, v[0:1], off
.LBB526_5:                              ;   in Loop: Header=BB526_3 Depth=1
	s_or_b32 exec_lo, exec_lo, s3
	v_add_nc_u32_e32 v17, s11, v8
	s_waitcnt vmcnt(0)
	ds_store_b32 v11, v16
	v_cmp_gt_i32_e64 s3, s5, v17
	v_mov_b32_e32 v17, 0
	s_delay_alu instid0(VALU_DEP_2) | instskip(NEXT) | instid1(SALU_CYCLE_1)
	s_and_b32 s16, s3, s2
	s_and_saveexec_b32 s3, s16
	s_cbranch_execz .LBB526_2
; %bb.6:                                ;   in Loop: Header=BB526_3 Depth=1
	global_load_b32 v17, v[2:3], off
	s_branch .LBB526_2
.LBB526_7:
	s_load_b32 s2, s[0:1], 0x50
	v_add_nc_u32_e32 v5, s10, v5
	v_add_nc_u32_e32 v0, s7, v4
	s_delay_alu instid0(VALU_DEP_1) | instskip(SKIP_1) | instid1(VALU_DEP_2)
	v_cmp_le_i32_e64 s0, v5, v0
	v_cmp_gt_i32_e32 vcc_lo, s4, v0
	s_and_b32 s0, s0, vcc_lo
	s_waitcnt lgkmcnt(0)
	v_mad_i64_i32 v[1:2], null, v5, s2, 0
	s_delay_alu instid0(VALU_DEP_1) | instskip(NEXT) | instid1(VALU_DEP_1)
	v_lshlrev_b64 v[1:2], 2, v[1:2]
	v_add_co_u32 v4, s1, s8, v1
	s_delay_alu instid0(VALU_DEP_1)
	v_add_co_ci_u32_e64 v8, s1, s9, v2, s1
	s_and_saveexec_b32 s1, s0
	s_cbranch_execz .LBB526_9
; %bb.8:
	v_ashrrev_i32_e32 v1, 31, v0
	v_mul_f32_e32 v3, s6, v12
	s_delay_alu instid0(VALU_DEP_2) | instskip(NEXT) | instid1(VALU_DEP_1)
	v_lshlrev_b64 v[1:2], 2, v[0:1]
	v_add_co_u32 v1, s0, v4, v1
	s_delay_alu instid0(VALU_DEP_1)
	v_add_co_ci_u32_e64 v2, s0, v8, v2, s0
	global_store_b32 v[1:2], v3, off
.LBB526_9:
	s_or_b32 exec_lo, exec_lo, s1
	v_add_nc_u32_e32 v2, 16, v0
	s_delay_alu instid0(VALU_DEP_1) | instskip(SKIP_1) | instid1(VALU_DEP_1)
	v_cmp_le_i32_e64 s1, v5, v2
	v_cmp_gt_i32_e64 s0, s4, v2
	s_and_b32 s1, s1, s0
	s_delay_alu instid0(SALU_CYCLE_1)
	s_and_saveexec_b32 s3, s1
	s_cbranch_execz .LBB526_11
; %bb.10:
	v_ashrrev_i32_e32 v3, 31, v2
	v_mul_f32_e32 v1, s6, v9
	s_delay_alu instid0(VALU_DEP_2) | instskip(NEXT) | instid1(VALU_DEP_1)
	v_lshlrev_b64 v[10:11], 2, v[2:3]
	v_add_co_u32 v3, s1, v4, v10
	s_delay_alu instid0(VALU_DEP_1)
	v_add_co_ci_u32_e64 v4, s1, v8, v11, s1
	global_store_b32 v[3:4], v1, off
.LBB526_11:
	s_or_b32 exec_lo, exec_lo, s3
	v_add_nc_u32_e32 v3, 16, v5
	s_delay_alu instid0(VALU_DEP_1) | instskip(SKIP_1) | instid1(VALU_DEP_2)
	v_mad_i64_i32 v[4:5], null, v3, s2, 0
	v_cmp_le_i32_e64 s1, v3, v0
	v_lshlrev_b64 v[4:5], 2, v[4:5]
	s_delay_alu instid0(VALU_DEP_1) | instskip(NEXT) | instid1(VALU_DEP_1)
	v_add_co_u32 v4, s2, s8, v4
	v_add_co_ci_u32_e64 v5, s2, s9, v5, s2
	s_delay_alu instid0(VALU_DEP_4) | instskip(NEXT) | instid1(SALU_CYCLE_1)
	s_and_b32 s2, s1, vcc_lo
	s_and_saveexec_b32 s1, s2
	s_cbranch_execz .LBB526_13
; %bb.12:
	v_ashrrev_i32_e32 v1, 31, v0
	v_mul_f32_e32 v7, s6, v7
	s_delay_alu instid0(VALU_DEP_2) | instskip(NEXT) | instid1(VALU_DEP_1)
	v_lshlrev_b64 v[0:1], 2, v[0:1]
	v_add_co_u32 v0, vcc_lo, v4, v0
	s_delay_alu instid0(VALU_DEP_2)
	v_add_co_ci_u32_e32 v1, vcc_lo, v5, v1, vcc_lo
	global_store_b32 v[0:1], v7, off
.LBB526_13:
	s_or_b32 exec_lo, exec_lo, s1
	v_cmp_le_i32_e32 vcc_lo, v3, v2
	s_and_b32 s0, vcc_lo, s0
	s_delay_alu instid0(SALU_CYCLE_1)
	s_and_saveexec_b32 s1, s0
	s_cbranch_execz .LBB526_15
; %bb.14:
	v_ashrrev_i32_e32 v3, 31, v2
	s_delay_alu instid0(VALU_DEP_1) | instskip(SKIP_1) | instid1(VALU_DEP_2)
	v_lshlrev_b64 v[0:1], 2, v[2:3]
	v_mul_f32_e32 v2, s6, v6
	v_add_co_u32 v0, vcc_lo, v4, v0
	s_delay_alu instid0(VALU_DEP_3)
	v_add_co_ci_u32_e32 v1, vcc_lo, v5, v1, vcc_lo
	global_store_b32 v[0:1], v2, off
.LBB526_15:
	s_nop 0
	s_sendmsg sendmsg(MSG_DEALLOC_VGPRS)
	s_endpgm
	.section	.rodata,"a",@progbits
	.p2align	6, 0x0
	.amdhsa_kernel _ZL34rocblas_syrkx_herkx_general_kernelIifLi16ELi32ELi8ELb1ELb0ELc78ELc76EKPKfKPfEviT_T0_PT8_S5_lS8_S5_lS6_PT9_S5_li
		.amdhsa_group_segment_fixed_size 2048
		.amdhsa_private_segment_fixed_size 0
		.amdhsa_kernarg_size 100
		.amdhsa_user_sgpr_count 13
		.amdhsa_user_sgpr_dispatch_ptr 0
		.amdhsa_user_sgpr_queue_ptr 0
		.amdhsa_user_sgpr_kernarg_segment_ptr 1
		.amdhsa_user_sgpr_dispatch_id 0
		.amdhsa_user_sgpr_private_segment_size 0
		.amdhsa_wavefront_size32 1
		.amdhsa_uses_dynamic_stack 0
		.amdhsa_enable_private_segment 0
		.amdhsa_system_sgpr_workgroup_id_x 1
		.amdhsa_system_sgpr_workgroup_id_y 1
		.amdhsa_system_sgpr_workgroup_id_z 1
		.amdhsa_system_sgpr_workgroup_info 0
		.amdhsa_system_vgpr_workitem_id 1
		.amdhsa_next_free_vgpr 42
		.amdhsa_next_free_sgpr 20
		.amdhsa_reserve_vcc 1
		.amdhsa_float_round_mode_32 0
		.amdhsa_float_round_mode_16_64 0
		.amdhsa_float_denorm_mode_32 3
		.amdhsa_float_denorm_mode_16_64 3
		.amdhsa_dx10_clamp 1
		.amdhsa_ieee_mode 1
		.amdhsa_fp16_overflow 0
		.amdhsa_workgroup_processor_mode 1
		.amdhsa_memory_ordered 1
		.amdhsa_forward_progress 0
		.amdhsa_shared_vgpr_count 0
		.amdhsa_exception_fp_ieee_invalid_op 0
		.amdhsa_exception_fp_denorm_src 0
		.amdhsa_exception_fp_ieee_div_zero 0
		.amdhsa_exception_fp_ieee_overflow 0
		.amdhsa_exception_fp_ieee_underflow 0
		.amdhsa_exception_fp_ieee_inexact 0
		.amdhsa_exception_int_div_zero 0
	.end_amdhsa_kernel
	.section	.text._ZL34rocblas_syrkx_herkx_general_kernelIifLi16ELi32ELi8ELb1ELb0ELc78ELc76EKPKfKPfEviT_T0_PT8_S5_lS8_S5_lS6_PT9_S5_li,"axG",@progbits,_ZL34rocblas_syrkx_herkx_general_kernelIifLi16ELi32ELi8ELb1ELb0ELc78ELc76EKPKfKPfEviT_T0_PT8_S5_lS8_S5_lS6_PT9_S5_li,comdat
.Lfunc_end526:
	.size	_ZL34rocblas_syrkx_herkx_general_kernelIifLi16ELi32ELi8ELb1ELb0ELc78ELc76EKPKfKPfEviT_T0_PT8_S5_lS8_S5_lS6_PT9_S5_li, .Lfunc_end526-_ZL34rocblas_syrkx_herkx_general_kernelIifLi16ELi32ELi8ELb1ELb0ELc78ELc76EKPKfKPfEviT_T0_PT8_S5_lS8_S5_lS6_PT9_S5_li
                                        ; -- End function
	.section	.AMDGPU.csdata,"",@progbits
; Kernel info:
; codeLenInByte = 1324
; NumSgprs: 22
; NumVgprs: 42
; ScratchSize: 0
; MemoryBound: 0
; FloatMode: 240
; IeeeMode: 1
; LDSByteSize: 2048 bytes/workgroup (compile time only)
; SGPRBlocks: 2
; VGPRBlocks: 5
; NumSGPRsForWavesPerEU: 22
; NumVGPRsForWavesPerEU: 42
; Occupancy: 16
; WaveLimiterHint : 1
; COMPUTE_PGM_RSRC2:SCRATCH_EN: 0
; COMPUTE_PGM_RSRC2:USER_SGPR: 13
; COMPUTE_PGM_RSRC2:TRAP_HANDLER: 0
; COMPUTE_PGM_RSRC2:TGID_X_EN: 1
; COMPUTE_PGM_RSRC2:TGID_Y_EN: 1
; COMPUTE_PGM_RSRC2:TGID_Z_EN: 1
; COMPUTE_PGM_RSRC2:TIDIG_COMP_CNT: 1
	.section	.text._ZL34rocblas_syrkx_herkx_general_kernelIifLi16ELi32ELi8ELb1ELb0ELc84ELc85EKPKfKPfEviT_T0_PT8_S5_lS8_S5_lS6_PT9_S5_li,"axG",@progbits,_ZL34rocblas_syrkx_herkx_general_kernelIifLi16ELi32ELi8ELb1ELb0ELc84ELc85EKPKfKPfEviT_T0_PT8_S5_lS8_S5_lS6_PT9_S5_li,comdat
	.globl	_ZL34rocblas_syrkx_herkx_general_kernelIifLi16ELi32ELi8ELb1ELb0ELc84ELc85EKPKfKPfEviT_T0_PT8_S5_lS8_S5_lS6_PT9_S5_li ; -- Begin function _ZL34rocblas_syrkx_herkx_general_kernelIifLi16ELi32ELi8ELb1ELb0ELc84ELc85EKPKfKPfEviT_T0_PT8_S5_lS8_S5_lS6_PT9_S5_li
	.p2align	8
	.type	_ZL34rocblas_syrkx_herkx_general_kernelIifLi16ELi32ELi8ELb1ELb0ELc84ELc85EKPKfKPfEviT_T0_PT8_S5_lS8_S5_lS6_PT9_S5_li,@function
_ZL34rocblas_syrkx_herkx_general_kernelIifLi16ELi32ELi8ELb1ELb0ELc84ELc85EKPKfKPfEviT_T0_PT8_S5_lS8_S5_lS6_PT9_S5_li: ; @_ZL34rocblas_syrkx_herkx_general_kernelIifLi16ELi32ELi8ELb1ELb0ELc84ELc85EKPKfKPfEviT_T0_PT8_S5_lS8_S5_lS6_PT9_S5_li
; %bb.0:
	s_clause 0x1
	s_load_b64 s[8:9], s[0:1], 0x48
	s_load_b128 s[4:7], s[0:1], 0x0
	s_mov_b32 s10, s15
	s_mov_b32 s11, 0
	v_dual_mov_b32 v4, 0 :: v_dual_and_b32 v5, 0x3ff, v0
	s_lshl_b64 s[2:3], s[10:11], 3
	v_bfe_u32 v6, v0, 10, 10
	v_mov_b32_e32 v13, 0
	v_mov_b32_e32 v9, 0
	;; [unrolled: 1-line block ×3, first 2 shown]
	s_waitcnt lgkmcnt(0)
	s_add_u32 s8, s8, s2
	s_addc_u32 s9, s9, s3
	s_lshl_b32 s7, s13, 5
	s_load_b64 s[8:9], s[8:9], 0x0
	s_lshl_b32 s10, s14, 5
	s_cmp_lt_i32 s5, 1
	s_cbranch_scc1 .LBB527_7
; %bb.1:
	s_clause 0x3
	s_load_b64 s[12:13], s[0:1], 0x28
	s_load_b32 s16, s[0:1], 0x18
	s_load_b64 s[14:15], s[0:1], 0x10
	s_load_b32 s17, s[0:1], 0x30
	v_lshl_add_u32 v0, v6, 4, v5
	v_and_b32_e32 v8, 7, v5
	v_lshlrev_b32_e32 v10, 2, v5
	v_lshl_add_u32 v11, v6, 5, 0x400
	s_delay_alu instid0(VALU_DEP_4) | instskip(SKIP_3) | instid1(VALU_DEP_4)
	v_and_b32_e32 v1, 31, v0
	v_lshrrev_b32_e32 v2, 3, v0
	v_lshrrev_b32_e32 v12, 5, v0
	v_lshlrev_b32_e32 v4, 2, v8
	v_add_nc_u32_e32 v3, s7, v1
	s_delay_alu instid0(VALU_DEP_4)
	v_add_nc_u32_e32 v7, s10, v2
	v_lshlrev_b32_e32 v13, 2, v1
	v_or_b32_e32 v9, s7, v1
	v_lshlrev_b32_e32 v16, 2, v12
	s_waitcnt lgkmcnt(0)
	s_add_u32 s12, s12, s2
	s_addc_u32 s13, s13, s3
	s_add_u32 s2, s14, s2
	s_addc_u32 s3, s15, s3
	v_mad_i64_i32 v[0:1], null, s16, v3, 0
	s_load_b64 s[14:15], s[2:3], 0x0
	s_load_b64 s[12:13], s[12:13], 0x0
	v_lshl_or_b32 v14, v12, 7, v13
	v_mov_b32_e32 v13, 0
	v_lshl_or_b32 v15, v2, 5, v4
	v_mad_i64_i32 v[2:3], null, s17, v7, 0
	v_lshlrev_b64 v[0:1], 2, v[0:1]
	v_cmp_gt_i32_e32 vcc_lo, s4, v9
	v_cmp_gt_i32_e64 s2, s4, v7
	v_add_nc_u32_e32 v15, 0x400, v15
	v_mov_b32_e32 v7, 0
	v_mov_b32_e32 v9, 0
	v_lshlrev_b64 v[2:3], 2, v[2:3]
	v_add_co_u32 v0, s3, v0, v16
	s_delay_alu instid0(VALU_DEP_1) | instskip(NEXT) | instid1(VALU_DEP_3)
	v_add_co_ci_u32_e64 v1, s3, 0, v1, s3
	v_add_co_u32 v2, s3, v2, v4
	s_delay_alu instid0(VALU_DEP_1) | instskip(SKIP_2) | instid1(VALU_DEP_1)
	v_add_co_ci_u32_e64 v3, s3, 0, v3, s3
	s_waitcnt lgkmcnt(0)
	v_add_co_u32 v0, s3, s14, v0
	v_add_co_ci_u32_e64 v1, s3, s15, v1, s3
	v_add_co_u32 v2, s3, s12, v2
	s_delay_alu instid0(VALU_DEP_1)
	v_add_co_ci_u32_e64 v3, s3, s13, v3, s3
	v_mov_b32_e32 v4, 0
	s_branch .LBB527_3
.LBB527_2:                              ;   in Loop: Header=BB527_3 Depth=1
	s_or_b32 exec_lo, exec_lo, s3
	s_waitcnt vmcnt(0)
	ds_store_b32 v15, v17
	s_waitcnt lgkmcnt(0)
	s_barrier
	buffer_gl0_inv
	ds_load_2addr_b32 v[32:33], v10 offset1:16
	ds_load_b128 v[16:19], v11
	ds_load_b128 v[20:23], v11 offset:512
	ds_load_2addr_b32 v[34:35], v10 offset0:32 offset1:48
	ds_load_2addr_b32 v[36:37], v10 offset0:64 offset1:80
	;; [unrolled: 1-line block ×3, first 2 shown]
	ds_load_b128 v[24:27], v11 offset:16
	ds_load_2addr_b32 v[40:41], v10 offset0:128 offset1:144
	ds_load_b128 v[28:31], v11 offset:528
	v_add_co_u32 v0, s3, v0, 32
	s_delay_alu instid0(VALU_DEP_1) | instskip(SKIP_1) | instid1(VALU_DEP_1)
	v_add_co_ci_u32_e64 v1, s3, 0, v1, s3
	v_add_co_u32 v2, s3, v2, 32
	v_add_co_ci_u32_e64 v3, s3, 0, v3, s3
	s_add_i32 s11, s11, 8
	s_delay_alu instid0(SALU_CYCLE_1) | instskip(SKIP_3) | instid1(VALU_DEP_1)
	s_cmp_ge_i32 s11, s5
	s_waitcnt lgkmcnt(6)
	v_fmac_f32_e32 v4, v33, v20
	s_waitcnt lgkmcnt(5)
	v_dual_fmac_f32 v13, v32, v16 :: v_dual_fmac_f32 v4, v35, v21
	v_fmac_f32_e32 v7, v32, v20
	s_waitcnt lgkmcnt(4)
	s_delay_alu instid0(VALU_DEP_2)
	v_dual_fmac_f32 v13, v34, v17 :: v_dual_fmac_f32 v4, v37, v22
	v_fmac_f32_e32 v9, v33, v16
	ds_load_2addr_b32 v[32:33], v10 offset0:160 offset1:176
	s_waitcnt lgkmcnt(4)
	v_fmac_f32_e32 v4, v39, v23
	v_fmac_f32_e32 v9, v35, v17
	ds_load_2addr_b32 v[16:17], v10 offset0:192 offset1:208
	s_waitcnt lgkmcnt(2)
	v_dual_fmac_f32 v4, v41, v28 :: v_dual_fmac_f32 v13, v36, v18
	v_fmac_f32_e32 v9, v37, v18
	s_waitcnt lgkmcnt(1)
	s_delay_alu instid0(VALU_DEP_1)
	v_dual_fmac_f32 v9, v39, v19 :: v_dual_fmac_f32 v4, v33, v29
	v_fmac_f32_e32 v7, v34, v21
	ds_load_2addr_b32 v[20:21], v10 offset0:224 offset1:240
	v_fmac_f32_e32 v13, v38, v19
	v_fmac_f32_e32 v9, v41, v24
	s_waitcnt lgkmcnt(1)
	v_fmac_f32_e32 v4, v17, v30
	v_fmac_f32_e32 v7, v36, v22
	s_waitcnt lgkmcnt(0)
	v_fmac_f32_e32 v13, v40, v24
	v_fmac_f32_e32 v9, v33, v25
	s_barrier
	buffer_gl0_inv
	v_fmac_f32_e32 v13, v32, v25
	v_fmac_f32_e32 v9, v17, v26
	s_delay_alu instid0(VALU_DEP_2) | instskip(SKIP_1) | instid1(VALU_DEP_2)
	v_dual_fmac_f32 v13, v16, v26 :: v_dual_fmac_f32 v4, v21, v31
	v_fmac_f32_e32 v7, v38, v23
	v_fmac_f32_e32 v13, v20, v27
	s_delay_alu instid0(VALU_DEP_4) | instskip(NEXT) | instid1(VALU_DEP_3)
	v_fmac_f32_e32 v9, v21, v27
	v_fmac_f32_e32 v7, v40, v28
	s_delay_alu instid0(VALU_DEP_1) | instskip(NEXT) | instid1(VALU_DEP_1)
	v_fmac_f32_e32 v7, v32, v29
	v_fmac_f32_e32 v7, v16, v30
	s_delay_alu instid0(VALU_DEP_1)
	v_fmac_f32_e32 v7, v20, v31
	s_cbranch_scc1 .LBB527_7
.LBB527_3:                              ; =>This Inner Loop Header: Depth=1
	v_add_nc_u32_e32 v16, s11, v12
	s_delay_alu instid0(VALU_DEP_1) | instskip(SKIP_1) | instid1(VALU_DEP_2)
	v_cmp_gt_i32_e64 s3, s5, v16
	v_mov_b32_e32 v16, 0
	s_and_b32 s12, vcc_lo, s3
	s_delay_alu instid0(SALU_CYCLE_1)
	s_and_saveexec_b32 s3, s12
	s_cbranch_execz .LBB527_5
; %bb.4:                                ;   in Loop: Header=BB527_3 Depth=1
	global_load_b32 v16, v[0:1], off
.LBB527_5:                              ;   in Loop: Header=BB527_3 Depth=1
	s_or_b32 exec_lo, exec_lo, s3
	v_add_nc_u32_e32 v17, s11, v8
	s_waitcnt vmcnt(0)
	ds_store_b32 v14, v16
	v_cmp_gt_i32_e64 s3, s5, v17
	v_mov_b32_e32 v17, 0
	s_delay_alu instid0(VALU_DEP_2) | instskip(NEXT) | instid1(SALU_CYCLE_1)
	s_and_b32 s12, s3, s2
	s_and_saveexec_b32 s3, s12
	s_cbranch_execz .LBB527_2
; %bb.6:                                ;   in Loop: Header=BB527_3 Depth=1
	global_load_b32 v17, v[2:3], off
	s_branch .LBB527_2
.LBB527_7:
	s_load_b32 s2, s[0:1], 0x50
	v_add_nc_u32_e32 v6, s10, v6
	v_add_nc_u32_e32 v0, s7, v5
	s_delay_alu instid0(VALU_DEP_2) | instskip(NEXT) | instid1(VALU_DEP_2)
	v_cmp_gt_i32_e32 vcc_lo, s4, v6
	v_cmp_le_i32_e64 s0, v0, v6
	s_delay_alu instid0(VALU_DEP_1) | instskip(SKIP_2) | instid1(VALU_DEP_1)
	s_and_b32 s0, vcc_lo, s0
	s_waitcnt lgkmcnt(0)
	v_mad_i64_i32 v[1:2], null, v6, s2, 0
	v_lshlrev_b64 v[1:2], 2, v[1:2]
	s_delay_alu instid0(VALU_DEP_1) | instskip(NEXT) | instid1(VALU_DEP_1)
	v_add_co_u32 v5, s1, s8, v1
	v_add_co_ci_u32_e64 v8, s1, s9, v2, s1
	s_and_saveexec_b32 s1, s0
	s_cbranch_execz .LBB527_9
; %bb.8:
	v_ashrrev_i32_e32 v1, 31, v0
	v_mul_f32_e32 v3, s6, v13
	s_delay_alu instid0(VALU_DEP_2) | instskip(NEXT) | instid1(VALU_DEP_1)
	v_lshlrev_b64 v[1:2], 2, v[0:1]
	v_add_co_u32 v1, s0, v5, v1
	s_delay_alu instid0(VALU_DEP_1)
	v_add_co_ci_u32_e64 v2, s0, v8, v2, s0
	global_store_b32 v[1:2], v3, off
.LBB527_9:
	s_or_b32 exec_lo, exec_lo, s1
	v_add_nc_u32_e32 v2, 16, v0
	s_delay_alu instid0(VALU_DEP_1) | instskip(NEXT) | instid1(VALU_DEP_1)
	v_cmp_le_i32_e64 s0, v2, v6
	s_and_b32 s1, vcc_lo, s0
	s_delay_alu instid0(SALU_CYCLE_1)
	s_and_saveexec_b32 s0, s1
	s_cbranch_execz .LBB527_11
; %bb.10:
	v_ashrrev_i32_e32 v3, 31, v2
	v_mul_f32_e32 v1, s6, v9
	s_delay_alu instid0(VALU_DEP_2) | instskip(NEXT) | instid1(VALU_DEP_1)
	v_lshlrev_b64 v[10:11], 2, v[2:3]
	v_add_co_u32 v9, vcc_lo, v5, v10
	s_delay_alu instid0(VALU_DEP_2)
	v_add_co_ci_u32_e32 v10, vcc_lo, v8, v11, vcc_lo
	global_store_b32 v[9:10], v1, off
.LBB527_11:
	s_or_b32 exec_lo, exec_lo, s0
	v_add_nc_u32_e32 v3, 16, v6
	s_delay_alu instid0(VALU_DEP_1) | instskip(SKIP_2) | instid1(VALU_DEP_1)
	v_mad_i64_i32 v[5:6], null, v3, s2, 0
	v_cmp_gt_i32_e32 vcc_lo, s4, v3
	v_cmp_le_i32_e64 s0, v0, v3
	s_and_b32 s0, vcc_lo, s0
	s_delay_alu instid0(VALU_DEP_3) | instskip(NEXT) | instid1(VALU_DEP_1)
	v_lshlrev_b64 v[5:6], 2, v[5:6]
	v_add_co_u32 v5, s1, s8, v5
	s_delay_alu instid0(VALU_DEP_1)
	v_add_co_ci_u32_e64 v6, s1, s9, v6, s1
	s_and_saveexec_b32 s1, s0
	s_cbranch_execz .LBB527_13
; %bb.12:
	v_ashrrev_i32_e32 v1, 31, v0
	v_mul_f32_e32 v7, s6, v7
	s_delay_alu instid0(VALU_DEP_2) | instskip(NEXT) | instid1(VALU_DEP_1)
	v_lshlrev_b64 v[0:1], 2, v[0:1]
	v_add_co_u32 v0, s0, v5, v0
	s_delay_alu instid0(VALU_DEP_1)
	v_add_co_ci_u32_e64 v1, s0, v6, v1, s0
	global_store_b32 v[0:1], v7, off
.LBB527_13:
	s_or_b32 exec_lo, exec_lo, s1
	v_cmp_le_i32_e64 s0, v2, v3
	s_delay_alu instid0(VALU_DEP_1) | instskip(NEXT) | instid1(SALU_CYCLE_1)
	s_and_b32 s0, vcc_lo, s0
	s_and_saveexec_b32 s1, s0
	s_cbranch_execz .LBB527_15
; %bb.14:
	v_ashrrev_i32_e32 v3, 31, v2
	s_delay_alu instid0(VALU_DEP_1) | instskip(SKIP_1) | instid1(VALU_DEP_2)
	v_lshlrev_b64 v[0:1], 2, v[2:3]
	v_mul_f32_e32 v2, s6, v4
	v_add_co_u32 v0, vcc_lo, v5, v0
	s_delay_alu instid0(VALU_DEP_3)
	v_add_co_ci_u32_e32 v1, vcc_lo, v6, v1, vcc_lo
	global_store_b32 v[0:1], v2, off
.LBB527_15:
	s_nop 0
	s_sendmsg sendmsg(MSG_DEALLOC_VGPRS)
	s_endpgm
	.section	.rodata,"a",@progbits
	.p2align	6, 0x0
	.amdhsa_kernel _ZL34rocblas_syrkx_herkx_general_kernelIifLi16ELi32ELi8ELb1ELb0ELc84ELc85EKPKfKPfEviT_T0_PT8_S5_lS8_S5_lS6_PT9_S5_li
		.amdhsa_group_segment_fixed_size 2048
		.amdhsa_private_segment_fixed_size 0
		.amdhsa_kernarg_size 100
		.amdhsa_user_sgpr_count 13
		.amdhsa_user_sgpr_dispatch_ptr 0
		.amdhsa_user_sgpr_queue_ptr 0
		.amdhsa_user_sgpr_kernarg_segment_ptr 1
		.amdhsa_user_sgpr_dispatch_id 0
		.amdhsa_user_sgpr_private_segment_size 0
		.amdhsa_wavefront_size32 1
		.amdhsa_uses_dynamic_stack 0
		.amdhsa_enable_private_segment 0
		.amdhsa_system_sgpr_workgroup_id_x 1
		.amdhsa_system_sgpr_workgroup_id_y 1
		.amdhsa_system_sgpr_workgroup_id_z 1
		.amdhsa_system_sgpr_workgroup_info 0
		.amdhsa_system_vgpr_workitem_id 1
		.amdhsa_next_free_vgpr 42
		.amdhsa_next_free_sgpr 18
		.amdhsa_reserve_vcc 1
		.amdhsa_float_round_mode_32 0
		.amdhsa_float_round_mode_16_64 0
		.amdhsa_float_denorm_mode_32 3
		.amdhsa_float_denorm_mode_16_64 3
		.amdhsa_dx10_clamp 1
		.amdhsa_ieee_mode 1
		.amdhsa_fp16_overflow 0
		.amdhsa_workgroup_processor_mode 1
		.amdhsa_memory_ordered 1
		.amdhsa_forward_progress 0
		.amdhsa_shared_vgpr_count 0
		.amdhsa_exception_fp_ieee_invalid_op 0
		.amdhsa_exception_fp_denorm_src 0
		.amdhsa_exception_fp_ieee_div_zero 0
		.amdhsa_exception_fp_ieee_overflow 0
		.amdhsa_exception_fp_ieee_underflow 0
		.amdhsa_exception_fp_ieee_inexact 0
		.amdhsa_exception_int_div_zero 0
	.end_amdhsa_kernel
	.section	.text._ZL34rocblas_syrkx_herkx_general_kernelIifLi16ELi32ELi8ELb1ELb0ELc84ELc85EKPKfKPfEviT_T0_PT8_S5_lS8_S5_lS6_PT9_S5_li,"axG",@progbits,_ZL34rocblas_syrkx_herkx_general_kernelIifLi16ELi32ELi8ELb1ELb0ELc84ELc85EKPKfKPfEviT_T0_PT8_S5_lS8_S5_lS6_PT9_S5_li,comdat
.Lfunc_end527:
	.size	_ZL34rocblas_syrkx_herkx_general_kernelIifLi16ELi32ELi8ELb1ELb0ELc84ELc85EKPKfKPfEviT_T0_PT8_S5_lS8_S5_lS6_PT9_S5_li, .Lfunc_end527-_ZL34rocblas_syrkx_herkx_general_kernelIifLi16ELi32ELi8ELb1ELb0ELc84ELc85EKPKfKPfEviT_T0_PT8_S5_lS8_S5_lS6_PT9_S5_li
                                        ; -- End function
	.section	.AMDGPU.csdata,"",@progbits
; Kernel info:
; codeLenInByte = 1316
; NumSgprs: 20
; NumVgprs: 42
; ScratchSize: 0
; MemoryBound: 0
; FloatMode: 240
; IeeeMode: 1
; LDSByteSize: 2048 bytes/workgroup (compile time only)
; SGPRBlocks: 2
; VGPRBlocks: 5
; NumSGPRsForWavesPerEU: 20
; NumVGPRsForWavesPerEU: 42
; Occupancy: 16
; WaveLimiterHint : 1
; COMPUTE_PGM_RSRC2:SCRATCH_EN: 0
; COMPUTE_PGM_RSRC2:USER_SGPR: 13
; COMPUTE_PGM_RSRC2:TRAP_HANDLER: 0
; COMPUTE_PGM_RSRC2:TGID_X_EN: 1
; COMPUTE_PGM_RSRC2:TGID_Y_EN: 1
; COMPUTE_PGM_RSRC2:TGID_Z_EN: 1
; COMPUTE_PGM_RSRC2:TIDIG_COMP_CNT: 1
	.section	.text._ZL34rocblas_syrkx_herkx_general_kernelIifLi16ELi32ELi8ELb1ELb0ELc67ELc85EKPKfKPfEviT_T0_PT8_S5_lS8_S5_lS6_PT9_S5_li,"axG",@progbits,_ZL34rocblas_syrkx_herkx_general_kernelIifLi16ELi32ELi8ELb1ELb0ELc67ELc85EKPKfKPfEviT_T0_PT8_S5_lS8_S5_lS6_PT9_S5_li,comdat
	.globl	_ZL34rocblas_syrkx_herkx_general_kernelIifLi16ELi32ELi8ELb1ELb0ELc67ELc85EKPKfKPfEviT_T0_PT8_S5_lS8_S5_lS6_PT9_S5_li ; -- Begin function _ZL34rocblas_syrkx_herkx_general_kernelIifLi16ELi32ELi8ELb1ELb0ELc67ELc85EKPKfKPfEviT_T0_PT8_S5_lS8_S5_lS6_PT9_S5_li
	.p2align	8
	.type	_ZL34rocblas_syrkx_herkx_general_kernelIifLi16ELi32ELi8ELb1ELb0ELc67ELc85EKPKfKPfEviT_T0_PT8_S5_lS8_S5_lS6_PT9_S5_li,@function
_ZL34rocblas_syrkx_herkx_general_kernelIifLi16ELi32ELi8ELb1ELb0ELc67ELc85EKPKfKPfEviT_T0_PT8_S5_lS8_S5_lS6_PT9_S5_li: ; @_ZL34rocblas_syrkx_herkx_general_kernelIifLi16ELi32ELi8ELb1ELb0ELc67ELc85EKPKfKPfEviT_T0_PT8_S5_lS8_S5_lS6_PT9_S5_li
; %bb.0:
	s_clause 0x1
	s_load_b64 s[8:9], s[0:1], 0x48
	s_load_b128 s[4:7], s[0:1], 0x0
	s_mov_b32 s10, s15
	s_mov_b32 s11, 0
	v_dual_mov_b32 v4, 0 :: v_dual_and_b32 v5, 0x3ff, v0
	s_lshl_b64 s[2:3], s[10:11], 3
	v_bfe_u32 v6, v0, 10, 10
	v_mov_b32_e32 v13, 0
	v_mov_b32_e32 v9, 0
	;; [unrolled: 1-line block ×3, first 2 shown]
	s_waitcnt lgkmcnt(0)
	s_add_u32 s8, s8, s2
	s_addc_u32 s9, s9, s3
	s_lshl_b32 s7, s13, 5
	s_load_b64 s[8:9], s[8:9], 0x0
	s_lshl_b32 s10, s14, 5
	s_cmp_lt_i32 s5, 1
	s_cbranch_scc1 .LBB528_7
; %bb.1:
	s_clause 0x3
	s_load_b64 s[12:13], s[0:1], 0x28
	s_load_b32 s16, s[0:1], 0x18
	s_load_b64 s[14:15], s[0:1], 0x10
	s_load_b32 s17, s[0:1], 0x30
	v_lshl_add_u32 v0, v6, 4, v5
	v_and_b32_e32 v8, 7, v5
	v_lshlrev_b32_e32 v10, 2, v5
	v_lshl_add_u32 v11, v6, 5, 0x400
	s_delay_alu instid0(VALU_DEP_4) | instskip(SKIP_3) | instid1(VALU_DEP_4)
	v_and_b32_e32 v1, 31, v0
	v_lshrrev_b32_e32 v2, 3, v0
	v_lshrrev_b32_e32 v12, 5, v0
	v_lshlrev_b32_e32 v4, 2, v8
	v_add_nc_u32_e32 v3, s7, v1
	s_delay_alu instid0(VALU_DEP_4)
	v_add_nc_u32_e32 v7, s10, v2
	v_lshlrev_b32_e32 v13, 2, v1
	v_or_b32_e32 v9, s7, v1
	v_lshlrev_b32_e32 v16, 2, v12
	s_waitcnt lgkmcnt(0)
	s_add_u32 s12, s12, s2
	s_addc_u32 s13, s13, s3
	s_add_u32 s2, s14, s2
	s_addc_u32 s3, s15, s3
	v_mad_i64_i32 v[0:1], null, s16, v3, 0
	s_load_b64 s[14:15], s[2:3], 0x0
	s_load_b64 s[12:13], s[12:13], 0x0
	v_lshl_or_b32 v14, v12, 7, v13
	v_mov_b32_e32 v13, 0
	v_lshl_or_b32 v15, v2, 5, v4
	v_mad_i64_i32 v[2:3], null, s17, v7, 0
	v_lshlrev_b64 v[0:1], 2, v[0:1]
	v_cmp_gt_i32_e32 vcc_lo, s4, v9
	v_cmp_gt_i32_e64 s2, s4, v7
	v_add_nc_u32_e32 v15, 0x400, v15
	v_mov_b32_e32 v7, 0
	v_mov_b32_e32 v9, 0
	v_lshlrev_b64 v[2:3], 2, v[2:3]
	v_add_co_u32 v0, s3, v0, v16
	s_delay_alu instid0(VALU_DEP_1) | instskip(NEXT) | instid1(VALU_DEP_3)
	v_add_co_ci_u32_e64 v1, s3, 0, v1, s3
	v_add_co_u32 v2, s3, v2, v4
	s_delay_alu instid0(VALU_DEP_1) | instskip(SKIP_2) | instid1(VALU_DEP_1)
	v_add_co_ci_u32_e64 v3, s3, 0, v3, s3
	s_waitcnt lgkmcnt(0)
	v_add_co_u32 v0, s3, s14, v0
	v_add_co_ci_u32_e64 v1, s3, s15, v1, s3
	v_add_co_u32 v2, s3, s12, v2
	s_delay_alu instid0(VALU_DEP_1)
	v_add_co_ci_u32_e64 v3, s3, s13, v3, s3
	v_mov_b32_e32 v4, 0
	s_branch .LBB528_3
.LBB528_2:                              ;   in Loop: Header=BB528_3 Depth=1
	s_or_b32 exec_lo, exec_lo, s3
	s_waitcnt vmcnt(0)
	ds_store_b32 v15, v17
	s_waitcnt lgkmcnt(0)
	s_barrier
	buffer_gl0_inv
	ds_load_2addr_b32 v[32:33], v10 offset1:16
	ds_load_b128 v[16:19], v11
	ds_load_b128 v[20:23], v11 offset:512
	ds_load_2addr_b32 v[34:35], v10 offset0:32 offset1:48
	ds_load_2addr_b32 v[36:37], v10 offset0:64 offset1:80
	;; [unrolled: 1-line block ×3, first 2 shown]
	ds_load_b128 v[24:27], v11 offset:16
	ds_load_2addr_b32 v[40:41], v10 offset0:128 offset1:144
	ds_load_b128 v[28:31], v11 offset:528
	v_add_co_u32 v0, s3, v0, 32
	s_delay_alu instid0(VALU_DEP_1) | instskip(SKIP_1) | instid1(VALU_DEP_1)
	v_add_co_ci_u32_e64 v1, s3, 0, v1, s3
	v_add_co_u32 v2, s3, v2, 32
	v_add_co_ci_u32_e64 v3, s3, 0, v3, s3
	s_add_i32 s11, s11, 8
	s_delay_alu instid0(SALU_CYCLE_1) | instskip(SKIP_3) | instid1(VALU_DEP_1)
	s_cmp_ge_i32 s11, s5
	s_waitcnt lgkmcnt(6)
	v_fmac_f32_e32 v4, v33, v20
	s_waitcnt lgkmcnt(5)
	v_dual_fmac_f32 v13, v32, v16 :: v_dual_fmac_f32 v4, v35, v21
	v_fmac_f32_e32 v7, v32, v20
	s_waitcnt lgkmcnt(4)
	s_delay_alu instid0(VALU_DEP_2)
	v_dual_fmac_f32 v13, v34, v17 :: v_dual_fmac_f32 v4, v37, v22
	v_fmac_f32_e32 v9, v33, v16
	ds_load_2addr_b32 v[32:33], v10 offset0:160 offset1:176
	s_waitcnt lgkmcnt(4)
	v_fmac_f32_e32 v4, v39, v23
	v_fmac_f32_e32 v9, v35, v17
	ds_load_2addr_b32 v[16:17], v10 offset0:192 offset1:208
	s_waitcnt lgkmcnt(2)
	v_dual_fmac_f32 v4, v41, v28 :: v_dual_fmac_f32 v13, v36, v18
	v_fmac_f32_e32 v9, v37, v18
	s_waitcnt lgkmcnt(1)
	s_delay_alu instid0(VALU_DEP_1)
	v_dual_fmac_f32 v9, v39, v19 :: v_dual_fmac_f32 v4, v33, v29
	v_fmac_f32_e32 v7, v34, v21
	ds_load_2addr_b32 v[20:21], v10 offset0:224 offset1:240
	v_fmac_f32_e32 v13, v38, v19
	v_fmac_f32_e32 v9, v41, v24
	s_waitcnt lgkmcnt(1)
	v_fmac_f32_e32 v4, v17, v30
	v_fmac_f32_e32 v7, v36, v22
	s_waitcnt lgkmcnt(0)
	v_fmac_f32_e32 v13, v40, v24
	v_fmac_f32_e32 v9, v33, v25
	s_barrier
	buffer_gl0_inv
	v_fmac_f32_e32 v13, v32, v25
	v_fmac_f32_e32 v9, v17, v26
	s_delay_alu instid0(VALU_DEP_2) | instskip(SKIP_1) | instid1(VALU_DEP_2)
	v_dual_fmac_f32 v13, v16, v26 :: v_dual_fmac_f32 v4, v21, v31
	v_fmac_f32_e32 v7, v38, v23
	v_fmac_f32_e32 v13, v20, v27
	s_delay_alu instid0(VALU_DEP_4) | instskip(NEXT) | instid1(VALU_DEP_3)
	v_fmac_f32_e32 v9, v21, v27
	v_fmac_f32_e32 v7, v40, v28
	s_delay_alu instid0(VALU_DEP_1) | instskip(NEXT) | instid1(VALU_DEP_1)
	v_fmac_f32_e32 v7, v32, v29
	v_fmac_f32_e32 v7, v16, v30
	s_delay_alu instid0(VALU_DEP_1)
	v_fmac_f32_e32 v7, v20, v31
	s_cbranch_scc1 .LBB528_7
.LBB528_3:                              ; =>This Inner Loop Header: Depth=1
	v_add_nc_u32_e32 v16, s11, v12
	s_delay_alu instid0(VALU_DEP_1) | instskip(SKIP_1) | instid1(VALU_DEP_2)
	v_cmp_gt_i32_e64 s3, s5, v16
	v_mov_b32_e32 v16, 0
	s_and_b32 s12, vcc_lo, s3
	s_delay_alu instid0(SALU_CYCLE_1)
	s_and_saveexec_b32 s3, s12
	s_cbranch_execz .LBB528_5
; %bb.4:                                ;   in Loop: Header=BB528_3 Depth=1
	global_load_b32 v16, v[0:1], off
.LBB528_5:                              ;   in Loop: Header=BB528_3 Depth=1
	s_or_b32 exec_lo, exec_lo, s3
	v_add_nc_u32_e32 v17, s11, v8
	s_waitcnt vmcnt(0)
	ds_store_b32 v14, v16
	v_cmp_gt_i32_e64 s3, s5, v17
	v_mov_b32_e32 v17, 0
	s_delay_alu instid0(VALU_DEP_2) | instskip(NEXT) | instid1(SALU_CYCLE_1)
	s_and_b32 s12, s3, s2
	s_and_saveexec_b32 s3, s12
	s_cbranch_execz .LBB528_2
; %bb.6:                                ;   in Loop: Header=BB528_3 Depth=1
	global_load_b32 v17, v[2:3], off
	s_branch .LBB528_2
.LBB528_7:
	s_load_b32 s2, s[0:1], 0x50
	v_add_nc_u32_e32 v6, s10, v6
	v_add_nc_u32_e32 v0, s7, v5
	s_delay_alu instid0(VALU_DEP_2) | instskip(NEXT) | instid1(VALU_DEP_2)
	v_cmp_gt_i32_e32 vcc_lo, s4, v6
	v_cmp_le_i32_e64 s0, v0, v6
	s_delay_alu instid0(VALU_DEP_1) | instskip(SKIP_2) | instid1(VALU_DEP_1)
	s_and_b32 s0, vcc_lo, s0
	s_waitcnt lgkmcnt(0)
	v_mad_i64_i32 v[1:2], null, v6, s2, 0
	v_lshlrev_b64 v[1:2], 2, v[1:2]
	s_delay_alu instid0(VALU_DEP_1) | instskip(NEXT) | instid1(VALU_DEP_1)
	v_add_co_u32 v5, s1, s8, v1
	v_add_co_ci_u32_e64 v8, s1, s9, v2, s1
	s_and_saveexec_b32 s1, s0
	s_cbranch_execz .LBB528_9
; %bb.8:
	v_ashrrev_i32_e32 v1, 31, v0
	v_mul_f32_e32 v3, s6, v13
	s_delay_alu instid0(VALU_DEP_2) | instskip(NEXT) | instid1(VALU_DEP_1)
	v_lshlrev_b64 v[1:2], 2, v[0:1]
	v_add_co_u32 v1, s0, v5, v1
	s_delay_alu instid0(VALU_DEP_1)
	v_add_co_ci_u32_e64 v2, s0, v8, v2, s0
	global_store_b32 v[1:2], v3, off
.LBB528_9:
	s_or_b32 exec_lo, exec_lo, s1
	v_add_nc_u32_e32 v2, 16, v0
	s_delay_alu instid0(VALU_DEP_1) | instskip(NEXT) | instid1(VALU_DEP_1)
	v_cmp_le_i32_e64 s0, v2, v6
	s_and_b32 s1, vcc_lo, s0
	s_delay_alu instid0(SALU_CYCLE_1)
	s_and_saveexec_b32 s0, s1
	s_cbranch_execz .LBB528_11
; %bb.10:
	v_ashrrev_i32_e32 v3, 31, v2
	v_mul_f32_e32 v1, s6, v9
	s_delay_alu instid0(VALU_DEP_2) | instskip(NEXT) | instid1(VALU_DEP_1)
	v_lshlrev_b64 v[10:11], 2, v[2:3]
	v_add_co_u32 v9, vcc_lo, v5, v10
	s_delay_alu instid0(VALU_DEP_2)
	v_add_co_ci_u32_e32 v10, vcc_lo, v8, v11, vcc_lo
	global_store_b32 v[9:10], v1, off
.LBB528_11:
	s_or_b32 exec_lo, exec_lo, s0
	v_add_nc_u32_e32 v3, 16, v6
	s_delay_alu instid0(VALU_DEP_1) | instskip(SKIP_2) | instid1(VALU_DEP_1)
	v_mad_i64_i32 v[5:6], null, v3, s2, 0
	v_cmp_gt_i32_e32 vcc_lo, s4, v3
	v_cmp_le_i32_e64 s0, v0, v3
	s_and_b32 s0, vcc_lo, s0
	s_delay_alu instid0(VALU_DEP_3) | instskip(NEXT) | instid1(VALU_DEP_1)
	v_lshlrev_b64 v[5:6], 2, v[5:6]
	v_add_co_u32 v5, s1, s8, v5
	s_delay_alu instid0(VALU_DEP_1)
	v_add_co_ci_u32_e64 v6, s1, s9, v6, s1
	s_and_saveexec_b32 s1, s0
	s_cbranch_execz .LBB528_13
; %bb.12:
	v_ashrrev_i32_e32 v1, 31, v0
	v_mul_f32_e32 v7, s6, v7
	s_delay_alu instid0(VALU_DEP_2) | instskip(NEXT) | instid1(VALU_DEP_1)
	v_lshlrev_b64 v[0:1], 2, v[0:1]
	v_add_co_u32 v0, s0, v5, v0
	s_delay_alu instid0(VALU_DEP_1)
	v_add_co_ci_u32_e64 v1, s0, v6, v1, s0
	global_store_b32 v[0:1], v7, off
.LBB528_13:
	s_or_b32 exec_lo, exec_lo, s1
	v_cmp_le_i32_e64 s0, v2, v3
	s_delay_alu instid0(VALU_DEP_1) | instskip(NEXT) | instid1(SALU_CYCLE_1)
	s_and_b32 s0, vcc_lo, s0
	s_and_saveexec_b32 s1, s0
	s_cbranch_execz .LBB528_15
; %bb.14:
	v_ashrrev_i32_e32 v3, 31, v2
	s_delay_alu instid0(VALU_DEP_1) | instskip(SKIP_1) | instid1(VALU_DEP_2)
	v_lshlrev_b64 v[0:1], 2, v[2:3]
	v_mul_f32_e32 v2, s6, v4
	v_add_co_u32 v0, vcc_lo, v5, v0
	s_delay_alu instid0(VALU_DEP_3)
	v_add_co_ci_u32_e32 v1, vcc_lo, v6, v1, vcc_lo
	global_store_b32 v[0:1], v2, off
.LBB528_15:
	s_nop 0
	s_sendmsg sendmsg(MSG_DEALLOC_VGPRS)
	s_endpgm
	.section	.rodata,"a",@progbits
	.p2align	6, 0x0
	.amdhsa_kernel _ZL34rocblas_syrkx_herkx_general_kernelIifLi16ELi32ELi8ELb1ELb0ELc67ELc85EKPKfKPfEviT_T0_PT8_S5_lS8_S5_lS6_PT9_S5_li
		.amdhsa_group_segment_fixed_size 2048
		.amdhsa_private_segment_fixed_size 0
		.amdhsa_kernarg_size 100
		.amdhsa_user_sgpr_count 13
		.amdhsa_user_sgpr_dispatch_ptr 0
		.amdhsa_user_sgpr_queue_ptr 0
		.amdhsa_user_sgpr_kernarg_segment_ptr 1
		.amdhsa_user_sgpr_dispatch_id 0
		.amdhsa_user_sgpr_private_segment_size 0
		.amdhsa_wavefront_size32 1
		.amdhsa_uses_dynamic_stack 0
		.amdhsa_enable_private_segment 0
		.amdhsa_system_sgpr_workgroup_id_x 1
		.amdhsa_system_sgpr_workgroup_id_y 1
		.amdhsa_system_sgpr_workgroup_id_z 1
		.amdhsa_system_sgpr_workgroup_info 0
		.amdhsa_system_vgpr_workitem_id 1
		.amdhsa_next_free_vgpr 42
		.amdhsa_next_free_sgpr 18
		.amdhsa_reserve_vcc 1
		.amdhsa_float_round_mode_32 0
		.amdhsa_float_round_mode_16_64 0
		.amdhsa_float_denorm_mode_32 3
		.amdhsa_float_denorm_mode_16_64 3
		.amdhsa_dx10_clamp 1
		.amdhsa_ieee_mode 1
		.amdhsa_fp16_overflow 0
		.amdhsa_workgroup_processor_mode 1
		.amdhsa_memory_ordered 1
		.amdhsa_forward_progress 0
		.amdhsa_shared_vgpr_count 0
		.amdhsa_exception_fp_ieee_invalid_op 0
		.amdhsa_exception_fp_denorm_src 0
		.amdhsa_exception_fp_ieee_div_zero 0
		.amdhsa_exception_fp_ieee_overflow 0
		.amdhsa_exception_fp_ieee_underflow 0
		.amdhsa_exception_fp_ieee_inexact 0
		.amdhsa_exception_int_div_zero 0
	.end_amdhsa_kernel
	.section	.text._ZL34rocblas_syrkx_herkx_general_kernelIifLi16ELi32ELi8ELb1ELb0ELc67ELc85EKPKfKPfEviT_T0_PT8_S5_lS8_S5_lS6_PT9_S5_li,"axG",@progbits,_ZL34rocblas_syrkx_herkx_general_kernelIifLi16ELi32ELi8ELb1ELb0ELc67ELc85EKPKfKPfEviT_T0_PT8_S5_lS8_S5_lS6_PT9_S5_li,comdat
.Lfunc_end528:
	.size	_ZL34rocblas_syrkx_herkx_general_kernelIifLi16ELi32ELi8ELb1ELb0ELc67ELc85EKPKfKPfEviT_T0_PT8_S5_lS8_S5_lS6_PT9_S5_li, .Lfunc_end528-_ZL34rocblas_syrkx_herkx_general_kernelIifLi16ELi32ELi8ELb1ELb0ELc67ELc85EKPKfKPfEviT_T0_PT8_S5_lS8_S5_lS6_PT9_S5_li
                                        ; -- End function
	.section	.AMDGPU.csdata,"",@progbits
; Kernel info:
; codeLenInByte = 1316
; NumSgprs: 20
; NumVgprs: 42
; ScratchSize: 0
; MemoryBound: 0
; FloatMode: 240
; IeeeMode: 1
; LDSByteSize: 2048 bytes/workgroup (compile time only)
; SGPRBlocks: 2
; VGPRBlocks: 5
; NumSGPRsForWavesPerEU: 20
; NumVGPRsForWavesPerEU: 42
; Occupancy: 16
; WaveLimiterHint : 1
; COMPUTE_PGM_RSRC2:SCRATCH_EN: 0
; COMPUTE_PGM_RSRC2:USER_SGPR: 13
; COMPUTE_PGM_RSRC2:TRAP_HANDLER: 0
; COMPUTE_PGM_RSRC2:TGID_X_EN: 1
; COMPUTE_PGM_RSRC2:TGID_Y_EN: 1
; COMPUTE_PGM_RSRC2:TGID_Z_EN: 1
; COMPUTE_PGM_RSRC2:TIDIG_COMP_CNT: 1
	.section	.text._ZL34rocblas_syrkx_herkx_general_kernelIifLi16ELi32ELi8ELb1ELb0ELc78ELc85EKPKfKPfEviT_T0_PT8_S5_lS8_S5_lS6_PT9_S5_li,"axG",@progbits,_ZL34rocblas_syrkx_herkx_general_kernelIifLi16ELi32ELi8ELb1ELb0ELc78ELc85EKPKfKPfEviT_T0_PT8_S5_lS8_S5_lS6_PT9_S5_li,comdat
	.globl	_ZL34rocblas_syrkx_herkx_general_kernelIifLi16ELi32ELi8ELb1ELb0ELc78ELc85EKPKfKPfEviT_T0_PT8_S5_lS8_S5_lS6_PT9_S5_li ; -- Begin function _ZL34rocblas_syrkx_herkx_general_kernelIifLi16ELi32ELi8ELb1ELb0ELc78ELc85EKPKfKPfEviT_T0_PT8_S5_lS8_S5_lS6_PT9_S5_li
	.p2align	8
	.type	_ZL34rocblas_syrkx_herkx_general_kernelIifLi16ELi32ELi8ELb1ELb0ELc78ELc85EKPKfKPfEviT_T0_PT8_S5_lS8_S5_lS6_PT9_S5_li,@function
_ZL34rocblas_syrkx_herkx_general_kernelIifLi16ELi32ELi8ELb1ELb0ELc78ELc85EKPKfKPfEviT_T0_PT8_S5_lS8_S5_lS6_PT9_S5_li: ; @_ZL34rocblas_syrkx_herkx_general_kernelIifLi16ELi32ELi8ELb1ELb0ELc78ELc85EKPKfKPfEviT_T0_PT8_S5_lS8_S5_lS6_PT9_S5_li
; %bb.0:
	s_clause 0x1
	s_load_b64 s[8:9], s[0:1], 0x48
	s_load_b128 s[4:7], s[0:1], 0x0
	s_mov_b32 s10, s15
	s_mov_b32 s11, 0
	v_dual_mov_b32 v9, 0 :: v_dual_and_b32 v4, 0x3ff, v0
	s_lshl_b64 s[2:3], s[10:11], 3
	v_bfe_u32 v5, v0, 10, 10
	v_dual_mov_b32 v12, 0 :: v_dual_mov_b32 v7, 0
	v_mov_b32_e32 v6, 0
	s_waitcnt lgkmcnt(0)
	s_add_u32 s8, s8, s2
	s_addc_u32 s9, s9, s3
	s_lshl_b32 s7, s13, 5
	s_load_b64 s[8:9], s[8:9], 0x0
	s_lshl_b32 s10, s14, 5
	s_cmp_lt_i32 s5, 1
	s_cbranch_scc1 .LBB529_7
; %bb.1:
	s_clause 0x3
	s_load_b32 s12, s[0:1], 0x18
	s_load_b32 s14, s[0:1], 0x30
	s_load_b64 s[16:17], s[0:1], 0x28
	s_load_b64 s[18:19], s[0:1], 0x10
	v_lshl_add_u32 v0, v5, 4, v4
	v_and_b32_e32 v8, 7, v4
	v_lshlrev_b32_e32 v14, 2, v4
	v_mov_b32_e32 v12, 0
	v_lshl_add_u32 v15, v5, 5, 0x400
	v_and_b32_e32 v1, 31, v0
	v_lshrrev_b32_e32 v2, 3, v0
	v_lshlrev_b32_e32 v3, 2, v8
	v_lshrrev_b32_e32 v10, 5, v0
	s_delay_alu instid0(VALU_DEP_4)
	v_or_b32_e32 v6, s7, v1
	v_lshlrev_b32_e32 v7, 2, v1
	v_add_nc_u32_e32 v0, s10, v2
	v_lshl_or_b32 v9, v2, 5, v3
	v_add_nc_u32_e32 v2, s7, v1
	v_cmp_gt_i32_e32 vcc_lo, s4, v6
	v_lshl_or_b32 v11, v10, 7, v7
	s_waitcnt lgkmcnt(0)
	s_ashr_i32 s13, s12, 31
	s_ashr_i32 s15, s14, 31
	s_add_u32 s16, s16, s2
	s_addc_u32 s17, s17, s3
	s_add_u32 s2, s18, s2
	s_addc_u32 s3, s19, s3
	v_mad_i64_i32 v[6:7], null, v10, s12, 0
	s_load_b64 s[16:17], s[16:17], 0x0
	s_load_b64 s[18:19], s[2:3], 0x0
	v_ashrrev_i32_e32 v3, 31, v2
	v_mad_i64_i32 v[16:17], null, s14, v8, 0
	v_add_nc_u32_e32 v13, 0x400, v9
	v_mov_b32_e32 v9, 0
	v_ashrrev_i32_e32 v1, 31, v0
	v_lshlrev_b64 v[6:7], 2, v[6:7]
	v_lshlrev_b64 v[2:3], 2, v[2:3]
	v_cmp_gt_i32_e64 s2, s4, v0
	v_lshlrev_b64 v[16:17], 2, v[16:17]
	v_lshlrev_b64 v[0:1], 2, v[0:1]
	s_lshl_b64 s[12:13], s[12:13], 5
	s_lshl_b64 s[14:15], s[14:15], 5
	v_add_co_u32 v2, s3, v6, v2
	s_delay_alu instid0(VALU_DEP_1) | instskip(NEXT) | instid1(VALU_DEP_3)
	v_add_co_ci_u32_e64 v3, s3, v7, v3, s3
	v_add_co_u32 v6, s3, v16, v0
	s_delay_alu instid0(VALU_DEP_1) | instskip(SKIP_2) | instid1(VALU_DEP_1)
	v_add_co_ci_u32_e64 v7, s3, v17, v1, s3
	s_waitcnt lgkmcnt(0)
	v_add_co_u32 v0, s3, s18, v2
	v_add_co_ci_u32_e64 v1, s3, s19, v3, s3
	v_add_co_u32 v2, s3, s16, v6
	s_delay_alu instid0(VALU_DEP_1)
	v_add_co_ci_u32_e64 v3, s3, s17, v7, s3
	v_dual_mov_b32 v6, 0 :: v_dual_mov_b32 v7, 0
	s_branch .LBB529_3
.LBB529_2:                              ;   in Loop: Header=BB529_3 Depth=1
	s_or_b32 exec_lo, exec_lo, s3
	s_waitcnt vmcnt(0)
	ds_store_b32 v13, v17
	s_waitcnt lgkmcnt(0)
	s_barrier
	buffer_gl0_inv
	ds_load_2addr_b32 v[32:33], v14 offset1:16
	ds_load_b128 v[16:19], v15
	ds_load_b128 v[20:23], v15 offset:512
	ds_load_2addr_b32 v[34:35], v14 offset0:32 offset1:48
	ds_load_2addr_b32 v[36:37], v14 offset0:64 offset1:80
	;; [unrolled: 1-line block ×3, first 2 shown]
	ds_load_b128 v[24:27], v15 offset:16
	ds_load_2addr_b32 v[40:41], v14 offset0:128 offset1:144
	ds_load_b128 v[28:31], v15 offset:528
	v_add_co_u32 v0, s3, v0, s12
	s_delay_alu instid0(VALU_DEP_1) | instskip(SKIP_1) | instid1(VALU_DEP_1)
	v_add_co_ci_u32_e64 v1, s3, s13, v1, s3
	v_add_co_u32 v2, s3, v2, s14
	v_add_co_ci_u32_e64 v3, s3, s15, v3, s3
	s_add_i32 s11, s11, 8
	s_delay_alu instid0(SALU_CYCLE_1)
	s_cmp_ge_i32 s11, s5
	s_waitcnt lgkmcnt(7)
	v_fmac_f32_e32 v9, v33, v16
	v_fmac_f32_e32 v12, v32, v16
	s_waitcnt lgkmcnt(6)
	v_fmac_f32_e32 v6, v33, v20
	v_fmac_f32_e32 v7, v32, v20
	ds_load_2addr_b32 v[32:33], v14 offset0:160 offset1:176
	s_waitcnt lgkmcnt(6)
	v_fmac_f32_e32 v9, v35, v17
	v_fmac_f32_e32 v12, v34, v17
	v_fmac_f32_e32 v6, v35, v21
	v_fmac_f32_e32 v7, v34, v21
	ds_load_2addr_b32 v[16:17], v14 offset0:192 offset1:208
	s_waitcnt lgkmcnt(6)
	v_fmac_f32_e32 v9, v37, v18
	v_fmac_f32_e32 v12, v36, v18
	;; [unrolled: 6-line block ×3, first 2 shown]
	v_fmac_f32_e32 v6, v39, v23
	v_fmac_f32_e32 v7, v38, v23
	s_waitcnt lgkmcnt(0)
	v_fmac_f32_e32 v9, v41, v24
	v_fmac_f32_e32 v12, v40, v24
	;; [unrolled: 1-line block ×4, first 2 shown]
	s_barrier
	v_fmac_f32_e32 v9, v33, v25
	v_fmac_f32_e32 v12, v32, v25
	v_fmac_f32_e32 v6, v33, v29
	v_fmac_f32_e32 v7, v32, v29
	buffer_gl0_inv
	v_fmac_f32_e32 v9, v17, v26
	v_fmac_f32_e32 v12, v16, v26
	v_fmac_f32_e32 v6, v17, v30
	v_fmac_f32_e32 v7, v16, v30
	s_delay_alu instid0(VALU_DEP_4) | instskip(NEXT) | instid1(VALU_DEP_4)
	v_fmac_f32_e32 v9, v21, v27
	v_fmac_f32_e32 v12, v20, v27
	s_delay_alu instid0(VALU_DEP_4) | instskip(NEXT) | instid1(VALU_DEP_4)
	v_fmac_f32_e32 v6, v21, v31
	v_fmac_f32_e32 v7, v20, v31
	s_cbranch_scc1 .LBB529_7
.LBB529_3:                              ; =>This Inner Loop Header: Depth=1
	v_add_nc_u32_e32 v16, s11, v10
	s_delay_alu instid0(VALU_DEP_1) | instskip(SKIP_1) | instid1(VALU_DEP_2)
	v_cmp_gt_i32_e64 s3, s5, v16
	v_mov_b32_e32 v16, 0
	s_and_b32 s16, vcc_lo, s3
	s_delay_alu instid0(SALU_CYCLE_1)
	s_and_saveexec_b32 s3, s16
	s_cbranch_execz .LBB529_5
; %bb.4:                                ;   in Loop: Header=BB529_3 Depth=1
	global_load_b32 v16, v[0:1], off
.LBB529_5:                              ;   in Loop: Header=BB529_3 Depth=1
	s_or_b32 exec_lo, exec_lo, s3
	v_add_nc_u32_e32 v17, s11, v8
	s_waitcnt vmcnt(0)
	ds_store_b32 v11, v16
	v_cmp_gt_i32_e64 s3, s5, v17
	v_mov_b32_e32 v17, 0
	s_delay_alu instid0(VALU_DEP_2) | instskip(NEXT) | instid1(SALU_CYCLE_1)
	s_and_b32 s16, s3, s2
	s_and_saveexec_b32 s3, s16
	s_cbranch_execz .LBB529_2
; %bb.6:                                ;   in Loop: Header=BB529_3 Depth=1
	global_load_b32 v17, v[2:3], off
	s_branch .LBB529_2
.LBB529_7:
	s_load_b32 s2, s[0:1], 0x50
	v_add_nc_u32_e32 v5, s10, v5
	v_add_nc_u32_e32 v0, s7, v4
	s_delay_alu instid0(VALU_DEP_2) | instskip(NEXT) | instid1(VALU_DEP_2)
	v_cmp_gt_i32_e32 vcc_lo, s4, v5
	v_cmp_le_i32_e64 s0, v0, v5
	s_delay_alu instid0(VALU_DEP_1) | instskip(SKIP_2) | instid1(VALU_DEP_1)
	s_and_b32 s0, vcc_lo, s0
	s_waitcnt lgkmcnt(0)
	v_mad_i64_i32 v[1:2], null, v5, s2, 0
	v_lshlrev_b64 v[1:2], 2, v[1:2]
	s_delay_alu instid0(VALU_DEP_1) | instskip(NEXT) | instid1(VALU_DEP_1)
	v_add_co_u32 v4, s1, s8, v1
	v_add_co_ci_u32_e64 v8, s1, s9, v2, s1
	s_and_saveexec_b32 s1, s0
	s_cbranch_execz .LBB529_9
; %bb.8:
	v_ashrrev_i32_e32 v1, 31, v0
	v_mul_f32_e32 v3, s6, v12
	s_delay_alu instid0(VALU_DEP_2) | instskip(NEXT) | instid1(VALU_DEP_1)
	v_lshlrev_b64 v[1:2], 2, v[0:1]
	v_add_co_u32 v1, s0, v4, v1
	s_delay_alu instid0(VALU_DEP_1)
	v_add_co_ci_u32_e64 v2, s0, v8, v2, s0
	global_store_b32 v[1:2], v3, off
.LBB529_9:
	s_or_b32 exec_lo, exec_lo, s1
	v_add_nc_u32_e32 v2, 16, v0
	s_delay_alu instid0(VALU_DEP_1) | instskip(NEXT) | instid1(VALU_DEP_1)
	v_cmp_le_i32_e64 s0, v2, v5
	s_and_b32 s1, vcc_lo, s0
	s_delay_alu instid0(SALU_CYCLE_1)
	s_and_saveexec_b32 s0, s1
	s_cbranch_execz .LBB529_11
; %bb.10:
	v_ashrrev_i32_e32 v3, 31, v2
	v_mul_f32_e32 v1, s6, v9
	s_delay_alu instid0(VALU_DEP_2) | instskip(NEXT) | instid1(VALU_DEP_1)
	v_lshlrev_b64 v[10:11], 2, v[2:3]
	v_add_co_u32 v3, vcc_lo, v4, v10
	s_delay_alu instid0(VALU_DEP_2)
	v_add_co_ci_u32_e32 v4, vcc_lo, v8, v11, vcc_lo
	global_store_b32 v[3:4], v1, off
.LBB529_11:
	s_or_b32 exec_lo, exec_lo, s0
	v_add_nc_u32_e32 v3, 16, v5
	s_delay_alu instid0(VALU_DEP_1) | instskip(SKIP_2) | instid1(VALU_DEP_1)
	v_mad_i64_i32 v[4:5], null, v3, s2, 0
	v_cmp_gt_i32_e32 vcc_lo, s4, v3
	v_cmp_le_i32_e64 s0, v0, v3
	s_and_b32 s0, vcc_lo, s0
	s_delay_alu instid0(VALU_DEP_3) | instskip(NEXT) | instid1(VALU_DEP_1)
	v_lshlrev_b64 v[4:5], 2, v[4:5]
	v_add_co_u32 v4, s1, s8, v4
	s_delay_alu instid0(VALU_DEP_1)
	v_add_co_ci_u32_e64 v5, s1, s9, v5, s1
	s_and_saveexec_b32 s1, s0
	s_cbranch_execz .LBB529_13
; %bb.12:
	v_ashrrev_i32_e32 v1, 31, v0
	v_mul_f32_e32 v7, s6, v7
	s_delay_alu instid0(VALU_DEP_2) | instskip(NEXT) | instid1(VALU_DEP_1)
	v_lshlrev_b64 v[0:1], 2, v[0:1]
	v_add_co_u32 v0, s0, v4, v0
	s_delay_alu instid0(VALU_DEP_1)
	v_add_co_ci_u32_e64 v1, s0, v5, v1, s0
	global_store_b32 v[0:1], v7, off
.LBB529_13:
	s_or_b32 exec_lo, exec_lo, s1
	v_cmp_le_i32_e64 s0, v2, v3
	s_delay_alu instid0(VALU_DEP_1) | instskip(NEXT) | instid1(SALU_CYCLE_1)
	s_and_b32 s0, vcc_lo, s0
	s_and_saveexec_b32 s1, s0
	s_cbranch_execz .LBB529_15
; %bb.14:
	v_ashrrev_i32_e32 v3, 31, v2
	s_delay_alu instid0(VALU_DEP_1) | instskip(SKIP_1) | instid1(VALU_DEP_2)
	v_lshlrev_b64 v[0:1], 2, v[2:3]
	v_mul_f32_e32 v2, s6, v6
	v_add_co_u32 v0, vcc_lo, v4, v0
	s_delay_alu instid0(VALU_DEP_3)
	v_add_co_ci_u32_e32 v1, vcc_lo, v5, v1, vcc_lo
	global_store_b32 v[0:1], v2, off
.LBB529_15:
	s_nop 0
	s_sendmsg sendmsg(MSG_DEALLOC_VGPRS)
	s_endpgm
	.section	.rodata,"a",@progbits
	.p2align	6, 0x0
	.amdhsa_kernel _ZL34rocblas_syrkx_herkx_general_kernelIifLi16ELi32ELi8ELb1ELb0ELc78ELc85EKPKfKPfEviT_T0_PT8_S5_lS8_S5_lS6_PT9_S5_li
		.amdhsa_group_segment_fixed_size 2048
		.amdhsa_private_segment_fixed_size 0
		.amdhsa_kernarg_size 100
		.amdhsa_user_sgpr_count 13
		.amdhsa_user_sgpr_dispatch_ptr 0
		.amdhsa_user_sgpr_queue_ptr 0
		.amdhsa_user_sgpr_kernarg_segment_ptr 1
		.amdhsa_user_sgpr_dispatch_id 0
		.amdhsa_user_sgpr_private_segment_size 0
		.amdhsa_wavefront_size32 1
		.amdhsa_uses_dynamic_stack 0
		.amdhsa_enable_private_segment 0
		.amdhsa_system_sgpr_workgroup_id_x 1
		.amdhsa_system_sgpr_workgroup_id_y 1
		.amdhsa_system_sgpr_workgroup_id_z 1
		.amdhsa_system_sgpr_workgroup_info 0
		.amdhsa_system_vgpr_workitem_id 1
		.amdhsa_next_free_vgpr 42
		.amdhsa_next_free_sgpr 20
		.amdhsa_reserve_vcc 1
		.amdhsa_float_round_mode_32 0
		.amdhsa_float_round_mode_16_64 0
		.amdhsa_float_denorm_mode_32 3
		.amdhsa_float_denorm_mode_16_64 3
		.amdhsa_dx10_clamp 1
		.amdhsa_ieee_mode 1
		.amdhsa_fp16_overflow 0
		.amdhsa_workgroup_processor_mode 1
		.amdhsa_memory_ordered 1
		.amdhsa_forward_progress 0
		.amdhsa_shared_vgpr_count 0
		.amdhsa_exception_fp_ieee_invalid_op 0
		.amdhsa_exception_fp_denorm_src 0
		.amdhsa_exception_fp_ieee_div_zero 0
		.amdhsa_exception_fp_ieee_overflow 0
		.amdhsa_exception_fp_ieee_underflow 0
		.amdhsa_exception_fp_ieee_inexact 0
		.amdhsa_exception_int_div_zero 0
	.end_amdhsa_kernel
	.section	.text._ZL34rocblas_syrkx_herkx_general_kernelIifLi16ELi32ELi8ELb1ELb0ELc78ELc85EKPKfKPfEviT_T0_PT8_S5_lS8_S5_lS6_PT9_S5_li,"axG",@progbits,_ZL34rocblas_syrkx_herkx_general_kernelIifLi16ELi32ELi8ELb1ELb0ELc78ELc85EKPKfKPfEviT_T0_PT8_S5_lS8_S5_lS6_PT9_S5_li,comdat
.Lfunc_end529:
	.size	_ZL34rocblas_syrkx_herkx_general_kernelIifLi16ELi32ELi8ELb1ELb0ELc78ELc85EKPKfKPfEviT_T0_PT8_S5_lS8_S5_lS6_PT9_S5_li, .Lfunc_end529-_ZL34rocblas_syrkx_herkx_general_kernelIifLi16ELi32ELi8ELb1ELb0ELc78ELc85EKPKfKPfEviT_T0_PT8_S5_lS8_S5_lS6_PT9_S5_li
                                        ; -- End function
	.section	.AMDGPU.csdata,"",@progbits
; Kernel info:
; codeLenInByte = 1324
; NumSgprs: 22
; NumVgprs: 42
; ScratchSize: 0
; MemoryBound: 0
; FloatMode: 240
; IeeeMode: 1
; LDSByteSize: 2048 bytes/workgroup (compile time only)
; SGPRBlocks: 2
; VGPRBlocks: 5
; NumSGPRsForWavesPerEU: 22
; NumVGPRsForWavesPerEU: 42
; Occupancy: 16
; WaveLimiterHint : 1
; COMPUTE_PGM_RSRC2:SCRATCH_EN: 0
; COMPUTE_PGM_RSRC2:USER_SGPR: 13
; COMPUTE_PGM_RSRC2:TRAP_HANDLER: 0
; COMPUTE_PGM_RSRC2:TGID_X_EN: 1
; COMPUTE_PGM_RSRC2:TGID_Y_EN: 1
; COMPUTE_PGM_RSRC2:TGID_Z_EN: 1
; COMPUTE_PGM_RSRC2:TIDIG_COMP_CNT: 1
	.section	.text._ZL34rocblas_syrkx_herkx_general_kernelIifLi16ELi32ELi8ELb0ELb0ELc84ELc76EKPKfKPfEviT_T0_PT8_S5_lS8_S5_lS6_PT9_S5_li,"axG",@progbits,_ZL34rocblas_syrkx_herkx_general_kernelIifLi16ELi32ELi8ELb0ELb0ELc84ELc76EKPKfKPfEviT_T0_PT8_S5_lS8_S5_lS6_PT9_S5_li,comdat
	.globl	_ZL34rocblas_syrkx_herkx_general_kernelIifLi16ELi32ELi8ELb0ELb0ELc84ELc76EKPKfKPfEviT_T0_PT8_S5_lS8_S5_lS6_PT9_S5_li ; -- Begin function _ZL34rocblas_syrkx_herkx_general_kernelIifLi16ELi32ELi8ELb0ELb0ELc84ELc76EKPKfKPfEviT_T0_PT8_S5_lS8_S5_lS6_PT9_S5_li
	.p2align	8
	.type	_ZL34rocblas_syrkx_herkx_general_kernelIifLi16ELi32ELi8ELb0ELb0ELc84ELc76EKPKfKPfEviT_T0_PT8_S5_lS8_S5_lS6_PT9_S5_li,@function
_ZL34rocblas_syrkx_herkx_general_kernelIifLi16ELi32ELi8ELb0ELb0ELc84ELc76EKPKfKPfEviT_T0_PT8_S5_lS8_S5_lS6_PT9_S5_li: ; @_ZL34rocblas_syrkx_herkx_general_kernelIifLi16ELi32ELi8ELb0ELb0ELc84ELc76EKPKfKPfEviT_T0_PT8_S5_lS8_S5_lS6_PT9_S5_li
; %bb.0:
	s_clause 0x1
	s_load_b64 s[8:9], s[0:1], 0x48
	s_load_b128 s[4:7], s[0:1], 0x0
	s_mov_b32 s10, s15
	s_mov_b32 s11, 0
	v_dual_mov_b32 v10, 0 :: v_dual_and_b32 v5, 0x3ff, v0
	s_lshl_b64 s[2:3], s[10:11], 3
	v_bfe_u32 v6, v0, 10, 10
	v_dual_mov_b32 v8, 0 :: v_dual_mov_b32 v7, 0
	v_mov_b32_e32 v4, 0
	s_waitcnt lgkmcnt(0)
	s_add_u32 s8, s8, s2
	s_addc_u32 s9, s9, s3
	s_lshl_b32 s7, s13, 5
	s_load_b64 s[8:9], s[8:9], 0x0
	s_lshl_b32 s10, s14, 5
	s_cmp_lt_i32 s5, 1
	s_cbranch_scc1 .LBB530_7
; %bb.1:
	s_clause 0x2
	s_load_b64 s[12:13], s[0:1], 0x28
	s_load_b32 s16, s[0:1], 0x18
	s_load_b64 s[14:15], s[0:1], 0x10
	v_lshl_add_u32 v0, v6, 4, v5
	s_load_b32 s17, s[0:1], 0x30
	v_and_b32_e32 v9, 7, v5
	v_lshlrev_b32_e32 v11, 2, v5
	v_lshl_add_u32 v12, v6, 5, 0x400
	v_and_b32_e32 v1, 31, v0
	v_lshrrev_b32_e32 v13, 5, v0
	v_lshrrev_b32_e32 v2, 3, v0
	v_lshlrev_b32_e32 v4, 2, v9
	s_delay_alu instid0(VALU_DEP_4) | instskip(NEXT) | instid1(VALU_DEP_4)
	v_lshlrev_b32_e32 v10, 2, v1
	v_lshlrev_b32_e32 v16, 2, v13
	s_delay_alu instid0(VALU_DEP_4) | instskip(NEXT) | instid1(VALU_DEP_4)
	v_add_nc_u32_e32 v7, s10, v2
	v_lshl_or_b32 v15, v2, 5, v4
	s_delay_alu instid0(VALU_DEP_4)
	v_lshl_or_b32 v14, v13, 7, v10
	v_dual_mov_b32 v10, 0 :: v_dual_add_nc_u32 v3, s7, v1
	s_waitcnt lgkmcnt(0)
	s_add_u32 s12, s12, s2
	s_addc_u32 s13, s13, s3
	s_add_u32 s2, s14, s2
	s_addc_u32 s3, s15, s3
	v_or_b32_e32 v8, s7, v1
	v_mad_i64_i32 v[0:1], null, s16, v3, 0
	s_load_b64 s[14:15], s[2:3], 0x0
	v_mad_i64_i32 v[2:3], null, s17, v7, 0
	s_load_b64 s[12:13], s[12:13], 0x0
	v_cmp_gt_i32_e64 s2, s4, v7
	v_mov_b32_e32 v7, 0
	s_delay_alu instid0(VALU_DEP_4)
	v_lshlrev_b64 v[0:1], 2, v[0:1]
	v_cmp_gt_i32_e32 vcc_lo, s4, v8
	v_add_nc_u32_e32 v15, 0x400, v15
	v_lshlrev_b64 v[2:3], 2, v[2:3]
	v_mov_b32_e32 v8, 0
	v_add_co_u32 v0, s3, v0, v16
	s_delay_alu instid0(VALU_DEP_1) | instskip(NEXT) | instid1(VALU_DEP_4)
	v_add_co_ci_u32_e64 v1, s3, 0, v1, s3
	v_add_co_u32 v2, s3, v2, v4
	s_delay_alu instid0(VALU_DEP_1) | instskip(SKIP_2) | instid1(VALU_DEP_1)
	v_add_co_ci_u32_e64 v3, s3, 0, v3, s3
	s_waitcnt lgkmcnt(0)
	v_add_co_u32 v0, s3, s14, v0
	v_add_co_ci_u32_e64 v1, s3, s15, v1, s3
	v_add_co_u32 v2, s3, s12, v2
	s_delay_alu instid0(VALU_DEP_1)
	v_add_co_ci_u32_e64 v3, s3, s13, v3, s3
	v_mov_b32_e32 v4, 0
	s_branch .LBB530_3
.LBB530_2:                              ;   in Loop: Header=BB530_3 Depth=1
	s_or_b32 exec_lo, exec_lo, s3
	s_waitcnt vmcnt(0)
	ds_store_b32 v15, v17
	s_waitcnt lgkmcnt(0)
	s_barrier
	buffer_gl0_inv
	ds_load_2addr_b32 v[32:33], v11 offset1:16
	ds_load_b128 v[16:19], v12
	ds_load_b128 v[20:23], v12 offset:512
	ds_load_2addr_b32 v[34:35], v11 offset0:32 offset1:48
	ds_load_2addr_b32 v[36:37], v11 offset0:64 offset1:80
	;; [unrolled: 1-line block ×3, first 2 shown]
	ds_load_b128 v[24:27], v12 offset:16
	ds_load_2addr_b32 v[40:41], v11 offset0:128 offset1:144
	ds_load_b128 v[28:31], v12 offset:528
	v_add_co_u32 v0, s3, v0, 32
	s_delay_alu instid0(VALU_DEP_1) | instskip(SKIP_1) | instid1(VALU_DEP_1)
	v_add_co_ci_u32_e64 v1, s3, 0, v1, s3
	v_add_co_u32 v2, s3, v2, 32
	v_add_co_ci_u32_e64 v3, s3, 0, v3, s3
	s_add_i32 s11, s11, 8
	s_delay_alu instid0(SALU_CYCLE_1) | instskip(SKIP_3) | instid1(VALU_DEP_1)
	s_cmp_ge_i32 s11, s5
	s_waitcnt lgkmcnt(6)
	v_fmac_f32_e32 v7, v32, v20
	s_waitcnt lgkmcnt(5)
	v_dual_fmac_f32 v10, v32, v16 :: v_dual_fmac_f32 v7, v34, v21
	v_fmac_f32_e32 v8, v33, v16
	s_waitcnt lgkmcnt(4)
	s_delay_alu instid0(VALU_DEP_2)
	v_dual_fmac_f32 v10, v34, v17 :: v_dual_fmac_f32 v7, v36, v22
	v_fmac_f32_e32 v4, v33, v20
	ds_load_2addr_b32 v[32:33], v11 offset0:160 offset1:176
	s_waitcnt lgkmcnt(4)
	v_dual_fmac_f32 v10, v36, v18 :: v_dual_fmac_f32 v7, v38, v23
	v_fmac_f32_e32 v8, v35, v17
	ds_load_2addr_b32 v[16:17], v11 offset0:192 offset1:208
	s_waitcnt lgkmcnt(2)
	v_dual_fmac_f32 v10, v38, v19 :: v_dual_fmac_f32 v7, v40, v28
	v_fmac_f32_e32 v8, v37, v18
	s_delay_alu instid0(VALU_DEP_2) | instskip(SKIP_1) | instid1(VALU_DEP_3)
	v_fmac_f32_e32 v10, v40, v24
	s_waitcnt lgkmcnt(1)
	v_fmac_f32_e32 v7, v32, v29
	v_fmac_f32_e32 v4, v35, v21
	ds_load_2addr_b32 v[20:21], v11 offset0:224 offset1:240
	v_fmac_f32_e32 v8, v39, v19
	v_fmac_f32_e32 v10, v32, v25
	s_waitcnt lgkmcnt(1)
	v_fmac_f32_e32 v7, v16, v30
	v_fmac_f32_e32 v4, v37, v22
	s_waitcnt lgkmcnt(0)
	v_fmac_f32_e32 v8, v41, v24
	v_fmac_f32_e32 v10, v16, v26
	s_barrier
	buffer_gl0_inv
	v_fmac_f32_e32 v8, v33, v25
	s_delay_alu instid0(VALU_DEP_1) | instskip(SKIP_2) | instid1(VALU_DEP_3)
	v_dual_fmac_f32 v8, v17, v26 :: v_dual_fmac_f32 v7, v20, v31
	v_fmac_f32_e32 v4, v39, v23
	v_fmac_f32_e32 v10, v20, v27
	;; [unrolled: 1-line block ×3, first 2 shown]
	s_delay_alu instid0(VALU_DEP_3) | instskip(NEXT) | instid1(VALU_DEP_1)
	v_fmac_f32_e32 v4, v41, v28
	v_fmac_f32_e32 v4, v33, v29
	s_delay_alu instid0(VALU_DEP_1) | instskip(NEXT) | instid1(VALU_DEP_1)
	v_fmac_f32_e32 v4, v17, v30
	v_fmac_f32_e32 v4, v21, v31
	s_cbranch_scc1 .LBB530_7
.LBB530_3:                              ; =>This Inner Loop Header: Depth=1
	v_add_nc_u32_e32 v16, s11, v13
	s_delay_alu instid0(VALU_DEP_1) | instskip(SKIP_1) | instid1(VALU_DEP_2)
	v_cmp_gt_i32_e64 s3, s5, v16
	v_mov_b32_e32 v16, 0
	s_and_b32 s12, vcc_lo, s3
	s_delay_alu instid0(SALU_CYCLE_1)
	s_and_saveexec_b32 s3, s12
	s_cbranch_execz .LBB530_5
; %bb.4:                                ;   in Loop: Header=BB530_3 Depth=1
	global_load_b32 v16, v[0:1], off
.LBB530_5:                              ;   in Loop: Header=BB530_3 Depth=1
	s_or_b32 exec_lo, exec_lo, s3
	v_add_nc_u32_e32 v17, s11, v9
	s_waitcnt vmcnt(0)
	ds_store_b32 v14, v16
	v_cmp_gt_i32_e64 s3, s5, v17
	v_mov_b32_e32 v17, 0
	s_delay_alu instid0(VALU_DEP_2) | instskip(NEXT) | instid1(SALU_CYCLE_1)
	s_and_b32 s12, s3, s2
	s_and_saveexec_b32 s3, s12
	s_cbranch_execz .LBB530_2
; %bb.6:                                ;   in Loop: Header=BB530_3 Depth=1
	global_load_b32 v17, v[2:3], off
	s_branch .LBB530_2
.LBB530_7:
	s_clause 0x1
	s_load_b32 s2, s[0:1], 0x50
	s_load_b32 s3, s[0:1], 0x40
	v_add_nc_u32_e32 v6, s10, v6
	v_add_nc_u32_e32 v0, s7, v5
	s_delay_alu instid0(VALU_DEP_1) | instskip(SKIP_1) | instid1(VALU_DEP_2)
	v_cmp_le_i32_e64 s0, v6, v0
	v_cmp_gt_i32_e32 vcc_lo, s4, v0
	s_and_b32 s0, s0, vcc_lo
	s_waitcnt lgkmcnt(0)
	v_mad_i64_i32 v[1:2], null, v6, s2, 0
	s_delay_alu instid0(VALU_DEP_1) | instskip(NEXT) | instid1(VALU_DEP_1)
	v_lshlrev_b64 v[1:2], 2, v[1:2]
	v_add_co_u32 v5, s1, s8, v1
	s_delay_alu instid0(VALU_DEP_1)
	v_add_co_ci_u32_e64 v9, s1, s9, v2, s1
	s_and_saveexec_b32 s1, s0
	s_cbranch_execz .LBB530_9
; %bb.8:
	v_ashrrev_i32_e32 v1, 31, v0
	s_delay_alu instid0(VALU_DEP_1) | instskip(NEXT) | instid1(VALU_DEP_1)
	v_lshlrev_b64 v[1:2], 2, v[0:1]
	v_add_co_u32 v1, s0, v5, v1
	s_delay_alu instid0(VALU_DEP_1) | instskip(SKIP_3) | instid1(VALU_DEP_1)
	v_add_co_ci_u32_e64 v2, s0, v9, v2, s0
	global_load_b32 v3, v[1:2], off
	s_waitcnt vmcnt(0)
	v_mul_f32_e32 v3, s3, v3
	v_fmac_f32_e32 v3, s6, v10
	global_store_b32 v[1:2], v3, off
.LBB530_9:
	s_or_b32 exec_lo, exec_lo, s1
	v_add_nc_u32_e32 v2, 16, v0
	s_delay_alu instid0(VALU_DEP_1) | instskip(SKIP_1) | instid1(VALU_DEP_1)
	v_cmp_le_i32_e64 s1, v6, v2
	v_cmp_gt_i32_e64 s0, s4, v2
	s_and_b32 s1, s1, s0
	s_delay_alu instid0(SALU_CYCLE_1)
	s_and_saveexec_b32 s4, s1
	s_cbranch_execz .LBB530_11
; %bb.10:
	v_ashrrev_i32_e32 v3, 31, v2
	s_delay_alu instid0(VALU_DEP_1) | instskip(NEXT) | instid1(VALU_DEP_1)
	v_lshlrev_b64 v[10:11], 2, v[2:3]
	v_add_co_u32 v10, s1, v5, v10
	s_delay_alu instid0(VALU_DEP_1) | instskip(SKIP_3) | instid1(VALU_DEP_1)
	v_add_co_ci_u32_e64 v11, s1, v9, v11, s1
	global_load_b32 v1, v[10:11], off
	s_waitcnt vmcnt(0)
	v_mul_f32_e32 v1, s3, v1
	v_fmac_f32_e32 v1, s6, v8
	global_store_b32 v[10:11], v1, off
.LBB530_11:
	s_or_b32 exec_lo, exec_lo, s4
	v_add_nc_u32_e32 v3, 16, v6
	s_delay_alu instid0(VALU_DEP_1) | instskip(SKIP_1) | instid1(VALU_DEP_2)
	v_mad_i64_i32 v[5:6], null, v3, s2, 0
	v_cmp_le_i32_e64 s1, v3, v0
	v_lshlrev_b64 v[5:6], 2, v[5:6]
	s_delay_alu instid0(VALU_DEP_1) | instskip(NEXT) | instid1(VALU_DEP_1)
	v_add_co_u32 v5, s2, s8, v5
	v_add_co_ci_u32_e64 v6, s2, s9, v6, s2
	s_delay_alu instid0(VALU_DEP_4) | instskip(NEXT) | instid1(SALU_CYCLE_1)
	s_and_b32 s2, s1, vcc_lo
	s_and_saveexec_b32 s1, s2
	s_cbranch_execz .LBB530_13
; %bb.12:
	v_ashrrev_i32_e32 v1, 31, v0
	s_delay_alu instid0(VALU_DEP_1) | instskip(NEXT) | instid1(VALU_DEP_1)
	v_lshlrev_b64 v[0:1], 2, v[0:1]
	v_add_co_u32 v0, vcc_lo, v5, v0
	s_delay_alu instid0(VALU_DEP_2) | instskip(SKIP_3) | instid1(VALU_DEP_1)
	v_add_co_ci_u32_e32 v1, vcc_lo, v6, v1, vcc_lo
	global_load_b32 v8, v[0:1], off
	s_waitcnt vmcnt(0)
	v_mul_f32_e32 v8, s3, v8
	v_fmac_f32_e32 v8, s6, v7
	global_store_b32 v[0:1], v8, off
.LBB530_13:
	s_or_b32 exec_lo, exec_lo, s1
	v_cmp_le_i32_e32 vcc_lo, v3, v2
	s_and_b32 s0, vcc_lo, s0
	s_delay_alu instid0(SALU_CYCLE_1)
	s_and_saveexec_b32 s1, s0
	s_cbranch_execz .LBB530_15
; %bb.14:
	v_ashrrev_i32_e32 v3, 31, v2
	s_delay_alu instid0(VALU_DEP_1) | instskip(NEXT) | instid1(VALU_DEP_1)
	v_lshlrev_b64 v[0:1], 2, v[2:3]
	v_add_co_u32 v0, vcc_lo, v5, v0
	s_delay_alu instid0(VALU_DEP_2) | instskip(SKIP_3) | instid1(VALU_DEP_1)
	v_add_co_ci_u32_e32 v1, vcc_lo, v6, v1, vcc_lo
	global_load_b32 v2, v[0:1], off
	s_waitcnt vmcnt(0)
	v_mul_f32_e32 v2, s3, v2
	v_fmac_f32_e32 v2, s6, v4
	global_store_b32 v[0:1], v2, off
.LBB530_15:
	s_nop 0
	s_sendmsg sendmsg(MSG_DEALLOC_VGPRS)
	s_endpgm
	.section	.rodata,"a",@progbits
	.p2align	6, 0x0
	.amdhsa_kernel _ZL34rocblas_syrkx_herkx_general_kernelIifLi16ELi32ELi8ELb0ELb0ELc84ELc76EKPKfKPfEviT_T0_PT8_S5_lS8_S5_lS6_PT9_S5_li
		.amdhsa_group_segment_fixed_size 2048
		.amdhsa_private_segment_fixed_size 0
		.amdhsa_kernarg_size 100
		.amdhsa_user_sgpr_count 13
		.amdhsa_user_sgpr_dispatch_ptr 0
		.amdhsa_user_sgpr_queue_ptr 0
		.amdhsa_user_sgpr_kernarg_segment_ptr 1
		.amdhsa_user_sgpr_dispatch_id 0
		.amdhsa_user_sgpr_private_segment_size 0
		.amdhsa_wavefront_size32 1
		.amdhsa_uses_dynamic_stack 0
		.amdhsa_enable_private_segment 0
		.amdhsa_system_sgpr_workgroup_id_x 1
		.amdhsa_system_sgpr_workgroup_id_y 1
		.amdhsa_system_sgpr_workgroup_id_z 1
		.amdhsa_system_sgpr_workgroup_info 0
		.amdhsa_system_vgpr_workitem_id 1
		.amdhsa_next_free_vgpr 42
		.amdhsa_next_free_sgpr 18
		.amdhsa_reserve_vcc 1
		.amdhsa_float_round_mode_32 0
		.amdhsa_float_round_mode_16_64 0
		.amdhsa_float_denorm_mode_32 3
		.amdhsa_float_denorm_mode_16_64 3
		.amdhsa_dx10_clamp 1
		.amdhsa_ieee_mode 1
		.amdhsa_fp16_overflow 0
		.amdhsa_workgroup_processor_mode 1
		.amdhsa_memory_ordered 1
		.amdhsa_forward_progress 0
		.amdhsa_shared_vgpr_count 0
		.amdhsa_exception_fp_ieee_invalid_op 0
		.amdhsa_exception_fp_denorm_src 0
		.amdhsa_exception_fp_ieee_div_zero 0
		.amdhsa_exception_fp_ieee_overflow 0
		.amdhsa_exception_fp_ieee_underflow 0
		.amdhsa_exception_fp_ieee_inexact 0
		.amdhsa_exception_int_div_zero 0
	.end_amdhsa_kernel
	.section	.text._ZL34rocblas_syrkx_herkx_general_kernelIifLi16ELi32ELi8ELb0ELb0ELc84ELc76EKPKfKPfEviT_T0_PT8_S5_lS8_S5_lS6_PT9_S5_li,"axG",@progbits,_ZL34rocblas_syrkx_herkx_general_kernelIifLi16ELi32ELi8ELb0ELb0ELc84ELc76EKPKfKPfEviT_T0_PT8_S5_lS8_S5_lS6_PT9_S5_li,comdat
.Lfunc_end530:
	.size	_ZL34rocblas_syrkx_herkx_general_kernelIifLi16ELi32ELi8ELb0ELb0ELc84ELc76EKPKfKPfEviT_T0_PT8_S5_lS8_S5_lS6_PT9_S5_li, .Lfunc_end530-_ZL34rocblas_syrkx_herkx_general_kernelIifLi16ELi32ELi8ELb0ELb0ELc84ELc76EKPKfKPfEviT_T0_PT8_S5_lS8_S5_lS6_PT9_S5_li
                                        ; -- End function
	.section	.AMDGPU.csdata,"",@progbits
; Kernel info:
; codeLenInByte = 1396
; NumSgprs: 20
; NumVgprs: 42
; ScratchSize: 0
; MemoryBound: 0
; FloatMode: 240
; IeeeMode: 1
; LDSByteSize: 2048 bytes/workgroup (compile time only)
; SGPRBlocks: 2
; VGPRBlocks: 5
; NumSGPRsForWavesPerEU: 20
; NumVGPRsForWavesPerEU: 42
; Occupancy: 16
; WaveLimiterHint : 1
; COMPUTE_PGM_RSRC2:SCRATCH_EN: 0
; COMPUTE_PGM_RSRC2:USER_SGPR: 13
; COMPUTE_PGM_RSRC2:TRAP_HANDLER: 0
; COMPUTE_PGM_RSRC2:TGID_X_EN: 1
; COMPUTE_PGM_RSRC2:TGID_Y_EN: 1
; COMPUTE_PGM_RSRC2:TGID_Z_EN: 1
; COMPUTE_PGM_RSRC2:TIDIG_COMP_CNT: 1
	.section	.text._ZL34rocblas_syrkx_herkx_general_kernelIifLi16ELi32ELi8ELb0ELb0ELc67ELc76EKPKfKPfEviT_T0_PT8_S5_lS8_S5_lS6_PT9_S5_li,"axG",@progbits,_ZL34rocblas_syrkx_herkx_general_kernelIifLi16ELi32ELi8ELb0ELb0ELc67ELc76EKPKfKPfEviT_T0_PT8_S5_lS8_S5_lS6_PT9_S5_li,comdat
	.globl	_ZL34rocblas_syrkx_herkx_general_kernelIifLi16ELi32ELi8ELb0ELb0ELc67ELc76EKPKfKPfEviT_T0_PT8_S5_lS8_S5_lS6_PT9_S5_li ; -- Begin function _ZL34rocblas_syrkx_herkx_general_kernelIifLi16ELi32ELi8ELb0ELb0ELc67ELc76EKPKfKPfEviT_T0_PT8_S5_lS8_S5_lS6_PT9_S5_li
	.p2align	8
	.type	_ZL34rocblas_syrkx_herkx_general_kernelIifLi16ELi32ELi8ELb0ELb0ELc67ELc76EKPKfKPfEviT_T0_PT8_S5_lS8_S5_lS6_PT9_S5_li,@function
_ZL34rocblas_syrkx_herkx_general_kernelIifLi16ELi32ELi8ELb0ELb0ELc67ELc76EKPKfKPfEviT_T0_PT8_S5_lS8_S5_lS6_PT9_S5_li: ; @_ZL34rocblas_syrkx_herkx_general_kernelIifLi16ELi32ELi8ELb0ELb0ELc67ELc76EKPKfKPfEviT_T0_PT8_S5_lS8_S5_lS6_PT9_S5_li
; %bb.0:
	s_clause 0x1
	s_load_b64 s[8:9], s[0:1], 0x48
	s_load_b128 s[4:7], s[0:1], 0x0
	s_mov_b32 s10, s15
	s_mov_b32 s11, 0
	v_dual_mov_b32 v10, 0 :: v_dual_and_b32 v5, 0x3ff, v0
	s_lshl_b64 s[2:3], s[10:11], 3
	v_bfe_u32 v6, v0, 10, 10
	v_dual_mov_b32 v8, 0 :: v_dual_mov_b32 v7, 0
	v_mov_b32_e32 v4, 0
	s_waitcnt lgkmcnt(0)
	s_add_u32 s8, s8, s2
	s_addc_u32 s9, s9, s3
	s_lshl_b32 s7, s13, 5
	s_load_b64 s[8:9], s[8:9], 0x0
	s_lshl_b32 s10, s14, 5
	s_cmp_lt_i32 s5, 1
	s_cbranch_scc1 .LBB531_7
; %bb.1:
	s_clause 0x2
	s_load_b64 s[12:13], s[0:1], 0x28
	s_load_b32 s16, s[0:1], 0x18
	s_load_b64 s[14:15], s[0:1], 0x10
	v_lshl_add_u32 v0, v6, 4, v5
	s_load_b32 s17, s[0:1], 0x30
	v_and_b32_e32 v9, 7, v5
	v_lshlrev_b32_e32 v11, 2, v5
	v_lshl_add_u32 v12, v6, 5, 0x400
	v_and_b32_e32 v1, 31, v0
	v_lshrrev_b32_e32 v13, 5, v0
	v_lshrrev_b32_e32 v2, 3, v0
	v_lshlrev_b32_e32 v4, 2, v9
	s_delay_alu instid0(VALU_DEP_4) | instskip(NEXT) | instid1(VALU_DEP_4)
	v_lshlrev_b32_e32 v10, 2, v1
	v_lshlrev_b32_e32 v16, 2, v13
	s_delay_alu instid0(VALU_DEP_4) | instskip(NEXT) | instid1(VALU_DEP_4)
	v_add_nc_u32_e32 v7, s10, v2
	v_lshl_or_b32 v15, v2, 5, v4
	s_delay_alu instid0(VALU_DEP_4)
	v_lshl_or_b32 v14, v13, 7, v10
	v_dual_mov_b32 v10, 0 :: v_dual_add_nc_u32 v3, s7, v1
	s_waitcnt lgkmcnt(0)
	s_add_u32 s12, s12, s2
	s_addc_u32 s13, s13, s3
	s_add_u32 s2, s14, s2
	s_addc_u32 s3, s15, s3
	v_or_b32_e32 v8, s7, v1
	v_mad_i64_i32 v[0:1], null, s16, v3, 0
	s_load_b64 s[14:15], s[2:3], 0x0
	v_mad_i64_i32 v[2:3], null, s17, v7, 0
	s_load_b64 s[12:13], s[12:13], 0x0
	v_cmp_gt_i32_e64 s2, s4, v7
	v_mov_b32_e32 v7, 0
	s_delay_alu instid0(VALU_DEP_4)
	v_lshlrev_b64 v[0:1], 2, v[0:1]
	v_cmp_gt_i32_e32 vcc_lo, s4, v8
	v_add_nc_u32_e32 v15, 0x400, v15
	v_lshlrev_b64 v[2:3], 2, v[2:3]
	v_mov_b32_e32 v8, 0
	v_add_co_u32 v0, s3, v0, v16
	s_delay_alu instid0(VALU_DEP_1) | instskip(NEXT) | instid1(VALU_DEP_4)
	v_add_co_ci_u32_e64 v1, s3, 0, v1, s3
	v_add_co_u32 v2, s3, v2, v4
	s_delay_alu instid0(VALU_DEP_1) | instskip(SKIP_2) | instid1(VALU_DEP_1)
	v_add_co_ci_u32_e64 v3, s3, 0, v3, s3
	s_waitcnt lgkmcnt(0)
	v_add_co_u32 v0, s3, s14, v0
	v_add_co_ci_u32_e64 v1, s3, s15, v1, s3
	v_add_co_u32 v2, s3, s12, v2
	s_delay_alu instid0(VALU_DEP_1)
	v_add_co_ci_u32_e64 v3, s3, s13, v3, s3
	v_mov_b32_e32 v4, 0
	s_branch .LBB531_3
.LBB531_2:                              ;   in Loop: Header=BB531_3 Depth=1
	s_or_b32 exec_lo, exec_lo, s3
	s_waitcnt vmcnt(0)
	ds_store_b32 v15, v17
	s_waitcnt lgkmcnt(0)
	s_barrier
	buffer_gl0_inv
	ds_load_2addr_b32 v[32:33], v11 offset1:16
	ds_load_b128 v[16:19], v12
	ds_load_b128 v[20:23], v12 offset:512
	ds_load_2addr_b32 v[34:35], v11 offset0:32 offset1:48
	ds_load_2addr_b32 v[36:37], v11 offset0:64 offset1:80
	;; [unrolled: 1-line block ×3, first 2 shown]
	ds_load_b128 v[24:27], v12 offset:16
	ds_load_2addr_b32 v[40:41], v11 offset0:128 offset1:144
	ds_load_b128 v[28:31], v12 offset:528
	v_add_co_u32 v0, s3, v0, 32
	s_delay_alu instid0(VALU_DEP_1) | instskip(SKIP_1) | instid1(VALU_DEP_1)
	v_add_co_ci_u32_e64 v1, s3, 0, v1, s3
	v_add_co_u32 v2, s3, v2, 32
	v_add_co_ci_u32_e64 v3, s3, 0, v3, s3
	s_add_i32 s11, s11, 8
	s_delay_alu instid0(SALU_CYCLE_1) | instskip(SKIP_3) | instid1(VALU_DEP_1)
	s_cmp_ge_i32 s11, s5
	s_waitcnt lgkmcnt(6)
	v_fmac_f32_e32 v7, v32, v20
	s_waitcnt lgkmcnt(5)
	v_dual_fmac_f32 v10, v32, v16 :: v_dual_fmac_f32 v7, v34, v21
	v_fmac_f32_e32 v8, v33, v16
	s_waitcnt lgkmcnt(4)
	s_delay_alu instid0(VALU_DEP_2)
	v_dual_fmac_f32 v10, v34, v17 :: v_dual_fmac_f32 v7, v36, v22
	v_fmac_f32_e32 v4, v33, v20
	ds_load_2addr_b32 v[32:33], v11 offset0:160 offset1:176
	s_waitcnt lgkmcnt(4)
	v_dual_fmac_f32 v10, v36, v18 :: v_dual_fmac_f32 v7, v38, v23
	v_fmac_f32_e32 v8, v35, v17
	ds_load_2addr_b32 v[16:17], v11 offset0:192 offset1:208
	s_waitcnt lgkmcnt(2)
	v_dual_fmac_f32 v10, v38, v19 :: v_dual_fmac_f32 v7, v40, v28
	v_fmac_f32_e32 v8, v37, v18
	s_delay_alu instid0(VALU_DEP_2) | instskip(SKIP_1) | instid1(VALU_DEP_3)
	v_fmac_f32_e32 v10, v40, v24
	s_waitcnt lgkmcnt(1)
	v_fmac_f32_e32 v7, v32, v29
	v_fmac_f32_e32 v4, v35, v21
	ds_load_2addr_b32 v[20:21], v11 offset0:224 offset1:240
	v_fmac_f32_e32 v8, v39, v19
	v_fmac_f32_e32 v10, v32, v25
	s_waitcnt lgkmcnt(1)
	v_fmac_f32_e32 v7, v16, v30
	v_fmac_f32_e32 v4, v37, v22
	s_waitcnt lgkmcnt(0)
	v_fmac_f32_e32 v8, v41, v24
	v_fmac_f32_e32 v10, v16, v26
	s_barrier
	buffer_gl0_inv
	v_fmac_f32_e32 v8, v33, v25
	s_delay_alu instid0(VALU_DEP_1) | instskip(SKIP_2) | instid1(VALU_DEP_3)
	v_dual_fmac_f32 v8, v17, v26 :: v_dual_fmac_f32 v7, v20, v31
	v_fmac_f32_e32 v4, v39, v23
	v_fmac_f32_e32 v10, v20, v27
	;; [unrolled: 1-line block ×3, first 2 shown]
	s_delay_alu instid0(VALU_DEP_3) | instskip(NEXT) | instid1(VALU_DEP_1)
	v_fmac_f32_e32 v4, v41, v28
	v_fmac_f32_e32 v4, v33, v29
	s_delay_alu instid0(VALU_DEP_1) | instskip(NEXT) | instid1(VALU_DEP_1)
	v_fmac_f32_e32 v4, v17, v30
	v_fmac_f32_e32 v4, v21, v31
	s_cbranch_scc1 .LBB531_7
.LBB531_3:                              ; =>This Inner Loop Header: Depth=1
	v_add_nc_u32_e32 v16, s11, v13
	s_delay_alu instid0(VALU_DEP_1) | instskip(SKIP_1) | instid1(VALU_DEP_2)
	v_cmp_gt_i32_e64 s3, s5, v16
	v_mov_b32_e32 v16, 0
	s_and_b32 s12, vcc_lo, s3
	s_delay_alu instid0(SALU_CYCLE_1)
	s_and_saveexec_b32 s3, s12
	s_cbranch_execz .LBB531_5
; %bb.4:                                ;   in Loop: Header=BB531_3 Depth=1
	global_load_b32 v16, v[0:1], off
.LBB531_5:                              ;   in Loop: Header=BB531_3 Depth=1
	s_or_b32 exec_lo, exec_lo, s3
	v_add_nc_u32_e32 v17, s11, v9
	s_waitcnt vmcnt(0)
	ds_store_b32 v14, v16
	v_cmp_gt_i32_e64 s3, s5, v17
	v_mov_b32_e32 v17, 0
	s_delay_alu instid0(VALU_DEP_2) | instskip(NEXT) | instid1(SALU_CYCLE_1)
	s_and_b32 s12, s3, s2
	s_and_saveexec_b32 s3, s12
	s_cbranch_execz .LBB531_2
; %bb.6:                                ;   in Loop: Header=BB531_3 Depth=1
	global_load_b32 v17, v[2:3], off
	s_branch .LBB531_2
.LBB531_7:
	s_clause 0x1
	s_load_b32 s2, s[0:1], 0x50
	s_load_b32 s3, s[0:1], 0x40
	v_add_nc_u32_e32 v6, s10, v6
	v_add_nc_u32_e32 v0, s7, v5
	s_delay_alu instid0(VALU_DEP_1) | instskip(SKIP_1) | instid1(VALU_DEP_2)
	v_cmp_le_i32_e64 s0, v6, v0
	v_cmp_gt_i32_e32 vcc_lo, s4, v0
	s_and_b32 s0, s0, vcc_lo
	s_waitcnt lgkmcnt(0)
	v_mad_i64_i32 v[1:2], null, v6, s2, 0
	s_delay_alu instid0(VALU_DEP_1) | instskip(NEXT) | instid1(VALU_DEP_1)
	v_lshlrev_b64 v[1:2], 2, v[1:2]
	v_add_co_u32 v5, s1, s8, v1
	s_delay_alu instid0(VALU_DEP_1)
	v_add_co_ci_u32_e64 v9, s1, s9, v2, s1
	s_and_saveexec_b32 s1, s0
	s_cbranch_execz .LBB531_9
; %bb.8:
	v_ashrrev_i32_e32 v1, 31, v0
	s_delay_alu instid0(VALU_DEP_1) | instskip(NEXT) | instid1(VALU_DEP_1)
	v_lshlrev_b64 v[1:2], 2, v[0:1]
	v_add_co_u32 v1, s0, v5, v1
	s_delay_alu instid0(VALU_DEP_1) | instskip(SKIP_3) | instid1(VALU_DEP_1)
	v_add_co_ci_u32_e64 v2, s0, v9, v2, s0
	global_load_b32 v3, v[1:2], off
	s_waitcnt vmcnt(0)
	v_mul_f32_e32 v3, s3, v3
	v_fmac_f32_e32 v3, s6, v10
	global_store_b32 v[1:2], v3, off
.LBB531_9:
	s_or_b32 exec_lo, exec_lo, s1
	v_add_nc_u32_e32 v2, 16, v0
	s_delay_alu instid0(VALU_DEP_1) | instskip(SKIP_1) | instid1(VALU_DEP_1)
	v_cmp_le_i32_e64 s1, v6, v2
	v_cmp_gt_i32_e64 s0, s4, v2
	s_and_b32 s1, s1, s0
	s_delay_alu instid0(SALU_CYCLE_1)
	s_and_saveexec_b32 s4, s1
	s_cbranch_execz .LBB531_11
; %bb.10:
	v_ashrrev_i32_e32 v3, 31, v2
	s_delay_alu instid0(VALU_DEP_1) | instskip(NEXT) | instid1(VALU_DEP_1)
	v_lshlrev_b64 v[10:11], 2, v[2:3]
	v_add_co_u32 v10, s1, v5, v10
	s_delay_alu instid0(VALU_DEP_1) | instskip(SKIP_3) | instid1(VALU_DEP_1)
	v_add_co_ci_u32_e64 v11, s1, v9, v11, s1
	global_load_b32 v1, v[10:11], off
	s_waitcnt vmcnt(0)
	v_mul_f32_e32 v1, s3, v1
	v_fmac_f32_e32 v1, s6, v8
	global_store_b32 v[10:11], v1, off
.LBB531_11:
	s_or_b32 exec_lo, exec_lo, s4
	v_add_nc_u32_e32 v3, 16, v6
	s_delay_alu instid0(VALU_DEP_1) | instskip(SKIP_1) | instid1(VALU_DEP_2)
	v_mad_i64_i32 v[5:6], null, v3, s2, 0
	v_cmp_le_i32_e64 s1, v3, v0
	v_lshlrev_b64 v[5:6], 2, v[5:6]
	s_delay_alu instid0(VALU_DEP_1) | instskip(NEXT) | instid1(VALU_DEP_1)
	v_add_co_u32 v5, s2, s8, v5
	v_add_co_ci_u32_e64 v6, s2, s9, v6, s2
	s_delay_alu instid0(VALU_DEP_4) | instskip(NEXT) | instid1(SALU_CYCLE_1)
	s_and_b32 s2, s1, vcc_lo
	s_and_saveexec_b32 s1, s2
	s_cbranch_execz .LBB531_13
; %bb.12:
	v_ashrrev_i32_e32 v1, 31, v0
	s_delay_alu instid0(VALU_DEP_1) | instskip(NEXT) | instid1(VALU_DEP_1)
	v_lshlrev_b64 v[0:1], 2, v[0:1]
	v_add_co_u32 v0, vcc_lo, v5, v0
	s_delay_alu instid0(VALU_DEP_2) | instskip(SKIP_3) | instid1(VALU_DEP_1)
	v_add_co_ci_u32_e32 v1, vcc_lo, v6, v1, vcc_lo
	global_load_b32 v8, v[0:1], off
	s_waitcnt vmcnt(0)
	v_mul_f32_e32 v8, s3, v8
	v_fmac_f32_e32 v8, s6, v7
	global_store_b32 v[0:1], v8, off
.LBB531_13:
	s_or_b32 exec_lo, exec_lo, s1
	v_cmp_le_i32_e32 vcc_lo, v3, v2
	s_and_b32 s0, vcc_lo, s0
	s_delay_alu instid0(SALU_CYCLE_1)
	s_and_saveexec_b32 s1, s0
	s_cbranch_execz .LBB531_15
; %bb.14:
	v_ashrrev_i32_e32 v3, 31, v2
	s_delay_alu instid0(VALU_DEP_1) | instskip(NEXT) | instid1(VALU_DEP_1)
	v_lshlrev_b64 v[0:1], 2, v[2:3]
	v_add_co_u32 v0, vcc_lo, v5, v0
	s_delay_alu instid0(VALU_DEP_2) | instskip(SKIP_3) | instid1(VALU_DEP_1)
	v_add_co_ci_u32_e32 v1, vcc_lo, v6, v1, vcc_lo
	global_load_b32 v2, v[0:1], off
	s_waitcnt vmcnt(0)
	v_mul_f32_e32 v2, s3, v2
	v_fmac_f32_e32 v2, s6, v4
	global_store_b32 v[0:1], v2, off
.LBB531_15:
	s_nop 0
	s_sendmsg sendmsg(MSG_DEALLOC_VGPRS)
	s_endpgm
	.section	.rodata,"a",@progbits
	.p2align	6, 0x0
	.amdhsa_kernel _ZL34rocblas_syrkx_herkx_general_kernelIifLi16ELi32ELi8ELb0ELb0ELc67ELc76EKPKfKPfEviT_T0_PT8_S5_lS8_S5_lS6_PT9_S5_li
		.amdhsa_group_segment_fixed_size 2048
		.amdhsa_private_segment_fixed_size 0
		.amdhsa_kernarg_size 100
		.amdhsa_user_sgpr_count 13
		.amdhsa_user_sgpr_dispatch_ptr 0
		.amdhsa_user_sgpr_queue_ptr 0
		.amdhsa_user_sgpr_kernarg_segment_ptr 1
		.amdhsa_user_sgpr_dispatch_id 0
		.amdhsa_user_sgpr_private_segment_size 0
		.amdhsa_wavefront_size32 1
		.amdhsa_uses_dynamic_stack 0
		.amdhsa_enable_private_segment 0
		.amdhsa_system_sgpr_workgroup_id_x 1
		.amdhsa_system_sgpr_workgroup_id_y 1
		.amdhsa_system_sgpr_workgroup_id_z 1
		.amdhsa_system_sgpr_workgroup_info 0
		.amdhsa_system_vgpr_workitem_id 1
		.amdhsa_next_free_vgpr 42
		.amdhsa_next_free_sgpr 18
		.amdhsa_reserve_vcc 1
		.amdhsa_float_round_mode_32 0
		.amdhsa_float_round_mode_16_64 0
		.amdhsa_float_denorm_mode_32 3
		.amdhsa_float_denorm_mode_16_64 3
		.amdhsa_dx10_clamp 1
		.amdhsa_ieee_mode 1
		.amdhsa_fp16_overflow 0
		.amdhsa_workgroup_processor_mode 1
		.amdhsa_memory_ordered 1
		.amdhsa_forward_progress 0
		.amdhsa_shared_vgpr_count 0
		.amdhsa_exception_fp_ieee_invalid_op 0
		.amdhsa_exception_fp_denorm_src 0
		.amdhsa_exception_fp_ieee_div_zero 0
		.amdhsa_exception_fp_ieee_overflow 0
		.amdhsa_exception_fp_ieee_underflow 0
		.amdhsa_exception_fp_ieee_inexact 0
		.amdhsa_exception_int_div_zero 0
	.end_amdhsa_kernel
	.section	.text._ZL34rocblas_syrkx_herkx_general_kernelIifLi16ELi32ELi8ELb0ELb0ELc67ELc76EKPKfKPfEviT_T0_PT8_S5_lS8_S5_lS6_PT9_S5_li,"axG",@progbits,_ZL34rocblas_syrkx_herkx_general_kernelIifLi16ELi32ELi8ELb0ELb0ELc67ELc76EKPKfKPfEviT_T0_PT8_S5_lS8_S5_lS6_PT9_S5_li,comdat
.Lfunc_end531:
	.size	_ZL34rocblas_syrkx_herkx_general_kernelIifLi16ELi32ELi8ELb0ELb0ELc67ELc76EKPKfKPfEviT_T0_PT8_S5_lS8_S5_lS6_PT9_S5_li, .Lfunc_end531-_ZL34rocblas_syrkx_herkx_general_kernelIifLi16ELi32ELi8ELb0ELb0ELc67ELc76EKPKfKPfEviT_T0_PT8_S5_lS8_S5_lS6_PT9_S5_li
                                        ; -- End function
	.section	.AMDGPU.csdata,"",@progbits
; Kernel info:
; codeLenInByte = 1396
; NumSgprs: 20
; NumVgprs: 42
; ScratchSize: 0
; MemoryBound: 0
; FloatMode: 240
; IeeeMode: 1
; LDSByteSize: 2048 bytes/workgroup (compile time only)
; SGPRBlocks: 2
; VGPRBlocks: 5
; NumSGPRsForWavesPerEU: 20
; NumVGPRsForWavesPerEU: 42
; Occupancy: 16
; WaveLimiterHint : 1
; COMPUTE_PGM_RSRC2:SCRATCH_EN: 0
; COMPUTE_PGM_RSRC2:USER_SGPR: 13
; COMPUTE_PGM_RSRC2:TRAP_HANDLER: 0
; COMPUTE_PGM_RSRC2:TGID_X_EN: 1
; COMPUTE_PGM_RSRC2:TGID_Y_EN: 1
; COMPUTE_PGM_RSRC2:TGID_Z_EN: 1
; COMPUTE_PGM_RSRC2:TIDIG_COMP_CNT: 1
	.section	.text._ZL34rocblas_syrkx_herkx_general_kernelIifLi16ELi32ELi8ELb0ELb0ELc78ELc76EKPKfKPfEviT_T0_PT8_S5_lS8_S5_lS6_PT9_S5_li,"axG",@progbits,_ZL34rocblas_syrkx_herkx_general_kernelIifLi16ELi32ELi8ELb0ELb0ELc78ELc76EKPKfKPfEviT_T0_PT8_S5_lS8_S5_lS6_PT9_S5_li,comdat
	.globl	_ZL34rocblas_syrkx_herkx_general_kernelIifLi16ELi32ELi8ELb0ELb0ELc78ELc76EKPKfKPfEviT_T0_PT8_S5_lS8_S5_lS6_PT9_S5_li ; -- Begin function _ZL34rocblas_syrkx_herkx_general_kernelIifLi16ELi32ELi8ELb0ELb0ELc78ELc76EKPKfKPfEviT_T0_PT8_S5_lS8_S5_lS6_PT9_S5_li
	.p2align	8
	.type	_ZL34rocblas_syrkx_herkx_general_kernelIifLi16ELi32ELi8ELb0ELb0ELc78ELc76EKPKfKPfEviT_T0_PT8_S5_lS8_S5_lS6_PT9_S5_li,@function
_ZL34rocblas_syrkx_herkx_general_kernelIifLi16ELi32ELi8ELb0ELb0ELc78ELc76EKPKfKPfEviT_T0_PT8_S5_lS8_S5_lS6_PT9_S5_li: ; @_ZL34rocblas_syrkx_herkx_general_kernelIifLi16ELi32ELi8ELb0ELb0ELc78ELc76EKPKfKPfEviT_T0_PT8_S5_lS8_S5_lS6_PT9_S5_li
; %bb.0:
	s_clause 0x1
	s_load_b64 s[8:9], s[0:1], 0x48
	s_load_b128 s[4:7], s[0:1], 0x0
	s_mov_b32 s10, s15
	s_mov_b32 s11, 0
	v_dual_mov_b32 v4, 0 :: v_dual_and_b32 v5, 0x3ff, v0
	s_lshl_b64 s[2:3], s[10:11], 3
	v_bfe_u32 v6, v0, 10, 10
	v_mov_b32_e32 v11, 0
	v_mov_b32_e32 v9, 0
	;; [unrolled: 1-line block ×3, first 2 shown]
	s_waitcnt lgkmcnt(0)
	s_add_u32 s8, s8, s2
	s_addc_u32 s9, s9, s3
	s_lshl_b32 s7, s13, 5
	s_load_b64 s[8:9], s[8:9], 0x0
	s_lshl_b32 s10, s14, 5
	s_cmp_lt_i32 s5, 1
	s_cbranch_scc1 .LBB532_7
; %bb.1:
	s_clause 0x3
	s_load_b32 s12, s[0:1], 0x18
	s_load_b32 s14, s[0:1], 0x30
	s_load_b64 s[16:17], s[0:1], 0x28
	s_load_b64 s[18:19], s[0:1], 0x10
	v_lshl_add_u32 v0, v6, 4, v5
	v_dual_mov_b32 v11, 0 :: v_dual_and_b32 v8, 7, v5
	s_delay_alu instid0(VALU_DEP_2) | instskip(SKIP_1) | instid1(VALU_DEP_3)
	v_and_b32_e32 v1, 31, v0
	v_lshrrev_b32_e32 v2, 3, v0
	v_lshlrev_b32_e32 v3, 2, v8
	v_lshrrev_b32_e32 v10, 5, v0
	s_delay_alu instid0(VALU_DEP_4) | instskip(NEXT) | instid1(VALU_DEP_4)
	v_or_b32_e32 v4, s7, v1
	v_add_nc_u32_e32 v0, s10, v2
	s_delay_alu instid0(VALU_DEP_4) | instskip(SKIP_3) | instid1(VALU_DEP_4)
	v_lshl_or_b32 v9, v2, 5, v3
	v_add_nc_u32_e32 v2, s7, v1
	v_lshlrev_b32_e32 v7, 2, v1
	v_cmp_gt_i32_e32 vcc_lo, s4, v4
	v_add_nc_u32_e32 v13, 0x400, v9
	s_waitcnt lgkmcnt(0)
	s_ashr_i32 s13, s12, 31
	s_ashr_i32 s15, s14, 31
	s_add_u32 s16, s16, s2
	s_addc_u32 s17, s17, s3
	s_add_u32 s2, s18, s2
	s_addc_u32 s3, s19, s3
	v_mad_i64_i32 v[14:15], null, v10, s12, 0
	s_load_b64 s[16:17], s[16:17], 0x0
	s_load_b64 s[18:19], s[2:3], 0x0
	v_ashrrev_i32_e32 v3, 31, v2
	v_mad_i64_i32 v[16:17], null, s14, v8, 0
	v_mov_b32_e32 v9, 0
	v_ashrrev_i32_e32 v1, 31, v0
	v_lshlrev_b64 v[18:19], 2, v[14:15]
	v_lshlrev_b64 v[2:3], 2, v[2:3]
	v_cmp_gt_i32_e64 s2, s4, v0
	v_lshl_or_b32 v12, v10, 7, v7
	v_lshlrev_b64 v[16:17], 2, v[16:17]
	v_lshlrev_b64 v[0:1], 2, v[0:1]
	v_lshlrev_b32_e32 v14, 2, v5
	v_add_co_u32 v2, s3, v18, v2
	s_delay_alu instid0(VALU_DEP_1) | instskip(NEXT) | instid1(VALU_DEP_4)
	v_add_co_ci_u32_e64 v3, s3, v19, v3, s3
	v_add_co_u32 v4, s3, v16, v0
	s_delay_alu instid0(VALU_DEP_1) | instskip(SKIP_2) | instid1(VALU_DEP_1)
	v_add_co_ci_u32_e64 v7, s3, v17, v1, s3
	s_waitcnt lgkmcnt(0)
	v_add_co_u32 v0, s3, s18, v2
	v_add_co_ci_u32_e64 v1, s3, s19, v3, s3
	v_add_co_u32 v2, s3, s16, v4
	v_lshl_add_u32 v15, v6, 5, 0x400
	v_add_co_ci_u32_e64 v3, s3, s17, v7, s3
	v_dual_mov_b32 v4, 0 :: v_dual_mov_b32 v7, 0
	s_lshl_b64 s[12:13], s[12:13], 5
	s_lshl_b64 s[14:15], s[14:15], 5
	s_branch .LBB532_3
.LBB532_2:                              ;   in Loop: Header=BB532_3 Depth=1
	s_or_b32 exec_lo, exec_lo, s3
	s_waitcnt vmcnt(0)
	ds_store_b32 v13, v17
	s_waitcnt lgkmcnt(0)
	s_barrier
	buffer_gl0_inv
	ds_load_2addr_b32 v[32:33], v14 offset1:16
	ds_load_b128 v[16:19], v15
	ds_load_b128 v[20:23], v15 offset:512
	ds_load_2addr_b32 v[34:35], v14 offset0:32 offset1:48
	ds_load_2addr_b32 v[36:37], v14 offset0:64 offset1:80
	;; [unrolled: 1-line block ×3, first 2 shown]
	ds_load_b128 v[24:27], v15 offset:16
	ds_load_2addr_b32 v[40:41], v14 offset0:128 offset1:144
	ds_load_b128 v[28:31], v15 offset:528
	v_add_co_u32 v0, s3, v0, s12
	s_delay_alu instid0(VALU_DEP_1) | instskip(SKIP_1) | instid1(VALU_DEP_1)
	v_add_co_ci_u32_e64 v1, s3, s13, v1, s3
	v_add_co_u32 v2, s3, v2, s14
	v_add_co_ci_u32_e64 v3, s3, s15, v3, s3
	s_add_i32 s11, s11, 8
	s_delay_alu instid0(SALU_CYCLE_1) | instskip(SKIP_3) | instid1(VALU_DEP_1)
	s_cmp_ge_i32 s11, s5
	s_waitcnt lgkmcnt(6)
	v_fmac_f32_e32 v4, v33, v20
	s_waitcnt lgkmcnt(5)
	v_dual_fmac_f32 v11, v32, v16 :: v_dual_fmac_f32 v4, v35, v21
	v_fmac_f32_e32 v7, v32, v20
	s_waitcnt lgkmcnt(4)
	s_delay_alu instid0(VALU_DEP_2)
	v_dual_fmac_f32 v11, v34, v17 :: v_dual_fmac_f32 v4, v37, v22
	v_fmac_f32_e32 v9, v33, v16
	ds_load_2addr_b32 v[32:33], v14 offset0:160 offset1:176
	s_waitcnt lgkmcnt(4)
	v_fmac_f32_e32 v4, v39, v23
	v_fmac_f32_e32 v9, v35, v17
	ds_load_2addr_b32 v[16:17], v14 offset0:192 offset1:208
	s_waitcnt lgkmcnt(2)
	v_dual_fmac_f32 v4, v41, v28 :: v_dual_fmac_f32 v11, v36, v18
	v_fmac_f32_e32 v9, v37, v18
	s_waitcnt lgkmcnt(1)
	s_delay_alu instid0(VALU_DEP_1)
	v_dual_fmac_f32 v9, v39, v19 :: v_dual_fmac_f32 v4, v33, v29
	v_fmac_f32_e32 v7, v34, v21
	ds_load_2addr_b32 v[20:21], v14 offset0:224 offset1:240
	v_fmac_f32_e32 v11, v38, v19
	v_fmac_f32_e32 v9, v41, v24
	s_waitcnt lgkmcnt(1)
	v_fmac_f32_e32 v4, v17, v30
	v_fmac_f32_e32 v7, v36, v22
	s_waitcnt lgkmcnt(0)
	v_fmac_f32_e32 v11, v40, v24
	v_fmac_f32_e32 v9, v33, v25
	s_barrier
	buffer_gl0_inv
	v_fmac_f32_e32 v11, v32, v25
	v_fmac_f32_e32 v9, v17, v26
	s_delay_alu instid0(VALU_DEP_2) | instskip(SKIP_1) | instid1(VALU_DEP_2)
	v_dual_fmac_f32 v11, v16, v26 :: v_dual_fmac_f32 v4, v21, v31
	v_fmac_f32_e32 v7, v38, v23
	v_fmac_f32_e32 v11, v20, v27
	s_delay_alu instid0(VALU_DEP_4) | instskip(NEXT) | instid1(VALU_DEP_3)
	v_fmac_f32_e32 v9, v21, v27
	v_fmac_f32_e32 v7, v40, v28
	s_delay_alu instid0(VALU_DEP_1) | instskip(NEXT) | instid1(VALU_DEP_1)
	v_fmac_f32_e32 v7, v32, v29
	v_fmac_f32_e32 v7, v16, v30
	s_delay_alu instid0(VALU_DEP_1)
	v_fmac_f32_e32 v7, v20, v31
	s_cbranch_scc1 .LBB532_7
.LBB532_3:                              ; =>This Inner Loop Header: Depth=1
	v_add_nc_u32_e32 v16, s11, v10
	s_delay_alu instid0(VALU_DEP_1) | instskip(SKIP_1) | instid1(VALU_DEP_2)
	v_cmp_gt_i32_e64 s3, s5, v16
	v_mov_b32_e32 v16, 0
	s_and_b32 s16, vcc_lo, s3
	s_delay_alu instid0(SALU_CYCLE_1)
	s_and_saveexec_b32 s3, s16
	s_cbranch_execz .LBB532_5
; %bb.4:                                ;   in Loop: Header=BB532_3 Depth=1
	global_load_b32 v16, v[0:1], off
.LBB532_5:                              ;   in Loop: Header=BB532_3 Depth=1
	s_or_b32 exec_lo, exec_lo, s3
	v_add_nc_u32_e32 v17, s11, v8
	s_waitcnt vmcnt(0)
	ds_store_b32 v12, v16
	v_cmp_gt_i32_e64 s3, s5, v17
	v_mov_b32_e32 v17, 0
	s_delay_alu instid0(VALU_DEP_2) | instskip(NEXT) | instid1(SALU_CYCLE_1)
	s_and_b32 s16, s3, s2
	s_and_saveexec_b32 s3, s16
	s_cbranch_execz .LBB532_2
; %bb.6:                                ;   in Loop: Header=BB532_3 Depth=1
	global_load_b32 v17, v[2:3], off
	s_branch .LBB532_2
.LBB532_7:
	s_clause 0x1
	s_load_b32 s2, s[0:1], 0x50
	s_load_b32 s3, s[0:1], 0x40
	v_add_nc_u32_e32 v6, s10, v6
	v_add_nc_u32_e32 v0, s7, v5
	s_delay_alu instid0(VALU_DEP_1) | instskip(SKIP_1) | instid1(VALU_DEP_2)
	v_cmp_le_i32_e64 s0, v6, v0
	v_cmp_gt_i32_e32 vcc_lo, s4, v0
	s_and_b32 s0, s0, vcc_lo
	s_waitcnt lgkmcnt(0)
	v_mad_i64_i32 v[1:2], null, v6, s2, 0
	s_delay_alu instid0(VALU_DEP_1) | instskip(NEXT) | instid1(VALU_DEP_1)
	v_lshlrev_b64 v[1:2], 2, v[1:2]
	v_add_co_u32 v5, s1, s8, v1
	s_delay_alu instid0(VALU_DEP_1)
	v_add_co_ci_u32_e64 v8, s1, s9, v2, s1
	s_and_saveexec_b32 s1, s0
	s_cbranch_execz .LBB532_9
; %bb.8:
	v_ashrrev_i32_e32 v1, 31, v0
	s_delay_alu instid0(VALU_DEP_1) | instskip(NEXT) | instid1(VALU_DEP_1)
	v_lshlrev_b64 v[1:2], 2, v[0:1]
	v_add_co_u32 v1, s0, v5, v1
	s_delay_alu instid0(VALU_DEP_1) | instskip(SKIP_3) | instid1(VALU_DEP_1)
	v_add_co_ci_u32_e64 v2, s0, v8, v2, s0
	global_load_b32 v3, v[1:2], off
	s_waitcnt vmcnt(0)
	v_mul_f32_e32 v3, s3, v3
	v_fmac_f32_e32 v3, s6, v11
	global_store_b32 v[1:2], v3, off
.LBB532_9:
	s_or_b32 exec_lo, exec_lo, s1
	v_add_nc_u32_e32 v2, 16, v0
	s_delay_alu instid0(VALU_DEP_1) | instskip(SKIP_1) | instid1(VALU_DEP_1)
	v_cmp_le_i32_e64 s1, v6, v2
	v_cmp_gt_i32_e64 s0, s4, v2
	s_and_b32 s1, s1, s0
	s_delay_alu instid0(SALU_CYCLE_1)
	s_and_saveexec_b32 s4, s1
	s_cbranch_execz .LBB532_11
; %bb.10:
	v_ashrrev_i32_e32 v3, 31, v2
	s_delay_alu instid0(VALU_DEP_1) | instskip(NEXT) | instid1(VALU_DEP_1)
	v_lshlrev_b64 v[10:11], 2, v[2:3]
	v_add_co_u32 v10, s1, v5, v10
	s_delay_alu instid0(VALU_DEP_1) | instskip(SKIP_3) | instid1(VALU_DEP_1)
	v_add_co_ci_u32_e64 v11, s1, v8, v11, s1
	global_load_b32 v1, v[10:11], off
	s_waitcnt vmcnt(0)
	v_mul_f32_e32 v1, s3, v1
	v_fmac_f32_e32 v1, s6, v9
	global_store_b32 v[10:11], v1, off
.LBB532_11:
	s_or_b32 exec_lo, exec_lo, s4
	v_add_nc_u32_e32 v3, 16, v6
	s_delay_alu instid0(VALU_DEP_1) | instskip(SKIP_1) | instid1(VALU_DEP_2)
	v_mad_i64_i32 v[5:6], null, v3, s2, 0
	v_cmp_le_i32_e64 s1, v3, v0
	v_lshlrev_b64 v[5:6], 2, v[5:6]
	s_delay_alu instid0(VALU_DEP_1) | instskip(NEXT) | instid1(VALU_DEP_1)
	v_add_co_u32 v5, s2, s8, v5
	v_add_co_ci_u32_e64 v6, s2, s9, v6, s2
	s_delay_alu instid0(VALU_DEP_4) | instskip(NEXT) | instid1(SALU_CYCLE_1)
	s_and_b32 s2, s1, vcc_lo
	s_and_saveexec_b32 s1, s2
	s_cbranch_execz .LBB532_13
; %bb.12:
	v_ashrrev_i32_e32 v1, 31, v0
	s_delay_alu instid0(VALU_DEP_1) | instskip(NEXT) | instid1(VALU_DEP_1)
	v_lshlrev_b64 v[0:1], 2, v[0:1]
	v_add_co_u32 v0, vcc_lo, v5, v0
	s_delay_alu instid0(VALU_DEP_2) | instskip(SKIP_3) | instid1(VALU_DEP_1)
	v_add_co_ci_u32_e32 v1, vcc_lo, v6, v1, vcc_lo
	global_load_b32 v8, v[0:1], off
	s_waitcnt vmcnt(0)
	v_mul_f32_e32 v8, s3, v8
	v_fmac_f32_e32 v8, s6, v7
	global_store_b32 v[0:1], v8, off
.LBB532_13:
	s_or_b32 exec_lo, exec_lo, s1
	v_cmp_le_i32_e32 vcc_lo, v3, v2
	s_and_b32 s0, vcc_lo, s0
	s_delay_alu instid0(SALU_CYCLE_1)
	s_and_saveexec_b32 s1, s0
	s_cbranch_execz .LBB532_15
; %bb.14:
	v_ashrrev_i32_e32 v3, 31, v2
	s_delay_alu instid0(VALU_DEP_1) | instskip(NEXT) | instid1(VALU_DEP_1)
	v_lshlrev_b64 v[0:1], 2, v[2:3]
	v_add_co_u32 v0, vcc_lo, v5, v0
	s_delay_alu instid0(VALU_DEP_2) | instskip(SKIP_3) | instid1(VALU_DEP_1)
	v_add_co_ci_u32_e32 v1, vcc_lo, v6, v1, vcc_lo
	global_load_b32 v2, v[0:1], off
	s_waitcnt vmcnt(0)
	v_mul_f32_e32 v2, s3, v2
	v_fmac_f32_e32 v2, s6, v4
	global_store_b32 v[0:1], v2, off
.LBB532_15:
	s_nop 0
	s_sendmsg sendmsg(MSG_DEALLOC_VGPRS)
	s_endpgm
	.section	.rodata,"a",@progbits
	.p2align	6, 0x0
	.amdhsa_kernel _ZL34rocblas_syrkx_herkx_general_kernelIifLi16ELi32ELi8ELb0ELb0ELc78ELc76EKPKfKPfEviT_T0_PT8_S5_lS8_S5_lS6_PT9_S5_li
		.amdhsa_group_segment_fixed_size 2048
		.amdhsa_private_segment_fixed_size 0
		.amdhsa_kernarg_size 100
		.amdhsa_user_sgpr_count 13
		.amdhsa_user_sgpr_dispatch_ptr 0
		.amdhsa_user_sgpr_queue_ptr 0
		.amdhsa_user_sgpr_kernarg_segment_ptr 1
		.amdhsa_user_sgpr_dispatch_id 0
		.amdhsa_user_sgpr_private_segment_size 0
		.amdhsa_wavefront_size32 1
		.amdhsa_uses_dynamic_stack 0
		.amdhsa_enable_private_segment 0
		.amdhsa_system_sgpr_workgroup_id_x 1
		.amdhsa_system_sgpr_workgroup_id_y 1
		.amdhsa_system_sgpr_workgroup_id_z 1
		.amdhsa_system_sgpr_workgroup_info 0
		.amdhsa_system_vgpr_workitem_id 1
		.amdhsa_next_free_vgpr 42
		.amdhsa_next_free_sgpr 20
		.amdhsa_reserve_vcc 1
		.amdhsa_float_round_mode_32 0
		.amdhsa_float_round_mode_16_64 0
		.amdhsa_float_denorm_mode_32 3
		.amdhsa_float_denorm_mode_16_64 3
		.amdhsa_dx10_clamp 1
		.amdhsa_ieee_mode 1
		.amdhsa_fp16_overflow 0
		.amdhsa_workgroup_processor_mode 1
		.amdhsa_memory_ordered 1
		.amdhsa_forward_progress 0
		.amdhsa_shared_vgpr_count 0
		.amdhsa_exception_fp_ieee_invalid_op 0
		.amdhsa_exception_fp_denorm_src 0
		.amdhsa_exception_fp_ieee_div_zero 0
		.amdhsa_exception_fp_ieee_overflow 0
		.amdhsa_exception_fp_ieee_underflow 0
		.amdhsa_exception_fp_ieee_inexact 0
		.amdhsa_exception_int_div_zero 0
	.end_amdhsa_kernel
	.section	.text._ZL34rocblas_syrkx_herkx_general_kernelIifLi16ELi32ELi8ELb0ELb0ELc78ELc76EKPKfKPfEviT_T0_PT8_S5_lS8_S5_lS6_PT9_S5_li,"axG",@progbits,_ZL34rocblas_syrkx_herkx_general_kernelIifLi16ELi32ELi8ELb0ELb0ELc78ELc76EKPKfKPfEviT_T0_PT8_S5_lS8_S5_lS6_PT9_S5_li,comdat
.Lfunc_end532:
	.size	_ZL34rocblas_syrkx_herkx_general_kernelIifLi16ELi32ELi8ELb0ELb0ELc78ELc76EKPKfKPfEviT_T0_PT8_S5_lS8_S5_lS6_PT9_S5_li, .Lfunc_end532-_ZL34rocblas_syrkx_herkx_general_kernelIifLi16ELi32ELi8ELb0ELb0ELc78ELc76EKPKfKPfEviT_T0_PT8_S5_lS8_S5_lS6_PT9_S5_li
                                        ; -- End function
	.section	.AMDGPU.csdata,"",@progbits
; Kernel info:
; codeLenInByte = 1428
; NumSgprs: 22
; NumVgprs: 42
; ScratchSize: 0
; MemoryBound: 0
; FloatMode: 240
; IeeeMode: 1
; LDSByteSize: 2048 bytes/workgroup (compile time only)
; SGPRBlocks: 2
; VGPRBlocks: 5
; NumSGPRsForWavesPerEU: 22
; NumVGPRsForWavesPerEU: 42
; Occupancy: 16
; WaveLimiterHint : 1
; COMPUTE_PGM_RSRC2:SCRATCH_EN: 0
; COMPUTE_PGM_RSRC2:USER_SGPR: 13
; COMPUTE_PGM_RSRC2:TRAP_HANDLER: 0
; COMPUTE_PGM_RSRC2:TGID_X_EN: 1
; COMPUTE_PGM_RSRC2:TGID_Y_EN: 1
; COMPUTE_PGM_RSRC2:TGID_Z_EN: 1
; COMPUTE_PGM_RSRC2:TIDIG_COMP_CNT: 1
	.section	.text._ZL34rocblas_syrkx_herkx_general_kernelIifLi16ELi32ELi8ELb0ELb0ELc84ELc85EKPKfKPfEviT_T0_PT8_S5_lS8_S5_lS6_PT9_S5_li,"axG",@progbits,_ZL34rocblas_syrkx_herkx_general_kernelIifLi16ELi32ELi8ELb0ELb0ELc84ELc85EKPKfKPfEviT_T0_PT8_S5_lS8_S5_lS6_PT9_S5_li,comdat
	.globl	_ZL34rocblas_syrkx_herkx_general_kernelIifLi16ELi32ELi8ELb0ELb0ELc84ELc85EKPKfKPfEviT_T0_PT8_S5_lS8_S5_lS6_PT9_S5_li ; -- Begin function _ZL34rocblas_syrkx_herkx_general_kernelIifLi16ELi32ELi8ELb0ELb0ELc84ELc85EKPKfKPfEviT_T0_PT8_S5_lS8_S5_lS6_PT9_S5_li
	.p2align	8
	.type	_ZL34rocblas_syrkx_herkx_general_kernelIifLi16ELi32ELi8ELb0ELb0ELc84ELc85EKPKfKPfEviT_T0_PT8_S5_lS8_S5_lS6_PT9_S5_li,@function
_ZL34rocblas_syrkx_herkx_general_kernelIifLi16ELi32ELi8ELb0ELb0ELc84ELc85EKPKfKPfEviT_T0_PT8_S5_lS8_S5_lS6_PT9_S5_li: ; @_ZL34rocblas_syrkx_herkx_general_kernelIifLi16ELi32ELi8ELb0ELb0ELc84ELc85EKPKfKPfEviT_T0_PT8_S5_lS8_S5_lS6_PT9_S5_li
; %bb.0:
	s_clause 0x1
	s_load_b64 s[8:9], s[0:1], 0x48
	s_load_b128 s[4:7], s[0:1], 0x0
	s_mov_b32 s10, s15
	s_mov_b32 s11, 0
	v_dual_mov_b32 v10, 0 :: v_dual_and_b32 v5, 0x3ff, v0
	s_lshl_b64 s[2:3], s[10:11], 3
	v_bfe_u32 v6, v0, 10, 10
	v_dual_mov_b32 v8, 0 :: v_dual_mov_b32 v7, 0
	v_mov_b32_e32 v4, 0
	s_waitcnt lgkmcnt(0)
	s_add_u32 s8, s8, s2
	s_addc_u32 s9, s9, s3
	s_lshl_b32 s7, s13, 5
	s_load_b64 s[8:9], s[8:9], 0x0
	s_lshl_b32 s10, s14, 5
	s_cmp_lt_i32 s5, 1
	s_cbranch_scc1 .LBB533_7
; %bb.1:
	s_clause 0x2
	s_load_b64 s[12:13], s[0:1], 0x28
	s_load_b32 s16, s[0:1], 0x18
	s_load_b64 s[14:15], s[0:1], 0x10
	v_lshl_add_u32 v0, v6, 4, v5
	s_load_b32 s17, s[0:1], 0x30
	v_and_b32_e32 v9, 7, v5
	v_lshlrev_b32_e32 v11, 2, v5
	v_lshl_add_u32 v12, v6, 5, 0x400
	v_and_b32_e32 v1, 31, v0
	v_lshrrev_b32_e32 v13, 5, v0
	v_lshrrev_b32_e32 v2, 3, v0
	v_lshlrev_b32_e32 v4, 2, v9
	s_delay_alu instid0(VALU_DEP_4) | instskip(NEXT) | instid1(VALU_DEP_4)
	v_lshlrev_b32_e32 v10, 2, v1
	v_lshlrev_b32_e32 v16, 2, v13
	s_delay_alu instid0(VALU_DEP_4) | instskip(NEXT) | instid1(VALU_DEP_4)
	v_add_nc_u32_e32 v7, s10, v2
	v_lshl_or_b32 v15, v2, 5, v4
	s_delay_alu instid0(VALU_DEP_4)
	v_lshl_or_b32 v14, v13, 7, v10
	v_dual_mov_b32 v10, 0 :: v_dual_add_nc_u32 v3, s7, v1
	s_waitcnt lgkmcnt(0)
	s_add_u32 s12, s12, s2
	s_addc_u32 s13, s13, s3
	s_add_u32 s2, s14, s2
	s_addc_u32 s3, s15, s3
	v_or_b32_e32 v8, s7, v1
	v_mad_i64_i32 v[0:1], null, s16, v3, 0
	s_load_b64 s[14:15], s[2:3], 0x0
	v_mad_i64_i32 v[2:3], null, s17, v7, 0
	s_load_b64 s[12:13], s[12:13], 0x0
	v_cmp_gt_i32_e64 s2, s4, v7
	v_mov_b32_e32 v7, 0
	s_delay_alu instid0(VALU_DEP_4)
	v_lshlrev_b64 v[0:1], 2, v[0:1]
	v_cmp_gt_i32_e32 vcc_lo, s4, v8
	v_add_nc_u32_e32 v15, 0x400, v15
	v_lshlrev_b64 v[2:3], 2, v[2:3]
	v_mov_b32_e32 v8, 0
	v_add_co_u32 v0, s3, v0, v16
	s_delay_alu instid0(VALU_DEP_1) | instskip(NEXT) | instid1(VALU_DEP_4)
	v_add_co_ci_u32_e64 v1, s3, 0, v1, s3
	v_add_co_u32 v2, s3, v2, v4
	s_delay_alu instid0(VALU_DEP_1) | instskip(SKIP_2) | instid1(VALU_DEP_1)
	v_add_co_ci_u32_e64 v3, s3, 0, v3, s3
	s_waitcnt lgkmcnt(0)
	v_add_co_u32 v0, s3, s14, v0
	v_add_co_ci_u32_e64 v1, s3, s15, v1, s3
	v_add_co_u32 v2, s3, s12, v2
	s_delay_alu instid0(VALU_DEP_1)
	v_add_co_ci_u32_e64 v3, s3, s13, v3, s3
	v_mov_b32_e32 v4, 0
	s_branch .LBB533_3
.LBB533_2:                              ;   in Loop: Header=BB533_3 Depth=1
	s_or_b32 exec_lo, exec_lo, s3
	s_waitcnt vmcnt(0)
	ds_store_b32 v15, v17
	s_waitcnt lgkmcnt(0)
	s_barrier
	buffer_gl0_inv
	ds_load_2addr_b32 v[32:33], v11 offset1:16
	ds_load_b128 v[16:19], v12
	ds_load_b128 v[20:23], v12 offset:512
	ds_load_2addr_b32 v[34:35], v11 offset0:32 offset1:48
	ds_load_2addr_b32 v[36:37], v11 offset0:64 offset1:80
	ds_load_2addr_b32 v[38:39], v11 offset0:96 offset1:112
	ds_load_b128 v[24:27], v12 offset:16
	ds_load_2addr_b32 v[40:41], v11 offset0:128 offset1:144
	ds_load_b128 v[28:31], v12 offset:528
	v_add_co_u32 v0, s3, v0, 32
	s_delay_alu instid0(VALU_DEP_1) | instskip(SKIP_1) | instid1(VALU_DEP_1)
	v_add_co_ci_u32_e64 v1, s3, 0, v1, s3
	v_add_co_u32 v2, s3, v2, 32
	v_add_co_ci_u32_e64 v3, s3, 0, v3, s3
	s_add_i32 s11, s11, 8
	s_delay_alu instid0(SALU_CYCLE_1) | instskip(SKIP_3) | instid1(VALU_DEP_1)
	s_cmp_ge_i32 s11, s5
	s_waitcnt lgkmcnt(6)
	v_fmac_f32_e32 v7, v32, v20
	s_waitcnt lgkmcnt(5)
	v_dual_fmac_f32 v10, v32, v16 :: v_dual_fmac_f32 v7, v34, v21
	v_fmac_f32_e32 v8, v33, v16
	s_waitcnt lgkmcnt(4)
	s_delay_alu instid0(VALU_DEP_2)
	v_dual_fmac_f32 v10, v34, v17 :: v_dual_fmac_f32 v7, v36, v22
	v_fmac_f32_e32 v4, v33, v20
	ds_load_2addr_b32 v[32:33], v11 offset0:160 offset1:176
	s_waitcnt lgkmcnt(4)
	v_dual_fmac_f32 v10, v36, v18 :: v_dual_fmac_f32 v7, v38, v23
	v_fmac_f32_e32 v8, v35, v17
	ds_load_2addr_b32 v[16:17], v11 offset0:192 offset1:208
	s_waitcnt lgkmcnt(2)
	v_dual_fmac_f32 v10, v38, v19 :: v_dual_fmac_f32 v7, v40, v28
	v_fmac_f32_e32 v8, v37, v18
	s_delay_alu instid0(VALU_DEP_2) | instskip(SKIP_1) | instid1(VALU_DEP_3)
	v_fmac_f32_e32 v10, v40, v24
	s_waitcnt lgkmcnt(1)
	v_fmac_f32_e32 v7, v32, v29
	v_fmac_f32_e32 v4, v35, v21
	ds_load_2addr_b32 v[20:21], v11 offset0:224 offset1:240
	v_fmac_f32_e32 v8, v39, v19
	v_fmac_f32_e32 v10, v32, v25
	s_waitcnt lgkmcnt(1)
	v_fmac_f32_e32 v7, v16, v30
	v_fmac_f32_e32 v4, v37, v22
	s_waitcnt lgkmcnt(0)
	v_fmac_f32_e32 v8, v41, v24
	v_fmac_f32_e32 v10, v16, v26
	s_barrier
	buffer_gl0_inv
	v_fmac_f32_e32 v8, v33, v25
	s_delay_alu instid0(VALU_DEP_1) | instskip(SKIP_2) | instid1(VALU_DEP_3)
	v_dual_fmac_f32 v8, v17, v26 :: v_dual_fmac_f32 v7, v20, v31
	v_fmac_f32_e32 v4, v39, v23
	v_fmac_f32_e32 v10, v20, v27
	;; [unrolled: 1-line block ×3, first 2 shown]
	s_delay_alu instid0(VALU_DEP_3) | instskip(NEXT) | instid1(VALU_DEP_1)
	v_fmac_f32_e32 v4, v41, v28
	v_fmac_f32_e32 v4, v33, v29
	s_delay_alu instid0(VALU_DEP_1) | instskip(NEXT) | instid1(VALU_DEP_1)
	v_fmac_f32_e32 v4, v17, v30
	v_fmac_f32_e32 v4, v21, v31
	s_cbranch_scc1 .LBB533_7
.LBB533_3:                              ; =>This Inner Loop Header: Depth=1
	v_add_nc_u32_e32 v16, s11, v13
	s_delay_alu instid0(VALU_DEP_1) | instskip(SKIP_1) | instid1(VALU_DEP_2)
	v_cmp_gt_i32_e64 s3, s5, v16
	v_mov_b32_e32 v16, 0
	s_and_b32 s12, vcc_lo, s3
	s_delay_alu instid0(SALU_CYCLE_1)
	s_and_saveexec_b32 s3, s12
	s_cbranch_execz .LBB533_5
; %bb.4:                                ;   in Loop: Header=BB533_3 Depth=1
	global_load_b32 v16, v[0:1], off
.LBB533_5:                              ;   in Loop: Header=BB533_3 Depth=1
	s_or_b32 exec_lo, exec_lo, s3
	v_add_nc_u32_e32 v17, s11, v9
	s_waitcnt vmcnt(0)
	ds_store_b32 v14, v16
	v_cmp_gt_i32_e64 s3, s5, v17
	v_mov_b32_e32 v17, 0
	s_delay_alu instid0(VALU_DEP_2) | instskip(NEXT) | instid1(SALU_CYCLE_1)
	s_and_b32 s12, s3, s2
	s_and_saveexec_b32 s3, s12
	s_cbranch_execz .LBB533_2
; %bb.6:                                ;   in Loop: Header=BB533_3 Depth=1
	global_load_b32 v17, v[2:3], off
	s_branch .LBB533_2
.LBB533_7:
	s_clause 0x1
	s_load_b32 s3, s[0:1], 0x50
	s_load_b32 s2, s[0:1], 0x40
	v_add_nc_u32_e32 v6, s10, v6
	v_add_nc_u32_e32 v0, s7, v5
	s_delay_alu instid0(VALU_DEP_2) | instskip(NEXT) | instid1(VALU_DEP_2)
	v_cmp_gt_i32_e32 vcc_lo, s4, v6
	v_cmp_le_i32_e64 s0, v0, v6
	s_delay_alu instid0(VALU_DEP_1) | instskip(SKIP_2) | instid1(VALU_DEP_1)
	s_and_b32 s0, vcc_lo, s0
	s_waitcnt lgkmcnt(0)
	v_mad_i64_i32 v[1:2], null, v6, s3, 0
	v_lshlrev_b64 v[1:2], 2, v[1:2]
	s_delay_alu instid0(VALU_DEP_1) | instskip(NEXT) | instid1(VALU_DEP_1)
	v_add_co_u32 v5, s1, s8, v1
	v_add_co_ci_u32_e64 v9, s1, s9, v2, s1
	s_and_saveexec_b32 s1, s0
	s_cbranch_execz .LBB533_9
; %bb.8:
	v_ashrrev_i32_e32 v1, 31, v0
	s_delay_alu instid0(VALU_DEP_1) | instskip(NEXT) | instid1(VALU_DEP_1)
	v_lshlrev_b64 v[1:2], 2, v[0:1]
	v_add_co_u32 v1, s0, v5, v1
	s_delay_alu instid0(VALU_DEP_1) | instskip(SKIP_3) | instid1(VALU_DEP_1)
	v_add_co_ci_u32_e64 v2, s0, v9, v2, s0
	global_load_b32 v3, v[1:2], off
	s_waitcnt vmcnt(0)
	v_mul_f32_e32 v3, s2, v3
	v_fmac_f32_e32 v3, s6, v10
	global_store_b32 v[1:2], v3, off
.LBB533_9:
	s_or_b32 exec_lo, exec_lo, s1
	v_add_nc_u32_e32 v2, 16, v0
	s_delay_alu instid0(VALU_DEP_1) | instskip(NEXT) | instid1(VALU_DEP_1)
	v_cmp_le_i32_e64 s0, v2, v6
	s_and_b32 s1, vcc_lo, s0
	s_delay_alu instid0(SALU_CYCLE_1)
	s_and_saveexec_b32 s0, s1
	s_cbranch_execz .LBB533_11
; %bb.10:
	v_ashrrev_i32_e32 v3, 31, v2
	s_delay_alu instid0(VALU_DEP_1) | instskip(NEXT) | instid1(VALU_DEP_1)
	v_lshlrev_b64 v[10:11], 2, v[2:3]
	v_add_co_u32 v10, vcc_lo, v5, v10
	s_delay_alu instid0(VALU_DEP_2) | instskip(SKIP_3) | instid1(VALU_DEP_1)
	v_add_co_ci_u32_e32 v11, vcc_lo, v9, v11, vcc_lo
	global_load_b32 v1, v[10:11], off
	s_waitcnt vmcnt(0)
	v_mul_f32_e32 v1, s2, v1
	v_fmac_f32_e32 v1, s6, v8
	global_store_b32 v[10:11], v1, off
.LBB533_11:
	s_or_b32 exec_lo, exec_lo, s0
	v_add_nc_u32_e32 v3, 16, v6
	s_delay_alu instid0(VALU_DEP_1) | instskip(SKIP_2) | instid1(VALU_DEP_1)
	v_mad_i64_i32 v[5:6], null, v3, s3, 0
	v_cmp_gt_i32_e32 vcc_lo, s4, v3
	v_cmp_le_i32_e64 s0, v0, v3
	s_and_b32 s0, vcc_lo, s0
	s_delay_alu instid0(VALU_DEP_3) | instskip(NEXT) | instid1(VALU_DEP_1)
	v_lshlrev_b64 v[5:6], 2, v[5:6]
	v_add_co_u32 v5, s1, s8, v5
	s_delay_alu instid0(VALU_DEP_1)
	v_add_co_ci_u32_e64 v6, s1, s9, v6, s1
	s_and_saveexec_b32 s1, s0
	s_cbranch_execz .LBB533_13
; %bb.12:
	v_ashrrev_i32_e32 v1, 31, v0
	s_delay_alu instid0(VALU_DEP_1) | instskip(NEXT) | instid1(VALU_DEP_1)
	v_lshlrev_b64 v[0:1], 2, v[0:1]
	v_add_co_u32 v0, s0, v5, v0
	s_delay_alu instid0(VALU_DEP_1) | instskip(SKIP_3) | instid1(VALU_DEP_1)
	v_add_co_ci_u32_e64 v1, s0, v6, v1, s0
	global_load_b32 v8, v[0:1], off
	s_waitcnt vmcnt(0)
	v_mul_f32_e32 v8, s2, v8
	v_fmac_f32_e32 v8, s6, v7
	global_store_b32 v[0:1], v8, off
.LBB533_13:
	s_or_b32 exec_lo, exec_lo, s1
	v_cmp_le_i32_e64 s0, v2, v3
	s_delay_alu instid0(VALU_DEP_1) | instskip(NEXT) | instid1(SALU_CYCLE_1)
	s_and_b32 s0, vcc_lo, s0
	s_and_saveexec_b32 s1, s0
	s_cbranch_execz .LBB533_15
; %bb.14:
	v_ashrrev_i32_e32 v3, 31, v2
	s_delay_alu instid0(VALU_DEP_1) | instskip(NEXT) | instid1(VALU_DEP_1)
	v_lshlrev_b64 v[0:1], 2, v[2:3]
	v_add_co_u32 v0, vcc_lo, v5, v0
	s_delay_alu instid0(VALU_DEP_2) | instskip(SKIP_3) | instid1(VALU_DEP_1)
	v_add_co_ci_u32_e32 v1, vcc_lo, v6, v1, vcc_lo
	global_load_b32 v2, v[0:1], off
	s_waitcnt vmcnt(0)
	v_mul_f32_e32 v2, s2, v2
	v_fmac_f32_e32 v2, s6, v4
	global_store_b32 v[0:1], v2, off
.LBB533_15:
	s_nop 0
	s_sendmsg sendmsg(MSG_DEALLOC_VGPRS)
	s_endpgm
	.section	.rodata,"a",@progbits
	.p2align	6, 0x0
	.amdhsa_kernel _ZL34rocblas_syrkx_herkx_general_kernelIifLi16ELi32ELi8ELb0ELb0ELc84ELc85EKPKfKPfEviT_T0_PT8_S5_lS8_S5_lS6_PT9_S5_li
		.amdhsa_group_segment_fixed_size 2048
		.amdhsa_private_segment_fixed_size 0
		.amdhsa_kernarg_size 100
		.amdhsa_user_sgpr_count 13
		.amdhsa_user_sgpr_dispatch_ptr 0
		.amdhsa_user_sgpr_queue_ptr 0
		.amdhsa_user_sgpr_kernarg_segment_ptr 1
		.amdhsa_user_sgpr_dispatch_id 0
		.amdhsa_user_sgpr_private_segment_size 0
		.amdhsa_wavefront_size32 1
		.amdhsa_uses_dynamic_stack 0
		.amdhsa_enable_private_segment 0
		.amdhsa_system_sgpr_workgroup_id_x 1
		.amdhsa_system_sgpr_workgroup_id_y 1
		.amdhsa_system_sgpr_workgroup_id_z 1
		.amdhsa_system_sgpr_workgroup_info 0
		.amdhsa_system_vgpr_workitem_id 1
		.amdhsa_next_free_vgpr 42
		.amdhsa_next_free_sgpr 18
		.amdhsa_reserve_vcc 1
		.amdhsa_float_round_mode_32 0
		.amdhsa_float_round_mode_16_64 0
		.amdhsa_float_denorm_mode_32 3
		.amdhsa_float_denorm_mode_16_64 3
		.amdhsa_dx10_clamp 1
		.amdhsa_ieee_mode 1
		.amdhsa_fp16_overflow 0
		.amdhsa_workgroup_processor_mode 1
		.amdhsa_memory_ordered 1
		.amdhsa_forward_progress 0
		.amdhsa_shared_vgpr_count 0
		.amdhsa_exception_fp_ieee_invalid_op 0
		.amdhsa_exception_fp_denorm_src 0
		.amdhsa_exception_fp_ieee_div_zero 0
		.amdhsa_exception_fp_ieee_overflow 0
		.amdhsa_exception_fp_ieee_underflow 0
		.amdhsa_exception_fp_ieee_inexact 0
		.amdhsa_exception_int_div_zero 0
	.end_amdhsa_kernel
	.section	.text._ZL34rocblas_syrkx_herkx_general_kernelIifLi16ELi32ELi8ELb0ELb0ELc84ELc85EKPKfKPfEviT_T0_PT8_S5_lS8_S5_lS6_PT9_S5_li,"axG",@progbits,_ZL34rocblas_syrkx_herkx_general_kernelIifLi16ELi32ELi8ELb0ELb0ELc84ELc85EKPKfKPfEviT_T0_PT8_S5_lS8_S5_lS6_PT9_S5_li,comdat
.Lfunc_end533:
	.size	_ZL34rocblas_syrkx_herkx_general_kernelIifLi16ELi32ELi8ELb0ELb0ELc84ELc85EKPKfKPfEviT_T0_PT8_S5_lS8_S5_lS6_PT9_S5_li, .Lfunc_end533-_ZL34rocblas_syrkx_herkx_general_kernelIifLi16ELi32ELi8ELb0ELb0ELc84ELc85EKPKfKPfEviT_T0_PT8_S5_lS8_S5_lS6_PT9_S5_li
                                        ; -- End function
	.section	.AMDGPU.csdata,"",@progbits
; Kernel info:
; codeLenInByte = 1396
; NumSgprs: 20
; NumVgprs: 42
; ScratchSize: 0
; MemoryBound: 0
; FloatMode: 240
; IeeeMode: 1
; LDSByteSize: 2048 bytes/workgroup (compile time only)
; SGPRBlocks: 2
; VGPRBlocks: 5
; NumSGPRsForWavesPerEU: 20
; NumVGPRsForWavesPerEU: 42
; Occupancy: 16
; WaveLimiterHint : 1
; COMPUTE_PGM_RSRC2:SCRATCH_EN: 0
; COMPUTE_PGM_RSRC2:USER_SGPR: 13
; COMPUTE_PGM_RSRC2:TRAP_HANDLER: 0
; COMPUTE_PGM_RSRC2:TGID_X_EN: 1
; COMPUTE_PGM_RSRC2:TGID_Y_EN: 1
; COMPUTE_PGM_RSRC2:TGID_Z_EN: 1
; COMPUTE_PGM_RSRC2:TIDIG_COMP_CNT: 1
	.section	.text._ZL34rocblas_syrkx_herkx_general_kernelIifLi16ELi32ELi8ELb0ELb0ELc67ELc85EKPKfKPfEviT_T0_PT8_S5_lS8_S5_lS6_PT9_S5_li,"axG",@progbits,_ZL34rocblas_syrkx_herkx_general_kernelIifLi16ELi32ELi8ELb0ELb0ELc67ELc85EKPKfKPfEviT_T0_PT8_S5_lS8_S5_lS6_PT9_S5_li,comdat
	.globl	_ZL34rocblas_syrkx_herkx_general_kernelIifLi16ELi32ELi8ELb0ELb0ELc67ELc85EKPKfKPfEviT_T0_PT8_S5_lS8_S5_lS6_PT9_S5_li ; -- Begin function _ZL34rocblas_syrkx_herkx_general_kernelIifLi16ELi32ELi8ELb0ELb0ELc67ELc85EKPKfKPfEviT_T0_PT8_S5_lS8_S5_lS6_PT9_S5_li
	.p2align	8
	.type	_ZL34rocblas_syrkx_herkx_general_kernelIifLi16ELi32ELi8ELb0ELb0ELc67ELc85EKPKfKPfEviT_T0_PT8_S5_lS8_S5_lS6_PT9_S5_li,@function
_ZL34rocblas_syrkx_herkx_general_kernelIifLi16ELi32ELi8ELb0ELb0ELc67ELc85EKPKfKPfEviT_T0_PT8_S5_lS8_S5_lS6_PT9_S5_li: ; @_ZL34rocblas_syrkx_herkx_general_kernelIifLi16ELi32ELi8ELb0ELb0ELc67ELc85EKPKfKPfEviT_T0_PT8_S5_lS8_S5_lS6_PT9_S5_li
; %bb.0:
	s_clause 0x1
	s_load_b64 s[8:9], s[0:1], 0x48
	s_load_b128 s[4:7], s[0:1], 0x0
	s_mov_b32 s10, s15
	s_mov_b32 s11, 0
	v_dual_mov_b32 v10, 0 :: v_dual_and_b32 v5, 0x3ff, v0
	s_lshl_b64 s[2:3], s[10:11], 3
	v_bfe_u32 v6, v0, 10, 10
	v_dual_mov_b32 v8, 0 :: v_dual_mov_b32 v7, 0
	v_mov_b32_e32 v4, 0
	s_waitcnt lgkmcnt(0)
	s_add_u32 s8, s8, s2
	s_addc_u32 s9, s9, s3
	s_lshl_b32 s7, s13, 5
	s_load_b64 s[8:9], s[8:9], 0x0
	s_lshl_b32 s10, s14, 5
	s_cmp_lt_i32 s5, 1
	s_cbranch_scc1 .LBB534_7
; %bb.1:
	s_clause 0x2
	s_load_b64 s[12:13], s[0:1], 0x28
	s_load_b32 s16, s[0:1], 0x18
	s_load_b64 s[14:15], s[0:1], 0x10
	v_lshl_add_u32 v0, v6, 4, v5
	s_load_b32 s17, s[0:1], 0x30
	v_and_b32_e32 v9, 7, v5
	v_lshlrev_b32_e32 v11, 2, v5
	v_lshl_add_u32 v12, v6, 5, 0x400
	v_and_b32_e32 v1, 31, v0
	v_lshrrev_b32_e32 v13, 5, v0
	v_lshrrev_b32_e32 v2, 3, v0
	v_lshlrev_b32_e32 v4, 2, v9
	s_delay_alu instid0(VALU_DEP_4) | instskip(NEXT) | instid1(VALU_DEP_4)
	v_lshlrev_b32_e32 v10, 2, v1
	v_lshlrev_b32_e32 v16, 2, v13
	s_delay_alu instid0(VALU_DEP_4) | instskip(NEXT) | instid1(VALU_DEP_4)
	v_add_nc_u32_e32 v7, s10, v2
	v_lshl_or_b32 v15, v2, 5, v4
	s_delay_alu instid0(VALU_DEP_4)
	v_lshl_or_b32 v14, v13, 7, v10
	v_dual_mov_b32 v10, 0 :: v_dual_add_nc_u32 v3, s7, v1
	s_waitcnt lgkmcnt(0)
	s_add_u32 s12, s12, s2
	s_addc_u32 s13, s13, s3
	s_add_u32 s2, s14, s2
	s_addc_u32 s3, s15, s3
	v_or_b32_e32 v8, s7, v1
	v_mad_i64_i32 v[0:1], null, s16, v3, 0
	s_load_b64 s[14:15], s[2:3], 0x0
	v_mad_i64_i32 v[2:3], null, s17, v7, 0
	s_load_b64 s[12:13], s[12:13], 0x0
	v_cmp_gt_i32_e64 s2, s4, v7
	v_mov_b32_e32 v7, 0
	s_delay_alu instid0(VALU_DEP_4)
	v_lshlrev_b64 v[0:1], 2, v[0:1]
	v_cmp_gt_i32_e32 vcc_lo, s4, v8
	v_add_nc_u32_e32 v15, 0x400, v15
	v_lshlrev_b64 v[2:3], 2, v[2:3]
	v_mov_b32_e32 v8, 0
	v_add_co_u32 v0, s3, v0, v16
	s_delay_alu instid0(VALU_DEP_1) | instskip(NEXT) | instid1(VALU_DEP_4)
	v_add_co_ci_u32_e64 v1, s3, 0, v1, s3
	v_add_co_u32 v2, s3, v2, v4
	s_delay_alu instid0(VALU_DEP_1) | instskip(SKIP_2) | instid1(VALU_DEP_1)
	v_add_co_ci_u32_e64 v3, s3, 0, v3, s3
	s_waitcnt lgkmcnt(0)
	v_add_co_u32 v0, s3, s14, v0
	v_add_co_ci_u32_e64 v1, s3, s15, v1, s3
	v_add_co_u32 v2, s3, s12, v2
	s_delay_alu instid0(VALU_DEP_1)
	v_add_co_ci_u32_e64 v3, s3, s13, v3, s3
	v_mov_b32_e32 v4, 0
	s_branch .LBB534_3
.LBB534_2:                              ;   in Loop: Header=BB534_3 Depth=1
	s_or_b32 exec_lo, exec_lo, s3
	s_waitcnt vmcnt(0)
	ds_store_b32 v15, v17
	s_waitcnt lgkmcnt(0)
	s_barrier
	buffer_gl0_inv
	ds_load_2addr_b32 v[32:33], v11 offset1:16
	ds_load_b128 v[16:19], v12
	ds_load_b128 v[20:23], v12 offset:512
	ds_load_2addr_b32 v[34:35], v11 offset0:32 offset1:48
	ds_load_2addr_b32 v[36:37], v11 offset0:64 offset1:80
	;; [unrolled: 1-line block ×3, first 2 shown]
	ds_load_b128 v[24:27], v12 offset:16
	ds_load_2addr_b32 v[40:41], v11 offset0:128 offset1:144
	ds_load_b128 v[28:31], v12 offset:528
	v_add_co_u32 v0, s3, v0, 32
	s_delay_alu instid0(VALU_DEP_1) | instskip(SKIP_1) | instid1(VALU_DEP_1)
	v_add_co_ci_u32_e64 v1, s3, 0, v1, s3
	v_add_co_u32 v2, s3, v2, 32
	v_add_co_ci_u32_e64 v3, s3, 0, v3, s3
	s_add_i32 s11, s11, 8
	s_delay_alu instid0(SALU_CYCLE_1) | instskip(SKIP_3) | instid1(VALU_DEP_1)
	s_cmp_ge_i32 s11, s5
	s_waitcnt lgkmcnt(6)
	v_fmac_f32_e32 v7, v32, v20
	s_waitcnt lgkmcnt(5)
	v_dual_fmac_f32 v10, v32, v16 :: v_dual_fmac_f32 v7, v34, v21
	v_fmac_f32_e32 v8, v33, v16
	s_waitcnt lgkmcnt(4)
	s_delay_alu instid0(VALU_DEP_2)
	v_dual_fmac_f32 v10, v34, v17 :: v_dual_fmac_f32 v7, v36, v22
	v_fmac_f32_e32 v4, v33, v20
	ds_load_2addr_b32 v[32:33], v11 offset0:160 offset1:176
	s_waitcnt lgkmcnt(4)
	v_dual_fmac_f32 v10, v36, v18 :: v_dual_fmac_f32 v7, v38, v23
	v_fmac_f32_e32 v8, v35, v17
	ds_load_2addr_b32 v[16:17], v11 offset0:192 offset1:208
	s_waitcnt lgkmcnt(2)
	v_dual_fmac_f32 v10, v38, v19 :: v_dual_fmac_f32 v7, v40, v28
	v_fmac_f32_e32 v8, v37, v18
	s_delay_alu instid0(VALU_DEP_2) | instskip(SKIP_1) | instid1(VALU_DEP_3)
	v_fmac_f32_e32 v10, v40, v24
	s_waitcnt lgkmcnt(1)
	v_fmac_f32_e32 v7, v32, v29
	v_fmac_f32_e32 v4, v35, v21
	ds_load_2addr_b32 v[20:21], v11 offset0:224 offset1:240
	v_fmac_f32_e32 v8, v39, v19
	v_fmac_f32_e32 v10, v32, v25
	s_waitcnt lgkmcnt(1)
	v_fmac_f32_e32 v7, v16, v30
	v_fmac_f32_e32 v4, v37, v22
	s_waitcnt lgkmcnt(0)
	v_fmac_f32_e32 v8, v41, v24
	v_fmac_f32_e32 v10, v16, v26
	s_barrier
	buffer_gl0_inv
	v_fmac_f32_e32 v8, v33, v25
	s_delay_alu instid0(VALU_DEP_1) | instskip(SKIP_2) | instid1(VALU_DEP_3)
	v_dual_fmac_f32 v8, v17, v26 :: v_dual_fmac_f32 v7, v20, v31
	v_fmac_f32_e32 v4, v39, v23
	v_fmac_f32_e32 v10, v20, v27
	;; [unrolled: 1-line block ×3, first 2 shown]
	s_delay_alu instid0(VALU_DEP_3) | instskip(NEXT) | instid1(VALU_DEP_1)
	v_fmac_f32_e32 v4, v41, v28
	v_fmac_f32_e32 v4, v33, v29
	s_delay_alu instid0(VALU_DEP_1) | instskip(NEXT) | instid1(VALU_DEP_1)
	v_fmac_f32_e32 v4, v17, v30
	v_fmac_f32_e32 v4, v21, v31
	s_cbranch_scc1 .LBB534_7
.LBB534_3:                              ; =>This Inner Loop Header: Depth=1
	v_add_nc_u32_e32 v16, s11, v13
	s_delay_alu instid0(VALU_DEP_1) | instskip(SKIP_1) | instid1(VALU_DEP_2)
	v_cmp_gt_i32_e64 s3, s5, v16
	v_mov_b32_e32 v16, 0
	s_and_b32 s12, vcc_lo, s3
	s_delay_alu instid0(SALU_CYCLE_1)
	s_and_saveexec_b32 s3, s12
	s_cbranch_execz .LBB534_5
; %bb.4:                                ;   in Loop: Header=BB534_3 Depth=1
	global_load_b32 v16, v[0:1], off
.LBB534_5:                              ;   in Loop: Header=BB534_3 Depth=1
	s_or_b32 exec_lo, exec_lo, s3
	v_add_nc_u32_e32 v17, s11, v9
	s_waitcnt vmcnt(0)
	ds_store_b32 v14, v16
	v_cmp_gt_i32_e64 s3, s5, v17
	v_mov_b32_e32 v17, 0
	s_delay_alu instid0(VALU_DEP_2) | instskip(NEXT) | instid1(SALU_CYCLE_1)
	s_and_b32 s12, s3, s2
	s_and_saveexec_b32 s3, s12
	s_cbranch_execz .LBB534_2
; %bb.6:                                ;   in Loop: Header=BB534_3 Depth=1
	global_load_b32 v17, v[2:3], off
	s_branch .LBB534_2
.LBB534_7:
	s_clause 0x1
	s_load_b32 s3, s[0:1], 0x50
	s_load_b32 s2, s[0:1], 0x40
	v_add_nc_u32_e32 v6, s10, v6
	v_add_nc_u32_e32 v0, s7, v5
	s_delay_alu instid0(VALU_DEP_2) | instskip(NEXT) | instid1(VALU_DEP_2)
	v_cmp_gt_i32_e32 vcc_lo, s4, v6
	v_cmp_le_i32_e64 s0, v0, v6
	s_delay_alu instid0(VALU_DEP_1) | instskip(SKIP_2) | instid1(VALU_DEP_1)
	s_and_b32 s0, vcc_lo, s0
	s_waitcnt lgkmcnt(0)
	v_mad_i64_i32 v[1:2], null, v6, s3, 0
	v_lshlrev_b64 v[1:2], 2, v[1:2]
	s_delay_alu instid0(VALU_DEP_1) | instskip(NEXT) | instid1(VALU_DEP_1)
	v_add_co_u32 v5, s1, s8, v1
	v_add_co_ci_u32_e64 v9, s1, s9, v2, s1
	s_and_saveexec_b32 s1, s0
	s_cbranch_execz .LBB534_9
; %bb.8:
	v_ashrrev_i32_e32 v1, 31, v0
	s_delay_alu instid0(VALU_DEP_1) | instskip(NEXT) | instid1(VALU_DEP_1)
	v_lshlrev_b64 v[1:2], 2, v[0:1]
	v_add_co_u32 v1, s0, v5, v1
	s_delay_alu instid0(VALU_DEP_1) | instskip(SKIP_3) | instid1(VALU_DEP_1)
	v_add_co_ci_u32_e64 v2, s0, v9, v2, s0
	global_load_b32 v3, v[1:2], off
	s_waitcnt vmcnt(0)
	v_mul_f32_e32 v3, s2, v3
	v_fmac_f32_e32 v3, s6, v10
	global_store_b32 v[1:2], v3, off
.LBB534_9:
	s_or_b32 exec_lo, exec_lo, s1
	v_add_nc_u32_e32 v2, 16, v0
	s_delay_alu instid0(VALU_DEP_1) | instskip(NEXT) | instid1(VALU_DEP_1)
	v_cmp_le_i32_e64 s0, v2, v6
	s_and_b32 s1, vcc_lo, s0
	s_delay_alu instid0(SALU_CYCLE_1)
	s_and_saveexec_b32 s0, s1
	s_cbranch_execz .LBB534_11
; %bb.10:
	v_ashrrev_i32_e32 v3, 31, v2
	s_delay_alu instid0(VALU_DEP_1) | instskip(NEXT) | instid1(VALU_DEP_1)
	v_lshlrev_b64 v[10:11], 2, v[2:3]
	v_add_co_u32 v10, vcc_lo, v5, v10
	s_delay_alu instid0(VALU_DEP_2) | instskip(SKIP_3) | instid1(VALU_DEP_1)
	v_add_co_ci_u32_e32 v11, vcc_lo, v9, v11, vcc_lo
	global_load_b32 v1, v[10:11], off
	s_waitcnt vmcnt(0)
	v_mul_f32_e32 v1, s2, v1
	v_fmac_f32_e32 v1, s6, v8
	global_store_b32 v[10:11], v1, off
.LBB534_11:
	s_or_b32 exec_lo, exec_lo, s0
	v_add_nc_u32_e32 v3, 16, v6
	s_delay_alu instid0(VALU_DEP_1) | instskip(SKIP_2) | instid1(VALU_DEP_1)
	v_mad_i64_i32 v[5:6], null, v3, s3, 0
	v_cmp_gt_i32_e32 vcc_lo, s4, v3
	v_cmp_le_i32_e64 s0, v0, v3
	s_and_b32 s0, vcc_lo, s0
	s_delay_alu instid0(VALU_DEP_3) | instskip(NEXT) | instid1(VALU_DEP_1)
	v_lshlrev_b64 v[5:6], 2, v[5:6]
	v_add_co_u32 v5, s1, s8, v5
	s_delay_alu instid0(VALU_DEP_1)
	v_add_co_ci_u32_e64 v6, s1, s9, v6, s1
	s_and_saveexec_b32 s1, s0
	s_cbranch_execz .LBB534_13
; %bb.12:
	v_ashrrev_i32_e32 v1, 31, v0
	s_delay_alu instid0(VALU_DEP_1) | instskip(NEXT) | instid1(VALU_DEP_1)
	v_lshlrev_b64 v[0:1], 2, v[0:1]
	v_add_co_u32 v0, s0, v5, v0
	s_delay_alu instid0(VALU_DEP_1) | instskip(SKIP_3) | instid1(VALU_DEP_1)
	v_add_co_ci_u32_e64 v1, s0, v6, v1, s0
	global_load_b32 v8, v[0:1], off
	s_waitcnt vmcnt(0)
	v_mul_f32_e32 v8, s2, v8
	v_fmac_f32_e32 v8, s6, v7
	global_store_b32 v[0:1], v8, off
.LBB534_13:
	s_or_b32 exec_lo, exec_lo, s1
	v_cmp_le_i32_e64 s0, v2, v3
	s_delay_alu instid0(VALU_DEP_1) | instskip(NEXT) | instid1(SALU_CYCLE_1)
	s_and_b32 s0, vcc_lo, s0
	s_and_saveexec_b32 s1, s0
	s_cbranch_execz .LBB534_15
; %bb.14:
	v_ashrrev_i32_e32 v3, 31, v2
	s_delay_alu instid0(VALU_DEP_1) | instskip(NEXT) | instid1(VALU_DEP_1)
	v_lshlrev_b64 v[0:1], 2, v[2:3]
	v_add_co_u32 v0, vcc_lo, v5, v0
	s_delay_alu instid0(VALU_DEP_2) | instskip(SKIP_3) | instid1(VALU_DEP_1)
	v_add_co_ci_u32_e32 v1, vcc_lo, v6, v1, vcc_lo
	global_load_b32 v2, v[0:1], off
	s_waitcnt vmcnt(0)
	v_mul_f32_e32 v2, s2, v2
	v_fmac_f32_e32 v2, s6, v4
	global_store_b32 v[0:1], v2, off
.LBB534_15:
	s_nop 0
	s_sendmsg sendmsg(MSG_DEALLOC_VGPRS)
	s_endpgm
	.section	.rodata,"a",@progbits
	.p2align	6, 0x0
	.amdhsa_kernel _ZL34rocblas_syrkx_herkx_general_kernelIifLi16ELi32ELi8ELb0ELb0ELc67ELc85EKPKfKPfEviT_T0_PT8_S5_lS8_S5_lS6_PT9_S5_li
		.amdhsa_group_segment_fixed_size 2048
		.amdhsa_private_segment_fixed_size 0
		.amdhsa_kernarg_size 100
		.amdhsa_user_sgpr_count 13
		.amdhsa_user_sgpr_dispatch_ptr 0
		.amdhsa_user_sgpr_queue_ptr 0
		.amdhsa_user_sgpr_kernarg_segment_ptr 1
		.amdhsa_user_sgpr_dispatch_id 0
		.amdhsa_user_sgpr_private_segment_size 0
		.amdhsa_wavefront_size32 1
		.amdhsa_uses_dynamic_stack 0
		.amdhsa_enable_private_segment 0
		.amdhsa_system_sgpr_workgroup_id_x 1
		.amdhsa_system_sgpr_workgroup_id_y 1
		.amdhsa_system_sgpr_workgroup_id_z 1
		.amdhsa_system_sgpr_workgroup_info 0
		.amdhsa_system_vgpr_workitem_id 1
		.amdhsa_next_free_vgpr 42
		.amdhsa_next_free_sgpr 18
		.amdhsa_reserve_vcc 1
		.amdhsa_float_round_mode_32 0
		.amdhsa_float_round_mode_16_64 0
		.amdhsa_float_denorm_mode_32 3
		.amdhsa_float_denorm_mode_16_64 3
		.amdhsa_dx10_clamp 1
		.amdhsa_ieee_mode 1
		.amdhsa_fp16_overflow 0
		.amdhsa_workgroup_processor_mode 1
		.amdhsa_memory_ordered 1
		.amdhsa_forward_progress 0
		.amdhsa_shared_vgpr_count 0
		.amdhsa_exception_fp_ieee_invalid_op 0
		.amdhsa_exception_fp_denorm_src 0
		.amdhsa_exception_fp_ieee_div_zero 0
		.amdhsa_exception_fp_ieee_overflow 0
		.amdhsa_exception_fp_ieee_underflow 0
		.amdhsa_exception_fp_ieee_inexact 0
		.amdhsa_exception_int_div_zero 0
	.end_amdhsa_kernel
	.section	.text._ZL34rocblas_syrkx_herkx_general_kernelIifLi16ELi32ELi8ELb0ELb0ELc67ELc85EKPKfKPfEviT_T0_PT8_S5_lS8_S5_lS6_PT9_S5_li,"axG",@progbits,_ZL34rocblas_syrkx_herkx_general_kernelIifLi16ELi32ELi8ELb0ELb0ELc67ELc85EKPKfKPfEviT_T0_PT8_S5_lS8_S5_lS6_PT9_S5_li,comdat
.Lfunc_end534:
	.size	_ZL34rocblas_syrkx_herkx_general_kernelIifLi16ELi32ELi8ELb0ELb0ELc67ELc85EKPKfKPfEviT_T0_PT8_S5_lS8_S5_lS6_PT9_S5_li, .Lfunc_end534-_ZL34rocblas_syrkx_herkx_general_kernelIifLi16ELi32ELi8ELb0ELb0ELc67ELc85EKPKfKPfEviT_T0_PT8_S5_lS8_S5_lS6_PT9_S5_li
                                        ; -- End function
	.section	.AMDGPU.csdata,"",@progbits
; Kernel info:
; codeLenInByte = 1396
; NumSgprs: 20
; NumVgprs: 42
; ScratchSize: 0
; MemoryBound: 0
; FloatMode: 240
; IeeeMode: 1
; LDSByteSize: 2048 bytes/workgroup (compile time only)
; SGPRBlocks: 2
; VGPRBlocks: 5
; NumSGPRsForWavesPerEU: 20
; NumVGPRsForWavesPerEU: 42
; Occupancy: 16
; WaveLimiterHint : 1
; COMPUTE_PGM_RSRC2:SCRATCH_EN: 0
; COMPUTE_PGM_RSRC2:USER_SGPR: 13
; COMPUTE_PGM_RSRC2:TRAP_HANDLER: 0
; COMPUTE_PGM_RSRC2:TGID_X_EN: 1
; COMPUTE_PGM_RSRC2:TGID_Y_EN: 1
; COMPUTE_PGM_RSRC2:TGID_Z_EN: 1
; COMPUTE_PGM_RSRC2:TIDIG_COMP_CNT: 1
	.section	.text._ZL34rocblas_syrkx_herkx_general_kernelIifLi16ELi32ELi8ELb0ELb0ELc78ELc85EKPKfKPfEviT_T0_PT8_S5_lS8_S5_lS6_PT9_S5_li,"axG",@progbits,_ZL34rocblas_syrkx_herkx_general_kernelIifLi16ELi32ELi8ELb0ELb0ELc78ELc85EKPKfKPfEviT_T0_PT8_S5_lS8_S5_lS6_PT9_S5_li,comdat
	.globl	_ZL34rocblas_syrkx_herkx_general_kernelIifLi16ELi32ELi8ELb0ELb0ELc78ELc85EKPKfKPfEviT_T0_PT8_S5_lS8_S5_lS6_PT9_S5_li ; -- Begin function _ZL34rocblas_syrkx_herkx_general_kernelIifLi16ELi32ELi8ELb0ELb0ELc78ELc85EKPKfKPfEviT_T0_PT8_S5_lS8_S5_lS6_PT9_S5_li
	.p2align	8
	.type	_ZL34rocblas_syrkx_herkx_general_kernelIifLi16ELi32ELi8ELb0ELb0ELc78ELc85EKPKfKPfEviT_T0_PT8_S5_lS8_S5_lS6_PT9_S5_li,@function
_ZL34rocblas_syrkx_herkx_general_kernelIifLi16ELi32ELi8ELb0ELb0ELc78ELc85EKPKfKPfEviT_T0_PT8_S5_lS8_S5_lS6_PT9_S5_li: ; @_ZL34rocblas_syrkx_herkx_general_kernelIifLi16ELi32ELi8ELb0ELb0ELc78ELc85EKPKfKPfEviT_T0_PT8_S5_lS8_S5_lS6_PT9_S5_li
; %bb.0:
	s_clause 0x1
	s_load_b64 s[8:9], s[0:1], 0x48
	s_load_b128 s[4:7], s[0:1], 0x0
	s_mov_b32 s10, s15
	s_mov_b32 s11, 0
	v_dual_mov_b32 v4, 0 :: v_dual_and_b32 v5, 0x3ff, v0
	s_lshl_b64 s[2:3], s[10:11], 3
	v_bfe_u32 v6, v0, 10, 10
	v_mov_b32_e32 v11, 0
	v_mov_b32_e32 v9, 0
	v_mov_b32_e32 v7, 0
	s_waitcnt lgkmcnt(0)
	s_add_u32 s8, s8, s2
	s_addc_u32 s9, s9, s3
	s_lshl_b32 s7, s13, 5
	s_load_b64 s[8:9], s[8:9], 0x0
	s_lshl_b32 s10, s14, 5
	s_cmp_lt_i32 s5, 1
	s_cbranch_scc1 .LBB535_7
; %bb.1:
	s_clause 0x3
	s_load_b32 s12, s[0:1], 0x18
	s_load_b32 s14, s[0:1], 0x30
	s_load_b64 s[16:17], s[0:1], 0x28
	s_load_b64 s[18:19], s[0:1], 0x10
	v_lshl_add_u32 v0, v6, 4, v5
	v_dual_mov_b32 v11, 0 :: v_dual_and_b32 v8, 7, v5
	s_delay_alu instid0(VALU_DEP_2) | instskip(SKIP_1) | instid1(VALU_DEP_3)
	v_and_b32_e32 v1, 31, v0
	v_lshrrev_b32_e32 v2, 3, v0
	v_lshlrev_b32_e32 v3, 2, v8
	v_lshrrev_b32_e32 v10, 5, v0
	s_delay_alu instid0(VALU_DEP_4) | instskip(NEXT) | instid1(VALU_DEP_4)
	v_or_b32_e32 v4, s7, v1
	v_add_nc_u32_e32 v0, s10, v2
	s_delay_alu instid0(VALU_DEP_4) | instskip(SKIP_3) | instid1(VALU_DEP_4)
	v_lshl_or_b32 v9, v2, 5, v3
	v_add_nc_u32_e32 v2, s7, v1
	v_lshlrev_b32_e32 v7, 2, v1
	v_cmp_gt_i32_e32 vcc_lo, s4, v4
	v_add_nc_u32_e32 v13, 0x400, v9
	s_waitcnt lgkmcnt(0)
	s_ashr_i32 s13, s12, 31
	s_ashr_i32 s15, s14, 31
	s_add_u32 s16, s16, s2
	s_addc_u32 s17, s17, s3
	s_add_u32 s2, s18, s2
	s_addc_u32 s3, s19, s3
	v_mad_i64_i32 v[14:15], null, v10, s12, 0
	s_load_b64 s[16:17], s[16:17], 0x0
	s_load_b64 s[18:19], s[2:3], 0x0
	v_ashrrev_i32_e32 v3, 31, v2
	v_mad_i64_i32 v[16:17], null, s14, v8, 0
	v_mov_b32_e32 v9, 0
	v_ashrrev_i32_e32 v1, 31, v0
	v_lshlrev_b64 v[18:19], 2, v[14:15]
	v_lshlrev_b64 v[2:3], 2, v[2:3]
	v_cmp_gt_i32_e64 s2, s4, v0
	v_lshl_or_b32 v12, v10, 7, v7
	v_lshlrev_b64 v[16:17], 2, v[16:17]
	v_lshlrev_b64 v[0:1], 2, v[0:1]
	v_lshlrev_b32_e32 v14, 2, v5
	v_add_co_u32 v2, s3, v18, v2
	s_delay_alu instid0(VALU_DEP_1) | instskip(NEXT) | instid1(VALU_DEP_4)
	v_add_co_ci_u32_e64 v3, s3, v19, v3, s3
	v_add_co_u32 v4, s3, v16, v0
	s_delay_alu instid0(VALU_DEP_1) | instskip(SKIP_2) | instid1(VALU_DEP_1)
	v_add_co_ci_u32_e64 v7, s3, v17, v1, s3
	s_waitcnt lgkmcnt(0)
	v_add_co_u32 v0, s3, s18, v2
	v_add_co_ci_u32_e64 v1, s3, s19, v3, s3
	v_add_co_u32 v2, s3, s16, v4
	v_lshl_add_u32 v15, v6, 5, 0x400
	v_add_co_ci_u32_e64 v3, s3, s17, v7, s3
	v_dual_mov_b32 v4, 0 :: v_dual_mov_b32 v7, 0
	s_lshl_b64 s[12:13], s[12:13], 5
	s_lshl_b64 s[14:15], s[14:15], 5
	s_branch .LBB535_3
.LBB535_2:                              ;   in Loop: Header=BB535_3 Depth=1
	s_or_b32 exec_lo, exec_lo, s3
	s_waitcnt vmcnt(0)
	ds_store_b32 v13, v17
	s_waitcnt lgkmcnt(0)
	s_barrier
	buffer_gl0_inv
	ds_load_2addr_b32 v[32:33], v14 offset1:16
	ds_load_b128 v[16:19], v15
	ds_load_b128 v[20:23], v15 offset:512
	ds_load_2addr_b32 v[34:35], v14 offset0:32 offset1:48
	ds_load_2addr_b32 v[36:37], v14 offset0:64 offset1:80
	;; [unrolled: 1-line block ×3, first 2 shown]
	ds_load_b128 v[24:27], v15 offset:16
	ds_load_2addr_b32 v[40:41], v14 offset0:128 offset1:144
	ds_load_b128 v[28:31], v15 offset:528
	v_add_co_u32 v0, s3, v0, s12
	s_delay_alu instid0(VALU_DEP_1) | instskip(SKIP_1) | instid1(VALU_DEP_1)
	v_add_co_ci_u32_e64 v1, s3, s13, v1, s3
	v_add_co_u32 v2, s3, v2, s14
	v_add_co_ci_u32_e64 v3, s3, s15, v3, s3
	s_add_i32 s11, s11, 8
	s_delay_alu instid0(SALU_CYCLE_1) | instskip(SKIP_3) | instid1(VALU_DEP_1)
	s_cmp_ge_i32 s11, s5
	s_waitcnt lgkmcnt(6)
	v_fmac_f32_e32 v4, v33, v20
	s_waitcnt lgkmcnt(5)
	v_dual_fmac_f32 v11, v32, v16 :: v_dual_fmac_f32 v4, v35, v21
	v_fmac_f32_e32 v7, v32, v20
	s_waitcnt lgkmcnt(4)
	s_delay_alu instid0(VALU_DEP_2)
	v_dual_fmac_f32 v11, v34, v17 :: v_dual_fmac_f32 v4, v37, v22
	v_fmac_f32_e32 v9, v33, v16
	ds_load_2addr_b32 v[32:33], v14 offset0:160 offset1:176
	s_waitcnt lgkmcnt(4)
	v_fmac_f32_e32 v4, v39, v23
	v_fmac_f32_e32 v9, v35, v17
	ds_load_2addr_b32 v[16:17], v14 offset0:192 offset1:208
	s_waitcnt lgkmcnt(2)
	v_dual_fmac_f32 v4, v41, v28 :: v_dual_fmac_f32 v11, v36, v18
	v_fmac_f32_e32 v9, v37, v18
	s_waitcnt lgkmcnt(1)
	s_delay_alu instid0(VALU_DEP_1)
	v_dual_fmac_f32 v9, v39, v19 :: v_dual_fmac_f32 v4, v33, v29
	v_fmac_f32_e32 v7, v34, v21
	ds_load_2addr_b32 v[20:21], v14 offset0:224 offset1:240
	v_fmac_f32_e32 v11, v38, v19
	v_fmac_f32_e32 v9, v41, v24
	s_waitcnt lgkmcnt(1)
	v_fmac_f32_e32 v4, v17, v30
	v_fmac_f32_e32 v7, v36, v22
	s_waitcnt lgkmcnt(0)
	v_fmac_f32_e32 v11, v40, v24
	v_fmac_f32_e32 v9, v33, v25
	s_barrier
	buffer_gl0_inv
	v_fmac_f32_e32 v11, v32, v25
	v_fmac_f32_e32 v9, v17, v26
	s_delay_alu instid0(VALU_DEP_2) | instskip(SKIP_1) | instid1(VALU_DEP_2)
	v_dual_fmac_f32 v11, v16, v26 :: v_dual_fmac_f32 v4, v21, v31
	v_fmac_f32_e32 v7, v38, v23
	v_fmac_f32_e32 v11, v20, v27
	s_delay_alu instid0(VALU_DEP_4) | instskip(NEXT) | instid1(VALU_DEP_3)
	v_fmac_f32_e32 v9, v21, v27
	v_fmac_f32_e32 v7, v40, v28
	s_delay_alu instid0(VALU_DEP_1) | instskip(NEXT) | instid1(VALU_DEP_1)
	v_fmac_f32_e32 v7, v32, v29
	v_fmac_f32_e32 v7, v16, v30
	s_delay_alu instid0(VALU_DEP_1)
	v_fmac_f32_e32 v7, v20, v31
	s_cbranch_scc1 .LBB535_7
.LBB535_3:                              ; =>This Inner Loop Header: Depth=1
	v_add_nc_u32_e32 v16, s11, v10
	s_delay_alu instid0(VALU_DEP_1) | instskip(SKIP_1) | instid1(VALU_DEP_2)
	v_cmp_gt_i32_e64 s3, s5, v16
	v_mov_b32_e32 v16, 0
	s_and_b32 s16, vcc_lo, s3
	s_delay_alu instid0(SALU_CYCLE_1)
	s_and_saveexec_b32 s3, s16
	s_cbranch_execz .LBB535_5
; %bb.4:                                ;   in Loop: Header=BB535_3 Depth=1
	global_load_b32 v16, v[0:1], off
.LBB535_5:                              ;   in Loop: Header=BB535_3 Depth=1
	s_or_b32 exec_lo, exec_lo, s3
	v_add_nc_u32_e32 v17, s11, v8
	s_waitcnt vmcnt(0)
	ds_store_b32 v12, v16
	v_cmp_gt_i32_e64 s3, s5, v17
	v_mov_b32_e32 v17, 0
	s_delay_alu instid0(VALU_DEP_2) | instskip(NEXT) | instid1(SALU_CYCLE_1)
	s_and_b32 s16, s3, s2
	s_and_saveexec_b32 s3, s16
	s_cbranch_execz .LBB535_2
; %bb.6:                                ;   in Loop: Header=BB535_3 Depth=1
	global_load_b32 v17, v[2:3], off
	s_branch .LBB535_2
.LBB535_7:
	s_clause 0x1
	s_load_b32 s3, s[0:1], 0x50
	s_load_b32 s2, s[0:1], 0x40
	v_add_nc_u32_e32 v6, s10, v6
	v_add_nc_u32_e32 v0, s7, v5
	s_delay_alu instid0(VALU_DEP_2) | instskip(NEXT) | instid1(VALU_DEP_2)
	v_cmp_gt_i32_e32 vcc_lo, s4, v6
	v_cmp_le_i32_e64 s0, v0, v6
	s_delay_alu instid0(VALU_DEP_1) | instskip(SKIP_2) | instid1(VALU_DEP_1)
	s_and_b32 s0, vcc_lo, s0
	s_waitcnt lgkmcnt(0)
	v_mad_i64_i32 v[1:2], null, v6, s3, 0
	v_lshlrev_b64 v[1:2], 2, v[1:2]
	s_delay_alu instid0(VALU_DEP_1) | instskip(NEXT) | instid1(VALU_DEP_1)
	v_add_co_u32 v5, s1, s8, v1
	v_add_co_ci_u32_e64 v8, s1, s9, v2, s1
	s_and_saveexec_b32 s1, s0
	s_cbranch_execz .LBB535_9
; %bb.8:
	v_ashrrev_i32_e32 v1, 31, v0
	s_delay_alu instid0(VALU_DEP_1) | instskip(NEXT) | instid1(VALU_DEP_1)
	v_lshlrev_b64 v[1:2], 2, v[0:1]
	v_add_co_u32 v1, s0, v5, v1
	s_delay_alu instid0(VALU_DEP_1) | instskip(SKIP_3) | instid1(VALU_DEP_1)
	v_add_co_ci_u32_e64 v2, s0, v8, v2, s0
	global_load_b32 v3, v[1:2], off
	s_waitcnt vmcnt(0)
	v_mul_f32_e32 v3, s2, v3
	v_fmac_f32_e32 v3, s6, v11
	global_store_b32 v[1:2], v3, off
.LBB535_9:
	s_or_b32 exec_lo, exec_lo, s1
	v_add_nc_u32_e32 v2, 16, v0
	s_delay_alu instid0(VALU_DEP_1) | instskip(NEXT) | instid1(VALU_DEP_1)
	v_cmp_le_i32_e64 s0, v2, v6
	s_and_b32 s1, vcc_lo, s0
	s_delay_alu instid0(SALU_CYCLE_1)
	s_and_saveexec_b32 s0, s1
	s_cbranch_execz .LBB535_11
; %bb.10:
	v_ashrrev_i32_e32 v3, 31, v2
	s_delay_alu instid0(VALU_DEP_1) | instskip(NEXT) | instid1(VALU_DEP_1)
	v_lshlrev_b64 v[10:11], 2, v[2:3]
	v_add_co_u32 v10, vcc_lo, v5, v10
	s_delay_alu instid0(VALU_DEP_2) | instskip(SKIP_3) | instid1(VALU_DEP_1)
	v_add_co_ci_u32_e32 v11, vcc_lo, v8, v11, vcc_lo
	global_load_b32 v1, v[10:11], off
	s_waitcnt vmcnt(0)
	v_mul_f32_e32 v1, s2, v1
	v_fmac_f32_e32 v1, s6, v9
	global_store_b32 v[10:11], v1, off
.LBB535_11:
	s_or_b32 exec_lo, exec_lo, s0
	v_add_nc_u32_e32 v3, 16, v6
	s_delay_alu instid0(VALU_DEP_1) | instskip(SKIP_2) | instid1(VALU_DEP_1)
	v_mad_i64_i32 v[5:6], null, v3, s3, 0
	v_cmp_gt_i32_e32 vcc_lo, s4, v3
	v_cmp_le_i32_e64 s0, v0, v3
	s_and_b32 s0, vcc_lo, s0
	s_delay_alu instid0(VALU_DEP_3) | instskip(NEXT) | instid1(VALU_DEP_1)
	v_lshlrev_b64 v[5:6], 2, v[5:6]
	v_add_co_u32 v5, s1, s8, v5
	s_delay_alu instid0(VALU_DEP_1)
	v_add_co_ci_u32_e64 v6, s1, s9, v6, s1
	s_and_saveexec_b32 s1, s0
	s_cbranch_execz .LBB535_13
; %bb.12:
	v_ashrrev_i32_e32 v1, 31, v0
	s_delay_alu instid0(VALU_DEP_1) | instskip(NEXT) | instid1(VALU_DEP_1)
	v_lshlrev_b64 v[0:1], 2, v[0:1]
	v_add_co_u32 v0, s0, v5, v0
	s_delay_alu instid0(VALU_DEP_1) | instskip(SKIP_3) | instid1(VALU_DEP_1)
	v_add_co_ci_u32_e64 v1, s0, v6, v1, s0
	global_load_b32 v8, v[0:1], off
	s_waitcnt vmcnt(0)
	v_mul_f32_e32 v8, s2, v8
	v_fmac_f32_e32 v8, s6, v7
	global_store_b32 v[0:1], v8, off
.LBB535_13:
	s_or_b32 exec_lo, exec_lo, s1
	v_cmp_le_i32_e64 s0, v2, v3
	s_delay_alu instid0(VALU_DEP_1) | instskip(NEXT) | instid1(SALU_CYCLE_1)
	s_and_b32 s0, vcc_lo, s0
	s_and_saveexec_b32 s1, s0
	s_cbranch_execz .LBB535_15
; %bb.14:
	v_ashrrev_i32_e32 v3, 31, v2
	s_delay_alu instid0(VALU_DEP_1) | instskip(NEXT) | instid1(VALU_DEP_1)
	v_lshlrev_b64 v[0:1], 2, v[2:3]
	v_add_co_u32 v0, vcc_lo, v5, v0
	s_delay_alu instid0(VALU_DEP_2) | instskip(SKIP_3) | instid1(VALU_DEP_1)
	v_add_co_ci_u32_e32 v1, vcc_lo, v6, v1, vcc_lo
	global_load_b32 v2, v[0:1], off
	s_waitcnt vmcnt(0)
	v_mul_f32_e32 v2, s2, v2
	v_fmac_f32_e32 v2, s6, v4
	global_store_b32 v[0:1], v2, off
.LBB535_15:
	s_nop 0
	s_sendmsg sendmsg(MSG_DEALLOC_VGPRS)
	s_endpgm
	.section	.rodata,"a",@progbits
	.p2align	6, 0x0
	.amdhsa_kernel _ZL34rocblas_syrkx_herkx_general_kernelIifLi16ELi32ELi8ELb0ELb0ELc78ELc85EKPKfKPfEviT_T0_PT8_S5_lS8_S5_lS6_PT9_S5_li
		.amdhsa_group_segment_fixed_size 2048
		.amdhsa_private_segment_fixed_size 0
		.amdhsa_kernarg_size 100
		.amdhsa_user_sgpr_count 13
		.amdhsa_user_sgpr_dispatch_ptr 0
		.amdhsa_user_sgpr_queue_ptr 0
		.amdhsa_user_sgpr_kernarg_segment_ptr 1
		.amdhsa_user_sgpr_dispatch_id 0
		.amdhsa_user_sgpr_private_segment_size 0
		.amdhsa_wavefront_size32 1
		.amdhsa_uses_dynamic_stack 0
		.amdhsa_enable_private_segment 0
		.amdhsa_system_sgpr_workgroup_id_x 1
		.amdhsa_system_sgpr_workgroup_id_y 1
		.amdhsa_system_sgpr_workgroup_id_z 1
		.amdhsa_system_sgpr_workgroup_info 0
		.amdhsa_system_vgpr_workitem_id 1
		.amdhsa_next_free_vgpr 42
		.amdhsa_next_free_sgpr 20
		.amdhsa_reserve_vcc 1
		.amdhsa_float_round_mode_32 0
		.amdhsa_float_round_mode_16_64 0
		.amdhsa_float_denorm_mode_32 3
		.amdhsa_float_denorm_mode_16_64 3
		.amdhsa_dx10_clamp 1
		.amdhsa_ieee_mode 1
		.amdhsa_fp16_overflow 0
		.amdhsa_workgroup_processor_mode 1
		.amdhsa_memory_ordered 1
		.amdhsa_forward_progress 0
		.amdhsa_shared_vgpr_count 0
		.amdhsa_exception_fp_ieee_invalid_op 0
		.amdhsa_exception_fp_denorm_src 0
		.amdhsa_exception_fp_ieee_div_zero 0
		.amdhsa_exception_fp_ieee_overflow 0
		.amdhsa_exception_fp_ieee_underflow 0
		.amdhsa_exception_fp_ieee_inexact 0
		.amdhsa_exception_int_div_zero 0
	.end_amdhsa_kernel
	.section	.text._ZL34rocblas_syrkx_herkx_general_kernelIifLi16ELi32ELi8ELb0ELb0ELc78ELc85EKPKfKPfEviT_T0_PT8_S5_lS8_S5_lS6_PT9_S5_li,"axG",@progbits,_ZL34rocblas_syrkx_herkx_general_kernelIifLi16ELi32ELi8ELb0ELb0ELc78ELc85EKPKfKPfEviT_T0_PT8_S5_lS8_S5_lS6_PT9_S5_li,comdat
.Lfunc_end535:
	.size	_ZL34rocblas_syrkx_herkx_general_kernelIifLi16ELi32ELi8ELb0ELb0ELc78ELc85EKPKfKPfEviT_T0_PT8_S5_lS8_S5_lS6_PT9_S5_li, .Lfunc_end535-_ZL34rocblas_syrkx_herkx_general_kernelIifLi16ELi32ELi8ELb0ELb0ELc78ELc85EKPKfKPfEviT_T0_PT8_S5_lS8_S5_lS6_PT9_S5_li
                                        ; -- End function
	.section	.AMDGPU.csdata,"",@progbits
; Kernel info:
; codeLenInByte = 1428
; NumSgprs: 22
; NumVgprs: 42
; ScratchSize: 0
; MemoryBound: 0
; FloatMode: 240
; IeeeMode: 1
; LDSByteSize: 2048 bytes/workgroup (compile time only)
; SGPRBlocks: 2
; VGPRBlocks: 5
; NumSGPRsForWavesPerEU: 22
; NumVGPRsForWavesPerEU: 42
; Occupancy: 16
; WaveLimiterHint : 1
; COMPUTE_PGM_RSRC2:SCRATCH_EN: 0
; COMPUTE_PGM_RSRC2:USER_SGPR: 13
; COMPUTE_PGM_RSRC2:TRAP_HANDLER: 0
; COMPUTE_PGM_RSRC2:TGID_X_EN: 1
; COMPUTE_PGM_RSRC2:TGID_Y_EN: 1
; COMPUTE_PGM_RSRC2:TGID_Z_EN: 1
; COMPUTE_PGM_RSRC2:TIDIG_COMP_CNT: 1
	.section	.text._ZL26rocblas_syr2k_scale_kernelIiLi128ELi8ELb0EffPKPfEvbiT_T3_T4_T5_S3_li,"axG",@progbits,_ZL26rocblas_syr2k_scale_kernelIiLi128ELi8ELb0EffPKPfEvbiT_T3_T4_T5_S3_li,comdat
	.globl	_ZL26rocblas_syr2k_scale_kernelIiLi128ELi8ELb0EffPKPfEvbiT_T3_T4_T5_S3_li ; -- Begin function _ZL26rocblas_syr2k_scale_kernelIiLi128ELi8ELb0EffPKPfEvbiT_T3_T4_T5_S3_li
	.p2align	8
	.type	_ZL26rocblas_syr2k_scale_kernelIiLi128ELi8ELb0EffPKPfEvbiT_T3_T4_T5_S3_li,@function
_ZL26rocblas_syr2k_scale_kernelIiLi128ELi8ELb0EffPKPfEvbiT_T3_T4_T5_S3_li: ; @_ZL26rocblas_syr2k_scale_kernelIiLi128ELi8ELb0EffPKPfEvbiT_T3_T4_T5_S3_li
; %bb.0:
	s_load_b32 s3, s[0:1], 0x10
	s_waitcnt lgkmcnt(0)
	v_cmp_eq_f32_e64 s2, s3, 1.0
	s_delay_alu instid0(VALU_DEP_1)
	s_and_b32 vcc_lo, exec_lo, s2
	s_cbranch_vccnz .LBB536_5
; %bb.1:
	s_clause 0x1
	s_load_b64 s[6:7], s[0:1], 0x0
	s_load_b32 s2, s[0:1], 0x44
	v_and_b32_e32 v2, 0x3ff, v0
	v_bfe_u32 v3, v0, 10, 10
	s_waitcnt lgkmcnt(0)
	s_bitcmp1_b32 s6, 0
	s_cselect_b32 vcc_lo, -1, 0
	s_lshr_b32 s5, s2, 16
	s_and_b32 s2, s2, 0xffff
	s_delay_alu instid0(SALU_CYCLE_1) | instskip(SKIP_1) | instid1(VALU_DEP_1)
	v_mad_u64_u32 v[0:1], null, s13, s2, v[2:3]
	v_mad_u64_u32 v[1:2], null, s14, s5, v[3:4]
	v_cndmask_b32_e32 v2, v1, v0, vcc_lo
	v_max_u32_e32 v3, v0, v1
	v_cndmask_b32_e32 v4, v0, v1, vcc_lo
	s_delay_alu instid0(VALU_DEP_2) | instskip(NEXT) | instid1(VALU_DEP_2)
	v_cmp_gt_u32_e32 vcc_lo, s7, v3
	v_cmp_le_i32_e64 s2, v2, v4
	s_delay_alu instid0(VALU_DEP_1) | instskip(NEXT) | instid1(SALU_CYCLE_1)
	s_and_b32 s2, vcc_lo, s2
	s_and_saveexec_b32 s5, s2
	s_cbranch_execz .LBB536_5
; %bb.2:
	s_clause 0x2
	s_load_b32 s2, s[0:1], 0x20
	s_load_b64 s[6:7], s[0:1], 0x18
	s_load_b64 s[0:1], s[0:1], 0x28
	s_mov_b32 s4, s15
	s_mov_b32 s5, 0
	s_delay_alu instid0(SALU_CYCLE_1)
	s_lshl_b64 s[4:5], s[4:5], 3
	s_waitcnt lgkmcnt(0)
	v_mad_u64_u32 v[2:3], null, v1, s2, 0
	s_ashr_i32 s2, s2, 31
	s_add_u32 s4, s6, s4
	s_addc_u32 s5, s7, s5
	s_lshl_b64 s[0:1], s[0:1], 2
	s_load_b64 s[4:5], s[4:5], 0x0
	s_delay_alu instid0(VALU_DEP_1) | instskip(SKIP_1) | instid1(VALU_DEP_2)
	v_mad_u64_u32 v[4:5], null, v1, s2, v[3:4]
	v_mov_b32_e32 v1, 0
	v_mov_b32_e32 v3, v4
	s_delay_alu instid0(VALU_DEP_2) | instskip(NEXT) | instid1(VALU_DEP_2)
	v_lshlrev_b64 v[4:5], 2, v[0:1]
	v_lshlrev_b64 v[2:3], 2, v[2:3]
	s_waitcnt lgkmcnt(0)
	s_add_u32 s0, s4, s0
	s_addc_u32 s1, s5, s1
	s_delay_alu instid0(VALU_DEP_1) | instskip(NEXT) | instid1(VALU_DEP_2)
	v_add_co_u32 v0, vcc_lo, s0, v2
	v_add_co_ci_u32_e32 v3, vcc_lo, s1, v3, vcc_lo
	v_cmp_eq_f32_e64 s0, s3, 0
	s_delay_alu instid0(VALU_DEP_3) | instskip(NEXT) | instid1(VALU_DEP_3)
	v_add_co_u32 v2, vcc_lo, v0, v4
	v_add_co_ci_u32_e32 v3, vcc_lo, v3, v5, vcc_lo
	s_delay_alu instid0(VALU_DEP_3)
	s_and_b32 vcc_lo, exec_lo, s0
	s_cbranch_vccnz .LBB536_4
; %bb.3:
	global_load_b32 v0, v[2:3], off
	s_waitcnt vmcnt(0)
	v_mul_f32_e32 v1, s3, v0
.LBB536_4:
	global_store_b32 v[2:3], v1, off
.LBB536_5:
	s_nop 0
	s_sendmsg sendmsg(MSG_DEALLOC_VGPRS)
	s_endpgm
	.section	.rodata,"a",@progbits
	.p2align	6, 0x0
	.amdhsa_kernel _ZL26rocblas_syr2k_scale_kernelIiLi128ELi8ELb0EffPKPfEvbiT_T3_T4_T5_S3_li
		.amdhsa_group_segment_fixed_size 0
		.amdhsa_private_segment_fixed_size 0
		.amdhsa_kernarg_size 312
		.amdhsa_user_sgpr_count 13
		.amdhsa_user_sgpr_dispatch_ptr 0
		.amdhsa_user_sgpr_queue_ptr 0
		.amdhsa_user_sgpr_kernarg_segment_ptr 1
		.amdhsa_user_sgpr_dispatch_id 0
		.amdhsa_user_sgpr_private_segment_size 0
		.amdhsa_wavefront_size32 1
		.amdhsa_uses_dynamic_stack 0
		.amdhsa_enable_private_segment 0
		.amdhsa_system_sgpr_workgroup_id_x 1
		.amdhsa_system_sgpr_workgroup_id_y 1
		.amdhsa_system_sgpr_workgroup_id_z 1
		.amdhsa_system_sgpr_workgroup_info 0
		.amdhsa_system_vgpr_workitem_id 1
		.amdhsa_next_free_vgpr 6
		.amdhsa_next_free_sgpr 16
		.amdhsa_reserve_vcc 1
		.amdhsa_float_round_mode_32 0
		.amdhsa_float_round_mode_16_64 0
		.amdhsa_float_denorm_mode_32 3
		.amdhsa_float_denorm_mode_16_64 3
		.amdhsa_dx10_clamp 1
		.amdhsa_ieee_mode 1
		.amdhsa_fp16_overflow 0
		.amdhsa_workgroup_processor_mode 1
		.amdhsa_memory_ordered 1
		.amdhsa_forward_progress 0
		.amdhsa_shared_vgpr_count 0
		.amdhsa_exception_fp_ieee_invalid_op 0
		.amdhsa_exception_fp_denorm_src 0
		.amdhsa_exception_fp_ieee_div_zero 0
		.amdhsa_exception_fp_ieee_overflow 0
		.amdhsa_exception_fp_ieee_underflow 0
		.amdhsa_exception_fp_ieee_inexact 0
		.amdhsa_exception_int_div_zero 0
	.end_amdhsa_kernel
	.section	.text._ZL26rocblas_syr2k_scale_kernelIiLi128ELi8ELb0EffPKPfEvbiT_T3_T4_T5_S3_li,"axG",@progbits,_ZL26rocblas_syr2k_scale_kernelIiLi128ELi8ELb0EffPKPfEvbiT_T3_T4_T5_S3_li,comdat
.Lfunc_end536:
	.size	_ZL26rocblas_syr2k_scale_kernelIiLi128ELi8ELb0EffPKPfEvbiT_T3_T4_T5_S3_li, .Lfunc_end536-_ZL26rocblas_syr2k_scale_kernelIiLi128ELi8ELb0EffPKPfEvbiT_T3_T4_T5_S3_li
                                        ; -- End function
	.section	.AMDGPU.csdata,"",@progbits
; Kernel info:
; codeLenInByte = 376
; NumSgprs: 18
; NumVgprs: 6
; ScratchSize: 0
; MemoryBound: 0
; FloatMode: 240
; IeeeMode: 1
; LDSByteSize: 0 bytes/workgroup (compile time only)
; SGPRBlocks: 2
; VGPRBlocks: 0
; NumSGPRsForWavesPerEU: 18
; NumVGPRsForWavesPerEU: 6
; Occupancy: 16
; WaveLimiterHint : 1
; COMPUTE_PGM_RSRC2:SCRATCH_EN: 0
; COMPUTE_PGM_RSRC2:USER_SGPR: 13
; COMPUTE_PGM_RSRC2:TRAP_HANDLER: 0
; COMPUTE_PGM_RSRC2:TGID_X_EN: 1
; COMPUTE_PGM_RSRC2:TGID_Y_EN: 1
; COMPUTE_PGM_RSRC2:TGID_Z_EN: 1
; COMPUTE_PGM_RSRC2:TIDIG_COMP_CNT: 1
	.section	.text._ZL26rocblas_syr2k_her2k_kernelIiLb0ELb0ELb0ELi32EPKfPKS1_PKPfEvbiT_T4_T5_S7_lS9_S7_lT6_S7_li,"axG",@progbits,_ZL26rocblas_syr2k_her2k_kernelIiLb0ELb0ELb0ELi32EPKfPKS1_PKPfEvbiT_T4_T5_S7_lS9_S7_lT6_S7_li,comdat
	.globl	_ZL26rocblas_syr2k_her2k_kernelIiLb0ELb0ELb0ELi32EPKfPKS1_PKPfEvbiT_T4_T5_S7_lS9_S7_lT6_S7_li ; -- Begin function _ZL26rocblas_syr2k_her2k_kernelIiLb0ELb0ELb0ELi32EPKfPKS1_PKPfEvbiT_T4_T5_S7_lS9_S7_lT6_S7_li
	.p2align	8
	.type	_ZL26rocblas_syr2k_her2k_kernelIiLb0ELb0ELb0ELi32EPKfPKS1_PKPfEvbiT_T4_T5_S7_lS9_S7_lT6_S7_li,@function
_ZL26rocblas_syr2k_her2k_kernelIiLb0ELb0ELb0ELi32EPKfPKS1_PKPfEvbiT_T4_T5_S7_lS9_S7_lT6_S7_li: ; @_ZL26rocblas_syr2k_her2k_kernelIiLb0ELb0ELb0ELi32EPKfPKS1_PKPfEvbiT_T4_T5_S7_lS9_S7_lT6_S7_li
; %bb.0:
	s_load_b128 s[16:19], s[0:1], 0x10
	s_waitcnt lgkmcnt(0)
	s_load_b32 s16, s[16:17], 0x0
	s_waitcnt lgkmcnt(0)
	v_cmp_eq_f32_e64 s3, s16, 0
	s_delay_alu instid0(VALU_DEP_1)
	s_and_b32 vcc_lo, exec_lo, s3
	s_cbranch_vccnz .LBB537_11
; %bb.1:
	s_load_b128 s[4:7], s[0:1], 0x0
	s_lshl_b32 s17, s14, 5
	s_lshl_b32 s20, s13, 5
	s_waitcnt lgkmcnt(0)
	s_and_b32 s3, 1, s4
	s_delay_alu instid0(SALU_CYCLE_1) | instskip(SKIP_1) | instid1(SALU_CYCLE_1)
	s_cmp_eq_u32 s3, 1
	s_cselect_b32 vcc_lo, -1, 0
	s_and_b32 s3, vcc_lo, exec_lo
	s_cselect_b32 s3, s20, s17
	s_cselect_b32 s4, s17, s20
	s_delay_alu instid0(SALU_CYCLE_1)
	s_cmp_gt_i32 s3, s4
	s_cbranch_scc1 .LBB537_11
; %bb.2:
	s_cmp_lt_i32 s6, 1
	s_cbranch_scc1 .LBB537_11
; %bb.3:
	s_mov_b32 s2, s15
	s_clause 0x4
	s_load_b128 s[12:15], s[0:1], 0x28
	s_load_b32 s4, s[0:1], 0x20
	s_load_b32 s7, s[0:1], 0x38
	s_load_b128 s[8:11], s[0:1], 0x40
	s_load_b32 s21, s[0:1], 0x50
	s_mov_b32 s3, 0
	s_load_b64 s[24:25], s[0:1], 0x58
	s_lshl_b64 s[22:23], s[2:3], 3
	v_and_b32_e32 v2, 0x3ff, v0
	s_add_u32 s0, s18, s22
	s_addc_u32 s1, s19, s23
	v_bfe_u32 v3, v0, 10, 10
	s_load_b64 s[18:19], s[0:1], 0x0
	v_add_nc_u32_e32 v7, s20, v2
	s_delay_alu instid0(VALU_DEP_2) | instskip(SKIP_1) | instid1(VALU_DEP_3)
	v_add_nc_u32_e32 v0, s17, v3
	v_lshlrev_b32_e32 v6, 2, v3
	v_ashrrev_i32_e32 v8, 31, v7
	s_waitcnt lgkmcnt(0)
	s_add_u32 s0, s14, s22
	v_cndmask_b32_e32 v17, v0, v7, vcc_lo
	s_addc_u32 s1, s15, s23
	v_ashrrev_i32_e32 v1, 31, v0
	s_load_b64 s[14:15], s[0:1], 0x0
	s_add_u32 s0, s10, s22
	s_addc_u32 s1, s11, s23
	v_mad_i64_i32 v[14:15], null, s21, v0, 0
	s_load_b64 s[10:11], s[0:1], 0x0
	v_lshlrev_b64 v[12:13], 2, v[7:8]
	s_lshl_b64 s[12:13], s[12:13], 2
	v_lshlrev_b64 v[9:10], 2, v[0:1]
	s_add_u32 s1, s18, s12
	s_addc_u32 s2, s19, s13
	s_lshl_b64 s[8:9], s[8:9], 2
	v_lshlrev_b32_e32 v4, 7, v2
	v_cndmask_b32_e32 v16, v7, v0, vcc_lo
	v_cmp_gt_i32_e32 vcc_lo, s5, v7
	v_cmp_gt_i32_e64 s0, s5, v0
	v_add_co_u32 v7, s1, s1, v12
	v_add_nc_u32_e32 v5, v4, v6
	v_lshlrev_b64 v[0:1], 2, v[14:15]
	s_waitcnt lgkmcnt(0)
	s_add_u32 s5, s14, s8
	s_addc_u32 s12, s15, s9
	s_lshl_b64 s[8:9], s[24:25], 2
	v_add_co_ci_u32_e64 v8, s1, s2, v13, s1
	v_add_co_u32 v9, s1, s5, v9
	s_add_u32 s2, s10, s8
	v_add_co_ci_u32_e64 v10, s1, s12, v10, s1
	s_addc_u32 s8, s11, s9
	v_add_co_u32 v0, s1, s2, v0
	v_or_b32_e32 v6, 0x1000, v6
	v_add_co_ci_u32_e64 v1, s1, s8, v1, s1
	v_cmp_le_i32_e64 s1, v17, v16
	s_delay_alu instid0(VALU_DEP_4) | instskip(NEXT) | instid1(VALU_DEP_4)
	v_add_co_u32 v0, s2, v0, v12
	v_add_nc_u32_e32 v11, v6, v4
	s_delay_alu instid0(VALU_DEP_4) | instskip(SKIP_4) | instid1(SALU_CYCLE_1)
	v_add_co_ci_u32_e64 v1, s2, v1, v13, s2
	v_add_nc_u32_e32 v12, 0x400, v6
	v_add_nc_u32_e32 v13, 0x800, v6
	;; [unrolled: 1-line block ×3, first 2 shown]
	s_and_b32 s2, s0, vcc_lo
	s_and_b32 s2, s2, s1
	s_branch .LBB537_5
.LBB537_4:                              ;   in Loop: Header=BB537_5 Depth=1
	s_or_b32 exec_lo, exec_lo, s1
	s_add_i32 s3, s3, 32
	s_waitcnt_vscnt null, 0x0
	s_cmp_lt_i32 s3, s6
	s_barrier
	buffer_gl0_inv
	s_cbranch_scc0 .LBB537_11
.LBB537_5:                              ; =>This Inner Loop Header: Depth=1
	v_dual_mov_b32 v15, 0 :: v_dual_add_nc_u32 v16, s3, v3
	s_delay_alu instid0(VALU_DEP_1) | instskip(NEXT) | instid1(VALU_DEP_1)
	v_cmp_gt_i32_e64 s1, s6, v16
	s_and_b32 s1, vcc_lo, s1
	s_delay_alu instid0(SALU_CYCLE_1)
	s_and_saveexec_b32 s5, s1
	s_cbranch_execz .LBB537_7
; %bb.6:                                ;   in Loop: Header=BB537_5 Depth=1
	v_mad_i64_i32 v[17:18], null, v16, s4, 0
	s_delay_alu instid0(VALU_DEP_1) | instskip(NEXT) | instid1(VALU_DEP_1)
	v_lshlrev_b64 v[15:16], 2, v[17:18]
	v_add_co_u32 v15, s1, v7, v15
	s_delay_alu instid0(VALU_DEP_1)
	v_add_co_ci_u32_e64 v16, s1, v8, v16, s1
	global_load_b32 v15, v[15:16], off
.LBB537_7:                              ;   in Loop: Header=BB537_5 Depth=1
	s_or_b32 exec_lo, exec_lo, s5
	v_dual_mov_b32 v16, 0 :: v_dual_add_nc_u32 v17, s3, v2
	s_waitcnt vmcnt(0)
	ds_store_b32 v5, v15
	v_cmp_gt_i32_e64 s1, s6, v17
	s_delay_alu instid0(VALU_DEP_1) | instskip(NEXT) | instid1(SALU_CYCLE_1)
	s_and_b32 s1, s0, s1
	s_and_saveexec_b32 s5, s1
	s_cbranch_execz .LBB537_9
; %bb.8:                                ;   in Loop: Header=BB537_5 Depth=1
	v_mad_i64_i32 v[15:16], null, v17, s7, 0
	s_delay_alu instid0(VALU_DEP_1) | instskip(NEXT) | instid1(VALU_DEP_1)
	v_lshlrev_b64 v[15:16], 2, v[15:16]
	v_add_co_u32 v15, s1, v9, v15
	s_delay_alu instid0(VALU_DEP_1)
	v_add_co_ci_u32_e64 v16, s1, v10, v16, s1
	global_load_b32 v16, v[15:16], off
.LBB537_9:                              ;   in Loop: Header=BB537_5 Depth=1
	s_or_b32 exec_lo, exec_lo, s5
	s_waitcnt vmcnt(0)
	ds_store_b32 v11, v16
	s_waitcnt lgkmcnt(0)
	s_barrier
	buffer_gl0_inv
	s_and_saveexec_b32 s1, s2
	s_cbranch_execz .LBB537_4
; %bb.10:                               ;   in Loop: Header=BB537_5 Depth=1
	global_load_b32 v29, v[0:1], off
	ds_load_2addr_b32 v[23:24], v6 offset1:32
	ds_load_b128 v[15:18], v4
	ds_load_2addr_b32 v[25:26], v6 offset0:64 offset1:96
	ds_load_b128 v[19:22], v4 offset:16
	ds_load_2addr_b32 v[27:28], v6 offset0:128 offset1:160
	s_waitcnt lgkmcnt(3)
	v_fma_f32 v30, v15, v23, 0
	s_delay_alu instid0(VALU_DEP_1) | instskip(SKIP_3) | instid1(VALU_DEP_1)
	v_fmac_f32_e32 v30, v16, v24
	ds_load_2addr_b32 v[23:24], v6 offset0:192 offset1:224
	s_waitcnt lgkmcnt(3)
	v_fmac_f32_e32 v30, v17, v25
	v_fmac_f32_e32 v30, v18, v26
	ds_load_2addr_b32 v[25:26], v12 offset1:32
	ds_load_b128 v[15:18], v4 offset:32
	s_waitcnt lgkmcnt(3)
	v_fmac_f32_e32 v30, v19, v27
	s_delay_alu instid0(VALU_DEP_1) | instskip(SKIP_3) | instid1(VALU_DEP_1)
	v_fmac_f32_e32 v30, v20, v28
	ds_load_2addr_b32 v[27:28], v12 offset0:64 offset1:96
	s_waitcnt lgkmcnt(3)
	v_fmac_f32_e32 v30, v21, v23
	v_fmac_f32_e32 v30, v22, v24
	ds_load_b128 v[19:22], v4 offset:48
	ds_load_2addr_b32 v[23:24], v12 offset0:128 offset1:160
	s_waitcnt lgkmcnt(3)
	v_fmac_f32_e32 v30, v15, v25
	s_delay_alu instid0(VALU_DEP_1) | instskip(SKIP_3) | instid1(VALU_DEP_1)
	v_fmac_f32_e32 v30, v16, v26
	ds_load_2addr_b32 v[25:26], v12 offset0:192 offset1:224
	s_waitcnt lgkmcnt(3)
	v_fmac_f32_e32 v30, v17, v27
	v_fmac_f32_e32 v30, v18, v28
	ds_load_2addr_b32 v[27:28], v13 offset1:32
	ds_load_b128 v[15:18], v4 offset:64
	s_waitcnt lgkmcnt(3)
	v_fmac_f32_e32 v30, v19, v23
	s_delay_alu instid0(VALU_DEP_1) | instskip(SKIP_3) | instid1(VALU_DEP_1)
	v_fmac_f32_e32 v30, v20, v24
	ds_load_2addr_b32 v[23:24], v13 offset0:64 offset1:96
	s_waitcnt lgkmcnt(3)
	v_fmac_f32_e32 v30, v21, v25
	v_fmac_f32_e32 v30, v22, v26
	ds_load_b128 v[19:22], v4 offset:80
	ds_load_2addr_b32 v[25:26], v13 offset0:128 offset1:160
	s_waitcnt lgkmcnt(3)
	v_fmac_f32_e32 v30, v15, v27
	;; [unrolled: 20-line block ×3, first 2 shown]
	s_delay_alu instid0(VALU_DEP_1) | instskip(SKIP_3) | instid1(VALU_DEP_1)
	v_fmac_f32_e32 v30, v16, v24
	ds_load_2addr_b32 v[15:16], v14 offset0:192 offset1:224
	s_waitcnt lgkmcnt(3)
	v_fmac_f32_e32 v30, v17, v25
	v_fmac_f32_e32 v30, v18, v26
	s_waitcnt lgkmcnt(1)
	s_delay_alu instid0(VALU_DEP_1) | instskip(NEXT) | instid1(VALU_DEP_1)
	v_fmac_f32_e32 v30, v19, v27
	v_fmac_f32_e32 v30, v20, v28
	s_waitcnt lgkmcnt(0)
	s_delay_alu instid0(VALU_DEP_1) | instskip(NEXT) | instid1(VALU_DEP_1)
	v_fmac_f32_e32 v30, v21, v15
	v_fmac_f32_e32 v30, v22, v16
	s_waitcnt vmcnt(0)
	s_delay_alu instid0(VALU_DEP_1)
	v_fmac_f32_e32 v29, s16, v30
	global_store_b32 v[0:1], v29, off
	s_branch .LBB537_4
.LBB537_11:
	s_endpgm
	.section	.rodata,"a",@progbits
	.p2align	6, 0x0
	.amdhsa_kernel _ZL26rocblas_syr2k_her2k_kernelIiLb0ELb0ELb0ELi32EPKfPKS1_PKPfEvbiT_T4_T5_S7_lS9_S7_lT6_S7_li
		.amdhsa_group_segment_fixed_size 8192
		.amdhsa_private_segment_fixed_size 0
		.amdhsa_kernarg_size 100
		.amdhsa_user_sgpr_count 13
		.amdhsa_user_sgpr_dispatch_ptr 0
		.amdhsa_user_sgpr_queue_ptr 0
		.amdhsa_user_sgpr_kernarg_segment_ptr 1
		.amdhsa_user_sgpr_dispatch_id 0
		.amdhsa_user_sgpr_private_segment_size 0
		.amdhsa_wavefront_size32 1
		.amdhsa_uses_dynamic_stack 0
		.amdhsa_enable_private_segment 0
		.amdhsa_system_sgpr_workgroup_id_x 1
		.amdhsa_system_sgpr_workgroup_id_y 1
		.amdhsa_system_sgpr_workgroup_id_z 1
		.amdhsa_system_sgpr_workgroup_info 0
		.amdhsa_system_vgpr_workitem_id 1
		.amdhsa_next_free_vgpr 31
		.amdhsa_next_free_sgpr 26
		.amdhsa_reserve_vcc 1
		.amdhsa_float_round_mode_32 0
		.amdhsa_float_round_mode_16_64 0
		.amdhsa_float_denorm_mode_32 3
		.amdhsa_float_denorm_mode_16_64 3
		.amdhsa_dx10_clamp 1
		.amdhsa_ieee_mode 1
		.amdhsa_fp16_overflow 0
		.amdhsa_workgroup_processor_mode 1
		.amdhsa_memory_ordered 1
		.amdhsa_forward_progress 0
		.amdhsa_shared_vgpr_count 0
		.amdhsa_exception_fp_ieee_invalid_op 0
		.amdhsa_exception_fp_denorm_src 0
		.amdhsa_exception_fp_ieee_div_zero 0
		.amdhsa_exception_fp_ieee_overflow 0
		.amdhsa_exception_fp_ieee_underflow 0
		.amdhsa_exception_fp_ieee_inexact 0
		.amdhsa_exception_int_div_zero 0
	.end_amdhsa_kernel
	.section	.text._ZL26rocblas_syr2k_her2k_kernelIiLb0ELb0ELb0ELi32EPKfPKS1_PKPfEvbiT_T4_T5_S7_lS9_S7_lT6_S7_li,"axG",@progbits,_ZL26rocblas_syr2k_her2k_kernelIiLb0ELb0ELb0ELi32EPKfPKS1_PKPfEvbiT_T4_T5_S7_lS9_S7_lT6_S7_li,comdat
.Lfunc_end537:
	.size	_ZL26rocblas_syr2k_her2k_kernelIiLb0ELb0ELb0ELi32EPKfPKS1_PKPfEvbiT_T4_T5_S7_lS9_S7_lT6_S7_li, .Lfunc_end537-_ZL26rocblas_syr2k_her2k_kernelIiLb0ELb0ELb0ELi32EPKfPKS1_PKPfEvbiT_T4_T5_S7_lS9_S7_lT6_S7_li
                                        ; -- End function
	.section	.AMDGPU.csdata,"",@progbits
; Kernel info:
; codeLenInByte = 1208
; NumSgprs: 28
; NumVgprs: 31
; ScratchSize: 0
; MemoryBound: 0
; FloatMode: 240
; IeeeMode: 1
; LDSByteSize: 8192 bytes/workgroup (compile time only)
; SGPRBlocks: 3
; VGPRBlocks: 3
; NumSGPRsForWavesPerEU: 28
; NumVGPRsForWavesPerEU: 31
; Occupancy: 16
; WaveLimiterHint : 1
; COMPUTE_PGM_RSRC2:SCRATCH_EN: 0
; COMPUTE_PGM_RSRC2:USER_SGPR: 13
; COMPUTE_PGM_RSRC2:TRAP_HANDLER: 0
; COMPUTE_PGM_RSRC2:TGID_X_EN: 1
; COMPUTE_PGM_RSRC2:TGID_Y_EN: 1
; COMPUTE_PGM_RSRC2:TGID_Z_EN: 1
; COMPUTE_PGM_RSRC2:TIDIG_COMP_CNT: 1
	.section	.text._ZL26rocblas_syr2k_her2k_kernelIiLb0ELb0ELb1ELi32EPKfPKS1_PKPfEvbiT_T4_T5_S7_lS9_S7_lT6_S7_li,"axG",@progbits,_ZL26rocblas_syr2k_her2k_kernelIiLb0ELb0ELb1ELi32EPKfPKS1_PKPfEvbiT_T4_T5_S7_lS9_S7_lT6_S7_li,comdat
	.globl	_ZL26rocblas_syr2k_her2k_kernelIiLb0ELb0ELb1ELi32EPKfPKS1_PKPfEvbiT_T4_T5_S7_lS9_S7_lT6_S7_li ; -- Begin function _ZL26rocblas_syr2k_her2k_kernelIiLb0ELb0ELb1ELi32EPKfPKS1_PKPfEvbiT_T4_T5_S7_lS9_S7_lT6_S7_li
	.p2align	8
	.type	_ZL26rocblas_syr2k_her2k_kernelIiLb0ELb0ELb1ELi32EPKfPKS1_PKPfEvbiT_T4_T5_S7_lS9_S7_lT6_S7_li,@function
_ZL26rocblas_syr2k_her2k_kernelIiLb0ELb0ELb1ELi32EPKfPKS1_PKPfEvbiT_T4_T5_S7_lS9_S7_lT6_S7_li: ; @_ZL26rocblas_syr2k_her2k_kernelIiLb0ELb0ELb1ELi32EPKfPKS1_PKPfEvbiT_T4_T5_S7_lS9_S7_lT6_S7_li
; %bb.0:
	s_load_b128 s[16:19], s[0:1], 0x10
	s_waitcnt lgkmcnt(0)
	s_load_b32 s16, s[16:17], 0x0
	s_waitcnt lgkmcnt(0)
	v_cmp_eq_f32_e64 s3, s16, 0
	s_delay_alu instid0(VALU_DEP_1)
	s_and_b32 vcc_lo, exec_lo, s3
	s_cbranch_vccnz .LBB538_11
; %bb.1:
	s_load_b128 s[4:7], s[0:1], 0x0
	s_waitcnt lgkmcnt(0)
	s_lshl_b32 s7, s14, 5
	s_and_b32 s3, 1, s4
	s_lshl_b32 s4, s13, 5
	s_cmp_eq_u32 s3, 1
	s_cselect_b32 vcc_lo, -1, 0
	s_delay_alu instid0(SALU_CYCLE_1) | instskip(SKIP_2) | instid1(SALU_CYCLE_1)
	s_and_b32 s3, vcc_lo, exec_lo
	s_cselect_b32 s3, s4, s7
	s_cselect_b32 s8, s7, s4
	s_cmp_gt_i32 s3, s8
	s_cbranch_scc1 .LBB538_11
; %bb.2:
	s_cmp_lt_i32 s6, 1
	s_cbranch_scc1 .LBB538_11
; %bb.3:
	s_mov_b32 s2, s15
	s_clause 0x4
	s_load_b128 s[12:15], s[0:1], 0x28
	s_load_b32 s17, s[0:1], 0x20
	s_load_b32 s22, s[0:1], 0x38
	s_load_b128 s[8:11], s[0:1], 0x40
	s_load_b32 s23, s[0:1], 0x50
	s_mov_b32 s3, 0
	v_and_b32_e32 v4, 0x3ff, v0
	s_lshl_b64 s[20:21], s[2:3], 3
	s_load_b64 s[0:1], s[0:1], 0x58
	s_add_u32 s18, s18, s20
	s_addc_u32 s19, s19, s21
	v_bfe_u32 v5, v0, 10, 10
	s_load_b64 s[18:19], s[18:19], 0x0
	v_add_nc_u32_e32 v0, s4, v4
	v_lshlrev_b32_e32 v6, 7, v4
	s_delay_alu instid0(VALU_DEP_3) | instskip(SKIP_1) | instid1(VALU_DEP_4)
	v_add_nc_u32_e32 v10, s7, v5
	v_lshlrev_b32_e32 v15, 2, v5
	v_ashrrev_i32_e32 v1, 31, v0
	s_waitcnt lgkmcnt(0)
	s_add_u32 s14, s14, s20
	v_cndmask_b32_e32 v16, v0, v10, vcc_lo
	s_addc_u32 s15, s15, s21
	s_add_u32 s10, s10, s20
	s_load_b64 s[14:15], s[14:15], 0x0
	s_addc_u32 s11, s11, s21
	v_mad_i64_i32 v[2:3], null, s17, v0, 0
	s_load_b64 s[10:11], s[10:11], 0x0
	v_mad_i64_i32 v[7:8], null, s22, v10, 0
	s_lshl_b64 s[12:13], s[12:13], 2
	v_mad_i64_i32 v[11:12], null, s23, v10, 0
	s_delay_alu instid0(VALU_DEP_3) | instskip(SKIP_3) | instid1(VALU_DEP_3)
	v_lshlrev_b64 v[2:3], 2, v[2:3]
	s_add_u32 s2, s18, s12
	s_addc_u32 s4, s19, s13
	s_lshl_b64 s[8:9], s[8:9], 2
	v_lshlrev_b64 v[13:14], 2, v[7:8]
	v_cndmask_b32_e32 v17, v10, v0, vcc_lo
	v_cmp_gt_i32_e32 vcc_lo, s5, v0
	v_lshlrev_b64 v[0:1], 2, v[0:1]
	v_add_nc_u32_e32 v9, v6, v15
	s_waitcnt lgkmcnt(0)
	s_add_u32 s7, s14, s8
	s_addc_u32 s12, s15, s9
	s_lshl_b64 s[8:9], s[0:1], 2
	v_add_co_u32 v7, s0, s2, v2
	s_delay_alu instid0(VALU_DEP_1)
	v_add_co_ci_u32_e64 v8, s0, s4, v3, s0
	v_lshlrev_b64 v[2:3], 2, v[11:12]
	v_add_co_u32 v11, s1, s7, v13
	s_add_u32 s2, s10, s8
	v_add_co_ci_u32_e64 v12, s1, s12, v14, s1
	s_addc_u32 s4, s11, s9
	v_cmp_gt_i32_e64 s0, s5, v10
	v_or_b32_e32 v10, 0x1000, v15
	v_add_co_u32 v2, s1, s2, v2
	s_delay_alu instid0(VALU_DEP_1) | instskip(NEXT) | instid1(VALU_DEP_3)
	v_add_co_ci_u32_e64 v3, s1, s4, v3, s1
	v_add_nc_u32_e32 v14, 0x400, v10
	v_cmp_le_i32_e64 s1, v17, v16
	s_delay_alu instid0(VALU_DEP_4)
	v_add_co_u32 v0, s2, v2, v0
	v_add_nc_u32_e32 v13, v10, v6
	v_add_co_ci_u32_e64 v1, s2, v3, v1, s2
	v_add_nc_u32_e32 v15, 0x800, v10
	v_add_nc_u32_e32 v16, 0xc00, v10
	s_and_b32 s2, s0, vcc_lo
	s_delay_alu instid0(SALU_CYCLE_1)
	s_and_b32 s2, s2, s1
	s_branch .LBB538_5
.LBB538_4:                              ;   in Loop: Header=BB538_5 Depth=1
	s_or_b32 exec_lo, exec_lo, s1
	s_add_i32 s3, s3, 32
	s_waitcnt_vscnt null, 0x0
	s_cmp_lt_i32 s3, s6
	s_barrier
	buffer_gl0_inv
	s_cbranch_scc0 .LBB538_11
.LBB538_5:                              ; =>This Inner Loop Header: Depth=1
	v_dual_mov_b32 v3, 0 :: v_dual_add_nc_u32 v2, s3, v5
	s_delay_alu instid0(VALU_DEP_1) | instskip(NEXT) | instid1(VALU_DEP_1)
	v_cmp_gt_i32_e64 s1, s6, v2
	s_and_b32 s1, vcc_lo, s1
	s_delay_alu instid0(SALU_CYCLE_1)
	s_and_saveexec_b32 s4, s1
	s_cbranch_execz .LBB538_7
; %bb.6:                                ;   in Loop: Header=BB538_5 Depth=1
	v_ashrrev_i32_e32 v3, 31, v2
	s_delay_alu instid0(VALU_DEP_1) | instskip(NEXT) | instid1(VALU_DEP_1)
	v_lshlrev_b64 v[2:3], 2, v[2:3]
	v_add_co_u32 v2, s1, v7, v2
	s_delay_alu instid0(VALU_DEP_1)
	v_add_co_ci_u32_e64 v3, s1, v8, v3, s1
	global_load_b32 v3, v[2:3], off
.LBB538_7:                              ;   in Loop: Header=BB538_5 Depth=1
	s_or_b32 exec_lo, exec_lo, s4
	v_dual_mov_b32 v17, 0 :: v_dual_add_nc_u32 v2, s3, v4
	s_waitcnt vmcnt(0)
	ds_store_b32 v9, v3
	v_cmp_gt_i32_e64 s1, s6, v2
	s_delay_alu instid0(VALU_DEP_1) | instskip(NEXT) | instid1(SALU_CYCLE_1)
	s_and_b32 s1, s0, s1
	s_and_saveexec_b32 s4, s1
	s_cbranch_execz .LBB538_9
; %bb.8:                                ;   in Loop: Header=BB538_5 Depth=1
	v_ashrrev_i32_e32 v3, 31, v2
	s_delay_alu instid0(VALU_DEP_1) | instskip(NEXT) | instid1(VALU_DEP_1)
	v_lshlrev_b64 v[2:3], 2, v[2:3]
	v_add_co_u32 v2, s1, v11, v2
	s_delay_alu instid0(VALU_DEP_1)
	v_add_co_ci_u32_e64 v3, s1, v12, v3, s1
	global_load_b32 v17, v[2:3], off
.LBB538_9:                              ;   in Loop: Header=BB538_5 Depth=1
	s_or_b32 exec_lo, exec_lo, s4
	s_waitcnt vmcnt(0)
	ds_store_b32 v13, v17
	s_waitcnt lgkmcnt(0)
	s_barrier
	buffer_gl0_inv
	s_and_saveexec_b32 s1, s2
	s_cbranch_execz .LBB538_4
; %bb.10:                               ;   in Loop: Header=BB538_5 Depth=1
	global_load_b32 v29, v[0:1], off
	ds_load_2addr_b32 v[2:3], v10 offset1:32
	ds_load_b128 v[17:20], v6
	ds_load_2addr_b32 v[25:26], v10 offset0:64 offset1:96
	ds_load_b128 v[21:24], v6 offset:16
	ds_load_2addr_b32 v[27:28], v10 offset0:128 offset1:160
	s_waitcnt lgkmcnt(3)
	v_fma_f32 v30, v17, v2, 0
	s_delay_alu instid0(VALU_DEP_1) | instskip(SKIP_3) | instid1(VALU_DEP_1)
	v_fmac_f32_e32 v30, v18, v3
	ds_load_2addr_b32 v[2:3], v10 offset0:192 offset1:224
	s_waitcnt lgkmcnt(3)
	v_fmac_f32_e32 v30, v19, v25
	v_fmac_f32_e32 v30, v20, v26
	ds_load_2addr_b32 v[25:26], v14 offset1:32
	ds_load_b128 v[17:20], v6 offset:32
	s_waitcnt lgkmcnt(3)
	v_fmac_f32_e32 v30, v21, v27
	s_delay_alu instid0(VALU_DEP_1) | instskip(SKIP_3) | instid1(VALU_DEP_1)
	v_fmac_f32_e32 v30, v22, v28
	ds_load_2addr_b32 v[27:28], v14 offset0:64 offset1:96
	s_waitcnt lgkmcnt(3)
	v_fmac_f32_e32 v30, v23, v2
	v_fmac_f32_e32 v30, v24, v3
	ds_load_b128 v[21:24], v6 offset:48
	ds_load_2addr_b32 v[2:3], v14 offset0:128 offset1:160
	s_waitcnt lgkmcnt(3)
	v_fmac_f32_e32 v30, v17, v25
	s_delay_alu instid0(VALU_DEP_1) | instskip(SKIP_3) | instid1(VALU_DEP_1)
	v_fmac_f32_e32 v30, v18, v26
	ds_load_2addr_b32 v[25:26], v14 offset0:192 offset1:224
	s_waitcnt lgkmcnt(3)
	v_fmac_f32_e32 v30, v19, v27
	v_fmac_f32_e32 v30, v20, v28
	ds_load_2addr_b32 v[27:28], v15 offset1:32
	ds_load_b128 v[17:20], v6 offset:64
	s_waitcnt lgkmcnt(3)
	v_fmac_f32_e32 v30, v21, v2
	s_delay_alu instid0(VALU_DEP_1) | instskip(SKIP_3) | instid1(VALU_DEP_1)
	v_fmac_f32_e32 v30, v22, v3
	ds_load_2addr_b32 v[2:3], v15 offset0:64 offset1:96
	s_waitcnt lgkmcnt(3)
	v_fmac_f32_e32 v30, v23, v25
	v_fmac_f32_e32 v30, v24, v26
	ds_load_b128 v[21:24], v6 offset:80
	ds_load_2addr_b32 v[25:26], v15 offset0:128 offset1:160
	s_waitcnt lgkmcnt(3)
	v_fmac_f32_e32 v30, v17, v27
	;; [unrolled: 20-line block ×3, first 2 shown]
	s_delay_alu instid0(VALU_DEP_1) | instskip(SKIP_3) | instid1(VALU_DEP_1)
	v_fmac_f32_e32 v30, v18, v3
	ds_load_2addr_b32 v[2:3], v16 offset0:192 offset1:224
	s_waitcnt lgkmcnt(3)
	v_fmac_f32_e32 v30, v19, v25
	v_fmac_f32_e32 v30, v20, v26
	s_waitcnt lgkmcnt(1)
	s_delay_alu instid0(VALU_DEP_1) | instskip(NEXT) | instid1(VALU_DEP_1)
	v_fmac_f32_e32 v30, v21, v27
	v_fmac_f32_e32 v30, v22, v28
	s_waitcnt lgkmcnt(0)
	s_delay_alu instid0(VALU_DEP_1) | instskip(NEXT) | instid1(VALU_DEP_1)
	v_fmac_f32_e32 v30, v23, v2
	v_fmac_f32_e32 v30, v24, v3
	s_waitcnt vmcnt(0)
	s_delay_alu instid0(VALU_DEP_1)
	v_fmac_f32_e32 v29, s16, v30
	global_store_b32 v[0:1], v29, off
	s_branch .LBB538_4
.LBB538_11:
	s_endpgm
	.section	.rodata,"a",@progbits
	.p2align	6, 0x0
	.amdhsa_kernel _ZL26rocblas_syr2k_her2k_kernelIiLb0ELb0ELb1ELi32EPKfPKS1_PKPfEvbiT_T4_T5_S7_lS9_S7_lT6_S7_li
		.amdhsa_group_segment_fixed_size 8192
		.amdhsa_private_segment_fixed_size 0
		.amdhsa_kernarg_size 100
		.amdhsa_user_sgpr_count 13
		.amdhsa_user_sgpr_dispatch_ptr 0
		.amdhsa_user_sgpr_queue_ptr 0
		.amdhsa_user_sgpr_kernarg_segment_ptr 1
		.amdhsa_user_sgpr_dispatch_id 0
		.amdhsa_user_sgpr_private_segment_size 0
		.amdhsa_wavefront_size32 1
		.amdhsa_uses_dynamic_stack 0
		.amdhsa_enable_private_segment 0
		.amdhsa_system_sgpr_workgroup_id_x 1
		.amdhsa_system_sgpr_workgroup_id_y 1
		.amdhsa_system_sgpr_workgroup_id_z 1
		.amdhsa_system_sgpr_workgroup_info 0
		.amdhsa_system_vgpr_workitem_id 1
		.amdhsa_next_free_vgpr 31
		.amdhsa_next_free_sgpr 24
		.amdhsa_reserve_vcc 1
		.amdhsa_float_round_mode_32 0
		.amdhsa_float_round_mode_16_64 0
		.amdhsa_float_denorm_mode_32 3
		.amdhsa_float_denorm_mode_16_64 3
		.amdhsa_dx10_clamp 1
		.amdhsa_ieee_mode 1
		.amdhsa_fp16_overflow 0
		.amdhsa_workgroup_processor_mode 1
		.amdhsa_memory_ordered 1
		.amdhsa_forward_progress 0
		.amdhsa_shared_vgpr_count 0
		.amdhsa_exception_fp_ieee_invalid_op 0
		.amdhsa_exception_fp_denorm_src 0
		.amdhsa_exception_fp_ieee_div_zero 0
		.amdhsa_exception_fp_ieee_overflow 0
		.amdhsa_exception_fp_ieee_underflow 0
		.amdhsa_exception_fp_ieee_inexact 0
		.amdhsa_exception_int_div_zero 0
	.end_amdhsa_kernel
	.section	.text._ZL26rocblas_syr2k_her2k_kernelIiLb0ELb0ELb1ELi32EPKfPKS1_PKPfEvbiT_T4_T5_S7_lS9_S7_lT6_S7_li,"axG",@progbits,_ZL26rocblas_syr2k_her2k_kernelIiLb0ELb0ELb1ELi32EPKfPKS1_PKPfEvbiT_T4_T5_S7_lS9_S7_lT6_S7_li,comdat
.Lfunc_end538:
	.size	_ZL26rocblas_syr2k_her2k_kernelIiLb0ELb0ELb1ELi32EPKfPKS1_PKPfEvbiT_T4_T5_S7_lS9_S7_lT6_S7_li, .Lfunc_end538-_ZL26rocblas_syr2k_her2k_kernelIiLb0ELb0ELb1ELi32EPKfPKS1_PKPfEvbiT_T4_T5_S7_lS9_S7_lT6_S7_li
                                        ; -- End function
	.section	.AMDGPU.csdata,"",@progbits
; Kernel info:
; codeLenInByte = 1228
; NumSgprs: 26
; NumVgprs: 31
; ScratchSize: 0
; MemoryBound: 0
; FloatMode: 240
; IeeeMode: 1
; LDSByteSize: 8192 bytes/workgroup (compile time only)
; SGPRBlocks: 3
; VGPRBlocks: 3
; NumSGPRsForWavesPerEU: 26
; NumVGPRsForWavesPerEU: 31
; Occupancy: 16
; WaveLimiterHint : 1
; COMPUTE_PGM_RSRC2:SCRATCH_EN: 0
; COMPUTE_PGM_RSRC2:USER_SGPR: 13
; COMPUTE_PGM_RSRC2:TRAP_HANDLER: 0
; COMPUTE_PGM_RSRC2:TGID_X_EN: 1
; COMPUTE_PGM_RSRC2:TGID_Y_EN: 1
; COMPUTE_PGM_RSRC2:TGID_Z_EN: 1
; COMPUTE_PGM_RSRC2:TIDIG_COMP_CNT: 1
	.section	.text._ZL26rocblas_syr2k_her2k_kernelIiLb0ELb0ELb0ELi32EdPKPKdPKPdEvbiT_T4_T5_S7_lS9_S7_lT6_S7_li,"axG",@progbits,_ZL26rocblas_syr2k_her2k_kernelIiLb0ELb0ELb0ELi32EdPKPKdPKPdEvbiT_T4_T5_S7_lS9_S7_lT6_S7_li,comdat
	.globl	_ZL26rocblas_syr2k_her2k_kernelIiLb0ELb0ELb0ELi32EdPKPKdPKPdEvbiT_T4_T5_S7_lS9_S7_lT6_S7_li ; -- Begin function _ZL26rocblas_syr2k_her2k_kernelIiLb0ELb0ELb0ELi32EdPKPKdPKPdEvbiT_T4_T5_S7_lS9_S7_lT6_S7_li
	.p2align	8
	.type	_ZL26rocblas_syr2k_her2k_kernelIiLb0ELb0ELb0ELi32EdPKPKdPKPdEvbiT_T4_T5_S7_lS9_S7_lT6_S7_li,@function
_ZL26rocblas_syr2k_her2k_kernelIiLb0ELb0ELb0ELi32EdPKPKdPKPdEvbiT_T4_T5_S7_lS9_S7_lT6_S7_li: ; @_ZL26rocblas_syr2k_her2k_kernelIiLb0ELb0ELb0ELi32EdPKPKdPKPdEvbiT_T4_T5_S7_lS9_S7_lT6_S7_li
; %bb.0:
	s_load_b128 s[4:7], s[0:1], 0x10
	s_waitcnt lgkmcnt(0)
	v_cmp_eq_f64_e64 s3, s[4:5], 0
	s_delay_alu instid0(VALU_DEP_1)
	s_and_b32 vcc_lo, exec_lo, s3
	s_cbranch_vccnz .LBB539_11
; %bb.1:
	s_load_b128 s[8:11], s[0:1], 0x0
	s_lshl_b32 s20, s14, 5
	s_lshl_b32 s21, s13, 5
	s_waitcnt lgkmcnt(0)
	s_and_b32 s3, 1, s8
	s_delay_alu instid0(SALU_CYCLE_1) | instskip(SKIP_1) | instid1(SALU_CYCLE_1)
	s_cmp_eq_u32 s3, 1
	s_cselect_b32 vcc_lo, -1, 0
	s_and_b32 s3, vcc_lo, exec_lo
	s_cselect_b32 s3, s21, s20
	s_cselect_b32 s8, s20, s21
	s_delay_alu instid0(SALU_CYCLE_1)
	s_cmp_gt_i32 s3, s8
	s_cbranch_scc1 .LBB539_11
; %bb.2:
	s_cmp_lt_i32 s10, 1
	s_cbranch_scc1 .LBB539_11
; %bb.3:
	s_mov_b32 s2, s15
	s_clause 0x4
	s_load_b128 s[16:19], s[0:1], 0x28
	s_load_b32 s8, s[0:1], 0x20
	s_load_b32 s11, s[0:1], 0x38
	s_load_b128 s[12:15], s[0:1], 0x40
	s_load_b32 s26, s[0:1], 0x50
	s_mov_b32 s3, 0
	s_load_b64 s[24:25], s[0:1], 0x58
	s_lshl_b64 s[22:23], s[2:3], 3
	v_and_b32_e32 v6, 0x3ff, v0
	s_add_u32 s0, s6, s22
	s_addc_u32 s1, s7, s23
	v_bfe_u32 v7, v0, 10, 10
	s_load_b64 s[6:7], s[0:1], 0x0
	v_add_nc_u32_e32 v2, s21, v6
	s_delay_alu instid0(VALU_DEP_2) | instskip(SKIP_1) | instid1(VALU_DEP_3)
	v_add_nc_u32_e32 v0, s20, v7
	v_lshlrev_b32_e32 v4, 3, v7
	v_ashrrev_i32_e32 v3, 31, v2
	s_waitcnt lgkmcnt(0)
	s_add_u32 s0, s18, s22
	v_cndmask_b32_e32 v17, v0, v2, vcc_lo
	s_addc_u32 s1, s19, s23
	v_lshlrev_b32_e32 v8, 8, v6
	s_load_b64 s[18:19], s[0:1], 0x0
	s_add_u32 s0, s14, s22
	s_addc_u32 s1, s15, s23
	v_ashrrev_i32_e32 v1, 31, v0
	s_load_b64 s[14:15], s[0:1], 0x0
	v_mad_i64_i32 v[13:14], null, s26, v0, 0
	v_or_b32_e32 v10, 0x2000, v4
	v_cndmask_b32_e32 v16, v2, v0, vcc_lo
	v_cmp_gt_i32_e32 vcc_lo, s9, v2
	v_lshlrev_b64 v[2:3], 3, v[2:3]
	s_lshl_b64 s[16:17], s[16:17], 3
	v_add_nc_u32_e32 v9, v8, v4
	v_lshlrev_b64 v[4:5], 3, v[0:1]
	s_add_u32 s1, s6, s16
	s_addc_u32 s2, s7, s17
	s_lshl_b64 s[6:7], s[12:13], 3
	v_cmp_gt_i32_e64 s0, s9, v0
	v_add_co_u32 v11, s1, s1, v2
	v_lshlrev_b64 v[0:1], 3, v[13:14]
	s_waitcnt lgkmcnt(0)
	s_add_u32 s9, s18, s6
	s_addc_u32 s12, s19, s7
	s_lshl_b64 s[6:7], s[24:25], 3
	v_add_co_ci_u32_e64 v12, s1, s2, v3, s1
	v_add_co_u32 v13, s1, s9, v4
	s_add_u32 s2, s14, s6
	v_add_co_ci_u32_e64 v14, s1, s12, v5, s1
	s_addc_u32 s6, s15, s7
	v_add_co_u32 v0, s1, s2, v0
	s_delay_alu instid0(VALU_DEP_1) | instskip(SKIP_2) | instid1(VALU_DEP_4)
	v_add_co_ci_u32_e64 v1, s1, s6, v1, s1
	v_cmp_le_i32_e64 s1, v17, v16
	v_add_nc_u32_e32 v17, 0x1000, v10
	v_add_co_u32 v0, s2, v0, v2
	v_add_nc_u32_e32 v15, v10, v8
	v_add_co_ci_u32_e64 v1, s2, v1, v3, s2
	v_add_nc_u32_e32 v16, 0x800, v10
	v_add_nc_u32_e32 v18, 0x1800, v10
	s_and_b32 s2, s0, vcc_lo
	s_delay_alu instid0(SALU_CYCLE_1)
	s_and_b32 s2, s2, s1
	s_branch .LBB539_5
.LBB539_4:                              ;   in Loop: Header=BB539_5 Depth=1
	s_or_b32 exec_lo, exec_lo, s1
	s_add_i32 s3, s3, 32
	s_waitcnt_vscnt null, 0x0
	s_cmp_lt_i32 s3, s10
	s_barrier
	buffer_gl0_inv
	s_cbranch_scc0 .LBB539_11
.LBB539_5:                              ; =>This Inner Loop Header: Depth=1
	v_dual_mov_b32 v2, 0 :: v_dual_add_nc_u32 v19, s3, v7
	v_mov_b32_e32 v3, 0
	s_delay_alu instid0(VALU_DEP_2) | instskip(NEXT) | instid1(VALU_DEP_2)
	v_cmp_gt_i32_e64 s1, s10, v19
	v_dual_mov_b32 v5, v3 :: v_dual_mov_b32 v4, v2
	s_delay_alu instid0(VALU_DEP_2) | instskip(NEXT) | instid1(SALU_CYCLE_1)
	s_and_b32 s1, vcc_lo, s1
	s_and_saveexec_b32 s6, s1
	s_cbranch_execz .LBB539_7
; %bb.6:                                ;   in Loop: Header=BB539_5 Depth=1
	v_mad_i64_i32 v[4:5], null, v19, s8, 0
	s_delay_alu instid0(VALU_DEP_1) | instskip(NEXT) | instid1(VALU_DEP_1)
	v_lshlrev_b64 v[4:5], 3, v[4:5]
	v_add_co_u32 v4, s1, v11, v4
	s_delay_alu instid0(VALU_DEP_1)
	v_add_co_ci_u32_e64 v5, s1, v12, v5, s1
	global_load_b64 v[4:5], v[4:5], off
.LBB539_7:                              ;   in Loop: Header=BB539_5 Depth=1
	s_or_b32 exec_lo, exec_lo, s6
	v_add_nc_u32_e32 v19, s3, v6
	s_waitcnt vmcnt(0)
	ds_store_b64 v9, v[4:5]
	v_cmp_gt_i32_e64 s1, s10, v19
	s_delay_alu instid0(VALU_DEP_1) | instskip(NEXT) | instid1(SALU_CYCLE_1)
	s_and_b32 s1, s0, s1
	s_and_saveexec_b32 s6, s1
	s_cbranch_execz .LBB539_9
; %bb.8:                                ;   in Loop: Header=BB539_5 Depth=1
	v_mad_i64_i32 v[2:3], null, v19, s11, 0
	s_delay_alu instid0(VALU_DEP_1) | instskip(NEXT) | instid1(VALU_DEP_1)
	v_lshlrev_b64 v[2:3], 3, v[2:3]
	v_add_co_u32 v2, s1, v13, v2
	s_delay_alu instid0(VALU_DEP_1)
	v_add_co_ci_u32_e64 v3, s1, v14, v3, s1
	global_load_b64 v[2:3], v[2:3], off
.LBB539_9:                              ;   in Loop: Header=BB539_5 Depth=1
	s_or_b32 exec_lo, exec_lo, s6
	s_waitcnt vmcnt(0)
	ds_store_b64 v15, v[2:3]
	s_waitcnt lgkmcnt(0)
	s_barrier
	buffer_gl0_inv
	s_and_saveexec_b32 s1, s2
	s_cbranch_execz .LBB539_4
; %bb.10:                               ;   in Loop: Header=BB539_5 Depth=1
	ds_load_2addr_b64 v[2:5], v10 offset1:32
	ds_load_b128 v[19:22], v8
	ds_load_b128 v[23:26], v8 offset:16
	s_waitcnt lgkmcnt(1)
	v_fma_f64 v[2:3], v[19:20], v[2:3], 0
	s_delay_alu instid0(VALU_DEP_1) | instskip(SKIP_3) | instid1(VALU_DEP_1)
	v_fma_f64 v[19:20], v[21:22], v[4:5], v[2:3]
	ds_load_2addr_b64 v[2:5], v10 offset0:64 offset1:96
	s_waitcnt lgkmcnt(0)
	v_fma_f64 v[2:3], v[23:24], v[2:3], v[19:20]
	v_fma_f64 v[27:28], v[25:26], v[4:5], v[2:3]
	ds_load_2addr_b64 v[2:5], v10 offset0:128 offset1:160
	ds_load_b128 v[19:22], v8 offset:32
	ds_load_b128 v[23:26], v8 offset:48
	s_waitcnt lgkmcnt(1)
	v_fma_f64 v[2:3], v[19:20], v[2:3], v[27:28]
	s_delay_alu instid0(VALU_DEP_1) | instskip(SKIP_3) | instid1(VALU_DEP_1)
	v_fma_f64 v[19:20], v[21:22], v[4:5], v[2:3]
	ds_load_2addr_b64 v[2:5], v10 offset0:192 offset1:224
	s_waitcnt lgkmcnt(0)
	v_fma_f64 v[2:3], v[23:24], v[2:3], v[19:20]
	v_fma_f64 v[27:28], v[25:26], v[4:5], v[2:3]
	ds_load_2addr_b64 v[2:5], v16 offset1:32
	ds_load_b128 v[19:22], v8 offset:64
	ds_load_b128 v[23:26], v8 offset:80
	s_waitcnt lgkmcnt(1)
	v_fma_f64 v[2:3], v[19:20], v[2:3], v[27:28]
	s_delay_alu instid0(VALU_DEP_1) | instskip(SKIP_3) | instid1(VALU_DEP_1)
	v_fma_f64 v[19:20], v[21:22], v[4:5], v[2:3]
	ds_load_2addr_b64 v[2:5], v16 offset0:64 offset1:96
	s_waitcnt lgkmcnt(0)
	v_fma_f64 v[2:3], v[23:24], v[2:3], v[19:20]
	v_fma_f64 v[27:28], v[25:26], v[4:5], v[2:3]
	ds_load_2addr_b64 v[2:5], v16 offset0:128 offset1:160
	ds_load_b128 v[19:22], v8 offset:96
	ds_load_b128 v[23:26], v8 offset:112
	s_waitcnt lgkmcnt(1)
	v_fma_f64 v[2:3], v[19:20], v[2:3], v[27:28]
	s_delay_alu instid0(VALU_DEP_1) | instskip(SKIP_3) | instid1(VALU_DEP_1)
	v_fma_f64 v[19:20], v[21:22], v[4:5], v[2:3]
	ds_load_2addr_b64 v[2:5], v16 offset0:192 offset1:224
	s_waitcnt lgkmcnt(0)
	v_fma_f64 v[2:3], v[23:24], v[2:3], v[19:20]
	v_fma_f64 v[27:28], v[25:26], v[4:5], v[2:3]
	ds_load_2addr_b64 v[2:5], v17 offset1:32
	ds_load_b128 v[19:22], v8 offset:128
	;; [unrolled: 22-line block ×3, first 2 shown]
	global_load_b64 v[29:30], v[0:1], off
	ds_load_b128 v[23:26], v8 offset:208
	s_waitcnt lgkmcnt(1)
	v_fma_f64 v[2:3], v[19:20], v[2:3], v[27:28]
	s_delay_alu instid0(VALU_DEP_1) | instskip(SKIP_3) | instid1(VALU_DEP_1)
	v_fma_f64 v[19:20], v[21:22], v[4:5], v[2:3]
	ds_load_2addr_b64 v[2:5], v18 offset0:64 offset1:96
	s_waitcnt lgkmcnt(0)
	v_fma_f64 v[2:3], v[23:24], v[2:3], v[19:20]
	v_fma_f64 v[27:28], v[25:26], v[4:5], v[2:3]
	ds_load_2addr_b64 v[2:5], v18 offset0:128 offset1:160
	ds_load_b128 v[19:22], v8 offset:224
	ds_load_b128 v[23:26], v8 offset:240
	s_waitcnt lgkmcnt(1)
	v_fma_f64 v[2:3], v[19:20], v[2:3], v[27:28]
	s_delay_alu instid0(VALU_DEP_1) | instskip(SKIP_3) | instid1(VALU_DEP_1)
	v_fma_f64 v[19:20], v[21:22], v[4:5], v[2:3]
	ds_load_2addr_b64 v[2:5], v18 offset0:192 offset1:224
	s_waitcnt lgkmcnt(0)
	v_fma_f64 v[2:3], v[23:24], v[2:3], v[19:20]
	v_fma_f64 v[2:3], v[25:26], v[4:5], v[2:3]
	s_waitcnt vmcnt(0)
	s_delay_alu instid0(VALU_DEP_1)
	v_fma_f64 v[2:3], v[2:3], s[4:5], v[29:30]
	global_store_b64 v[0:1], v[2:3], off
	s_branch .LBB539_4
.LBB539_11:
	s_endpgm
	.section	.rodata,"a",@progbits
	.p2align	6, 0x0
	.amdhsa_kernel _ZL26rocblas_syr2k_her2k_kernelIiLb0ELb0ELb0ELi32EdPKPKdPKPdEvbiT_T4_T5_S7_lS9_S7_lT6_S7_li
		.amdhsa_group_segment_fixed_size 16384
		.amdhsa_private_segment_fixed_size 0
		.amdhsa_kernarg_size 100
		.amdhsa_user_sgpr_count 13
		.amdhsa_user_sgpr_dispatch_ptr 0
		.amdhsa_user_sgpr_queue_ptr 0
		.amdhsa_user_sgpr_kernarg_segment_ptr 1
		.amdhsa_user_sgpr_dispatch_id 0
		.amdhsa_user_sgpr_private_segment_size 0
		.amdhsa_wavefront_size32 1
		.amdhsa_uses_dynamic_stack 0
		.amdhsa_enable_private_segment 0
		.amdhsa_system_sgpr_workgroup_id_x 1
		.amdhsa_system_sgpr_workgroup_id_y 1
		.amdhsa_system_sgpr_workgroup_id_z 1
		.amdhsa_system_sgpr_workgroup_info 0
		.amdhsa_system_vgpr_workitem_id 1
		.amdhsa_next_free_vgpr 31
		.amdhsa_next_free_sgpr 27
		.amdhsa_reserve_vcc 1
		.amdhsa_float_round_mode_32 0
		.amdhsa_float_round_mode_16_64 0
		.amdhsa_float_denorm_mode_32 3
		.amdhsa_float_denorm_mode_16_64 3
		.amdhsa_dx10_clamp 1
		.amdhsa_ieee_mode 1
		.amdhsa_fp16_overflow 0
		.amdhsa_workgroup_processor_mode 1
		.amdhsa_memory_ordered 1
		.amdhsa_forward_progress 0
		.amdhsa_shared_vgpr_count 0
		.amdhsa_exception_fp_ieee_invalid_op 0
		.amdhsa_exception_fp_denorm_src 0
		.amdhsa_exception_fp_ieee_div_zero 0
		.amdhsa_exception_fp_ieee_overflow 0
		.amdhsa_exception_fp_ieee_underflow 0
		.amdhsa_exception_fp_ieee_inexact 0
		.amdhsa_exception_int_div_zero 0
	.end_amdhsa_kernel
	.section	.text._ZL26rocblas_syr2k_her2k_kernelIiLb0ELb0ELb0ELi32EdPKPKdPKPdEvbiT_T4_T5_S7_lS9_S7_lT6_S7_li,"axG",@progbits,_ZL26rocblas_syr2k_her2k_kernelIiLb0ELb0ELb0ELi32EdPKPKdPKPdEvbiT_T4_T5_S7_lS9_S7_lT6_S7_li,comdat
.Lfunc_end539:
	.size	_ZL26rocblas_syr2k_her2k_kernelIiLb0ELb0ELb0ELi32EdPKPKdPKPdEvbiT_T4_T5_S7_lS9_S7_lT6_S7_li, .Lfunc_end539-_ZL26rocblas_syr2k_her2k_kernelIiLb0ELb0ELb0ELi32EdPKPKdPKPdEvbiT_T4_T5_S7_lS9_S7_lT6_S7_li
                                        ; -- End function
	.section	.AMDGPU.csdata,"",@progbits
; Kernel info:
; codeLenInByte = 1392
; NumSgprs: 29
; NumVgprs: 31
; ScratchSize: 0
; MemoryBound: 0
; FloatMode: 240
; IeeeMode: 1
; LDSByteSize: 16384 bytes/workgroup (compile time only)
; SGPRBlocks: 3
; VGPRBlocks: 3
; NumSGPRsForWavesPerEU: 29
; NumVGPRsForWavesPerEU: 31
; Occupancy: 16
; WaveLimiterHint : 1
; COMPUTE_PGM_RSRC2:SCRATCH_EN: 0
; COMPUTE_PGM_RSRC2:USER_SGPR: 13
; COMPUTE_PGM_RSRC2:TRAP_HANDLER: 0
; COMPUTE_PGM_RSRC2:TGID_X_EN: 1
; COMPUTE_PGM_RSRC2:TGID_Y_EN: 1
; COMPUTE_PGM_RSRC2:TGID_Z_EN: 1
; COMPUTE_PGM_RSRC2:TIDIG_COMP_CNT: 1
	.section	.text._ZL26rocblas_syr2k_her2k_kernelIiLb0ELb0ELb1ELi32EdPKPKdPKPdEvbiT_T4_T5_S7_lS9_S7_lT6_S7_li,"axG",@progbits,_ZL26rocblas_syr2k_her2k_kernelIiLb0ELb0ELb1ELi32EdPKPKdPKPdEvbiT_T4_T5_S7_lS9_S7_lT6_S7_li,comdat
	.globl	_ZL26rocblas_syr2k_her2k_kernelIiLb0ELb0ELb1ELi32EdPKPKdPKPdEvbiT_T4_T5_S7_lS9_S7_lT6_S7_li ; -- Begin function _ZL26rocblas_syr2k_her2k_kernelIiLb0ELb0ELb1ELi32EdPKPKdPKPdEvbiT_T4_T5_S7_lS9_S7_lT6_S7_li
	.p2align	8
	.type	_ZL26rocblas_syr2k_her2k_kernelIiLb0ELb0ELb1ELi32EdPKPKdPKPdEvbiT_T4_T5_S7_lS9_S7_lT6_S7_li,@function
_ZL26rocblas_syr2k_her2k_kernelIiLb0ELb0ELb1ELi32EdPKPKdPKPdEvbiT_T4_T5_S7_lS9_S7_lT6_S7_li: ; @_ZL26rocblas_syr2k_her2k_kernelIiLb0ELb0ELb1ELi32EdPKPKdPKPdEvbiT_T4_T5_S7_lS9_S7_lT6_S7_li
; %bb.0:
	s_load_b128 s[4:7], s[0:1], 0x10
	s_waitcnt lgkmcnt(0)
	v_cmp_eq_f64_e64 s3, s[4:5], 0
	s_delay_alu instid0(VALU_DEP_1)
	s_and_b32 vcc_lo, exec_lo, s3
	s_cbranch_vccnz .LBB540_11
; %bb.1:
	s_load_b128 s[8:11], s[0:1], 0x0
	s_waitcnt lgkmcnt(0)
	s_lshl_b32 s11, s14, 5
	s_and_b32 s3, 1, s8
	s_lshl_b32 s8, s13, 5
	s_cmp_eq_u32 s3, 1
	s_cselect_b32 vcc_lo, -1, 0
	s_delay_alu instid0(SALU_CYCLE_1) | instskip(SKIP_2) | instid1(SALU_CYCLE_1)
	s_and_b32 s3, vcc_lo, exec_lo
	s_cselect_b32 s3, s8, s11
	s_cselect_b32 s12, s11, s8
	s_cmp_gt_i32 s3, s12
	s_cbranch_scc1 .LBB540_11
; %bb.2:
	s_cmp_lt_i32 s10, 1
	s_cbranch_scc1 .LBB540_11
; %bb.3:
	s_mov_b32 s2, s15
	s_clause 0x4
	s_load_b128 s[16:19], s[0:1], 0x28
	s_load_b32 s22, s[0:1], 0x20
	s_load_b32 s23, s[0:1], 0x38
	s_load_b128 s[12:15], s[0:1], 0x40
	s_load_b32 s24, s[0:1], 0x50
	s_mov_b32 s3, 0
	v_and_b32_e32 v7, 0x3ff, v0
	s_lshl_b64 s[20:21], s[2:3], 3
	s_load_b64 s[0:1], s[0:1], 0x58
	s_add_u32 s6, s6, s20
	s_addc_u32 s7, s7, s21
	v_bfe_u32 v8, v0, 10, 10
	s_load_b64 s[6:7], s[6:7], 0x0
	v_add_nc_u32_e32 v0, s8, v7
	s_delay_alu instid0(VALU_DEP_2) | instskip(SKIP_1) | instid1(VALU_DEP_3)
	v_add_nc_u32_e32 v6, s11, v8
	v_lshlrev_b32_e32 v13, 3, v8
	v_ashrrev_i32_e32 v1, 31, v0
	v_lshlrev_b32_e32 v9, 8, v7
	s_waitcnt lgkmcnt(0)
	s_add_u32 s18, s18, s20
	v_cndmask_b32_e32 v18, v6, v0, vcc_lo
	s_addc_u32 s19, s19, s21
	s_add_u32 s14, s14, s20
	s_load_b64 s[18:19], s[18:19], 0x0
	s_addc_u32 s15, s15, s21
	v_mad_i64_i32 v[2:3], null, s22, v0, 0
	s_load_b64 s[14:15], s[14:15], 0x0
	v_mad_i64_i32 v[4:5], null, s23, v6, 0
	s_lshl_b64 s[16:17], s[16:17], 3
	v_mad_i64_i32 v[14:15], null, s24, v6, 0
	s_delay_alu instid0(VALU_DEP_3) | instskip(SKIP_3) | instid1(VALU_DEP_3)
	v_lshlrev_b64 v[2:3], 3, v[2:3]
	s_add_u32 s2, s6, s16
	s_addc_u32 s8, s7, s17
	s_lshl_b64 s[6:7], s[12:13], 3
	v_lshlrev_b64 v[4:5], 3, v[4:5]
	v_dual_cndmask_b32 v17, v0, v6 :: v_dual_add_nc_u32 v12, v9, v13
	v_cmp_gt_i32_e32 vcc_lo, s9, v0
	v_lshlrev_b64 v[0:1], 3, v[0:1]
	v_or_b32_e32 v13, 0x2000, v13
	s_waitcnt lgkmcnt(0)
	s_add_u32 s11, s18, s6
	s_addc_u32 s12, s19, s7
	s_lshl_b64 s[6:7], s[0:1], 3
	v_add_co_u32 v10, s0, s2, v2
	s_delay_alu instid0(VALU_DEP_1)
	v_add_co_ci_u32_e64 v11, s0, s8, v3, s0
	v_lshlrev_b64 v[2:3], 3, v[14:15]
	v_add_co_u32 v14, s1, s11, v4
	s_add_u32 s2, s14, s6
	v_add_co_ci_u32_e64 v15, s1, s12, v5, s1
	s_addc_u32 s6, s15, s7
	s_delay_alu instid0(VALU_DEP_3) | instskip(NEXT) | instid1(VALU_DEP_1)
	v_add_co_u32 v2, s1, s2, v2
	v_add_co_ci_u32_e64 v3, s1, s6, v3, s1
	v_cmp_gt_i32_e64 s0, s9, v6
	v_cmp_le_i32_e64 s1, v18, v17
	s_delay_alu instid0(VALU_DEP_4)
	v_add_co_u32 v0, s2, v2, v0
	v_add_nc_u32_e32 v16, v13, v9
	v_add_co_ci_u32_e64 v1, s2, v3, v1, s2
	v_add_nc_u32_e32 v17, 0x800, v13
	v_add_nc_u32_e32 v18, 0x1000, v13
	;; [unrolled: 1-line block ×3, first 2 shown]
	s_and_b32 s2, s0, vcc_lo
	s_delay_alu instid0(SALU_CYCLE_1)
	s_and_b32 s2, s2, s1
	s_branch .LBB540_5
.LBB540_4:                              ;   in Loop: Header=BB540_5 Depth=1
	s_or_b32 exec_lo, exec_lo, s1
	s_add_i32 s3, s3, 32
	s_waitcnt_vscnt null, 0x0
	s_cmp_lt_i32 s3, s10
	s_barrier
	buffer_gl0_inv
	s_cbranch_scc0 .LBB540_11
.LBB540_5:                              ; =>This Inner Loop Header: Depth=1
	v_add_nc_u32_e32 v4, s3, v8
	v_mov_b32_e32 v2, 0
	v_mov_b32_e32 v3, 0
	s_delay_alu instid0(VALU_DEP_3) | instskip(NEXT) | instid1(VALU_DEP_2)
	v_cmp_gt_i32_e64 s1, s10, v4
	v_dual_mov_b32 v6, v3 :: v_dual_mov_b32 v5, v2
	s_delay_alu instid0(VALU_DEP_2) | instskip(NEXT) | instid1(SALU_CYCLE_1)
	s_and_b32 s1, vcc_lo, s1
	s_and_saveexec_b32 s6, s1
	s_cbranch_execz .LBB540_7
; %bb.6:                                ;   in Loop: Header=BB540_5 Depth=1
	v_ashrrev_i32_e32 v5, 31, v4
	s_delay_alu instid0(VALU_DEP_1) | instskip(NEXT) | instid1(VALU_DEP_1)
	v_lshlrev_b64 v[4:5], 3, v[4:5]
	v_add_co_u32 v4, s1, v10, v4
	s_delay_alu instid0(VALU_DEP_1)
	v_add_co_ci_u32_e64 v5, s1, v11, v5, s1
	global_load_b64 v[5:6], v[4:5], off
.LBB540_7:                              ;   in Loop: Header=BB540_5 Depth=1
	s_or_b32 exec_lo, exec_lo, s6
	v_add_nc_u32_e32 v4, s3, v7
	s_waitcnt vmcnt(0)
	ds_store_b64 v12, v[5:6]
	v_cmp_gt_i32_e64 s1, s10, v4
	s_delay_alu instid0(VALU_DEP_1) | instskip(NEXT) | instid1(SALU_CYCLE_1)
	s_and_b32 s1, s0, s1
	s_and_saveexec_b32 s6, s1
	s_cbranch_execz .LBB540_9
; %bb.8:                                ;   in Loop: Header=BB540_5 Depth=1
	v_ashrrev_i32_e32 v5, 31, v4
	s_delay_alu instid0(VALU_DEP_1) | instskip(NEXT) | instid1(VALU_DEP_1)
	v_lshlrev_b64 v[2:3], 3, v[4:5]
	v_add_co_u32 v2, s1, v14, v2
	s_delay_alu instid0(VALU_DEP_1)
	v_add_co_ci_u32_e64 v3, s1, v15, v3, s1
	global_load_b64 v[2:3], v[2:3], off
.LBB540_9:                              ;   in Loop: Header=BB540_5 Depth=1
	s_or_b32 exec_lo, exec_lo, s6
	s_waitcnt vmcnt(0)
	ds_store_b64 v16, v[2:3]
	s_waitcnt lgkmcnt(0)
	s_barrier
	buffer_gl0_inv
	s_and_saveexec_b32 s1, s2
	s_cbranch_execz .LBB540_4
; %bb.10:                               ;   in Loop: Header=BB540_5 Depth=1
	ds_load_2addr_b64 v[2:5], v13 offset1:32
	ds_load_b128 v[20:23], v9
	ds_load_b128 v[24:27], v9 offset:16
	s_waitcnt lgkmcnt(1)
	v_fma_f64 v[2:3], v[20:21], v[2:3], 0
	s_delay_alu instid0(VALU_DEP_1) | instskip(SKIP_3) | instid1(VALU_DEP_1)
	v_fma_f64 v[20:21], v[22:23], v[4:5], v[2:3]
	ds_load_2addr_b64 v[2:5], v13 offset0:64 offset1:96
	s_waitcnt lgkmcnt(0)
	v_fma_f64 v[2:3], v[24:25], v[2:3], v[20:21]
	v_fma_f64 v[28:29], v[26:27], v[4:5], v[2:3]
	ds_load_2addr_b64 v[2:5], v13 offset0:128 offset1:160
	ds_load_b128 v[20:23], v9 offset:32
	ds_load_b128 v[24:27], v9 offset:48
	s_waitcnt lgkmcnt(1)
	v_fma_f64 v[2:3], v[20:21], v[2:3], v[28:29]
	s_delay_alu instid0(VALU_DEP_1) | instskip(SKIP_3) | instid1(VALU_DEP_1)
	v_fma_f64 v[20:21], v[22:23], v[4:5], v[2:3]
	ds_load_2addr_b64 v[2:5], v13 offset0:192 offset1:224
	s_waitcnt lgkmcnt(0)
	v_fma_f64 v[2:3], v[24:25], v[2:3], v[20:21]
	v_fma_f64 v[28:29], v[26:27], v[4:5], v[2:3]
	ds_load_2addr_b64 v[2:5], v17 offset1:32
	ds_load_b128 v[20:23], v9 offset:64
	ds_load_b128 v[24:27], v9 offset:80
	s_waitcnt lgkmcnt(1)
	v_fma_f64 v[2:3], v[20:21], v[2:3], v[28:29]
	s_delay_alu instid0(VALU_DEP_1) | instskip(SKIP_3) | instid1(VALU_DEP_1)
	v_fma_f64 v[20:21], v[22:23], v[4:5], v[2:3]
	ds_load_2addr_b64 v[2:5], v17 offset0:64 offset1:96
	s_waitcnt lgkmcnt(0)
	v_fma_f64 v[2:3], v[24:25], v[2:3], v[20:21]
	v_fma_f64 v[28:29], v[26:27], v[4:5], v[2:3]
	ds_load_2addr_b64 v[2:5], v17 offset0:128 offset1:160
	ds_load_b128 v[20:23], v9 offset:96
	ds_load_b128 v[24:27], v9 offset:112
	s_waitcnt lgkmcnt(1)
	v_fma_f64 v[2:3], v[20:21], v[2:3], v[28:29]
	s_delay_alu instid0(VALU_DEP_1) | instskip(SKIP_3) | instid1(VALU_DEP_1)
	v_fma_f64 v[20:21], v[22:23], v[4:5], v[2:3]
	ds_load_2addr_b64 v[2:5], v17 offset0:192 offset1:224
	s_waitcnt lgkmcnt(0)
	v_fma_f64 v[2:3], v[24:25], v[2:3], v[20:21]
	v_fma_f64 v[28:29], v[26:27], v[4:5], v[2:3]
	ds_load_2addr_b64 v[2:5], v18 offset1:32
	ds_load_b128 v[20:23], v9 offset:128
	;; [unrolled: 22-line block ×3, first 2 shown]
	global_load_b64 v[30:31], v[0:1], off
	ds_load_b128 v[24:27], v9 offset:208
	s_waitcnt lgkmcnt(1)
	v_fma_f64 v[2:3], v[20:21], v[2:3], v[28:29]
	s_delay_alu instid0(VALU_DEP_1) | instskip(SKIP_3) | instid1(VALU_DEP_1)
	v_fma_f64 v[20:21], v[22:23], v[4:5], v[2:3]
	ds_load_2addr_b64 v[2:5], v19 offset0:64 offset1:96
	s_waitcnt lgkmcnt(0)
	v_fma_f64 v[2:3], v[24:25], v[2:3], v[20:21]
	v_fma_f64 v[28:29], v[26:27], v[4:5], v[2:3]
	ds_load_2addr_b64 v[2:5], v19 offset0:128 offset1:160
	ds_load_b128 v[20:23], v9 offset:224
	ds_load_b128 v[24:27], v9 offset:240
	s_waitcnt lgkmcnt(1)
	v_fma_f64 v[2:3], v[20:21], v[2:3], v[28:29]
	s_delay_alu instid0(VALU_DEP_1) | instskip(SKIP_3) | instid1(VALU_DEP_1)
	v_fma_f64 v[20:21], v[22:23], v[4:5], v[2:3]
	ds_load_2addr_b64 v[2:5], v19 offset0:192 offset1:224
	s_waitcnt lgkmcnt(0)
	v_fma_f64 v[2:3], v[24:25], v[2:3], v[20:21]
	v_fma_f64 v[2:3], v[26:27], v[4:5], v[2:3]
	s_waitcnt vmcnt(0)
	s_delay_alu instid0(VALU_DEP_1)
	v_fma_f64 v[2:3], v[2:3], s[4:5], v[30:31]
	global_store_b64 v[0:1], v[2:3], off
	s_branch .LBB540_4
.LBB540_11:
	s_endpgm
	.section	.rodata,"a",@progbits
	.p2align	6, 0x0
	.amdhsa_kernel _ZL26rocblas_syr2k_her2k_kernelIiLb0ELb0ELb1ELi32EdPKPKdPKPdEvbiT_T4_T5_S7_lS9_S7_lT6_S7_li
		.amdhsa_group_segment_fixed_size 16384
		.amdhsa_private_segment_fixed_size 0
		.amdhsa_kernarg_size 100
		.amdhsa_user_sgpr_count 13
		.amdhsa_user_sgpr_dispatch_ptr 0
		.amdhsa_user_sgpr_queue_ptr 0
		.amdhsa_user_sgpr_kernarg_segment_ptr 1
		.amdhsa_user_sgpr_dispatch_id 0
		.amdhsa_user_sgpr_private_segment_size 0
		.amdhsa_wavefront_size32 1
		.amdhsa_uses_dynamic_stack 0
		.amdhsa_enable_private_segment 0
		.amdhsa_system_sgpr_workgroup_id_x 1
		.amdhsa_system_sgpr_workgroup_id_y 1
		.amdhsa_system_sgpr_workgroup_id_z 1
		.amdhsa_system_sgpr_workgroup_info 0
		.amdhsa_system_vgpr_workitem_id 1
		.amdhsa_next_free_vgpr 32
		.amdhsa_next_free_sgpr 25
		.amdhsa_reserve_vcc 1
		.amdhsa_float_round_mode_32 0
		.amdhsa_float_round_mode_16_64 0
		.amdhsa_float_denorm_mode_32 3
		.amdhsa_float_denorm_mode_16_64 3
		.amdhsa_dx10_clamp 1
		.amdhsa_ieee_mode 1
		.amdhsa_fp16_overflow 0
		.amdhsa_workgroup_processor_mode 1
		.amdhsa_memory_ordered 1
		.amdhsa_forward_progress 0
		.amdhsa_shared_vgpr_count 0
		.amdhsa_exception_fp_ieee_invalid_op 0
		.amdhsa_exception_fp_denorm_src 0
		.amdhsa_exception_fp_ieee_div_zero 0
		.amdhsa_exception_fp_ieee_overflow 0
		.amdhsa_exception_fp_ieee_underflow 0
		.amdhsa_exception_fp_ieee_inexact 0
		.amdhsa_exception_int_div_zero 0
	.end_amdhsa_kernel
	.section	.text._ZL26rocblas_syr2k_her2k_kernelIiLb0ELb0ELb1ELi32EdPKPKdPKPdEvbiT_T4_T5_S7_lS9_S7_lT6_S7_li,"axG",@progbits,_ZL26rocblas_syr2k_her2k_kernelIiLb0ELb0ELb1ELi32EdPKPKdPKPdEvbiT_T4_T5_S7_lS9_S7_lT6_S7_li,comdat
.Lfunc_end540:
	.size	_ZL26rocblas_syr2k_her2k_kernelIiLb0ELb0ELb1ELi32EdPKPKdPKPdEvbiT_T4_T5_S7_lS9_S7_lT6_S7_li, .Lfunc_end540-_ZL26rocblas_syr2k_her2k_kernelIiLb0ELb0ELb1ELi32EdPKPKdPKPdEvbiT_T4_T5_S7_lS9_S7_lT6_S7_li
                                        ; -- End function
	.section	.AMDGPU.csdata,"",@progbits
; Kernel info:
; codeLenInByte = 1412
; NumSgprs: 27
; NumVgprs: 32
; ScratchSize: 0
; MemoryBound: 0
; FloatMode: 240
; IeeeMode: 1
; LDSByteSize: 16384 bytes/workgroup (compile time only)
; SGPRBlocks: 3
; VGPRBlocks: 3
; NumSGPRsForWavesPerEU: 27
; NumVGPRsForWavesPerEU: 32
; Occupancy: 16
; WaveLimiterHint : 1
; COMPUTE_PGM_RSRC2:SCRATCH_EN: 0
; COMPUTE_PGM_RSRC2:USER_SGPR: 13
; COMPUTE_PGM_RSRC2:TRAP_HANDLER: 0
; COMPUTE_PGM_RSRC2:TGID_X_EN: 1
; COMPUTE_PGM_RSRC2:TGID_Y_EN: 1
; COMPUTE_PGM_RSRC2:TGID_Z_EN: 1
; COMPUTE_PGM_RSRC2:TIDIG_COMP_CNT: 1
	.section	.text._ZL37rocblas_syrkx_herkx_restricted_kernelIidLi16ELi32ELi8ELi1ELi1ELb0ELc84ELc76EKPKdKPdEviT_PT9_S5_lS7_S5_lPT10_S5_li,"axG",@progbits,_ZL37rocblas_syrkx_herkx_restricted_kernelIidLi16ELi32ELi8ELi1ELi1ELb0ELc84ELc76EKPKdKPdEviT_PT9_S5_lS7_S5_lPT10_S5_li,comdat
	.globl	_ZL37rocblas_syrkx_herkx_restricted_kernelIidLi16ELi32ELi8ELi1ELi1ELb0ELc84ELc76EKPKdKPdEviT_PT9_S5_lS7_S5_lPT10_S5_li ; -- Begin function _ZL37rocblas_syrkx_herkx_restricted_kernelIidLi16ELi32ELi8ELi1ELi1ELb0ELc84ELc76EKPKdKPdEviT_PT9_S5_lS7_S5_lPT10_S5_li
	.p2align	8
	.type	_ZL37rocblas_syrkx_herkx_restricted_kernelIidLi16ELi32ELi8ELi1ELi1ELb0ELc84ELc76EKPKdKPdEviT_PT9_S5_lS7_S5_lPT10_S5_li,@function
_ZL37rocblas_syrkx_herkx_restricted_kernelIidLi16ELi32ELi8ELi1ELi1ELb0ELc84ELc76EKPKdKPdEviT_PT9_S5_lS7_S5_lPT10_S5_li: ; @_ZL37rocblas_syrkx_herkx_restricted_kernelIidLi16ELi32ELi8ELi1ELi1ELb0ELc84ELc76EKPKdKPdEviT_PT9_S5_lS7_S5_lPT10_S5_li
; %bb.0:
	s_clause 0x1
	s_load_b64 s[2:3], s[0:1], 0x38
	s_load_b64 s[4:5], s[0:1], 0x0
	s_mov_b32 s6, s15
	s_mov_b32 s7, 0
	v_mov_b32_e32 v10, 0
	s_lshl_b64 s[8:9], s[6:7], 3
	v_dual_mov_b32 v11, 0 :: v_dual_and_b32 v12, 0x3ff, v0
	v_bfe_u32 v13, v0, 10, 10
	s_delay_alu instid0(VALU_DEP_3) | instskip(NEXT) | instid1(VALU_DEP_3)
	v_mov_b32_e32 v8, v10
	v_dual_mov_b32 v2, v10 :: v_dual_mov_b32 v3, v11
	v_dual_mov_b32 v9, v11 :: v_dual_mov_b32 v0, v10
	v_mov_b32_e32 v1, v11
	s_waitcnt lgkmcnt(0)
	s_add_u32 s2, s2, s8
	s_addc_u32 s3, s3, s9
	s_lshl_b32 s6, s13, 5
	s_load_b64 s[2:3], s[2:3], 0x0
	s_lshl_b32 s10, s14, 5
	s_cmp_lt_i32 s5, 1
	s_cbranch_scc1 .LBB541_3
; %bb.1:
	s_clause 0x3
	s_load_b64 s[12:13], s[0:1], 0x8
	s_load_b64 s[14:15], s[0:1], 0x20
	s_load_b32 s11, s[0:1], 0x10
	s_load_b32 s16, s[0:1], 0x28
	v_lshl_add_u32 v4, v13, 4, v12
	v_dual_mov_b32 v3, 0 :: v_dual_and_b32 v2, 7, v12
	v_mov_b32_e32 v0, 0
	v_dual_mov_b32 v1, 0 :: v_dual_lshlrev_b32 v14, 3, v12
	s_delay_alu instid0(VALU_DEP_4)
	v_and_b32_e32 v9, 31, v4
	v_lshrrev_b32_e32 v8, 3, v4
	v_lshrrev_b32_e32 v4, 5, v4
	v_mov_b32_e32 v5, v3
	v_lshl_add_u32 v15, v13, 6, 0x800
	v_add_nc_u32_e32 v10, s6, v9
	v_add_nc_u32_e32 v16, s10, v8
	s_waitcnt lgkmcnt(0)
	s_add_u32 s12, s12, s8
	s_addc_u32 s13, s13, s9
	s_add_u32 s8, s14, s8
	s_load_b64 s[12:13], s[12:13], 0x0
	s_addc_u32 s9, s15, s9
	v_mad_i64_i32 v[6:7], null, s11, v10, v[4:5]
	s_load_b64 s[8:9], s[8:9], 0x0
	v_lshlrev_b32_e32 v5, 3, v2
	v_mad_i64_i32 v[10:11], null, s16, v16, v[2:3]
	v_dual_mov_b32 v3, v1 :: v_dual_mov_b32 v2, v0
	s_delay_alu instid0(VALU_DEP_3) | instskip(SKIP_3) | instid1(VALU_DEP_4)
	v_lshl_or_b32 v17, v8, 6, v5
	v_lshlrev_b64 v[5:6], 3, v[6:7]
	v_dual_mov_b32 v9, v1 :: v_dual_lshlrev_b32 v16, 3, v9
	v_lshlrev_b64 v[10:11], 3, v[10:11]
	v_dual_mov_b32 v8, v0 :: v_dual_add_nc_u32 v17, 0x800, v17
	s_delay_alu instid0(VALU_DEP_3)
	v_lshl_or_b32 v16, v4, 8, v16
	s_waitcnt lgkmcnt(0)
	v_add_co_u32 v4, vcc_lo, s12, v5
	v_add_co_ci_u32_e32 v5, vcc_lo, s13, v6, vcc_lo
	v_add_co_u32 v6, vcc_lo, s8, v10
	v_add_co_ci_u32_e32 v7, vcc_lo, s9, v11, vcc_lo
	v_dual_mov_b32 v11, v1 :: v_dual_mov_b32 v10, v0
.LBB541_2:                              ; =>This Inner Loop Header: Depth=1
	global_load_b64 v[18:19], v[4:5], off
	global_load_b64 v[20:21], v[6:7], off
	v_add_co_u32 v4, vcc_lo, v4, 64
	v_add_co_ci_u32_e32 v5, vcc_lo, 0, v5, vcc_lo
	v_add_co_u32 v6, vcc_lo, v6, 64
	v_add_co_ci_u32_e32 v7, vcc_lo, 0, v7, vcc_lo
	s_add_i32 s7, s7, 8
	s_waitcnt vmcnt(1)
	ds_store_b64 v16, v[18:19]
	s_waitcnt vmcnt(0)
	ds_store_b64 v17, v[20:21]
	s_waitcnt lgkmcnt(0)
	s_barrier
	buffer_gl0_inv
	ds_load_2addr_b64 v[18:21], v14 offset1:16
	ds_load_b128 v[22:25], v15
	ds_load_b128 v[26:29], v15 offset:1024
	ds_load_b128 v[30:33], v15 offset:16
	;; [unrolled: 1-line block ×3, first 2 shown]
	s_cmp_ge_i32 s7, s5
	s_waitcnt lgkmcnt(3)
	v_fma_f64 v[10:11], v[18:19], v[22:23], v[10:11]
	v_fma_f64 v[8:9], v[20:21], v[22:23], v[8:9]
	s_waitcnt lgkmcnt(2)
	v_fma_f64 v[18:19], v[18:19], v[26:27], v[2:3]
	v_fma_f64 v[20:21], v[20:21], v[26:27], v[0:1]
	ds_load_2addr_b64 v[0:3], v14 offset0:32 offset1:48
	s_waitcnt lgkmcnt(0)
	v_fma_f64 v[10:11], v[0:1], v[24:25], v[10:11]
	v_fma_f64 v[8:9], v[2:3], v[24:25], v[8:9]
	v_fma_f64 v[18:19], v[0:1], v[28:29], v[18:19]
	v_fma_f64 v[20:21], v[2:3], v[28:29], v[20:21]
	ds_load_2addr_b64 v[0:3], v14 offset0:64 offset1:80
	s_waitcnt lgkmcnt(0)
	v_fma_f64 v[10:11], v[0:1], v[30:31], v[10:11]
	v_fma_f64 v[8:9], v[2:3], v[30:31], v[8:9]
	;; [unrolled: 6-line block ×3, first 2 shown]
	v_fma_f64 v[34:35], v[0:1], v[36:37], v[18:19]
	v_fma_f64 v[36:37], v[2:3], v[36:37], v[20:21]
	ds_load_2addr_b64 v[0:3], v14 offset0:128 offset1:144
	ds_load_b128 v[8:11], v15 offset:32
	ds_load_b128 v[18:21], v15 offset:1056
	ds_load_b128 v[22:25], v15 offset:48
	ds_load_b128 v[26:29], v15 offset:1072
	s_waitcnt lgkmcnt(3)
	v_fma_f64 v[30:31], v[0:1], v[8:9], v[30:31]
	v_fma_f64 v[8:9], v[2:3], v[8:9], v[32:33]
	s_waitcnt lgkmcnt(2)
	v_fma_f64 v[32:33], v[0:1], v[18:19], v[34:35]
	v_fma_f64 v[18:19], v[2:3], v[18:19], v[36:37]
	ds_load_2addr_b64 v[0:3], v14 offset0:160 offset1:176
	s_waitcnt lgkmcnt(0)
	v_fma_f64 v[30:31], v[0:1], v[10:11], v[30:31]
	v_fma_f64 v[8:9], v[2:3], v[10:11], v[8:9]
	;; [unrolled: 1-line block ×4, first 2 shown]
	ds_load_2addr_b64 v[0:3], v14 offset0:192 offset1:208
	s_waitcnt lgkmcnt(0)
	v_fma_f64 v[30:31], v[0:1], v[22:23], v[30:31]
	v_fma_f64 v[8:9], v[2:3], v[22:23], v[8:9]
	;; [unrolled: 1-line block ×4, first 2 shown]
	ds_load_2addr_b64 v[18:21], v14 offset0:224 offset1:240
	s_waitcnt lgkmcnt(0)
	s_barrier
	buffer_gl0_inv
	v_fma_f64 v[10:11], v[18:19], v[24:25], v[30:31]
	v_fma_f64 v[8:9], v[20:21], v[24:25], v[8:9]
	;; [unrolled: 1-line block ×4, first 2 shown]
	s_cbranch_scc0 .LBB541_2
.LBB541_3:
	s_load_b32 s5, s[0:1], 0x40
	v_add_nc_u32_e32 v13, s10, v13
	v_add_nc_u32_e32 v4, s6, v12
	s_delay_alu instid0(VALU_DEP_1) | instskip(SKIP_1) | instid1(VALU_DEP_2)
	v_cmp_le_i32_e64 s0, v13, v4
	v_cmp_gt_i32_e32 vcc_lo, s4, v4
	s_and_b32 s0, s0, vcc_lo
	s_waitcnt lgkmcnt(0)
	v_mad_i64_i32 v[5:6], null, v13, s5, 0
	s_delay_alu instid0(VALU_DEP_1) | instskip(NEXT) | instid1(VALU_DEP_1)
	v_lshlrev_b64 v[5:6], 3, v[5:6]
	v_add_co_u32 v12, s1, s2, v5
	s_delay_alu instid0(VALU_DEP_1)
	v_add_co_ci_u32_e64 v14, s1, s3, v6, s1
	s_and_saveexec_b32 s1, s0
	s_cbranch_execz .LBB541_5
; %bb.4:
	v_ashrrev_i32_e32 v5, 31, v4
	s_delay_alu instid0(VALU_DEP_1) | instskip(NEXT) | instid1(VALU_DEP_1)
	v_lshlrev_b64 v[5:6], 3, v[4:5]
	v_add_co_u32 v5, s0, v12, v5
	s_delay_alu instid0(VALU_DEP_1)
	v_add_co_ci_u32_e64 v6, s0, v14, v6, s0
	global_load_b64 v[15:16], v[5:6], off
	s_waitcnt vmcnt(0)
	v_add_f64 v[10:11], v[10:11], v[15:16]
	global_store_b64 v[5:6], v[10:11], off
.LBB541_5:
	s_or_b32 exec_lo, exec_lo, s1
	v_add_nc_u32_e32 v6, 16, v4
	s_delay_alu instid0(VALU_DEP_1) | instskip(SKIP_1) | instid1(VALU_DEP_1)
	v_cmp_le_i32_e64 s1, v13, v6
	v_cmp_gt_i32_e64 s0, s4, v6
	s_and_b32 s1, s1, s0
	s_delay_alu instid0(SALU_CYCLE_1)
	s_and_saveexec_b32 s4, s1
	s_cbranch_execz .LBB541_7
; %bb.6:
	v_ashrrev_i32_e32 v7, 31, v6
	s_delay_alu instid0(VALU_DEP_1) | instskip(NEXT) | instid1(VALU_DEP_1)
	v_lshlrev_b64 v[10:11], 3, v[6:7]
	v_add_co_u32 v10, s1, v12, v10
	s_delay_alu instid0(VALU_DEP_1)
	v_add_co_ci_u32_e64 v11, s1, v14, v11, s1
	global_load_b64 v[14:15], v[10:11], off
	s_waitcnt vmcnt(0)
	v_add_f64 v[7:8], v[8:9], v[14:15]
	global_store_b64 v[10:11], v[7:8], off
.LBB541_7:
	s_or_b32 exec_lo, exec_lo, s4
	v_add_nc_u32_e32 v7, 16, v13
	s_delay_alu instid0(VALU_DEP_1) | instskip(SKIP_1) | instid1(VALU_DEP_2)
	v_mad_i64_i32 v[8:9], null, v7, s5, 0
	v_cmp_le_i32_e64 s1, v7, v4
	v_lshlrev_b64 v[8:9], 3, v[8:9]
	s_delay_alu instid0(VALU_DEP_1) | instskip(NEXT) | instid1(VALU_DEP_1)
	v_add_co_u32 v8, s2, s2, v8
	v_add_co_ci_u32_e64 v9, s2, s3, v9, s2
	s_delay_alu instid0(VALU_DEP_4) | instskip(NEXT) | instid1(SALU_CYCLE_1)
	s_and_b32 s2, s1, vcc_lo
	s_and_saveexec_b32 s1, s2
	s_cbranch_execz .LBB541_9
; %bb.8:
	v_ashrrev_i32_e32 v5, 31, v4
	s_delay_alu instid0(VALU_DEP_1) | instskip(NEXT) | instid1(VALU_DEP_1)
	v_lshlrev_b64 v[4:5], 3, v[4:5]
	v_add_co_u32 v4, vcc_lo, v8, v4
	s_delay_alu instid0(VALU_DEP_2)
	v_add_co_ci_u32_e32 v5, vcc_lo, v9, v5, vcc_lo
	global_load_b64 v[10:11], v[4:5], off
	s_waitcnt vmcnt(0)
	v_add_f64 v[2:3], v[2:3], v[10:11]
	global_store_b64 v[4:5], v[2:3], off
.LBB541_9:
	s_or_b32 exec_lo, exec_lo, s1
	v_cmp_le_i32_e32 vcc_lo, v7, v6
	s_and_b32 s0, vcc_lo, s0
	s_delay_alu instid0(SALU_CYCLE_1)
	s_and_saveexec_b32 s1, s0
	s_cbranch_execz .LBB541_11
; %bb.10:
	v_ashrrev_i32_e32 v7, 31, v6
	s_delay_alu instid0(VALU_DEP_1) | instskip(NEXT) | instid1(VALU_DEP_1)
	v_lshlrev_b64 v[2:3], 3, v[6:7]
	v_add_co_u32 v2, vcc_lo, v8, v2
	s_delay_alu instid0(VALU_DEP_2)
	v_add_co_ci_u32_e32 v3, vcc_lo, v9, v3, vcc_lo
	global_load_b64 v[4:5], v[2:3], off
	s_waitcnt vmcnt(0)
	v_add_f64 v[0:1], v[0:1], v[4:5]
	global_store_b64 v[2:3], v[0:1], off
.LBB541_11:
	s_nop 0
	s_sendmsg sendmsg(MSG_DEALLOC_VGPRS)
	s_endpgm
	.section	.rodata,"a",@progbits
	.p2align	6, 0x0
	.amdhsa_kernel _ZL37rocblas_syrkx_herkx_restricted_kernelIidLi16ELi32ELi8ELi1ELi1ELb0ELc84ELc76EKPKdKPdEviT_PT9_S5_lS7_S5_lPT10_S5_li
		.amdhsa_group_segment_fixed_size 4096
		.amdhsa_private_segment_fixed_size 0
		.amdhsa_kernarg_size 84
		.amdhsa_user_sgpr_count 13
		.amdhsa_user_sgpr_dispatch_ptr 0
		.amdhsa_user_sgpr_queue_ptr 0
		.amdhsa_user_sgpr_kernarg_segment_ptr 1
		.amdhsa_user_sgpr_dispatch_id 0
		.amdhsa_user_sgpr_private_segment_size 0
		.amdhsa_wavefront_size32 1
		.amdhsa_uses_dynamic_stack 0
		.amdhsa_enable_private_segment 0
		.amdhsa_system_sgpr_workgroup_id_x 1
		.amdhsa_system_sgpr_workgroup_id_y 1
		.amdhsa_system_sgpr_workgroup_id_z 1
		.amdhsa_system_sgpr_workgroup_info 0
		.amdhsa_system_vgpr_workitem_id 1
		.amdhsa_next_free_vgpr 38
		.amdhsa_next_free_sgpr 17
		.amdhsa_reserve_vcc 1
		.amdhsa_float_round_mode_32 0
		.amdhsa_float_round_mode_16_64 0
		.amdhsa_float_denorm_mode_32 3
		.amdhsa_float_denorm_mode_16_64 3
		.amdhsa_dx10_clamp 1
		.amdhsa_ieee_mode 1
		.amdhsa_fp16_overflow 0
		.amdhsa_workgroup_processor_mode 1
		.amdhsa_memory_ordered 1
		.amdhsa_forward_progress 0
		.amdhsa_shared_vgpr_count 0
		.amdhsa_exception_fp_ieee_invalid_op 0
		.amdhsa_exception_fp_denorm_src 0
		.amdhsa_exception_fp_ieee_div_zero 0
		.amdhsa_exception_fp_ieee_overflow 0
		.amdhsa_exception_fp_ieee_underflow 0
		.amdhsa_exception_fp_ieee_inexact 0
		.amdhsa_exception_int_div_zero 0
	.end_amdhsa_kernel
	.section	.text._ZL37rocblas_syrkx_herkx_restricted_kernelIidLi16ELi32ELi8ELi1ELi1ELb0ELc84ELc76EKPKdKPdEviT_PT9_S5_lS7_S5_lPT10_S5_li,"axG",@progbits,_ZL37rocblas_syrkx_herkx_restricted_kernelIidLi16ELi32ELi8ELi1ELi1ELb0ELc84ELc76EKPKdKPdEviT_PT9_S5_lS7_S5_lPT10_S5_li,comdat
.Lfunc_end541:
	.size	_ZL37rocblas_syrkx_herkx_restricted_kernelIidLi16ELi32ELi8ELi1ELi1ELb0ELc84ELc76EKPKdKPdEviT_PT9_S5_lS7_S5_lPT10_S5_li, .Lfunc_end541-_ZL37rocblas_syrkx_herkx_restricted_kernelIidLi16ELi32ELi8ELi1ELi1ELb0ELc84ELc76EKPKdKPdEviT_PT9_S5_lS7_S5_lPT10_S5_li
                                        ; -- End function
	.section	.AMDGPU.csdata,"",@progbits
; Kernel info:
; codeLenInByte = 1400
; NumSgprs: 19
; NumVgprs: 38
; ScratchSize: 0
; MemoryBound: 0
; FloatMode: 240
; IeeeMode: 1
; LDSByteSize: 4096 bytes/workgroup (compile time only)
; SGPRBlocks: 2
; VGPRBlocks: 4
; NumSGPRsForWavesPerEU: 19
; NumVGPRsForWavesPerEU: 38
; Occupancy: 16
; WaveLimiterHint : 1
; COMPUTE_PGM_RSRC2:SCRATCH_EN: 0
; COMPUTE_PGM_RSRC2:USER_SGPR: 13
; COMPUTE_PGM_RSRC2:TRAP_HANDLER: 0
; COMPUTE_PGM_RSRC2:TGID_X_EN: 1
; COMPUTE_PGM_RSRC2:TGID_Y_EN: 1
; COMPUTE_PGM_RSRC2:TGID_Z_EN: 1
; COMPUTE_PGM_RSRC2:TIDIG_COMP_CNT: 1
	.section	.text._ZL37rocblas_syrkx_herkx_restricted_kernelIidLi16ELi32ELi8ELi1ELi1ELb0ELc67ELc76EKPKdKPdEviT_PT9_S5_lS7_S5_lPT10_S5_li,"axG",@progbits,_ZL37rocblas_syrkx_herkx_restricted_kernelIidLi16ELi32ELi8ELi1ELi1ELb0ELc67ELc76EKPKdKPdEviT_PT9_S5_lS7_S5_lPT10_S5_li,comdat
	.globl	_ZL37rocblas_syrkx_herkx_restricted_kernelIidLi16ELi32ELi8ELi1ELi1ELb0ELc67ELc76EKPKdKPdEviT_PT9_S5_lS7_S5_lPT10_S5_li ; -- Begin function _ZL37rocblas_syrkx_herkx_restricted_kernelIidLi16ELi32ELi8ELi1ELi1ELb0ELc67ELc76EKPKdKPdEviT_PT9_S5_lS7_S5_lPT10_S5_li
	.p2align	8
	.type	_ZL37rocblas_syrkx_herkx_restricted_kernelIidLi16ELi32ELi8ELi1ELi1ELb0ELc67ELc76EKPKdKPdEviT_PT9_S5_lS7_S5_lPT10_S5_li,@function
_ZL37rocblas_syrkx_herkx_restricted_kernelIidLi16ELi32ELi8ELi1ELi1ELb0ELc67ELc76EKPKdKPdEviT_PT9_S5_lS7_S5_lPT10_S5_li: ; @_ZL37rocblas_syrkx_herkx_restricted_kernelIidLi16ELi32ELi8ELi1ELi1ELb0ELc67ELc76EKPKdKPdEviT_PT9_S5_lS7_S5_lPT10_S5_li
; %bb.0:
	s_clause 0x1
	s_load_b64 s[2:3], s[0:1], 0x38
	s_load_b64 s[4:5], s[0:1], 0x0
	s_mov_b32 s6, s15
	s_mov_b32 s7, 0
	v_mov_b32_e32 v10, 0
	s_lshl_b64 s[8:9], s[6:7], 3
	v_dual_mov_b32 v11, 0 :: v_dual_and_b32 v12, 0x3ff, v0
	v_bfe_u32 v13, v0, 10, 10
	s_delay_alu instid0(VALU_DEP_3) | instskip(NEXT) | instid1(VALU_DEP_3)
	v_mov_b32_e32 v8, v10
	v_dual_mov_b32 v2, v10 :: v_dual_mov_b32 v3, v11
	v_dual_mov_b32 v9, v11 :: v_dual_mov_b32 v0, v10
	v_mov_b32_e32 v1, v11
	s_waitcnt lgkmcnt(0)
	s_add_u32 s2, s2, s8
	s_addc_u32 s3, s3, s9
	s_lshl_b32 s6, s13, 5
	s_load_b64 s[2:3], s[2:3], 0x0
	s_lshl_b32 s10, s14, 5
	s_cmp_lt_i32 s5, 1
	s_cbranch_scc1 .LBB542_3
; %bb.1:
	s_clause 0x3
	s_load_b64 s[12:13], s[0:1], 0x8
	s_load_b64 s[14:15], s[0:1], 0x20
	s_load_b32 s11, s[0:1], 0x10
	s_load_b32 s16, s[0:1], 0x28
	v_lshl_add_u32 v4, v13, 4, v12
	v_dual_mov_b32 v3, 0 :: v_dual_and_b32 v2, 7, v12
	v_mov_b32_e32 v0, 0
	v_dual_mov_b32 v1, 0 :: v_dual_lshlrev_b32 v14, 3, v12
	s_delay_alu instid0(VALU_DEP_4)
	v_and_b32_e32 v9, 31, v4
	v_lshrrev_b32_e32 v8, 3, v4
	v_lshrrev_b32_e32 v4, 5, v4
	v_mov_b32_e32 v5, v3
	v_lshl_add_u32 v15, v13, 6, 0x800
	v_add_nc_u32_e32 v10, s6, v9
	v_add_nc_u32_e32 v16, s10, v8
	s_waitcnt lgkmcnt(0)
	s_add_u32 s12, s12, s8
	s_addc_u32 s13, s13, s9
	s_add_u32 s8, s14, s8
	s_load_b64 s[12:13], s[12:13], 0x0
	s_addc_u32 s9, s15, s9
	v_mad_i64_i32 v[6:7], null, s11, v10, v[4:5]
	s_load_b64 s[8:9], s[8:9], 0x0
	v_lshlrev_b32_e32 v5, 3, v2
	v_mad_i64_i32 v[10:11], null, s16, v16, v[2:3]
	v_dual_mov_b32 v3, v1 :: v_dual_mov_b32 v2, v0
	s_delay_alu instid0(VALU_DEP_3) | instskip(SKIP_3) | instid1(VALU_DEP_4)
	v_lshl_or_b32 v17, v8, 6, v5
	v_lshlrev_b64 v[5:6], 3, v[6:7]
	v_dual_mov_b32 v9, v1 :: v_dual_lshlrev_b32 v16, 3, v9
	v_lshlrev_b64 v[10:11], 3, v[10:11]
	v_dual_mov_b32 v8, v0 :: v_dual_add_nc_u32 v17, 0x800, v17
	s_delay_alu instid0(VALU_DEP_3)
	v_lshl_or_b32 v16, v4, 8, v16
	s_waitcnt lgkmcnt(0)
	v_add_co_u32 v4, vcc_lo, s12, v5
	v_add_co_ci_u32_e32 v5, vcc_lo, s13, v6, vcc_lo
	v_add_co_u32 v6, vcc_lo, s8, v10
	v_add_co_ci_u32_e32 v7, vcc_lo, s9, v11, vcc_lo
	v_dual_mov_b32 v11, v1 :: v_dual_mov_b32 v10, v0
.LBB542_2:                              ; =>This Inner Loop Header: Depth=1
	global_load_b64 v[18:19], v[4:5], off
	global_load_b64 v[20:21], v[6:7], off
	v_add_co_u32 v4, vcc_lo, v4, 64
	v_add_co_ci_u32_e32 v5, vcc_lo, 0, v5, vcc_lo
	v_add_co_u32 v6, vcc_lo, v6, 64
	v_add_co_ci_u32_e32 v7, vcc_lo, 0, v7, vcc_lo
	s_add_i32 s7, s7, 8
	s_waitcnt vmcnt(1)
	ds_store_b64 v16, v[18:19]
	s_waitcnt vmcnt(0)
	ds_store_b64 v17, v[20:21]
	s_waitcnt lgkmcnt(0)
	s_barrier
	buffer_gl0_inv
	ds_load_2addr_b64 v[18:21], v14 offset1:16
	ds_load_b128 v[22:25], v15
	ds_load_b128 v[26:29], v15 offset:1024
	ds_load_b128 v[30:33], v15 offset:16
	;; [unrolled: 1-line block ×3, first 2 shown]
	s_cmp_ge_i32 s7, s5
	s_waitcnt lgkmcnt(3)
	v_fma_f64 v[10:11], v[18:19], v[22:23], v[10:11]
	v_fma_f64 v[8:9], v[20:21], v[22:23], v[8:9]
	s_waitcnt lgkmcnt(2)
	v_fma_f64 v[18:19], v[18:19], v[26:27], v[2:3]
	v_fma_f64 v[20:21], v[20:21], v[26:27], v[0:1]
	ds_load_2addr_b64 v[0:3], v14 offset0:32 offset1:48
	s_waitcnt lgkmcnt(0)
	v_fma_f64 v[10:11], v[0:1], v[24:25], v[10:11]
	v_fma_f64 v[8:9], v[2:3], v[24:25], v[8:9]
	v_fma_f64 v[18:19], v[0:1], v[28:29], v[18:19]
	v_fma_f64 v[20:21], v[2:3], v[28:29], v[20:21]
	ds_load_2addr_b64 v[0:3], v14 offset0:64 offset1:80
	s_waitcnt lgkmcnt(0)
	v_fma_f64 v[10:11], v[0:1], v[30:31], v[10:11]
	v_fma_f64 v[8:9], v[2:3], v[30:31], v[8:9]
	v_fma_f64 v[18:19], v[0:1], v[34:35], v[18:19]
	v_fma_f64 v[20:21], v[2:3], v[34:35], v[20:21]
	ds_load_2addr_b64 v[0:3], v14 offset0:96 offset1:112
	s_waitcnt lgkmcnt(0)
	v_fma_f64 v[30:31], v[0:1], v[32:33], v[10:11]
	v_fma_f64 v[32:33], v[2:3], v[32:33], v[8:9]
	v_fma_f64 v[34:35], v[0:1], v[36:37], v[18:19]
	v_fma_f64 v[36:37], v[2:3], v[36:37], v[20:21]
	ds_load_2addr_b64 v[0:3], v14 offset0:128 offset1:144
	ds_load_b128 v[8:11], v15 offset:32
	ds_load_b128 v[18:21], v15 offset:1056
	;; [unrolled: 1-line block ×4, first 2 shown]
	s_waitcnt lgkmcnt(3)
	v_fma_f64 v[30:31], v[0:1], v[8:9], v[30:31]
	v_fma_f64 v[8:9], v[2:3], v[8:9], v[32:33]
	s_waitcnt lgkmcnt(2)
	v_fma_f64 v[32:33], v[0:1], v[18:19], v[34:35]
	v_fma_f64 v[18:19], v[2:3], v[18:19], v[36:37]
	ds_load_2addr_b64 v[0:3], v14 offset0:160 offset1:176
	s_waitcnt lgkmcnt(0)
	v_fma_f64 v[30:31], v[0:1], v[10:11], v[30:31]
	v_fma_f64 v[8:9], v[2:3], v[10:11], v[8:9]
	;; [unrolled: 1-line block ×4, first 2 shown]
	ds_load_2addr_b64 v[0:3], v14 offset0:192 offset1:208
	s_waitcnt lgkmcnt(0)
	v_fma_f64 v[30:31], v[0:1], v[22:23], v[30:31]
	v_fma_f64 v[8:9], v[2:3], v[22:23], v[8:9]
	;; [unrolled: 1-line block ×4, first 2 shown]
	ds_load_2addr_b64 v[18:21], v14 offset0:224 offset1:240
	s_waitcnt lgkmcnt(0)
	s_barrier
	buffer_gl0_inv
	v_fma_f64 v[10:11], v[18:19], v[24:25], v[30:31]
	v_fma_f64 v[8:9], v[20:21], v[24:25], v[8:9]
	;; [unrolled: 1-line block ×4, first 2 shown]
	s_cbranch_scc0 .LBB542_2
.LBB542_3:
	s_load_b32 s5, s[0:1], 0x40
	v_add_nc_u32_e32 v13, s10, v13
	v_add_nc_u32_e32 v4, s6, v12
	s_delay_alu instid0(VALU_DEP_1) | instskip(SKIP_1) | instid1(VALU_DEP_2)
	v_cmp_le_i32_e64 s0, v13, v4
	v_cmp_gt_i32_e32 vcc_lo, s4, v4
	s_and_b32 s0, s0, vcc_lo
	s_waitcnt lgkmcnt(0)
	v_mad_i64_i32 v[5:6], null, v13, s5, 0
	s_delay_alu instid0(VALU_DEP_1) | instskip(NEXT) | instid1(VALU_DEP_1)
	v_lshlrev_b64 v[5:6], 3, v[5:6]
	v_add_co_u32 v12, s1, s2, v5
	s_delay_alu instid0(VALU_DEP_1)
	v_add_co_ci_u32_e64 v14, s1, s3, v6, s1
	s_and_saveexec_b32 s1, s0
	s_cbranch_execz .LBB542_5
; %bb.4:
	v_ashrrev_i32_e32 v5, 31, v4
	s_delay_alu instid0(VALU_DEP_1) | instskip(NEXT) | instid1(VALU_DEP_1)
	v_lshlrev_b64 v[5:6], 3, v[4:5]
	v_add_co_u32 v5, s0, v12, v5
	s_delay_alu instid0(VALU_DEP_1)
	v_add_co_ci_u32_e64 v6, s0, v14, v6, s0
	global_load_b64 v[15:16], v[5:6], off
	s_waitcnt vmcnt(0)
	v_add_f64 v[10:11], v[10:11], v[15:16]
	global_store_b64 v[5:6], v[10:11], off
.LBB542_5:
	s_or_b32 exec_lo, exec_lo, s1
	v_add_nc_u32_e32 v6, 16, v4
	s_delay_alu instid0(VALU_DEP_1) | instskip(SKIP_1) | instid1(VALU_DEP_1)
	v_cmp_le_i32_e64 s1, v13, v6
	v_cmp_gt_i32_e64 s0, s4, v6
	s_and_b32 s1, s1, s0
	s_delay_alu instid0(SALU_CYCLE_1)
	s_and_saveexec_b32 s4, s1
	s_cbranch_execz .LBB542_7
; %bb.6:
	v_ashrrev_i32_e32 v7, 31, v6
	s_delay_alu instid0(VALU_DEP_1) | instskip(NEXT) | instid1(VALU_DEP_1)
	v_lshlrev_b64 v[10:11], 3, v[6:7]
	v_add_co_u32 v10, s1, v12, v10
	s_delay_alu instid0(VALU_DEP_1)
	v_add_co_ci_u32_e64 v11, s1, v14, v11, s1
	global_load_b64 v[14:15], v[10:11], off
	s_waitcnt vmcnt(0)
	v_add_f64 v[7:8], v[8:9], v[14:15]
	global_store_b64 v[10:11], v[7:8], off
.LBB542_7:
	s_or_b32 exec_lo, exec_lo, s4
	v_add_nc_u32_e32 v7, 16, v13
	s_delay_alu instid0(VALU_DEP_1) | instskip(SKIP_1) | instid1(VALU_DEP_2)
	v_mad_i64_i32 v[8:9], null, v7, s5, 0
	v_cmp_le_i32_e64 s1, v7, v4
	v_lshlrev_b64 v[8:9], 3, v[8:9]
	s_delay_alu instid0(VALU_DEP_1) | instskip(NEXT) | instid1(VALU_DEP_1)
	v_add_co_u32 v8, s2, s2, v8
	v_add_co_ci_u32_e64 v9, s2, s3, v9, s2
	s_delay_alu instid0(VALU_DEP_4) | instskip(NEXT) | instid1(SALU_CYCLE_1)
	s_and_b32 s2, s1, vcc_lo
	s_and_saveexec_b32 s1, s2
	s_cbranch_execz .LBB542_9
; %bb.8:
	v_ashrrev_i32_e32 v5, 31, v4
	s_delay_alu instid0(VALU_DEP_1) | instskip(NEXT) | instid1(VALU_DEP_1)
	v_lshlrev_b64 v[4:5], 3, v[4:5]
	v_add_co_u32 v4, vcc_lo, v8, v4
	s_delay_alu instid0(VALU_DEP_2)
	v_add_co_ci_u32_e32 v5, vcc_lo, v9, v5, vcc_lo
	global_load_b64 v[10:11], v[4:5], off
	s_waitcnt vmcnt(0)
	v_add_f64 v[2:3], v[2:3], v[10:11]
	global_store_b64 v[4:5], v[2:3], off
.LBB542_9:
	s_or_b32 exec_lo, exec_lo, s1
	v_cmp_le_i32_e32 vcc_lo, v7, v6
	s_and_b32 s0, vcc_lo, s0
	s_delay_alu instid0(SALU_CYCLE_1)
	s_and_saveexec_b32 s1, s0
	s_cbranch_execz .LBB542_11
; %bb.10:
	v_ashrrev_i32_e32 v7, 31, v6
	s_delay_alu instid0(VALU_DEP_1) | instskip(NEXT) | instid1(VALU_DEP_1)
	v_lshlrev_b64 v[2:3], 3, v[6:7]
	v_add_co_u32 v2, vcc_lo, v8, v2
	s_delay_alu instid0(VALU_DEP_2)
	v_add_co_ci_u32_e32 v3, vcc_lo, v9, v3, vcc_lo
	global_load_b64 v[4:5], v[2:3], off
	s_waitcnt vmcnt(0)
	v_add_f64 v[0:1], v[0:1], v[4:5]
	global_store_b64 v[2:3], v[0:1], off
.LBB542_11:
	s_nop 0
	s_sendmsg sendmsg(MSG_DEALLOC_VGPRS)
	s_endpgm
	.section	.rodata,"a",@progbits
	.p2align	6, 0x0
	.amdhsa_kernel _ZL37rocblas_syrkx_herkx_restricted_kernelIidLi16ELi32ELi8ELi1ELi1ELb0ELc67ELc76EKPKdKPdEviT_PT9_S5_lS7_S5_lPT10_S5_li
		.amdhsa_group_segment_fixed_size 4096
		.amdhsa_private_segment_fixed_size 0
		.amdhsa_kernarg_size 84
		.amdhsa_user_sgpr_count 13
		.amdhsa_user_sgpr_dispatch_ptr 0
		.amdhsa_user_sgpr_queue_ptr 0
		.amdhsa_user_sgpr_kernarg_segment_ptr 1
		.amdhsa_user_sgpr_dispatch_id 0
		.amdhsa_user_sgpr_private_segment_size 0
		.amdhsa_wavefront_size32 1
		.amdhsa_uses_dynamic_stack 0
		.amdhsa_enable_private_segment 0
		.amdhsa_system_sgpr_workgroup_id_x 1
		.amdhsa_system_sgpr_workgroup_id_y 1
		.amdhsa_system_sgpr_workgroup_id_z 1
		.amdhsa_system_sgpr_workgroup_info 0
		.amdhsa_system_vgpr_workitem_id 1
		.amdhsa_next_free_vgpr 38
		.amdhsa_next_free_sgpr 17
		.amdhsa_reserve_vcc 1
		.amdhsa_float_round_mode_32 0
		.amdhsa_float_round_mode_16_64 0
		.amdhsa_float_denorm_mode_32 3
		.amdhsa_float_denorm_mode_16_64 3
		.amdhsa_dx10_clamp 1
		.amdhsa_ieee_mode 1
		.amdhsa_fp16_overflow 0
		.amdhsa_workgroup_processor_mode 1
		.amdhsa_memory_ordered 1
		.amdhsa_forward_progress 0
		.amdhsa_shared_vgpr_count 0
		.amdhsa_exception_fp_ieee_invalid_op 0
		.amdhsa_exception_fp_denorm_src 0
		.amdhsa_exception_fp_ieee_div_zero 0
		.amdhsa_exception_fp_ieee_overflow 0
		.amdhsa_exception_fp_ieee_underflow 0
		.amdhsa_exception_fp_ieee_inexact 0
		.amdhsa_exception_int_div_zero 0
	.end_amdhsa_kernel
	.section	.text._ZL37rocblas_syrkx_herkx_restricted_kernelIidLi16ELi32ELi8ELi1ELi1ELb0ELc67ELc76EKPKdKPdEviT_PT9_S5_lS7_S5_lPT10_S5_li,"axG",@progbits,_ZL37rocblas_syrkx_herkx_restricted_kernelIidLi16ELi32ELi8ELi1ELi1ELb0ELc67ELc76EKPKdKPdEviT_PT9_S5_lS7_S5_lPT10_S5_li,comdat
.Lfunc_end542:
	.size	_ZL37rocblas_syrkx_herkx_restricted_kernelIidLi16ELi32ELi8ELi1ELi1ELb0ELc67ELc76EKPKdKPdEviT_PT9_S5_lS7_S5_lPT10_S5_li, .Lfunc_end542-_ZL37rocblas_syrkx_herkx_restricted_kernelIidLi16ELi32ELi8ELi1ELi1ELb0ELc67ELc76EKPKdKPdEviT_PT9_S5_lS7_S5_lPT10_S5_li
                                        ; -- End function
	.section	.AMDGPU.csdata,"",@progbits
; Kernel info:
; codeLenInByte = 1400
; NumSgprs: 19
; NumVgprs: 38
; ScratchSize: 0
; MemoryBound: 0
; FloatMode: 240
; IeeeMode: 1
; LDSByteSize: 4096 bytes/workgroup (compile time only)
; SGPRBlocks: 2
; VGPRBlocks: 4
; NumSGPRsForWavesPerEU: 19
; NumVGPRsForWavesPerEU: 38
; Occupancy: 16
; WaveLimiterHint : 1
; COMPUTE_PGM_RSRC2:SCRATCH_EN: 0
; COMPUTE_PGM_RSRC2:USER_SGPR: 13
; COMPUTE_PGM_RSRC2:TRAP_HANDLER: 0
; COMPUTE_PGM_RSRC2:TGID_X_EN: 1
; COMPUTE_PGM_RSRC2:TGID_Y_EN: 1
; COMPUTE_PGM_RSRC2:TGID_Z_EN: 1
; COMPUTE_PGM_RSRC2:TIDIG_COMP_CNT: 1
	.section	.text._ZL37rocblas_syrkx_herkx_restricted_kernelIidLi16ELi32ELi8ELi1ELi1ELb0ELc78ELc76EKPKdKPdEviT_PT9_S5_lS7_S5_lPT10_S5_li,"axG",@progbits,_ZL37rocblas_syrkx_herkx_restricted_kernelIidLi16ELi32ELi8ELi1ELi1ELb0ELc78ELc76EKPKdKPdEviT_PT9_S5_lS7_S5_lPT10_S5_li,comdat
	.globl	_ZL37rocblas_syrkx_herkx_restricted_kernelIidLi16ELi32ELi8ELi1ELi1ELb0ELc78ELc76EKPKdKPdEviT_PT9_S5_lS7_S5_lPT10_S5_li ; -- Begin function _ZL37rocblas_syrkx_herkx_restricted_kernelIidLi16ELi32ELi8ELi1ELi1ELb0ELc78ELc76EKPKdKPdEviT_PT9_S5_lS7_S5_lPT10_S5_li
	.p2align	8
	.type	_ZL37rocblas_syrkx_herkx_restricted_kernelIidLi16ELi32ELi8ELi1ELi1ELb0ELc78ELc76EKPKdKPdEviT_PT9_S5_lS7_S5_lPT10_S5_li,@function
_ZL37rocblas_syrkx_herkx_restricted_kernelIidLi16ELi32ELi8ELi1ELi1ELb0ELc78ELc76EKPKdKPdEviT_PT9_S5_lS7_S5_lPT10_S5_li: ; @_ZL37rocblas_syrkx_herkx_restricted_kernelIidLi16ELi32ELi8ELi1ELi1ELb0ELc78ELc76EKPKdKPdEviT_PT9_S5_lS7_S5_lPT10_S5_li
; %bb.0:
	s_clause 0x1
	s_load_b64 s[2:3], s[0:1], 0x38
	s_load_b64 s[4:5], s[0:1], 0x0
	s_mov_b32 s6, s15
	s_mov_b32 s7, 0
	v_mov_b32_e32 v10, 0
	s_lshl_b64 s[8:9], s[6:7], 3
	v_dual_mov_b32 v11, 0 :: v_dual_and_b32 v12, 0x3ff, v0
	v_bfe_u32 v13, v0, 10, 10
	s_delay_alu instid0(VALU_DEP_3) | instskip(NEXT) | instid1(VALU_DEP_3)
	v_mov_b32_e32 v8, v10
	v_dual_mov_b32 v2, v10 :: v_dual_mov_b32 v3, v11
	v_dual_mov_b32 v9, v11 :: v_dual_mov_b32 v0, v10
	v_mov_b32_e32 v1, v11
	s_waitcnt lgkmcnt(0)
	s_add_u32 s2, s2, s8
	s_addc_u32 s3, s3, s9
	s_lshl_b32 s6, s13, 5
	s_load_b64 s[2:3], s[2:3], 0x0
	s_lshl_b32 s12, s14, 5
	s_cmp_lt_i32 s5, 1
	s_cbranch_scc1 .LBB543_3
; %bb.1:
	s_clause 0x3
	s_load_b32 s10, s[0:1], 0x10
	s_load_b32 s14, s[0:1], 0x28
	s_load_b64 s[16:17], s[0:1], 0x8
	s_load_b64 s[18:19], s[0:1], 0x20
	v_lshl_add_u32 v2, v13, 4, v12
	v_mov_b32_e32 v0, 0
	v_dual_mov_b32 v1, 0 :: v_dual_and_b32 v8, 7, v12
	v_lshlrev_b32_e32 v14, 3, v12
	s_delay_alu instid0(VALU_DEP_4)
	v_and_b32_e32 v10, 31, v2
	v_lshrrev_b32_e32 v9, 3, v2
	v_lshrrev_b32_e32 v11, 5, v2
	v_lshlrev_b32_e32 v16, 3, v8
	v_lshl_add_u32 v15, v13, 6, 0x800
	v_add_nc_u32_e32 v4, s6, v10
	v_add_nc_u32_e32 v2, s12, v9
	s_delay_alu instid0(VALU_DEP_4) | instskip(NEXT) | instid1(VALU_DEP_3)
	v_lshl_or_b32 v17, v9, 6, v16
	v_ashrrev_i32_e32 v5, 31, v4
	s_waitcnt lgkmcnt(0)
	s_ashr_i32 s11, s10, 31
	s_ashr_i32 s15, s14, 31
	s_add_u32 s16, s16, s8
	s_addc_u32 s17, s17, s9
	s_add_u32 s8, s18, s8
	s_load_b64 s[16:17], s[16:17], 0x0
	s_addc_u32 s9, s19, s9
	v_ashrrev_i32_e32 v3, 31, v2
	s_load_b64 s[8:9], s[8:9], 0x0
	v_mad_i64_i32 v[6:7], null, s10, v11, v[4:5]
	v_add_nc_u32_e32 v17, 0x800, v17
	s_delay_alu instid0(VALU_DEP_3)
	v_mad_i64_i32 v[4:5], null, s14, v8, v[2:3]
	v_dual_mov_b32 v3, v1 :: v_dual_lshlrev_b32 v10, 3, v10
	v_mov_b32_e32 v9, v1
	v_lshlrev_b64 v[6:7], 3, v[6:7]
	v_mov_b32_e32 v2, v0
	v_mov_b32_e32 v8, v0
	v_lshl_or_b32 v16, v11, 8, v10
	v_lshlrev_b64 v[10:11], 3, v[4:5]
	s_waitcnt lgkmcnt(0)
	v_add_co_u32 v4, vcc_lo, s16, v6
	v_add_co_ci_u32_e32 v5, vcc_lo, s17, v7, vcc_lo
	s_delay_alu instid0(VALU_DEP_3) | instskip(NEXT) | instid1(VALU_DEP_4)
	v_add_co_u32 v6, vcc_lo, s8, v10
	v_add_co_ci_u32_e32 v7, vcc_lo, s9, v11, vcc_lo
	v_dual_mov_b32 v11, v1 :: v_dual_mov_b32 v10, v0
	s_lshl_b64 s[8:9], s[10:11], 6
	s_lshl_b64 s[10:11], s[14:15], 6
.LBB543_2:                              ; =>This Inner Loop Header: Depth=1
	global_load_b64 v[18:19], v[4:5], off
	global_load_b64 v[20:21], v[6:7], off
	v_add_co_u32 v4, vcc_lo, v4, s8
	v_add_co_ci_u32_e32 v5, vcc_lo, s9, v5, vcc_lo
	v_add_co_u32 v6, vcc_lo, v6, s10
	v_add_co_ci_u32_e32 v7, vcc_lo, s11, v7, vcc_lo
	s_add_i32 s7, s7, 8
	s_waitcnt vmcnt(1)
	ds_store_b64 v16, v[18:19]
	s_waitcnt vmcnt(0)
	ds_store_b64 v17, v[20:21]
	s_waitcnt lgkmcnt(0)
	s_barrier
	buffer_gl0_inv
	ds_load_2addr_b64 v[18:21], v14 offset1:16
	ds_load_b128 v[22:25], v15
	ds_load_b128 v[26:29], v15 offset:1024
	ds_load_b128 v[30:33], v15 offset:16
	;; [unrolled: 1-line block ×3, first 2 shown]
	s_cmp_ge_i32 s7, s5
	s_waitcnt lgkmcnt(3)
	v_fma_f64 v[10:11], v[18:19], v[22:23], v[10:11]
	v_fma_f64 v[8:9], v[20:21], v[22:23], v[8:9]
	s_waitcnt lgkmcnt(2)
	v_fma_f64 v[18:19], v[18:19], v[26:27], v[2:3]
	v_fma_f64 v[20:21], v[20:21], v[26:27], v[0:1]
	ds_load_2addr_b64 v[0:3], v14 offset0:32 offset1:48
	s_waitcnt lgkmcnt(0)
	v_fma_f64 v[10:11], v[0:1], v[24:25], v[10:11]
	v_fma_f64 v[8:9], v[2:3], v[24:25], v[8:9]
	v_fma_f64 v[18:19], v[0:1], v[28:29], v[18:19]
	v_fma_f64 v[20:21], v[2:3], v[28:29], v[20:21]
	ds_load_2addr_b64 v[0:3], v14 offset0:64 offset1:80
	s_waitcnt lgkmcnt(0)
	v_fma_f64 v[10:11], v[0:1], v[30:31], v[10:11]
	v_fma_f64 v[8:9], v[2:3], v[30:31], v[8:9]
	;; [unrolled: 6-line block ×3, first 2 shown]
	v_fma_f64 v[34:35], v[0:1], v[36:37], v[18:19]
	v_fma_f64 v[36:37], v[2:3], v[36:37], v[20:21]
	ds_load_2addr_b64 v[0:3], v14 offset0:128 offset1:144
	ds_load_b128 v[8:11], v15 offset:32
	ds_load_b128 v[18:21], v15 offset:1056
	;; [unrolled: 1-line block ×4, first 2 shown]
	s_waitcnt lgkmcnt(3)
	v_fma_f64 v[30:31], v[0:1], v[8:9], v[30:31]
	v_fma_f64 v[8:9], v[2:3], v[8:9], v[32:33]
	s_waitcnt lgkmcnt(2)
	v_fma_f64 v[32:33], v[0:1], v[18:19], v[34:35]
	v_fma_f64 v[18:19], v[2:3], v[18:19], v[36:37]
	ds_load_2addr_b64 v[0:3], v14 offset0:160 offset1:176
	s_waitcnt lgkmcnt(0)
	v_fma_f64 v[30:31], v[0:1], v[10:11], v[30:31]
	v_fma_f64 v[8:9], v[2:3], v[10:11], v[8:9]
	;; [unrolled: 1-line block ×4, first 2 shown]
	ds_load_2addr_b64 v[0:3], v14 offset0:192 offset1:208
	s_waitcnt lgkmcnt(0)
	v_fma_f64 v[30:31], v[0:1], v[22:23], v[30:31]
	v_fma_f64 v[8:9], v[2:3], v[22:23], v[8:9]
	;; [unrolled: 1-line block ×4, first 2 shown]
	ds_load_2addr_b64 v[18:21], v14 offset0:224 offset1:240
	s_waitcnt lgkmcnt(0)
	s_barrier
	buffer_gl0_inv
	v_fma_f64 v[10:11], v[18:19], v[24:25], v[30:31]
	v_fma_f64 v[8:9], v[20:21], v[24:25], v[8:9]
	;; [unrolled: 1-line block ×4, first 2 shown]
	s_cbranch_scc0 .LBB543_2
.LBB543_3:
	s_load_b32 s5, s[0:1], 0x40
	v_add_nc_u32_e32 v13, s12, v13
	v_add_nc_u32_e32 v4, s6, v12
	s_delay_alu instid0(VALU_DEP_1) | instskip(SKIP_1) | instid1(VALU_DEP_2)
	v_cmp_le_i32_e64 s0, v13, v4
	v_cmp_gt_i32_e32 vcc_lo, s4, v4
	s_and_b32 s0, s0, vcc_lo
	s_waitcnt lgkmcnt(0)
	v_mad_i64_i32 v[5:6], null, v13, s5, 0
	s_delay_alu instid0(VALU_DEP_1) | instskip(NEXT) | instid1(VALU_DEP_1)
	v_lshlrev_b64 v[5:6], 3, v[5:6]
	v_add_co_u32 v12, s1, s2, v5
	s_delay_alu instid0(VALU_DEP_1)
	v_add_co_ci_u32_e64 v14, s1, s3, v6, s1
	s_and_saveexec_b32 s1, s0
	s_cbranch_execz .LBB543_5
; %bb.4:
	v_ashrrev_i32_e32 v5, 31, v4
	s_delay_alu instid0(VALU_DEP_1) | instskip(NEXT) | instid1(VALU_DEP_1)
	v_lshlrev_b64 v[5:6], 3, v[4:5]
	v_add_co_u32 v5, s0, v12, v5
	s_delay_alu instid0(VALU_DEP_1)
	v_add_co_ci_u32_e64 v6, s0, v14, v6, s0
	global_load_b64 v[15:16], v[5:6], off
	s_waitcnt vmcnt(0)
	v_add_f64 v[10:11], v[10:11], v[15:16]
	global_store_b64 v[5:6], v[10:11], off
.LBB543_5:
	s_or_b32 exec_lo, exec_lo, s1
	v_add_nc_u32_e32 v6, 16, v4
	s_delay_alu instid0(VALU_DEP_1) | instskip(SKIP_1) | instid1(VALU_DEP_1)
	v_cmp_le_i32_e64 s1, v13, v6
	v_cmp_gt_i32_e64 s0, s4, v6
	s_and_b32 s1, s1, s0
	s_delay_alu instid0(SALU_CYCLE_1)
	s_and_saveexec_b32 s4, s1
	s_cbranch_execz .LBB543_7
; %bb.6:
	v_ashrrev_i32_e32 v7, 31, v6
	s_delay_alu instid0(VALU_DEP_1) | instskip(NEXT) | instid1(VALU_DEP_1)
	v_lshlrev_b64 v[10:11], 3, v[6:7]
	v_add_co_u32 v10, s1, v12, v10
	s_delay_alu instid0(VALU_DEP_1)
	v_add_co_ci_u32_e64 v11, s1, v14, v11, s1
	global_load_b64 v[14:15], v[10:11], off
	s_waitcnt vmcnt(0)
	v_add_f64 v[7:8], v[8:9], v[14:15]
	global_store_b64 v[10:11], v[7:8], off
.LBB543_7:
	s_or_b32 exec_lo, exec_lo, s4
	v_add_nc_u32_e32 v7, 16, v13
	s_delay_alu instid0(VALU_DEP_1) | instskip(SKIP_1) | instid1(VALU_DEP_2)
	v_mad_i64_i32 v[8:9], null, v7, s5, 0
	v_cmp_le_i32_e64 s1, v7, v4
	v_lshlrev_b64 v[8:9], 3, v[8:9]
	s_delay_alu instid0(VALU_DEP_1) | instskip(NEXT) | instid1(VALU_DEP_1)
	v_add_co_u32 v8, s2, s2, v8
	v_add_co_ci_u32_e64 v9, s2, s3, v9, s2
	s_delay_alu instid0(VALU_DEP_4) | instskip(NEXT) | instid1(SALU_CYCLE_1)
	s_and_b32 s2, s1, vcc_lo
	s_and_saveexec_b32 s1, s2
	s_cbranch_execz .LBB543_9
; %bb.8:
	v_ashrrev_i32_e32 v5, 31, v4
	s_delay_alu instid0(VALU_DEP_1) | instskip(NEXT) | instid1(VALU_DEP_1)
	v_lshlrev_b64 v[4:5], 3, v[4:5]
	v_add_co_u32 v4, vcc_lo, v8, v4
	s_delay_alu instid0(VALU_DEP_2)
	v_add_co_ci_u32_e32 v5, vcc_lo, v9, v5, vcc_lo
	global_load_b64 v[10:11], v[4:5], off
	s_waitcnt vmcnt(0)
	v_add_f64 v[2:3], v[2:3], v[10:11]
	global_store_b64 v[4:5], v[2:3], off
.LBB543_9:
	s_or_b32 exec_lo, exec_lo, s1
	v_cmp_le_i32_e32 vcc_lo, v7, v6
	s_and_b32 s0, vcc_lo, s0
	s_delay_alu instid0(SALU_CYCLE_1)
	s_and_saveexec_b32 s1, s0
	s_cbranch_execz .LBB543_11
; %bb.10:
	v_ashrrev_i32_e32 v7, 31, v6
	s_delay_alu instid0(VALU_DEP_1) | instskip(NEXT) | instid1(VALU_DEP_1)
	v_lshlrev_b64 v[2:3], 3, v[6:7]
	v_add_co_u32 v2, vcc_lo, v8, v2
	s_delay_alu instid0(VALU_DEP_2)
	v_add_co_ci_u32_e32 v3, vcc_lo, v9, v3, vcc_lo
	global_load_b64 v[4:5], v[2:3], off
	s_waitcnt vmcnt(0)
	v_add_f64 v[0:1], v[0:1], v[4:5]
	global_store_b64 v[2:3], v[0:1], off
.LBB543_11:
	s_nop 0
	s_sendmsg sendmsg(MSG_DEALLOC_VGPRS)
	s_endpgm
	.section	.rodata,"a",@progbits
	.p2align	6, 0x0
	.amdhsa_kernel _ZL37rocblas_syrkx_herkx_restricted_kernelIidLi16ELi32ELi8ELi1ELi1ELb0ELc78ELc76EKPKdKPdEviT_PT9_S5_lS7_S5_lPT10_S5_li
		.amdhsa_group_segment_fixed_size 4096
		.amdhsa_private_segment_fixed_size 0
		.amdhsa_kernarg_size 84
		.amdhsa_user_sgpr_count 13
		.amdhsa_user_sgpr_dispatch_ptr 0
		.amdhsa_user_sgpr_queue_ptr 0
		.amdhsa_user_sgpr_kernarg_segment_ptr 1
		.amdhsa_user_sgpr_dispatch_id 0
		.amdhsa_user_sgpr_private_segment_size 0
		.amdhsa_wavefront_size32 1
		.amdhsa_uses_dynamic_stack 0
		.amdhsa_enable_private_segment 0
		.amdhsa_system_sgpr_workgroup_id_x 1
		.amdhsa_system_sgpr_workgroup_id_y 1
		.amdhsa_system_sgpr_workgroup_id_z 1
		.amdhsa_system_sgpr_workgroup_info 0
		.amdhsa_system_vgpr_workitem_id 1
		.amdhsa_next_free_vgpr 38
		.amdhsa_next_free_sgpr 20
		.amdhsa_reserve_vcc 1
		.amdhsa_float_round_mode_32 0
		.amdhsa_float_round_mode_16_64 0
		.amdhsa_float_denorm_mode_32 3
		.amdhsa_float_denorm_mode_16_64 3
		.amdhsa_dx10_clamp 1
		.amdhsa_ieee_mode 1
		.amdhsa_fp16_overflow 0
		.amdhsa_workgroup_processor_mode 1
		.amdhsa_memory_ordered 1
		.amdhsa_forward_progress 0
		.amdhsa_shared_vgpr_count 0
		.amdhsa_exception_fp_ieee_invalid_op 0
		.amdhsa_exception_fp_denorm_src 0
		.amdhsa_exception_fp_ieee_div_zero 0
		.amdhsa_exception_fp_ieee_overflow 0
		.amdhsa_exception_fp_ieee_underflow 0
		.amdhsa_exception_fp_ieee_inexact 0
		.amdhsa_exception_int_div_zero 0
	.end_amdhsa_kernel
	.section	.text._ZL37rocblas_syrkx_herkx_restricted_kernelIidLi16ELi32ELi8ELi1ELi1ELb0ELc78ELc76EKPKdKPdEviT_PT9_S5_lS7_S5_lPT10_S5_li,"axG",@progbits,_ZL37rocblas_syrkx_herkx_restricted_kernelIidLi16ELi32ELi8ELi1ELi1ELb0ELc78ELc76EKPKdKPdEviT_PT9_S5_lS7_S5_lPT10_S5_li,comdat
.Lfunc_end543:
	.size	_ZL37rocblas_syrkx_herkx_restricted_kernelIidLi16ELi32ELi8ELi1ELi1ELb0ELc78ELc76EKPKdKPdEviT_PT9_S5_lS7_S5_lPT10_S5_li, .Lfunc_end543-_ZL37rocblas_syrkx_herkx_restricted_kernelIidLi16ELi32ELi8ELi1ELi1ELb0ELc78ELc76EKPKdKPdEviT_PT9_S5_lS7_S5_lPT10_S5_li
                                        ; -- End function
	.section	.AMDGPU.csdata,"",@progbits
; Kernel info:
; codeLenInByte = 1420
; NumSgprs: 22
; NumVgprs: 38
; ScratchSize: 0
; MemoryBound: 0
; FloatMode: 240
; IeeeMode: 1
; LDSByteSize: 4096 bytes/workgroup (compile time only)
; SGPRBlocks: 2
; VGPRBlocks: 4
; NumSGPRsForWavesPerEU: 22
; NumVGPRsForWavesPerEU: 38
; Occupancy: 16
; WaveLimiterHint : 1
; COMPUTE_PGM_RSRC2:SCRATCH_EN: 0
; COMPUTE_PGM_RSRC2:USER_SGPR: 13
; COMPUTE_PGM_RSRC2:TRAP_HANDLER: 0
; COMPUTE_PGM_RSRC2:TGID_X_EN: 1
; COMPUTE_PGM_RSRC2:TGID_Y_EN: 1
; COMPUTE_PGM_RSRC2:TGID_Z_EN: 1
; COMPUTE_PGM_RSRC2:TIDIG_COMP_CNT: 1
	.section	.text._ZL37rocblas_syrkx_herkx_restricted_kernelIidLi16ELi32ELi8ELi1ELi1ELb0ELc84ELc85EKPKdKPdEviT_PT9_S5_lS7_S5_lPT10_S5_li,"axG",@progbits,_ZL37rocblas_syrkx_herkx_restricted_kernelIidLi16ELi32ELi8ELi1ELi1ELb0ELc84ELc85EKPKdKPdEviT_PT9_S5_lS7_S5_lPT10_S5_li,comdat
	.globl	_ZL37rocblas_syrkx_herkx_restricted_kernelIidLi16ELi32ELi8ELi1ELi1ELb0ELc84ELc85EKPKdKPdEviT_PT9_S5_lS7_S5_lPT10_S5_li ; -- Begin function _ZL37rocblas_syrkx_herkx_restricted_kernelIidLi16ELi32ELi8ELi1ELi1ELb0ELc84ELc85EKPKdKPdEviT_PT9_S5_lS7_S5_lPT10_S5_li
	.p2align	8
	.type	_ZL37rocblas_syrkx_herkx_restricted_kernelIidLi16ELi32ELi8ELi1ELi1ELb0ELc84ELc85EKPKdKPdEviT_PT9_S5_lS7_S5_lPT10_S5_li,@function
_ZL37rocblas_syrkx_herkx_restricted_kernelIidLi16ELi32ELi8ELi1ELi1ELb0ELc84ELc85EKPKdKPdEviT_PT9_S5_lS7_S5_lPT10_S5_li: ; @_ZL37rocblas_syrkx_herkx_restricted_kernelIidLi16ELi32ELi8ELi1ELi1ELb0ELc84ELc85EKPKdKPdEviT_PT9_S5_lS7_S5_lPT10_S5_li
; %bb.0:
	s_clause 0x1
	s_load_b64 s[4:5], s[0:1], 0x38
	s_load_b64 s[2:3], s[0:1], 0x0
	s_mov_b32 s6, s15
	s_mov_b32 s7, 0
	v_mov_b32_e32 v10, 0
	s_lshl_b64 s[8:9], s[6:7], 3
	v_dual_mov_b32 v11, 0 :: v_dual_and_b32 v12, 0x3ff, v0
	v_bfe_u32 v13, v0, 10, 10
	s_delay_alu instid0(VALU_DEP_3) | instskip(NEXT) | instid1(VALU_DEP_3)
	v_mov_b32_e32 v8, v10
	v_dual_mov_b32 v2, v10 :: v_dual_mov_b32 v3, v11
	v_dual_mov_b32 v9, v11 :: v_dual_mov_b32 v0, v10
	v_mov_b32_e32 v1, v11
	s_waitcnt lgkmcnt(0)
	s_add_u32 s4, s4, s8
	s_addc_u32 s5, s5, s9
	s_lshl_b32 s6, s13, 5
	s_load_b64 s[4:5], s[4:5], 0x0
	s_lshl_b32 s10, s14, 5
	s_cmp_lt_i32 s3, 1
	s_cbranch_scc1 .LBB544_3
; %bb.1:
	s_clause 0x3
	s_load_b64 s[12:13], s[0:1], 0x8
	s_load_b64 s[14:15], s[0:1], 0x20
	s_load_b32 s11, s[0:1], 0x10
	s_load_b32 s16, s[0:1], 0x28
	v_lshl_add_u32 v4, v13, 4, v12
	v_dual_mov_b32 v3, 0 :: v_dual_and_b32 v2, 7, v12
	v_mov_b32_e32 v0, 0
	v_dual_mov_b32 v1, 0 :: v_dual_lshlrev_b32 v14, 3, v12
	s_delay_alu instid0(VALU_DEP_4)
	v_and_b32_e32 v9, 31, v4
	v_lshrrev_b32_e32 v8, 3, v4
	v_lshrrev_b32_e32 v4, 5, v4
	v_mov_b32_e32 v5, v3
	v_lshl_add_u32 v15, v13, 6, 0x800
	v_add_nc_u32_e32 v10, s6, v9
	v_add_nc_u32_e32 v16, s10, v8
	s_waitcnt lgkmcnt(0)
	s_add_u32 s12, s12, s8
	s_addc_u32 s13, s13, s9
	s_add_u32 s8, s14, s8
	s_load_b64 s[12:13], s[12:13], 0x0
	s_addc_u32 s9, s15, s9
	v_mad_i64_i32 v[6:7], null, s11, v10, v[4:5]
	s_load_b64 s[8:9], s[8:9], 0x0
	v_lshlrev_b32_e32 v5, 3, v2
	v_mad_i64_i32 v[10:11], null, s16, v16, v[2:3]
	v_dual_mov_b32 v3, v1 :: v_dual_mov_b32 v2, v0
	s_delay_alu instid0(VALU_DEP_3) | instskip(SKIP_3) | instid1(VALU_DEP_4)
	v_lshl_or_b32 v17, v8, 6, v5
	v_lshlrev_b64 v[5:6], 3, v[6:7]
	v_dual_mov_b32 v9, v1 :: v_dual_lshlrev_b32 v16, 3, v9
	v_lshlrev_b64 v[10:11], 3, v[10:11]
	v_dual_mov_b32 v8, v0 :: v_dual_add_nc_u32 v17, 0x800, v17
	s_delay_alu instid0(VALU_DEP_3)
	v_lshl_or_b32 v16, v4, 8, v16
	s_waitcnt lgkmcnt(0)
	v_add_co_u32 v4, vcc_lo, s12, v5
	v_add_co_ci_u32_e32 v5, vcc_lo, s13, v6, vcc_lo
	v_add_co_u32 v6, vcc_lo, s8, v10
	v_add_co_ci_u32_e32 v7, vcc_lo, s9, v11, vcc_lo
	v_dual_mov_b32 v11, v1 :: v_dual_mov_b32 v10, v0
.LBB544_2:                              ; =>This Inner Loop Header: Depth=1
	global_load_b64 v[18:19], v[4:5], off
	global_load_b64 v[20:21], v[6:7], off
	v_add_co_u32 v4, vcc_lo, v4, 64
	v_add_co_ci_u32_e32 v5, vcc_lo, 0, v5, vcc_lo
	v_add_co_u32 v6, vcc_lo, v6, 64
	v_add_co_ci_u32_e32 v7, vcc_lo, 0, v7, vcc_lo
	s_add_i32 s7, s7, 8
	s_waitcnt vmcnt(1)
	ds_store_b64 v16, v[18:19]
	s_waitcnt vmcnt(0)
	ds_store_b64 v17, v[20:21]
	s_waitcnt lgkmcnt(0)
	s_barrier
	buffer_gl0_inv
	ds_load_2addr_b64 v[18:21], v14 offset1:16
	ds_load_b128 v[22:25], v15
	ds_load_b128 v[26:29], v15 offset:1024
	ds_load_b128 v[30:33], v15 offset:16
	;; [unrolled: 1-line block ×3, first 2 shown]
	s_cmp_ge_i32 s7, s3
	s_waitcnt lgkmcnt(3)
	v_fma_f64 v[10:11], v[18:19], v[22:23], v[10:11]
	v_fma_f64 v[8:9], v[20:21], v[22:23], v[8:9]
	s_waitcnt lgkmcnt(2)
	v_fma_f64 v[18:19], v[18:19], v[26:27], v[2:3]
	v_fma_f64 v[20:21], v[20:21], v[26:27], v[0:1]
	ds_load_2addr_b64 v[0:3], v14 offset0:32 offset1:48
	s_waitcnt lgkmcnt(0)
	v_fma_f64 v[10:11], v[0:1], v[24:25], v[10:11]
	v_fma_f64 v[8:9], v[2:3], v[24:25], v[8:9]
	v_fma_f64 v[18:19], v[0:1], v[28:29], v[18:19]
	v_fma_f64 v[20:21], v[2:3], v[28:29], v[20:21]
	ds_load_2addr_b64 v[0:3], v14 offset0:64 offset1:80
	s_waitcnt lgkmcnt(0)
	v_fma_f64 v[10:11], v[0:1], v[30:31], v[10:11]
	v_fma_f64 v[8:9], v[2:3], v[30:31], v[8:9]
	v_fma_f64 v[18:19], v[0:1], v[34:35], v[18:19]
	v_fma_f64 v[20:21], v[2:3], v[34:35], v[20:21]
	ds_load_2addr_b64 v[0:3], v14 offset0:96 offset1:112
	s_waitcnt lgkmcnt(0)
	v_fma_f64 v[30:31], v[0:1], v[32:33], v[10:11]
	v_fma_f64 v[32:33], v[2:3], v[32:33], v[8:9]
	v_fma_f64 v[34:35], v[0:1], v[36:37], v[18:19]
	v_fma_f64 v[36:37], v[2:3], v[36:37], v[20:21]
	ds_load_2addr_b64 v[0:3], v14 offset0:128 offset1:144
	ds_load_b128 v[8:11], v15 offset:32
	ds_load_b128 v[18:21], v15 offset:1056
	ds_load_b128 v[22:25], v15 offset:48
	ds_load_b128 v[26:29], v15 offset:1072
	s_waitcnt lgkmcnt(3)
	v_fma_f64 v[30:31], v[0:1], v[8:9], v[30:31]
	v_fma_f64 v[8:9], v[2:3], v[8:9], v[32:33]
	s_waitcnt lgkmcnt(2)
	v_fma_f64 v[32:33], v[0:1], v[18:19], v[34:35]
	v_fma_f64 v[18:19], v[2:3], v[18:19], v[36:37]
	ds_load_2addr_b64 v[0:3], v14 offset0:160 offset1:176
	s_waitcnt lgkmcnt(0)
	v_fma_f64 v[30:31], v[0:1], v[10:11], v[30:31]
	v_fma_f64 v[8:9], v[2:3], v[10:11], v[8:9]
	;; [unrolled: 1-line block ×4, first 2 shown]
	ds_load_2addr_b64 v[0:3], v14 offset0:192 offset1:208
	s_waitcnt lgkmcnt(0)
	v_fma_f64 v[30:31], v[0:1], v[22:23], v[30:31]
	v_fma_f64 v[8:9], v[2:3], v[22:23], v[8:9]
	;; [unrolled: 1-line block ×4, first 2 shown]
	ds_load_2addr_b64 v[18:21], v14 offset0:224 offset1:240
	s_waitcnt lgkmcnt(0)
	s_barrier
	buffer_gl0_inv
	v_fma_f64 v[10:11], v[18:19], v[24:25], v[30:31]
	v_fma_f64 v[8:9], v[20:21], v[24:25], v[8:9]
	;; [unrolled: 1-line block ×4, first 2 shown]
	s_cbranch_scc0 .LBB544_2
.LBB544_3:
	s_load_b32 s3, s[0:1], 0x40
	v_add_nc_u32_e32 v13, s10, v13
	v_add_nc_u32_e32 v4, s6, v12
	s_delay_alu instid0(VALU_DEP_2) | instskip(NEXT) | instid1(VALU_DEP_2)
	v_cmp_gt_i32_e32 vcc_lo, s2, v13
	v_cmp_le_i32_e64 s0, v4, v13
	s_delay_alu instid0(VALU_DEP_1) | instskip(SKIP_2) | instid1(VALU_DEP_1)
	s_and_b32 s0, vcc_lo, s0
	s_waitcnt lgkmcnt(0)
	v_mad_i64_i32 v[5:6], null, v13, s3, 0
	v_lshlrev_b64 v[5:6], 3, v[5:6]
	s_delay_alu instid0(VALU_DEP_1) | instskip(NEXT) | instid1(VALU_DEP_1)
	v_add_co_u32 v12, s1, s4, v5
	v_add_co_ci_u32_e64 v14, s1, s5, v6, s1
	s_and_saveexec_b32 s1, s0
	s_cbranch_execz .LBB544_5
; %bb.4:
	v_ashrrev_i32_e32 v5, 31, v4
	s_delay_alu instid0(VALU_DEP_1) | instskip(NEXT) | instid1(VALU_DEP_1)
	v_lshlrev_b64 v[5:6], 3, v[4:5]
	v_add_co_u32 v5, s0, v12, v5
	s_delay_alu instid0(VALU_DEP_1)
	v_add_co_ci_u32_e64 v6, s0, v14, v6, s0
	global_load_b64 v[15:16], v[5:6], off
	s_waitcnt vmcnt(0)
	v_add_f64 v[10:11], v[10:11], v[15:16]
	global_store_b64 v[5:6], v[10:11], off
.LBB544_5:
	s_or_b32 exec_lo, exec_lo, s1
	v_add_nc_u32_e32 v6, 16, v4
	s_delay_alu instid0(VALU_DEP_1) | instskip(NEXT) | instid1(VALU_DEP_1)
	v_cmp_le_i32_e64 s0, v6, v13
	s_and_b32 s1, vcc_lo, s0
	s_delay_alu instid0(SALU_CYCLE_1)
	s_and_saveexec_b32 s0, s1
	s_cbranch_execz .LBB544_7
; %bb.6:
	v_ashrrev_i32_e32 v7, 31, v6
	s_delay_alu instid0(VALU_DEP_1) | instskip(NEXT) | instid1(VALU_DEP_1)
	v_lshlrev_b64 v[10:11], 3, v[6:7]
	v_add_co_u32 v10, vcc_lo, v12, v10
	s_delay_alu instid0(VALU_DEP_2)
	v_add_co_ci_u32_e32 v11, vcc_lo, v14, v11, vcc_lo
	global_load_b64 v[14:15], v[10:11], off
	s_waitcnt vmcnt(0)
	v_add_f64 v[7:8], v[8:9], v[14:15]
	global_store_b64 v[10:11], v[7:8], off
.LBB544_7:
	s_or_b32 exec_lo, exec_lo, s0
	v_add_nc_u32_e32 v7, 16, v13
	s_delay_alu instid0(VALU_DEP_1) | instskip(SKIP_2) | instid1(VALU_DEP_1)
	v_mad_i64_i32 v[8:9], null, v7, s3, 0
	v_cmp_gt_i32_e32 vcc_lo, s2, v7
	v_cmp_le_i32_e64 s0, v4, v7
	s_and_b32 s0, vcc_lo, s0
	s_delay_alu instid0(VALU_DEP_3) | instskip(NEXT) | instid1(VALU_DEP_1)
	v_lshlrev_b64 v[8:9], 3, v[8:9]
	v_add_co_u32 v8, s1, s4, v8
	s_delay_alu instid0(VALU_DEP_1)
	v_add_co_ci_u32_e64 v9, s1, s5, v9, s1
	s_and_saveexec_b32 s1, s0
	s_cbranch_execz .LBB544_9
; %bb.8:
	v_ashrrev_i32_e32 v5, 31, v4
	s_delay_alu instid0(VALU_DEP_1) | instskip(NEXT) | instid1(VALU_DEP_1)
	v_lshlrev_b64 v[4:5], 3, v[4:5]
	v_add_co_u32 v4, s0, v8, v4
	s_delay_alu instid0(VALU_DEP_1)
	v_add_co_ci_u32_e64 v5, s0, v9, v5, s0
	global_load_b64 v[10:11], v[4:5], off
	s_waitcnt vmcnt(0)
	v_add_f64 v[2:3], v[2:3], v[10:11]
	global_store_b64 v[4:5], v[2:3], off
.LBB544_9:
	s_or_b32 exec_lo, exec_lo, s1
	v_cmp_le_i32_e64 s0, v6, v7
	s_delay_alu instid0(VALU_DEP_1) | instskip(NEXT) | instid1(SALU_CYCLE_1)
	s_and_b32 s0, vcc_lo, s0
	s_and_saveexec_b32 s1, s0
	s_cbranch_execz .LBB544_11
; %bb.10:
	v_ashrrev_i32_e32 v7, 31, v6
	s_delay_alu instid0(VALU_DEP_1) | instskip(NEXT) | instid1(VALU_DEP_1)
	v_lshlrev_b64 v[2:3], 3, v[6:7]
	v_add_co_u32 v2, vcc_lo, v8, v2
	s_delay_alu instid0(VALU_DEP_2)
	v_add_co_ci_u32_e32 v3, vcc_lo, v9, v3, vcc_lo
	global_load_b64 v[4:5], v[2:3], off
	s_waitcnt vmcnt(0)
	v_add_f64 v[0:1], v[0:1], v[4:5]
	global_store_b64 v[2:3], v[0:1], off
.LBB544_11:
	s_nop 0
	s_sendmsg sendmsg(MSG_DEALLOC_VGPRS)
	s_endpgm
	.section	.rodata,"a",@progbits
	.p2align	6, 0x0
	.amdhsa_kernel _ZL37rocblas_syrkx_herkx_restricted_kernelIidLi16ELi32ELi8ELi1ELi1ELb0ELc84ELc85EKPKdKPdEviT_PT9_S5_lS7_S5_lPT10_S5_li
		.amdhsa_group_segment_fixed_size 4096
		.amdhsa_private_segment_fixed_size 0
		.amdhsa_kernarg_size 84
		.amdhsa_user_sgpr_count 13
		.amdhsa_user_sgpr_dispatch_ptr 0
		.amdhsa_user_sgpr_queue_ptr 0
		.amdhsa_user_sgpr_kernarg_segment_ptr 1
		.amdhsa_user_sgpr_dispatch_id 0
		.amdhsa_user_sgpr_private_segment_size 0
		.amdhsa_wavefront_size32 1
		.amdhsa_uses_dynamic_stack 0
		.amdhsa_enable_private_segment 0
		.amdhsa_system_sgpr_workgroup_id_x 1
		.amdhsa_system_sgpr_workgroup_id_y 1
		.amdhsa_system_sgpr_workgroup_id_z 1
		.amdhsa_system_sgpr_workgroup_info 0
		.amdhsa_system_vgpr_workitem_id 1
		.amdhsa_next_free_vgpr 38
		.amdhsa_next_free_sgpr 17
		.amdhsa_reserve_vcc 1
		.amdhsa_float_round_mode_32 0
		.amdhsa_float_round_mode_16_64 0
		.amdhsa_float_denorm_mode_32 3
		.amdhsa_float_denorm_mode_16_64 3
		.amdhsa_dx10_clamp 1
		.amdhsa_ieee_mode 1
		.amdhsa_fp16_overflow 0
		.amdhsa_workgroup_processor_mode 1
		.amdhsa_memory_ordered 1
		.amdhsa_forward_progress 0
		.amdhsa_shared_vgpr_count 0
		.amdhsa_exception_fp_ieee_invalid_op 0
		.amdhsa_exception_fp_denorm_src 0
		.amdhsa_exception_fp_ieee_div_zero 0
		.amdhsa_exception_fp_ieee_overflow 0
		.amdhsa_exception_fp_ieee_underflow 0
		.amdhsa_exception_fp_ieee_inexact 0
		.amdhsa_exception_int_div_zero 0
	.end_amdhsa_kernel
	.section	.text._ZL37rocblas_syrkx_herkx_restricted_kernelIidLi16ELi32ELi8ELi1ELi1ELb0ELc84ELc85EKPKdKPdEviT_PT9_S5_lS7_S5_lPT10_S5_li,"axG",@progbits,_ZL37rocblas_syrkx_herkx_restricted_kernelIidLi16ELi32ELi8ELi1ELi1ELb0ELc84ELc85EKPKdKPdEviT_PT9_S5_lS7_S5_lPT10_S5_li,comdat
.Lfunc_end544:
	.size	_ZL37rocblas_syrkx_herkx_restricted_kernelIidLi16ELi32ELi8ELi1ELi1ELb0ELc84ELc85EKPKdKPdEviT_PT9_S5_lS7_S5_lPT10_S5_li, .Lfunc_end544-_ZL37rocblas_syrkx_herkx_restricted_kernelIidLi16ELi32ELi8ELi1ELi1ELb0ELc84ELc85EKPKdKPdEviT_PT9_S5_lS7_S5_lPT10_S5_li
                                        ; -- End function
	.section	.AMDGPU.csdata,"",@progbits
; Kernel info:
; codeLenInByte = 1400
; NumSgprs: 19
; NumVgprs: 38
; ScratchSize: 0
; MemoryBound: 0
; FloatMode: 240
; IeeeMode: 1
; LDSByteSize: 4096 bytes/workgroup (compile time only)
; SGPRBlocks: 2
; VGPRBlocks: 4
; NumSGPRsForWavesPerEU: 19
; NumVGPRsForWavesPerEU: 38
; Occupancy: 16
; WaveLimiterHint : 1
; COMPUTE_PGM_RSRC2:SCRATCH_EN: 0
; COMPUTE_PGM_RSRC2:USER_SGPR: 13
; COMPUTE_PGM_RSRC2:TRAP_HANDLER: 0
; COMPUTE_PGM_RSRC2:TGID_X_EN: 1
; COMPUTE_PGM_RSRC2:TGID_Y_EN: 1
; COMPUTE_PGM_RSRC2:TGID_Z_EN: 1
; COMPUTE_PGM_RSRC2:TIDIG_COMP_CNT: 1
	.section	.text._ZL37rocblas_syrkx_herkx_restricted_kernelIidLi16ELi32ELi8ELi1ELi1ELb0ELc67ELc85EKPKdKPdEviT_PT9_S5_lS7_S5_lPT10_S5_li,"axG",@progbits,_ZL37rocblas_syrkx_herkx_restricted_kernelIidLi16ELi32ELi8ELi1ELi1ELb0ELc67ELc85EKPKdKPdEviT_PT9_S5_lS7_S5_lPT10_S5_li,comdat
	.globl	_ZL37rocblas_syrkx_herkx_restricted_kernelIidLi16ELi32ELi8ELi1ELi1ELb0ELc67ELc85EKPKdKPdEviT_PT9_S5_lS7_S5_lPT10_S5_li ; -- Begin function _ZL37rocblas_syrkx_herkx_restricted_kernelIidLi16ELi32ELi8ELi1ELi1ELb0ELc67ELc85EKPKdKPdEviT_PT9_S5_lS7_S5_lPT10_S5_li
	.p2align	8
	.type	_ZL37rocblas_syrkx_herkx_restricted_kernelIidLi16ELi32ELi8ELi1ELi1ELb0ELc67ELc85EKPKdKPdEviT_PT9_S5_lS7_S5_lPT10_S5_li,@function
_ZL37rocblas_syrkx_herkx_restricted_kernelIidLi16ELi32ELi8ELi1ELi1ELb0ELc67ELc85EKPKdKPdEviT_PT9_S5_lS7_S5_lPT10_S5_li: ; @_ZL37rocblas_syrkx_herkx_restricted_kernelIidLi16ELi32ELi8ELi1ELi1ELb0ELc67ELc85EKPKdKPdEviT_PT9_S5_lS7_S5_lPT10_S5_li
; %bb.0:
	s_clause 0x1
	s_load_b64 s[4:5], s[0:1], 0x38
	s_load_b64 s[2:3], s[0:1], 0x0
	s_mov_b32 s6, s15
	s_mov_b32 s7, 0
	v_mov_b32_e32 v10, 0
	s_lshl_b64 s[8:9], s[6:7], 3
	v_dual_mov_b32 v11, 0 :: v_dual_and_b32 v12, 0x3ff, v0
	v_bfe_u32 v13, v0, 10, 10
	s_delay_alu instid0(VALU_DEP_3) | instskip(NEXT) | instid1(VALU_DEP_3)
	v_mov_b32_e32 v8, v10
	v_dual_mov_b32 v2, v10 :: v_dual_mov_b32 v3, v11
	v_dual_mov_b32 v9, v11 :: v_dual_mov_b32 v0, v10
	v_mov_b32_e32 v1, v11
	s_waitcnt lgkmcnt(0)
	s_add_u32 s4, s4, s8
	s_addc_u32 s5, s5, s9
	s_lshl_b32 s6, s13, 5
	s_load_b64 s[4:5], s[4:5], 0x0
	s_lshl_b32 s10, s14, 5
	s_cmp_lt_i32 s3, 1
	s_cbranch_scc1 .LBB545_3
; %bb.1:
	s_clause 0x3
	s_load_b64 s[12:13], s[0:1], 0x8
	s_load_b64 s[14:15], s[0:1], 0x20
	s_load_b32 s11, s[0:1], 0x10
	s_load_b32 s16, s[0:1], 0x28
	v_lshl_add_u32 v4, v13, 4, v12
	v_dual_mov_b32 v3, 0 :: v_dual_and_b32 v2, 7, v12
	v_mov_b32_e32 v0, 0
	v_dual_mov_b32 v1, 0 :: v_dual_lshlrev_b32 v14, 3, v12
	s_delay_alu instid0(VALU_DEP_4)
	v_and_b32_e32 v9, 31, v4
	v_lshrrev_b32_e32 v8, 3, v4
	v_lshrrev_b32_e32 v4, 5, v4
	v_mov_b32_e32 v5, v3
	v_lshl_add_u32 v15, v13, 6, 0x800
	v_add_nc_u32_e32 v10, s6, v9
	v_add_nc_u32_e32 v16, s10, v8
	s_waitcnt lgkmcnt(0)
	s_add_u32 s12, s12, s8
	s_addc_u32 s13, s13, s9
	s_add_u32 s8, s14, s8
	s_load_b64 s[12:13], s[12:13], 0x0
	s_addc_u32 s9, s15, s9
	v_mad_i64_i32 v[6:7], null, s11, v10, v[4:5]
	s_load_b64 s[8:9], s[8:9], 0x0
	v_lshlrev_b32_e32 v5, 3, v2
	v_mad_i64_i32 v[10:11], null, s16, v16, v[2:3]
	v_dual_mov_b32 v3, v1 :: v_dual_mov_b32 v2, v0
	s_delay_alu instid0(VALU_DEP_3) | instskip(SKIP_3) | instid1(VALU_DEP_4)
	v_lshl_or_b32 v17, v8, 6, v5
	v_lshlrev_b64 v[5:6], 3, v[6:7]
	v_dual_mov_b32 v9, v1 :: v_dual_lshlrev_b32 v16, 3, v9
	v_lshlrev_b64 v[10:11], 3, v[10:11]
	v_dual_mov_b32 v8, v0 :: v_dual_add_nc_u32 v17, 0x800, v17
	s_delay_alu instid0(VALU_DEP_3)
	v_lshl_or_b32 v16, v4, 8, v16
	s_waitcnt lgkmcnt(0)
	v_add_co_u32 v4, vcc_lo, s12, v5
	v_add_co_ci_u32_e32 v5, vcc_lo, s13, v6, vcc_lo
	v_add_co_u32 v6, vcc_lo, s8, v10
	v_add_co_ci_u32_e32 v7, vcc_lo, s9, v11, vcc_lo
	v_dual_mov_b32 v11, v1 :: v_dual_mov_b32 v10, v0
.LBB545_2:                              ; =>This Inner Loop Header: Depth=1
	global_load_b64 v[18:19], v[4:5], off
	global_load_b64 v[20:21], v[6:7], off
	v_add_co_u32 v4, vcc_lo, v4, 64
	v_add_co_ci_u32_e32 v5, vcc_lo, 0, v5, vcc_lo
	v_add_co_u32 v6, vcc_lo, v6, 64
	v_add_co_ci_u32_e32 v7, vcc_lo, 0, v7, vcc_lo
	s_add_i32 s7, s7, 8
	s_waitcnt vmcnt(1)
	ds_store_b64 v16, v[18:19]
	s_waitcnt vmcnt(0)
	ds_store_b64 v17, v[20:21]
	s_waitcnt lgkmcnt(0)
	s_barrier
	buffer_gl0_inv
	ds_load_2addr_b64 v[18:21], v14 offset1:16
	ds_load_b128 v[22:25], v15
	ds_load_b128 v[26:29], v15 offset:1024
	ds_load_b128 v[30:33], v15 offset:16
	;; [unrolled: 1-line block ×3, first 2 shown]
	s_cmp_ge_i32 s7, s3
	s_waitcnt lgkmcnt(3)
	v_fma_f64 v[10:11], v[18:19], v[22:23], v[10:11]
	v_fma_f64 v[8:9], v[20:21], v[22:23], v[8:9]
	s_waitcnt lgkmcnt(2)
	v_fma_f64 v[18:19], v[18:19], v[26:27], v[2:3]
	v_fma_f64 v[20:21], v[20:21], v[26:27], v[0:1]
	ds_load_2addr_b64 v[0:3], v14 offset0:32 offset1:48
	s_waitcnt lgkmcnt(0)
	v_fma_f64 v[10:11], v[0:1], v[24:25], v[10:11]
	v_fma_f64 v[8:9], v[2:3], v[24:25], v[8:9]
	v_fma_f64 v[18:19], v[0:1], v[28:29], v[18:19]
	v_fma_f64 v[20:21], v[2:3], v[28:29], v[20:21]
	ds_load_2addr_b64 v[0:3], v14 offset0:64 offset1:80
	s_waitcnt lgkmcnt(0)
	v_fma_f64 v[10:11], v[0:1], v[30:31], v[10:11]
	v_fma_f64 v[8:9], v[2:3], v[30:31], v[8:9]
	;; [unrolled: 6-line block ×3, first 2 shown]
	v_fma_f64 v[34:35], v[0:1], v[36:37], v[18:19]
	v_fma_f64 v[36:37], v[2:3], v[36:37], v[20:21]
	ds_load_2addr_b64 v[0:3], v14 offset0:128 offset1:144
	ds_load_b128 v[8:11], v15 offset:32
	ds_load_b128 v[18:21], v15 offset:1056
	;; [unrolled: 1-line block ×4, first 2 shown]
	s_waitcnt lgkmcnt(3)
	v_fma_f64 v[30:31], v[0:1], v[8:9], v[30:31]
	v_fma_f64 v[8:9], v[2:3], v[8:9], v[32:33]
	s_waitcnt lgkmcnt(2)
	v_fma_f64 v[32:33], v[0:1], v[18:19], v[34:35]
	v_fma_f64 v[18:19], v[2:3], v[18:19], v[36:37]
	ds_load_2addr_b64 v[0:3], v14 offset0:160 offset1:176
	s_waitcnt lgkmcnt(0)
	v_fma_f64 v[30:31], v[0:1], v[10:11], v[30:31]
	v_fma_f64 v[8:9], v[2:3], v[10:11], v[8:9]
	;; [unrolled: 1-line block ×4, first 2 shown]
	ds_load_2addr_b64 v[0:3], v14 offset0:192 offset1:208
	s_waitcnt lgkmcnt(0)
	v_fma_f64 v[30:31], v[0:1], v[22:23], v[30:31]
	v_fma_f64 v[8:9], v[2:3], v[22:23], v[8:9]
	;; [unrolled: 1-line block ×4, first 2 shown]
	ds_load_2addr_b64 v[18:21], v14 offset0:224 offset1:240
	s_waitcnt lgkmcnt(0)
	s_barrier
	buffer_gl0_inv
	v_fma_f64 v[10:11], v[18:19], v[24:25], v[30:31]
	v_fma_f64 v[8:9], v[20:21], v[24:25], v[8:9]
	;; [unrolled: 1-line block ×4, first 2 shown]
	s_cbranch_scc0 .LBB545_2
.LBB545_3:
	s_load_b32 s3, s[0:1], 0x40
	v_add_nc_u32_e32 v13, s10, v13
	v_add_nc_u32_e32 v4, s6, v12
	s_delay_alu instid0(VALU_DEP_2) | instskip(NEXT) | instid1(VALU_DEP_2)
	v_cmp_gt_i32_e32 vcc_lo, s2, v13
	v_cmp_le_i32_e64 s0, v4, v13
	s_delay_alu instid0(VALU_DEP_1) | instskip(SKIP_2) | instid1(VALU_DEP_1)
	s_and_b32 s0, vcc_lo, s0
	s_waitcnt lgkmcnt(0)
	v_mad_i64_i32 v[5:6], null, v13, s3, 0
	v_lshlrev_b64 v[5:6], 3, v[5:6]
	s_delay_alu instid0(VALU_DEP_1) | instskip(NEXT) | instid1(VALU_DEP_1)
	v_add_co_u32 v12, s1, s4, v5
	v_add_co_ci_u32_e64 v14, s1, s5, v6, s1
	s_and_saveexec_b32 s1, s0
	s_cbranch_execz .LBB545_5
; %bb.4:
	v_ashrrev_i32_e32 v5, 31, v4
	s_delay_alu instid0(VALU_DEP_1) | instskip(NEXT) | instid1(VALU_DEP_1)
	v_lshlrev_b64 v[5:6], 3, v[4:5]
	v_add_co_u32 v5, s0, v12, v5
	s_delay_alu instid0(VALU_DEP_1)
	v_add_co_ci_u32_e64 v6, s0, v14, v6, s0
	global_load_b64 v[15:16], v[5:6], off
	s_waitcnt vmcnt(0)
	v_add_f64 v[10:11], v[10:11], v[15:16]
	global_store_b64 v[5:6], v[10:11], off
.LBB545_5:
	s_or_b32 exec_lo, exec_lo, s1
	v_add_nc_u32_e32 v6, 16, v4
	s_delay_alu instid0(VALU_DEP_1) | instskip(NEXT) | instid1(VALU_DEP_1)
	v_cmp_le_i32_e64 s0, v6, v13
	s_and_b32 s1, vcc_lo, s0
	s_delay_alu instid0(SALU_CYCLE_1)
	s_and_saveexec_b32 s0, s1
	s_cbranch_execz .LBB545_7
; %bb.6:
	v_ashrrev_i32_e32 v7, 31, v6
	s_delay_alu instid0(VALU_DEP_1) | instskip(NEXT) | instid1(VALU_DEP_1)
	v_lshlrev_b64 v[10:11], 3, v[6:7]
	v_add_co_u32 v10, vcc_lo, v12, v10
	s_delay_alu instid0(VALU_DEP_2)
	v_add_co_ci_u32_e32 v11, vcc_lo, v14, v11, vcc_lo
	global_load_b64 v[14:15], v[10:11], off
	s_waitcnt vmcnt(0)
	v_add_f64 v[7:8], v[8:9], v[14:15]
	global_store_b64 v[10:11], v[7:8], off
.LBB545_7:
	s_or_b32 exec_lo, exec_lo, s0
	v_add_nc_u32_e32 v7, 16, v13
	s_delay_alu instid0(VALU_DEP_1) | instskip(SKIP_2) | instid1(VALU_DEP_1)
	v_mad_i64_i32 v[8:9], null, v7, s3, 0
	v_cmp_gt_i32_e32 vcc_lo, s2, v7
	v_cmp_le_i32_e64 s0, v4, v7
	s_and_b32 s0, vcc_lo, s0
	s_delay_alu instid0(VALU_DEP_3) | instskip(NEXT) | instid1(VALU_DEP_1)
	v_lshlrev_b64 v[8:9], 3, v[8:9]
	v_add_co_u32 v8, s1, s4, v8
	s_delay_alu instid0(VALU_DEP_1)
	v_add_co_ci_u32_e64 v9, s1, s5, v9, s1
	s_and_saveexec_b32 s1, s0
	s_cbranch_execz .LBB545_9
; %bb.8:
	v_ashrrev_i32_e32 v5, 31, v4
	s_delay_alu instid0(VALU_DEP_1) | instskip(NEXT) | instid1(VALU_DEP_1)
	v_lshlrev_b64 v[4:5], 3, v[4:5]
	v_add_co_u32 v4, s0, v8, v4
	s_delay_alu instid0(VALU_DEP_1)
	v_add_co_ci_u32_e64 v5, s0, v9, v5, s0
	global_load_b64 v[10:11], v[4:5], off
	s_waitcnt vmcnt(0)
	v_add_f64 v[2:3], v[2:3], v[10:11]
	global_store_b64 v[4:5], v[2:3], off
.LBB545_9:
	s_or_b32 exec_lo, exec_lo, s1
	v_cmp_le_i32_e64 s0, v6, v7
	s_delay_alu instid0(VALU_DEP_1) | instskip(NEXT) | instid1(SALU_CYCLE_1)
	s_and_b32 s0, vcc_lo, s0
	s_and_saveexec_b32 s1, s0
	s_cbranch_execz .LBB545_11
; %bb.10:
	v_ashrrev_i32_e32 v7, 31, v6
	s_delay_alu instid0(VALU_DEP_1) | instskip(NEXT) | instid1(VALU_DEP_1)
	v_lshlrev_b64 v[2:3], 3, v[6:7]
	v_add_co_u32 v2, vcc_lo, v8, v2
	s_delay_alu instid0(VALU_DEP_2)
	v_add_co_ci_u32_e32 v3, vcc_lo, v9, v3, vcc_lo
	global_load_b64 v[4:5], v[2:3], off
	s_waitcnt vmcnt(0)
	v_add_f64 v[0:1], v[0:1], v[4:5]
	global_store_b64 v[2:3], v[0:1], off
.LBB545_11:
	s_nop 0
	s_sendmsg sendmsg(MSG_DEALLOC_VGPRS)
	s_endpgm
	.section	.rodata,"a",@progbits
	.p2align	6, 0x0
	.amdhsa_kernel _ZL37rocblas_syrkx_herkx_restricted_kernelIidLi16ELi32ELi8ELi1ELi1ELb0ELc67ELc85EKPKdKPdEviT_PT9_S5_lS7_S5_lPT10_S5_li
		.amdhsa_group_segment_fixed_size 4096
		.amdhsa_private_segment_fixed_size 0
		.amdhsa_kernarg_size 84
		.amdhsa_user_sgpr_count 13
		.amdhsa_user_sgpr_dispatch_ptr 0
		.amdhsa_user_sgpr_queue_ptr 0
		.amdhsa_user_sgpr_kernarg_segment_ptr 1
		.amdhsa_user_sgpr_dispatch_id 0
		.amdhsa_user_sgpr_private_segment_size 0
		.amdhsa_wavefront_size32 1
		.amdhsa_uses_dynamic_stack 0
		.amdhsa_enable_private_segment 0
		.amdhsa_system_sgpr_workgroup_id_x 1
		.amdhsa_system_sgpr_workgroup_id_y 1
		.amdhsa_system_sgpr_workgroup_id_z 1
		.amdhsa_system_sgpr_workgroup_info 0
		.amdhsa_system_vgpr_workitem_id 1
		.amdhsa_next_free_vgpr 38
		.amdhsa_next_free_sgpr 17
		.amdhsa_reserve_vcc 1
		.amdhsa_float_round_mode_32 0
		.amdhsa_float_round_mode_16_64 0
		.amdhsa_float_denorm_mode_32 3
		.amdhsa_float_denorm_mode_16_64 3
		.amdhsa_dx10_clamp 1
		.amdhsa_ieee_mode 1
		.amdhsa_fp16_overflow 0
		.amdhsa_workgroup_processor_mode 1
		.amdhsa_memory_ordered 1
		.amdhsa_forward_progress 0
		.amdhsa_shared_vgpr_count 0
		.amdhsa_exception_fp_ieee_invalid_op 0
		.amdhsa_exception_fp_denorm_src 0
		.amdhsa_exception_fp_ieee_div_zero 0
		.amdhsa_exception_fp_ieee_overflow 0
		.amdhsa_exception_fp_ieee_underflow 0
		.amdhsa_exception_fp_ieee_inexact 0
		.amdhsa_exception_int_div_zero 0
	.end_amdhsa_kernel
	.section	.text._ZL37rocblas_syrkx_herkx_restricted_kernelIidLi16ELi32ELi8ELi1ELi1ELb0ELc67ELc85EKPKdKPdEviT_PT9_S5_lS7_S5_lPT10_S5_li,"axG",@progbits,_ZL37rocblas_syrkx_herkx_restricted_kernelIidLi16ELi32ELi8ELi1ELi1ELb0ELc67ELc85EKPKdKPdEviT_PT9_S5_lS7_S5_lPT10_S5_li,comdat
.Lfunc_end545:
	.size	_ZL37rocblas_syrkx_herkx_restricted_kernelIidLi16ELi32ELi8ELi1ELi1ELb0ELc67ELc85EKPKdKPdEviT_PT9_S5_lS7_S5_lPT10_S5_li, .Lfunc_end545-_ZL37rocblas_syrkx_herkx_restricted_kernelIidLi16ELi32ELi8ELi1ELi1ELb0ELc67ELc85EKPKdKPdEviT_PT9_S5_lS7_S5_lPT10_S5_li
                                        ; -- End function
	.section	.AMDGPU.csdata,"",@progbits
; Kernel info:
; codeLenInByte = 1400
; NumSgprs: 19
; NumVgprs: 38
; ScratchSize: 0
; MemoryBound: 0
; FloatMode: 240
; IeeeMode: 1
; LDSByteSize: 4096 bytes/workgroup (compile time only)
; SGPRBlocks: 2
; VGPRBlocks: 4
; NumSGPRsForWavesPerEU: 19
; NumVGPRsForWavesPerEU: 38
; Occupancy: 16
; WaveLimiterHint : 1
; COMPUTE_PGM_RSRC2:SCRATCH_EN: 0
; COMPUTE_PGM_RSRC2:USER_SGPR: 13
; COMPUTE_PGM_RSRC2:TRAP_HANDLER: 0
; COMPUTE_PGM_RSRC2:TGID_X_EN: 1
; COMPUTE_PGM_RSRC2:TGID_Y_EN: 1
; COMPUTE_PGM_RSRC2:TGID_Z_EN: 1
; COMPUTE_PGM_RSRC2:TIDIG_COMP_CNT: 1
	.section	.text._ZL37rocblas_syrkx_herkx_restricted_kernelIidLi16ELi32ELi8ELi1ELi1ELb0ELc78ELc85EKPKdKPdEviT_PT9_S5_lS7_S5_lPT10_S5_li,"axG",@progbits,_ZL37rocblas_syrkx_herkx_restricted_kernelIidLi16ELi32ELi8ELi1ELi1ELb0ELc78ELc85EKPKdKPdEviT_PT9_S5_lS7_S5_lPT10_S5_li,comdat
	.globl	_ZL37rocblas_syrkx_herkx_restricted_kernelIidLi16ELi32ELi8ELi1ELi1ELb0ELc78ELc85EKPKdKPdEviT_PT9_S5_lS7_S5_lPT10_S5_li ; -- Begin function _ZL37rocblas_syrkx_herkx_restricted_kernelIidLi16ELi32ELi8ELi1ELi1ELb0ELc78ELc85EKPKdKPdEviT_PT9_S5_lS7_S5_lPT10_S5_li
	.p2align	8
	.type	_ZL37rocblas_syrkx_herkx_restricted_kernelIidLi16ELi32ELi8ELi1ELi1ELb0ELc78ELc85EKPKdKPdEviT_PT9_S5_lS7_S5_lPT10_S5_li,@function
_ZL37rocblas_syrkx_herkx_restricted_kernelIidLi16ELi32ELi8ELi1ELi1ELb0ELc78ELc85EKPKdKPdEviT_PT9_S5_lS7_S5_lPT10_S5_li: ; @_ZL37rocblas_syrkx_herkx_restricted_kernelIidLi16ELi32ELi8ELi1ELi1ELb0ELc78ELc85EKPKdKPdEviT_PT9_S5_lS7_S5_lPT10_S5_li
; %bb.0:
	s_clause 0x1
	s_load_b64 s[4:5], s[0:1], 0x38
	s_load_b64 s[2:3], s[0:1], 0x0
	s_mov_b32 s6, s15
	s_mov_b32 s7, 0
	v_mov_b32_e32 v10, 0
	s_lshl_b64 s[8:9], s[6:7], 3
	v_dual_mov_b32 v11, 0 :: v_dual_and_b32 v12, 0x3ff, v0
	v_bfe_u32 v13, v0, 10, 10
	s_delay_alu instid0(VALU_DEP_3) | instskip(NEXT) | instid1(VALU_DEP_3)
	v_mov_b32_e32 v8, v10
	v_dual_mov_b32 v2, v10 :: v_dual_mov_b32 v3, v11
	v_dual_mov_b32 v9, v11 :: v_dual_mov_b32 v0, v10
	v_mov_b32_e32 v1, v11
	s_waitcnt lgkmcnt(0)
	s_add_u32 s4, s4, s8
	s_addc_u32 s5, s5, s9
	s_lshl_b32 s6, s13, 5
	s_load_b64 s[4:5], s[4:5], 0x0
	s_lshl_b32 s12, s14, 5
	s_cmp_lt_i32 s3, 1
	s_cbranch_scc1 .LBB546_3
; %bb.1:
	s_clause 0x3
	s_load_b32 s10, s[0:1], 0x10
	s_load_b32 s14, s[0:1], 0x28
	s_load_b64 s[16:17], s[0:1], 0x8
	s_load_b64 s[18:19], s[0:1], 0x20
	v_lshl_add_u32 v2, v13, 4, v12
	v_mov_b32_e32 v0, 0
	v_dual_mov_b32 v1, 0 :: v_dual_and_b32 v8, 7, v12
	v_lshlrev_b32_e32 v14, 3, v12
	s_delay_alu instid0(VALU_DEP_4)
	v_and_b32_e32 v10, 31, v2
	v_lshrrev_b32_e32 v9, 3, v2
	v_lshrrev_b32_e32 v11, 5, v2
	v_lshlrev_b32_e32 v16, 3, v8
	v_lshl_add_u32 v15, v13, 6, 0x800
	v_add_nc_u32_e32 v4, s6, v10
	v_add_nc_u32_e32 v2, s12, v9
	s_delay_alu instid0(VALU_DEP_4) | instskip(NEXT) | instid1(VALU_DEP_3)
	v_lshl_or_b32 v17, v9, 6, v16
	v_ashrrev_i32_e32 v5, 31, v4
	s_waitcnt lgkmcnt(0)
	s_ashr_i32 s11, s10, 31
	s_ashr_i32 s15, s14, 31
	s_add_u32 s16, s16, s8
	s_addc_u32 s17, s17, s9
	s_add_u32 s8, s18, s8
	s_load_b64 s[16:17], s[16:17], 0x0
	s_addc_u32 s9, s19, s9
	v_ashrrev_i32_e32 v3, 31, v2
	s_load_b64 s[8:9], s[8:9], 0x0
	v_mad_i64_i32 v[6:7], null, s10, v11, v[4:5]
	v_add_nc_u32_e32 v17, 0x800, v17
	s_delay_alu instid0(VALU_DEP_3)
	v_mad_i64_i32 v[4:5], null, s14, v8, v[2:3]
	v_dual_mov_b32 v3, v1 :: v_dual_lshlrev_b32 v10, 3, v10
	v_mov_b32_e32 v9, v1
	v_lshlrev_b64 v[6:7], 3, v[6:7]
	v_mov_b32_e32 v2, v0
	v_mov_b32_e32 v8, v0
	v_lshl_or_b32 v16, v11, 8, v10
	v_lshlrev_b64 v[10:11], 3, v[4:5]
	s_waitcnt lgkmcnt(0)
	v_add_co_u32 v4, vcc_lo, s16, v6
	v_add_co_ci_u32_e32 v5, vcc_lo, s17, v7, vcc_lo
	s_delay_alu instid0(VALU_DEP_3) | instskip(NEXT) | instid1(VALU_DEP_4)
	v_add_co_u32 v6, vcc_lo, s8, v10
	v_add_co_ci_u32_e32 v7, vcc_lo, s9, v11, vcc_lo
	v_dual_mov_b32 v11, v1 :: v_dual_mov_b32 v10, v0
	s_lshl_b64 s[8:9], s[10:11], 6
	s_lshl_b64 s[10:11], s[14:15], 6
.LBB546_2:                              ; =>This Inner Loop Header: Depth=1
	global_load_b64 v[18:19], v[4:5], off
	global_load_b64 v[20:21], v[6:7], off
	v_add_co_u32 v4, vcc_lo, v4, s8
	v_add_co_ci_u32_e32 v5, vcc_lo, s9, v5, vcc_lo
	v_add_co_u32 v6, vcc_lo, v6, s10
	v_add_co_ci_u32_e32 v7, vcc_lo, s11, v7, vcc_lo
	s_add_i32 s7, s7, 8
	s_waitcnt vmcnt(1)
	ds_store_b64 v16, v[18:19]
	s_waitcnt vmcnt(0)
	ds_store_b64 v17, v[20:21]
	s_waitcnt lgkmcnt(0)
	s_barrier
	buffer_gl0_inv
	ds_load_2addr_b64 v[18:21], v14 offset1:16
	ds_load_b128 v[22:25], v15
	ds_load_b128 v[26:29], v15 offset:1024
	ds_load_b128 v[30:33], v15 offset:16
	;; [unrolled: 1-line block ×3, first 2 shown]
	s_cmp_ge_i32 s7, s3
	s_waitcnt lgkmcnt(3)
	v_fma_f64 v[10:11], v[18:19], v[22:23], v[10:11]
	v_fma_f64 v[8:9], v[20:21], v[22:23], v[8:9]
	s_waitcnt lgkmcnt(2)
	v_fma_f64 v[18:19], v[18:19], v[26:27], v[2:3]
	v_fma_f64 v[20:21], v[20:21], v[26:27], v[0:1]
	ds_load_2addr_b64 v[0:3], v14 offset0:32 offset1:48
	s_waitcnt lgkmcnt(0)
	v_fma_f64 v[10:11], v[0:1], v[24:25], v[10:11]
	v_fma_f64 v[8:9], v[2:3], v[24:25], v[8:9]
	v_fma_f64 v[18:19], v[0:1], v[28:29], v[18:19]
	v_fma_f64 v[20:21], v[2:3], v[28:29], v[20:21]
	ds_load_2addr_b64 v[0:3], v14 offset0:64 offset1:80
	s_waitcnt lgkmcnt(0)
	v_fma_f64 v[10:11], v[0:1], v[30:31], v[10:11]
	v_fma_f64 v[8:9], v[2:3], v[30:31], v[8:9]
	;; [unrolled: 6-line block ×3, first 2 shown]
	v_fma_f64 v[34:35], v[0:1], v[36:37], v[18:19]
	v_fma_f64 v[36:37], v[2:3], v[36:37], v[20:21]
	ds_load_2addr_b64 v[0:3], v14 offset0:128 offset1:144
	ds_load_b128 v[8:11], v15 offset:32
	ds_load_b128 v[18:21], v15 offset:1056
	;; [unrolled: 1-line block ×4, first 2 shown]
	s_waitcnt lgkmcnt(3)
	v_fma_f64 v[30:31], v[0:1], v[8:9], v[30:31]
	v_fma_f64 v[8:9], v[2:3], v[8:9], v[32:33]
	s_waitcnt lgkmcnt(2)
	v_fma_f64 v[32:33], v[0:1], v[18:19], v[34:35]
	v_fma_f64 v[18:19], v[2:3], v[18:19], v[36:37]
	ds_load_2addr_b64 v[0:3], v14 offset0:160 offset1:176
	s_waitcnt lgkmcnt(0)
	v_fma_f64 v[30:31], v[0:1], v[10:11], v[30:31]
	v_fma_f64 v[8:9], v[2:3], v[10:11], v[8:9]
	v_fma_f64 v[10:11], v[0:1], v[20:21], v[32:33]
	v_fma_f64 v[18:19], v[2:3], v[20:21], v[18:19]
	ds_load_2addr_b64 v[0:3], v14 offset0:192 offset1:208
	s_waitcnt lgkmcnt(0)
	v_fma_f64 v[30:31], v[0:1], v[22:23], v[30:31]
	v_fma_f64 v[8:9], v[2:3], v[22:23], v[8:9]
	;; [unrolled: 1-line block ×4, first 2 shown]
	ds_load_2addr_b64 v[18:21], v14 offset0:224 offset1:240
	s_waitcnt lgkmcnt(0)
	s_barrier
	buffer_gl0_inv
	v_fma_f64 v[10:11], v[18:19], v[24:25], v[30:31]
	v_fma_f64 v[8:9], v[20:21], v[24:25], v[8:9]
	;; [unrolled: 1-line block ×4, first 2 shown]
	s_cbranch_scc0 .LBB546_2
.LBB546_3:
	s_load_b32 s3, s[0:1], 0x40
	v_add_nc_u32_e32 v13, s12, v13
	v_add_nc_u32_e32 v4, s6, v12
	s_delay_alu instid0(VALU_DEP_2) | instskip(NEXT) | instid1(VALU_DEP_2)
	v_cmp_gt_i32_e32 vcc_lo, s2, v13
	v_cmp_le_i32_e64 s0, v4, v13
	s_delay_alu instid0(VALU_DEP_1) | instskip(SKIP_2) | instid1(VALU_DEP_1)
	s_and_b32 s0, vcc_lo, s0
	s_waitcnt lgkmcnt(0)
	v_mad_i64_i32 v[5:6], null, v13, s3, 0
	v_lshlrev_b64 v[5:6], 3, v[5:6]
	s_delay_alu instid0(VALU_DEP_1) | instskip(NEXT) | instid1(VALU_DEP_1)
	v_add_co_u32 v12, s1, s4, v5
	v_add_co_ci_u32_e64 v14, s1, s5, v6, s1
	s_and_saveexec_b32 s1, s0
	s_cbranch_execz .LBB546_5
; %bb.4:
	v_ashrrev_i32_e32 v5, 31, v4
	s_delay_alu instid0(VALU_DEP_1) | instskip(NEXT) | instid1(VALU_DEP_1)
	v_lshlrev_b64 v[5:6], 3, v[4:5]
	v_add_co_u32 v5, s0, v12, v5
	s_delay_alu instid0(VALU_DEP_1)
	v_add_co_ci_u32_e64 v6, s0, v14, v6, s0
	global_load_b64 v[15:16], v[5:6], off
	s_waitcnt vmcnt(0)
	v_add_f64 v[10:11], v[10:11], v[15:16]
	global_store_b64 v[5:6], v[10:11], off
.LBB546_5:
	s_or_b32 exec_lo, exec_lo, s1
	v_add_nc_u32_e32 v6, 16, v4
	s_delay_alu instid0(VALU_DEP_1) | instskip(NEXT) | instid1(VALU_DEP_1)
	v_cmp_le_i32_e64 s0, v6, v13
	s_and_b32 s1, vcc_lo, s0
	s_delay_alu instid0(SALU_CYCLE_1)
	s_and_saveexec_b32 s0, s1
	s_cbranch_execz .LBB546_7
; %bb.6:
	v_ashrrev_i32_e32 v7, 31, v6
	s_delay_alu instid0(VALU_DEP_1) | instskip(NEXT) | instid1(VALU_DEP_1)
	v_lshlrev_b64 v[10:11], 3, v[6:7]
	v_add_co_u32 v10, vcc_lo, v12, v10
	s_delay_alu instid0(VALU_DEP_2)
	v_add_co_ci_u32_e32 v11, vcc_lo, v14, v11, vcc_lo
	global_load_b64 v[14:15], v[10:11], off
	s_waitcnt vmcnt(0)
	v_add_f64 v[7:8], v[8:9], v[14:15]
	global_store_b64 v[10:11], v[7:8], off
.LBB546_7:
	s_or_b32 exec_lo, exec_lo, s0
	v_add_nc_u32_e32 v7, 16, v13
	s_delay_alu instid0(VALU_DEP_1) | instskip(SKIP_2) | instid1(VALU_DEP_1)
	v_mad_i64_i32 v[8:9], null, v7, s3, 0
	v_cmp_gt_i32_e32 vcc_lo, s2, v7
	v_cmp_le_i32_e64 s0, v4, v7
	s_and_b32 s0, vcc_lo, s0
	s_delay_alu instid0(VALU_DEP_3) | instskip(NEXT) | instid1(VALU_DEP_1)
	v_lshlrev_b64 v[8:9], 3, v[8:9]
	v_add_co_u32 v8, s1, s4, v8
	s_delay_alu instid0(VALU_DEP_1)
	v_add_co_ci_u32_e64 v9, s1, s5, v9, s1
	s_and_saveexec_b32 s1, s0
	s_cbranch_execz .LBB546_9
; %bb.8:
	v_ashrrev_i32_e32 v5, 31, v4
	s_delay_alu instid0(VALU_DEP_1) | instskip(NEXT) | instid1(VALU_DEP_1)
	v_lshlrev_b64 v[4:5], 3, v[4:5]
	v_add_co_u32 v4, s0, v8, v4
	s_delay_alu instid0(VALU_DEP_1)
	v_add_co_ci_u32_e64 v5, s0, v9, v5, s0
	global_load_b64 v[10:11], v[4:5], off
	s_waitcnt vmcnt(0)
	v_add_f64 v[2:3], v[2:3], v[10:11]
	global_store_b64 v[4:5], v[2:3], off
.LBB546_9:
	s_or_b32 exec_lo, exec_lo, s1
	v_cmp_le_i32_e64 s0, v6, v7
	s_delay_alu instid0(VALU_DEP_1) | instskip(NEXT) | instid1(SALU_CYCLE_1)
	s_and_b32 s0, vcc_lo, s0
	s_and_saveexec_b32 s1, s0
	s_cbranch_execz .LBB546_11
; %bb.10:
	v_ashrrev_i32_e32 v7, 31, v6
	s_delay_alu instid0(VALU_DEP_1) | instskip(NEXT) | instid1(VALU_DEP_1)
	v_lshlrev_b64 v[2:3], 3, v[6:7]
	v_add_co_u32 v2, vcc_lo, v8, v2
	s_delay_alu instid0(VALU_DEP_2)
	v_add_co_ci_u32_e32 v3, vcc_lo, v9, v3, vcc_lo
	global_load_b64 v[4:5], v[2:3], off
	s_waitcnt vmcnt(0)
	v_add_f64 v[0:1], v[0:1], v[4:5]
	global_store_b64 v[2:3], v[0:1], off
.LBB546_11:
	s_nop 0
	s_sendmsg sendmsg(MSG_DEALLOC_VGPRS)
	s_endpgm
	.section	.rodata,"a",@progbits
	.p2align	6, 0x0
	.amdhsa_kernel _ZL37rocblas_syrkx_herkx_restricted_kernelIidLi16ELi32ELi8ELi1ELi1ELb0ELc78ELc85EKPKdKPdEviT_PT9_S5_lS7_S5_lPT10_S5_li
		.amdhsa_group_segment_fixed_size 4096
		.amdhsa_private_segment_fixed_size 0
		.amdhsa_kernarg_size 84
		.amdhsa_user_sgpr_count 13
		.amdhsa_user_sgpr_dispatch_ptr 0
		.amdhsa_user_sgpr_queue_ptr 0
		.amdhsa_user_sgpr_kernarg_segment_ptr 1
		.amdhsa_user_sgpr_dispatch_id 0
		.amdhsa_user_sgpr_private_segment_size 0
		.amdhsa_wavefront_size32 1
		.amdhsa_uses_dynamic_stack 0
		.amdhsa_enable_private_segment 0
		.amdhsa_system_sgpr_workgroup_id_x 1
		.amdhsa_system_sgpr_workgroup_id_y 1
		.amdhsa_system_sgpr_workgroup_id_z 1
		.amdhsa_system_sgpr_workgroup_info 0
		.amdhsa_system_vgpr_workitem_id 1
		.amdhsa_next_free_vgpr 38
		.amdhsa_next_free_sgpr 20
		.amdhsa_reserve_vcc 1
		.amdhsa_float_round_mode_32 0
		.amdhsa_float_round_mode_16_64 0
		.amdhsa_float_denorm_mode_32 3
		.amdhsa_float_denorm_mode_16_64 3
		.amdhsa_dx10_clamp 1
		.amdhsa_ieee_mode 1
		.amdhsa_fp16_overflow 0
		.amdhsa_workgroup_processor_mode 1
		.amdhsa_memory_ordered 1
		.amdhsa_forward_progress 0
		.amdhsa_shared_vgpr_count 0
		.amdhsa_exception_fp_ieee_invalid_op 0
		.amdhsa_exception_fp_denorm_src 0
		.amdhsa_exception_fp_ieee_div_zero 0
		.amdhsa_exception_fp_ieee_overflow 0
		.amdhsa_exception_fp_ieee_underflow 0
		.amdhsa_exception_fp_ieee_inexact 0
		.amdhsa_exception_int_div_zero 0
	.end_amdhsa_kernel
	.section	.text._ZL37rocblas_syrkx_herkx_restricted_kernelIidLi16ELi32ELi8ELi1ELi1ELb0ELc78ELc85EKPKdKPdEviT_PT9_S5_lS7_S5_lPT10_S5_li,"axG",@progbits,_ZL37rocblas_syrkx_herkx_restricted_kernelIidLi16ELi32ELi8ELi1ELi1ELb0ELc78ELc85EKPKdKPdEviT_PT9_S5_lS7_S5_lPT10_S5_li,comdat
.Lfunc_end546:
	.size	_ZL37rocblas_syrkx_herkx_restricted_kernelIidLi16ELi32ELi8ELi1ELi1ELb0ELc78ELc85EKPKdKPdEviT_PT9_S5_lS7_S5_lPT10_S5_li, .Lfunc_end546-_ZL37rocblas_syrkx_herkx_restricted_kernelIidLi16ELi32ELi8ELi1ELi1ELb0ELc78ELc85EKPKdKPdEviT_PT9_S5_lS7_S5_lPT10_S5_li
                                        ; -- End function
	.section	.AMDGPU.csdata,"",@progbits
; Kernel info:
; codeLenInByte = 1420
; NumSgprs: 22
; NumVgprs: 38
; ScratchSize: 0
; MemoryBound: 0
; FloatMode: 240
; IeeeMode: 1
; LDSByteSize: 4096 bytes/workgroup (compile time only)
; SGPRBlocks: 2
; VGPRBlocks: 4
; NumSGPRsForWavesPerEU: 22
; NumVGPRsForWavesPerEU: 38
; Occupancy: 16
; WaveLimiterHint : 1
; COMPUTE_PGM_RSRC2:SCRATCH_EN: 0
; COMPUTE_PGM_RSRC2:USER_SGPR: 13
; COMPUTE_PGM_RSRC2:TRAP_HANDLER: 0
; COMPUTE_PGM_RSRC2:TGID_X_EN: 1
; COMPUTE_PGM_RSRC2:TGID_Y_EN: 1
; COMPUTE_PGM_RSRC2:TGID_Z_EN: 1
; COMPUTE_PGM_RSRC2:TIDIG_COMP_CNT: 1
	.section	.text._ZL37rocblas_syrkx_herkx_restricted_kernelIidLi16ELi32ELi8ELi1ELin1ELb0ELc84ELc76EKPKdKPdEviT_PT9_S5_lS7_S5_lPT10_S5_li,"axG",@progbits,_ZL37rocblas_syrkx_herkx_restricted_kernelIidLi16ELi32ELi8ELi1ELin1ELb0ELc84ELc76EKPKdKPdEviT_PT9_S5_lS7_S5_lPT10_S5_li,comdat
	.globl	_ZL37rocblas_syrkx_herkx_restricted_kernelIidLi16ELi32ELi8ELi1ELin1ELb0ELc84ELc76EKPKdKPdEviT_PT9_S5_lS7_S5_lPT10_S5_li ; -- Begin function _ZL37rocblas_syrkx_herkx_restricted_kernelIidLi16ELi32ELi8ELi1ELin1ELb0ELc84ELc76EKPKdKPdEviT_PT9_S5_lS7_S5_lPT10_S5_li
	.p2align	8
	.type	_ZL37rocblas_syrkx_herkx_restricted_kernelIidLi16ELi32ELi8ELi1ELin1ELb0ELc84ELc76EKPKdKPdEviT_PT9_S5_lS7_S5_lPT10_S5_li,@function
_ZL37rocblas_syrkx_herkx_restricted_kernelIidLi16ELi32ELi8ELi1ELin1ELb0ELc84ELc76EKPKdKPdEviT_PT9_S5_lS7_S5_lPT10_S5_li: ; @_ZL37rocblas_syrkx_herkx_restricted_kernelIidLi16ELi32ELi8ELi1ELin1ELb0ELc84ELc76EKPKdKPdEviT_PT9_S5_lS7_S5_lPT10_S5_li
; %bb.0:
	s_clause 0x1
	s_load_b64 s[2:3], s[0:1], 0x38
	s_load_b64 s[4:5], s[0:1], 0x0
	s_mov_b32 s6, s15
	s_mov_b32 s7, 0
	v_mov_b32_e32 v10, 0
	s_lshl_b64 s[8:9], s[6:7], 3
	v_dual_mov_b32 v11, 0 :: v_dual_and_b32 v12, 0x3ff, v0
	v_bfe_u32 v13, v0, 10, 10
	s_delay_alu instid0(VALU_DEP_3) | instskip(NEXT) | instid1(VALU_DEP_3)
	v_mov_b32_e32 v8, v10
	v_dual_mov_b32 v2, v10 :: v_dual_mov_b32 v3, v11
	v_dual_mov_b32 v9, v11 :: v_dual_mov_b32 v0, v10
	v_mov_b32_e32 v1, v11
	s_waitcnt lgkmcnt(0)
	s_add_u32 s2, s2, s8
	s_addc_u32 s3, s3, s9
	s_lshl_b32 s6, s13, 5
	s_load_b64 s[2:3], s[2:3], 0x0
	s_lshl_b32 s10, s14, 5
	s_cmp_lt_i32 s5, 1
	s_cbranch_scc1 .LBB547_3
; %bb.1:
	s_clause 0x3
	s_load_b64 s[12:13], s[0:1], 0x8
	s_load_b64 s[14:15], s[0:1], 0x20
	s_load_b32 s11, s[0:1], 0x10
	s_load_b32 s16, s[0:1], 0x28
	v_lshl_add_u32 v4, v13, 4, v12
	v_dual_mov_b32 v3, 0 :: v_dual_and_b32 v2, 7, v12
	v_mov_b32_e32 v0, 0
	v_dual_mov_b32 v1, 0 :: v_dual_lshlrev_b32 v14, 3, v12
	s_delay_alu instid0(VALU_DEP_4)
	v_and_b32_e32 v9, 31, v4
	v_lshrrev_b32_e32 v8, 3, v4
	v_lshrrev_b32_e32 v4, 5, v4
	v_mov_b32_e32 v5, v3
	v_lshl_add_u32 v15, v13, 6, 0x800
	v_add_nc_u32_e32 v10, s6, v9
	v_add_nc_u32_e32 v16, s10, v8
	s_waitcnt lgkmcnt(0)
	s_add_u32 s12, s12, s8
	s_addc_u32 s13, s13, s9
	s_add_u32 s8, s14, s8
	s_load_b64 s[12:13], s[12:13], 0x0
	s_addc_u32 s9, s15, s9
	v_mad_i64_i32 v[6:7], null, s11, v10, v[4:5]
	s_load_b64 s[8:9], s[8:9], 0x0
	v_lshlrev_b32_e32 v5, 3, v2
	v_mad_i64_i32 v[10:11], null, s16, v16, v[2:3]
	v_dual_mov_b32 v3, v1 :: v_dual_mov_b32 v2, v0
	s_delay_alu instid0(VALU_DEP_3) | instskip(SKIP_3) | instid1(VALU_DEP_4)
	v_lshl_or_b32 v17, v8, 6, v5
	v_lshlrev_b64 v[5:6], 3, v[6:7]
	v_dual_mov_b32 v9, v1 :: v_dual_lshlrev_b32 v16, 3, v9
	v_lshlrev_b64 v[10:11], 3, v[10:11]
	v_dual_mov_b32 v8, v0 :: v_dual_add_nc_u32 v17, 0x800, v17
	s_delay_alu instid0(VALU_DEP_3)
	v_lshl_or_b32 v16, v4, 8, v16
	s_waitcnt lgkmcnt(0)
	v_add_co_u32 v4, vcc_lo, s12, v5
	v_add_co_ci_u32_e32 v5, vcc_lo, s13, v6, vcc_lo
	v_add_co_u32 v6, vcc_lo, s8, v10
	v_add_co_ci_u32_e32 v7, vcc_lo, s9, v11, vcc_lo
	v_dual_mov_b32 v11, v1 :: v_dual_mov_b32 v10, v0
.LBB547_2:                              ; =>This Inner Loop Header: Depth=1
	global_load_b64 v[18:19], v[4:5], off
	global_load_b64 v[20:21], v[6:7], off
	v_add_co_u32 v4, vcc_lo, v4, 64
	v_add_co_ci_u32_e32 v5, vcc_lo, 0, v5, vcc_lo
	v_add_co_u32 v6, vcc_lo, v6, 64
	v_add_co_ci_u32_e32 v7, vcc_lo, 0, v7, vcc_lo
	s_add_i32 s7, s7, 8
	s_waitcnt vmcnt(1)
	ds_store_b64 v16, v[18:19]
	s_waitcnt vmcnt(0)
	ds_store_b64 v17, v[20:21]
	s_waitcnt lgkmcnt(0)
	s_barrier
	buffer_gl0_inv
	ds_load_2addr_b64 v[18:21], v14 offset1:16
	ds_load_b128 v[22:25], v15
	ds_load_b128 v[26:29], v15 offset:1024
	ds_load_b128 v[30:33], v15 offset:16
	;; [unrolled: 1-line block ×3, first 2 shown]
	s_cmp_ge_i32 s7, s5
	s_waitcnt lgkmcnt(3)
	v_fma_f64 v[10:11], v[18:19], v[22:23], v[10:11]
	v_fma_f64 v[8:9], v[20:21], v[22:23], v[8:9]
	s_waitcnt lgkmcnt(2)
	v_fma_f64 v[18:19], v[18:19], v[26:27], v[2:3]
	v_fma_f64 v[20:21], v[20:21], v[26:27], v[0:1]
	ds_load_2addr_b64 v[0:3], v14 offset0:32 offset1:48
	s_waitcnt lgkmcnt(0)
	v_fma_f64 v[10:11], v[0:1], v[24:25], v[10:11]
	v_fma_f64 v[8:9], v[2:3], v[24:25], v[8:9]
	v_fma_f64 v[18:19], v[0:1], v[28:29], v[18:19]
	v_fma_f64 v[20:21], v[2:3], v[28:29], v[20:21]
	ds_load_2addr_b64 v[0:3], v14 offset0:64 offset1:80
	s_waitcnt lgkmcnt(0)
	v_fma_f64 v[10:11], v[0:1], v[30:31], v[10:11]
	v_fma_f64 v[8:9], v[2:3], v[30:31], v[8:9]
	;; [unrolled: 6-line block ×3, first 2 shown]
	v_fma_f64 v[34:35], v[0:1], v[36:37], v[18:19]
	v_fma_f64 v[36:37], v[2:3], v[36:37], v[20:21]
	ds_load_2addr_b64 v[0:3], v14 offset0:128 offset1:144
	ds_load_b128 v[8:11], v15 offset:32
	ds_load_b128 v[18:21], v15 offset:1056
	;; [unrolled: 1-line block ×4, first 2 shown]
	s_waitcnt lgkmcnt(3)
	v_fma_f64 v[30:31], v[0:1], v[8:9], v[30:31]
	v_fma_f64 v[8:9], v[2:3], v[8:9], v[32:33]
	s_waitcnt lgkmcnt(2)
	v_fma_f64 v[32:33], v[0:1], v[18:19], v[34:35]
	v_fma_f64 v[18:19], v[2:3], v[18:19], v[36:37]
	ds_load_2addr_b64 v[0:3], v14 offset0:160 offset1:176
	s_waitcnt lgkmcnt(0)
	v_fma_f64 v[30:31], v[0:1], v[10:11], v[30:31]
	v_fma_f64 v[8:9], v[2:3], v[10:11], v[8:9]
	;; [unrolled: 1-line block ×4, first 2 shown]
	ds_load_2addr_b64 v[0:3], v14 offset0:192 offset1:208
	s_waitcnt lgkmcnt(0)
	v_fma_f64 v[30:31], v[0:1], v[22:23], v[30:31]
	v_fma_f64 v[8:9], v[2:3], v[22:23], v[8:9]
	;; [unrolled: 1-line block ×4, first 2 shown]
	ds_load_2addr_b64 v[18:21], v14 offset0:224 offset1:240
	s_waitcnt lgkmcnt(0)
	s_barrier
	buffer_gl0_inv
	v_fma_f64 v[10:11], v[18:19], v[24:25], v[30:31]
	v_fma_f64 v[8:9], v[20:21], v[24:25], v[8:9]
	;; [unrolled: 1-line block ×4, first 2 shown]
	s_cbranch_scc0 .LBB547_2
.LBB547_3:
	s_load_b32 s5, s[0:1], 0x40
	v_add_nc_u32_e32 v13, s10, v13
	v_add_nc_u32_e32 v4, s6, v12
	s_delay_alu instid0(VALU_DEP_1) | instskip(SKIP_1) | instid1(VALU_DEP_2)
	v_cmp_le_i32_e64 s0, v13, v4
	v_cmp_gt_i32_e32 vcc_lo, s4, v4
	s_and_b32 s0, s0, vcc_lo
	s_waitcnt lgkmcnt(0)
	v_mad_i64_i32 v[5:6], null, v13, s5, 0
	s_delay_alu instid0(VALU_DEP_1) | instskip(NEXT) | instid1(VALU_DEP_1)
	v_lshlrev_b64 v[5:6], 3, v[5:6]
	v_add_co_u32 v12, s1, s2, v5
	s_delay_alu instid0(VALU_DEP_1)
	v_add_co_ci_u32_e64 v14, s1, s3, v6, s1
	s_and_saveexec_b32 s1, s0
	s_cbranch_execz .LBB547_5
; %bb.4:
	v_ashrrev_i32_e32 v5, 31, v4
	s_delay_alu instid0(VALU_DEP_1) | instskip(NEXT) | instid1(VALU_DEP_1)
	v_lshlrev_b64 v[5:6], 3, v[4:5]
	v_add_co_u32 v5, s0, v12, v5
	s_delay_alu instid0(VALU_DEP_1)
	v_add_co_ci_u32_e64 v6, s0, v14, v6, s0
	global_load_b64 v[15:16], v[5:6], off
	s_waitcnt vmcnt(0)
	v_add_f64 v[10:11], v[10:11], -v[15:16]
	global_store_b64 v[5:6], v[10:11], off
.LBB547_5:
	s_or_b32 exec_lo, exec_lo, s1
	v_add_nc_u32_e32 v6, 16, v4
	s_delay_alu instid0(VALU_DEP_1) | instskip(SKIP_1) | instid1(VALU_DEP_1)
	v_cmp_le_i32_e64 s1, v13, v6
	v_cmp_gt_i32_e64 s0, s4, v6
	s_and_b32 s1, s1, s0
	s_delay_alu instid0(SALU_CYCLE_1)
	s_and_saveexec_b32 s4, s1
	s_cbranch_execz .LBB547_7
; %bb.6:
	v_ashrrev_i32_e32 v7, 31, v6
	s_delay_alu instid0(VALU_DEP_1) | instskip(NEXT) | instid1(VALU_DEP_1)
	v_lshlrev_b64 v[10:11], 3, v[6:7]
	v_add_co_u32 v10, s1, v12, v10
	s_delay_alu instid0(VALU_DEP_1)
	v_add_co_ci_u32_e64 v11, s1, v14, v11, s1
	global_load_b64 v[14:15], v[10:11], off
	s_waitcnt vmcnt(0)
	v_add_f64 v[7:8], v[8:9], -v[14:15]
	global_store_b64 v[10:11], v[7:8], off
.LBB547_7:
	s_or_b32 exec_lo, exec_lo, s4
	v_add_nc_u32_e32 v7, 16, v13
	s_delay_alu instid0(VALU_DEP_1) | instskip(SKIP_1) | instid1(VALU_DEP_2)
	v_mad_i64_i32 v[8:9], null, v7, s5, 0
	v_cmp_le_i32_e64 s1, v7, v4
	v_lshlrev_b64 v[8:9], 3, v[8:9]
	s_delay_alu instid0(VALU_DEP_1) | instskip(NEXT) | instid1(VALU_DEP_1)
	v_add_co_u32 v8, s2, s2, v8
	v_add_co_ci_u32_e64 v9, s2, s3, v9, s2
	s_delay_alu instid0(VALU_DEP_4) | instskip(NEXT) | instid1(SALU_CYCLE_1)
	s_and_b32 s2, s1, vcc_lo
	s_and_saveexec_b32 s1, s2
	s_cbranch_execz .LBB547_9
; %bb.8:
	v_ashrrev_i32_e32 v5, 31, v4
	s_delay_alu instid0(VALU_DEP_1) | instskip(NEXT) | instid1(VALU_DEP_1)
	v_lshlrev_b64 v[4:5], 3, v[4:5]
	v_add_co_u32 v4, vcc_lo, v8, v4
	s_delay_alu instid0(VALU_DEP_2)
	v_add_co_ci_u32_e32 v5, vcc_lo, v9, v5, vcc_lo
	global_load_b64 v[10:11], v[4:5], off
	s_waitcnt vmcnt(0)
	v_add_f64 v[2:3], v[2:3], -v[10:11]
	global_store_b64 v[4:5], v[2:3], off
.LBB547_9:
	s_or_b32 exec_lo, exec_lo, s1
	v_cmp_le_i32_e32 vcc_lo, v7, v6
	s_and_b32 s0, vcc_lo, s0
	s_delay_alu instid0(SALU_CYCLE_1)
	s_and_saveexec_b32 s1, s0
	s_cbranch_execz .LBB547_11
; %bb.10:
	v_ashrrev_i32_e32 v7, 31, v6
	s_delay_alu instid0(VALU_DEP_1) | instskip(NEXT) | instid1(VALU_DEP_1)
	v_lshlrev_b64 v[2:3], 3, v[6:7]
	v_add_co_u32 v2, vcc_lo, v8, v2
	s_delay_alu instid0(VALU_DEP_2)
	v_add_co_ci_u32_e32 v3, vcc_lo, v9, v3, vcc_lo
	global_load_b64 v[4:5], v[2:3], off
	s_waitcnt vmcnt(0)
	v_add_f64 v[0:1], v[0:1], -v[4:5]
	global_store_b64 v[2:3], v[0:1], off
.LBB547_11:
	s_nop 0
	s_sendmsg sendmsg(MSG_DEALLOC_VGPRS)
	s_endpgm
	.section	.rodata,"a",@progbits
	.p2align	6, 0x0
	.amdhsa_kernel _ZL37rocblas_syrkx_herkx_restricted_kernelIidLi16ELi32ELi8ELi1ELin1ELb0ELc84ELc76EKPKdKPdEviT_PT9_S5_lS7_S5_lPT10_S5_li
		.amdhsa_group_segment_fixed_size 4096
		.amdhsa_private_segment_fixed_size 0
		.amdhsa_kernarg_size 84
		.amdhsa_user_sgpr_count 13
		.amdhsa_user_sgpr_dispatch_ptr 0
		.amdhsa_user_sgpr_queue_ptr 0
		.amdhsa_user_sgpr_kernarg_segment_ptr 1
		.amdhsa_user_sgpr_dispatch_id 0
		.amdhsa_user_sgpr_private_segment_size 0
		.amdhsa_wavefront_size32 1
		.amdhsa_uses_dynamic_stack 0
		.amdhsa_enable_private_segment 0
		.amdhsa_system_sgpr_workgroup_id_x 1
		.amdhsa_system_sgpr_workgroup_id_y 1
		.amdhsa_system_sgpr_workgroup_id_z 1
		.amdhsa_system_sgpr_workgroup_info 0
		.amdhsa_system_vgpr_workitem_id 1
		.amdhsa_next_free_vgpr 38
		.amdhsa_next_free_sgpr 17
		.amdhsa_reserve_vcc 1
		.amdhsa_float_round_mode_32 0
		.amdhsa_float_round_mode_16_64 0
		.amdhsa_float_denorm_mode_32 3
		.amdhsa_float_denorm_mode_16_64 3
		.amdhsa_dx10_clamp 1
		.amdhsa_ieee_mode 1
		.amdhsa_fp16_overflow 0
		.amdhsa_workgroup_processor_mode 1
		.amdhsa_memory_ordered 1
		.amdhsa_forward_progress 0
		.amdhsa_shared_vgpr_count 0
		.amdhsa_exception_fp_ieee_invalid_op 0
		.amdhsa_exception_fp_denorm_src 0
		.amdhsa_exception_fp_ieee_div_zero 0
		.amdhsa_exception_fp_ieee_overflow 0
		.amdhsa_exception_fp_ieee_underflow 0
		.amdhsa_exception_fp_ieee_inexact 0
		.amdhsa_exception_int_div_zero 0
	.end_amdhsa_kernel
	.section	.text._ZL37rocblas_syrkx_herkx_restricted_kernelIidLi16ELi32ELi8ELi1ELin1ELb0ELc84ELc76EKPKdKPdEviT_PT9_S5_lS7_S5_lPT10_S5_li,"axG",@progbits,_ZL37rocblas_syrkx_herkx_restricted_kernelIidLi16ELi32ELi8ELi1ELin1ELb0ELc84ELc76EKPKdKPdEviT_PT9_S5_lS7_S5_lPT10_S5_li,comdat
.Lfunc_end547:
	.size	_ZL37rocblas_syrkx_herkx_restricted_kernelIidLi16ELi32ELi8ELi1ELin1ELb0ELc84ELc76EKPKdKPdEviT_PT9_S5_lS7_S5_lPT10_S5_li, .Lfunc_end547-_ZL37rocblas_syrkx_herkx_restricted_kernelIidLi16ELi32ELi8ELi1ELin1ELb0ELc84ELc76EKPKdKPdEviT_PT9_S5_lS7_S5_lPT10_S5_li
                                        ; -- End function
	.section	.AMDGPU.csdata,"",@progbits
; Kernel info:
; codeLenInByte = 1400
; NumSgprs: 19
; NumVgprs: 38
; ScratchSize: 0
; MemoryBound: 0
; FloatMode: 240
; IeeeMode: 1
; LDSByteSize: 4096 bytes/workgroup (compile time only)
; SGPRBlocks: 2
; VGPRBlocks: 4
; NumSGPRsForWavesPerEU: 19
; NumVGPRsForWavesPerEU: 38
; Occupancy: 16
; WaveLimiterHint : 1
; COMPUTE_PGM_RSRC2:SCRATCH_EN: 0
; COMPUTE_PGM_RSRC2:USER_SGPR: 13
; COMPUTE_PGM_RSRC2:TRAP_HANDLER: 0
; COMPUTE_PGM_RSRC2:TGID_X_EN: 1
; COMPUTE_PGM_RSRC2:TGID_Y_EN: 1
; COMPUTE_PGM_RSRC2:TGID_Z_EN: 1
; COMPUTE_PGM_RSRC2:TIDIG_COMP_CNT: 1
	.section	.text._ZL37rocblas_syrkx_herkx_restricted_kernelIidLi16ELi32ELi8ELi1ELin1ELb0ELc67ELc76EKPKdKPdEviT_PT9_S5_lS7_S5_lPT10_S5_li,"axG",@progbits,_ZL37rocblas_syrkx_herkx_restricted_kernelIidLi16ELi32ELi8ELi1ELin1ELb0ELc67ELc76EKPKdKPdEviT_PT9_S5_lS7_S5_lPT10_S5_li,comdat
	.globl	_ZL37rocblas_syrkx_herkx_restricted_kernelIidLi16ELi32ELi8ELi1ELin1ELb0ELc67ELc76EKPKdKPdEviT_PT9_S5_lS7_S5_lPT10_S5_li ; -- Begin function _ZL37rocblas_syrkx_herkx_restricted_kernelIidLi16ELi32ELi8ELi1ELin1ELb0ELc67ELc76EKPKdKPdEviT_PT9_S5_lS7_S5_lPT10_S5_li
	.p2align	8
	.type	_ZL37rocblas_syrkx_herkx_restricted_kernelIidLi16ELi32ELi8ELi1ELin1ELb0ELc67ELc76EKPKdKPdEviT_PT9_S5_lS7_S5_lPT10_S5_li,@function
_ZL37rocblas_syrkx_herkx_restricted_kernelIidLi16ELi32ELi8ELi1ELin1ELb0ELc67ELc76EKPKdKPdEviT_PT9_S5_lS7_S5_lPT10_S5_li: ; @_ZL37rocblas_syrkx_herkx_restricted_kernelIidLi16ELi32ELi8ELi1ELin1ELb0ELc67ELc76EKPKdKPdEviT_PT9_S5_lS7_S5_lPT10_S5_li
; %bb.0:
	s_clause 0x1
	s_load_b64 s[2:3], s[0:1], 0x38
	s_load_b64 s[4:5], s[0:1], 0x0
	s_mov_b32 s6, s15
	s_mov_b32 s7, 0
	v_mov_b32_e32 v10, 0
	s_lshl_b64 s[8:9], s[6:7], 3
	v_dual_mov_b32 v11, 0 :: v_dual_and_b32 v12, 0x3ff, v0
	v_bfe_u32 v13, v0, 10, 10
	s_delay_alu instid0(VALU_DEP_3) | instskip(NEXT) | instid1(VALU_DEP_3)
	v_mov_b32_e32 v8, v10
	v_dual_mov_b32 v2, v10 :: v_dual_mov_b32 v3, v11
	v_dual_mov_b32 v9, v11 :: v_dual_mov_b32 v0, v10
	v_mov_b32_e32 v1, v11
	s_waitcnt lgkmcnt(0)
	s_add_u32 s2, s2, s8
	s_addc_u32 s3, s3, s9
	s_lshl_b32 s6, s13, 5
	s_load_b64 s[2:3], s[2:3], 0x0
	s_lshl_b32 s10, s14, 5
	s_cmp_lt_i32 s5, 1
	s_cbranch_scc1 .LBB548_3
; %bb.1:
	s_clause 0x3
	s_load_b64 s[12:13], s[0:1], 0x8
	s_load_b64 s[14:15], s[0:1], 0x20
	s_load_b32 s11, s[0:1], 0x10
	s_load_b32 s16, s[0:1], 0x28
	v_lshl_add_u32 v4, v13, 4, v12
	v_dual_mov_b32 v3, 0 :: v_dual_and_b32 v2, 7, v12
	v_mov_b32_e32 v0, 0
	v_dual_mov_b32 v1, 0 :: v_dual_lshlrev_b32 v14, 3, v12
	s_delay_alu instid0(VALU_DEP_4)
	v_and_b32_e32 v9, 31, v4
	v_lshrrev_b32_e32 v8, 3, v4
	v_lshrrev_b32_e32 v4, 5, v4
	v_mov_b32_e32 v5, v3
	v_lshl_add_u32 v15, v13, 6, 0x800
	v_add_nc_u32_e32 v10, s6, v9
	v_add_nc_u32_e32 v16, s10, v8
	s_waitcnt lgkmcnt(0)
	s_add_u32 s12, s12, s8
	s_addc_u32 s13, s13, s9
	s_add_u32 s8, s14, s8
	s_load_b64 s[12:13], s[12:13], 0x0
	s_addc_u32 s9, s15, s9
	v_mad_i64_i32 v[6:7], null, s11, v10, v[4:5]
	s_load_b64 s[8:9], s[8:9], 0x0
	v_lshlrev_b32_e32 v5, 3, v2
	v_mad_i64_i32 v[10:11], null, s16, v16, v[2:3]
	v_dual_mov_b32 v3, v1 :: v_dual_mov_b32 v2, v0
	s_delay_alu instid0(VALU_DEP_3) | instskip(SKIP_3) | instid1(VALU_DEP_4)
	v_lshl_or_b32 v17, v8, 6, v5
	v_lshlrev_b64 v[5:6], 3, v[6:7]
	v_dual_mov_b32 v9, v1 :: v_dual_lshlrev_b32 v16, 3, v9
	v_lshlrev_b64 v[10:11], 3, v[10:11]
	v_dual_mov_b32 v8, v0 :: v_dual_add_nc_u32 v17, 0x800, v17
	s_delay_alu instid0(VALU_DEP_3)
	v_lshl_or_b32 v16, v4, 8, v16
	s_waitcnt lgkmcnt(0)
	v_add_co_u32 v4, vcc_lo, s12, v5
	v_add_co_ci_u32_e32 v5, vcc_lo, s13, v6, vcc_lo
	v_add_co_u32 v6, vcc_lo, s8, v10
	v_add_co_ci_u32_e32 v7, vcc_lo, s9, v11, vcc_lo
	v_dual_mov_b32 v11, v1 :: v_dual_mov_b32 v10, v0
.LBB548_2:                              ; =>This Inner Loop Header: Depth=1
	global_load_b64 v[18:19], v[4:5], off
	global_load_b64 v[20:21], v[6:7], off
	v_add_co_u32 v4, vcc_lo, v4, 64
	v_add_co_ci_u32_e32 v5, vcc_lo, 0, v5, vcc_lo
	v_add_co_u32 v6, vcc_lo, v6, 64
	v_add_co_ci_u32_e32 v7, vcc_lo, 0, v7, vcc_lo
	s_add_i32 s7, s7, 8
	s_waitcnt vmcnt(1)
	ds_store_b64 v16, v[18:19]
	s_waitcnt vmcnt(0)
	ds_store_b64 v17, v[20:21]
	s_waitcnt lgkmcnt(0)
	s_barrier
	buffer_gl0_inv
	ds_load_2addr_b64 v[18:21], v14 offset1:16
	ds_load_b128 v[22:25], v15
	ds_load_b128 v[26:29], v15 offset:1024
	ds_load_b128 v[30:33], v15 offset:16
	;; [unrolled: 1-line block ×3, first 2 shown]
	s_cmp_ge_i32 s7, s5
	s_waitcnt lgkmcnt(3)
	v_fma_f64 v[10:11], v[18:19], v[22:23], v[10:11]
	v_fma_f64 v[8:9], v[20:21], v[22:23], v[8:9]
	s_waitcnt lgkmcnt(2)
	v_fma_f64 v[18:19], v[18:19], v[26:27], v[2:3]
	v_fma_f64 v[20:21], v[20:21], v[26:27], v[0:1]
	ds_load_2addr_b64 v[0:3], v14 offset0:32 offset1:48
	s_waitcnt lgkmcnt(0)
	v_fma_f64 v[10:11], v[0:1], v[24:25], v[10:11]
	v_fma_f64 v[8:9], v[2:3], v[24:25], v[8:9]
	v_fma_f64 v[18:19], v[0:1], v[28:29], v[18:19]
	v_fma_f64 v[20:21], v[2:3], v[28:29], v[20:21]
	ds_load_2addr_b64 v[0:3], v14 offset0:64 offset1:80
	s_waitcnt lgkmcnt(0)
	v_fma_f64 v[10:11], v[0:1], v[30:31], v[10:11]
	v_fma_f64 v[8:9], v[2:3], v[30:31], v[8:9]
	;; [unrolled: 6-line block ×3, first 2 shown]
	v_fma_f64 v[34:35], v[0:1], v[36:37], v[18:19]
	v_fma_f64 v[36:37], v[2:3], v[36:37], v[20:21]
	ds_load_2addr_b64 v[0:3], v14 offset0:128 offset1:144
	ds_load_b128 v[8:11], v15 offset:32
	ds_load_b128 v[18:21], v15 offset:1056
	;; [unrolled: 1-line block ×4, first 2 shown]
	s_waitcnt lgkmcnt(3)
	v_fma_f64 v[30:31], v[0:1], v[8:9], v[30:31]
	v_fma_f64 v[8:9], v[2:3], v[8:9], v[32:33]
	s_waitcnt lgkmcnt(2)
	v_fma_f64 v[32:33], v[0:1], v[18:19], v[34:35]
	v_fma_f64 v[18:19], v[2:3], v[18:19], v[36:37]
	ds_load_2addr_b64 v[0:3], v14 offset0:160 offset1:176
	s_waitcnt lgkmcnt(0)
	v_fma_f64 v[30:31], v[0:1], v[10:11], v[30:31]
	v_fma_f64 v[8:9], v[2:3], v[10:11], v[8:9]
	;; [unrolled: 1-line block ×4, first 2 shown]
	ds_load_2addr_b64 v[0:3], v14 offset0:192 offset1:208
	s_waitcnt lgkmcnt(0)
	v_fma_f64 v[30:31], v[0:1], v[22:23], v[30:31]
	v_fma_f64 v[8:9], v[2:3], v[22:23], v[8:9]
	;; [unrolled: 1-line block ×4, first 2 shown]
	ds_load_2addr_b64 v[18:21], v14 offset0:224 offset1:240
	s_waitcnt lgkmcnt(0)
	s_barrier
	buffer_gl0_inv
	v_fma_f64 v[10:11], v[18:19], v[24:25], v[30:31]
	v_fma_f64 v[8:9], v[20:21], v[24:25], v[8:9]
	;; [unrolled: 1-line block ×4, first 2 shown]
	s_cbranch_scc0 .LBB548_2
.LBB548_3:
	s_load_b32 s5, s[0:1], 0x40
	v_add_nc_u32_e32 v13, s10, v13
	v_add_nc_u32_e32 v4, s6, v12
	s_delay_alu instid0(VALU_DEP_1) | instskip(SKIP_1) | instid1(VALU_DEP_2)
	v_cmp_le_i32_e64 s0, v13, v4
	v_cmp_gt_i32_e32 vcc_lo, s4, v4
	s_and_b32 s0, s0, vcc_lo
	s_waitcnt lgkmcnt(0)
	v_mad_i64_i32 v[5:6], null, v13, s5, 0
	s_delay_alu instid0(VALU_DEP_1) | instskip(NEXT) | instid1(VALU_DEP_1)
	v_lshlrev_b64 v[5:6], 3, v[5:6]
	v_add_co_u32 v12, s1, s2, v5
	s_delay_alu instid0(VALU_DEP_1)
	v_add_co_ci_u32_e64 v14, s1, s3, v6, s1
	s_and_saveexec_b32 s1, s0
	s_cbranch_execz .LBB548_5
; %bb.4:
	v_ashrrev_i32_e32 v5, 31, v4
	s_delay_alu instid0(VALU_DEP_1) | instskip(NEXT) | instid1(VALU_DEP_1)
	v_lshlrev_b64 v[5:6], 3, v[4:5]
	v_add_co_u32 v5, s0, v12, v5
	s_delay_alu instid0(VALU_DEP_1)
	v_add_co_ci_u32_e64 v6, s0, v14, v6, s0
	global_load_b64 v[15:16], v[5:6], off
	s_waitcnt vmcnt(0)
	v_add_f64 v[10:11], v[10:11], -v[15:16]
	global_store_b64 v[5:6], v[10:11], off
.LBB548_5:
	s_or_b32 exec_lo, exec_lo, s1
	v_add_nc_u32_e32 v6, 16, v4
	s_delay_alu instid0(VALU_DEP_1) | instskip(SKIP_1) | instid1(VALU_DEP_1)
	v_cmp_le_i32_e64 s1, v13, v6
	v_cmp_gt_i32_e64 s0, s4, v6
	s_and_b32 s1, s1, s0
	s_delay_alu instid0(SALU_CYCLE_1)
	s_and_saveexec_b32 s4, s1
	s_cbranch_execz .LBB548_7
; %bb.6:
	v_ashrrev_i32_e32 v7, 31, v6
	s_delay_alu instid0(VALU_DEP_1) | instskip(NEXT) | instid1(VALU_DEP_1)
	v_lshlrev_b64 v[10:11], 3, v[6:7]
	v_add_co_u32 v10, s1, v12, v10
	s_delay_alu instid0(VALU_DEP_1)
	v_add_co_ci_u32_e64 v11, s1, v14, v11, s1
	global_load_b64 v[14:15], v[10:11], off
	s_waitcnt vmcnt(0)
	v_add_f64 v[7:8], v[8:9], -v[14:15]
	global_store_b64 v[10:11], v[7:8], off
.LBB548_7:
	s_or_b32 exec_lo, exec_lo, s4
	v_add_nc_u32_e32 v7, 16, v13
	s_delay_alu instid0(VALU_DEP_1) | instskip(SKIP_1) | instid1(VALU_DEP_2)
	v_mad_i64_i32 v[8:9], null, v7, s5, 0
	v_cmp_le_i32_e64 s1, v7, v4
	v_lshlrev_b64 v[8:9], 3, v[8:9]
	s_delay_alu instid0(VALU_DEP_1) | instskip(NEXT) | instid1(VALU_DEP_1)
	v_add_co_u32 v8, s2, s2, v8
	v_add_co_ci_u32_e64 v9, s2, s3, v9, s2
	s_delay_alu instid0(VALU_DEP_4) | instskip(NEXT) | instid1(SALU_CYCLE_1)
	s_and_b32 s2, s1, vcc_lo
	s_and_saveexec_b32 s1, s2
	s_cbranch_execz .LBB548_9
; %bb.8:
	v_ashrrev_i32_e32 v5, 31, v4
	s_delay_alu instid0(VALU_DEP_1) | instskip(NEXT) | instid1(VALU_DEP_1)
	v_lshlrev_b64 v[4:5], 3, v[4:5]
	v_add_co_u32 v4, vcc_lo, v8, v4
	s_delay_alu instid0(VALU_DEP_2)
	v_add_co_ci_u32_e32 v5, vcc_lo, v9, v5, vcc_lo
	global_load_b64 v[10:11], v[4:5], off
	s_waitcnt vmcnt(0)
	v_add_f64 v[2:3], v[2:3], -v[10:11]
	global_store_b64 v[4:5], v[2:3], off
.LBB548_9:
	s_or_b32 exec_lo, exec_lo, s1
	v_cmp_le_i32_e32 vcc_lo, v7, v6
	s_and_b32 s0, vcc_lo, s0
	s_delay_alu instid0(SALU_CYCLE_1)
	s_and_saveexec_b32 s1, s0
	s_cbranch_execz .LBB548_11
; %bb.10:
	v_ashrrev_i32_e32 v7, 31, v6
	s_delay_alu instid0(VALU_DEP_1) | instskip(NEXT) | instid1(VALU_DEP_1)
	v_lshlrev_b64 v[2:3], 3, v[6:7]
	v_add_co_u32 v2, vcc_lo, v8, v2
	s_delay_alu instid0(VALU_DEP_2)
	v_add_co_ci_u32_e32 v3, vcc_lo, v9, v3, vcc_lo
	global_load_b64 v[4:5], v[2:3], off
	s_waitcnt vmcnt(0)
	v_add_f64 v[0:1], v[0:1], -v[4:5]
	global_store_b64 v[2:3], v[0:1], off
.LBB548_11:
	s_nop 0
	s_sendmsg sendmsg(MSG_DEALLOC_VGPRS)
	s_endpgm
	.section	.rodata,"a",@progbits
	.p2align	6, 0x0
	.amdhsa_kernel _ZL37rocblas_syrkx_herkx_restricted_kernelIidLi16ELi32ELi8ELi1ELin1ELb0ELc67ELc76EKPKdKPdEviT_PT9_S5_lS7_S5_lPT10_S5_li
		.amdhsa_group_segment_fixed_size 4096
		.amdhsa_private_segment_fixed_size 0
		.amdhsa_kernarg_size 84
		.amdhsa_user_sgpr_count 13
		.amdhsa_user_sgpr_dispatch_ptr 0
		.amdhsa_user_sgpr_queue_ptr 0
		.amdhsa_user_sgpr_kernarg_segment_ptr 1
		.amdhsa_user_sgpr_dispatch_id 0
		.amdhsa_user_sgpr_private_segment_size 0
		.amdhsa_wavefront_size32 1
		.amdhsa_uses_dynamic_stack 0
		.amdhsa_enable_private_segment 0
		.amdhsa_system_sgpr_workgroup_id_x 1
		.amdhsa_system_sgpr_workgroup_id_y 1
		.amdhsa_system_sgpr_workgroup_id_z 1
		.amdhsa_system_sgpr_workgroup_info 0
		.amdhsa_system_vgpr_workitem_id 1
		.amdhsa_next_free_vgpr 38
		.amdhsa_next_free_sgpr 17
		.amdhsa_reserve_vcc 1
		.amdhsa_float_round_mode_32 0
		.amdhsa_float_round_mode_16_64 0
		.amdhsa_float_denorm_mode_32 3
		.amdhsa_float_denorm_mode_16_64 3
		.amdhsa_dx10_clamp 1
		.amdhsa_ieee_mode 1
		.amdhsa_fp16_overflow 0
		.amdhsa_workgroup_processor_mode 1
		.amdhsa_memory_ordered 1
		.amdhsa_forward_progress 0
		.amdhsa_shared_vgpr_count 0
		.amdhsa_exception_fp_ieee_invalid_op 0
		.amdhsa_exception_fp_denorm_src 0
		.amdhsa_exception_fp_ieee_div_zero 0
		.amdhsa_exception_fp_ieee_overflow 0
		.amdhsa_exception_fp_ieee_underflow 0
		.amdhsa_exception_fp_ieee_inexact 0
		.amdhsa_exception_int_div_zero 0
	.end_amdhsa_kernel
	.section	.text._ZL37rocblas_syrkx_herkx_restricted_kernelIidLi16ELi32ELi8ELi1ELin1ELb0ELc67ELc76EKPKdKPdEviT_PT9_S5_lS7_S5_lPT10_S5_li,"axG",@progbits,_ZL37rocblas_syrkx_herkx_restricted_kernelIidLi16ELi32ELi8ELi1ELin1ELb0ELc67ELc76EKPKdKPdEviT_PT9_S5_lS7_S5_lPT10_S5_li,comdat
.Lfunc_end548:
	.size	_ZL37rocblas_syrkx_herkx_restricted_kernelIidLi16ELi32ELi8ELi1ELin1ELb0ELc67ELc76EKPKdKPdEviT_PT9_S5_lS7_S5_lPT10_S5_li, .Lfunc_end548-_ZL37rocblas_syrkx_herkx_restricted_kernelIidLi16ELi32ELi8ELi1ELin1ELb0ELc67ELc76EKPKdKPdEviT_PT9_S5_lS7_S5_lPT10_S5_li
                                        ; -- End function
	.section	.AMDGPU.csdata,"",@progbits
; Kernel info:
; codeLenInByte = 1400
; NumSgprs: 19
; NumVgprs: 38
; ScratchSize: 0
; MemoryBound: 0
; FloatMode: 240
; IeeeMode: 1
; LDSByteSize: 4096 bytes/workgroup (compile time only)
; SGPRBlocks: 2
; VGPRBlocks: 4
; NumSGPRsForWavesPerEU: 19
; NumVGPRsForWavesPerEU: 38
; Occupancy: 16
; WaveLimiterHint : 1
; COMPUTE_PGM_RSRC2:SCRATCH_EN: 0
; COMPUTE_PGM_RSRC2:USER_SGPR: 13
; COMPUTE_PGM_RSRC2:TRAP_HANDLER: 0
; COMPUTE_PGM_RSRC2:TGID_X_EN: 1
; COMPUTE_PGM_RSRC2:TGID_Y_EN: 1
; COMPUTE_PGM_RSRC2:TGID_Z_EN: 1
; COMPUTE_PGM_RSRC2:TIDIG_COMP_CNT: 1
	.section	.text._ZL37rocblas_syrkx_herkx_restricted_kernelIidLi16ELi32ELi8ELi1ELin1ELb0ELc78ELc76EKPKdKPdEviT_PT9_S5_lS7_S5_lPT10_S5_li,"axG",@progbits,_ZL37rocblas_syrkx_herkx_restricted_kernelIidLi16ELi32ELi8ELi1ELin1ELb0ELc78ELc76EKPKdKPdEviT_PT9_S5_lS7_S5_lPT10_S5_li,comdat
	.globl	_ZL37rocblas_syrkx_herkx_restricted_kernelIidLi16ELi32ELi8ELi1ELin1ELb0ELc78ELc76EKPKdKPdEviT_PT9_S5_lS7_S5_lPT10_S5_li ; -- Begin function _ZL37rocblas_syrkx_herkx_restricted_kernelIidLi16ELi32ELi8ELi1ELin1ELb0ELc78ELc76EKPKdKPdEviT_PT9_S5_lS7_S5_lPT10_S5_li
	.p2align	8
	.type	_ZL37rocblas_syrkx_herkx_restricted_kernelIidLi16ELi32ELi8ELi1ELin1ELb0ELc78ELc76EKPKdKPdEviT_PT9_S5_lS7_S5_lPT10_S5_li,@function
_ZL37rocblas_syrkx_herkx_restricted_kernelIidLi16ELi32ELi8ELi1ELin1ELb0ELc78ELc76EKPKdKPdEviT_PT9_S5_lS7_S5_lPT10_S5_li: ; @_ZL37rocblas_syrkx_herkx_restricted_kernelIidLi16ELi32ELi8ELi1ELin1ELb0ELc78ELc76EKPKdKPdEviT_PT9_S5_lS7_S5_lPT10_S5_li
; %bb.0:
	s_clause 0x1
	s_load_b64 s[2:3], s[0:1], 0x38
	s_load_b64 s[4:5], s[0:1], 0x0
	s_mov_b32 s6, s15
	s_mov_b32 s7, 0
	v_mov_b32_e32 v10, 0
	s_lshl_b64 s[8:9], s[6:7], 3
	v_dual_mov_b32 v11, 0 :: v_dual_and_b32 v12, 0x3ff, v0
	v_bfe_u32 v13, v0, 10, 10
	s_delay_alu instid0(VALU_DEP_3) | instskip(NEXT) | instid1(VALU_DEP_3)
	v_mov_b32_e32 v8, v10
	v_dual_mov_b32 v2, v10 :: v_dual_mov_b32 v3, v11
	v_dual_mov_b32 v9, v11 :: v_dual_mov_b32 v0, v10
	v_mov_b32_e32 v1, v11
	s_waitcnt lgkmcnt(0)
	s_add_u32 s2, s2, s8
	s_addc_u32 s3, s3, s9
	s_lshl_b32 s6, s13, 5
	s_load_b64 s[2:3], s[2:3], 0x0
	s_lshl_b32 s12, s14, 5
	s_cmp_lt_i32 s5, 1
	s_cbranch_scc1 .LBB549_3
; %bb.1:
	s_clause 0x3
	s_load_b32 s10, s[0:1], 0x10
	s_load_b32 s14, s[0:1], 0x28
	s_load_b64 s[16:17], s[0:1], 0x8
	s_load_b64 s[18:19], s[0:1], 0x20
	v_lshl_add_u32 v2, v13, 4, v12
	v_mov_b32_e32 v0, 0
	v_dual_mov_b32 v1, 0 :: v_dual_and_b32 v8, 7, v12
	v_lshlrev_b32_e32 v14, 3, v12
	s_delay_alu instid0(VALU_DEP_4)
	v_and_b32_e32 v10, 31, v2
	v_lshrrev_b32_e32 v9, 3, v2
	v_lshrrev_b32_e32 v11, 5, v2
	v_lshlrev_b32_e32 v16, 3, v8
	v_lshl_add_u32 v15, v13, 6, 0x800
	v_add_nc_u32_e32 v4, s6, v10
	v_add_nc_u32_e32 v2, s12, v9
	s_delay_alu instid0(VALU_DEP_4) | instskip(NEXT) | instid1(VALU_DEP_3)
	v_lshl_or_b32 v17, v9, 6, v16
	v_ashrrev_i32_e32 v5, 31, v4
	s_waitcnt lgkmcnt(0)
	s_ashr_i32 s11, s10, 31
	s_ashr_i32 s15, s14, 31
	s_add_u32 s16, s16, s8
	s_addc_u32 s17, s17, s9
	s_add_u32 s8, s18, s8
	s_load_b64 s[16:17], s[16:17], 0x0
	s_addc_u32 s9, s19, s9
	v_ashrrev_i32_e32 v3, 31, v2
	s_load_b64 s[8:9], s[8:9], 0x0
	v_mad_i64_i32 v[6:7], null, s10, v11, v[4:5]
	v_add_nc_u32_e32 v17, 0x800, v17
	s_delay_alu instid0(VALU_DEP_3)
	v_mad_i64_i32 v[4:5], null, s14, v8, v[2:3]
	v_dual_mov_b32 v3, v1 :: v_dual_lshlrev_b32 v10, 3, v10
	v_mov_b32_e32 v9, v1
	v_lshlrev_b64 v[6:7], 3, v[6:7]
	v_mov_b32_e32 v2, v0
	v_mov_b32_e32 v8, v0
	v_lshl_or_b32 v16, v11, 8, v10
	v_lshlrev_b64 v[10:11], 3, v[4:5]
	s_waitcnt lgkmcnt(0)
	v_add_co_u32 v4, vcc_lo, s16, v6
	v_add_co_ci_u32_e32 v5, vcc_lo, s17, v7, vcc_lo
	s_delay_alu instid0(VALU_DEP_3) | instskip(NEXT) | instid1(VALU_DEP_4)
	v_add_co_u32 v6, vcc_lo, s8, v10
	v_add_co_ci_u32_e32 v7, vcc_lo, s9, v11, vcc_lo
	v_dual_mov_b32 v11, v1 :: v_dual_mov_b32 v10, v0
	s_lshl_b64 s[8:9], s[10:11], 6
	s_lshl_b64 s[10:11], s[14:15], 6
.LBB549_2:                              ; =>This Inner Loop Header: Depth=1
	global_load_b64 v[18:19], v[4:5], off
	global_load_b64 v[20:21], v[6:7], off
	v_add_co_u32 v4, vcc_lo, v4, s8
	v_add_co_ci_u32_e32 v5, vcc_lo, s9, v5, vcc_lo
	v_add_co_u32 v6, vcc_lo, v6, s10
	v_add_co_ci_u32_e32 v7, vcc_lo, s11, v7, vcc_lo
	s_add_i32 s7, s7, 8
	s_waitcnt vmcnt(1)
	ds_store_b64 v16, v[18:19]
	s_waitcnt vmcnt(0)
	ds_store_b64 v17, v[20:21]
	s_waitcnt lgkmcnt(0)
	s_barrier
	buffer_gl0_inv
	ds_load_2addr_b64 v[18:21], v14 offset1:16
	ds_load_b128 v[22:25], v15
	ds_load_b128 v[26:29], v15 offset:1024
	ds_load_b128 v[30:33], v15 offset:16
	ds_load_b128 v[34:37], v15 offset:1040
	s_cmp_ge_i32 s7, s5
	s_waitcnt lgkmcnt(3)
	v_fma_f64 v[10:11], v[18:19], v[22:23], v[10:11]
	v_fma_f64 v[8:9], v[20:21], v[22:23], v[8:9]
	s_waitcnt lgkmcnt(2)
	v_fma_f64 v[18:19], v[18:19], v[26:27], v[2:3]
	v_fma_f64 v[20:21], v[20:21], v[26:27], v[0:1]
	ds_load_2addr_b64 v[0:3], v14 offset0:32 offset1:48
	s_waitcnt lgkmcnt(0)
	v_fma_f64 v[10:11], v[0:1], v[24:25], v[10:11]
	v_fma_f64 v[8:9], v[2:3], v[24:25], v[8:9]
	v_fma_f64 v[18:19], v[0:1], v[28:29], v[18:19]
	v_fma_f64 v[20:21], v[2:3], v[28:29], v[20:21]
	ds_load_2addr_b64 v[0:3], v14 offset0:64 offset1:80
	s_waitcnt lgkmcnt(0)
	v_fma_f64 v[10:11], v[0:1], v[30:31], v[10:11]
	v_fma_f64 v[8:9], v[2:3], v[30:31], v[8:9]
	;; [unrolled: 6-line block ×3, first 2 shown]
	v_fma_f64 v[34:35], v[0:1], v[36:37], v[18:19]
	v_fma_f64 v[36:37], v[2:3], v[36:37], v[20:21]
	ds_load_2addr_b64 v[0:3], v14 offset0:128 offset1:144
	ds_load_b128 v[8:11], v15 offset:32
	ds_load_b128 v[18:21], v15 offset:1056
	;; [unrolled: 1-line block ×4, first 2 shown]
	s_waitcnt lgkmcnt(3)
	v_fma_f64 v[30:31], v[0:1], v[8:9], v[30:31]
	v_fma_f64 v[8:9], v[2:3], v[8:9], v[32:33]
	s_waitcnt lgkmcnt(2)
	v_fma_f64 v[32:33], v[0:1], v[18:19], v[34:35]
	v_fma_f64 v[18:19], v[2:3], v[18:19], v[36:37]
	ds_load_2addr_b64 v[0:3], v14 offset0:160 offset1:176
	s_waitcnt lgkmcnt(0)
	v_fma_f64 v[30:31], v[0:1], v[10:11], v[30:31]
	v_fma_f64 v[8:9], v[2:3], v[10:11], v[8:9]
	v_fma_f64 v[10:11], v[0:1], v[20:21], v[32:33]
	v_fma_f64 v[18:19], v[2:3], v[20:21], v[18:19]
	ds_load_2addr_b64 v[0:3], v14 offset0:192 offset1:208
	s_waitcnt lgkmcnt(0)
	v_fma_f64 v[30:31], v[0:1], v[22:23], v[30:31]
	v_fma_f64 v[8:9], v[2:3], v[22:23], v[8:9]
	;; [unrolled: 1-line block ×4, first 2 shown]
	ds_load_2addr_b64 v[18:21], v14 offset0:224 offset1:240
	s_waitcnt lgkmcnt(0)
	s_barrier
	buffer_gl0_inv
	v_fma_f64 v[10:11], v[18:19], v[24:25], v[30:31]
	v_fma_f64 v[8:9], v[20:21], v[24:25], v[8:9]
	;; [unrolled: 1-line block ×4, first 2 shown]
	s_cbranch_scc0 .LBB549_2
.LBB549_3:
	s_load_b32 s5, s[0:1], 0x40
	v_add_nc_u32_e32 v13, s12, v13
	v_add_nc_u32_e32 v4, s6, v12
	s_delay_alu instid0(VALU_DEP_1) | instskip(SKIP_1) | instid1(VALU_DEP_2)
	v_cmp_le_i32_e64 s0, v13, v4
	v_cmp_gt_i32_e32 vcc_lo, s4, v4
	s_and_b32 s0, s0, vcc_lo
	s_waitcnt lgkmcnt(0)
	v_mad_i64_i32 v[5:6], null, v13, s5, 0
	s_delay_alu instid0(VALU_DEP_1) | instskip(NEXT) | instid1(VALU_DEP_1)
	v_lshlrev_b64 v[5:6], 3, v[5:6]
	v_add_co_u32 v12, s1, s2, v5
	s_delay_alu instid0(VALU_DEP_1)
	v_add_co_ci_u32_e64 v14, s1, s3, v6, s1
	s_and_saveexec_b32 s1, s0
	s_cbranch_execz .LBB549_5
; %bb.4:
	v_ashrrev_i32_e32 v5, 31, v4
	s_delay_alu instid0(VALU_DEP_1) | instskip(NEXT) | instid1(VALU_DEP_1)
	v_lshlrev_b64 v[5:6], 3, v[4:5]
	v_add_co_u32 v5, s0, v12, v5
	s_delay_alu instid0(VALU_DEP_1)
	v_add_co_ci_u32_e64 v6, s0, v14, v6, s0
	global_load_b64 v[15:16], v[5:6], off
	s_waitcnt vmcnt(0)
	v_add_f64 v[10:11], v[10:11], -v[15:16]
	global_store_b64 v[5:6], v[10:11], off
.LBB549_5:
	s_or_b32 exec_lo, exec_lo, s1
	v_add_nc_u32_e32 v6, 16, v4
	s_delay_alu instid0(VALU_DEP_1) | instskip(SKIP_1) | instid1(VALU_DEP_1)
	v_cmp_le_i32_e64 s1, v13, v6
	v_cmp_gt_i32_e64 s0, s4, v6
	s_and_b32 s1, s1, s0
	s_delay_alu instid0(SALU_CYCLE_1)
	s_and_saveexec_b32 s4, s1
	s_cbranch_execz .LBB549_7
; %bb.6:
	v_ashrrev_i32_e32 v7, 31, v6
	s_delay_alu instid0(VALU_DEP_1) | instskip(NEXT) | instid1(VALU_DEP_1)
	v_lshlrev_b64 v[10:11], 3, v[6:7]
	v_add_co_u32 v10, s1, v12, v10
	s_delay_alu instid0(VALU_DEP_1)
	v_add_co_ci_u32_e64 v11, s1, v14, v11, s1
	global_load_b64 v[14:15], v[10:11], off
	s_waitcnt vmcnt(0)
	v_add_f64 v[7:8], v[8:9], -v[14:15]
	global_store_b64 v[10:11], v[7:8], off
.LBB549_7:
	s_or_b32 exec_lo, exec_lo, s4
	v_add_nc_u32_e32 v7, 16, v13
	s_delay_alu instid0(VALU_DEP_1) | instskip(SKIP_1) | instid1(VALU_DEP_2)
	v_mad_i64_i32 v[8:9], null, v7, s5, 0
	v_cmp_le_i32_e64 s1, v7, v4
	v_lshlrev_b64 v[8:9], 3, v[8:9]
	s_delay_alu instid0(VALU_DEP_1) | instskip(NEXT) | instid1(VALU_DEP_1)
	v_add_co_u32 v8, s2, s2, v8
	v_add_co_ci_u32_e64 v9, s2, s3, v9, s2
	s_delay_alu instid0(VALU_DEP_4) | instskip(NEXT) | instid1(SALU_CYCLE_1)
	s_and_b32 s2, s1, vcc_lo
	s_and_saveexec_b32 s1, s2
	s_cbranch_execz .LBB549_9
; %bb.8:
	v_ashrrev_i32_e32 v5, 31, v4
	s_delay_alu instid0(VALU_DEP_1) | instskip(NEXT) | instid1(VALU_DEP_1)
	v_lshlrev_b64 v[4:5], 3, v[4:5]
	v_add_co_u32 v4, vcc_lo, v8, v4
	s_delay_alu instid0(VALU_DEP_2)
	v_add_co_ci_u32_e32 v5, vcc_lo, v9, v5, vcc_lo
	global_load_b64 v[10:11], v[4:5], off
	s_waitcnt vmcnt(0)
	v_add_f64 v[2:3], v[2:3], -v[10:11]
	global_store_b64 v[4:5], v[2:3], off
.LBB549_9:
	s_or_b32 exec_lo, exec_lo, s1
	v_cmp_le_i32_e32 vcc_lo, v7, v6
	s_and_b32 s0, vcc_lo, s0
	s_delay_alu instid0(SALU_CYCLE_1)
	s_and_saveexec_b32 s1, s0
	s_cbranch_execz .LBB549_11
; %bb.10:
	v_ashrrev_i32_e32 v7, 31, v6
	s_delay_alu instid0(VALU_DEP_1) | instskip(NEXT) | instid1(VALU_DEP_1)
	v_lshlrev_b64 v[2:3], 3, v[6:7]
	v_add_co_u32 v2, vcc_lo, v8, v2
	s_delay_alu instid0(VALU_DEP_2)
	v_add_co_ci_u32_e32 v3, vcc_lo, v9, v3, vcc_lo
	global_load_b64 v[4:5], v[2:3], off
	s_waitcnt vmcnt(0)
	v_add_f64 v[0:1], v[0:1], -v[4:5]
	global_store_b64 v[2:3], v[0:1], off
.LBB549_11:
	s_nop 0
	s_sendmsg sendmsg(MSG_DEALLOC_VGPRS)
	s_endpgm
	.section	.rodata,"a",@progbits
	.p2align	6, 0x0
	.amdhsa_kernel _ZL37rocblas_syrkx_herkx_restricted_kernelIidLi16ELi32ELi8ELi1ELin1ELb0ELc78ELc76EKPKdKPdEviT_PT9_S5_lS7_S5_lPT10_S5_li
		.amdhsa_group_segment_fixed_size 4096
		.amdhsa_private_segment_fixed_size 0
		.amdhsa_kernarg_size 84
		.amdhsa_user_sgpr_count 13
		.amdhsa_user_sgpr_dispatch_ptr 0
		.amdhsa_user_sgpr_queue_ptr 0
		.amdhsa_user_sgpr_kernarg_segment_ptr 1
		.amdhsa_user_sgpr_dispatch_id 0
		.amdhsa_user_sgpr_private_segment_size 0
		.amdhsa_wavefront_size32 1
		.amdhsa_uses_dynamic_stack 0
		.amdhsa_enable_private_segment 0
		.amdhsa_system_sgpr_workgroup_id_x 1
		.amdhsa_system_sgpr_workgroup_id_y 1
		.amdhsa_system_sgpr_workgroup_id_z 1
		.amdhsa_system_sgpr_workgroup_info 0
		.amdhsa_system_vgpr_workitem_id 1
		.amdhsa_next_free_vgpr 38
		.amdhsa_next_free_sgpr 20
		.amdhsa_reserve_vcc 1
		.amdhsa_float_round_mode_32 0
		.amdhsa_float_round_mode_16_64 0
		.amdhsa_float_denorm_mode_32 3
		.amdhsa_float_denorm_mode_16_64 3
		.amdhsa_dx10_clamp 1
		.amdhsa_ieee_mode 1
		.amdhsa_fp16_overflow 0
		.amdhsa_workgroup_processor_mode 1
		.amdhsa_memory_ordered 1
		.amdhsa_forward_progress 0
		.amdhsa_shared_vgpr_count 0
		.amdhsa_exception_fp_ieee_invalid_op 0
		.amdhsa_exception_fp_denorm_src 0
		.amdhsa_exception_fp_ieee_div_zero 0
		.amdhsa_exception_fp_ieee_overflow 0
		.amdhsa_exception_fp_ieee_underflow 0
		.amdhsa_exception_fp_ieee_inexact 0
		.amdhsa_exception_int_div_zero 0
	.end_amdhsa_kernel
	.section	.text._ZL37rocblas_syrkx_herkx_restricted_kernelIidLi16ELi32ELi8ELi1ELin1ELb0ELc78ELc76EKPKdKPdEviT_PT9_S5_lS7_S5_lPT10_S5_li,"axG",@progbits,_ZL37rocblas_syrkx_herkx_restricted_kernelIidLi16ELi32ELi8ELi1ELin1ELb0ELc78ELc76EKPKdKPdEviT_PT9_S5_lS7_S5_lPT10_S5_li,comdat
.Lfunc_end549:
	.size	_ZL37rocblas_syrkx_herkx_restricted_kernelIidLi16ELi32ELi8ELi1ELin1ELb0ELc78ELc76EKPKdKPdEviT_PT9_S5_lS7_S5_lPT10_S5_li, .Lfunc_end549-_ZL37rocblas_syrkx_herkx_restricted_kernelIidLi16ELi32ELi8ELi1ELin1ELb0ELc78ELc76EKPKdKPdEviT_PT9_S5_lS7_S5_lPT10_S5_li
                                        ; -- End function
	.section	.AMDGPU.csdata,"",@progbits
; Kernel info:
; codeLenInByte = 1420
; NumSgprs: 22
; NumVgprs: 38
; ScratchSize: 0
; MemoryBound: 0
; FloatMode: 240
; IeeeMode: 1
; LDSByteSize: 4096 bytes/workgroup (compile time only)
; SGPRBlocks: 2
; VGPRBlocks: 4
; NumSGPRsForWavesPerEU: 22
; NumVGPRsForWavesPerEU: 38
; Occupancy: 16
; WaveLimiterHint : 1
; COMPUTE_PGM_RSRC2:SCRATCH_EN: 0
; COMPUTE_PGM_RSRC2:USER_SGPR: 13
; COMPUTE_PGM_RSRC2:TRAP_HANDLER: 0
; COMPUTE_PGM_RSRC2:TGID_X_EN: 1
; COMPUTE_PGM_RSRC2:TGID_Y_EN: 1
; COMPUTE_PGM_RSRC2:TGID_Z_EN: 1
; COMPUTE_PGM_RSRC2:TIDIG_COMP_CNT: 1
	.section	.text._ZL37rocblas_syrkx_herkx_restricted_kernelIidLi16ELi32ELi8ELi1ELin1ELb0ELc84ELc85EKPKdKPdEviT_PT9_S5_lS7_S5_lPT10_S5_li,"axG",@progbits,_ZL37rocblas_syrkx_herkx_restricted_kernelIidLi16ELi32ELi8ELi1ELin1ELb0ELc84ELc85EKPKdKPdEviT_PT9_S5_lS7_S5_lPT10_S5_li,comdat
	.globl	_ZL37rocblas_syrkx_herkx_restricted_kernelIidLi16ELi32ELi8ELi1ELin1ELb0ELc84ELc85EKPKdKPdEviT_PT9_S5_lS7_S5_lPT10_S5_li ; -- Begin function _ZL37rocblas_syrkx_herkx_restricted_kernelIidLi16ELi32ELi8ELi1ELin1ELb0ELc84ELc85EKPKdKPdEviT_PT9_S5_lS7_S5_lPT10_S5_li
	.p2align	8
	.type	_ZL37rocblas_syrkx_herkx_restricted_kernelIidLi16ELi32ELi8ELi1ELin1ELb0ELc84ELc85EKPKdKPdEviT_PT9_S5_lS7_S5_lPT10_S5_li,@function
_ZL37rocblas_syrkx_herkx_restricted_kernelIidLi16ELi32ELi8ELi1ELin1ELb0ELc84ELc85EKPKdKPdEviT_PT9_S5_lS7_S5_lPT10_S5_li: ; @_ZL37rocblas_syrkx_herkx_restricted_kernelIidLi16ELi32ELi8ELi1ELin1ELb0ELc84ELc85EKPKdKPdEviT_PT9_S5_lS7_S5_lPT10_S5_li
; %bb.0:
	s_clause 0x1
	s_load_b64 s[4:5], s[0:1], 0x38
	s_load_b64 s[2:3], s[0:1], 0x0
	s_mov_b32 s6, s15
	s_mov_b32 s7, 0
	v_mov_b32_e32 v10, 0
	s_lshl_b64 s[8:9], s[6:7], 3
	v_dual_mov_b32 v11, 0 :: v_dual_and_b32 v12, 0x3ff, v0
	v_bfe_u32 v13, v0, 10, 10
	s_delay_alu instid0(VALU_DEP_3) | instskip(NEXT) | instid1(VALU_DEP_3)
	v_mov_b32_e32 v8, v10
	v_dual_mov_b32 v2, v10 :: v_dual_mov_b32 v3, v11
	v_dual_mov_b32 v9, v11 :: v_dual_mov_b32 v0, v10
	v_mov_b32_e32 v1, v11
	s_waitcnt lgkmcnt(0)
	s_add_u32 s4, s4, s8
	s_addc_u32 s5, s5, s9
	s_lshl_b32 s6, s13, 5
	s_load_b64 s[4:5], s[4:5], 0x0
	s_lshl_b32 s10, s14, 5
	s_cmp_lt_i32 s3, 1
	s_cbranch_scc1 .LBB550_3
; %bb.1:
	s_clause 0x3
	s_load_b64 s[12:13], s[0:1], 0x8
	s_load_b64 s[14:15], s[0:1], 0x20
	s_load_b32 s11, s[0:1], 0x10
	s_load_b32 s16, s[0:1], 0x28
	v_lshl_add_u32 v4, v13, 4, v12
	v_dual_mov_b32 v3, 0 :: v_dual_and_b32 v2, 7, v12
	v_mov_b32_e32 v0, 0
	v_dual_mov_b32 v1, 0 :: v_dual_lshlrev_b32 v14, 3, v12
	s_delay_alu instid0(VALU_DEP_4)
	v_and_b32_e32 v9, 31, v4
	v_lshrrev_b32_e32 v8, 3, v4
	v_lshrrev_b32_e32 v4, 5, v4
	v_mov_b32_e32 v5, v3
	v_lshl_add_u32 v15, v13, 6, 0x800
	v_add_nc_u32_e32 v10, s6, v9
	v_add_nc_u32_e32 v16, s10, v8
	s_waitcnt lgkmcnt(0)
	s_add_u32 s12, s12, s8
	s_addc_u32 s13, s13, s9
	s_add_u32 s8, s14, s8
	s_load_b64 s[12:13], s[12:13], 0x0
	s_addc_u32 s9, s15, s9
	v_mad_i64_i32 v[6:7], null, s11, v10, v[4:5]
	s_load_b64 s[8:9], s[8:9], 0x0
	v_lshlrev_b32_e32 v5, 3, v2
	v_mad_i64_i32 v[10:11], null, s16, v16, v[2:3]
	v_dual_mov_b32 v3, v1 :: v_dual_mov_b32 v2, v0
	s_delay_alu instid0(VALU_DEP_3) | instskip(SKIP_3) | instid1(VALU_DEP_4)
	v_lshl_or_b32 v17, v8, 6, v5
	v_lshlrev_b64 v[5:6], 3, v[6:7]
	v_dual_mov_b32 v9, v1 :: v_dual_lshlrev_b32 v16, 3, v9
	v_lshlrev_b64 v[10:11], 3, v[10:11]
	v_dual_mov_b32 v8, v0 :: v_dual_add_nc_u32 v17, 0x800, v17
	s_delay_alu instid0(VALU_DEP_3)
	v_lshl_or_b32 v16, v4, 8, v16
	s_waitcnt lgkmcnt(0)
	v_add_co_u32 v4, vcc_lo, s12, v5
	v_add_co_ci_u32_e32 v5, vcc_lo, s13, v6, vcc_lo
	v_add_co_u32 v6, vcc_lo, s8, v10
	v_add_co_ci_u32_e32 v7, vcc_lo, s9, v11, vcc_lo
	v_dual_mov_b32 v11, v1 :: v_dual_mov_b32 v10, v0
.LBB550_2:                              ; =>This Inner Loop Header: Depth=1
	global_load_b64 v[18:19], v[4:5], off
	global_load_b64 v[20:21], v[6:7], off
	v_add_co_u32 v4, vcc_lo, v4, 64
	v_add_co_ci_u32_e32 v5, vcc_lo, 0, v5, vcc_lo
	v_add_co_u32 v6, vcc_lo, v6, 64
	v_add_co_ci_u32_e32 v7, vcc_lo, 0, v7, vcc_lo
	s_add_i32 s7, s7, 8
	s_waitcnt vmcnt(1)
	ds_store_b64 v16, v[18:19]
	s_waitcnt vmcnt(0)
	ds_store_b64 v17, v[20:21]
	s_waitcnt lgkmcnt(0)
	s_barrier
	buffer_gl0_inv
	ds_load_2addr_b64 v[18:21], v14 offset1:16
	ds_load_b128 v[22:25], v15
	ds_load_b128 v[26:29], v15 offset:1024
	ds_load_b128 v[30:33], v15 offset:16
	;; [unrolled: 1-line block ×3, first 2 shown]
	s_cmp_ge_i32 s7, s3
	s_waitcnt lgkmcnt(3)
	v_fma_f64 v[10:11], v[18:19], v[22:23], v[10:11]
	v_fma_f64 v[8:9], v[20:21], v[22:23], v[8:9]
	s_waitcnt lgkmcnt(2)
	v_fma_f64 v[18:19], v[18:19], v[26:27], v[2:3]
	v_fma_f64 v[20:21], v[20:21], v[26:27], v[0:1]
	ds_load_2addr_b64 v[0:3], v14 offset0:32 offset1:48
	s_waitcnt lgkmcnt(0)
	v_fma_f64 v[10:11], v[0:1], v[24:25], v[10:11]
	v_fma_f64 v[8:9], v[2:3], v[24:25], v[8:9]
	v_fma_f64 v[18:19], v[0:1], v[28:29], v[18:19]
	v_fma_f64 v[20:21], v[2:3], v[28:29], v[20:21]
	ds_load_2addr_b64 v[0:3], v14 offset0:64 offset1:80
	s_waitcnt lgkmcnt(0)
	v_fma_f64 v[10:11], v[0:1], v[30:31], v[10:11]
	v_fma_f64 v[8:9], v[2:3], v[30:31], v[8:9]
	;; [unrolled: 6-line block ×3, first 2 shown]
	v_fma_f64 v[34:35], v[0:1], v[36:37], v[18:19]
	v_fma_f64 v[36:37], v[2:3], v[36:37], v[20:21]
	ds_load_2addr_b64 v[0:3], v14 offset0:128 offset1:144
	ds_load_b128 v[8:11], v15 offset:32
	ds_load_b128 v[18:21], v15 offset:1056
	;; [unrolled: 1-line block ×4, first 2 shown]
	s_waitcnt lgkmcnt(3)
	v_fma_f64 v[30:31], v[0:1], v[8:9], v[30:31]
	v_fma_f64 v[8:9], v[2:3], v[8:9], v[32:33]
	s_waitcnt lgkmcnt(2)
	v_fma_f64 v[32:33], v[0:1], v[18:19], v[34:35]
	v_fma_f64 v[18:19], v[2:3], v[18:19], v[36:37]
	ds_load_2addr_b64 v[0:3], v14 offset0:160 offset1:176
	s_waitcnt lgkmcnt(0)
	v_fma_f64 v[30:31], v[0:1], v[10:11], v[30:31]
	v_fma_f64 v[8:9], v[2:3], v[10:11], v[8:9]
	;; [unrolled: 1-line block ×4, first 2 shown]
	ds_load_2addr_b64 v[0:3], v14 offset0:192 offset1:208
	s_waitcnt lgkmcnt(0)
	v_fma_f64 v[30:31], v[0:1], v[22:23], v[30:31]
	v_fma_f64 v[8:9], v[2:3], v[22:23], v[8:9]
	;; [unrolled: 1-line block ×4, first 2 shown]
	ds_load_2addr_b64 v[18:21], v14 offset0:224 offset1:240
	s_waitcnt lgkmcnt(0)
	s_barrier
	buffer_gl0_inv
	v_fma_f64 v[10:11], v[18:19], v[24:25], v[30:31]
	v_fma_f64 v[8:9], v[20:21], v[24:25], v[8:9]
	;; [unrolled: 1-line block ×4, first 2 shown]
	s_cbranch_scc0 .LBB550_2
.LBB550_3:
	s_load_b32 s3, s[0:1], 0x40
	v_add_nc_u32_e32 v13, s10, v13
	v_add_nc_u32_e32 v4, s6, v12
	s_delay_alu instid0(VALU_DEP_2) | instskip(NEXT) | instid1(VALU_DEP_2)
	v_cmp_gt_i32_e32 vcc_lo, s2, v13
	v_cmp_le_i32_e64 s0, v4, v13
	s_delay_alu instid0(VALU_DEP_1) | instskip(SKIP_2) | instid1(VALU_DEP_1)
	s_and_b32 s0, vcc_lo, s0
	s_waitcnt lgkmcnt(0)
	v_mad_i64_i32 v[5:6], null, v13, s3, 0
	v_lshlrev_b64 v[5:6], 3, v[5:6]
	s_delay_alu instid0(VALU_DEP_1) | instskip(NEXT) | instid1(VALU_DEP_1)
	v_add_co_u32 v12, s1, s4, v5
	v_add_co_ci_u32_e64 v14, s1, s5, v6, s1
	s_and_saveexec_b32 s1, s0
	s_cbranch_execz .LBB550_5
; %bb.4:
	v_ashrrev_i32_e32 v5, 31, v4
	s_delay_alu instid0(VALU_DEP_1) | instskip(NEXT) | instid1(VALU_DEP_1)
	v_lshlrev_b64 v[5:6], 3, v[4:5]
	v_add_co_u32 v5, s0, v12, v5
	s_delay_alu instid0(VALU_DEP_1)
	v_add_co_ci_u32_e64 v6, s0, v14, v6, s0
	global_load_b64 v[15:16], v[5:6], off
	s_waitcnt vmcnt(0)
	v_add_f64 v[10:11], v[10:11], -v[15:16]
	global_store_b64 v[5:6], v[10:11], off
.LBB550_5:
	s_or_b32 exec_lo, exec_lo, s1
	v_add_nc_u32_e32 v6, 16, v4
	s_delay_alu instid0(VALU_DEP_1) | instskip(NEXT) | instid1(VALU_DEP_1)
	v_cmp_le_i32_e64 s0, v6, v13
	s_and_b32 s1, vcc_lo, s0
	s_delay_alu instid0(SALU_CYCLE_1)
	s_and_saveexec_b32 s0, s1
	s_cbranch_execz .LBB550_7
; %bb.6:
	v_ashrrev_i32_e32 v7, 31, v6
	s_delay_alu instid0(VALU_DEP_1) | instskip(NEXT) | instid1(VALU_DEP_1)
	v_lshlrev_b64 v[10:11], 3, v[6:7]
	v_add_co_u32 v10, vcc_lo, v12, v10
	s_delay_alu instid0(VALU_DEP_2)
	v_add_co_ci_u32_e32 v11, vcc_lo, v14, v11, vcc_lo
	global_load_b64 v[14:15], v[10:11], off
	s_waitcnt vmcnt(0)
	v_add_f64 v[7:8], v[8:9], -v[14:15]
	global_store_b64 v[10:11], v[7:8], off
.LBB550_7:
	s_or_b32 exec_lo, exec_lo, s0
	v_add_nc_u32_e32 v7, 16, v13
	s_delay_alu instid0(VALU_DEP_1) | instskip(SKIP_2) | instid1(VALU_DEP_1)
	v_mad_i64_i32 v[8:9], null, v7, s3, 0
	v_cmp_gt_i32_e32 vcc_lo, s2, v7
	v_cmp_le_i32_e64 s0, v4, v7
	s_and_b32 s0, vcc_lo, s0
	s_delay_alu instid0(VALU_DEP_3) | instskip(NEXT) | instid1(VALU_DEP_1)
	v_lshlrev_b64 v[8:9], 3, v[8:9]
	v_add_co_u32 v8, s1, s4, v8
	s_delay_alu instid0(VALU_DEP_1)
	v_add_co_ci_u32_e64 v9, s1, s5, v9, s1
	s_and_saveexec_b32 s1, s0
	s_cbranch_execz .LBB550_9
; %bb.8:
	v_ashrrev_i32_e32 v5, 31, v4
	s_delay_alu instid0(VALU_DEP_1) | instskip(NEXT) | instid1(VALU_DEP_1)
	v_lshlrev_b64 v[4:5], 3, v[4:5]
	v_add_co_u32 v4, s0, v8, v4
	s_delay_alu instid0(VALU_DEP_1)
	v_add_co_ci_u32_e64 v5, s0, v9, v5, s0
	global_load_b64 v[10:11], v[4:5], off
	s_waitcnt vmcnt(0)
	v_add_f64 v[2:3], v[2:3], -v[10:11]
	global_store_b64 v[4:5], v[2:3], off
.LBB550_9:
	s_or_b32 exec_lo, exec_lo, s1
	v_cmp_le_i32_e64 s0, v6, v7
	s_delay_alu instid0(VALU_DEP_1) | instskip(NEXT) | instid1(SALU_CYCLE_1)
	s_and_b32 s0, vcc_lo, s0
	s_and_saveexec_b32 s1, s0
	s_cbranch_execz .LBB550_11
; %bb.10:
	v_ashrrev_i32_e32 v7, 31, v6
	s_delay_alu instid0(VALU_DEP_1) | instskip(NEXT) | instid1(VALU_DEP_1)
	v_lshlrev_b64 v[2:3], 3, v[6:7]
	v_add_co_u32 v2, vcc_lo, v8, v2
	s_delay_alu instid0(VALU_DEP_2)
	v_add_co_ci_u32_e32 v3, vcc_lo, v9, v3, vcc_lo
	global_load_b64 v[4:5], v[2:3], off
	s_waitcnt vmcnt(0)
	v_add_f64 v[0:1], v[0:1], -v[4:5]
	global_store_b64 v[2:3], v[0:1], off
.LBB550_11:
	s_nop 0
	s_sendmsg sendmsg(MSG_DEALLOC_VGPRS)
	s_endpgm
	.section	.rodata,"a",@progbits
	.p2align	6, 0x0
	.amdhsa_kernel _ZL37rocblas_syrkx_herkx_restricted_kernelIidLi16ELi32ELi8ELi1ELin1ELb0ELc84ELc85EKPKdKPdEviT_PT9_S5_lS7_S5_lPT10_S5_li
		.amdhsa_group_segment_fixed_size 4096
		.amdhsa_private_segment_fixed_size 0
		.amdhsa_kernarg_size 84
		.amdhsa_user_sgpr_count 13
		.amdhsa_user_sgpr_dispatch_ptr 0
		.amdhsa_user_sgpr_queue_ptr 0
		.amdhsa_user_sgpr_kernarg_segment_ptr 1
		.amdhsa_user_sgpr_dispatch_id 0
		.amdhsa_user_sgpr_private_segment_size 0
		.amdhsa_wavefront_size32 1
		.amdhsa_uses_dynamic_stack 0
		.amdhsa_enable_private_segment 0
		.amdhsa_system_sgpr_workgroup_id_x 1
		.amdhsa_system_sgpr_workgroup_id_y 1
		.amdhsa_system_sgpr_workgroup_id_z 1
		.amdhsa_system_sgpr_workgroup_info 0
		.amdhsa_system_vgpr_workitem_id 1
		.amdhsa_next_free_vgpr 38
		.amdhsa_next_free_sgpr 17
		.amdhsa_reserve_vcc 1
		.amdhsa_float_round_mode_32 0
		.amdhsa_float_round_mode_16_64 0
		.amdhsa_float_denorm_mode_32 3
		.amdhsa_float_denorm_mode_16_64 3
		.amdhsa_dx10_clamp 1
		.amdhsa_ieee_mode 1
		.amdhsa_fp16_overflow 0
		.amdhsa_workgroup_processor_mode 1
		.amdhsa_memory_ordered 1
		.amdhsa_forward_progress 0
		.amdhsa_shared_vgpr_count 0
		.amdhsa_exception_fp_ieee_invalid_op 0
		.amdhsa_exception_fp_denorm_src 0
		.amdhsa_exception_fp_ieee_div_zero 0
		.amdhsa_exception_fp_ieee_overflow 0
		.amdhsa_exception_fp_ieee_underflow 0
		.amdhsa_exception_fp_ieee_inexact 0
		.amdhsa_exception_int_div_zero 0
	.end_amdhsa_kernel
	.section	.text._ZL37rocblas_syrkx_herkx_restricted_kernelIidLi16ELi32ELi8ELi1ELin1ELb0ELc84ELc85EKPKdKPdEviT_PT9_S5_lS7_S5_lPT10_S5_li,"axG",@progbits,_ZL37rocblas_syrkx_herkx_restricted_kernelIidLi16ELi32ELi8ELi1ELin1ELb0ELc84ELc85EKPKdKPdEviT_PT9_S5_lS7_S5_lPT10_S5_li,comdat
.Lfunc_end550:
	.size	_ZL37rocblas_syrkx_herkx_restricted_kernelIidLi16ELi32ELi8ELi1ELin1ELb0ELc84ELc85EKPKdKPdEviT_PT9_S5_lS7_S5_lPT10_S5_li, .Lfunc_end550-_ZL37rocblas_syrkx_herkx_restricted_kernelIidLi16ELi32ELi8ELi1ELin1ELb0ELc84ELc85EKPKdKPdEviT_PT9_S5_lS7_S5_lPT10_S5_li
                                        ; -- End function
	.section	.AMDGPU.csdata,"",@progbits
; Kernel info:
; codeLenInByte = 1400
; NumSgprs: 19
; NumVgprs: 38
; ScratchSize: 0
; MemoryBound: 0
; FloatMode: 240
; IeeeMode: 1
; LDSByteSize: 4096 bytes/workgroup (compile time only)
; SGPRBlocks: 2
; VGPRBlocks: 4
; NumSGPRsForWavesPerEU: 19
; NumVGPRsForWavesPerEU: 38
; Occupancy: 16
; WaveLimiterHint : 1
; COMPUTE_PGM_RSRC2:SCRATCH_EN: 0
; COMPUTE_PGM_RSRC2:USER_SGPR: 13
; COMPUTE_PGM_RSRC2:TRAP_HANDLER: 0
; COMPUTE_PGM_RSRC2:TGID_X_EN: 1
; COMPUTE_PGM_RSRC2:TGID_Y_EN: 1
; COMPUTE_PGM_RSRC2:TGID_Z_EN: 1
; COMPUTE_PGM_RSRC2:TIDIG_COMP_CNT: 1
	.section	.text._ZL37rocblas_syrkx_herkx_restricted_kernelIidLi16ELi32ELi8ELi1ELin1ELb0ELc67ELc85EKPKdKPdEviT_PT9_S5_lS7_S5_lPT10_S5_li,"axG",@progbits,_ZL37rocblas_syrkx_herkx_restricted_kernelIidLi16ELi32ELi8ELi1ELin1ELb0ELc67ELc85EKPKdKPdEviT_PT9_S5_lS7_S5_lPT10_S5_li,comdat
	.globl	_ZL37rocblas_syrkx_herkx_restricted_kernelIidLi16ELi32ELi8ELi1ELin1ELb0ELc67ELc85EKPKdKPdEviT_PT9_S5_lS7_S5_lPT10_S5_li ; -- Begin function _ZL37rocblas_syrkx_herkx_restricted_kernelIidLi16ELi32ELi8ELi1ELin1ELb0ELc67ELc85EKPKdKPdEviT_PT9_S5_lS7_S5_lPT10_S5_li
	.p2align	8
	.type	_ZL37rocblas_syrkx_herkx_restricted_kernelIidLi16ELi32ELi8ELi1ELin1ELb0ELc67ELc85EKPKdKPdEviT_PT9_S5_lS7_S5_lPT10_S5_li,@function
_ZL37rocblas_syrkx_herkx_restricted_kernelIidLi16ELi32ELi8ELi1ELin1ELb0ELc67ELc85EKPKdKPdEviT_PT9_S5_lS7_S5_lPT10_S5_li: ; @_ZL37rocblas_syrkx_herkx_restricted_kernelIidLi16ELi32ELi8ELi1ELin1ELb0ELc67ELc85EKPKdKPdEviT_PT9_S5_lS7_S5_lPT10_S5_li
; %bb.0:
	s_clause 0x1
	s_load_b64 s[4:5], s[0:1], 0x38
	s_load_b64 s[2:3], s[0:1], 0x0
	s_mov_b32 s6, s15
	s_mov_b32 s7, 0
	v_mov_b32_e32 v10, 0
	s_lshl_b64 s[8:9], s[6:7], 3
	v_dual_mov_b32 v11, 0 :: v_dual_and_b32 v12, 0x3ff, v0
	v_bfe_u32 v13, v0, 10, 10
	s_delay_alu instid0(VALU_DEP_3) | instskip(NEXT) | instid1(VALU_DEP_3)
	v_mov_b32_e32 v8, v10
	v_dual_mov_b32 v2, v10 :: v_dual_mov_b32 v3, v11
	v_dual_mov_b32 v9, v11 :: v_dual_mov_b32 v0, v10
	v_mov_b32_e32 v1, v11
	s_waitcnt lgkmcnt(0)
	s_add_u32 s4, s4, s8
	s_addc_u32 s5, s5, s9
	s_lshl_b32 s6, s13, 5
	s_load_b64 s[4:5], s[4:5], 0x0
	s_lshl_b32 s10, s14, 5
	s_cmp_lt_i32 s3, 1
	s_cbranch_scc1 .LBB551_3
; %bb.1:
	s_clause 0x3
	s_load_b64 s[12:13], s[0:1], 0x8
	s_load_b64 s[14:15], s[0:1], 0x20
	s_load_b32 s11, s[0:1], 0x10
	s_load_b32 s16, s[0:1], 0x28
	v_lshl_add_u32 v4, v13, 4, v12
	v_dual_mov_b32 v3, 0 :: v_dual_and_b32 v2, 7, v12
	v_mov_b32_e32 v0, 0
	v_dual_mov_b32 v1, 0 :: v_dual_lshlrev_b32 v14, 3, v12
	s_delay_alu instid0(VALU_DEP_4)
	v_and_b32_e32 v9, 31, v4
	v_lshrrev_b32_e32 v8, 3, v4
	v_lshrrev_b32_e32 v4, 5, v4
	v_mov_b32_e32 v5, v3
	v_lshl_add_u32 v15, v13, 6, 0x800
	v_add_nc_u32_e32 v10, s6, v9
	v_add_nc_u32_e32 v16, s10, v8
	s_waitcnt lgkmcnt(0)
	s_add_u32 s12, s12, s8
	s_addc_u32 s13, s13, s9
	s_add_u32 s8, s14, s8
	s_load_b64 s[12:13], s[12:13], 0x0
	s_addc_u32 s9, s15, s9
	v_mad_i64_i32 v[6:7], null, s11, v10, v[4:5]
	s_load_b64 s[8:9], s[8:9], 0x0
	v_lshlrev_b32_e32 v5, 3, v2
	v_mad_i64_i32 v[10:11], null, s16, v16, v[2:3]
	v_dual_mov_b32 v3, v1 :: v_dual_mov_b32 v2, v0
	s_delay_alu instid0(VALU_DEP_3) | instskip(SKIP_3) | instid1(VALU_DEP_4)
	v_lshl_or_b32 v17, v8, 6, v5
	v_lshlrev_b64 v[5:6], 3, v[6:7]
	v_dual_mov_b32 v9, v1 :: v_dual_lshlrev_b32 v16, 3, v9
	v_lshlrev_b64 v[10:11], 3, v[10:11]
	v_dual_mov_b32 v8, v0 :: v_dual_add_nc_u32 v17, 0x800, v17
	s_delay_alu instid0(VALU_DEP_3)
	v_lshl_or_b32 v16, v4, 8, v16
	s_waitcnt lgkmcnt(0)
	v_add_co_u32 v4, vcc_lo, s12, v5
	v_add_co_ci_u32_e32 v5, vcc_lo, s13, v6, vcc_lo
	v_add_co_u32 v6, vcc_lo, s8, v10
	v_add_co_ci_u32_e32 v7, vcc_lo, s9, v11, vcc_lo
	v_dual_mov_b32 v11, v1 :: v_dual_mov_b32 v10, v0
.LBB551_2:                              ; =>This Inner Loop Header: Depth=1
	global_load_b64 v[18:19], v[4:5], off
	global_load_b64 v[20:21], v[6:7], off
	v_add_co_u32 v4, vcc_lo, v4, 64
	v_add_co_ci_u32_e32 v5, vcc_lo, 0, v5, vcc_lo
	v_add_co_u32 v6, vcc_lo, v6, 64
	v_add_co_ci_u32_e32 v7, vcc_lo, 0, v7, vcc_lo
	s_add_i32 s7, s7, 8
	s_waitcnt vmcnt(1)
	ds_store_b64 v16, v[18:19]
	s_waitcnt vmcnt(0)
	ds_store_b64 v17, v[20:21]
	s_waitcnt lgkmcnt(0)
	s_barrier
	buffer_gl0_inv
	ds_load_2addr_b64 v[18:21], v14 offset1:16
	ds_load_b128 v[22:25], v15
	ds_load_b128 v[26:29], v15 offset:1024
	ds_load_b128 v[30:33], v15 offset:16
	;; [unrolled: 1-line block ×3, first 2 shown]
	s_cmp_ge_i32 s7, s3
	s_waitcnt lgkmcnt(3)
	v_fma_f64 v[10:11], v[18:19], v[22:23], v[10:11]
	v_fma_f64 v[8:9], v[20:21], v[22:23], v[8:9]
	s_waitcnt lgkmcnt(2)
	v_fma_f64 v[18:19], v[18:19], v[26:27], v[2:3]
	v_fma_f64 v[20:21], v[20:21], v[26:27], v[0:1]
	ds_load_2addr_b64 v[0:3], v14 offset0:32 offset1:48
	s_waitcnt lgkmcnt(0)
	v_fma_f64 v[10:11], v[0:1], v[24:25], v[10:11]
	v_fma_f64 v[8:9], v[2:3], v[24:25], v[8:9]
	v_fma_f64 v[18:19], v[0:1], v[28:29], v[18:19]
	v_fma_f64 v[20:21], v[2:3], v[28:29], v[20:21]
	ds_load_2addr_b64 v[0:3], v14 offset0:64 offset1:80
	s_waitcnt lgkmcnt(0)
	v_fma_f64 v[10:11], v[0:1], v[30:31], v[10:11]
	v_fma_f64 v[8:9], v[2:3], v[30:31], v[8:9]
	;; [unrolled: 6-line block ×3, first 2 shown]
	v_fma_f64 v[34:35], v[0:1], v[36:37], v[18:19]
	v_fma_f64 v[36:37], v[2:3], v[36:37], v[20:21]
	ds_load_2addr_b64 v[0:3], v14 offset0:128 offset1:144
	ds_load_b128 v[8:11], v15 offset:32
	ds_load_b128 v[18:21], v15 offset:1056
	;; [unrolled: 1-line block ×4, first 2 shown]
	s_waitcnt lgkmcnt(3)
	v_fma_f64 v[30:31], v[0:1], v[8:9], v[30:31]
	v_fma_f64 v[8:9], v[2:3], v[8:9], v[32:33]
	s_waitcnt lgkmcnt(2)
	v_fma_f64 v[32:33], v[0:1], v[18:19], v[34:35]
	v_fma_f64 v[18:19], v[2:3], v[18:19], v[36:37]
	ds_load_2addr_b64 v[0:3], v14 offset0:160 offset1:176
	s_waitcnt lgkmcnt(0)
	v_fma_f64 v[30:31], v[0:1], v[10:11], v[30:31]
	v_fma_f64 v[8:9], v[2:3], v[10:11], v[8:9]
	v_fma_f64 v[10:11], v[0:1], v[20:21], v[32:33]
	v_fma_f64 v[18:19], v[2:3], v[20:21], v[18:19]
	ds_load_2addr_b64 v[0:3], v14 offset0:192 offset1:208
	s_waitcnt lgkmcnt(0)
	v_fma_f64 v[30:31], v[0:1], v[22:23], v[30:31]
	v_fma_f64 v[8:9], v[2:3], v[22:23], v[8:9]
	v_fma_f64 v[0:1], v[0:1], v[26:27], v[10:11]
	v_fma_f64 v[22:23], v[2:3], v[26:27], v[18:19]
	ds_load_2addr_b64 v[18:21], v14 offset0:224 offset1:240
	s_waitcnt lgkmcnt(0)
	s_barrier
	buffer_gl0_inv
	v_fma_f64 v[10:11], v[18:19], v[24:25], v[30:31]
	v_fma_f64 v[8:9], v[20:21], v[24:25], v[8:9]
	;; [unrolled: 1-line block ×4, first 2 shown]
	s_cbranch_scc0 .LBB551_2
.LBB551_3:
	s_load_b32 s3, s[0:1], 0x40
	v_add_nc_u32_e32 v13, s10, v13
	v_add_nc_u32_e32 v4, s6, v12
	s_delay_alu instid0(VALU_DEP_2) | instskip(NEXT) | instid1(VALU_DEP_2)
	v_cmp_gt_i32_e32 vcc_lo, s2, v13
	v_cmp_le_i32_e64 s0, v4, v13
	s_delay_alu instid0(VALU_DEP_1) | instskip(SKIP_2) | instid1(VALU_DEP_1)
	s_and_b32 s0, vcc_lo, s0
	s_waitcnt lgkmcnt(0)
	v_mad_i64_i32 v[5:6], null, v13, s3, 0
	v_lshlrev_b64 v[5:6], 3, v[5:6]
	s_delay_alu instid0(VALU_DEP_1) | instskip(NEXT) | instid1(VALU_DEP_1)
	v_add_co_u32 v12, s1, s4, v5
	v_add_co_ci_u32_e64 v14, s1, s5, v6, s1
	s_and_saveexec_b32 s1, s0
	s_cbranch_execz .LBB551_5
; %bb.4:
	v_ashrrev_i32_e32 v5, 31, v4
	s_delay_alu instid0(VALU_DEP_1) | instskip(NEXT) | instid1(VALU_DEP_1)
	v_lshlrev_b64 v[5:6], 3, v[4:5]
	v_add_co_u32 v5, s0, v12, v5
	s_delay_alu instid0(VALU_DEP_1)
	v_add_co_ci_u32_e64 v6, s0, v14, v6, s0
	global_load_b64 v[15:16], v[5:6], off
	s_waitcnt vmcnt(0)
	v_add_f64 v[10:11], v[10:11], -v[15:16]
	global_store_b64 v[5:6], v[10:11], off
.LBB551_5:
	s_or_b32 exec_lo, exec_lo, s1
	v_add_nc_u32_e32 v6, 16, v4
	s_delay_alu instid0(VALU_DEP_1) | instskip(NEXT) | instid1(VALU_DEP_1)
	v_cmp_le_i32_e64 s0, v6, v13
	s_and_b32 s1, vcc_lo, s0
	s_delay_alu instid0(SALU_CYCLE_1)
	s_and_saveexec_b32 s0, s1
	s_cbranch_execz .LBB551_7
; %bb.6:
	v_ashrrev_i32_e32 v7, 31, v6
	s_delay_alu instid0(VALU_DEP_1) | instskip(NEXT) | instid1(VALU_DEP_1)
	v_lshlrev_b64 v[10:11], 3, v[6:7]
	v_add_co_u32 v10, vcc_lo, v12, v10
	s_delay_alu instid0(VALU_DEP_2)
	v_add_co_ci_u32_e32 v11, vcc_lo, v14, v11, vcc_lo
	global_load_b64 v[14:15], v[10:11], off
	s_waitcnt vmcnt(0)
	v_add_f64 v[7:8], v[8:9], -v[14:15]
	global_store_b64 v[10:11], v[7:8], off
.LBB551_7:
	s_or_b32 exec_lo, exec_lo, s0
	v_add_nc_u32_e32 v7, 16, v13
	s_delay_alu instid0(VALU_DEP_1) | instskip(SKIP_2) | instid1(VALU_DEP_1)
	v_mad_i64_i32 v[8:9], null, v7, s3, 0
	v_cmp_gt_i32_e32 vcc_lo, s2, v7
	v_cmp_le_i32_e64 s0, v4, v7
	s_and_b32 s0, vcc_lo, s0
	s_delay_alu instid0(VALU_DEP_3) | instskip(NEXT) | instid1(VALU_DEP_1)
	v_lshlrev_b64 v[8:9], 3, v[8:9]
	v_add_co_u32 v8, s1, s4, v8
	s_delay_alu instid0(VALU_DEP_1)
	v_add_co_ci_u32_e64 v9, s1, s5, v9, s1
	s_and_saveexec_b32 s1, s0
	s_cbranch_execz .LBB551_9
; %bb.8:
	v_ashrrev_i32_e32 v5, 31, v4
	s_delay_alu instid0(VALU_DEP_1) | instskip(NEXT) | instid1(VALU_DEP_1)
	v_lshlrev_b64 v[4:5], 3, v[4:5]
	v_add_co_u32 v4, s0, v8, v4
	s_delay_alu instid0(VALU_DEP_1)
	v_add_co_ci_u32_e64 v5, s0, v9, v5, s0
	global_load_b64 v[10:11], v[4:5], off
	s_waitcnt vmcnt(0)
	v_add_f64 v[2:3], v[2:3], -v[10:11]
	global_store_b64 v[4:5], v[2:3], off
.LBB551_9:
	s_or_b32 exec_lo, exec_lo, s1
	v_cmp_le_i32_e64 s0, v6, v7
	s_delay_alu instid0(VALU_DEP_1) | instskip(NEXT) | instid1(SALU_CYCLE_1)
	s_and_b32 s0, vcc_lo, s0
	s_and_saveexec_b32 s1, s0
	s_cbranch_execz .LBB551_11
; %bb.10:
	v_ashrrev_i32_e32 v7, 31, v6
	s_delay_alu instid0(VALU_DEP_1) | instskip(NEXT) | instid1(VALU_DEP_1)
	v_lshlrev_b64 v[2:3], 3, v[6:7]
	v_add_co_u32 v2, vcc_lo, v8, v2
	s_delay_alu instid0(VALU_DEP_2)
	v_add_co_ci_u32_e32 v3, vcc_lo, v9, v3, vcc_lo
	global_load_b64 v[4:5], v[2:3], off
	s_waitcnt vmcnt(0)
	v_add_f64 v[0:1], v[0:1], -v[4:5]
	global_store_b64 v[2:3], v[0:1], off
.LBB551_11:
	s_nop 0
	s_sendmsg sendmsg(MSG_DEALLOC_VGPRS)
	s_endpgm
	.section	.rodata,"a",@progbits
	.p2align	6, 0x0
	.amdhsa_kernel _ZL37rocblas_syrkx_herkx_restricted_kernelIidLi16ELi32ELi8ELi1ELin1ELb0ELc67ELc85EKPKdKPdEviT_PT9_S5_lS7_S5_lPT10_S5_li
		.amdhsa_group_segment_fixed_size 4096
		.amdhsa_private_segment_fixed_size 0
		.amdhsa_kernarg_size 84
		.amdhsa_user_sgpr_count 13
		.amdhsa_user_sgpr_dispatch_ptr 0
		.amdhsa_user_sgpr_queue_ptr 0
		.amdhsa_user_sgpr_kernarg_segment_ptr 1
		.amdhsa_user_sgpr_dispatch_id 0
		.amdhsa_user_sgpr_private_segment_size 0
		.amdhsa_wavefront_size32 1
		.amdhsa_uses_dynamic_stack 0
		.amdhsa_enable_private_segment 0
		.amdhsa_system_sgpr_workgroup_id_x 1
		.amdhsa_system_sgpr_workgroup_id_y 1
		.amdhsa_system_sgpr_workgroup_id_z 1
		.amdhsa_system_sgpr_workgroup_info 0
		.amdhsa_system_vgpr_workitem_id 1
		.amdhsa_next_free_vgpr 38
		.amdhsa_next_free_sgpr 17
		.amdhsa_reserve_vcc 1
		.amdhsa_float_round_mode_32 0
		.amdhsa_float_round_mode_16_64 0
		.amdhsa_float_denorm_mode_32 3
		.amdhsa_float_denorm_mode_16_64 3
		.amdhsa_dx10_clamp 1
		.amdhsa_ieee_mode 1
		.amdhsa_fp16_overflow 0
		.amdhsa_workgroup_processor_mode 1
		.amdhsa_memory_ordered 1
		.amdhsa_forward_progress 0
		.amdhsa_shared_vgpr_count 0
		.amdhsa_exception_fp_ieee_invalid_op 0
		.amdhsa_exception_fp_denorm_src 0
		.amdhsa_exception_fp_ieee_div_zero 0
		.amdhsa_exception_fp_ieee_overflow 0
		.amdhsa_exception_fp_ieee_underflow 0
		.amdhsa_exception_fp_ieee_inexact 0
		.amdhsa_exception_int_div_zero 0
	.end_amdhsa_kernel
	.section	.text._ZL37rocblas_syrkx_herkx_restricted_kernelIidLi16ELi32ELi8ELi1ELin1ELb0ELc67ELc85EKPKdKPdEviT_PT9_S5_lS7_S5_lPT10_S5_li,"axG",@progbits,_ZL37rocblas_syrkx_herkx_restricted_kernelIidLi16ELi32ELi8ELi1ELin1ELb0ELc67ELc85EKPKdKPdEviT_PT9_S5_lS7_S5_lPT10_S5_li,comdat
.Lfunc_end551:
	.size	_ZL37rocblas_syrkx_herkx_restricted_kernelIidLi16ELi32ELi8ELi1ELin1ELb0ELc67ELc85EKPKdKPdEviT_PT9_S5_lS7_S5_lPT10_S5_li, .Lfunc_end551-_ZL37rocblas_syrkx_herkx_restricted_kernelIidLi16ELi32ELi8ELi1ELin1ELb0ELc67ELc85EKPKdKPdEviT_PT9_S5_lS7_S5_lPT10_S5_li
                                        ; -- End function
	.section	.AMDGPU.csdata,"",@progbits
; Kernel info:
; codeLenInByte = 1400
; NumSgprs: 19
; NumVgprs: 38
; ScratchSize: 0
; MemoryBound: 0
; FloatMode: 240
; IeeeMode: 1
; LDSByteSize: 4096 bytes/workgroup (compile time only)
; SGPRBlocks: 2
; VGPRBlocks: 4
; NumSGPRsForWavesPerEU: 19
; NumVGPRsForWavesPerEU: 38
; Occupancy: 16
; WaveLimiterHint : 1
; COMPUTE_PGM_RSRC2:SCRATCH_EN: 0
; COMPUTE_PGM_RSRC2:USER_SGPR: 13
; COMPUTE_PGM_RSRC2:TRAP_HANDLER: 0
; COMPUTE_PGM_RSRC2:TGID_X_EN: 1
; COMPUTE_PGM_RSRC2:TGID_Y_EN: 1
; COMPUTE_PGM_RSRC2:TGID_Z_EN: 1
; COMPUTE_PGM_RSRC2:TIDIG_COMP_CNT: 1
	.section	.text._ZL37rocblas_syrkx_herkx_restricted_kernelIidLi16ELi32ELi8ELi1ELin1ELb0ELc78ELc85EKPKdKPdEviT_PT9_S5_lS7_S5_lPT10_S5_li,"axG",@progbits,_ZL37rocblas_syrkx_herkx_restricted_kernelIidLi16ELi32ELi8ELi1ELin1ELb0ELc78ELc85EKPKdKPdEviT_PT9_S5_lS7_S5_lPT10_S5_li,comdat
	.globl	_ZL37rocblas_syrkx_herkx_restricted_kernelIidLi16ELi32ELi8ELi1ELin1ELb0ELc78ELc85EKPKdKPdEviT_PT9_S5_lS7_S5_lPT10_S5_li ; -- Begin function _ZL37rocblas_syrkx_herkx_restricted_kernelIidLi16ELi32ELi8ELi1ELin1ELb0ELc78ELc85EKPKdKPdEviT_PT9_S5_lS7_S5_lPT10_S5_li
	.p2align	8
	.type	_ZL37rocblas_syrkx_herkx_restricted_kernelIidLi16ELi32ELi8ELi1ELin1ELb0ELc78ELc85EKPKdKPdEviT_PT9_S5_lS7_S5_lPT10_S5_li,@function
_ZL37rocblas_syrkx_herkx_restricted_kernelIidLi16ELi32ELi8ELi1ELin1ELb0ELc78ELc85EKPKdKPdEviT_PT9_S5_lS7_S5_lPT10_S5_li: ; @_ZL37rocblas_syrkx_herkx_restricted_kernelIidLi16ELi32ELi8ELi1ELin1ELb0ELc78ELc85EKPKdKPdEviT_PT9_S5_lS7_S5_lPT10_S5_li
; %bb.0:
	s_clause 0x1
	s_load_b64 s[4:5], s[0:1], 0x38
	s_load_b64 s[2:3], s[0:1], 0x0
	s_mov_b32 s6, s15
	s_mov_b32 s7, 0
	v_mov_b32_e32 v10, 0
	s_lshl_b64 s[8:9], s[6:7], 3
	v_dual_mov_b32 v11, 0 :: v_dual_and_b32 v12, 0x3ff, v0
	v_bfe_u32 v13, v0, 10, 10
	s_delay_alu instid0(VALU_DEP_3) | instskip(NEXT) | instid1(VALU_DEP_3)
	v_mov_b32_e32 v8, v10
	v_dual_mov_b32 v2, v10 :: v_dual_mov_b32 v3, v11
	v_dual_mov_b32 v9, v11 :: v_dual_mov_b32 v0, v10
	v_mov_b32_e32 v1, v11
	s_waitcnt lgkmcnt(0)
	s_add_u32 s4, s4, s8
	s_addc_u32 s5, s5, s9
	s_lshl_b32 s6, s13, 5
	s_load_b64 s[4:5], s[4:5], 0x0
	s_lshl_b32 s12, s14, 5
	s_cmp_lt_i32 s3, 1
	s_cbranch_scc1 .LBB552_3
; %bb.1:
	s_clause 0x3
	s_load_b32 s10, s[0:1], 0x10
	s_load_b32 s14, s[0:1], 0x28
	s_load_b64 s[16:17], s[0:1], 0x8
	s_load_b64 s[18:19], s[0:1], 0x20
	v_lshl_add_u32 v2, v13, 4, v12
	v_mov_b32_e32 v0, 0
	v_dual_mov_b32 v1, 0 :: v_dual_and_b32 v8, 7, v12
	v_lshlrev_b32_e32 v14, 3, v12
	s_delay_alu instid0(VALU_DEP_4)
	v_and_b32_e32 v10, 31, v2
	v_lshrrev_b32_e32 v9, 3, v2
	v_lshrrev_b32_e32 v11, 5, v2
	v_lshlrev_b32_e32 v16, 3, v8
	v_lshl_add_u32 v15, v13, 6, 0x800
	v_add_nc_u32_e32 v4, s6, v10
	v_add_nc_u32_e32 v2, s12, v9
	s_delay_alu instid0(VALU_DEP_4) | instskip(NEXT) | instid1(VALU_DEP_3)
	v_lshl_or_b32 v17, v9, 6, v16
	v_ashrrev_i32_e32 v5, 31, v4
	s_waitcnt lgkmcnt(0)
	s_ashr_i32 s11, s10, 31
	s_ashr_i32 s15, s14, 31
	s_add_u32 s16, s16, s8
	s_addc_u32 s17, s17, s9
	s_add_u32 s8, s18, s8
	s_load_b64 s[16:17], s[16:17], 0x0
	s_addc_u32 s9, s19, s9
	v_ashrrev_i32_e32 v3, 31, v2
	s_load_b64 s[8:9], s[8:9], 0x0
	v_mad_i64_i32 v[6:7], null, s10, v11, v[4:5]
	v_add_nc_u32_e32 v17, 0x800, v17
	s_delay_alu instid0(VALU_DEP_3)
	v_mad_i64_i32 v[4:5], null, s14, v8, v[2:3]
	v_dual_mov_b32 v3, v1 :: v_dual_lshlrev_b32 v10, 3, v10
	v_mov_b32_e32 v9, v1
	v_lshlrev_b64 v[6:7], 3, v[6:7]
	v_mov_b32_e32 v2, v0
	v_mov_b32_e32 v8, v0
	v_lshl_or_b32 v16, v11, 8, v10
	v_lshlrev_b64 v[10:11], 3, v[4:5]
	s_waitcnt lgkmcnt(0)
	v_add_co_u32 v4, vcc_lo, s16, v6
	v_add_co_ci_u32_e32 v5, vcc_lo, s17, v7, vcc_lo
	s_delay_alu instid0(VALU_DEP_3) | instskip(NEXT) | instid1(VALU_DEP_4)
	v_add_co_u32 v6, vcc_lo, s8, v10
	v_add_co_ci_u32_e32 v7, vcc_lo, s9, v11, vcc_lo
	v_dual_mov_b32 v11, v1 :: v_dual_mov_b32 v10, v0
	s_lshl_b64 s[8:9], s[10:11], 6
	s_lshl_b64 s[10:11], s[14:15], 6
.LBB552_2:                              ; =>This Inner Loop Header: Depth=1
	global_load_b64 v[18:19], v[4:5], off
	global_load_b64 v[20:21], v[6:7], off
	v_add_co_u32 v4, vcc_lo, v4, s8
	v_add_co_ci_u32_e32 v5, vcc_lo, s9, v5, vcc_lo
	v_add_co_u32 v6, vcc_lo, v6, s10
	v_add_co_ci_u32_e32 v7, vcc_lo, s11, v7, vcc_lo
	s_add_i32 s7, s7, 8
	s_waitcnt vmcnt(1)
	ds_store_b64 v16, v[18:19]
	s_waitcnt vmcnt(0)
	ds_store_b64 v17, v[20:21]
	s_waitcnt lgkmcnt(0)
	s_barrier
	buffer_gl0_inv
	ds_load_2addr_b64 v[18:21], v14 offset1:16
	ds_load_b128 v[22:25], v15
	ds_load_b128 v[26:29], v15 offset:1024
	ds_load_b128 v[30:33], v15 offset:16
	;; [unrolled: 1-line block ×3, first 2 shown]
	s_cmp_ge_i32 s7, s3
	s_waitcnt lgkmcnt(3)
	v_fma_f64 v[10:11], v[18:19], v[22:23], v[10:11]
	v_fma_f64 v[8:9], v[20:21], v[22:23], v[8:9]
	s_waitcnt lgkmcnt(2)
	v_fma_f64 v[18:19], v[18:19], v[26:27], v[2:3]
	v_fma_f64 v[20:21], v[20:21], v[26:27], v[0:1]
	ds_load_2addr_b64 v[0:3], v14 offset0:32 offset1:48
	s_waitcnt lgkmcnt(0)
	v_fma_f64 v[10:11], v[0:1], v[24:25], v[10:11]
	v_fma_f64 v[8:9], v[2:3], v[24:25], v[8:9]
	v_fma_f64 v[18:19], v[0:1], v[28:29], v[18:19]
	v_fma_f64 v[20:21], v[2:3], v[28:29], v[20:21]
	ds_load_2addr_b64 v[0:3], v14 offset0:64 offset1:80
	s_waitcnt lgkmcnt(0)
	v_fma_f64 v[10:11], v[0:1], v[30:31], v[10:11]
	v_fma_f64 v[8:9], v[2:3], v[30:31], v[8:9]
	;; [unrolled: 6-line block ×3, first 2 shown]
	v_fma_f64 v[34:35], v[0:1], v[36:37], v[18:19]
	v_fma_f64 v[36:37], v[2:3], v[36:37], v[20:21]
	ds_load_2addr_b64 v[0:3], v14 offset0:128 offset1:144
	ds_load_b128 v[8:11], v15 offset:32
	ds_load_b128 v[18:21], v15 offset:1056
	;; [unrolled: 1-line block ×4, first 2 shown]
	s_waitcnt lgkmcnt(3)
	v_fma_f64 v[30:31], v[0:1], v[8:9], v[30:31]
	v_fma_f64 v[8:9], v[2:3], v[8:9], v[32:33]
	s_waitcnt lgkmcnt(2)
	v_fma_f64 v[32:33], v[0:1], v[18:19], v[34:35]
	v_fma_f64 v[18:19], v[2:3], v[18:19], v[36:37]
	ds_load_2addr_b64 v[0:3], v14 offset0:160 offset1:176
	s_waitcnt lgkmcnt(0)
	v_fma_f64 v[30:31], v[0:1], v[10:11], v[30:31]
	v_fma_f64 v[8:9], v[2:3], v[10:11], v[8:9]
	;; [unrolled: 1-line block ×4, first 2 shown]
	ds_load_2addr_b64 v[0:3], v14 offset0:192 offset1:208
	s_waitcnt lgkmcnt(0)
	v_fma_f64 v[30:31], v[0:1], v[22:23], v[30:31]
	v_fma_f64 v[8:9], v[2:3], v[22:23], v[8:9]
	;; [unrolled: 1-line block ×4, first 2 shown]
	ds_load_2addr_b64 v[18:21], v14 offset0:224 offset1:240
	s_waitcnt lgkmcnt(0)
	s_barrier
	buffer_gl0_inv
	v_fma_f64 v[10:11], v[18:19], v[24:25], v[30:31]
	v_fma_f64 v[8:9], v[20:21], v[24:25], v[8:9]
	v_fma_f64 v[2:3], v[18:19], v[28:29], v[0:1]
	v_fma_f64 v[0:1], v[20:21], v[28:29], v[22:23]
	s_cbranch_scc0 .LBB552_2
.LBB552_3:
	s_load_b32 s3, s[0:1], 0x40
	v_add_nc_u32_e32 v13, s12, v13
	v_add_nc_u32_e32 v4, s6, v12
	s_delay_alu instid0(VALU_DEP_2) | instskip(NEXT) | instid1(VALU_DEP_2)
	v_cmp_gt_i32_e32 vcc_lo, s2, v13
	v_cmp_le_i32_e64 s0, v4, v13
	s_delay_alu instid0(VALU_DEP_1) | instskip(SKIP_2) | instid1(VALU_DEP_1)
	s_and_b32 s0, vcc_lo, s0
	s_waitcnt lgkmcnt(0)
	v_mad_i64_i32 v[5:6], null, v13, s3, 0
	v_lshlrev_b64 v[5:6], 3, v[5:6]
	s_delay_alu instid0(VALU_DEP_1) | instskip(NEXT) | instid1(VALU_DEP_1)
	v_add_co_u32 v12, s1, s4, v5
	v_add_co_ci_u32_e64 v14, s1, s5, v6, s1
	s_and_saveexec_b32 s1, s0
	s_cbranch_execz .LBB552_5
; %bb.4:
	v_ashrrev_i32_e32 v5, 31, v4
	s_delay_alu instid0(VALU_DEP_1) | instskip(NEXT) | instid1(VALU_DEP_1)
	v_lshlrev_b64 v[5:6], 3, v[4:5]
	v_add_co_u32 v5, s0, v12, v5
	s_delay_alu instid0(VALU_DEP_1)
	v_add_co_ci_u32_e64 v6, s0, v14, v6, s0
	global_load_b64 v[15:16], v[5:6], off
	s_waitcnt vmcnt(0)
	v_add_f64 v[10:11], v[10:11], -v[15:16]
	global_store_b64 v[5:6], v[10:11], off
.LBB552_5:
	s_or_b32 exec_lo, exec_lo, s1
	v_add_nc_u32_e32 v6, 16, v4
	s_delay_alu instid0(VALU_DEP_1) | instskip(NEXT) | instid1(VALU_DEP_1)
	v_cmp_le_i32_e64 s0, v6, v13
	s_and_b32 s1, vcc_lo, s0
	s_delay_alu instid0(SALU_CYCLE_1)
	s_and_saveexec_b32 s0, s1
	s_cbranch_execz .LBB552_7
; %bb.6:
	v_ashrrev_i32_e32 v7, 31, v6
	s_delay_alu instid0(VALU_DEP_1) | instskip(NEXT) | instid1(VALU_DEP_1)
	v_lshlrev_b64 v[10:11], 3, v[6:7]
	v_add_co_u32 v10, vcc_lo, v12, v10
	s_delay_alu instid0(VALU_DEP_2)
	v_add_co_ci_u32_e32 v11, vcc_lo, v14, v11, vcc_lo
	global_load_b64 v[14:15], v[10:11], off
	s_waitcnt vmcnt(0)
	v_add_f64 v[7:8], v[8:9], -v[14:15]
	global_store_b64 v[10:11], v[7:8], off
.LBB552_7:
	s_or_b32 exec_lo, exec_lo, s0
	v_add_nc_u32_e32 v7, 16, v13
	s_delay_alu instid0(VALU_DEP_1) | instskip(SKIP_2) | instid1(VALU_DEP_1)
	v_mad_i64_i32 v[8:9], null, v7, s3, 0
	v_cmp_gt_i32_e32 vcc_lo, s2, v7
	v_cmp_le_i32_e64 s0, v4, v7
	s_and_b32 s0, vcc_lo, s0
	s_delay_alu instid0(VALU_DEP_3) | instskip(NEXT) | instid1(VALU_DEP_1)
	v_lshlrev_b64 v[8:9], 3, v[8:9]
	v_add_co_u32 v8, s1, s4, v8
	s_delay_alu instid0(VALU_DEP_1)
	v_add_co_ci_u32_e64 v9, s1, s5, v9, s1
	s_and_saveexec_b32 s1, s0
	s_cbranch_execz .LBB552_9
; %bb.8:
	v_ashrrev_i32_e32 v5, 31, v4
	s_delay_alu instid0(VALU_DEP_1) | instskip(NEXT) | instid1(VALU_DEP_1)
	v_lshlrev_b64 v[4:5], 3, v[4:5]
	v_add_co_u32 v4, s0, v8, v4
	s_delay_alu instid0(VALU_DEP_1)
	v_add_co_ci_u32_e64 v5, s0, v9, v5, s0
	global_load_b64 v[10:11], v[4:5], off
	s_waitcnt vmcnt(0)
	v_add_f64 v[2:3], v[2:3], -v[10:11]
	global_store_b64 v[4:5], v[2:3], off
.LBB552_9:
	s_or_b32 exec_lo, exec_lo, s1
	v_cmp_le_i32_e64 s0, v6, v7
	s_delay_alu instid0(VALU_DEP_1) | instskip(NEXT) | instid1(SALU_CYCLE_1)
	s_and_b32 s0, vcc_lo, s0
	s_and_saveexec_b32 s1, s0
	s_cbranch_execz .LBB552_11
; %bb.10:
	v_ashrrev_i32_e32 v7, 31, v6
	s_delay_alu instid0(VALU_DEP_1) | instskip(NEXT) | instid1(VALU_DEP_1)
	v_lshlrev_b64 v[2:3], 3, v[6:7]
	v_add_co_u32 v2, vcc_lo, v8, v2
	s_delay_alu instid0(VALU_DEP_2)
	v_add_co_ci_u32_e32 v3, vcc_lo, v9, v3, vcc_lo
	global_load_b64 v[4:5], v[2:3], off
	s_waitcnt vmcnt(0)
	v_add_f64 v[0:1], v[0:1], -v[4:5]
	global_store_b64 v[2:3], v[0:1], off
.LBB552_11:
	s_nop 0
	s_sendmsg sendmsg(MSG_DEALLOC_VGPRS)
	s_endpgm
	.section	.rodata,"a",@progbits
	.p2align	6, 0x0
	.amdhsa_kernel _ZL37rocblas_syrkx_herkx_restricted_kernelIidLi16ELi32ELi8ELi1ELin1ELb0ELc78ELc85EKPKdKPdEviT_PT9_S5_lS7_S5_lPT10_S5_li
		.amdhsa_group_segment_fixed_size 4096
		.amdhsa_private_segment_fixed_size 0
		.amdhsa_kernarg_size 84
		.amdhsa_user_sgpr_count 13
		.amdhsa_user_sgpr_dispatch_ptr 0
		.amdhsa_user_sgpr_queue_ptr 0
		.amdhsa_user_sgpr_kernarg_segment_ptr 1
		.amdhsa_user_sgpr_dispatch_id 0
		.amdhsa_user_sgpr_private_segment_size 0
		.amdhsa_wavefront_size32 1
		.amdhsa_uses_dynamic_stack 0
		.amdhsa_enable_private_segment 0
		.amdhsa_system_sgpr_workgroup_id_x 1
		.amdhsa_system_sgpr_workgroup_id_y 1
		.amdhsa_system_sgpr_workgroup_id_z 1
		.amdhsa_system_sgpr_workgroup_info 0
		.amdhsa_system_vgpr_workitem_id 1
		.amdhsa_next_free_vgpr 38
		.amdhsa_next_free_sgpr 20
		.amdhsa_reserve_vcc 1
		.amdhsa_float_round_mode_32 0
		.amdhsa_float_round_mode_16_64 0
		.amdhsa_float_denorm_mode_32 3
		.amdhsa_float_denorm_mode_16_64 3
		.amdhsa_dx10_clamp 1
		.amdhsa_ieee_mode 1
		.amdhsa_fp16_overflow 0
		.amdhsa_workgroup_processor_mode 1
		.amdhsa_memory_ordered 1
		.amdhsa_forward_progress 0
		.amdhsa_shared_vgpr_count 0
		.amdhsa_exception_fp_ieee_invalid_op 0
		.amdhsa_exception_fp_denorm_src 0
		.amdhsa_exception_fp_ieee_div_zero 0
		.amdhsa_exception_fp_ieee_overflow 0
		.amdhsa_exception_fp_ieee_underflow 0
		.amdhsa_exception_fp_ieee_inexact 0
		.amdhsa_exception_int_div_zero 0
	.end_amdhsa_kernel
	.section	.text._ZL37rocblas_syrkx_herkx_restricted_kernelIidLi16ELi32ELi8ELi1ELin1ELb0ELc78ELc85EKPKdKPdEviT_PT9_S5_lS7_S5_lPT10_S5_li,"axG",@progbits,_ZL37rocblas_syrkx_herkx_restricted_kernelIidLi16ELi32ELi8ELi1ELin1ELb0ELc78ELc85EKPKdKPdEviT_PT9_S5_lS7_S5_lPT10_S5_li,comdat
.Lfunc_end552:
	.size	_ZL37rocblas_syrkx_herkx_restricted_kernelIidLi16ELi32ELi8ELi1ELin1ELb0ELc78ELc85EKPKdKPdEviT_PT9_S5_lS7_S5_lPT10_S5_li, .Lfunc_end552-_ZL37rocblas_syrkx_herkx_restricted_kernelIidLi16ELi32ELi8ELi1ELin1ELb0ELc78ELc85EKPKdKPdEviT_PT9_S5_lS7_S5_lPT10_S5_li
                                        ; -- End function
	.section	.AMDGPU.csdata,"",@progbits
; Kernel info:
; codeLenInByte = 1420
; NumSgprs: 22
; NumVgprs: 38
; ScratchSize: 0
; MemoryBound: 0
; FloatMode: 240
; IeeeMode: 1
; LDSByteSize: 4096 bytes/workgroup (compile time only)
; SGPRBlocks: 2
; VGPRBlocks: 4
; NumSGPRsForWavesPerEU: 22
; NumVGPRsForWavesPerEU: 38
; Occupancy: 16
; WaveLimiterHint : 1
; COMPUTE_PGM_RSRC2:SCRATCH_EN: 0
; COMPUTE_PGM_RSRC2:USER_SGPR: 13
; COMPUTE_PGM_RSRC2:TRAP_HANDLER: 0
; COMPUTE_PGM_RSRC2:TGID_X_EN: 1
; COMPUTE_PGM_RSRC2:TGID_Y_EN: 1
; COMPUTE_PGM_RSRC2:TGID_Z_EN: 1
; COMPUTE_PGM_RSRC2:TIDIG_COMP_CNT: 1
	.section	.text._ZL37rocblas_syrkx_herkx_restricted_kernelIidLi16ELi32ELi8ELi1ELi0ELb0ELc84ELc76EKPKdKPdEviT_PT9_S5_lS7_S5_lPT10_S5_li,"axG",@progbits,_ZL37rocblas_syrkx_herkx_restricted_kernelIidLi16ELi32ELi8ELi1ELi0ELb0ELc84ELc76EKPKdKPdEviT_PT9_S5_lS7_S5_lPT10_S5_li,comdat
	.globl	_ZL37rocblas_syrkx_herkx_restricted_kernelIidLi16ELi32ELi8ELi1ELi0ELb0ELc84ELc76EKPKdKPdEviT_PT9_S5_lS7_S5_lPT10_S5_li ; -- Begin function _ZL37rocblas_syrkx_herkx_restricted_kernelIidLi16ELi32ELi8ELi1ELi0ELb0ELc84ELc76EKPKdKPdEviT_PT9_S5_lS7_S5_lPT10_S5_li
	.p2align	8
	.type	_ZL37rocblas_syrkx_herkx_restricted_kernelIidLi16ELi32ELi8ELi1ELi0ELb0ELc84ELc76EKPKdKPdEviT_PT9_S5_lS7_S5_lPT10_S5_li,@function
_ZL37rocblas_syrkx_herkx_restricted_kernelIidLi16ELi32ELi8ELi1ELi0ELb0ELc84ELc76EKPKdKPdEviT_PT9_S5_lS7_S5_lPT10_S5_li: ; @_ZL37rocblas_syrkx_herkx_restricted_kernelIidLi16ELi32ELi8ELi1ELi0ELb0ELc84ELc76EKPKdKPdEviT_PT9_S5_lS7_S5_lPT10_S5_li
; %bb.0:
	s_clause 0x1
	s_load_b64 s[2:3], s[0:1], 0x38
	s_load_b64 s[4:5], s[0:1], 0x0
	s_mov_b32 s6, s15
	s_mov_b32 s7, 0
	v_mov_b32_e32 v10, 0
	s_lshl_b64 s[8:9], s[6:7], 3
	v_dual_mov_b32 v11, 0 :: v_dual_and_b32 v12, 0x3ff, v0
	v_bfe_u32 v13, v0, 10, 10
	s_delay_alu instid0(VALU_DEP_3) | instskip(NEXT) | instid1(VALU_DEP_3)
	v_mov_b32_e32 v8, v10
	v_dual_mov_b32 v2, v10 :: v_dual_mov_b32 v3, v11
	v_dual_mov_b32 v9, v11 :: v_dual_mov_b32 v0, v10
	v_mov_b32_e32 v1, v11
	s_waitcnt lgkmcnt(0)
	s_add_u32 s2, s2, s8
	s_addc_u32 s3, s3, s9
	s_lshl_b32 s6, s13, 5
	s_load_b64 s[2:3], s[2:3], 0x0
	s_lshl_b32 s10, s14, 5
	s_cmp_lt_i32 s5, 1
	s_cbranch_scc1 .LBB553_3
; %bb.1:
	s_clause 0x3
	s_load_b64 s[12:13], s[0:1], 0x8
	s_load_b64 s[14:15], s[0:1], 0x20
	s_load_b32 s11, s[0:1], 0x10
	s_load_b32 s16, s[0:1], 0x28
	v_lshl_add_u32 v4, v13, 4, v12
	v_dual_mov_b32 v3, 0 :: v_dual_and_b32 v2, 7, v12
	v_mov_b32_e32 v0, 0
	v_dual_mov_b32 v1, 0 :: v_dual_lshlrev_b32 v14, 3, v12
	s_delay_alu instid0(VALU_DEP_4)
	v_and_b32_e32 v9, 31, v4
	v_lshrrev_b32_e32 v8, 3, v4
	v_lshrrev_b32_e32 v4, 5, v4
	v_mov_b32_e32 v5, v3
	v_lshl_add_u32 v15, v13, 6, 0x800
	v_add_nc_u32_e32 v10, s6, v9
	v_add_nc_u32_e32 v16, s10, v8
	s_waitcnt lgkmcnt(0)
	s_add_u32 s12, s12, s8
	s_addc_u32 s13, s13, s9
	s_add_u32 s8, s14, s8
	s_load_b64 s[12:13], s[12:13], 0x0
	s_addc_u32 s9, s15, s9
	v_mad_i64_i32 v[6:7], null, s11, v10, v[4:5]
	s_load_b64 s[8:9], s[8:9], 0x0
	v_lshlrev_b32_e32 v5, 3, v2
	v_mad_i64_i32 v[10:11], null, s16, v16, v[2:3]
	v_dual_mov_b32 v3, v1 :: v_dual_mov_b32 v2, v0
	s_delay_alu instid0(VALU_DEP_3) | instskip(SKIP_3) | instid1(VALU_DEP_4)
	v_lshl_or_b32 v17, v8, 6, v5
	v_lshlrev_b64 v[5:6], 3, v[6:7]
	v_dual_mov_b32 v9, v1 :: v_dual_lshlrev_b32 v16, 3, v9
	v_lshlrev_b64 v[10:11], 3, v[10:11]
	v_dual_mov_b32 v8, v0 :: v_dual_add_nc_u32 v17, 0x800, v17
	s_delay_alu instid0(VALU_DEP_3)
	v_lshl_or_b32 v16, v4, 8, v16
	s_waitcnt lgkmcnt(0)
	v_add_co_u32 v4, vcc_lo, s12, v5
	v_add_co_ci_u32_e32 v5, vcc_lo, s13, v6, vcc_lo
	v_add_co_u32 v6, vcc_lo, s8, v10
	v_add_co_ci_u32_e32 v7, vcc_lo, s9, v11, vcc_lo
	v_dual_mov_b32 v11, v1 :: v_dual_mov_b32 v10, v0
.LBB553_2:                              ; =>This Inner Loop Header: Depth=1
	global_load_b64 v[18:19], v[4:5], off
	global_load_b64 v[20:21], v[6:7], off
	v_add_co_u32 v4, vcc_lo, v4, 64
	v_add_co_ci_u32_e32 v5, vcc_lo, 0, v5, vcc_lo
	v_add_co_u32 v6, vcc_lo, v6, 64
	v_add_co_ci_u32_e32 v7, vcc_lo, 0, v7, vcc_lo
	s_add_i32 s7, s7, 8
	s_waitcnt vmcnt(1)
	ds_store_b64 v16, v[18:19]
	s_waitcnt vmcnt(0)
	ds_store_b64 v17, v[20:21]
	s_waitcnt lgkmcnt(0)
	s_barrier
	buffer_gl0_inv
	ds_load_2addr_b64 v[18:21], v14 offset1:16
	ds_load_b128 v[22:25], v15
	ds_load_b128 v[26:29], v15 offset:1024
	ds_load_b128 v[30:33], v15 offset:16
	;; [unrolled: 1-line block ×3, first 2 shown]
	s_cmp_ge_i32 s7, s5
	s_waitcnt lgkmcnt(3)
	v_fma_f64 v[10:11], v[18:19], v[22:23], v[10:11]
	v_fma_f64 v[8:9], v[20:21], v[22:23], v[8:9]
	s_waitcnt lgkmcnt(2)
	v_fma_f64 v[18:19], v[18:19], v[26:27], v[2:3]
	v_fma_f64 v[20:21], v[20:21], v[26:27], v[0:1]
	ds_load_2addr_b64 v[0:3], v14 offset0:32 offset1:48
	s_waitcnt lgkmcnt(0)
	v_fma_f64 v[10:11], v[0:1], v[24:25], v[10:11]
	v_fma_f64 v[8:9], v[2:3], v[24:25], v[8:9]
	v_fma_f64 v[18:19], v[0:1], v[28:29], v[18:19]
	v_fma_f64 v[20:21], v[2:3], v[28:29], v[20:21]
	ds_load_2addr_b64 v[0:3], v14 offset0:64 offset1:80
	s_waitcnt lgkmcnt(0)
	v_fma_f64 v[10:11], v[0:1], v[30:31], v[10:11]
	v_fma_f64 v[8:9], v[2:3], v[30:31], v[8:9]
	;; [unrolled: 6-line block ×3, first 2 shown]
	v_fma_f64 v[34:35], v[0:1], v[36:37], v[18:19]
	v_fma_f64 v[36:37], v[2:3], v[36:37], v[20:21]
	ds_load_2addr_b64 v[0:3], v14 offset0:128 offset1:144
	ds_load_b128 v[8:11], v15 offset:32
	ds_load_b128 v[18:21], v15 offset:1056
	;; [unrolled: 1-line block ×4, first 2 shown]
	s_waitcnt lgkmcnt(3)
	v_fma_f64 v[30:31], v[0:1], v[8:9], v[30:31]
	v_fma_f64 v[8:9], v[2:3], v[8:9], v[32:33]
	s_waitcnt lgkmcnt(2)
	v_fma_f64 v[32:33], v[0:1], v[18:19], v[34:35]
	v_fma_f64 v[18:19], v[2:3], v[18:19], v[36:37]
	ds_load_2addr_b64 v[0:3], v14 offset0:160 offset1:176
	s_waitcnt lgkmcnt(0)
	v_fma_f64 v[30:31], v[0:1], v[10:11], v[30:31]
	v_fma_f64 v[8:9], v[2:3], v[10:11], v[8:9]
	;; [unrolled: 1-line block ×4, first 2 shown]
	ds_load_2addr_b64 v[0:3], v14 offset0:192 offset1:208
	s_waitcnt lgkmcnt(0)
	v_fma_f64 v[30:31], v[0:1], v[22:23], v[30:31]
	v_fma_f64 v[8:9], v[2:3], v[22:23], v[8:9]
	;; [unrolled: 1-line block ×4, first 2 shown]
	ds_load_2addr_b64 v[18:21], v14 offset0:224 offset1:240
	s_waitcnt lgkmcnt(0)
	s_barrier
	buffer_gl0_inv
	v_fma_f64 v[10:11], v[18:19], v[24:25], v[30:31]
	v_fma_f64 v[8:9], v[20:21], v[24:25], v[8:9]
	;; [unrolled: 1-line block ×4, first 2 shown]
	s_cbranch_scc0 .LBB553_2
.LBB553_3:
	s_load_b32 s5, s[0:1], 0x40
	v_add_nc_u32_e32 v13, s10, v13
	v_add_nc_u32_e32 v4, s6, v12
	s_delay_alu instid0(VALU_DEP_1) | instskip(SKIP_1) | instid1(VALU_DEP_2)
	v_cmp_le_i32_e64 s0, v13, v4
	v_cmp_gt_i32_e32 vcc_lo, s4, v4
	s_and_b32 s0, s0, vcc_lo
	s_waitcnt lgkmcnt(0)
	v_mad_i64_i32 v[5:6], null, v13, s5, 0
	s_delay_alu instid0(VALU_DEP_1) | instskip(NEXT) | instid1(VALU_DEP_1)
	v_lshlrev_b64 v[5:6], 3, v[5:6]
	v_add_co_u32 v12, s1, s2, v5
	s_delay_alu instid0(VALU_DEP_1)
	v_add_co_ci_u32_e64 v14, s1, s3, v6, s1
	s_and_saveexec_b32 s1, s0
	s_cbranch_execz .LBB553_5
; %bb.4:
	v_ashrrev_i32_e32 v5, 31, v4
	s_delay_alu instid0(VALU_DEP_1) | instskip(NEXT) | instid1(VALU_DEP_1)
	v_lshlrev_b64 v[5:6], 3, v[4:5]
	v_add_co_u32 v5, s0, v12, v5
	s_delay_alu instid0(VALU_DEP_1)
	v_add_co_ci_u32_e64 v6, s0, v14, v6, s0
	global_store_b64 v[5:6], v[10:11], off
.LBB553_5:
	s_or_b32 exec_lo, exec_lo, s1
	v_add_nc_u32_e32 v6, 16, v4
	s_delay_alu instid0(VALU_DEP_1) | instskip(SKIP_1) | instid1(VALU_DEP_1)
	v_cmp_le_i32_e64 s1, v13, v6
	v_cmp_gt_i32_e64 s0, s4, v6
	s_and_b32 s1, s1, s0
	s_delay_alu instid0(SALU_CYCLE_1)
	s_and_saveexec_b32 s4, s1
	s_cbranch_execz .LBB553_7
; %bb.6:
	v_ashrrev_i32_e32 v7, 31, v6
	s_delay_alu instid0(VALU_DEP_1) | instskip(NEXT) | instid1(VALU_DEP_1)
	v_lshlrev_b64 v[10:11], 3, v[6:7]
	v_add_co_u32 v10, s1, v12, v10
	s_delay_alu instid0(VALU_DEP_1)
	v_add_co_ci_u32_e64 v11, s1, v14, v11, s1
	global_store_b64 v[10:11], v[8:9], off
.LBB553_7:
	s_or_b32 exec_lo, exec_lo, s4
	v_add_nc_u32_e32 v7, 16, v13
	s_delay_alu instid0(VALU_DEP_1) | instskip(SKIP_1) | instid1(VALU_DEP_2)
	v_mad_i64_i32 v[8:9], null, v7, s5, 0
	v_cmp_le_i32_e64 s1, v7, v4
	v_lshlrev_b64 v[8:9], 3, v[8:9]
	s_delay_alu instid0(VALU_DEP_1) | instskip(NEXT) | instid1(VALU_DEP_1)
	v_add_co_u32 v8, s2, s2, v8
	v_add_co_ci_u32_e64 v9, s2, s3, v9, s2
	s_delay_alu instid0(VALU_DEP_4) | instskip(NEXT) | instid1(SALU_CYCLE_1)
	s_and_b32 s2, s1, vcc_lo
	s_and_saveexec_b32 s1, s2
	s_cbranch_execz .LBB553_9
; %bb.8:
	v_ashrrev_i32_e32 v5, 31, v4
	s_delay_alu instid0(VALU_DEP_1) | instskip(NEXT) | instid1(VALU_DEP_1)
	v_lshlrev_b64 v[4:5], 3, v[4:5]
	v_add_co_u32 v4, vcc_lo, v8, v4
	s_delay_alu instid0(VALU_DEP_2)
	v_add_co_ci_u32_e32 v5, vcc_lo, v9, v5, vcc_lo
	global_store_b64 v[4:5], v[2:3], off
.LBB553_9:
	s_or_b32 exec_lo, exec_lo, s1
	v_cmp_le_i32_e32 vcc_lo, v7, v6
	s_and_b32 s0, vcc_lo, s0
	s_delay_alu instid0(SALU_CYCLE_1)
	s_and_saveexec_b32 s1, s0
	s_cbranch_execz .LBB553_11
; %bb.10:
	v_ashrrev_i32_e32 v7, 31, v6
	s_delay_alu instid0(VALU_DEP_1) | instskip(NEXT) | instid1(VALU_DEP_1)
	v_lshlrev_b64 v[2:3], 3, v[6:7]
	v_add_co_u32 v2, vcc_lo, v8, v2
	s_delay_alu instid0(VALU_DEP_2)
	v_add_co_ci_u32_e32 v3, vcc_lo, v9, v3, vcc_lo
	global_store_b64 v[2:3], v[0:1], off
.LBB553_11:
	s_nop 0
	s_sendmsg sendmsg(MSG_DEALLOC_VGPRS)
	s_endpgm
	.section	.rodata,"a",@progbits
	.p2align	6, 0x0
	.amdhsa_kernel _ZL37rocblas_syrkx_herkx_restricted_kernelIidLi16ELi32ELi8ELi1ELi0ELb0ELc84ELc76EKPKdKPdEviT_PT9_S5_lS7_S5_lPT10_S5_li
		.amdhsa_group_segment_fixed_size 4096
		.amdhsa_private_segment_fixed_size 0
		.amdhsa_kernarg_size 84
		.amdhsa_user_sgpr_count 13
		.amdhsa_user_sgpr_dispatch_ptr 0
		.amdhsa_user_sgpr_queue_ptr 0
		.amdhsa_user_sgpr_kernarg_segment_ptr 1
		.amdhsa_user_sgpr_dispatch_id 0
		.amdhsa_user_sgpr_private_segment_size 0
		.amdhsa_wavefront_size32 1
		.amdhsa_uses_dynamic_stack 0
		.amdhsa_enable_private_segment 0
		.amdhsa_system_sgpr_workgroup_id_x 1
		.amdhsa_system_sgpr_workgroup_id_y 1
		.amdhsa_system_sgpr_workgroup_id_z 1
		.amdhsa_system_sgpr_workgroup_info 0
		.amdhsa_system_vgpr_workitem_id 1
		.amdhsa_next_free_vgpr 38
		.amdhsa_next_free_sgpr 17
		.amdhsa_reserve_vcc 1
		.amdhsa_float_round_mode_32 0
		.amdhsa_float_round_mode_16_64 0
		.amdhsa_float_denorm_mode_32 3
		.amdhsa_float_denorm_mode_16_64 3
		.amdhsa_dx10_clamp 1
		.amdhsa_ieee_mode 1
		.amdhsa_fp16_overflow 0
		.amdhsa_workgroup_processor_mode 1
		.amdhsa_memory_ordered 1
		.amdhsa_forward_progress 0
		.amdhsa_shared_vgpr_count 0
		.amdhsa_exception_fp_ieee_invalid_op 0
		.amdhsa_exception_fp_denorm_src 0
		.amdhsa_exception_fp_ieee_div_zero 0
		.amdhsa_exception_fp_ieee_overflow 0
		.amdhsa_exception_fp_ieee_underflow 0
		.amdhsa_exception_fp_ieee_inexact 0
		.amdhsa_exception_int_div_zero 0
	.end_amdhsa_kernel
	.section	.text._ZL37rocblas_syrkx_herkx_restricted_kernelIidLi16ELi32ELi8ELi1ELi0ELb0ELc84ELc76EKPKdKPdEviT_PT9_S5_lS7_S5_lPT10_S5_li,"axG",@progbits,_ZL37rocblas_syrkx_herkx_restricted_kernelIidLi16ELi32ELi8ELi1ELi0ELb0ELc84ELc76EKPKdKPdEviT_PT9_S5_lS7_S5_lPT10_S5_li,comdat
.Lfunc_end553:
	.size	_ZL37rocblas_syrkx_herkx_restricted_kernelIidLi16ELi32ELi8ELi1ELi0ELb0ELc84ELc76EKPKdKPdEviT_PT9_S5_lS7_S5_lPT10_S5_li, .Lfunc_end553-_ZL37rocblas_syrkx_herkx_restricted_kernelIidLi16ELi32ELi8ELi1ELi0ELb0ELc84ELc76EKPKdKPdEviT_PT9_S5_lS7_S5_lPT10_S5_li
                                        ; -- End function
	.section	.AMDGPU.csdata,"",@progbits
; Kernel info:
; codeLenInByte = 1320
; NumSgprs: 19
; NumVgprs: 38
; ScratchSize: 0
; MemoryBound: 0
; FloatMode: 240
; IeeeMode: 1
; LDSByteSize: 4096 bytes/workgroup (compile time only)
; SGPRBlocks: 2
; VGPRBlocks: 4
; NumSGPRsForWavesPerEU: 19
; NumVGPRsForWavesPerEU: 38
; Occupancy: 16
; WaveLimiterHint : 1
; COMPUTE_PGM_RSRC2:SCRATCH_EN: 0
; COMPUTE_PGM_RSRC2:USER_SGPR: 13
; COMPUTE_PGM_RSRC2:TRAP_HANDLER: 0
; COMPUTE_PGM_RSRC2:TGID_X_EN: 1
; COMPUTE_PGM_RSRC2:TGID_Y_EN: 1
; COMPUTE_PGM_RSRC2:TGID_Z_EN: 1
; COMPUTE_PGM_RSRC2:TIDIG_COMP_CNT: 1
	.section	.text._ZL37rocblas_syrkx_herkx_restricted_kernelIidLi16ELi32ELi8ELi1ELi0ELb0ELc67ELc76EKPKdKPdEviT_PT9_S5_lS7_S5_lPT10_S5_li,"axG",@progbits,_ZL37rocblas_syrkx_herkx_restricted_kernelIidLi16ELi32ELi8ELi1ELi0ELb0ELc67ELc76EKPKdKPdEviT_PT9_S5_lS7_S5_lPT10_S5_li,comdat
	.globl	_ZL37rocblas_syrkx_herkx_restricted_kernelIidLi16ELi32ELi8ELi1ELi0ELb0ELc67ELc76EKPKdKPdEviT_PT9_S5_lS7_S5_lPT10_S5_li ; -- Begin function _ZL37rocblas_syrkx_herkx_restricted_kernelIidLi16ELi32ELi8ELi1ELi0ELb0ELc67ELc76EKPKdKPdEviT_PT9_S5_lS7_S5_lPT10_S5_li
	.p2align	8
	.type	_ZL37rocblas_syrkx_herkx_restricted_kernelIidLi16ELi32ELi8ELi1ELi0ELb0ELc67ELc76EKPKdKPdEviT_PT9_S5_lS7_S5_lPT10_S5_li,@function
_ZL37rocblas_syrkx_herkx_restricted_kernelIidLi16ELi32ELi8ELi1ELi0ELb0ELc67ELc76EKPKdKPdEviT_PT9_S5_lS7_S5_lPT10_S5_li: ; @_ZL37rocblas_syrkx_herkx_restricted_kernelIidLi16ELi32ELi8ELi1ELi0ELb0ELc67ELc76EKPKdKPdEviT_PT9_S5_lS7_S5_lPT10_S5_li
; %bb.0:
	s_clause 0x1
	s_load_b64 s[2:3], s[0:1], 0x38
	s_load_b64 s[4:5], s[0:1], 0x0
	s_mov_b32 s6, s15
	s_mov_b32 s7, 0
	v_mov_b32_e32 v10, 0
	s_lshl_b64 s[8:9], s[6:7], 3
	v_dual_mov_b32 v11, 0 :: v_dual_and_b32 v12, 0x3ff, v0
	v_bfe_u32 v13, v0, 10, 10
	s_delay_alu instid0(VALU_DEP_3) | instskip(NEXT) | instid1(VALU_DEP_3)
	v_mov_b32_e32 v8, v10
	v_dual_mov_b32 v2, v10 :: v_dual_mov_b32 v3, v11
	v_dual_mov_b32 v9, v11 :: v_dual_mov_b32 v0, v10
	v_mov_b32_e32 v1, v11
	s_waitcnt lgkmcnt(0)
	s_add_u32 s2, s2, s8
	s_addc_u32 s3, s3, s9
	s_lshl_b32 s6, s13, 5
	s_load_b64 s[2:3], s[2:3], 0x0
	s_lshl_b32 s10, s14, 5
	s_cmp_lt_i32 s5, 1
	s_cbranch_scc1 .LBB554_3
; %bb.1:
	s_clause 0x3
	s_load_b64 s[12:13], s[0:1], 0x8
	s_load_b64 s[14:15], s[0:1], 0x20
	s_load_b32 s11, s[0:1], 0x10
	s_load_b32 s16, s[0:1], 0x28
	v_lshl_add_u32 v4, v13, 4, v12
	v_dual_mov_b32 v3, 0 :: v_dual_and_b32 v2, 7, v12
	v_mov_b32_e32 v0, 0
	v_dual_mov_b32 v1, 0 :: v_dual_lshlrev_b32 v14, 3, v12
	s_delay_alu instid0(VALU_DEP_4)
	v_and_b32_e32 v9, 31, v4
	v_lshrrev_b32_e32 v8, 3, v4
	v_lshrrev_b32_e32 v4, 5, v4
	v_mov_b32_e32 v5, v3
	v_lshl_add_u32 v15, v13, 6, 0x800
	v_add_nc_u32_e32 v10, s6, v9
	v_add_nc_u32_e32 v16, s10, v8
	s_waitcnt lgkmcnt(0)
	s_add_u32 s12, s12, s8
	s_addc_u32 s13, s13, s9
	s_add_u32 s8, s14, s8
	s_load_b64 s[12:13], s[12:13], 0x0
	s_addc_u32 s9, s15, s9
	v_mad_i64_i32 v[6:7], null, s11, v10, v[4:5]
	s_load_b64 s[8:9], s[8:9], 0x0
	v_lshlrev_b32_e32 v5, 3, v2
	v_mad_i64_i32 v[10:11], null, s16, v16, v[2:3]
	v_dual_mov_b32 v3, v1 :: v_dual_mov_b32 v2, v0
	s_delay_alu instid0(VALU_DEP_3) | instskip(SKIP_3) | instid1(VALU_DEP_4)
	v_lshl_or_b32 v17, v8, 6, v5
	v_lshlrev_b64 v[5:6], 3, v[6:7]
	v_dual_mov_b32 v9, v1 :: v_dual_lshlrev_b32 v16, 3, v9
	v_lshlrev_b64 v[10:11], 3, v[10:11]
	v_dual_mov_b32 v8, v0 :: v_dual_add_nc_u32 v17, 0x800, v17
	s_delay_alu instid0(VALU_DEP_3)
	v_lshl_or_b32 v16, v4, 8, v16
	s_waitcnt lgkmcnt(0)
	v_add_co_u32 v4, vcc_lo, s12, v5
	v_add_co_ci_u32_e32 v5, vcc_lo, s13, v6, vcc_lo
	v_add_co_u32 v6, vcc_lo, s8, v10
	v_add_co_ci_u32_e32 v7, vcc_lo, s9, v11, vcc_lo
	v_dual_mov_b32 v11, v1 :: v_dual_mov_b32 v10, v0
.LBB554_2:                              ; =>This Inner Loop Header: Depth=1
	global_load_b64 v[18:19], v[4:5], off
	global_load_b64 v[20:21], v[6:7], off
	v_add_co_u32 v4, vcc_lo, v4, 64
	v_add_co_ci_u32_e32 v5, vcc_lo, 0, v5, vcc_lo
	v_add_co_u32 v6, vcc_lo, v6, 64
	v_add_co_ci_u32_e32 v7, vcc_lo, 0, v7, vcc_lo
	s_add_i32 s7, s7, 8
	s_waitcnt vmcnt(1)
	ds_store_b64 v16, v[18:19]
	s_waitcnt vmcnt(0)
	ds_store_b64 v17, v[20:21]
	s_waitcnt lgkmcnt(0)
	s_barrier
	buffer_gl0_inv
	ds_load_2addr_b64 v[18:21], v14 offset1:16
	ds_load_b128 v[22:25], v15
	ds_load_b128 v[26:29], v15 offset:1024
	ds_load_b128 v[30:33], v15 offset:16
	;; [unrolled: 1-line block ×3, first 2 shown]
	s_cmp_ge_i32 s7, s5
	s_waitcnt lgkmcnt(3)
	v_fma_f64 v[10:11], v[18:19], v[22:23], v[10:11]
	v_fma_f64 v[8:9], v[20:21], v[22:23], v[8:9]
	s_waitcnt lgkmcnt(2)
	v_fma_f64 v[18:19], v[18:19], v[26:27], v[2:3]
	v_fma_f64 v[20:21], v[20:21], v[26:27], v[0:1]
	ds_load_2addr_b64 v[0:3], v14 offset0:32 offset1:48
	s_waitcnt lgkmcnt(0)
	v_fma_f64 v[10:11], v[0:1], v[24:25], v[10:11]
	v_fma_f64 v[8:9], v[2:3], v[24:25], v[8:9]
	v_fma_f64 v[18:19], v[0:1], v[28:29], v[18:19]
	v_fma_f64 v[20:21], v[2:3], v[28:29], v[20:21]
	ds_load_2addr_b64 v[0:3], v14 offset0:64 offset1:80
	s_waitcnt lgkmcnt(0)
	v_fma_f64 v[10:11], v[0:1], v[30:31], v[10:11]
	v_fma_f64 v[8:9], v[2:3], v[30:31], v[8:9]
	;; [unrolled: 6-line block ×3, first 2 shown]
	v_fma_f64 v[34:35], v[0:1], v[36:37], v[18:19]
	v_fma_f64 v[36:37], v[2:3], v[36:37], v[20:21]
	ds_load_2addr_b64 v[0:3], v14 offset0:128 offset1:144
	ds_load_b128 v[8:11], v15 offset:32
	ds_load_b128 v[18:21], v15 offset:1056
	;; [unrolled: 1-line block ×4, first 2 shown]
	s_waitcnt lgkmcnt(3)
	v_fma_f64 v[30:31], v[0:1], v[8:9], v[30:31]
	v_fma_f64 v[8:9], v[2:3], v[8:9], v[32:33]
	s_waitcnt lgkmcnt(2)
	v_fma_f64 v[32:33], v[0:1], v[18:19], v[34:35]
	v_fma_f64 v[18:19], v[2:3], v[18:19], v[36:37]
	ds_load_2addr_b64 v[0:3], v14 offset0:160 offset1:176
	s_waitcnt lgkmcnt(0)
	v_fma_f64 v[30:31], v[0:1], v[10:11], v[30:31]
	v_fma_f64 v[8:9], v[2:3], v[10:11], v[8:9]
	;; [unrolled: 1-line block ×4, first 2 shown]
	ds_load_2addr_b64 v[0:3], v14 offset0:192 offset1:208
	s_waitcnt lgkmcnt(0)
	v_fma_f64 v[30:31], v[0:1], v[22:23], v[30:31]
	v_fma_f64 v[8:9], v[2:3], v[22:23], v[8:9]
	;; [unrolled: 1-line block ×4, first 2 shown]
	ds_load_2addr_b64 v[18:21], v14 offset0:224 offset1:240
	s_waitcnt lgkmcnt(0)
	s_barrier
	buffer_gl0_inv
	v_fma_f64 v[10:11], v[18:19], v[24:25], v[30:31]
	v_fma_f64 v[8:9], v[20:21], v[24:25], v[8:9]
	;; [unrolled: 1-line block ×4, first 2 shown]
	s_cbranch_scc0 .LBB554_2
.LBB554_3:
	s_load_b32 s5, s[0:1], 0x40
	v_add_nc_u32_e32 v13, s10, v13
	v_add_nc_u32_e32 v4, s6, v12
	s_delay_alu instid0(VALU_DEP_1) | instskip(SKIP_1) | instid1(VALU_DEP_2)
	v_cmp_le_i32_e64 s0, v13, v4
	v_cmp_gt_i32_e32 vcc_lo, s4, v4
	s_and_b32 s0, s0, vcc_lo
	s_waitcnt lgkmcnt(0)
	v_mad_i64_i32 v[5:6], null, v13, s5, 0
	s_delay_alu instid0(VALU_DEP_1) | instskip(NEXT) | instid1(VALU_DEP_1)
	v_lshlrev_b64 v[5:6], 3, v[5:6]
	v_add_co_u32 v12, s1, s2, v5
	s_delay_alu instid0(VALU_DEP_1)
	v_add_co_ci_u32_e64 v14, s1, s3, v6, s1
	s_and_saveexec_b32 s1, s0
	s_cbranch_execz .LBB554_5
; %bb.4:
	v_ashrrev_i32_e32 v5, 31, v4
	s_delay_alu instid0(VALU_DEP_1) | instskip(NEXT) | instid1(VALU_DEP_1)
	v_lshlrev_b64 v[5:6], 3, v[4:5]
	v_add_co_u32 v5, s0, v12, v5
	s_delay_alu instid0(VALU_DEP_1)
	v_add_co_ci_u32_e64 v6, s0, v14, v6, s0
	global_store_b64 v[5:6], v[10:11], off
.LBB554_5:
	s_or_b32 exec_lo, exec_lo, s1
	v_add_nc_u32_e32 v6, 16, v4
	s_delay_alu instid0(VALU_DEP_1) | instskip(SKIP_1) | instid1(VALU_DEP_1)
	v_cmp_le_i32_e64 s1, v13, v6
	v_cmp_gt_i32_e64 s0, s4, v6
	s_and_b32 s1, s1, s0
	s_delay_alu instid0(SALU_CYCLE_1)
	s_and_saveexec_b32 s4, s1
	s_cbranch_execz .LBB554_7
; %bb.6:
	v_ashrrev_i32_e32 v7, 31, v6
	s_delay_alu instid0(VALU_DEP_1) | instskip(NEXT) | instid1(VALU_DEP_1)
	v_lshlrev_b64 v[10:11], 3, v[6:7]
	v_add_co_u32 v10, s1, v12, v10
	s_delay_alu instid0(VALU_DEP_1)
	v_add_co_ci_u32_e64 v11, s1, v14, v11, s1
	global_store_b64 v[10:11], v[8:9], off
.LBB554_7:
	s_or_b32 exec_lo, exec_lo, s4
	v_add_nc_u32_e32 v7, 16, v13
	s_delay_alu instid0(VALU_DEP_1) | instskip(SKIP_1) | instid1(VALU_DEP_2)
	v_mad_i64_i32 v[8:9], null, v7, s5, 0
	v_cmp_le_i32_e64 s1, v7, v4
	v_lshlrev_b64 v[8:9], 3, v[8:9]
	s_delay_alu instid0(VALU_DEP_1) | instskip(NEXT) | instid1(VALU_DEP_1)
	v_add_co_u32 v8, s2, s2, v8
	v_add_co_ci_u32_e64 v9, s2, s3, v9, s2
	s_delay_alu instid0(VALU_DEP_4) | instskip(NEXT) | instid1(SALU_CYCLE_1)
	s_and_b32 s2, s1, vcc_lo
	s_and_saveexec_b32 s1, s2
	s_cbranch_execz .LBB554_9
; %bb.8:
	v_ashrrev_i32_e32 v5, 31, v4
	s_delay_alu instid0(VALU_DEP_1) | instskip(NEXT) | instid1(VALU_DEP_1)
	v_lshlrev_b64 v[4:5], 3, v[4:5]
	v_add_co_u32 v4, vcc_lo, v8, v4
	s_delay_alu instid0(VALU_DEP_2)
	v_add_co_ci_u32_e32 v5, vcc_lo, v9, v5, vcc_lo
	global_store_b64 v[4:5], v[2:3], off
.LBB554_9:
	s_or_b32 exec_lo, exec_lo, s1
	v_cmp_le_i32_e32 vcc_lo, v7, v6
	s_and_b32 s0, vcc_lo, s0
	s_delay_alu instid0(SALU_CYCLE_1)
	s_and_saveexec_b32 s1, s0
	s_cbranch_execz .LBB554_11
; %bb.10:
	v_ashrrev_i32_e32 v7, 31, v6
	s_delay_alu instid0(VALU_DEP_1) | instskip(NEXT) | instid1(VALU_DEP_1)
	v_lshlrev_b64 v[2:3], 3, v[6:7]
	v_add_co_u32 v2, vcc_lo, v8, v2
	s_delay_alu instid0(VALU_DEP_2)
	v_add_co_ci_u32_e32 v3, vcc_lo, v9, v3, vcc_lo
	global_store_b64 v[2:3], v[0:1], off
.LBB554_11:
	s_nop 0
	s_sendmsg sendmsg(MSG_DEALLOC_VGPRS)
	s_endpgm
	.section	.rodata,"a",@progbits
	.p2align	6, 0x0
	.amdhsa_kernel _ZL37rocblas_syrkx_herkx_restricted_kernelIidLi16ELi32ELi8ELi1ELi0ELb0ELc67ELc76EKPKdKPdEviT_PT9_S5_lS7_S5_lPT10_S5_li
		.amdhsa_group_segment_fixed_size 4096
		.amdhsa_private_segment_fixed_size 0
		.amdhsa_kernarg_size 84
		.amdhsa_user_sgpr_count 13
		.amdhsa_user_sgpr_dispatch_ptr 0
		.amdhsa_user_sgpr_queue_ptr 0
		.amdhsa_user_sgpr_kernarg_segment_ptr 1
		.amdhsa_user_sgpr_dispatch_id 0
		.amdhsa_user_sgpr_private_segment_size 0
		.amdhsa_wavefront_size32 1
		.amdhsa_uses_dynamic_stack 0
		.amdhsa_enable_private_segment 0
		.amdhsa_system_sgpr_workgroup_id_x 1
		.amdhsa_system_sgpr_workgroup_id_y 1
		.amdhsa_system_sgpr_workgroup_id_z 1
		.amdhsa_system_sgpr_workgroup_info 0
		.amdhsa_system_vgpr_workitem_id 1
		.amdhsa_next_free_vgpr 38
		.amdhsa_next_free_sgpr 17
		.amdhsa_reserve_vcc 1
		.amdhsa_float_round_mode_32 0
		.amdhsa_float_round_mode_16_64 0
		.amdhsa_float_denorm_mode_32 3
		.amdhsa_float_denorm_mode_16_64 3
		.amdhsa_dx10_clamp 1
		.amdhsa_ieee_mode 1
		.amdhsa_fp16_overflow 0
		.amdhsa_workgroup_processor_mode 1
		.amdhsa_memory_ordered 1
		.amdhsa_forward_progress 0
		.amdhsa_shared_vgpr_count 0
		.amdhsa_exception_fp_ieee_invalid_op 0
		.amdhsa_exception_fp_denorm_src 0
		.amdhsa_exception_fp_ieee_div_zero 0
		.amdhsa_exception_fp_ieee_overflow 0
		.amdhsa_exception_fp_ieee_underflow 0
		.amdhsa_exception_fp_ieee_inexact 0
		.amdhsa_exception_int_div_zero 0
	.end_amdhsa_kernel
	.section	.text._ZL37rocblas_syrkx_herkx_restricted_kernelIidLi16ELi32ELi8ELi1ELi0ELb0ELc67ELc76EKPKdKPdEviT_PT9_S5_lS7_S5_lPT10_S5_li,"axG",@progbits,_ZL37rocblas_syrkx_herkx_restricted_kernelIidLi16ELi32ELi8ELi1ELi0ELb0ELc67ELc76EKPKdKPdEviT_PT9_S5_lS7_S5_lPT10_S5_li,comdat
.Lfunc_end554:
	.size	_ZL37rocblas_syrkx_herkx_restricted_kernelIidLi16ELi32ELi8ELi1ELi0ELb0ELc67ELc76EKPKdKPdEviT_PT9_S5_lS7_S5_lPT10_S5_li, .Lfunc_end554-_ZL37rocblas_syrkx_herkx_restricted_kernelIidLi16ELi32ELi8ELi1ELi0ELb0ELc67ELc76EKPKdKPdEviT_PT9_S5_lS7_S5_lPT10_S5_li
                                        ; -- End function
	.section	.AMDGPU.csdata,"",@progbits
; Kernel info:
; codeLenInByte = 1320
; NumSgprs: 19
; NumVgprs: 38
; ScratchSize: 0
; MemoryBound: 0
; FloatMode: 240
; IeeeMode: 1
; LDSByteSize: 4096 bytes/workgroup (compile time only)
; SGPRBlocks: 2
; VGPRBlocks: 4
; NumSGPRsForWavesPerEU: 19
; NumVGPRsForWavesPerEU: 38
; Occupancy: 16
; WaveLimiterHint : 1
; COMPUTE_PGM_RSRC2:SCRATCH_EN: 0
; COMPUTE_PGM_RSRC2:USER_SGPR: 13
; COMPUTE_PGM_RSRC2:TRAP_HANDLER: 0
; COMPUTE_PGM_RSRC2:TGID_X_EN: 1
; COMPUTE_PGM_RSRC2:TGID_Y_EN: 1
; COMPUTE_PGM_RSRC2:TGID_Z_EN: 1
; COMPUTE_PGM_RSRC2:TIDIG_COMP_CNT: 1
	.section	.text._ZL37rocblas_syrkx_herkx_restricted_kernelIidLi16ELi32ELi8ELi1ELi0ELb0ELc78ELc76EKPKdKPdEviT_PT9_S5_lS7_S5_lPT10_S5_li,"axG",@progbits,_ZL37rocblas_syrkx_herkx_restricted_kernelIidLi16ELi32ELi8ELi1ELi0ELb0ELc78ELc76EKPKdKPdEviT_PT9_S5_lS7_S5_lPT10_S5_li,comdat
	.globl	_ZL37rocblas_syrkx_herkx_restricted_kernelIidLi16ELi32ELi8ELi1ELi0ELb0ELc78ELc76EKPKdKPdEviT_PT9_S5_lS7_S5_lPT10_S5_li ; -- Begin function _ZL37rocblas_syrkx_herkx_restricted_kernelIidLi16ELi32ELi8ELi1ELi0ELb0ELc78ELc76EKPKdKPdEviT_PT9_S5_lS7_S5_lPT10_S5_li
	.p2align	8
	.type	_ZL37rocblas_syrkx_herkx_restricted_kernelIidLi16ELi32ELi8ELi1ELi0ELb0ELc78ELc76EKPKdKPdEviT_PT9_S5_lS7_S5_lPT10_S5_li,@function
_ZL37rocblas_syrkx_herkx_restricted_kernelIidLi16ELi32ELi8ELi1ELi0ELb0ELc78ELc76EKPKdKPdEviT_PT9_S5_lS7_S5_lPT10_S5_li: ; @_ZL37rocblas_syrkx_herkx_restricted_kernelIidLi16ELi32ELi8ELi1ELi0ELb0ELc78ELc76EKPKdKPdEviT_PT9_S5_lS7_S5_lPT10_S5_li
; %bb.0:
	s_clause 0x1
	s_load_b64 s[2:3], s[0:1], 0x38
	s_load_b64 s[4:5], s[0:1], 0x0
	s_mov_b32 s6, s15
	s_mov_b32 s7, 0
	v_mov_b32_e32 v10, 0
	s_lshl_b64 s[8:9], s[6:7], 3
	v_dual_mov_b32 v11, 0 :: v_dual_and_b32 v12, 0x3ff, v0
	v_bfe_u32 v13, v0, 10, 10
	s_delay_alu instid0(VALU_DEP_3) | instskip(NEXT) | instid1(VALU_DEP_3)
	v_mov_b32_e32 v8, v10
	v_dual_mov_b32 v2, v10 :: v_dual_mov_b32 v3, v11
	v_dual_mov_b32 v9, v11 :: v_dual_mov_b32 v0, v10
	v_mov_b32_e32 v1, v11
	s_waitcnt lgkmcnt(0)
	s_add_u32 s2, s2, s8
	s_addc_u32 s3, s3, s9
	s_lshl_b32 s6, s13, 5
	s_load_b64 s[2:3], s[2:3], 0x0
	s_lshl_b32 s12, s14, 5
	s_cmp_lt_i32 s5, 1
	s_cbranch_scc1 .LBB555_3
; %bb.1:
	s_clause 0x3
	s_load_b32 s10, s[0:1], 0x10
	s_load_b32 s14, s[0:1], 0x28
	s_load_b64 s[16:17], s[0:1], 0x8
	s_load_b64 s[18:19], s[0:1], 0x20
	v_lshl_add_u32 v2, v13, 4, v12
	v_mov_b32_e32 v0, 0
	v_dual_mov_b32 v1, 0 :: v_dual_and_b32 v8, 7, v12
	v_lshlrev_b32_e32 v14, 3, v12
	s_delay_alu instid0(VALU_DEP_4)
	v_and_b32_e32 v10, 31, v2
	v_lshrrev_b32_e32 v9, 3, v2
	v_lshrrev_b32_e32 v11, 5, v2
	v_lshlrev_b32_e32 v16, 3, v8
	v_lshl_add_u32 v15, v13, 6, 0x800
	v_add_nc_u32_e32 v4, s6, v10
	v_add_nc_u32_e32 v2, s12, v9
	s_delay_alu instid0(VALU_DEP_4) | instskip(NEXT) | instid1(VALU_DEP_3)
	v_lshl_or_b32 v17, v9, 6, v16
	v_ashrrev_i32_e32 v5, 31, v4
	s_waitcnt lgkmcnt(0)
	s_ashr_i32 s11, s10, 31
	s_ashr_i32 s15, s14, 31
	s_add_u32 s16, s16, s8
	s_addc_u32 s17, s17, s9
	s_add_u32 s8, s18, s8
	s_load_b64 s[16:17], s[16:17], 0x0
	s_addc_u32 s9, s19, s9
	v_ashrrev_i32_e32 v3, 31, v2
	s_load_b64 s[8:9], s[8:9], 0x0
	v_mad_i64_i32 v[6:7], null, s10, v11, v[4:5]
	v_add_nc_u32_e32 v17, 0x800, v17
	s_delay_alu instid0(VALU_DEP_3)
	v_mad_i64_i32 v[4:5], null, s14, v8, v[2:3]
	v_dual_mov_b32 v3, v1 :: v_dual_lshlrev_b32 v10, 3, v10
	v_mov_b32_e32 v9, v1
	v_lshlrev_b64 v[6:7], 3, v[6:7]
	v_mov_b32_e32 v2, v0
	v_mov_b32_e32 v8, v0
	v_lshl_or_b32 v16, v11, 8, v10
	v_lshlrev_b64 v[10:11], 3, v[4:5]
	s_waitcnt lgkmcnt(0)
	v_add_co_u32 v4, vcc_lo, s16, v6
	v_add_co_ci_u32_e32 v5, vcc_lo, s17, v7, vcc_lo
	s_delay_alu instid0(VALU_DEP_3) | instskip(NEXT) | instid1(VALU_DEP_4)
	v_add_co_u32 v6, vcc_lo, s8, v10
	v_add_co_ci_u32_e32 v7, vcc_lo, s9, v11, vcc_lo
	v_dual_mov_b32 v11, v1 :: v_dual_mov_b32 v10, v0
	s_lshl_b64 s[8:9], s[10:11], 6
	s_lshl_b64 s[10:11], s[14:15], 6
.LBB555_2:                              ; =>This Inner Loop Header: Depth=1
	global_load_b64 v[18:19], v[4:5], off
	global_load_b64 v[20:21], v[6:7], off
	v_add_co_u32 v4, vcc_lo, v4, s8
	v_add_co_ci_u32_e32 v5, vcc_lo, s9, v5, vcc_lo
	v_add_co_u32 v6, vcc_lo, v6, s10
	v_add_co_ci_u32_e32 v7, vcc_lo, s11, v7, vcc_lo
	s_add_i32 s7, s7, 8
	s_waitcnt vmcnt(1)
	ds_store_b64 v16, v[18:19]
	s_waitcnt vmcnt(0)
	ds_store_b64 v17, v[20:21]
	s_waitcnt lgkmcnt(0)
	s_barrier
	buffer_gl0_inv
	ds_load_2addr_b64 v[18:21], v14 offset1:16
	ds_load_b128 v[22:25], v15
	ds_load_b128 v[26:29], v15 offset:1024
	ds_load_b128 v[30:33], v15 offset:16
	;; [unrolled: 1-line block ×3, first 2 shown]
	s_cmp_ge_i32 s7, s5
	s_waitcnt lgkmcnt(3)
	v_fma_f64 v[10:11], v[18:19], v[22:23], v[10:11]
	v_fma_f64 v[8:9], v[20:21], v[22:23], v[8:9]
	s_waitcnt lgkmcnt(2)
	v_fma_f64 v[18:19], v[18:19], v[26:27], v[2:3]
	v_fma_f64 v[20:21], v[20:21], v[26:27], v[0:1]
	ds_load_2addr_b64 v[0:3], v14 offset0:32 offset1:48
	s_waitcnt lgkmcnt(0)
	v_fma_f64 v[10:11], v[0:1], v[24:25], v[10:11]
	v_fma_f64 v[8:9], v[2:3], v[24:25], v[8:9]
	v_fma_f64 v[18:19], v[0:1], v[28:29], v[18:19]
	v_fma_f64 v[20:21], v[2:3], v[28:29], v[20:21]
	ds_load_2addr_b64 v[0:3], v14 offset0:64 offset1:80
	s_waitcnt lgkmcnt(0)
	v_fma_f64 v[10:11], v[0:1], v[30:31], v[10:11]
	v_fma_f64 v[8:9], v[2:3], v[30:31], v[8:9]
	;; [unrolled: 6-line block ×3, first 2 shown]
	v_fma_f64 v[34:35], v[0:1], v[36:37], v[18:19]
	v_fma_f64 v[36:37], v[2:3], v[36:37], v[20:21]
	ds_load_2addr_b64 v[0:3], v14 offset0:128 offset1:144
	ds_load_b128 v[8:11], v15 offset:32
	ds_load_b128 v[18:21], v15 offset:1056
	ds_load_b128 v[22:25], v15 offset:48
	ds_load_b128 v[26:29], v15 offset:1072
	s_waitcnt lgkmcnt(3)
	v_fma_f64 v[30:31], v[0:1], v[8:9], v[30:31]
	v_fma_f64 v[8:9], v[2:3], v[8:9], v[32:33]
	s_waitcnt lgkmcnt(2)
	v_fma_f64 v[32:33], v[0:1], v[18:19], v[34:35]
	v_fma_f64 v[18:19], v[2:3], v[18:19], v[36:37]
	ds_load_2addr_b64 v[0:3], v14 offset0:160 offset1:176
	s_waitcnt lgkmcnt(0)
	v_fma_f64 v[30:31], v[0:1], v[10:11], v[30:31]
	v_fma_f64 v[8:9], v[2:3], v[10:11], v[8:9]
	;; [unrolled: 1-line block ×4, first 2 shown]
	ds_load_2addr_b64 v[0:3], v14 offset0:192 offset1:208
	s_waitcnt lgkmcnt(0)
	v_fma_f64 v[30:31], v[0:1], v[22:23], v[30:31]
	v_fma_f64 v[8:9], v[2:3], v[22:23], v[8:9]
	;; [unrolled: 1-line block ×4, first 2 shown]
	ds_load_2addr_b64 v[18:21], v14 offset0:224 offset1:240
	s_waitcnt lgkmcnt(0)
	s_barrier
	buffer_gl0_inv
	v_fma_f64 v[10:11], v[18:19], v[24:25], v[30:31]
	v_fma_f64 v[8:9], v[20:21], v[24:25], v[8:9]
	v_fma_f64 v[2:3], v[18:19], v[28:29], v[0:1]
	v_fma_f64 v[0:1], v[20:21], v[28:29], v[22:23]
	s_cbranch_scc0 .LBB555_2
.LBB555_3:
	s_load_b32 s5, s[0:1], 0x40
	v_add_nc_u32_e32 v13, s12, v13
	v_add_nc_u32_e32 v4, s6, v12
	s_delay_alu instid0(VALU_DEP_1) | instskip(SKIP_1) | instid1(VALU_DEP_2)
	v_cmp_le_i32_e64 s0, v13, v4
	v_cmp_gt_i32_e32 vcc_lo, s4, v4
	s_and_b32 s0, s0, vcc_lo
	s_waitcnt lgkmcnt(0)
	v_mad_i64_i32 v[5:6], null, v13, s5, 0
	s_delay_alu instid0(VALU_DEP_1) | instskip(NEXT) | instid1(VALU_DEP_1)
	v_lshlrev_b64 v[5:6], 3, v[5:6]
	v_add_co_u32 v12, s1, s2, v5
	s_delay_alu instid0(VALU_DEP_1)
	v_add_co_ci_u32_e64 v14, s1, s3, v6, s1
	s_and_saveexec_b32 s1, s0
	s_cbranch_execz .LBB555_5
; %bb.4:
	v_ashrrev_i32_e32 v5, 31, v4
	s_delay_alu instid0(VALU_DEP_1) | instskip(NEXT) | instid1(VALU_DEP_1)
	v_lshlrev_b64 v[5:6], 3, v[4:5]
	v_add_co_u32 v5, s0, v12, v5
	s_delay_alu instid0(VALU_DEP_1)
	v_add_co_ci_u32_e64 v6, s0, v14, v6, s0
	global_store_b64 v[5:6], v[10:11], off
.LBB555_5:
	s_or_b32 exec_lo, exec_lo, s1
	v_add_nc_u32_e32 v6, 16, v4
	s_delay_alu instid0(VALU_DEP_1) | instskip(SKIP_1) | instid1(VALU_DEP_1)
	v_cmp_le_i32_e64 s1, v13, v6
	v_cmp_gt_i32_e64 s0, s4, v6
	s_and_b32 s1, s1, s0
	s_delay_alu instid0(SALU_CYCLE_1)
	s_and_saveexec_b32 s4, s1
	s_cbranch_execz .LBB555_7
; %bb.6:
	v_ashrrev_i32_e32 v7, 31, v6
	s_delay_alu instid0(VALU_DEP_1) | instskip(NEXT) | instid1(VALU_DEP_1)
	v_lshlrev_b64 v[10:11], 3, v[6:7]
	v_add_co_u32 v10, s1, v12, v10
	s_delay_alu instid0(VALU_DEP_1)
	v_add_co_ci_u32_e64 v11, s1, v14, v11, s1
	global_store_b64 v[10:11], v[8:9], off
.LBB555_7:
	s_or_b32 exec_lo, exec_lo, s4
	v_add_nc_u32_e32 v7, 16, v13
	s_delay_alu instid0(VALU_DEP_1) | instskip(SKIP_1) | instid1(VALU_DEP_2)
	v_mad_i64_i32 v[8:9], null, v7, s5, 0
	v_cmp_le_i32_e64 s1, v7, v4
	v_lshlrev_b64 v[8:9], 3, v[8:9]
	s_delay_alu instid0(VALU_DEP_1) | instskip(NEXT) | instid1(VALU_DEP_1)
	v_add_co_u32 v8, s2, s2, v8
	v_add_co_ci_u32_e64 v9, s2, s3, v9, s2
	s_delay_alu instid0(VALU_DEP_4) | instskip(NEXT) | instid1(SALU_CYCLE_1)
	s_and_b32 s2, s1, vcc_lo
	s_and_saveexec_b32 s1, s2
	s_cbranch_execz .LBB555_9
; %bb.8:
	v_ashrrev_i32_e32 v5, 31, v4
	s_delay_alu instid0(VALU_DEP_1) | instskip(NEXT) | instid1(VALU_DEP_1)
	v_lshlrev_b64 v[4:5], 3, v[4:5]
	v_add_co_u32 v4, vcc_lo, v8, v4
	s_delay_alu instid0(VALU_DEP_2)
	v_add_co_ci_u32_e32 v5, vcc_lo, v9, v5, vcc_lo
	global_store_b64 v[4:5], v[2:3], off
.LBB555_9:
	s_or_b32 exec_lo, exec_lo, s1
	v_cmp_le_i32_e32 vcc_lo, v7, v6
	s_and_b32 s0, vcc_lo, s0
	s_delay_alu instid0(SALU_CYCLE_1)
	s_and_saveexec_b32 s1, s0
	s_cbranch_execz .LBB555_11
; %bb.10:
	v_ashrrev_i32_e32 v7, 31, v6
	s_delay_alu instid0(VALU_DEP_1) | instskip(NEXT) | instid1(VALU_DEP_1)
	v_lshlrev_b64 v[2:3], 3, v[6:7]
	v_add_co_u32 v2, vcc_lo, v8, v2
	s_delay_alu instid0(VALU_DEP_2)
	v_add_co_ci_u32_e32 v3, vcc_lo, v9, v3, vcc_lo
	global_store_b64 v[2:3], v[0:1], off
.LBB555_11:
	s_nop 0
	s_sendmsg sendmsg(MSG_DEALLOC_VGPRS)
	s_endpgm
	.section	.rodata,"a",@progbits
	.p2align	6, 0x0
	.amdhsa_kernel _ZL37rocblas_syrkx_herkx_restricted_kernelIidLi16ELi32ELi8ELi1ELi0ELb0ELc78ELc76EKPKdKPdEviT_PT9_S5_lS7_S5_lPT10_S5_li
		.amdhsa_group_segment_fixed_size 4096
		.amdhsa_private_segment_fixed_size 0
		.amdhsa_kernarg_size 84
		.amdhsa_user_sgpr_count 13
		.amdhsa_user_sgpr_dispatch_ptr 0
		.amdhsa_user_sgpr_queue_ptr 0
		.amdhsa_user_sgpr_kernarg_segment_ptr 1
		.amdhsa_user_sgpr_dispatch_id 0
		.amdhsa_user_sgpr_private_segment_size 0
		.amdhsa_wavefront_size32 1
		.amdhsa_uses_dynamic_stack 0
		.amdhsa_enable_private_segment 0
		.amdhsa_system_sgpr_workgroup_id_x 1
		.amdhsa_system_sgpr_workgroup_id_y 1
		.amdhsa_system_sgpr_workgroup_id_z 1
		.amdhsa_system_sgpr_workgroup_info 0
		.amdhsa_system_vgpr_workitem_id 1
		.amdhsa_next_free_vgpr 38
		.amdhsa_next_free_sgpr 20
		.amdhsa_reserve_vcc 1
		.amdhsa_float_round_mode_32 0
		.amdhsa_float_round_mode_16_64 0
		.amdhsa_float_denorm_mode_32 3
		.amdhsa_float_denorm_mode_16_64 3
		.amdhsa_dx10_clamp 1
		.amdhsa_ieee_mode 1
		.amdhsa_fp16_overflow 0
		.amdhsa_workgroup_processor_mode 1
		.amdhsa_memory_ordered 1
		.amdhsa_forward_progress 0
		.amdhsa_shared_vgpr_count 0
		.amdhsa_exception_fp_ieee_invalid_op 0
		.amdhsa_exception_fp_denorm_src 0
		.amdhsa_exception_fp_ieee_div_zero 0
		.amdhsa_exception_fp_ieee_overflow 0
		.amdhsa_exception_fp_ieee_underflow 0
		.amdhsa_exception_fp_ieee_inexact 0
		.amdhsa_exception_int_div_zero 0
	.end_amdhsa_kernel
	.section	.text._ZL37rocblas_syrkx_herkx_restricted_kernelIidLi16ELi32ELi8ELi1ELi0ELb0ELc78ELc76EKPKdKPdEviT_PT9_S5_lS7_S5_lPT10_S5_li,"axG",@progbits,_ZL37rocblas_syrkx_herkx_restricted_kernelIidLi16ELi32ELi8ELi1ELi0ELb0ELc78ELc76EKPKdKPdEviT_PT9_S5_lS7_S5_lPT10_S5_li,comdat
.Lfunc_end555:
	.size	_ZL37rocblas_syrkx_herkx_restricted_kernelIidLi16ELi32ELi8ELi1ELi0ELb0ELc78ELc76EKPKdKPdEviT_PT9_S5_lS7_S5_lPT10_S5_li, .Lfunc_end555-_ZL37rocblas_syrkx_herkx_restricted_kernelIidLi16ELi32ELi8ELi1ELi0ELb0ELc78ELc76EKPKdKPdEviT_PT9_S5_lS7_S5_lPT10_S5_li
                                        ; -- End function
	.section	.AMDGPU.csdata,"",@progbits
; Kernel info:
; codeLenInByte = 1340
; NumSgprs: 22
; NumVgprs: 38
; ScratchSize: 0
; MemoryBound: 0
; FloatMode: 240
; IeeeMode: 1
; LDSByteSize: 4096 bytes/workgroup (compile time only)
; SGPRBlocks: 2
; VGPRBlocks: 4
; NumSGPRsForWavesPerEU: 22
; NumVGPRsForWavesPerEU: 38
; Occupancy: 16
; WaveLimiterHint : 1
; COMPUTE_PGM_RSRC2:SCRATCH_EN: 0
; COMPUTE_PGM_RSRC2:USER_SGPR: 13
; COMPUTE_PGM_RSRC2:TRAP_HANDLER: 0
; COMPUTE_PGM_RSRC2:TGID_X_EN: 1
; COMPUTE_PGM_RSRC2:TGID_Y_EN: 1
; COMPUTE_PGM_RSRC2:TGID_Z_EN: 1
; COMPUTE_PGM_RSRC2:TIDIG_COMP_CNT: 1
	.section	.text._ZL37rocblas_syrkx_herkx_restricted_kernelIidLi16ELi32ELi8ELi1ELi0ELb0ELc84ELc85EKPKdKPdEviT_PT9_S5_lS7_S5_lPT10_S5_li,"axG",@progbits,_ZL37rocblas_syrkx_herkx_restricted_kernelIidLi16ELi32ELi8ELi1ELi0ELb0ELc84ELc85EKPKdKPdEviT_PT9_S5_lS7_S5_lPT10_S5_li,comdat
	.globl	_ZL37rocblas_syrkx_herkx_restricted_kernelIidLi16ELi32ELi8ELi1ELi0ELb0ELc84ELc85EKPKdKPdEviT_PT9_S5_lS7_S5_lPT10_S5_li ; -- Begin function _ZL37rocblas_syrkx_herkx_restricted_kernelIidLi16ELi32ELi8ELi1ELi0ELb0ELc84ELc85EKPKdKPdEviT_PT9_S5_lS7_S5_lPT10_S5_li
	.p2align	8
	.type	_ZL37rocblas_syrkx_herkx_restricted_kernelIidLi16ELi32ELi8ELi1ELi0ELb0ELc84ELc85EKPKdKPdEviT_PT9_S5_lS7_S5_lPT10_S5_li,@function
_ZL37rocblas_syrkx_herkx_restricted_kernelIidLi16ELi32ELi8ELi1ELi0ELb0ELc84ELc85EKPKdKPdEviT_PT9_S5_lS7_S5_lPT10_S5_li: ; @_ZL37rocblas_syrkx_herkx_restricted_kernelIidLi16ELi32ELi8ELi1ELi0ELb0ELc84ELc85EKPKdKPdEviT_PT9_S5_lS7_S5_lPT10_S5_li
; %bb.0:
	s_clause 0x1
	s_load_b64 s[4:5], s[0:1], 0x38
	s_load_b64 s[2:3], s[0:1], 0x0
	s_mov_b32 s6, s15
	s_mov_b32 s7, 0
	v_mov_b32_e32 v10, 0
	s_lshl_b64 s[8:9], s[6:7], 3
	v_dual_mov_b32 v11, 0 :: v_dual_and_b32 v12, 0x3ff, v0
	v_bfe_u32 v13, v0, 10, 10
	s_delay_alu instid0(VALU_DEP_3) | instskip(NEXT) | instid1(VALU_DEP_3)
	v_mov_b32_e32 v8, v10
	v_dual_mov_b32 v2, v10 :: v_dual_mov_b32 v3, v11
	v_dual_mov_b32 v9, v11 :: v_dual_mov_b32 v0, v10
	v_mov_b32_e32 v1, v11
	s_waitcnt lgkmcnt(0)
	s_add_u32 s4, s4, s8
	s_addc_u32 s5, s5, s9
	s_lshl_b32 s6, s13, 5
	s_load_b64 s[4:5], s[4:5], 0x0
	s_lshl_b32 s10, s14, 5
	s_cmp_lt_i32 s3, 1
	s_cbranch_scc1 .LBB556_3
; %bb.1:
	s_clause 0x3
	s_load_b64 s[12:13], s[0:1], 0x8
	s_load_b64 s[14:15], s[0:1], 0x20
	s_load_b32 s11, s[0:1], 0x10
	s_load_b32 s16, s[0:1], 0x28
	v_lshl_add_u32 v4, v13, 4, v12
	v_dual_mov_b32 v3, 0 :: v_dual_and_b32 v2, 7, v12
	v_mov_b32_e32 v0, 0
	v_dual_mov_b32 v1, 0 :: v_dual_lshlrev_b32 v14, 3, v12
	s_delay_alu instid0(VALU_DEP_4)
	v_and_b32_e32 v9, 31, v4
	v_lshrrev_b32_e32 v8, 3, v4
	v_lshrrev_b32_e32 v4, 5, v4
	v_mov_b32_e32 v5, v3
	v_lshl_add_u32 v15, v13, 6, 0x800
	v_add_nc_u32_e32 v10, s6, v9
	v_add_nc_u32_e32 v16, s10, v8
	s_waitcnt lgkmcnt(0)
	s_add_u32 s12, s12, s8
	s_addc_u32 s13, s13, s9
	s_add_u32 s8, s14, s8
	s_load_b64 s[12:13], s[12:13], 0x0
	s_addc_u32 s9, s15, s9
	v_mad_i64_i32 v[6:7], null, s11, v10, v[4:5]
	s_load_b64 s[8:9], s[8:9], 0x0
	v_lshlrev_b32_e32 v5, 3, v2
	v_mad_i64_i32 v[10:11], null, s16, v16, v[2:3]
	v_dual_mov_b32 v3, v1 :: v_dual_mov_b32 v2, v0
	s_delay_alu instid0(VALU_DEP_3) | instskip(SKIP_3) | instid1(VALU_DEP_4)
	v_lshl_or_b32 v17, v8, 6, v5
	v_lshlrev_b64 v[5:6], 3, v[6:7]
	v_dual_mov_b32 v9, v1 :: v_dual_lshlrev_b32 v16, 3, v9
	v_lshlrev_b64 v[10:11], 3, v[10:11]
	v_dual_mov_b32 v8, v0 :: v_dual_add_nc_u32 v17, 0x800, v17
	s_delay_alu instid0(VALU_DEP_3)
	v_lshl_or_b32 v16, v4, 8, v16
	s_waitcnt lgkmcnt(0)
	v_add_co_u32 v4, vcc_lo, s12, v5
	v_add_co_ci_u32_e32 v5, vcc_lo, s13, v6, vcc_lo
	v_add_co_u32 v6, vcc_lo, s8, v10
	v_add_co_ci_u32_e32 v7, vcc_lo, s9, v11, vcc_lo
	v_dual_mov_b32 v11, v1 :: v_dual_mov_b32 v10, v0
.LBB556_2:                              ; =>This Inner Loop Header: Depth=1
	global_load_b64 v[18:19], v[4:5], off
	global_load_b64 v[20:21], v[6:7], off
	v_add_co_u32 v4, vcc_lo, v4, 64
	v_add_co_ci_u32_e32 v5, vcc_lo, 0, v5, vcc_lo
	v_add_co_u32 v6, vcc_lo, v6, 64
	v_add_co_ci_u32_e32 v7, vcc_lo, 0, v7, vcc_lo
	s_add_i32 s7, s7, 8
	s_waitcnt vmcnt(1)
	ds_store_b64 v16, v[18:19]
	s_waitcnt vmcnt(0)
	ds_store_b64 v17, v[20:21]
	s_waitcnt lgkmcnt(0)
	s_barrier
	buffer_gl0_inv
	ds_load_2addr_b64 v[18:21], v14 offset1:16
	ds_load_b128 v[22:25], v15
	ds_load_b128 v[26:29], v15 offset:1024
	ds_load_b128 v[30:33], v15 offset:16
	;; [unrolled: 1-line block ×3, first 2 shown]
	s_cmp_ge_i32 s7, s3
	s_waitcnt lgkmcnt(3)
	v_fma_f64 v[10:11], v[18:19], v[22:23], v[10:11]
	v_fma_f64 v[8:9], v[20:21], v[22:23], v[8:9]
	s_waitcnt lgkmcnt(2)
	v_fma_f64 v[18:19], v[18:19], v[26:27], v[2:3]
	v_fma_f64 v[20:21], v[20:21], v[26:27], v[0:1]
	ds_load_2addr_b64 v[0:3], v14 offset0:32 offset1:48
	s_waitcnt lgkmcnt(0)
	v_fma_f64 v[10:11], v[0:1], v[24:25], v[10:11]
	v_fma_f64 v[8:9], v[2:3], v[24:25], v[8:9]
	v_fma_f64 v[18:19], v[0:1], v[28:29], v[18:19]
	v_fma_f64 v[20:21], v[2:3], v[28:29], v[20:21]
	ds_load_2addr_b64 v[0:3], v14 offset0:64 offset1:80
	s_waitcnt lgkmcnt(0)
	v_fma_f64 v[10:11], v[0:1], v[30:31], v[10:11]
	v_fma_f64 v[8:9], v[2:3], v[30:31], v[8:9]
	;; [unrolled: 6-line block ×3, first 2 shown]
	v_fma_f64 v[34:35], v[0:1], v[36:37], v[18:19]
	v_fma_f64 v[36:37], v[2:3], v[36:37], v[20:21]
	ds_load_2addr_b64 v[0:3], v14 offset0:128 offset1:144
	ds_load_b128 v[8:11], v15 offset:32
	ds_load_b128 v[18:21], v15 offset:1056
	;; [unrolled: 1-line block ×4, first 2 shown]
	s_waitcnt lgkmcnt(3)
	v_fma_f64 v[30:31], v[0:1], v[8:9], v[30:31]
	v_fma_f64 v[8:9], v[2:3], v[8:9], v[32:33]
	s_waitcnt lgkmcnt(2)
	v_fma_f64 v[32:33], v[0:1], v[18:19], v[34:35]
	v_fma_f64 v[18:19], v[2:3], v[18:19], v[36:37]
	ds_load_2addr_b64 v[0:3], v14 offset0:160 offset1:176
	s_waitcnt lgkmcnt(0)
	v_fma_f64 v[30:31], v[0:1], v[10:11], v[30:31]
	v_fma_f64 v[8:9], v[2:3], v[10:11], v[8:9]
	;; [unrolled: 1-line block ×4, first 2 shown]
	ds_load_2addr_b64 v[0:3], v14 offset0:192 offset1:208
	s_waitcnt lgkmcnt(0)
	v_fma_f64 v[30:31], v[0:1], v[22:23], v[30:31]
	v_fma_f64 v[8:9], v[2:3], v[22:23], v[8:9]
	;; [unrolled: 1-line block ×4, first 2 shown]
	ds_load_2addr_b64 v[18:21], v14 offset0:224 offset1:240
	s_waitcnt lgkmcnt(0)
	s_barrier
	buffer_gl0_inv
	v_fma_f64 v[10:11], v[18:19], v[24:25], v[30:31]
	v_fma_f64 v[8:9], v[20:21], v[24:25], v[8:9]
	;; [unrolled: 1-line block ×4, first 2 shown]
	s_cbranch_scc0 .LBB556_2
.LBB556_3:
	s_load_b32 s3, s[0:1], 0x40
	v_add_nc_u32_e32 v13, s10, v13
	v_add_nc_u32_e32 v4, s6, v12
	s_delay_alu instid0(VALU_DEP_2) | instskip(NEXT) | instid1(VALU_DEP_2)
	v_cmp_gt_i32_e32 vcc_lo, s2, v13
	v_cmp_le_i32_e64 s0, v4, v13
	s_delay_alu instid0(VALU_DEP_1) | instskip(SKIP_2) | instid1(VALU_DEP_1)
	s_and_b32 s0, vcc_lo, s0
	s_waitcnt lgkmcnt(0)
	v_mad_i64_i32 v[5:6], null, v13, s3, 0
	v_lshlrev_b64 v[5:6], 3, v[5:6]
	s_delay_alu instid0(VALU_DEP_1) | instskip(NEXT) | instid1(VALU_DEP_1)
	v_add_co_u32 v12, s1, s4, v5
	v_add_co_ci_u32_e64 v14, s1, s5, v6, s1
	s_and_saveexec_b32 s1, s0
	s_cbranch_execz .LBB556_5
; %bb.4:
	v_ashrrev_i32_e32 v5, 31, v4
	s_delay_alu instid0(VALU_DEP_1) | instskip(NEXT) | instid1(VALU_DEP_1)
	v_lshlrev_b64 v[5:6], 3, v[4:5]
	v_add_co_u32 v5, s0, v12, v5
	s_delay_alu instid0(VALU_DEP_1)
	v_add_co_ci_u32_e64 v6, s0, v14, v6, s0
	global_store_b64 v[5:6], v[10:11], off
.LBB556_5:
	s_or_b32 exec_lo, exec_lo, s1
	v_add_nc_u32_e32 v6, 16, v4
	s_delay_alu instid0(VALU_DEP_1) | instskip(NEXT) | instid1(VALU_DEP_1)
	v_cmp_le_i32_e64 s0, v6, v13
	s_and_b32 s1, vcc_lo, s0
	s_delay_alu instid0(SALU_CYCLE_1)
	s_and_saveexec_b32 s0, s1
	s_cbranch_execz .LBB556_7
; %bb.6:
	v_ashrrev_i32_e32 v7, 31, v6
	s_delay_alu instid0(VALU_DEP_1) | instskip(NEXT) | instid1(VALU_DEP_1)
	v_lshlrev_b64 v[10:11], 3, v[6:7]
	v_add_co_u32 v10, vcc_lo, v12, v10
	s_delay_alu instid0(VALU_DEP_2)
	v_add_co_ci_u32_e32 v11, vcc_lo, v14, v11, vcc_lo
	global_store_b64 v[10:11], v[8:9], off
.LBB556_7:
	s_or_b32 exec_lo, exec_lo, s0
	v_add_nc_u32_e32 v7, 16, v13
	s_delay_alu instid0(VALU_DEP_1) | instskip(SKIP_2) | instid1(VALU_DEP_1)
	v_mad_i64_i32 v[8:9], null, v7, s3, 0
	v_cmp_gt_i32_e32 vcc_lo, s2, v7
	v_cmp_le_i32_e64 s0, v4, v7
	s_and_b32 s0, vcc_lo, s0
	s_delay_alu instid0(VALU_DEP_3) | instskip(NEXT) | instid1(VALU_DEP_1)
	v_lshlrev_b64 v[8:9], 3, v[8:9]
	v_add_co_u32 v8, s1, s4, v8
	s_delay_alu instid0(VALU_DEP_1)
	v_add_co_ci_u32_e64 v9, s1, s5, v9, s1
	s_and_saveexec_b32 s1, s0
	s_cbranch_execz .LBB556_9
; %bb.8:
	v_ashrrev_i32_e32 v5, 31, v4
	s_delay_alu instid0(VALU_DEP_1) | instskip(NEXT) | instid1(VALU_DEP_1)
	v_lshlrev_b64 v[4:5], 3, v[4:5]
	v_add_co_u32 v4, s0, v8, v4
	s_delay_alu instid0(VALU_DEP_1)
	v_add_co_ci_u32_e64 v5, s0, v9, v5, s0
	global_store_b64 v[4:5], v[2:3], off
.LBB556_9:
	s_or_b32 exec_lo, exec_lo, s1
	v_cmp_le_i32_e64 s0, v6, v7
	s_delay_alu instid0(VALU_DEP_1) | instskip(NEXT) | instid1(SALU_CYCLE_1)
	s_and_b32 s0, vcc_lo, s0
	s_and_saveexec_b32 s1, s0
	s_cbranch_execz .LBB556_11
; %bb.10:
	v_ashrrev_i32_e32 v7, 31, v6
	s_delay_alu instid0(VALU_DEP_1) | instskip(NEXT) | instid1(VALU_DEP_1)
	v_lshlrev_b64 v[2:3], 3, v[6:7]
	v_add_co_u32 v2, vcc_lo, v8, v2
	s_delay_alu instid0(VALU_DEP_2)
	v_add_co_ci_u32_e32 v3, vcc_lo, v9, v3, vcc_lo
	global_store_b64 v[2:3], v[0:1], off
.LBB556_11:
	s_nop 0
	s_sendmsg sendmsg(MSG_DEALLOC_VGPRS)
	s_endpgm
	.section	.rodata,"a",@progbits
	.p2align	6, 0x0
	.amdhsa_kernel _ZL37rocblas_syrkx_herkx_restricted_kernelIidLi16ELi32ELi8ELi1ELi0ELb0ELc84ELc85EKPKdKPdEviT_PT9_S5_lS7_S5_lPT10_S5_li
		.amdhsa_group_segment_fixed_size 4096
		.amdhsa_private_segment_fixed_size 0
		.amdhsa_kernarg_size 84
		.amdhsa_user_sgpr_count 13
		.amdhsa_user_sgpr_dispatch_ptr 0
		.amdhsa_user_sgpr_queue_ptr 0
		.amdhsa_user_sgpr_kernarg_segment_ptr 1
		.amdhsa_user_sgpr_dispatch_id 0
		.amdhsa_user_sgpr_private_segment_size 0
		.amdhsa_wavefront_size32 1
		.amdhsa_uses_dynamic_stack 0
		.amdhsa_enable_private_segment 0
		.amdhsa_system_sgpr_workgroup_id_x 1
		.amdhsa_system_sgpr_workgroup_id_y 1
		.amdhsa_system_sgpr_workgroup_id_z 1
		.amdhsa_system_sgpr_workgroup_info 0
		.amdhsa_system_vgpr_workitem_id 1
		.amdhsa_next_free_vgpr 38
		.amdhsa_next_free_sgpr 17
		.amdhsa_reserve_vcc 1
		.amdhsa_float_round_mode_32 0
		.amdhsa_float_round_mode_16_64 0
		.amdhsa_float_denorm_mode_32 3
		.amdhsa_float_denorm_mode_16_64 3
		.amdhsa_dx10_clamp 1
		.amdhsa_ieee_mode 1
		.amdhsa_fp16_overflow 0
		.amdhsa_workgroup_processor_mode 1
		.amdhsa_memory_ordered 1
		.amdhsa_forward_progress 0
		.amdhsa_shared_vgpr_count 0
		.amdhsa_exception_fp_ieee_invalid_op 0
		.amdhsa_exception_fp_denorm_src 0
		.amdhsa_exception_fp_ieee_div_zero 0
		.amdhsa_exception_fp_ieee_overflow 0
		.amdhsa_exception_fp_ieee_underflow 0
		.amdhsa_exception_fp_ieee_inexact 0
		.amdhsa_exception_int_div_zero 0
	.end_amdhsa_kernel
	.section	.text._ZL37rocblas_syrkx_herkx_restricted_kernelIidLi16ELi32ELi8ELi1ELi0ELb0ELc84ELc85EKPKdKPdEviT_PT9_S5_lS7_S5_lPT10_S5_li,"axG",@progbits,_ZL37rocblas_syrkx_herkx_restricted_kernelIidLi16ELi32ELi8ELi1ELi0ELb0ELc84ELc85EKPKdKPdEviT_PT9_S5_lS7_S5_lPT10_S5_li,comdat
.Lfunc_end556:
	.size	_ZL37rocblas_syrkx_herkx_restricted_kernelIidLi16ELi32ELi8ELi1ELi0ELb0ELc84ELc85EKPKdKPdEviT_PT9_S5_lS7_S5_lPT10_S5_li, .Lfunc_end556-_ZL37rocblas_syrkx_herkx_restricted_kernelIidLi16ELi32ELi8ELi1ELi0ELb0ELc84ELc85EKPKdKPdEviT_PT9_S5_lS7_S5_lPT10_S5_li
                                        ; -- End function
	.section	.AMDGPU.csdata,"",@progbits
; Kernel info:
; codeLenInByte = 1320
; NumSgprs: 19
; NumVgprs: 38
; ScratchSize: 0
; MemoryBound: 0
; FloatMode: 240
; IeeeMode: 1
; LDSByteSize: 4096 bytes/workgroup (compile time only)
; SGPRBlocks: 2
; VGPRBlocks: 4
; NumSGPRsForWavesPerEU: 19
; NumVGPRsForWavesPerEU: 38
; Occupancy: 16
; WaveLimiterHint : 1
; COMPUTE_PGM_RSRC2:SCRATCH_EN: 0
; COMPUTE_PGM_RSRC2:USER_SGPR: 13
; COMPUTE_PGM_RSRC2:TRAP_HANDLER: 0
; COMPUTE_PGM_RSRC2:TGID_X_EN: 1
; COMPUTE_PGM_RSRC2:TGID_Y_EN: 1
; COMPUTE_PGM_RSRC2:TGID_Z_EN: 1
; COMPUTE_PGM_RSRC2:TIDIG_COMP_CNT: 1
	.section	.text._ZL37rocblas_syrkx_herkx_restricted_kernelIidLi16ELi32ELi8ELi1ELi0ELb0ELc67ELc85EKPKdKPdEviT_PT9_S5_lS7_S5_lPT10_S5_li,"axG",@progbits,_ZL37rocblas_syrkx_herkx_restricted_kernelIidLi16ELi32ELi8ELi1ELi0ELb0ELc67ELc85EKPKdKPdEviT_PT9_S5_lS7_S5_lPT10_S5_li,comdat
	.globl	_ZL37rocblas_syrkx_herkx_restricted_kernelIidLi16ELi32ELi8ELi1ELi0ELb0ELc67ELc85EKPKdKPdEviT_PT9_S5_lS7_S5_lPT10_S5_li ; -- Begin function _ZL37rocblas_syrkx_herkx_restricted_kernelIidLi16ELi32ELi8ELi1ELi0ELb0ELc67ELc85EKPKdKPdEviT_PT9_S5_lS7_S5_lPT10_S5_li
	.p2align	8
	.type	_ZL37rocblas_syrkx_herkx_restricted_kernelIidLi16ELi32ELi8ELi1ELi0ELb0ELc67ELc85EKPKdKPdEviT_PT9_S5_lS7_S5_lPT10_S5_li,@function
_ZL37rocblas_syrkx_herkx_restricted_kernelIidLi16ELi32ELi8ELi1ELi0ELb0ELc67ELc85EKPKdKPdEviT_PT9_S5_lS7_S5_lPT10_S5_li: ; @_ZL37rocblas_syrkx_herkx_restricted_kernelIidLi16ELi32ELi8ELi1ELi0ELb0ELc67ELc85EKPKdKPdEviT_PT9_S5_lS7_S5_lPT10_S5_li
; %bb.0:
	s_clause 0x1
	s_load_b64 s[4:5], s[0:1], 0x38
	s_load_b64 s[2:3], s[0:1], 0x0
	s_mov_b32 s6, s15
	s_mov_b32 s7, 0
	v_mov_b32_e32 v10, 0
	s_lshl_b64 s[8:9], s[6:7], 3
	v_dual_mov_b32 v11, 0 :: v_dual_and_b32 v12, 0x3ff, v0
	v_bfe_u32 v13, v0, 10, 10
	s_delay_alu instid0(VALU_DEP_3) | instskip(NEXT) | instid1(VALU_DEP_3)
	v_mov_b32_e32 v8, v10
	v_dual_mov_b32 v2, v10 :: v_dual_mov_b32 v3, v11
	v_dual_mov_b32 v9, v11 :: v_dual_mov_b32 v0, v10
	v_mov_b32_e32 v1, v11
	s_waitcnt lgkmcnt(0)
	s_add_u32 s4, s4, s8
	s_addc_u32 s5, s5, s9
	s_lshl_b32 s6, s13, 5
	s_load_b64 s[4:5], s[4:5], 0x0
	s_lshl_b32 s10, s14, 5
	s_cmp_lt_i32 s3, 1
	s_cbranch_scc1 .LBB557_3
; %bb.1:
	s_clause 0x3
	s_load_b64 s[12:13], s[0:1], 0x8
	s_load_b64 s[14:15], s[0:1], 0x20
	s_load_b32 s11, s[0:1], 0x10
	s_load_b32 s16, s[0:1], 0x28
	v_lshl_add_u32 v4, v13, 4, v12
	v_dual_mov_b32 v3, 0 :: v_dual_and_b32 v2, 7, v12
	v_mov_b32_e32 v0, 0
	v_dual_mov_b32 v1, 0 :: v_dual_lshlrev_b32 v14, 3, v12
	s_delay_alu instid0(VALU_DEP_4)
	v_and_b32_e32 v9, 31, v4
	v_lshrrev_b32_e32 v8, 3, v4
	v_lshrrev_b32_e32 v4, 5, v4
	v_mov_b32_e32 v5, v3
	v_lshl_add_u32 v15, v13, 6, 0x800
	v_add_nc_u32_e32 v10, s6, v9
	v_add_nc_u32_e32 v16, s10, v8
	s_waitcnt lgkmcnt(0)
	s_add_u32 s12, s12, s8
	s_addc_u32 s13, s13, s9
	s_add_u32 s8, s14, s8
	s_load_b64 s[12:13], s[12:13], 0x0
	s_addc_u32 s9, s15, s9
	v_mad_i64_i32 v[6:7], null, s11, v10, v[4:5]
	s_load_b64 s[8:9], s[8:9], 0x0
	v_lshlrev_b32_e32 v5, 3, v2
	v_mad_i64_i32 v[10:11], null, s16, v16, v[2:3]
	v_dual_mov_b32 v3, v1 :: v_dual_mov_b32 v2, v0
	s_delay_alu instid0(VALU_DEP_3) | instskip(SKIP_3) | instid1(VALU_DEP_4)
	v_lshl_or_b32 v17, v8, 6, v5
	v_lshlrev_b64 v[5:6], 3, v[6:7]
	v_dual_mov_b32 v9, v1 :: v_dual_lshlrev_b32 v16, 3, v9
	v_lshlrev_b64 v[10:11], 3, v[10:11]
	v_dual_mov_b32 v8, v0 :: v_dual_add_nc_u32 v17, 0x800, v17
	s_delay_alu instid0(VALU_DEP_3)
	v_lshl_or_b32 v16, v4, 8, v16
	s_waitcnt lgkmcnt(0)
	v_add_co_u32 v4, vcc_lo, s12, v5
	v_add_co_ci_u32_e32 v5, vcc_lo, s13, v6, vcc_lo
	v_add_co_u32 v6, vcc_lo, s8, v10
	v_add_co_ci_u32_e32 v7, vcc_lo, s9, v11, vcc_lo
	v_dual_mov_b32 v11, v1 :: v_dual_mov_b32 v10, v0
.LBB557_2:                              ; =>This Inner Loop Header: Depth=1
	global_load_b64 v[18:19], v[4:5], off
	global_load_b64 v[20:21], v[6:7], off
	v_add_co_u32 v4, vcc_lo, v4, 64
	v_add_co_ci_u32_e32 v5, vcc_lo, 0, v5, vcc_lo
	v_add_co_u32 v6, vcc_lo, v6, 64
	v_add_co_ci_u32_e32 v7, vcc_lo, 0, v7, vcc_lo
	s_add_i32 s7, s7, 8
	s_waitcnt vmcnt(1)
	ds_store_b64 v16, v[18:19]
	s_waitcnt vmcnt(0)
	ds_store_b64 v17, v[20:21]
	s_waitcnt lgkmcnt(0)
	s_barrier
	buffer_gl0_inv
	ds_load_2addr_b64 v[18:21], v14 offset1:16
	ds_load_b128 v[22:25], v15
	ds_load_b128 v[26:29], v15 offset:1024
	ds_load_b128 v[30:33], v15 offset:16
	;; [unrolled: 1-line block ×3, first 2 shown]
	s_cmp_ge_i32 s7, s3
	s_waitcnt lgkmcnt(3)
	v_fma_f64 v[10:11], v[18:19], v[22:23], v[10:11]
	v_fma_f64 v[8:9], v[20:21], v[22:23], v[8:9]
	s_waitcnt lgkmcnt(2)
	v_fma_f64 v[18:19], v[18:19], v[26:27], v[2:3]
	v_fma_f64 v[20:21], v[20:21], v[26:27], v[0:1]
	ds_load_2addr_b64 v[0:3], v14 offset0:32 offset1:48
	s_waitcnt lgkmcnt(0)
	v_fma_f64 v[10:11], v[0:1], v[24:25], v[10:11]
	v_fma_f64 v[8:9], v[2:3], v[24:25], v[8:9]
	v_fma_f64 v[18:19], v[0:1], v[28:29], v[18:19]
	v_fma_f64 v[20:21], v[2:3], v[28:29], v[20:21]
	ds_load_2addr_b64 v[0:3], v14 offset0:64 offset1:80
	s_waitcnt lgkmcnt(0)
	v_fma_f64 v[10:11], v[0:1], v[30:31], v[10:11]
	v_fma_f64 v[8:9], v[2:3], v[30:31], v[8:9]
	;; [unrolled: 6-line block ×3, first 2 shown]
	v_fma_f64 v[34:35], v[0:1], v[36:37], v[18:19]
	v_fma_f64 v[36:37], v[2:3], v[36:37], v[20:21]
	ds_load_2addr_b64 v[0:3], v14 offset0:128 offset1:144
	ds_load_b128 v[8:11], v15 offset:32
	ds_load_b128 v[18:21], v15 offset:1056
	;; [unrolled: 1-line block ×4, first 2 shown]
	s_waitcnt lgkmcnt(3)
	v_fma_f64 v[30:31], v[0:1], v[8:9], v[30:31]
	v_fma_f64 v[8:9], v[2:3], v[8:9], v[32:33]
	s_waitcnt lgkmcnt(2)
	v_fma_f64 v[32:33], v[0:1], v[18:19], v[34:35]
	v_fma_f64 v[18:19], v[2:3], v[18:19], v[36:37]
	ds_load_2addr_b64 v[0:3], v14 offset0:160 offset1:176
	s_waitcnt lgkmcnt(0)
	v_fma_f64 v[30:31], v[0:1], v[10:11], v[30:31]
	v_fma_f64 v[8:9], v[2:3], v[10:11], v[8:9]
	;; [unrolled: 1-line block ×4, first 2 shown]
	ds_load_2addr_b64 v[0:3], v14 offset0:192 offset1:208
	s_waitcnt lgkmcnt(0)
	v_fma_f64 v[30:31], v[0:1], v[22:23], v[30:31]
	v_fma_f64 v[8:9], v[2:3], v[22:23], v[8:9]
	;; [unrolled: 1-line block ×4, first 2 shown]
	ds_load_2addr_b64 v[18:21], v14 offset0:224 offset1:240
	s_waitcnt lgkmcnt(0)
	s_barrier
	buffer_gl0_inv
	v_fma_f64 v[10:11], v[18:19], v[24:25], v[30:31]
	v_fma_f64 v[8:9], v[20:21], v[24:25], v[8:9]
	;; [unrolled: 1-line block ×4, first 2 shown]
	s_cbranch_scc0 .LBB557_2
.LBB557_3:
	s_load_b32 s3, s[0:1], 0x40
	v_add_nc_u32_e32 v13, s10, v13
	v_add_nc_u32_e32 v4, s6, v12
	s_delay_alu instid0(VALU_DEP_2) | instskip(NEXT) | instid1(VALU_DEP_2)
	v_cmp_gt_i32_e32 vcc_lo, s2, v13
	v_cmp_le_i32_e64 s0, v4, v13
	s_delay_alu instid0(VALU_DEP_1) | instskip(SKIP_2) | instid1(VALU_DEP_1)
	s_and_b32 s0, vcc_lo, s0
	s_waitcnt lgkmcnt(0)
	v_mad_i64_i32 v[5:6], null, v13, s3, 0
	v_lshlrev_b64 v[5:6], 3, v[5:6]
	s_delay_alu instid0(VALU_DEP_1) | instskip(NEXT) | instid1(VALU_DEP_1)
	v_add_co_u32 v12, s1, s4, v5
	v_add_co_ci_u32_e64 v14, s1, s5, v6, s1
	s_and_saveexec_b32 s1, s0
	s_cbranch_execz .LBB557_5
; %bb.4:
	v_ashrrev_i32_e32 v5, 31, v4
	s_delay_alu instid0(VALU_DEP_1) | instskip(NEXT) | instid1(VALU_DEP_1)
	v_lshlrev_b64 v[5:6], 3, v[4:5]
	v_add_co_u32 v5, s0, v12, v5
	s_delay_alu instid0(VALU_DEP_1)
	v_add_co_ci_u32_e64 v6, s0, v14, v6, s0
	global_store_b64 v[5:6], v[10:11], off
.LBB557_5:
	s_or_b32 exec_lo, exec_lo, s1
	v_add_nc_u32_e32 v6, 16, v4
	s_delay_alu instid0(VALU_DEP_1) | instskip(NEXT) | instid1(VALU_DEP_1)
	v_cmp_le_i32_e64 s0, v6, v13
	s_and_b32 s1, vcc_lo, s0
	s_delay_alu instid0(SALU_CYCLE_1)
	s_and_saveexec_b32 s0, s1
	s_cbranch_execz .LBB557_7
; %bb.6:
	v_ashrrev_i32_e32 v7, 31, v6
	s_delay_alu instid0(VALU_DEP_1) | instskip(NEXT) | instid1(VALU_DEP_1)
	v_lshlrev_b64 v[10:11], 3, v[6:7]
	v_add_co_u32 v10, vcc_lo, v12, v10
	s_delay_alu instid0(VALU_DEP_2)
	v_add_co_ci_u32_e32 v11, vcc_lo, v14, v11, vcc_lo
	global_store_b64 v[10:11], v[8:9], off
.LBB557_7:
	s_or_b32 exec_lo, exec_lo, s0
	v_add_nc_u32_e32 v7, 16, v13
	s_delay_alu instid0(VALU_DEP_1) | instskip(SKIP_2) | instid1(VALU_DEP_1)
	v_mad_i64_i32 v[8:9], null, v7, s3, 0
	v_cmp_gt_i32_e32 vcc_lo, s2, v7
	v_cmp_le_i32_e64 s0, v4, v7
	s_and_b32 s0, vcc_lo, s0
	s_delay_alu instid0(VALU_DEP_3) | instskip(NEXT) | instid1(VALU_DEP_1)
	v_lshlrev_b64 v[8:9], 3, v[8:9]
	v_add_co_u32 v8, s1, s4, v8
	s_delay_alu instid0(VALU_DEP_1)
	v_add_co_ci_u32_e64 v9, s1, s5, v9, s1
	s_and_saveexec_b32 s1, s0
	s_cbranch_execz .LBB557_9
; %bb.8:
	v_ashrrev_i32_e32 v5, 31, v4
	s_delay_alu instid0(VALU_DEP_1) | instskip(NEXT) | instid1(VALU_DEP_1)
	v_lshlrev_b64 v[4:5], 3, v[4:5]
	v_add_co_u32 v4, s0, v8, v4
	s_delay_alu instid0(VALU_DEP_1)
	v_add_co_ci_u32_e64 v5, s0, v9, v5, s0
	global_store_b64 v[4:5], v[2:3], off
.LBB557_9:
	s_or_b32 exec_lo, exec_lo, s1
	v_cmp_le_i32_e64 s0, v6, v7
	s_delay_alu instid0(VALU_DEP_1) | instskip(NEXT) | instid1(SALU_CYCLE_1)
	s_and_b32 s0, vcc_lo, s0
	s_and_saveexec_b32 s1, s0
	s_cbranch_execz .LBB557_11
; %bb.10:
	v_ashrrev_i32_e32 v7, 31, v6
	s_delay_alu instid0(VALU_DEP_1) | instskip(NEXT) | instid1(VALU_DEP_1)
	v_lshlrev_b64 v[2:3], 3, v[6:7]
	v_add_co_u32 v2, vcc_lo, v8, v2
	s_delay_alu instid0(VALU_DEP_2)
	v_add_co_ci_u32_e32 v3, vcc_lo, v9, v3, vcc_lo
	global_store_b64 v[2:3], v[0:1], off
.LBB557_11:
	s_nop 0
	s_sendmsg sendmsg(MSG_DEALLOC_VGPRS)
	s_endpgm
	.section	.rodata,"a",@progbits
	.p2align	6, 0x0
	.amdhsa_kernel _ZL37rocblas_syrkx_herkx_restricted_kernelIidLi16ELi32ELi8ELi1ELi0ELb0ELc67ELc85EKPKdKPdEviT_PT9_S5_lS7_S5_lPT10_S5_li
		.amdhsa_group_segment_fixed_size 4096
		.amdhsa_private_segment_fixed_size 0
		.amdhsa_kernarg_size 84
		.amdhsa_user_sgpr_count 13
		.amdhsa_user_sgpr_dispatch_ptr 0
		.amdhsa_user_sgpr_queue_ptr 0
		.amdhsa_user_sgpr_kernarg_segment_ptr 1
		.amdhsa_user_sgpr_dispatch_id 0
		.amdhsa_user_sgpr_private_segment_size 0
		.amdhsa_wavefront_size32 1
		.amdhsa_uses_dynamic_stack 0
		.amdhsa_enable_private_segment 0
		.amdhsa_system_sgpr_workgroup_id_x 1
		.amdhsa_system_sgpr_workgroup_id_y 1
		.amdhsa_system_sgpr_workgroup_id_z 1
		.amdhsa_system_sgpr_workgroup_info 0
		.amdhsa_system_vgpr_workitem_id 1
		.amdhsa_next_free_vgpr 38
		.amdhsa_next_free_sgpr 17
		.amdhsa_reserve_vcc 1
		.amdhsa_float_round_mode_32 0
		.amdhsa_float_round_mode_16_64 0
		.amdhsa_float_denorm_mode_32 3
		.amdhsa_float_denorm_mode_16_64 3
		.amdhsa_dx10_clamp 1
		.amdhsa_ieee_mode 1
		.amdhsa_fp16_overflow 0
		.amdhsa_workgroup_processor_mode 1
		.amdhsa_memory_ordered 1
		.amdhsa_forward_progress 0
		.amdhsa_shared_vgpr_count 0
		.amdhsa_exception_fp_ieee_invalid_op 0
		.amdhsa_exception_fp_denorm_src 0
		.amdhsa_exception_fp_ieee_div_zero 0
		.amdhsa_exception_fp_ieee_overflow 0
		.amdhsa_exception_fp_ieee_underflow 0
		.amdhsa_exception_fp_ieee_inexact 0
		.amdhsa_exception_int_div_zero 0
	.end_amdhsa_kernel
	.section	.text._ZL37rocblas_syrkx_herkx_restricted_kernelIidLi16ELi32ELi8ELi1ELi0ELb0ELc67ELc85EKPKdKPdEviT_PT9_S5_lS7_S5_lPT10_S5_li,"axG",@progbits,_ZL37rocblas_syrkx_herkx_restricted_kernelIidLi16ELi32ELi8ELi1ELi0ELb0ELc67ELc85EKPKdKPdEviT_PT9_S5_lS7_S5_lPT10_S5_li,comdat
.Lfunc_end557:
	.size	_ZL37rocblas_syrkx_herkx_restricted_kernelIidLi16ELi32ELi8ELi1ELi0ELb0ELc67ELc85EKPKdKPdEviT_PT9_S5_lS7_S5_lPT10_S5_li, .Lfunc_end557-_ZL37rocblas_syrkx_herkx_restricted_kernelIidLi16ELi32ELi8ELi1ELi0ELb0ELc67ELc85EKPKdKPdEviT_PT9_S5_lS7_S5_lPT10_S5_li
                                        ; -- End function
	.section	.AMDGPU.csdata,"",@progbits
; Kernel info:
; codeLenInByte = 1320
; NumSgprs: 19
; NumVgprs: 38
; ScratchSize: 0
; MemoryBound: 0
; FloatMode: 240
; IeeeMode: 1
; LDSByteSize: 4096 bytes/workgroup (compile time only)
; SGPRBlocks: 2
; VGPRBlocks: 4
; NumSGPRsForWavesPerEU: 19
; NumVGPRsForWavesPerEU: 38
; Occupancy: 16
; WaveLimiterHint : 1
; COMPUTE_PGM_RSRC2:SCRATCH_EN: 0
; COMPUTE_PGM_RSRC2:USER_SGPR: 13
; COMPUTE_PGM_RSRC2:TRAP_HANDLER: 0
; COMPUTE_PGM_RSRC2:TGID_X_EN: 1
; COMPUTE_PGM_RSRC2:TGID_Y_EN: 1
; COMPUTE_PGM_RSRC2:TGID_Z_EN: 1
; COMPUTE_PGM_RSRC2:TIDIG_COMP_CNT: 1
	.section	.text._ZL37rocblas_syrkx_herkx_restricted_kernelIidLi16ELi32ELi8ELi1ELi0ELb0ELc78ELc85EKPKdKPdEviT_PT9_S5_lS7_S5_lPT10_S5_li,"axG",@progbits,_ZL37rocblas_syrkx_herkx_restricted_kernelIidLi16ELi32ELi8ELi1ELi0ELb0ELc78ELc85EKPKdKPdEviT_PT9_S5_lS7_S5_lPT10_S5_li,comdat
	.globl	_ZL37rocblas_syrkx_herkx_restricted_kernelIidLi16ELi32ELi8ELi1ELi0ELb0ELc78ELc85EKPKdKPdEviT_PT9_S5_lS7_S5_lPT10_S5_li ; -- Begin function _ZL37rocblas_syrkx_herkx_restricted_kernelIidLi16ELi32ELi8ELi1ELi0ELb0ELc78ELc85EKPKdKPdEviT_PT9_S5_lS7_S5_lPT10_S5_li
	.p2align	8
	.type	_ZL37rocblas_syrkx_herkx_restricted_kernelIidLi16ELi32ELi8ELi1ELi0ELb0ELc78ELc85EKPKdKPdEviT_PT9_S5_lS7_S5_lPT10_S5_li,@function
_ZL37rocblas_syrkx_herkx_restricted_kernelIidLi16ELi32ELi8ELi1ELi0ELb0ELc78ELc85EKPKdKPdEviT_PT9_S5_lS7_S5_lPT10_S5_li: ; @_ZL37rocblas_syrkx_herkx_restricted_kernelIidLi16ELi32ELi8ELi1ELi0ELb0ELc78ELc85EKPKdKPdEviT_PT9_S5_lS7_S5_lPT10_S5_li
; %bb.0:
	s_clause 0x1
	s_load_b64 s[4:5], s[0:1], 0x38
	s_load_b64 s[2:3], s[0:1], 0x0
	s_mov_b32 s6, s15
	s_mov_b32 s7, 0
	v_mov_b32_e32 v10, 0
	s_lshl_b64 s[8:9], s[6:7], 3
	v_dual_mov_b32 v11, 0 :: v_dual_and_b32 v12, 0x3ff, v0
	v_bfe_u32 v13, v0, 10, 10
	s_delay_alu instid0(VALU_DEP_3) | instskip(NEXT) | instid1(VALU_DEP_3)
	v_mov_b32_e32 v8, v10
	v_dual_mov_b32 v2, v10 :: v_dual_mov_b32 v3, v11
	v_dual_mov_b32 v9, v11 :: v_dual_mov_b32 v0, v10
	v_mov_b32_e32 v1, v11
	s_waitcnt lgkmcnt(0)
	s_add_u32 s4, s4, s8
	s_addc_u32 s5, s5, s9
	s_lshl_b32 s6, s13, 5
	s_load_b64 s[4:5], s[4:5], 0x0
	s_lshl_b32 s12, s14, 5
	s_cmp_lt_i32 s3, 1
	s_cbranch_scc1 .LBB558_3
; %bb.1:
	s_clause 0x3
	s_load_b32 s10, s[0:1], 0x10
	s_load_b32 s14, s[0:1], 0x28
	s_load_b64 s[16:17], s[0:1], 0x8
	s_load_b64 s[18:19], s[0:1], 0x20
	v_lshl_add_u32 v2, v13, 4, v12
	v_mov_b32_e32 v0, 0
	v_dual_mov_b32 v1, 0 :: v_dual_and_b32 v8, 7, v12
	v_lshlrev_b32_e32 v14, 3, v12
	s_delay_alu instid0(VALU_DEP_4)
	v_and_b32_e32 v10, 31, v2
	v_lshrrev_b32_e32 v9, 3, v2
	v_lshrrev_b32_e32 v11, 5, v2
	v_lshlrev_b32_e32 v16, 3, v8
	v_lshl_add_u32 v15, v13, 6, 0x800
	v_add_nc_u32_e32 v4, s6, v10
	v_add_nc_u32_e32 v2, s12, v9
	s_delay_alu instid0(VALU_DEP_4) | instskip(NEXT) | instid1(VALU_DEP_3)
	v_lshl_or_b32 v17, v9, 6, v16
	v_ashrrev_i32_e32 v5, 31, v4
	s_waitcnt lgkmcnt(0)
	s_ashr_i32 s11, s10, 31
	s_ashr_i32 s15, s14, 31
	s_add_u32 s16, s16, s8
	s_addc_u32 s17, s17, s9
	s_add_u32 s8, s18, s8
	s_load_b64 s[16:17], s[16:17], 0x0
	s_addc_u32 s9, s19, s9
	v_ashrrev_i32_e32 v3, 31, v2
	s_load_b64 s[8:9], s[8:9], 0x0
	v_mad_i64_i32 v[6:7], null, s10, v11, v[4:5]
	v_add_nc_u32_e32 v17, 0x800, v17
	s_delay_alu instid0(VALU_DEP_3)
	v_mad_i64_i32 v[4:5], null, s14, v8, v[2:3]
	v_dual_mov_b32 v3, v1 :: v_dual_lshlrev_b32 v10, 3, v10
	v_mov_b32_e32 v9, v1
	v_lshlrev_b64 v[6:7], 3, v[6:7]
	v_mov_b32_e32 v2, v0
	v_mov_b32_e32 v8, v0
	v_lshl_or_b32 v16, v11, 8, v10
	v_lshlrev_b64 v[10:11], 3, v[4:5]
	s_waitcnt lgkmcnt(0)
	v_add_co_u32 v4, vcc_lo, s16, v6
	v_add_co_ci_u32_e32 v5, vcc_lo, s17, v7, vcc_lo
	s_delay_alu instid0(VALU_DEP_3) | instskip(NEXT) | instid1(VALU_DEP_4)
	v_add_co_u32 v6, vcc_lo, s8, v10
	v_add_co_ci_u32_e32 v7, vcc_lo, s9, v11, vcc_lo
	v_dual_mov_b32 v11, v1 :: v_dual_mov_b32 v10, v0
	s_lshl_b64 s[8:9], s[10:11], 6
	s_lshl_b64 s[10:11], s[14:15], 6
.LBB558_2:                              ; =>This Inner Loop Header: Depth=1
	global_load_b64 v[18:19], v[4:5], off
	global_load_b64 v[20:21], v[6:7], off
	v_add_co_u32 v4, vcc_lo, v4, s8
	v_add_co_ci_u32_e32 v5, vcc_lo, s9, v5, vcc_lo
	v_add_co_u32 v6, vcc_lo, v6, s10
	v_add_co_ci_u32_e32 v7, vcc_lo, s11, v7, vcc_lo
	s_add_i32 s7, s7, 8
	s_waitcnt vmcnt(1)
	ds_store_b64 v16, v[18:19]
	s_waitcnt vmcnt(0)
	ds_store_b64 v17, v[20:21]
	s_waitcnt lgkmcnt(0)
	s_barrier
	buffer_gl0_inv
	ds_load_2addr_b64 v[18:21], v14 offset1:16
	ds_load_b128 v[22:25], v15
	ds_load_b128 v[26:29], v15 offset:1024
	ds_load_b128 v[30:33], v15 offset:16
	;; [unrolled: 1-line block ×3, first 2 shown]
	s_cmp_ge_i32 s7, s3
	s_waitcnt lgkmcnt(3)
	v_fma_f64 v[10:11], v[18:19], v[22:23], v[10:11]
	v_fma_f64 v[8:9], v[20:21], v[22:23], v[8:9]
	s_waitcnt lgkmcnt(2)
	v_fma_f64 v[18:19], v[18:19], v[26:27], v[2:3]
	v_fma_f64 v[20:21], v[20:21], v[26:27], v[0:1]
	ds_load_2addr_b64 v[0:3], v14 offset0:32 offset1:48
	s_waitcnt lgkmcnt(0)
	v_fma_f64 v[10:11], v[0:1], v[24:25], v[10:11]
	v_fma_f64 v[8:9], v[2:3], v[24:25], v[8:9]
	v_fma_f64 v[18:19], v[0:1], v[28:29], v[18:19]
	v_fma_f64 v[20:21], v[2:3], v[28:29], v[20:21]
	ds_load_2addr_b64 v[0:3], v14 offset0:64 offset1:80
	s_waitcnt lgkmcnt(0)
	v_fma_f64 v[10:11], v[0:1], v[30:31], v[10:11]
	v_fma_f64 v[8:9], v[2:3], v[30:31], v[8:9]
	;; [unrolled: 6-line block ×3, first 2 shown]
	v_fma_f64 v[34:35], v[0:1], v[36:37], v[18:19]
	v_fma_f64 v[36:37], v[2:3], v[36:37], v[20:21]
	ds_load_2addr_b64 v[0:3], v14 offset0:128 offset1:144
	ds_load_b128 v[8:11], v15 offset:32
	ds_load_b128 v[18:21], v15 offset:1056
	;; [unrolled: 1-line block ×4, first 2 shown]
	s_waitcnt lgkmcnt(3)
	v_fma_f64 v[30:31], v[0:1], v[8:9], v[30:31]
	v_fma_f64 v[8:9], v[2:3], v[8:9], v[32:33]
	s_waitcnt lgkmcnt(2)
	v_fma_f64 v[32:33], v[0:1], v[18:19], v[34:35]
	v_fma_f64 v[18:19], v[2:3], v[18:19], v[36:37]
	ds_load_2addr_b64 v[0:3], v14 offset0:160 offset1:176
	s_waitcnt lgkmcnt(0)
	v_fma_f64 v[30:31], v[0:1], v[10:11], v[30:31]
	v_fma_f64 v[8:9], v[2:3], v[10:11], v[8:9]
	;; [unrolled: 1-line block ×4, first 2 shown]
	ds_load_2addr_b64 v[0:3], v14 offset0:192 offset1:208
	s_waitcnt lgkmcnt(0)
	v_fma_f64 v[30:31], v[0:1], v[22:23], v[30:31]
	v_fma_f64 v[8:9], v[2:3], v[22:23], v[8:9]
	;; [unrolled: 1-line block ×4, first 2 shown]
	ds_load_2addr_b64 v[18:21], v14 offset0:224 offset1:240
	s_waitcnt lgkmcnt(0)
	s_barrier
	buffer_gl0_inv
	v_fma_f64 v[10:11], v[18:19], v[24:25], v[30:31]
	v_fma_f64 v[8:9], v[20:21], v[24:25], v[8:9]
	;; [unrolled: 1-line block ×4, first 2 shown]
	s_cbranch_scc0 .LBB558_2
.LBB558_3:
	s_load_b32 s3, s[0:1], 0x40
	v_add_nc_u32_e32 v13, s12, v13
	v_add_nc_u32_e32 v4, s6, v12
	s_delay_alu instid0(VALU_DEP_2) | instskip(NEXT) | instid1(VALU_DEP_2)
	v_cmp_gt_i32_e32 vcc_lo, s2, v13
	v_cmp_le_i32_e64 s0, v4, v13
	s_delay_alu instid0(VALU_DEP_1) | instskip(SKIP_2) | instid1(VALU_DEP_1)
	s_and_b32 s0, vcc_lo, s0
	s_waitcnt lgkmcnt(0)
	v_mad_i64_i32 v[5:6], null, v13, s3, 0
	v_lshlrev_b64 v[5:6], 3, v[5:6]
	s_delay_alu instid0(VALU_DEP_1) | instskip(NEXT) | instid1(VALU_DEP_1)
	v_add_co_u32 v12, s1, s4, v5
	v_add_co_ci_u32_e64 v14, s1, s5, v6, s1
	s_and_saveexec_b32 s1, s0
	s_cbranch_execz .LBB558_5
; %bb.4:
	v_ashrrev_i32_e32 v5, 31, v4
	s_delay_alu instid0(VALU_DEP_1) | instskip(NEXT) | instid1(VALU_DEP_1)
	v_lshlrev_b64 v[5:6], 3, v[4:5]
	v_add_co_u32 v5, s0, v12, v5
	s_delay_alu instid0(VALU_DEP_1)
	v_add_co_ci_u32_e64 v6, s0, v14, v6, s0
	global_store_b64 v[5:6], v[10:11], off
.LBB558_5:
	s_or_b32 exec_lo, exec_lo, s1
	v_add_nc_u32_e32 v6, 16, v4
	s_delay_alu instid0(VALU_DEP_1) | instskip(NEXT) | instid1(VALU_DEP_1)
	v_cmp_le_i32_e64 s0, v6, v13
	s_and_b32 s1, vcc_lo, s0
	s_delay_alu instid0(SALU_CYCLE_1)
	s_and_saveexec_b32 s0, s1
	s_cbranch_execz .LBB558_7
; %bb.6:
	v_ashrrev_i32_e32 v7, 31, v6
	s_delay_alu instid0(VALU_DEP_1) | instskip(NEXT) | instid1(VALU_DEP_1)
	v_lshlrev_b64 v[10:11], 3, v[6:7]
	v_add_co_u32 v10, vcc_lo, v12, v10
	s_delay_alu instid0(VALU_DEP_2)
	v_add_co_ci_u32_e32 v11, vcc_lo, v14, v11, vcc_lo
	global_store_b64 v[10:11], v[8:9], off
.LBB558_7:
	s_or_b32 exec_lo, exec_lo, s0
	v_add_nc_u32_e32 v7, 16, v13
	s_delay_alu instid0(VALU_DEP_1) | instskip(SKIP_2) | instid1(VALU_DEP_1)
	v_mad_i64_i32 v[8:9], null, v7, s3, 0
	v_cmp_gt_i32_e32 vcc_lo, s2, v7
	v_cmp_le_i32_e64 s0, v4, v7
	s_and_b32 s0, vcc_lo, s0
	s_delay_alu instid0(VALU_DEP_3) | instskip(NEXT) | instid1(VALU_DEP_1)
	v_lshlrev_b64 v[8:9], 3, v[8:9]
	v_add_co_u32 v8, s1, s4, v8
	s_delay_alu instid0(VALU_DEP_1)
	v_add_co_ci_u32_e64 v9, s1, s5, v9, s1
	s_and_saveexec_b32 s1, s0
	s_cbranch_execz .LBB558_9
; %bb.8:
	v_ashrrev_i32_e32 v5, 31, v4
	s_delay_alu instid0(VALU_DEP_1) | instskip(NEXT) | instid1(VALU_DEP_1)
	v_lshlrev_b64 v[4:5], 3, v[4:5]
	v_add_co_u32 v4, s0, v8, v4
	s_delay_alu instid0(VALU_DEP_1)
	v_add_co_ci_u32_e64 v5, s0, v9, v5, s0
	global_store_b64 v[4:5], v[2:3], off
.LBB558_9:
	s_or_b32 exec_lo, exec_lo, s1
	v_cmp_le_i32_e64 s0, v6, v7
	s_delay_alu instid0(VALU_DEP_1) | instskip(NEXT) | instid1(SALU_CYCLE_1)
	s_and_b32 s0, vcc_lo, s0
	s_and_saveexec_b32 s1, s0
	s_cbranch_execz .LBB558_11
; %bb.10:
	v_ashrrev_i32_e32 v7, 31, v6
	s_delay_alu instid0(VALU_DEP_1) | instskip(NEXT) | instid1(VALU_DEP_1)
	v_lshlrev_b64 v[2:3], 3, v[6:7]
	v_add_co_u32 v2, vcc_lo, v8, v2
	s_delay_alu instid0(VALU_DEP_2)
	v_add_co_ci_u32_e32 v3, vcc_lo, v9, v3, vcc_lo
	global_store_b64 v[2:3], v[0:1], off
.LBB558_11:
	s_nop 0
	s_sendmsg sendmsg(MSG_DEALLOC_VGPRS)
	s_endpgm
	.section	.rodata,"a",@progbits
	.p2align	6, 0x0
	.amdhsa_kernel _ZL37rocblas_syrkx_herkx_restricted_kernelIidLi16ELi32ELi8ELi1ELi0ELb0ELc78ELc85EKPKdKPdEviT_PT9_S5_lS7_S5_lPT10_S5_li
		.amdhsa_group_segment_fixed_size 4096
		.amdhsa_private_segment_fixed_size 0
		.amdhsa_kernarg_size 84
		.amdhsa_user_sgpr_count 13
		.amdhsa_user_sgpr_dispatch_ptr 0
		.amdhsa_user_sgpr_queue_ptr 0
		.amdhsa_user_sgpr_kernarg_segment_ptr 1
		.amdhsa_user_sgpr_dispatch_id 0
		.amdhsa_user_sgpr_private_segment_size 0
		.amdhsa_wavefront_size32 1
		.amdhsa_uses_dynamic_stack 0
		.amdhsa_enable_private_segment 0
		.amdhsa_system_sgpr_workgroup_id_x 1
		.amdhsa_system_sgpr_workgroup_id_y 1
		.amdhsa_system_sgpr_workgroup_id_z 1
		.amdhsa_system_sgpr_workgroup_info 0
		.amdhsa_system_vgpr_workitem_id 1
		.amdhsa_next_free_vgpr 38
		.amdhsa_next_free_sgpr 20
		.amdhsa_reserve_vcc 1
		.amdhsa_float_round_mode_32 0
		.amdhsa_float_round_mode_16_64 0
		.amdhsa_float_denorm_mode_32 3
		.amdhsa_float_denorm_mode_16_64 3
		.amdhsa_dx10_clamp 1
		.amdhsa_ieee_mode 1
		.amdhsa_fp16_overflow 0
		.amdhsa_workgroup_processor_mode 1
		.amdhsa_memory_ordered 1
		.amdhsa_forward_progress 0
		.amdhsa_shared_vgpr_count 0
		.amdhsa_exception_fp_ieee_invalid_op 0
		.amdhsa_exception_fp_denorm_src 0
		.amdhsa_exception_fp_ieee_div_zero 0
		.amdhsa_exception_fp_ieee_overflow 0
		.amdhsa_exception_fp_ieee_underflow 0
		.amdhsa_exception_fp_ieee_inexact 0
		.amdhsa_exception_int_div_zero 0
	.end_amdhsa_kernel
	.section	.text._ZL37rocblas_syrkx_herkx_restricted_kernelIidLi16ELi32ELi8ELi1ELi0ELb0ELc78ELc85EKPKdKPdEviT_PT9_S5_lS7_S5_lPT10_S5_li,"axG",@progbits,_ZL37rocblas_syrkx_herkx_restricted_kernelIidLi16ELi32ELi8ELi1ELi0ELb0ELc78ELc85EKPKdKPdEviT_PT9_S5_lS7_S5_lPT10_S5_li,comdat
.Lfunc_end558:
	.size	_ZL37rocblas_syrkx_herkx_restricted_kernelIidLi16ELi32ELi8ELi1ELi0ELb0ELc78ELc85EKPKdKPdEviT_PT9_S5_lS7_S5_lPT10_S5_li, .Lfunc_end558-_ZL37rocblas_syrkx_herkx_restricted_kernelIidLi16ELi32ELi8ELi1ELi0ELb0ELc78ELc85EKPKdKPdEviT_PT9_S5_lS7_S5_lPT10_S5_li
                                        ; -- End function
	.section	.AMDGPU.csdata,"",@progbits
; Kernel info:
; codeLenInByte = 1340
; NumSgprs: 22
; NumVgprs: 38
; ScratchSize: 0
; MemoryBound: 0
; FloatMode: 240
; IeeeMode: 1
; LDSByteSize: 4096 bytes/workgroup (compile time only)
; SGPRBlocks: 2
; VGPRBlocks: 4
; NumSGPRsForWavesPerEU: 22
; NumVGPRsForWavesPerEU: 38
; Occupancy: 16
; WaveLimiterHint : 1
; COMPUTE_PGM_RSRC2:SCRATCH_EN: 0
; COMPUTE_PGM_RSRC2:USER_SGPR: 13
; COMPUTE_PGM_RSRC2:TRAP_HANDLER: 0
; COMPUTE_PGM_RSRC2:TGID_X_EN: 1
; COMPUTE_PGM_RSRC2:TGID_Y_EN: 1
; COMPUTE_PGM_RSRC2:TGID_Z_EN: 1
; COMPUTE_PGM_RSRC2:TIDIG_COMP_CNT: 1
	.section	.text._ZL37rocblas_syrkx_herkx_restricted_kernelIidLi16ELi32ELi8ELin1ELi0ELb0ELc84ELc76EKPKdKPdEviT_PT9_S5_lS7_S5_lPT10_S5_li,"axG",@progbits,_ZL37rocblas_syrkx_herkx_restricted_kernelIidLi16ELi32ELi8ELin1ELi0ELb0ELc84ELc76EKPKdKPdEviT_PT9_S5_lS7_S5_lPT10_S5_li,comdat
	.globl	_ZL37rocblas_syrkx_herkx_restricted_kernelIidLi16ELi32ELi8ELin1ELi0ELb0ELc84ELc76EKPKdKPdEviT_PT9_S5_lS7_S5_lPT10_S5_li ; -- Begin function _ZL37rocblas_syrkx_herkx_restricted_kernelIidLi16ELi32ELi8ELin1ELi0ELb0ELc84ELc76EKPKdKPdEviT_PT9_S5_lS7_S5_lPT10_S5_li
	.p2align	8
	.type	_ZL37rocblas_syrkx_herkx_restricted_kernelIidLi16ELi32ELi8ELin1ELi0ELb0ELc84ELc76EKPKdKPdEviT_PT9_S5_lS7_S5_lPT10_S5_li,@function
_ZL37rocblas_syrkx_herkx_restricted_kernelIidLi16ELi32ELi8ELin1ELi0ELb0ELc84ELc76EKPKdKPdEviT_PT9_S5_lS7_S5_lPT10_S5_li: ; @_ZL37rocblas_syrkx_herkx_restricted_kernelIidLi16ELi32ELi8ELin1ELi0ELb0ELc84ELc76EKPKdKPdEviT_PT9_S5_lS7_S5_lPT10_S5_li
; %bb.0:
	s_clause 0x1
	s_load_b64 s[2:3], s[0:1], 0x38
	s_load_b64 s[4:5], s[0:1], 0x0
	s_mov_b32 s6, s15
	s_mov_b32 s7, 0
	v_mov_b32_e32 v10, 0
	s_lshl_b64 s[8:9], s[6:7], 3
	v_dual_mov_b32 v11, 0 :: v_dual_and_b32 v12, 0x3ff, v0
	v_bfe_u32 v13, v0, 10, 10
	s_delay_alu instid0(VALU_DEP_3) | instskip(NEXT) | instid1(VALU_DEP_3)
	v_mov_b32_e32 v8, v10
	v_dual_mov_b32 v2, v10 :: v_dual_mov_b32 v3, v11
	v_dual_mov_b32 v9, v11 :: v_dual_mov_b32 v0, v10
	v_mov_b32_e32 v1, v11
	s_waitcnt lgkmcnt(0)
	s_add_u32 s2, s2, s8
	s_addc_u32 s3, s3, s9
	s_lshl_b32 s6, s13, 5
	s_load_b64 s[2:3], s[2:3], 0x0
	s_lshl_b32 s10, s14, 5
	s_cmp_lt_i32 s5, 1
	s_cbranch_scc1 .LBB559_3
; %bb.1:
	s_clause 0x3
	s_load_b64 s[12:13], s[0:1], 0x8
	s_load_b64 s[14:15], s[0:1], 0x20
	s_load_b32 s11, s[0:1], 0x10
	s_load_b32 s16, s[0:1], 0x28
	v_lshl_add_u32 v4, v13, 4, v12
	v_dual_mov_b32 v3, 0 :: v_dual_and_b32 v2, 7, v12
	v_mov_b32_e32 v0, 0
	v_dual_mov_b32 v1, 0 :: v_dual_lshlrev_b32 v14, 3, v12
	s_delay_alu instid0(VALU_DEP_4)
	v_and_b32_e32 v9, 31, v4
	v_lshrrev_b32_e32 v8, 3, v4
	v_lshrrev_b32_e32 v4, 5, v4
	v_mov_b32_e32 v5, v3
	v_lshl_add_u32 v15, v13, 6, 0x800
	v_add_nc_u32_e32 v10, s6, v9
	v_add_nc_u32_e32 v16, s10, v8
	s_waitcnt lgkmcnt(0)
	s_add_u32 s12, s12, s8
	s_addc_u32 s13, s13, s9
	s_add_u32 s8, s14, s8
	s_load_b64 s[12:13], s[12:13], 0x0
	s_addc_u32 s9, s15, s9
	v_mad_i64_i32 v[6:7], null, s11, v10, v[4:5]
	s_load_b64 s[8:9], s[8:9], 0x0
	v_lshlrev_b32_e32 v5, 3, v2
	v_mad_i64_i32 v[10:11], null, s16, v16, v[2:3]
	v_dual_mov_b32 v3, v1 :: v_dual_mov_b32 v2, v0
	s_delay_alu instid0(VALU_DEP_3) | instskip(SKIP_3) | instid1(VALU_DEP_4)
	v_lshl_or_b32 v17, v8, 6, v5
	v_lshlrev_b64 v[5:6], 3, v[6:7]
	v_dual_mov_b32 v9, v1 :: v_dual_lshlrev_b32 v16, 3, v9
	v_lshlrev_b64 v[10:11], 3, v[10:11]
	v_dual_mov_b32 v8, v0 :: v_dual_add_nc_u32 v17, 0x800, v17
	s_delay_alu instid0(VALU_DEP_3)
	v_lshl_or_b32 v16, v4, 8, v16
	s_waitcnt lgkmcnt(0)
	v_add_co_u32 v4, vcc_lo, s12, v5
	v_add_co_ci_u32_e32 v5, vcc_lo, s13, v6, vcc_lo
	v_add_co_u32 v6, vcc_lo, s8, v10
	v_add_co_ci_u32_e32 v7, vcc_lo, s9, v11, vcc_lo
	v_dual_mov_b32 v11, v1 :: v_dual_mov_b32 v10, v0
.LBB559_2:                              ; =>This Inner Loop Header: Depth=1
	global_load_b64 v[18:19], v[4:5], off
	global_load_b64 v[20:21], v[6:7], off
	v_add_co_u32 v4, vcc_lo, v4, 64
	v_add_co_ci_u32_e32 v5, vcc_lo, 0, v5, vcc_lo
	v_add_co_u32 v6, vcc_lo, v6, 64
	v_add_co_ci_u32_e32 v7, vcc_lo, 0, v7, vcc_lo
	s_add_i32 s7, s7, 8
	s_waitcnt vmcnt(1)
	ds_store_b64 v16, v[18:19]
	s_waitcnt vmcnt(0)
	ds_store_b64 v17, v[20:21]
	s_waitcnt lgkmcnt(0)
	s_barrier
	buffer_gl0_inv
	ds_load_2addr_b64 v[18:21], v14 offset1:16
	ds_load_b128 v[22:25], v15
	ds_load_b128 v[26:29], v15 offset:1024
	ds_load_b128 v[30:33], v15 offset:16
	ds_load_b128 v[34:37], v15 offset:1040
	s_cmp_ge_i32 s7, s5
	s_waitcnt lgkmcnt(3)
	v_fma_f64 v[10:11], v[18:19], v[22:23], v[10:11]
	v_fma_f64 v[8:9], v[20:21], v[22:23], v[8:9]
	s_waitcnt lgkmcnt(2)
	v_fma_f64 v[18:19], v[18:19], v[26:27], v[2:3]
	v_fma_f64 v[20:21], v[20:21], v[26:27], v[0:1]
	ds_load_2addr_b64 v[0:3], v14 offset0:32 offset1:48
	s_waitcnt lgkmcnt(0)
	v_fma_f64 v[10:11], v[0:1], v[24:25], v[10:11]
	v_fma_f64 v[8:9], v[2:3], v[24:25], v[8:9]
	v_fma_f64 v[18:19], v[0:1], v[28:29], v[18:19]
	v_fma_f64 v[20:21], v[2:3], v[28:29], v[20:21]
	ds_load_2addr_b64 v[0:3], v14 offset0:64 offset1:80
	s_waitcnt lgkmcnt(0)
	v_fma_f64 v[10:11], v[0:1], v[30:31], v[10:11]
	v_fma_f64 v[8:9], v[2:3], v[30:31], v[8:9]
	;; [unrolled: 6-line block ×3, first 2 shown]
	v_fma_f64 v[34:35], v[0:1], v[36:37], v[18:19]
	v_fma_f64 v[36:37], v[2:3], v[36:37], v[20:21]
	ds_load_2addr_b64 v[0:3], v14 offset0:128 offset1:144
	ds_load_b128 v[8:11], v15 offset:32
	ds_load_b128 v[18:21], v15 offset:1056
	;; [unrolled: 1-line block ×4, first 2 shown]
	s_waitcnt lgkmcnt(3)
	v_fma_f64 v[30:31], v[0:1], v[8:9], v[30:31]
	v_fma_f64 v[8:9], v[2:3], v[8:9], v[32:33]
	s_waitcnt lgkmcnt(2)
	v_fma_f64 v[32:33], v[0:1], v[18:19], v[34:35]
	v_fma_f64 v[18:19], v[2:3], v[18:19], v[36:37]
	ds_load_2addr_b64 v[0:3], v14 offset0:160 offset1:176
	s_waitcnt lgkmcnt(0)
	v_fma_f64 v[30:31], v[0:1], v[10:11], v[30:31]
	v_fma_f64 v[8:9], v[2:3], v[10:11], v[8:9]
	v_fma_f64 v[10:11], v[0:1], v[20:21], v[32:33]
	v_fma_f64 v[18:19], v[2:3], v[20:21], v[18:19]
	ds_load_2addr_b64 v[0:3], v14 offset0:192 offset1:208
	s_waitcnt lgkmcnt(0)
	v_fma_f64 v[30:31], v[0:1], v[22:23], v[30:31]
	v_fma_f64 v[8:9], v[2:3], v[22:23], v[8:9]
	v_fma_f64 v[0:1], v[0:1], v[26:27], v[10:11]
	v_fma_f64 v[22:23], v[2:3], v[26:27], v[18:19]
	ds_load_2addr_b64 v[18:21], v14 offset0:224 offset1:240
	s_waitcnt lgkmcnt(0)
	s_barrier
	buffer_gl0_inv
	v_fma_f64 v[10:11], v[18:19], v[24:25], v[30:31]
	v_fma_f64 v[8:9], v[20:21], v[24:25], v[8:9]
	v_fma_f64 v[2:3], v[18:19], v[28:29], v[0:1]
	v_fma_f64 v[0:1], v[20:21], v[28:29], v[22:23]
	s_cbranch_scc0 .LBB559_2
.LBB559_3:
	s_load_b32 s5, s[0:1], 0x40
	v_add_nc_u32_e32 v13, s10, v13
	v_add_nc_u32_e32 v4, s6, v12
	s_delay_alu instid0(VALU_DEP_1) | instskip(SKIP_1) | instid1(VALU_DEP_2)
	v_cmp_le_i32_e64 s0, v13, v4
	v_cmp_gt_i32_e32 vcc_lo, s4, v4
	s_and_b32 s0, s0, vcc_lo
	s_waitcnt lgkmcnt(0)
	v_mad_i64_i32 v[5:6], null, v13, s5, 0
	s_delay_alu instid0(VALU_DEP_1) | instskip(NEXT) | instid1(VALU_DEP_1)
	v_lshlrev_b64 v[5:6], 3, v[5:6]
	v_add_co_u32 v12, s1, s2, v5
	s_delay_alu instid0(VALU_DEP_1)
	v_add_co_ci_u32_e64 v14, s1, s3, v6, s1
	s_and_saveexec_b32 s1, s0
	s_cbranch_execz .LBB559_5
; %bb.4:
	v_ashrrev_i32_e32 v5, 31, v4
	v_xor_b32_e32 v11, 0x80000000, v11
	s_delay_alu instid0(VALU_DEP_2) | instskip(NEXT) | instid1(VALU_DEP_1)
	v_lshlrev_b64 v[5:6], 3, v[4:5]
	v_add_co_u32 v5, s0, v12, v5
	s_delay_alu instid0(VALU_DEP_1)
	v_add_co_ci_u32_e64 v6, s0, v14, v6, s0
	global_store_b64 v[5:6], v[10:11], off
.LBB559_5:
	s_or_b32 exec_lo, exec_lo, s1
	v_add_nc_u32_e32 v6, 16, v4
	s_delay_alu instid0(VALU_DEP_1) | instskip(SKIP_1) | instid1(VALU_DEP_1)
	v_cmp_le_i32_e64 s1, v13, v6
	v_cmp_gt_i32_e64 s0, s4, v6
	s_and_b32 s1, s1, s0
	s_delay_alu instid0(SALU_CYCLE_1)
	s_and_saveexec_b32 s4, s1
	s_cbranch_execz .LBB559_7
; %bb.6:
	v_ashrrev_i32_e32 v7, 31, v6
	v_xor_b32_e32 v9, 0x80000000, v9
	s_delay_alu instid0(VALU_DEP_2) | instskip(NEXT) | instid1(VALU_DEP_1)
	v_lshlrev_b64 v[10:11], 3, v[6:7]
	v_add_co_u32 v10, s1, v12, v10
	s_delay_alu instid0(VALU_DEP_1)
	v_add_co_ci_u32_e64 v11, s1, v14, v11, s1
	global_store_b64 v[10:11], v[8:9], off
.LBB559_7:
	s_or_b32 exec_lo, exec_lo, s4
	v_add_nc_u32_e32 v7, 16, v13
	s_delay_alu instid0(VALU_DEP_1) | instskip(SKIP_1) | instid1(VALU_DEP_2)
	v_mad_i64_i32 v[8:9], null, v7, s5, 0
	v_cmp_le_i32_e64 s1, v7, v4
	v_lshlrev_b64 v[8:9], 3, v[8:9]
	s_delay_alu instid0(VALU_DEP_1) | instskip(NEXT) | instid1(VALU_DEP_1)
	v_add_co_u32 v8, s2, s2, v8
	v_add_co_ci_u32_e64 v9, s2, s3, v9, s2
	s_delay_alu instid0(VALU_DEP_4) | instskip(NEXT) | instid1(SALU_CYCLE_1)
	s_and_b32 s2, s1, vcc_lo
	s_and_saveexec_b32 s1, s2
	s_cbranch_execz .LBB559_9
; %bb.8:
	v_ashrrev_i32_e32 v5, 31, v4
	v_xor_b32_e32 v3, 0x80000000, v3
	s_delay_alu instid0(VALU_DEP_2) | instskip(NEXT) | instid1(VALU_DEP_1)
	v_lshlrev_b64 v[4:5], 3, v[4:5]
	v_add_co_u32 v4, vcc_lo, v8, v4
	s_delay_alu instid0(VALU_DEP_2)
	v_add_co_ci_u32_e32 v5, vcc_lo, v9, v5, vcc_lo
	global_store_b64 v[4:5], v[2:3], off
.LBB559_9:
	s_or_b32 exec_lo, exec_lo, s1
	v_cmp_le_i32_e32 vcc_lo, v7, v6
	s_and_b32 s0, vcc_lo, s0
	s_delay_alu instid0(SALU_CYCLE_1)
	s_and_saveexec_b32 s1, s0
	s_cbranch_execz .LBB559_11
; %bb.10:
	v_ashrrev_i32_e32 v7, 31, v6
	v_xor_b32_e32 v1, 0x80000000, v1
	s_delay_alu instid0(VALU_DEP_2) | instskip(NEXT) | instid1(VALU_DEP_1)
	v_lshlrev_b64 v[2:3], 3, v[6:7]
	v_add_co_u32 v2, vcc_lo, v8, v2
	s_delay_alu instid0(VALU_DEP_2)
	v_add_co_ci_u32_e32 v3, vcc_lo, v9, v3, vcc_lo
	global_store_b64 v[2:3], v[0:1], off
.LBB559_11:
	s_nop 0
	s_sendmsg sendmsg(MSG_DEALLOC_VGPRS)
	s_endpgm
	.section	.rodata,"a",@progbits
	.p2align	6, 0x0
	.amdhsa_kernel _ZL37rocblas_syrkx_herkx_restricted_kernelIidLi16ELi32ELi8ELin1ELi0ELb0ELc84ELc76EKPKdKPdEviT_PT9_S5_lS7_S5_lPT10_S5_li
		.amdhsa_group_segment_fixed_size 4096
		.amdhsa_private_segment_fixed_size 0
		.amdhsa_kernarg_size 84
		.amdhsa_user_sgpr_count 13
		.amdhsa_user_sgpr_dispatch_ptr 0
		.amdhsa_user_sgpr_queue_ptr 0
		.amdhsa_user_sgpr_kernarg_segment_ptr 1
		.amdhsa_user_sgpr_dispatch_id 0
		.amdhsa_user_sgpr_private_segment_size 0
		.amdhsa_wavefront_size32 1
		.amdhsa_uses_dynamic_stack 0
		.amdhsa_enable_private_segment 0
		.amdhsa_system_sgpr_workgroup_id_x 1
		.amdhsa_system_sgpr_workgroup_id_y 1
		.amdhsa_system_sgpr_workgroup_id_z 1
		.amdhsa_system_sgpr_workgroup_info 0
		.amdhsa_system_vgpr_workitem_id 1
		.amdhsa_next_free_vgpr 38
		.amdhsa_next_free_sgpr 17
		.amdhsa_reserve_vcc 1
		.amdhsa_float_round_mode_32 0
		.amdhsa_float_round_mode_16_64 0
		.amdhsa_float_denorm_mode_32 3
		.amdhsa_float_denorm_mode_16_64 3
		.amdhsa_dx10_clamp 1
		.amdhsa_ieee_mode 1
		.amdhsa_fp16_overflow 0
		.amdhsa_workgroup_processor_mode 1
		.amdhsa_memory_ordered 1
		.amdhsa_forward_progress 0
		.amdhsa_shared_vgpr_count 0
		.amdhsa_exception_fp_ieee_invalid_op 0
		.amdhsa_exception_fp_denorm_src 0
		.amdhsa_exception_fp_ieee_div_zero 0
		.amdhsa_exception_fp_ieee_overflow 0
		.amdhsa_exception_fp_ieee_underflow 0
		.amdhsa_exception_fp_ieee_inexact 0
		.amdhsa_exception_int_div_zero 0
	.end_amdhsa_kernel
	.section	.text._ZL37rocblas_syrkx_herkx_restricted_kernelIidLi16ELi32ELi8ELin1ELi0ELb0ELc84ELc76EKPKdKPdEviT_PT9_S5_lS7_S5_lPT10_S5_li,"axG",@progbits,_ZL37rocblas_syrkx_herkx_restricted_kernelIidLi16ELi32ELi8ELin1ELi0ELb0ELc84ELc76EKPKdKPdEviT_PT9_S5_lS7_S5_lPT10_S5_li,comdat
.Lfunc_end559:
	.size	_ZL37rocblas_syrkx_herkx_restricted_kernelIidLi16ELi32ELi8ELin1ELi0ELb0ELc84ELc76EKPKdKPdEviT_PT9_S5_lS7_S5_lPT10_S5_li, .Lfunc_end559-_ZL37rocblas_syrkx_herkx_restricted_kernelIidLi16ELi32ELi8ELin1ELi0ELb0ELc84ELc76EKPKdKPdEviT_PT9_S5_lS7_S5_lPT10_S5_li
                                        ; -- End function
	.section	.AMDGPU.csdata,"",@progbits
; Kernel info:
; codeLenInByte = 1352
; NumSgprs: 19
; NumVgprs: 38
; ScratchSize: 0
; MemoryBound: 0
; FloatMode: 240
; IeeeMode: 1
; LDSByteSize: 4096 bytes/workgroup (compile time only)
; SGPRBlocks: 2
; VGPRBlocks: 4
; NumSGPRsForWavesPerEU: 19
; NumVGPRsForWavesPerEU: 38
; Occupancy: 16
; WaveLimiterHint : 1
; COMPUTE_PGM_RSRC2:SCRATCH_EN: 0
; COMPUTE_PGM_RSRC2:USER_SGPR: 13
; COMPUTE_PGM_RSRC2:TRAP_HANDLER: 0
; COMPUTE_PGM_RSRC2:TGID_X_EN: 1
; COMPUTE_PGM_RSRC2:TGID_Y_EN: 1
; COMPUTE_PGM_RSRC2:TGID_Z_EN: 1
; COMPUTE_PGM_RSRC2:TIDIG_COMP_CNT: 1
	.section	.text._ZL37rocblas_syrkx_herkx_restricted_kernelIidLi16ELi32ELi8ELin1ELi0ELb0ELc67ELc76EKPKdKPdEviT_PT9_S5_lS7_S5_lPT10_S5_li,"axG",@progbits,_ZL37rocblas_syrkx_herkx_restricted_kernelIidLi16ELi32ELi8ELin1ELi0ELb0ELc67ELc76EKPKdKPdEviT_PT9_S5_lS7_S5_lPT10_S5_li,comdat
	.globl	_ZL37rocblas_syrkx_herkx_restricted_kernelIidLi16ELi32ELi8ELin1ELi0ELb0ELc67ELc76EKPKdKPdEviT_PT9_S5_lS7_S5_lPT10_S5_li ; -- Begin function _ZL37rocblas_syrkx_herkx_restricted_kernelIidLi16ELi32ELi8ELin1ELi0ELb0ELc67ELc76EKPKdKPdEviT_PT9_S5_lS7_S5_lPT10_S5_li
	.p2align	8
	.type	_ZL37rocblas_syrkx_herkx_restricted_kernelIidLi16ELi32ELi8ELin1ELi0ELb0ELc67ELc76EKPKdKPdEviT_PT9_S5_lS7_S5_lPT10_S5_li,@function
_ZL37rocblas_syrkx_herkx_restricted_kernelIidLi16ELi32ELi8ELin1ELi0ELb0ELc67ELc76EKPKdKPdEviT_PT9_S5_lS7_S5_lPT10_S5_li: ; @_ZL37rocblas_syrkx_herkx_restricted_kernelIidLi16ELi32ELi8ELin1ELi0ELb0ELc67ELc76EKPKdKPdEviT_PT9_S5_lS7_S5_lPT10_S5_li
; %bb.0:
	s_clause 0x1
	s_load_b64 s[2:3], s[0:1], 0x38
	s_load_b64 s[4:5], s[0:1], 0x0
	s_mov_b32 s6, s15
	s_mov_b32 s7, 0
	v_mov_b32_e32 v10, 0
	s_lshl_b64 s[8:9], s[6:7], 3
	v_dual_mov_b32 v11, 0 :: v_dual_and_b32 v12, 0x3ff, v0
	v_bfe_u32 v13, v0, 10, 10
	s_delay_alu instid0(VALU_DEP_3) | instskip(NEXT) | instid1(VALU_DEP_3)
	v_mov_b32_e32 v8, v10
	v_dual_mov_b32 v2, v10 :: v_dual_mov_b32 v3, v11
	v_dual_mov_b32 v9, v11 :: v_dual_mov_b32 v0, v10
	v_mov_b32_e32 v1, v11
	s_waitcnt lgkmcnt(0)
	s_add_u32 s2, s2, s8
	s_addc_u32 s3, s3, s9
	s_lshl_b32 s6, s13, 5
	s_load_b64 s[2:3], s[2:3], 0x0
	s_lshl_b32 s10, s14, 5
	s_cmp_lt_i32 s5, 1
	s_cbranch_scc1 .LBB560_3
; %bb.1:
	s_clause 0x3
	s_load_b64 s[12:13], s[0:1], 0x8
	s_load_b64 s[14:15], s[0:1], 0x20
	s_load_b32 s11, s[0:1], 0x10
	s_load_b32 s16, s[0:1], 0x28
	v_lshl_add_u32 v4, v13, 4, v12
	v_dual_mov_b32 v3, 0 :: v_dual_and_b32 v2, 7, v12
	v_mov_b32_e32 v0, 0
	v_dual_mov_b32 v1, 0 :: v_dual_lshlrev_b32 v14, 3, v12
	s_delay_alu instid0(VALU_DEP_4)
	v_and_b32_e32 v9, 31, v4
	v_lshrrev_b32_e32 v8, 3, v4
	v_lshrrev_b32_e32 v4, 5, v4
	v_mov_b32_e32 v5, v3
	v_lshl_add_u32 v15, v13, 6, 0x800
	v_add_nc_u32_e32 v10, s6, v9
	v_add_nc_u32_e32 v16, s10, v8
	s_waitcnt lgkmcnt(0)
	s_add_u32 s12, s12, s8
	s_addc_u32 s13, s13, s9
	s_add_u32 s8, s14, s8
	s_load_b64 s[12:13], s[12:13], 0x0
	s_addc_u32 s9, s15, s9
	v_mad_i64_i32 v[6:7], null, s11, v10, v[4:5]
	s_load_b64 s[8:9], s[8:9], 0x0
	v_lshlrev_b32_e32 v5, 3, v2
	v_mad_i64_i32 v[10:11], null, s16, v16, v[2:3]
	v_dual_mov_b32 v3, v1 :: v_dual_mov_b32 v2, v0
	s_delay_alu instid0(VALU_DEP_3) | instskip(SKIP_3) | instid1(VALU_DEP_4)
	v_lshl_or_b32 v17, v8, 6, v5
	v_lshlrev_b64 v[5:6], 3, v[6:7]
	v_dual_mov_b32 v9, v1 :: v_dual_lshlrev_b32 v16, 3, v9
	v_lshlrev_b64 v[10:11], 3, v[10:11]
	v_dual_mov_b32 v8, v0 :: v_dual_add_nc_u32 v17, 0x800, v17
	s_delay_alu instid0(VALU_DEP_3)
	v_lshl_or_b32 v16, v4, 8, v16
	s_waitcnt lgkmcnt(0)
	v_add_co_u32 v4, vcc_lo, s12, v5
	v_add_co_ci_u32_e32 v5, vcc_lo, s13, v6, vcc_lo
	v_add_co_u32 v6, vcc_lo, s8, v10
	v_add_co_ci_u32_e32 v7, vcc_lo, s9, v11, vcc_lo
	v_dual_mov_b32 v11, v1 :: v_dual_mov_b32 v10, v0
.LBB560_2:                              ; =>This Inner Loop Header: Depth=1
	global_load_b64 v[18:19], v[4:5], off
	global_load_b64 v[20:21], v[6:7], off
	v_add_co_u32 v4, vcc_lo, v4, 64
	v_add_co_ci_u32_e32 v5, vcc_lo, 0, v5, vcc_lo
	v_add_co_u32 v6, vcc_lo, v6, 64
	v_add_co_ci_u32_e32 v7, vcc_lo, 0, v7, vcc_lo
	s_add_i32 s7, s7, 8
	s_waitcnt vmcnt(1)
	ds_store_b64 v16, v[18:19]
	s_waitcnt vmcnt(0)
	ds_store_b64 v17, v[20:21]
	s_waitcnt lgkmcnt(0)
	s_barrier
	buffer_gl0_inv
	ds_load_2addr_b64 v[18:21], v14 offset1:16
	ds_load_b128 v[22:25], v15
	ds_load_b128 v[26:29], v15 offset:1024
	ds_load_b128 v[30:33], v15 offset:16
	ds_load_b128 v[34:37], v15 offset:1040
	s_cmp_ge_i32 s7, s5
	s_waitcnt lgkmcnt(3)
	v_fma_f64 v[10:11], v[18:19], v[22:23], v[10:11]
	v_fma_f64 v[8:9], v[20:21], v[22:23], v[8:9]
	s_waitcnt lgkmcnt(2)
	v_fma_f64 v[18:19], v[18:19], v[26:27], v[2:3]
	v_fma_f64 v[20:21], v[20:21], v[26:27], v[0:1]
	ds_load_2addr_b64 v[0:3], v14 offset0:32 offset1:48
	s_waitcnt lgkmcnt(0)
	v_fma_f64 v[10:11], v[0:1], v[24:25], v[10:11]
	v_fma_f64 v[8:9], v[2:3], v[24:25], v[8:9]
	v_fma_f64 v[18:19], v[0:1], v[28:29], v[18:19]
	v_fma_f64 v[20:21], v[2:3], v[28:29], v[20:21]
	ds_load_2addr_b64 v[0:3], v14 offset0:64 offset1:80
	s_waitcnt lgkmcnt(0)
	v_fma_f64 v[10:11], v[0:1], v[30:31], v[10:11]
	v_fma_f64 v[8:9], v[2:3], v[30:31], v[8:9]
	;; [unrolled: 6-line block ×3, first 2 shown]
	v_fma_f64 v[34:35], v[0:1], v[36:37], v[18:19]
	v_fma_f64 v[36:37], v[2:3], v[36:37], v[20:21]
	ds_load_2addr_b64 v[0:3], v14 offset0:128 offset1:144
	ds_load_b128 v[8:11], v15 offset:32
	ds_load_b128 v[18:21], v15 offset:1056
	;; [unrolled: 1-line block ×4, first 2 shown]
	s_waitcnt lgkmcnt(3)
	v_fma_f64 v[30:31], v[0:1], v[8:9], v[30:31]
	v_fma_f64 v[8:9], v[2:3], v[8:9], v[32:33]
	s_waitcnt lgkmcnt(2)
	v_fma_f64 v[32:33], v[0:1], v[18:19], v[34:35]
	v_fma_f64 v[18:19], v[2:3], v[18:19], v[36:37]
	ds_load_2addr_b64 v[0:3], v14 offset0:160 offset1:176
	s_waitcnt lgkmcnt(0)
	v_fma_f64 v[30:31], v[0:1], v[10:11], v[30:31]
	v_fma_f64 v[8:9], v[2:3], v[10:11], v[8:9]
	;; [unrolled: 1-line block ×4, first 2 shown]
	ds_load_2addr_b64 v[0:3], v14 offset0:192 offset1:208
	s_waitcnt lgkmcnt(0)
	v_fma_f64 v[30:31], v[0:1], v[22:23], v[30:31]
	v_fma_f64 v[8:9], v[2:3], v[22:23], v[8:9]
	v_fma_f64 v[0:1], v[0:1], v[26:27], v[10:11]
	v_fma_f64 v[22:23], v[2:3], v[26:27], v[18:19]
	ds_load_2addr_b64 v[18:21], v14 offset0:224 offset1:240
	s_waitcnt lgkmcnt(0)
	s_barrier
	buffer_gl0_inv
	v_fma_f64 v[10:11], v[18:19], v[24:25], v[30:31]
	v_fma_f64 v[8:9], v[20:21], v[24:25], v[8:9]
	;; [unrolled: 1-line block ×4, first 2 shown]
	s_cbranch_scc0 .LBB560_2
.LBB560_3:
	s_load_b32 s5, s[0:1], 0x40
	v_add_nc_u32_e32 v13, s10, v13
	v_add_nc_u32_e32 v4, s6, v12
	s_delay_alu instid0(VALU_DEP_1) | instskip(SKIP_1) | instid1(VALU_DEP_2)
	v_cmp_le_i32_e64 s0, v13, v4
	v_cmp_gt_i32_e32 vcc_lo, s4, v4
	s_and_b32 s0, s0, vcc_lo
	s_waitcnt lgkmcnt(0)
	v_mad_i64_i32 v[5:6], null, v13, s5, 0
	s_delay_alu instid0(VALU_DEP_1) | instskip(NEXT) | instid1(VALU_DEP_1)
	v_lshlrev_b64 v[5:6], 3, v[5:6]
	v_add_co_u32 v12, s1, s2, v5
	s_delay_alu instid0(VALU_DEP_1)
	v_add_co_ci_u32_e64 v14, s1, s3, v6, s1
	s_and_saveexec_b32 s1, s0
	s_cbranch_execz .LBB560_5
; %bb.4:
	v_ashrrev_i32_e32 v5, 31, v4
	v_xor_b32_e32 v11, 0x80000000, v11
	s_delay_alu instid0(VALU_DEP_2) | instskip(NEXT) | instid1(VALU_DEP_1)
	v_lshlrev_b64 v[5:6], 3, v[4:5]
	v_add_co_u32 v5, s0, v12, v5
	s_delay_alu instid0(VALU_DEP_1)
	v_add_co_ci_u32_e64 v6, s0, v14, v6, s0
	global_store_b64 v[5:6], v[10:11], off
.LBB560_5:
	s_or_b32 exec_lo, exec_lo, s1
	v_add_nc_u32_e32 v6, 16, v4
	s_delay_alu instid0(VALU_DEP_1) | instskip(SKIP_1) | instid1(VALU_DEP_1)
	v_cmp_le_i32_e64 s1, v13, v6
	v_cmp_gt_i32_e64 s0, s4, v6
	s_and_b32 s1, s1, s0
	s_delay_alu instid0(SALU_CYCLE_1)
	s_and_saveexec_b32 s4, s1
	s_cbranch_execz .LBB560_7
; %bb.6:
	v_ashrrev_i32_e32 v7, 31, v6
	v_xor_b32_e32 v9, 0x80000000, v9
	s_delay_alu instid0(VALU_DEP_2) | instskip(NEXT) | instid1(VALU_DEP_1)
	v_lshlrev_b64 v[10:11], 3, v[6:7]
	v_add_co_u32 v10, s1, v12, v10
	s_delay_alu instid0(VALU_DEP_1)
	v_add_co_ci_u32_e64 v11, s1, v14, v11, s1
	global_store_b64 v[10:11], v[8:9], off
.LBB560_7:
	s_or_b32 exec_lo, exec_lo, s4
	v_add_nc_u32_e32 v7, 16, v13
	s_delay_alu instid0(VALU_DEP_1) | instskip(SKIP_1) | instid1(VALU_DEP_2)
	v_mad_i64_i32 v[8:9], null, v7, s5, 0
	v_cmp_le_i32_e64 s1, v7, v4
	v_lshlrev_b64 v[8:9], 3, v[8:9]
	s_delay_alu instid0(VALU_DEP_1) | instskip(NEXT) | instid1(VALU_DEP_1)
	v_add_co_u32 v8, s2, s2, v8
	v_add_co_ci_u32_e64 v9, s2, s3, v9, s2
	s_delay_alu instid0(VALU_DEP_4) | instskip(NEXT) | instid1(SALU_CYCLE_1)
	s_and_b32 s2, s1, vcc_lo
	s_and_saveexec_b32 s1, s2
	s_cbranch_execz .LBB560_9
; %bb.8:
	v_ashrrev_i32_e32 v5, 31, v4
	v_xor_b32_e32 v3, 0x80000000, v3
	s_delay_alu instid0(VALU_DEP_2) | instskip(NEXT) | instid1(VALU_DEP_1)
	v_lshlrev_b64 v[4:5], 3, v[4:5]
	v_add_co_u32 v4, vcc_lo, v8, v4
	s_delay_alu instid0(VALU_DEP_2)
	v_add_co_ci_u32_e32 v5, vcc_lo, v9, v5, vcc_lo
	global_store_b64 v[4:5], v[2:3], off
.LBB560_9:
	s_or_b32 exec_lo, exec_lo, s1
	v_cmp_le_i32_e32 vcc_lo, v7, v6
	s_and_b32 s0, vcc_lo, s0
	s_delay_alu instid0(SALU_CYCLE_1)
	s_and_saveexec_b32 s1, s0
	s_cbranch_execz .LBB560_11
; %bb.10:
	v_ashrrev_i32_e32 v7, 31, v6
	v_xor_b32_e32 v1, 0x80000000, v1
	s_delay_alu instid0(VALU_DEP_2) | instskip(NEXT) | instid1(VALU_DEP_1)
	v_lshlrev_b64 v[2:3], 3, v[6:7]
	v_add_co_u32 v2, vcc_lo, v8, v2
	s_delay_alu instid0(VALU_DEP_2)
	v_add_co_ci_u32_e32 v3, vcc_lo, v9, v3, vcc_lo
	global_store_b64 v[2:3], v[0:1], off
.LBB560_11:
	s_nop 0
	s_sendmsg sendmsg(MSG_DEALLOC_VGPRS)
	s_endpgm
	.section	.rodata,"a",@progbits
	.p2align	6, 0x0
	.amdhsa_kernel _ZL37rocblas_syrkx_herkx_restricted_kernelIidLi16ELi32ELi8ELin1ELi0ELb0ELc67ELc76EKPKdKPdEviT_PT9_S5_lS7_S5_lPT10_S5_li
		.amdhsa_group_segment_fixed_size 4096
		.amdhsa_private_segment_fixed_size 0
		.amdhsa_kernarg_size 84
		.amdhsa_user_sgpr_count 13
		.amdhsa_user_sgpr_dispatch_ptr 0
		.amdhsa_user_sgpr_queue_ptr 0
		.amdhsa_user_sgpr_kernarg_segment_ptr 1
		.amdhsa_user_sgpr_dispatch_id 0
		.amdhsa_user_sgpr_private_segment_size 0
		.amdhsa_wavefront_size32 1
		.amdhsa_uses_dynamic_stack 0
		.amdhsa_enable_private_segment 0
		.amdhsa_system_sgpr_workgroup_id_x 1
		.amdhsa_system_sgpr_workgroup_id_y 1
		.amdhsa_system_sgpr_workgroup_id_z 1
		.amdhsa_system_sgpr_workgroup_info 0
		.amdhsa_system_vgpr_workitem_id 1
		.amdhsa_next_free_vgpr 38
		.amdhsa_next_free_sgpr 17
		.amdhsa_reserve_vcc 1
		.amdhsa_float_round_mode_32 0
		.amdhsa_float_round_mode_16_64 0
		.amdhsa_float_denorm_mode_32 3
		.amdhsa_float_denorm_mode_16_64 3
		.amdhsa_dx10_clamp 1
		.amdhsa_ieee_mode 1
		.amdhsa_fp16_overflow 0
		.amdhsa_workgroup_processor_mode 1
		.amdhsa_memory_ordered 1
		.amdhsa_forward_progress 0
		.amdhsa_shared_vgpr_count 0
		.amdhsa_exception_fp_ieee_invalid_op 0
		.amdhsa_exception_fp_denorm_src 0
		.amdhsa_exception_fp_ieee_div_zero 0
		.amdhsa_exception_fp_ieee_overflow 0
		.amdhsa_exception_fp_ieee_underflow 0
		.amdhsa_exception_fp_ieee_inexact 0
		.amdhsa_exception_int_div_zero 0
	.end_amdhsa_kernel
	.section	.text._ZL37rocblas_syrkx_herkx_restricted_kernelIidLi16ELi32ELi8ELin1ELi0ELb0ELc67ELc76EKPKdKPdEviT_PT9_S5_lS7_S5_lPT10_S5_li,"axG",@progbits,_ZL37rocblas_syrkx_herkx_restricted_kernelIidLi16ELi32ELi8ELin1ELi0ELb0ELc67ELc76EKPKdKPdEviT_PT9_S5_lS7_S5_lPT10_S5_li,comdat
.Lfunc_end560:
	.size	_ZL37rocblas_syrkx_herkx_restricted_kernelIidLi16ELi32ELi8ELin1ELi0ELb0ELc67ELc76EKPKdKPdEviT_PT9_S5_lS7_S5_lPT10_S5_li, .Lfunc_end560-_ZL37rocblas_syrkx_herkx_restricted_kernelIidLi16ELi32ELi8ELin1ELi0ELb0ELc67ELc76EKPKdKPdEviT_PT9_S5_lS7_S5_lPT10_S5_li
                                        ; -- End function
	.section	.AMDGPU.csdata,"",@progbits
; Kernel info:
; codeLenInByte = 1352
; NumSgprs: 19
; NumVgprs: 38
; ScratchSize: 0
; MemoryBound: 0
; FloatMode: 240
; IeeeMode: 1
; LDSByteSize: 4096 bytes/workgroup (compile time only)
; SGPRBlocks: 2
; VGPRBlocks: 4
; NumSGPRsForWavesPerEU: 19
; NumVGPRsForWavesPerEU: 38
; Occupancy: 16
; WaveLimiterHint : 1
; COMPUTE_PGM_RSRC2:SCRATCH_EN: 0
; COMPUTE_PGM_RSRC2:USER_SGPR: 13
; COMPUTE_PGM_RSRC2:TRAP_HANDLER: 0
; COMPUTE_PGM_RSRC2:TGID_X_EN: 1
; COMPUTE_PGM_RSRC2:TGID_Y_EN: 1
; COMPUTE_PGM_RSRC2:TGID_Z_EN: 1
; COMPUTE_PGM_RSRC2:TIDIG_COMP_CNT: 1
	.section	.text._ZL37rocblas_syrkx_herkx_restricted_kernelIidLi16ELi32ELi8ELin1ELi0ELb0ELc78ELc76EKPKdKPdEviT_PT9_S5_lS7_S5_lPT10_S5_li,"axG",@progbits,_ZL37rocblas_syrkx_herkx_restricted_kernelIidLi16ELi32ELi8ELin1ELi0ELb0ELc78ELc76EKPKdKPdEviT_PT9_S5_lS7_S5_lPT10_S5_li,comdat
	.globl	_ZL37rocblas_syrkx_herkx_restricted_kernelIidLi16ELi32ELi8ELin1ELi0ELb0ELc78ELc76EKPKdKPdEviT_PT9_S5_lS7_S5_lPT10_S5_li ; -- Begin function _ZL37rocblas_syrkx_herkx_restricted_kernelIidLi16ELi32ELi8ELin1ELi0ELb0ELc78ELc76EKPKdKPdEviT_PT9_S5_lS7_S5_lPT10_S5_li
	.p2align	8
	.type	_ZL37rocblas_syrkx_herkx_restricted_kernelIidLi16ELi32ELi8ELin1ELi0ELb0ELc78ELc76EKPKdKPdEviT_PT9_S5_lS7_S5_lPT10_S5_li,@function
_ZL37rocblas_syrkx_herkx_restricted_kernelIidLi16ELi32ELi8ELin1ELi0ELb0ELc78ELc76EKPKdKPdEviT_PT9_S5_lS7_S5_lPT10_S5_li: ; @_ZL37rocblas_syrkx_herkx_restricted_kernelIidLi16ELi32ELi8ELin1ELi0ELb0ELc78ELc76EKPKdKPdEviT_PT9_S5_lS7_S5_lPT10_S5_li
; %bb.0:
	s_clause 0x1
	s_load_b64 s[2:3], s[0:1], 0x38
	s_load_b64 s[4:5], s[0:1], 0x0
	s_mov_b32 s6, s15
	s_mov_b32 s7, 0
	v_mov_b32_e32 v10, 0
	s_lshl_b64 s[8:9], s[6:7], 3
	v_dual_mov_b32 v11, 0 :: v_dual_and_b32 v12, 0x3ff, v0
	v_bfe_u32 v13, v0, 10, 10
	s_delay_alu instid0(VALU_DEP_3) | instskip(NEXT) | instid1(VALU_DEP_3)
	v_mov_b32_e32 v8, v10
	v_dual_mov_b32 v2, v10 :: v_dual_mov_b32 v3, v11
	v_dual_mov_b32 v9, v11 :: v_dual_mov_b32 v0, v10
	v_mov_b32_e32 v1, v11
	s_waitcnt lgkmcnt(0)
	s_add_u32 s2, s2, s8
	s_addc_u32 s3, s3, s9
	s_lshl_b32 s6, s13, 5
	s_load_b64 s[2:3], s[2:3], 0x0
	s_lshl_b32 s12, s14, 5
	s_cmp_lt_i32 s5, 1
	s_cbranch_scc1 .LBB561_3
; %bb.1:
	s_clause 0x3
	s_load_b32 s10, s[0:1], 0x10
	s_load_b32 s14, s[0:1], 0x28
	s_load_b64 s[16:17], s[0:1], 0x8
	s_load_b64 s[18:19], s[0:1], 0x20
	v_lshl_add_u32 v2, v13, 4, v12
	v_mov_b32_e32 v0, 0
	v_dual_mov_b32 v1, 0 :: v_dual_and_b32 v8, 7, v12
	v_lshlrev_b32_e32 v14, 3, v12
	s_delay_alu instid0(VALU_DEP_4)
	v_and_b32_e32 v10, 31, v2
	v_lshrrev_b32_e32 v9, 3, v2
	v_lshrrev_b32_e32 v11, 5, v2
	v_lshlrev_b32_e32 v16, 3, v8
	v_lshl_add_u32 v15, v13, 6, 0x800
	v_add_nc_u32_e32 v4, s6, v10
	v_add_nc_u32_e32 v2, s12, v9
	s_delay_alu instid0(VALU_DEP_4) | instskip(NEXT) | instid1(VALU_DEP_3)
	v_lshl_or_b32 v17, v9, 6, v16
	v_ashrrev_i32_e32 v5, 31, v4
	s_waitcnt lgkmcnt(0)
	s_ashr_i32 s11, s10, 31
	s_ashr_i32 s15, s14, 31
	s_add_u32 s16, s16, s8
	s_addc_u32 s17, s17, s9
	s_add_u32 s8, s18, s8
	s_load_b64 s[16:17], s[16:17], 0x0
	s_addc_u32 s9, s19, s9
	v_ashrrev_i32_e32 v3, 31, v2
	s_load_b64 s[8:9], s[8:9], 0x0
	v_mad_i64_i32 v[6:7], null, s10, v11, v[4:5]
	v_add_nc_u32_e32 v17, 0x800, v17
	s_delay_alu instid0(VALU_DEP_3)
	v_mad_i64_i32 v[4:5], null, s14, v8, v[2:3]
	v_dual_mov_b32 v3, v1 :: v_dual_lshlrev_b32 v10, 3, v10
	v_mov_b32_e32 v9, v1
	v_lshlrev_b64 v[6:7], 3, v[6:7]
	v_mov_b32_e32 v2, v0
	v_mov_b32_e32 v8, v0
	v_lshl_or_b32 v16, v11, 8, v10
	v_lshlrev_b64 v[10:11], 3, v[4:5]
	s_waitcnt lgkmcnt(0)
	v_add_co_u32 v4, vcc_lo, s16, v6
	v_add_co_ci_u32_e32 v5, vcc_lo, s17, v7, vcc_lo
	s_delay_alu instid0(VALU_DEP_3) | instskip(NEXT) | instid1(VALU_DEP_4)
	v_add_co_u32 v6, vcc_lo, s8, v10
	v_add_co_ci_u32_e32 v7, vcc_lo, s9, v11, vcc_lo
	v_dual_mov_b32 v11, v1 :: v_dual_mov_b32 v10, v0
	s_lshl_b64 s[8:9], s[10:11], 6
	s_lshl_b64 s[10:11], s[14:15], 6
.LBB561_2:                              ; =>This Inner Loop Header: Depth=1
	global_load_b64 v[18:19], v[4:5], off
	global_load_b64 v[20:21], v[6:7], off
	v_add_co_u32 v4, vcc_lo, v4, s8
	v_add_co_ci_u32_e32 v5, vcc_lo, s9, v5, vcc_lo
	v_add_co_u32 v6, vcc_lo, v6, s10
	v_add_co_ci_u32_e32 v7, vcc_lo, s11, v7, vcc_lo
	s_add_i32 s7, s7, 8
	s_waitcnt vmcnt(1)
	ds_store_b64 v16, v[18:19]
	s_waitcnt vmcnt(0)
	ds_store_b64 v17, v[20:21]
	s_waitcnt lgkmcnt(0)
	s_barrier
	buffer_gl0_inv
	ds_load_2addr_b64 v[18:21], v14 offset1:16
	ds_load_b128 v[22:25], v15
	ds_load_b128 v[26:29], v15 offset:1024
	ds_load_b128 v[30:33], v15 offset:16
	;; [unrolled: 1-line block ×3, first 2 shown]
	s_cmp_ge_i32 s7, s5
	s_waitcnt lgkmcnt(3)
	v_fma_f64 v[10:11], v[18:19], v[22:23], v[10:11]
	v_fma_f64 v[8:9], v[20:21], v[22:23], v[8:9]
	s_waitcnt lgkmcnt(2)
	v_fma_f64 v[18:19], v[18:19], v[26:27], v[2:3]
	v_fma_f64 v[20:21], v[20:21], v[26:27], v[0:1]
	ds_load_2addr_b64 v[0:3], v14 offset0:32 offset1:48
	s_waitcnt lgkmcnt(0)
	v_fma_f64 v[10:11], v[0:1], v[24:25], v[10:11]
	v_fma_f64 v[8:9], v[2:3], v[24:25], v[8:9]
	v_fma_f64 v[18:19], v[0:1], v[28:29], v[18:19]
	v_fma_f64 v[20:21], v[2:3], v[28:29], v[20:21]
	ds_load_2addr_b64 v[0:3], v14 offset0:64 offset1:80
	s_waitcnt lgkmcnt(0)
	v_fma_f64 v[10:11], v[0:1], v[30:31], v[10:11]
	v_fma_f64 v[8:9], v[2:3], v[30:31], v[8:9]
	;; [unrolled: 6-line block ×3, first 2 shown]
	v_fma_f64 v[34:35], v[0:1], v[36:37], v[18:19]
	v_fma_f64 v[36:37], v[2:3], v[36:37], v[20:21]
	ds_load_2addr_b64 v[0:3], v14 offset0:128 offset1:144
	ds_load_b128 v[8:11], v15 offset:32
	ds_load_b128 v[18:21], v15 offset:1056
	;; [unrolled: 1-line block ×4, first 2 shown]
	s_waitcnt lgkmcnt(3)
	v_fma_f64 v[30:31], v[0:1], v[8:9], v[30:31]
	v_fma_f64 v[8:9], v[2:3], v[8:9], v[32:33]
	s_waitcnt lgkmcnt(2)
	v_fma_f64 v[32:33], v[0:1], v[18:19], v[34:35]
	v_fma_f64 v[18:19], v[2:3], v[18:19], v[36:37]
	ds_load_2addr_b64 v[0:3], v14 offset0:160 offset1:176
	s_waitcnt lgkmcnt(0)
	v_fma_f64 v[30:31], v[0:1], v[10:11], v[30:31]
	v_fma_f64 v[8:9], v[2:3], v[10:11], v[8:9]
	;; [unrolled: 1-line block ×4, first 2 shown]
	ds_load_2addr_b64 v[0:3], v14 offset0:192 offset1:208
	s_waitcnt lgkmcnt(0)
	v_fma_f64 v[30:31], v[0:1], v[22:23], v[30:31]
	v_fma_f64 v[8:9], v[2:3], v[22:23], v[8:9]
	;; [unrolled: 1-line block ×4, first 2 shown]
	ds_load_2addr_b64 v[18:21], v14 offset0:224 offset1:240
	s_waitcnt lgkmcnt(0)
	s_barrier
	buffer_gl0_inv
	v_fma_f64 v[10:11], v[18:19], v[24:25], v[30:31]
	v_fma_f64 v[8:9], v[20:21], v[24:25], v[8:9]
	;; [unrolled: 1-line block ×4, first 2 shown]
	s_cbranch_scc0 .LBB561_2
.LBB561_3:
	s_load_b32 s5, s[0:1], 0x40
	v_add_nc_u32_e32 v13, s12, v13
	v_add_nc_u32_e32 v4, s6, v12
	s_delay_alu instid0(VALU_DEP_1) | instskip(SKIP_1) | instid1(VALU_DEP_2)
	v_cmp_le_i32_e64 s0, v13, v4
	v_cmp_gt_i32_e32 vcc_lo, s4, v4
	s_and_b32 s0, s0, vcc_lo
	s_waitcnt lgkmcnt(0)
	v_mad_i64_i32 v[5:6], null, v13, s5, 0
	s_delay_alu instid0(VALU_DEP_1) | instskip(NEXT) | instid1(VALU_DEP_1)
	v_lshlrev_b64 v[5:6], 3, v[5:6]
	v_add_co_u32 v12, s1, s2, v5
	s_delay_alu instid0(VALU_DEP_1)
	v_add_co_ci_u32_e64 v14, s1, s3, v6, s1
	s_and_saveexec_b32 s1, s0
	s_cbranch_execz .LBB561_5
; %bb.4:
	v_ashrrev_i32_e32 v5, 31, v4
	v_xor_b32_e32 v11, 0x80000000, v11
	s_delay_alu instid0(VALU_DEP_2) | instskip(NEXT) | instid1(VALU_DEP_1)
	v_lshlrev_b64 v[5:6], 3, v[4:5]
	v_add_co_u32 v5, s0, v12, v5
	s_delay_alu instid0(VALU_DEP_1)
	v_add_co_ci_u32_e64 v6, s0, v14, v6, s0
	global_store_b64 v[5:6], v[10:11], off
.LBB561_5:
	s_or_b32 exec_lo, exec_lo, s1
	v_add_nc_u32_e32 v6, 16, v4
	s_delay_alu instid0(VALU_DEP_1) | instskip(SKIP_1) | instid1(VALU_DEP_1)
	v_cmp_le_i32_e64 s1, v13, v6
	v_cmp_gt_i32_e64 s0, s4, v6
	s_and_b32 s1, s1, s0
	s_delay_alu instid0(SALU_CYCLE_1)
	s_and_saveexec_b32 s4, s1
	s_cbranch_execz .LBB561_7
; %bb.6:
	v_ashrrev_i32_e32 v7, 31, v6
	v_xor_b32_e32 v9, 0x80000000, v9
	s_delay_alu instid0(VALU_DEP_2) | instskip(NEXT) | instid1(VALU_DEP_1)
	v_lshlrev_b64 v[10:11], 3, v[6:7]
	v_add_co_u32 v10, s1, v12, v10
	s_delay_alu instid0(VALU_DEP_1)
	v_add_co_ci_u32_e64 v11, s1, v14, v11, s1
	global_store_b64 v[10:11], v[8:9], off
.LBB561_7:
	s_or_b32 exec_lo, exec_lo, s4
	v_add_nc_u32_e32 v7, 16, v13
	s_delay_alu instid0(VALU_DEP_1) | instskip(SKIP_1) | instid1(VALU_DEP_2)
	v_mad_i64_i32 v[8:9], null, v7, s5, 0
	v_cmp_le_i32_e64 s1, v7, v4
	v_lshlrev_b64 v[8:9], 3, v[8:9]
	s_delay_alu instid0(VALU_DEP_1) | instskip(NEXT) | instid1(VALU_DEP_1)
	v_add_co_u32 v8, s2, s2, v8
	v_add_co_ci_u32_e64 v9, s2, s3, v9, s2
	s_delay_alu instid0(VALU_DEP_4) | instskip(NEXT) | instid1(SALU_CYCLE_1)
	s_and_b32 s2, s1, vcc_lo
	s_and_saveexec_b32 s1, s2
	s_cbranch_execz .LBB561_9
; %bb.8:
	v_ashrrev_i32_e32 v5, 31, v4
	v_xor_b32_e32 v3, 0x80000000, v3
	s_delay_alu instid0(VALU_DEP_2) | instskip(NEXT) | instid1(VALU_DEP_1)
	v_lshlrev_b64 v[4:5], 3, v[4:5]
	v_add_co_u32 v4, vcc_lo, v8, v4
	s_delay_alu instid0(VALU_DEP_2)
	v_add_co_ci_u32_e32 v5, vcc_lo, v9, v5, vcc_lo
	global_store_b64 v[4:5], v[2:3], off
.LBB561_9:
	s_or_b32 exec_lo, exec_lo, s1
	v_cmp_le_i32_e32 vcc_lo, v7, v6
	s_and_b32 s0, vcc_lo, s0
	s_delay_alu instid0(SALU_CYCLE_1)
	s_and_saveexec_b32 s1, s0
	s_cbranch_execz .LBB561_11
; %bb.10:
	v_ashrrev_i32_e32 v7, 31, v6
	v_xor_b32_e32 v1, 0x80000000, v1
	s_delay_alu instid0(VALU_DEP_2) | instskip(NEXT) | instid1(VALU_DEP_1)
	v_lshlrev_b64 v[2:3], 3, v[6:7]
	v_add_co_u32 v2, vcc_lo, v8, v2
	s_delay_alu instid0(VALU_DEP_2)
	v_add_co_ci_u32_e32 v3, vcc_lo, v9, v3, vcc_lo
	global_store_b64 v[2:3], v[0:1], off
.LBB561_11:
	s_nop 0
	s_sendmsg sendmsg(MSG_DEALLOC_VGPRS)
	s_endpgm
	.section	.rodata,"a",@progbits
	.p2align	6, 0x0
	.amdhsa_kernel _ZL37rocblas_syrkx_herkx_restricted_kernelIidLi16ELi32ELi8ELin1ELi0ELb0ELc78ELc76EKPKdKPdEviT_PT9_S5_lS7_S5_lPT10_S5_li
		.amdhsa_group_segment_fixed_size 4096
		.amdhsa_private_segment_fixed_size 0
		.amdhsa_kernarg_size 84
		.amdhsa_user_sgpr_count 13
		.amdhsa_user_sgpr_dispatch_ptr 0
		.amdhsa_user_sgpr_queue_ptr 0
		.amdhsa_user_sgpr_kernarg_segment_ptr 1
		.amdhsa_user_sgpr_dispatch_id 0
		.amdhsa_user_sgpr_private_segment_size 0
		.amdhsa_wavefront_size32 1
		.amdhsa_uses_dynamic_stack 0
		.amdhsa_enable_private_segment 0
		.amdhsa_system_sgpr_workgroup_id_x 1
		.amdhsa_system_sgpr_workgroup_id_y 1
		.amdhsa_system_sgpr_workgroup_id_z 1
		.amdhsa_system_sgpr_workgroup_info 0
		.amdhsa_system_vgpr_workitem_id 1
		.amdhsa_next_free_vgpr 38
		.amdhsa_next_free_sgpr 20
		.amdhsa_reserve_vcc 1
		.amdhsa_float_round_mode_32 0
		.amdhsa_float_round_mode_16_64 0
		.amdhsa_float_denorm_mode_32 3
		.amdhsa_float_denorm_mode_16_64 3
		.amdhsa_dx10_clamp 1
		.amdhsa_ieee_mode 1
		.amdhsa_fp16_overflow 0
		.amdhsa_workgroup_processor_mode 1
		.amdhsa_memory_ordered 1
		.amdhsa_forward_progress 0
		.amdhsa_shared_vgpr_count 0
		.amdhsa_exception_fp_ieee_invalid_op 0
		.amdhsa_exception_fp_denorm_src 0
		.amdhsa_exception_fp_ieee_div_zero 0
		.amdhsa_exception_fp_ieee_overflow 0
		.amdhsa_exception_fp_ieee_underflow 0
		.amdhsa_exception_fp_ieee_inexact 0
		.amdhsa_exception_int_div_zero 0
	.end_amdhsa_kernel
	.section	.text._ZL37rocblas_syrkx_herkx_restricted_kernelIidLi16ELi32ELi8ELin1ELi0ELb0ELc78ELc76EKPKdKPdEviT_PT9_S5_lS7_S5_lPT10_S5_li,"axG",@progbits,_ZL37rocblas_syrkx_herkx_restricted_kernelIidLi16ELi32ELi8ELin1ELi0ELb0ELc78ELc76EKPKdKPdEviT_PT9_S5_lS7_S5_lPT10_S5_li,comdat
.Lfunc_end561:
	.size	_ZL37rocblas_syrkx_herkx_restricted_kernelIidLi16ELi32ELi8ELin1ELi0ELb0ELc78ELc76EKPKdKPdEviT_PT9_S5_lS7_S5_lPT10_S5_li, .Lfunc_end561-_ZL37rocblas_syrkx_herkx_restricted_kernelIidLi16ELi32ELi8ELin1ELi0ELb0ELc78ELc76EKPKdKPdEviT_PT9_S5_lS7_S5_lPT10_S5_li
                                        ; -- End function
	.section	.AMDGPU.csdata,"",@progbits
; Kernel info:
; codeLenInByte = 1372
; NumSgprs: 22
; NumVgprs: 38
; ScratchSize: 0
; MemoryBound: 0
; FloatMode: 240
; IeeeMode: 1
; LDSByteSize: 4096 bytes/workgroup (compile time only)
; SGPRBlocks: 2
; VGPRBlocks: 4
; NumSGPRsForWavesPerEU: 22
; NumVGPRsForWavesPerEU: 38
; Occupancy: 16
; WaveLimiterHint : 1
; COMPUTE_PGM_RSRC2:SCRATCH_EN: 0
; COMPUTE_PGM_RSRC2:USER_SGPR: 13
; COMPUTE_PGM_RSRC2:TRAP_HANDLER: 0
; COMPUTE_PGM_RSRC2:TGID_X_EN: 1
; COMPUTE_PGM_RSRC2:TGID_Y_EN: 1
; COMPUTE_PGM_RSRC2:TGID_Z_EN: 1
; COMPUTE_PGM_RSRC2:TIDIG_COMP_CNT: 1
	.section	.text._ZL37rocblas_syrkx_herkx_restricted_kernelIidLi16ELi32ELi8ELin1ELi0ELb0ELc84ELc85EKPKdKPdEviT_PT9_S5_lS7_S5_lPT10_S5_li,"axG",@progbits,_ZL37rocblas_syrkx_herkx_restricted_kernelIidLi16ELi32ELi8ELin1ELi0ELb0ELc84ELc85EKPKdKPdEviT_PT9_S5_lS7_S5_lPT10_S5_li,comdat
	.globl	_ZL37rocblas_syrkx_herkx_restricted_kernelIidLi16ELi32ELi8ELin1ELi0ELb0ELc84ELc85EKPKdKPdEviT_PT9_S5_lS7_S5_lPT10_S5_li ; -- Begin function _ZL37rocblas_syrkx_herkx_restricted_kernelIidLi16ELi32ELi8ELin1ELi0ELb0ELc84ELc85EKPKdKPdEviT_PT9_S5_lS7_S5_lPT10_S5_li
	.p2align	8
	.type	_ZL37rocblas_syrkx_herkx_restricted_kernelIidLi16ELi32ELi8ELin1ELi0ELb0ELc84ELc85EKPKdKPdEviT_PT9_S5_lS7_S5_lPT10_S5_li,@function
_ZL37rocblas_syrkx_herkx_restricted_kernelIidLi16ELi32ELi8ELin1ELi0ELb0ELc84ELc85EKPKdKPdEviT_PT9_S5_lS7_S5_lPT10_S5_li: ; @_ZL37rocblas_syrkx_herkx_restricted_kernelIidLi16ELi32ELi8ELin1ELi0ELb0ELc84ELc85EKPKdKPdEviT_PT9_S5_lS7_S5_lPT10_S5_li
; %bb.0:
	s_clause 0x1
	s_load_b64 s[4:5], s[0:1], 0x38
	s_load_b64 s[2:3], s[0:1], 0x0
	s_mov_b32 s6, s15
	s_mov_b32 s7, 0
	v_mov_b32_e32 v10, 0
	s_lshl_b64 s[8:9], s[6:7], 3
	v_dual_mov_b32 v11, 0 :: v_dual_and_b32 v12, 0x3ff, v0
	v_bfe_u32 v13, v0, 10, 10
	s_delay_alu instid0(VALU_DEP_3) | instskip(NEXT) | instid1(VALU_DEP_3)
	v_mov_b32_e32 v8, v10
	v_dual_mov_b32 v2, v10 :: v_dual_mov_b32 v3, v11
	v_dual_mov_b32 v9, v11 :: v_dual_mov_b32 v0, v10
	v_mov_b32_e32 v1, v11
	s_waitcnt lgkmcnt(0)
	s_add_u32 s4, s4, s8
	s_addc_u32 s5, s5, s9
	s_lshl_b32 s6, s13, 5
	s_load_b64 s[4:5], s[4:5], 0x0
	s_lshl_b32 s10, s14, 5
	s_cmp_lt_i32 s3, 1
	s_cbranch_scc1 .LBB562_3
; %bb.1:
	s_clause 0x3
	s_load_b64 s[12:13], s[0:1], 0x8
	s_load_b64 s[14:15], s[0:1], 0x20
	s_load_b32 s11, s[0:1], 0x10
	s_load_b32 s16, s[0:1], 0x28
	v_lshl_add_u32 v4, v13, 4, v12
	v_dual_mov_b32 v3, 0 :: v_dual_and_b32 v2, 7, v12
	v_mov_b32_e32 v0, 0
	v_dual_mov_b32 v1, 0 :: v_dual_lshlrev_b32 v14, 3, v12
	s_delay_alu instid0(VALU_DEP_4)
	v_and_b32_e32 v9, 31, v4
	v_lshrrev_b32_e32 v8, 3, v4
	v_lshrrev_b32_e32 v4, 5, v4
	v_mov_b32_e32 v5, v3
	v_lshl_add_u32 v15, v13, 6, 0x800
	v_add_nc_u32_e32 v10, s6, v9
	v_add_nc_u32_e32 v16, s10, v8
	s_waitcnt lgkmcnt(0)
	s_add_u32 s12, s12, s8
	s_addc_u32 s13, s13, s9
	s_add_u32 s8, s14, s8
	s_load_b64 s[12:13], s[12:13], 0x0
	s_addc_u32 s9, s15, s9
	v_mad_i64_i32 v[6:7], null, s11, v10, v[4:5]
	s_load_b64 s[8:9], s[8:9], 0x0
	v_lshlrev_b32_e32 v5, 3, v2
	v_mad_i64_i32 v[10:11], null, s16, v16, v[2:3]
	v_dual_mov_b32 v3, v1 :: v_dual_mov_b32 v2, v0
	s_delay_alu instid0(VALU_DEP_3) | instskip(SKIP_3) | instid1(VALU_DEP_4)
	v_lshl_or_b32 v17, v8, 6, v5
	v_lshlrev_b64 v[5:6], 3, v[6:7]
	v_dual_mov_b32 v9, v1 :: v_dual_lshlrev_b32 v16, 3, v9
	v_lshlrev_b64 v[10:11], 3, v[10:11]
	v_dual_mov_b32 v8, v0 :: v_dual_add_nc_u32 v17, 0x800, v17
	s_delay_alu instid0(VALU_DEP_3)
	v_lshl_or_b32 v16, v4, 8, v16
	s_waitcnt lgkmcnt(0)
	v_add_co_u32 v4, vcc_lo, s12, v5
	v_add_co_ci_u32_e32 v5, vcc_lo, s13, v6, vcc_lo
	v_add_co_u32 v6, vcc_lo, s8, v10
	v_add_co_ci_u32_e32 v7, vcc_lo, s9, v11, vcc_lo
	v_dual_mov_b32 v11, v1 :: v_dual_mov_b32 v10, v0
.LBB562_2:                              ; =>This Inner Loop Header: Depth=1
	global_load_b64 v[18:19], v[4:5], off
	global_load_b64 v[20:21], v[6:7], off
	v_add_co_u32 v4, vcc_lo, v4, 64
	v_add_co_ci_u32_e32 v5, vcc_lo, 0, v5, vcc_lo
	v_add_co_u32 v6, vcc_lo, v6, 64
	v_add_co_ci_u32_e32 v7, vcc_lo, 0, v7, vcc_lo
	s_add_i32 s7, s7, 8
	s_waitcnt vmcnt(1)
	ds_store_b64 v16, v[18:19]
	s_waitcnt vmcnt(0)
	ds_store_b64 v17, v[20:21]
	s_waitcnt lgkmcnt(0)
	s_barrier
	buffer_gl0_inv
	ds_load_2addr_b64 v[18:21], v14 offset1:16
	ds_load_b128 v[22:25], v15
	ds_load_b128 v[26:29], v15 offset:1024
	ds_load_b128 v[30:33], v15 offset:16
	;; [unrolled: 1-line block ×3, first 2 shown]
	s_cmp_ge_i32 s7, s3
	s_waitcnt lgkmcnt(3)
	v_fma_f64 v[10:11], v[18:19], v[22:23], v[10:11]
	v_fma_f64 v[8:9], v[20:21], v[22:23], v[8:9]
	s_waitcnt lgkmcnt(2)
	v_fma_f64 v[18:19], v[18:19], v[26:27], v[2:3]
	v_fma_f64 v[20:21], v[20:21], v[26:27], v[0:1]
	ds_load_2addr_b64 v[0:3], v14 offset0:32 offset1:48
	s_waitcnt lgkmcnt(0)
	v_fma_f64 v[10:11], v[0:1], v[24:25], v[10:11]
	v_fma_f64 v[8:9], v[2:3], v[24:25], v[8:9]
	v_fma_f64 v[18:19], v[0:1], v[28:29], v[18:19]
	v_fma_f64 v[20:21], v[2:3], v[28:29], v[20:21]
	ds_load_2addr_b64 v[0:3], v14 offset0:64 offset1:80
	s_waitcnt lgkmcnt(0)
	v_fma_f64 v[10:11], v[0:1], v[30:31], v[10:11]
	v_fma_f64 v[8:9], v[2:3], v[30:31], v[8:9]
	;; [unrolled: 6-line block ×3, first 2 shown]
	v_fma_f64 v[34:35], v[0:1], v[36:37], v[18:19]
	v_fma_f64 v[36:37], v[2:3], v[36:37], v[20:21]
	ds_load_2addr_b64 v[0:3], v14 offset0:128 offset1:144
	ds_load_b128 v[8:11], v15 offset:32
	ds_load_b128 v[18:21], v15 offset:1056
	;; [unrolled: 1-line block ×4, first 2 shown]
	s_waitcnt lgkmcnt(3)
	v_fma_f64 v[30:31], v[0:1], v[8:9], v[30:31]
	v_fma_f64 v[8:9], v[2:3], v[8:9], v[32:33]
	s_waitcnt lgkmcnt(2)
	v_fma_f64 v[32:33], v[0:1], v[18:19], v[34:35]
	v_fma_f64 v[18:19], v[2:3], v[18:19], v[36:37]
	ds_load_2addr_b64 v[0:3], v14 offset0:160 offset1:176
	s_waitcnt lgkmcnt(0)
	v_fma_f64 v[30:31], v[0:1], v[10:11], v[30:31]
	v_fma_f64 v[8:9], v[2:3], v[10:11], v[8:9]
	;; [unrolled: 1-line block ×4, first 2 shown]
	ds_load_2addr_b64 v[0:3], v14 offset0:192 offset1:208
	s_waitcnt lgkmcnt(0)
	v_fma_f64 v[30:31], v[0:1], v[22:23], v[30:31]
	v_fma_f64 v[8:9], v[2:3], v[22:23], v[8:9]
	;; [unrolled: 1-line block ×4, first 2 shown]
	ds_load_2addr_b64 v[18:21], v14 offset0:224 offset1:240
	s_waitcnt lgkmcnt(0)
	s_barrier
	buffer_gl0_inv
	v_fma_f64 v[10:11], v[18:19], v[24:25], v[30:31]
	v_fma_f64 v[8:9], v[20:21], v[24:25], v[8:9]
	;; [unrolled: 1-line block ×4, first 2 shown]
	s_cbranch_scc0 .LBB562_2
.LBB562_3:
	s_load_b32 s3, s[0:1], 0x40
	v_add_nc_u32_e32 v13, s10, v13
	v_add_nc_u32_e32 v4, s6, v12
	s_delay_alu instid0(VALU_DEP_2) | instskip(NEXT) | instid1(VALU_DEP_2)
	v_cmp_gt_i32_e32 vcc_lo, s2, v13
	v_cmp_le_i32_e64 s0, v4, v13
	s_delay_alu instid0(VALU_DEP_1) | instskip(SKIP_2) | instid1(VALU_DEP_1)
	s_and_b32 s0, vcc_lo, s0
	s_waitcnt lgkmcnt(0)
	v_mad_i64_i32 v[5:6], null, v13, s3, 0
	v_lshlrev_b64 v[5:6], 3, v[5:6]
	s_delay_alu instid0(VALU_DEP_1) | instskip(NEXT) | instid1(VALU_DEP_1)
	v_add_co_u32 v12, s1, s4, v5
	v_add_co_ci_u32_e64 v14, s1, s5, v6, s1
	s_and_saveexec_b32 s1, s0
	s_cbranch_execz .LBB562_5
; %bb.4:
	v_ashrrev_i32_e32 v5, 31, v4
	v_xor_b32_e32 v11, 0x80000000, v11
	s_delay_alu instid0(VALU_DEP_2) | instskip(NEXT) | instid1(VALU_DEP_1)
	v_lshlrev_b64 v[5:6], 3, v[4:5]
	v_add_co_u32 v5, s0, v12, v5
	s_delay_alu instid0(VALU_DEP_1)
	v_add_co_ci_u32_e64 v6, s0, v14, v6, s0
	global_store_b64 v[5:6], v[10:11], off
.LBB562_5:
	s_or_b32 exec_lo, exec_lo, s1
	v_add_nc_u32_e32 v6, 16, v4
	s_delay_alu instid0(VALU_DEP_1) | instskip(NEXT) | instid1(VALU_DEP_1)
	v_cmp_le_i32_e64 s0, v6, v13
	s_and_b32 s1, vcc_lo, s0
	s_delay_alu instid0(SALU_CYCLE_1)
	s_and_saveexec_b32 s0, s1
	s_cbranch_execz .LBB562_7
; %bb.6:
	v_ashrrev_i32_e32 v7, 31, v6
	v_xor_b32_e32 v9, 0x80000000, v9
	s_delay_alu instid0(VALU_DEP_2) | instskip(NEXT) | instid1(VALU_DEP_1)
	v_lshlrev_b64 v[10:11], 3, v[6:7]
	v_add_co_u32 v10, vcc_lo, v12, v10
	s_delay_alu instid0(VALU_DEP_2)
	v_add_co_ci_u32_e32 v11, vcc_lo, v14, v11, vcc_lo
	global_store_b64 v[10:11], v[8:9], off
.LBB562_7:
	s_or_b32 exec_lo, exec_lo, s0
	v_add_nc_u32_e32 v7, 16, v13
	s_delay_alu instid0(VALU_DEP_1) | instskip(SKIP_2) | instid1(VALU_DEP_1)
	v_mad_i64_i32 v[8:9], null, v7, s3, 0
	v_cmp_gt_i32_e32 vcc_lo, s2, v7
	v_cmp_le_i32_e64 s0, v4, v7
	s_and_b32 s0, vcc_lo, s0
	s_delay_alu instid0(VALU_DEP_3) | instskip(NEXT) | instid1(VALU_DEP_1)
	v_lshlrev_b64 v[8:9], 3, v[8:9]
	v_add_co_u32 v8, s1, s4, v8
	s_delay_alu instid0(VALU_DEP_1)
	v_add_co_ci_u32_e64 v9, s1, s5, v9, s1
	s_and_saveexec_b32 s1, s0
	s_cbranch_execz .LBB562_9
; %bb.8:
	v_ashrrev_i32_e32 v5, 31, v4
	v_xor_b32_e32 v3, 0x80000000, v3
	s_delay_alu instid0(VALU_DEP_2) | instskip(NEXT) | instid1(VALU_DEP_1)
	v_lshlrev_b64 v[4:5], 3, v[4:5]
	v_add_co_u32 v4, s0, v8, v4
	s_delay_alu instid0(VALU_DEP_1)
	v_add_co_ci_u32_e64 v5, s0, v9, v5, s0
	global_store_b64 v[4:5], v[2:3], off
.LBB562_9:
	s_or_b32 exec_lo, exec_lo, s1
	v_cmp_le_i32_e64 s0, v6, v7
	s_delay_alu instid0(VALU_DEP_1) | instskip(NEXT) | instid1(SALU_CYCLE_1)
	s_and_b32 s0, vcc_lo, s0
	s_and_saveexec_b32 s1, s0
	s_cbranch_execz .LBB562_11
; %bb.10:
	v_ashrrev_i32_e32 v7, 31, v6
	v_xor_b32_e32 v1, 0x80000000, v1
	s_delay_alu instid0(VALU_DEP_2) | instskip(NEXT) | instid1(VALU_DEP_1)
	v_lshlrev_b64 v[2:3], 3, v[6:7]
	v_add_co_u32 v2, vcc_lo, v8, v2
	s_delay_alu instid0(VALU_DEP_2)
	v_add_co_ci_u32_e32 v3, vcc_lo, v9, v3, vcc_lo
	global_store_b64 v[2:3], v[0:1], off
.LBB562_11:
	s_nop 0
	s_sendmsg sendmsg(MSG_DEALLOC_VGPRS)
	s_endpgm
	.section	.rodata,"a",@progbits
	.p2align	6, 0x0
	.amdhsa_kernel _ZL37rocblas_syrkx_herkx_restricted_kernelIidLi16ELi32ELi8ELin1ELi0ELb0ELc84ELc85EKPKdKPdEviT_PT9_S5_lS7_S5_lPT10_S5_li
		.amdhsa_group_segment_fixed_size 4096
		.amdhsa_private_segment_fixed_size 0
		.amdhsa_kernarg_size 84
		.amdhsa_user_sgpr_count 13
		.amdhsa_user_sgpr_dispatch_ptr 0
		.amdhsa_user_sgpr_queue_ptr 0
		.amdhsa_user_sgpr_kernarg_segment_ptr 1
		.amdhsa_user_sgpr_dispatch_id 0
		.amdhsa_user_sgpr_private_segment_size 0
		.amdhsa_wavefront_size32 1
		.amdhsa_uses_dynamic_stack 0
		.amdhsa_enable_private_segment 0
		.amdhsa_system_sgpr_workgroup_id_x 1
		.amdhsa_system_sgpr_workgroup_id_y 1
		.amdhsa_system_sgpr_workgroup_id_z 1
		.amdhsa_system_sgpr_workgroup_info 0
		.amdhsa_system_vgpr_workitem_id 1
		.amdhsa_next_free_vgpr 38
		.amdhsa_next_free_sgpr 17
		.amdhsa_reserve_vcc 1
		.amdhsa_float_round_mode_32 0
		.amdhsa_float_round_mode_16_64 0
		.amdhsa_float_denorm_mode_32 3
		.amdhsa_float_denorm_mode_16_64 3
		.amdhsa_dx10_clamp 1
		.amdhsa_ieee_mode 1
		.amdhsa_fp16_overflow 0
		.amdhsa_workgroup_processor_mode 1
		.amdhsa_memory_ordered 1
		.amdhsa_forward_progress 0
		.amdhsa_shared_vgpr_count 0
		.amdhsa_exception_fp_ieee_invalid_op 0
		.amdhsa_exception_fp_denorm_src 0
		.amdhsa_exception_fp_ieee_div_zero 0
		.amdhsa_exception_fp_ieee_overflow 0
		.amdhsa_exception_fp_ieee_underflow 0
		.amdhsa_exception_fp_ieee_inexact 0
		.amdhsa_exception_int_div_zero 0
	.end_amdhsa_kernel
	.section	.text._ZL37rocblas_syrkx_herkx_restricted_kernelIidLi16ELi32ELi8ELin1ELi0ELb0ELc84ELc85EKPKdKPdEviT_PT9_S5_lS7_S5_lPT10_S5_li,"axG",@progbits,_ZL37rocblas_syrkx_herkx_restricted_kernelIidLi16ELi32ELi8ELin1ELi0ELb0ELc84ELc85EKPKdKPdEviT_PT9_S5_lS7_S5_lPT10_S5_li,comdat
.Lfunc_end562:
	.size	_ZL37rocblas_syrkx_herkx_restricted_kernelIidLi16ELi32ELi8ELin1ELi0ELb0ELc84ELc85EKPKdKPdEviT_PT9_S5_lS7_S5_lPT10_S5_li, .Lfunc_end562-_ZL37rocblas_syrkx_herkx_restricted_kernelIidLi16ELi32ELi8ELin1ELi0ELb0ELc84ELc85EKPKdKPdEviT_PT9_S5_lS7_S5_lPT10_S5_li
                                        ; -- End function
	.section	.AMDGPU.csdata,"",@progbits
; Kernel info:
; codeLenInByte = 1352
; NumSgprs: 19
; NumVgprs: 38
; ScratchSize: 0
; MemoryBound: 0
; FloatMode: 240
; IeeeMode: 1
; LDSByteSize: 4096 bytes/workgroup (compile time only)
; SGPRBlocks: 2
; VGPRBlocks: 4
; NumSGPRsForWavesPerEU: 19
; NumVGPRsForWavesPerEU: 38
; Occupancy: 16
; WaveLimiterHint : 1
; COMPUTE_PGM_RSRC2:SCRATCH_EN: 0
; COMPUTE_PGM_RSRC2:USER_SGPR: 13
; COMPUTE_PGM_RSRC2:TRAP_HANDLER: 0
; COMPUTE_PGM_RSRC2:TGID_X_EN: 1
; COMPUTE_PGM_RSRC2:TGID_Y_EN: 1
; COMPUTE_PGM_RSRC2:TGID_Z_EN: 1
; COMPUTE_PGM_RSRC2:TIDIG_COMP_CNT: 1
	.section	.text._ZL37rocblas_syrkx_herkx_restricted_kernelIidLi16ELi32ELi8ELin1ELi0ELb0ELc67ELc85EKPKdKPdEviT_PT9_S5_lS7_S5_lPT10_S5_li,"axG",@progbits,_ZL37rocblas_syrkx_herkx_restricted_kernelIidLi16ELi32ELi8ELin1ELi0ELb0ELc67ELc85EKPKdKPdEviT_PT9_S5_lS7_S5_lPT10_S5_li,comdat
	.globl	_ZL37rocblas_syrkx_herkx_restricted_kernelIidLi16ELi32ELi8ELin1ELi0ELb0ELc67ELc85EKPKdKPdEviT_PT9_S5_lS7_S5_lPT10_S5_li ; -- Begin function _ZL37rocblas_syrkx_herkx_restricted_kernelIidLi16ELi32ELi8ELin1ELi0ELb0ELc67ELc85EKPKdKPdEviT_PT9_S5_lS7_S5_lPT10_S5_li
	.p2align	8
	.type	_ZL37rocblas_syrkx_herkx_restricted_kernelIidLi16ELi32ELi8ELin1ELi0ELb0ELc67ELc85EKPKdKPdEviT_PT9_S5_lS7_S5_lPT10_S5_li,@function
_ZL37rocblas_syrkx_herkx_restricted_kernelIidLi16ELi32ELi8ELin1ELi0ELb0ELc67ELc85EKPKdKPdEviT_PT9_S5_lS7_S5_lPT10_S5_li: ; @_ZL37rocblas_syrkx_herkx_restricted_kernelIidLi16ELi32ELi8ELin1ELi0ELb0ELc67ELc85EKPKdKPdEviT_PT9_S5_lS7_S5_lPT10_S5_li
; %bb.0:
	s_clause 0x1
	s_load_b64 s[4:5], s[0:1], 0x38
	s_load_b64 s[2:3], s[0:1], 0x0
	s_mov_b32 s6, s15
	s_mov_b32 s7, 0
	v_mov_b32_e32 v10, 0
	s_lshl_b64 s[8:9], s[6:7], 3
	v_dual_mov_b32 v11, 0 :: v_dual_and_b32 v12, 0x3ff, v0
	v_bfe_u32 v13, v0, 10, 10
	s_delay_alu instid0(VALU_DEP_3) | instskip(NEXT) | instid1(VALU_DEP_3)
	v_mov_b32_e32 v8, v10
	v_dual_mov_b32 v2, v10 :: v_dual_mov_b32 v3, v11
	v_dual_mov_b32 v9, v11 :: v_dual_mov_b32 v0, v10
	v_mov_b32_e32 v1, v11
	s_waitcnt lgkmcnt(0)
	s_add_u32 s4, s4, s8
	s_addc_u32 s5, s5, s9
	s_lshl_b32 s6, s13, 5
	s_load_b64 s[4:5], s[4:5], 0x0
	s_lshl_b32 s10, s14, 5
	s_cmp_lt_i32 s3, 1
	s_cbranch_scc1 .LBB563_3
; %bb.1:
	s_clause 0x3
	s_load_b64 s[12:13], s[0:1], 0x8
	s_load_b64 s[14:15], s[0:1], 0x20
	s_load_b32 s11, s[0:1], 0x10
	s_load_b32 s16, s[0:1], 0x28
	v_lshl_add_u32 v4, v13, 4, v12
	v_dual_mov_b32 v3, 0 :: v_dual_and_b32 v2, 7, v12
	v_mov_b32_e32 v0, 0
	v_dual_mov_b32 v1, 0 :: v_dual_lshlrev_b32 v14, 3, v12
	s_delay_alu instid0(VALU_DEP_4)
	v_and_b32_e32 v9, 31, v4
	v_lshrrev_b32_e32 v8, 3, v4
	v_lshrrev_b32_e32 v4, 5, v4
	v_mov_b32_e32 v5, v3
	v_lshl_add_u32 v15, v13, 6, 0x800
	v_add_nc_u32_e32 v10, s6, v9
	v_add_nc_u32_e32 v16, s10, v8
	s_waitcnt lgkmcnt(0)
	s_add_u32 s12, s12, s8
	s_addc_u32 s13, s13, s9
	s_add_u32 s8, s14, s8
	s_load_b64 s[12:13], s[12:13], 0x0
	s_addc_u32 s9, s15, s9
	v_mad_i64_i32 v[6:7], null, s11, v10, v[4:5]
	s_load_b64 s[8:9], s[8:9], 0x0
	v_lshlrev_b32_e32 v5, 3, v2
	v_mad_i64_i32 v[10:11], null, s16, v16, v[2:3]
	v_dual_mov_b32 v3, v1 :: v_dual_mov_b32 v2, v0
	s_delay_alu instid0(VALU_DEP_3) | instskip(SKIP_3) | instid1(VALU_DEP_4)
	v_lshl_or_b32 v17, v8, 6, v5
	v_lshlrev_b64 v[5:6], 3, v[6:7]
	v_dual_mov_b32 v9, v1 :: v_dual_lshlrev_b32 v16, 3, v9
	v_lshlrev_b64 v[10:11], 3, v[10:11]
	v_dual_mov_b32 v8, v0 :: v_dual_add_nc_u32 v17, 0x800, v17
	s_delay_alu instid0(VALU_DEP_3)
	v_lshl_or_b32 v16, v4, 8, v16
	s_waitcnt lgkmcnt(0)
	v_add_co_u32 v4, vcc_lo, s12, v5
	v_add_co_ci_u32_e32 v5, vcc_lo, s13, v6, vcc_lo
	v_add_co_u32 v6, vcc_lo, s8, v10
	v_add_co_ci_u32_e32 v7, vcc_lo, s9, v11, vcc_lo
	v_dual_mov_b32 v11, v1 :: v_dual_mov_b32 v10, v0
.LBB563_2:                              ; =>This Inner Loop Header: Depth=1
	global_load_b64 v[18:19], v[4:5], off
	global_load_b64 v[20:21], v[6:7], off
	v_add_co_u32 v4, vcc_lo, v4, 64
	v_add_co_ci_u32_e32 v5, vcc_lo, 0, v5, vcc_lo
	v_add_co_u32 v6, vcc_lo, v6, 64
	v_add_co_ci_u32_e32 v7, vcc_lo, 0, v7, vcc_lo
	s_add_i32 s7, s7, 8
	s_waitcnt vmcnt(1)
	ds_store_b64 v16, v[18:19]
	s_waitcnt vmcnt(0)
	ds_store_b64 v17, v[20:21]
	s_waitcnt lgkmcnt(0)
	s_barrier
	buffer_gl0_inv
	ds_load_2addr_b64 v[18:21], v14 offset1:16
	ds_load_b128 v[22:25], v15
	ds_load_b128 v[26:29], v15 offset:1024
	ds_load_b128 v[30:33], v15 offset:16
	;; [unrolled: 1-line block ×3, first 2 shown]
	s_cmp_ge_i32 s7, s3
	s_waitcnt lgkmcnt(3)
	v_fma_f64 v[10:11], v[18:19], v[22:23], v[10:11]
	v_fma_f64 v[8:9], v[20:21], v[22:23], v[8:9]
	s_waitcnt lgkmcnt(2)
	v_fma_f64 v[18:19], v[18:19], v[26:27], v[2:3]
	v_fma_f64 v[20:21], v[20:21], v[26:27], v[0:1]
	ds_load_2addr_b64 v[0:3], v14 offset0:32 offset1:48
	s_waitcnt lgkmcnt(0)
	v_fma_f64 v[10:11], v[0:1], v[24:25], v[10:11]
	v_fma_f64 v[8:9], v[2:3], v[24:25], v[8:9]
	v_fma_f64 v[18:19], v[0:1], v[28:29], v[18:19]
	v_fma_f64 v[20:21], v[2:3], v[28:29], v[20:21]
	ds_load_2addr_b64 v[0:3], v14 offset0:64 offset1:80
	s_waitcnt lgkmcnt(0)
	v_fma_f64 v[10:11], v[0:1], v[30:31], v[10:11]
	v_fma_f64 v[8:9], v[2:3], v[30:31], v[8:9]
	;; [unrolled: 6-line block ×3, first 2 shown]
	v_fma_f64 v[34:35], v[0:1], v[36:37], v[18:19]
	v_fma_f64 v[36:37], v[2:3], v[36:37], v[20:21]
	ds_load_2addr_b64 v[0:3], v14 offset0:128 offset1:144
	ds_load_b128 v[8:11], v15 offset:32
	ds_load_b128 v[18:21], v15 offset:1056
	;; [unrolled: 1-line block ×4, first 2 shown]
	s_waitcnt lgkmcnt(3)
	v_fma_f64 v[30:31], v[0:1], v[8:9], v[30:31]
	v_fma_f64 v[8:9], v[2:3], v[8:9], v[32:33]
	s_waitcnt lgkmcnt(2)
	v_fma_f64 v[32:33], v[0:1], v[18:19], v[34:35]
	v_fma_f64 v[18:19], v[2:3], v[18:19], v[36:37]
	ds_load_2addr_b64 v[0:3], v14 offset0:160 offset1:176
	s_waitcnt lgkmcnt(0)
	v_fma_f64 v[30:31], v[0:1], v[10:11], v[30:31]
	v_fma_f64 v[8:9], v[2:3], v[10:11], v[8:9]
	;; [unrolled: 1-line block ×4, first 2 shown]
	ds_load_2addr_b64 v[0:3], v14 offset0:192 offset1:208
	s_waitcnt lgkmcnt(0)
	v_fma_f64 v[30:31], v[0:1], v[22:23], v[30:31]
	v_fma_f64 v[8:9], v[2:3], v[22:23], v[8:9]
	;; [unrolled: 1-line block ×4, first 2 shown]
	ds_load_2addr_b64 v[18:21], v14 offset0:224 offset1:240
	s_waitcnt lgkmcnt(0)
	s_barrier
	buffer_gl0_inv
	v_fma_f64 v[10:11], v[18:19], v[24:25], v[30:31]
	v_fma_f64 v[8:9], v[20:21], v[24:25], v[8:9]
	v_fma_f64 v[2:3], v[18:19], v[28:29], v[0:1]
	v_fma_f64 v[0:1], v[20:21], v[28:29], v[22:23]
	s_cbranch_scc0 .LBB563_2
.LBB563_3:
	s_load_b32 s3, s[0:1], 0x40
	v_add_nc_u32_e32 v13, s10, v13
	v_add_nc_u32_e32 v4, s6, v12
	s_delay_alu instid0(VALU_DEP_2) | instskip(NEXT) | instid1(VALU_DEP_2)
	v_cmp_gt_i32_e32 vcc_lo, s2, v13
	v_cmp_le_i32_e64 s0, v4, v13
	s_delay_alu instid0(VALU_DEP_1) | instskip(SKIP_2) | instid1(VALU_DEP_1)
	s_and_b32 s0, vcc_lo, s0
	s_waitcnt lgkmcnt(0)
	v_mad_i64_i32 v[5:6], null, v13, s3, 0
	v_lshlrev_b64 v[5:6], 3, v[5:6]
	s_delay_alu instid0(VALU_DEP_1) | instskip(NEXT) | instid1(VALU_DEP_1)
	v_add_co_u32 v12, s1, s4, v5
	v_add_co_ci_u32_e64 v14, s1, s5, v6, s1
	s_and_saveexec_b32 s1, s0
	s_cbranch_execz .LBB563_5
; %bb.4:
	v_ashrrev_i32_e32 v5, 31, v4
	v_xor_b32_e32 v11, 0x80000000, v11
	s_delay_alu instid0(VALU_DEP_2) | instskip(NEXT) | instid1(VALU_DEP_1)
	v_lshlrev_b64 v[5:6], 3, v[4:5]
	v_add_co_u32 v5, s0, v12, v5
	s_delay_alu instid0(VALU_DEP_1)
	v_add_co_ci_u32_e64 v6, s0, v14, v6, s0
	global_store_b64 v[5:6], v[10:11], off
.LBB563_5:
	s_or_b32 exec_lo, exec_lo, s1
	v_add_nc_u32_e32 v6, 16, v4
	s_delay_alu instid0(VALU_DEP_1) | instskip(NEXT) | instid1(VALU_DEP_1)
	v_cmp_le_i32_e64 s0, v6, v13
	s_and_b32 s1, vcc_lo, s0
	s_delay_alu instid0(SALU_CYCLE_1)
	s_and_saveexec_b32 s0, s1
	s_cbranch_execz .LBB563_7
; %bb.6:
	v_ashrrev_i32_e32 v7, 31, v6
	v_xor_b32_e32 v9, 0x80000000, v9
	s_delay_alu instid0(VALU_DEP_2) | instskip(NEXT) | instid1(VALU_DEP_1)
	v_lshlrev_b64 v[10:11], 3, v[6:7]
	v_add_co_u32 v10, vcc_lo, v12, v10
	s_delay_alu instid0(VALU_DEP_2)
	v_add_co_ci_u32_e32 v11, vcc_lo, v14, v11, vcc_lo
	global_store_b64 v[10:11], v[8:9], off
.LBB563_7:
	s_or_b32 exec_lo, exec_lo, s0
	v_add_nc_u32_e32 v7, 16, v13
	s_delay_alu instid0(VALU_DEP_1) | instskip(SKIP_2) | instid1(VALU_DEP_1)
	v_mad_i64_i32 v[8:9], null, v7, s3, 0
	v_cmp_gt_i32_e32 vcc_lo, s2, v7
	v_cmp_le_i32_e64 s0, v4, v7
	s_and_b32 s0, vcc_lo, s0
	s_delay_alu instid0(VALU_DEP_3) | instskip(NEXT) | instid1(VALU_DEP_1)
	v_lshlrev_b64 v[8:9], 3, v[8:9]
	v_add_co_u32 v8, s1, s4, v8
	s_delay_alu instid0(VALU_DEP_1)
	v_add_co_ci_u32_e64 v9, s1, s5, v9, s1
	s_and_saveexec_b32 s1, s0
	s_cbranch_execz .LBB563_9
; %bb.8:
	v_ashrrev_i32_e32 v5, 31, v4
	v_xor_b32_e32 v3, 0x80000000, v3
	s_delay_alu instid0(VALU_DEP_2) | instskip(NEXT) | instid1(VALU_DEP_1)
	v_lshlrev_b64 v[4:5], 3, v[4:5]
	v_add_co_u32 v4, s0, v8, v4
	s_delay_alu instid0(VALU_DEP_1)
	v_add_co_ci_u32_e64 v5, s0, v9, v5, s0
	global_store_b64 v[4:5], v[2:3], off
.LBB563_9:
	s_or_b32 exec_lo, exec_lo, s1
	v_cmp_le_i32_e64 s0, v6, v7
	s_delay_alu instid0(VALU_DEP_1) | instskip(NEXT) | instid1(SALU_CYCLE_1)
	s_and_b32 s0, vcc_lo, s0
	s_and_saveexec_b32 s1, s0
	s_cbranch_execz .LBB563_11
; %bb.10:
	v_ashrrev_i32_e32 v7, 31, v6
	v_xor_b32_e32 v1, 0x80000000, v1
	s_delay_alu instid0(VALU_DEP_2) | instskip(NEXT) | instid1(VALU_DEP_1)
	v_lshlrev_b64 v[2:3], 3, v[6:7]
	v_add_co_u32 v2, vcc_lo, v8, v2
	s_delay_alu instid0(VALU_DEP_2)
	v_add_co_ci_u32_e32 v3, vcc_lo, v9, v3, vcc_lo
	global_store_b64 v[2:3], v[0:1], off
.LBB563_11:
	s_nop 0
	s_sendmsg sendmsg(MSG_DEALLOC_VGPRS)
	s_endpgm
	.section	.rodata,"a",@progbits
	.p2align	6, 0x0
	.amdhsa_kernel _ZL37rocblas_syrkx_herkx_restricted_kernelIidLi16ELi32ELi8ELin1ELi0ELb0ELc67ELc85EKPKdKPdEviT_PT9_S5_lS7_S5_lPT10_S5_li
		.amdhsa_group_segment_fixed_size 4096
		.amdhsa_private_segment_fixed_size 0
		.amdhsa_kernarg_size 84
		.amdhsa_user_sgpr_count 13
		.amdhsa_user_sgpr_dispatch_ptr 0
		.amdhsa_user_sgpr_queue_ptr 0
		.amdhsa_user_sgpr_kernarg_segment_ptr 1
		.amdhsa_user_sgpr_dispatch_id 0
		.amdhsa_user_sgpr_private_segment_size 0
		.amdhsa_wavefront_size32 1
		.amdhsa_uses_dynamic_stack 0
		.amdhsa_enable_private_segment 0
		.amdhsa_system_sgpr_workgroup_id_x 1
		.amdhsa_system_sgpr_workgroup_id_y 1
		.amdhsa_system_sgpr_workgroup_id_z 1
		.amdhsa_system_sgpr_workgroup_info 0
		.amdhsa_system_vgpr_workitem_id 1
		.amdhsa_next_free_vgpr 38
		.amdhsa_next_free_sgpr 17
		.amdhsa_reserve_vcc 1
		.amdhsa_float_round_mode_32 0
		.amdhsa_float_round_mode_16_64 0
		.amdhsa_float_denorm_mode_32 3
		.amdhsa_float_denorm_mode_16_64 3
		.amdhsa_dx10_clamp 1
		.amdhsa_ieee_mode 1
		.amdhsa_fp16_overflow 0
		.amdhsa_workgroup_processor_mode 1
		.amdhsa_memory_ordered 1
		.amdhsa_forward_progress 0
		.amdhsa_shared_vgpr_count 0
		.amdhsa_exception_fp_ieee_invalid_op 0
		.amdhsa_exception_fp_denorm_src 0
		.amdhsa_exception_fp_ieee_div_zero 0
		.amdhsa_exception_fp_ieee_overflow 0
		.amdhsa_exception_fp_ieee_underflow 0
		.amdhsa_exception_fp_ieee_inexact 0
		.amdhsa_exception_int_div_zero 0
	.end_amdhsa_kernel
	.section	.text._ZL37rocblas_syrkx_herkx_restricted_kernelIidLi16ELi32ELi8ELin1ELi0ELb0ELc67ELc85EKPKdKPdEviT_PT9_S5_lS7_S5_lPT10_S5_li,"axG",@progbits,_ZL37rocblas_syrkx_herkx_restricted_kernelIidLi16ELi32ELi8ELin1ELi0ELb0ELc67ELc85EKPKdKPdEviT_PT9_S5_lS7_S5_lPT10_S5_li,comdat
.Lfunc_end563:
	.size	_ZL37rocblas_syrkx_herkx_restricted_kernelIidLi16ELi32ELi8ELin1ELi0ELb0ELc67ELc85EKPKdKPdEviT_PT9_S5_lS7_S5_lPT10_S5_li, .Lfunc_end563-_ZL37rocblas_syrkx_herkx_restricted_kernelIidLi16ELi32ELi8ELin1ELi0ELb0ELc67ELc85EKPKdKPdEviT_PT9_S5_lS7_S5_lPT10_S5_li
                                        ; -- End function
	.section	.AMDGPU.csdata,"",@progbits
; Kernel info:
; codeLenInByte = 1352
; NumSgprs: 19
; NumVgprs: 38
; ScratchSize: 0
; MemoryBound: 0
; FloatMode: 240
; IeeeMode: 1
; LDSByteSize: 4096 bytes/workgroup (compile time only)
; SGPRBlocks: 2
; VGPRBlocks: 4
; NumSGPRsForWavesPerEU: 19
; NumVGPRsForWavesPerEU: 38
; Occupancy: 16
; WaveLimiterHint : 1
; COMPUTE_PGM_RSRC2:SCRATCH_EN: 0
; COMPUTE_PGM_RSRC2:USER_SGPR: 13
; COMPUTE_PGM_RSRC2:TRAP_HANDLER: 0
; COMPUTE_PGM_RSRC2:TGID_X_EN: 1
; COMPUTE_PGM_RSRC2:TGID_Y_EN: 1
; COMPUTE_PGM_RSRC2:TGID_Z_EN: 1
; COMPUTE_PGM_RSRC2:TIDIG_COMP_CNT: 1
	.section	.text._ZL37rocblas_syrkx_herkx_restricted_kernelIidLi16ELi32ELi8ELin1ELi0ELb0ELc78ELc85EKPKdKPdEviT_PT9_S5_lS7_S5_lPT10_S5_li,"axG",@progbits,_ZL37rocblas_syrkx_herkx_restricted_kernelIidLi16ELi32ELi8ELin1ELi0ELb0ELc78ELc85EKPKdKPdEviT_PT9_S5_lS7_S5_lPT10_S5_li,comdat
	.globl	_ZL37rocblas_syrkx_herkx_restricted_kernelIidLi16ELi32ELi8ELin1ELi0ELb0ELc78ELc85EKPKdKPdEviT_PT9_S5_lS7_S5_lPT10_S5_li ; -- Begin function _ZL37rocblas_syrkx_herkx_restricted_kernelIidLi16ELi32ELi8ELin1ELi0ELb0ELc78ELc85EKPKdKPdEviT_PT9_S5_lS7_S5_lPT10_S5_li
	.p2align	8
	.type	_ZL37rocblas_syrkx_herkx_restricted_kernelIidLi16ELi32ELi8ELin1ELi0ELb0ELc78ELc85EKPKdKPdEviT_PT9_S5_lS7_S5_lPT10_S5_li,@function
_ZL37rocblas_syrkx_herkx_restricted_kernelIidLi16ELi32ELi8ELin1ELi0ELb0ELc78ELc85EKPKdKPdEviT_PT9_S5_lS7_S5_lPT10_S5_li: ; @_ZL37rocblas_syrkx_herkx_restricted_kernelIidLi16ELi32ELi8ELin1ELi0ELb0ELc78ELc85EKPKdKPdEviT_PT9_S5_lS7_S5_lPT10_S5_li
; %bb.0:
	s_clause 0x1
	s_load_b64 s[4:5], s[0:1], 0x38
	s_load_b64 s[2:3], s[0:1], 0x0
	s_mov_b32 s6, s15
	s_mov_b32 s7, 0
	v_mov_b32_e32 v10, 0
	s_lshl_b64 s[8:9], s[6:7], 3
	v_dual_mov_b32 v11, 0 :: v_dual_and_b32 v12, 0x3ff, v0
	v_bfe_u32 v13, v0, 10, 10
	s_delay_alu instid0(VALU_DEP_3) | instskip(NEXT) | instid1(VALU_DEP_3)
	v_mov_b32_e32 v8, v10
	v_dual_mov_b32 v2, v10 :: v_dual_mov_b32 v3, v11
	v_dual_mov_b32 v9, v11 :: v_dual_mov_b32 v0, v10
	v_mov_b32_e32 v1, v11
	s_waitcnt lgkmcnt(0)
	s_add_u32 s4, s4, s8
	s_addc_u32 s5, s5, s9
	s_lshl_b32 s6, s13, 5
	s_load_b64 s[4:5], s[4:5], 0x0
	s_lshl_b32 s12, s14, 5
	s_cmp_lt_i32 s3, 1
	s_cbranch_scc1 .LBB564_3
; %bb.1:
	s_clause 0x3
	s_load_b32 s10, s[0:1], 0x10
	s_load_b32 s14, s[0:1], 0x28
	s_load_b64 s[16:17], s[0:1], 0x8
	s_load_b64 s[18:19], s[0:1], 0x20
	v_lshl_add_u32 v2, v13, 4, v12
	v_mov_b32_e32 v0, 0
	v_dual_mov_b32 v1, 0 :: v_dual_and_b32 v8, 7, v12
	v_lshlrev_b32_e32 v14, 3, v12
	s_delay_alu instid0(VALU_DEP_4)
	v_and_b32_e32 v10, 31, v2
	v_lshrrev_b32_e32 v9, 3, v2
	v_lshrrev_b32_e32 v11, 5, v2
	v_lshlrev_b32_e32 v16, 3, v8
	v_lshl_add_u32 v15, v13, 6, 0x800
	v_add_nc_u32_e32 v4, s6, v10
	v_add_nc_u32_e32 v2, s12, v9
	s_delay_alu instid0(VALU_DEP_4) | instskip(NEXT) | instid1(VALU_DEP_3)
	v_lshl_or_b32 v17, v9, 6, v16
	v_ashrrev_i32_e32 v5, 31, v4
	s_waitcnt lgkmcnt(0)
	s_ashr_i32 s11, s10, 31
	s_ashr_i32 s15, s14, 31
	s_add_u32 s16, s16, s8
	s_addc_u32 s17, s17, s9
	s_add_u32 s8, s18, s8
	s_load_b64 s[16:17], s[16:17], 0x0
	s_addc_u32 s9, s19, s9
	v_ashrrev_i32_e32 v3, 31, v2
	s_load_b64 s[8:9], s[8:9], 0x0
	v_mad_i64_i32 v[6:7], null, s10, v11, v[4:5]
	v_add_nc_u32_e32 v17, 0x800, v17
	s_delay_alu instid0(VALU_DEP_3)
	v_mad_i64_i32 v[4:5], null, s14, v8, v[2:3]
	v_dual_mov_b32 v3, v1 :: v_dual_lshlrev_b32 v10, 3, v10
	v_mov_b32_e32 v9, v1
	v_lshlrev_b64 v[6:7], 3, v[6:7]
	v_mov_b32_e32 v2, v0
	v_mov_b32_e32 v8, v0
	v_lshl_or_b32 v16, v11, 8, v10
	v_lshlrev_b64 v[10:11], 3, v[4:5]
	s_waitcnt lgkmcnt(0)
	v_add_co_u32 v4, vcc_lo, s16, v6
	v_add_co_ci_u32_e32 v5, vcc_lo, s17, v7, vcc_lo
	s_delay_alu instid0(VALU_DEP_3) | instskip(NEXT) | instid1(VALU_DEP_4)
	v_add_co_u32 v6, vcc_lo, s8, v10
	v_add_co_ci_u32_e32 v7, vcc_lo, s9, v11, vcc_lo
	v_dual_mov_b32 v11, v1 :: v_dual_mov_b32 v10, v0
	s_lshl_b64 s[8:9], s[10:11], 6
	s_lshl_b64 s[10:11], s[14:15], 6
.LBB564_2:                              ; =>This Inner Loop Header: Depth=1
	global_load_b64 v[18:19], v[4:5], off
	global_load_b64 v[20:21], v[6:7], off
	v_add_co_u32 v4, vcc_lo, v4, s8
	v_add_co_ci_u32_e32 v5, vcc_lo, s9, v5, vcc_lo
	v_add_co_u32 v6, vcc_lo, v6, s10
	v_add_co_ci_u32_e32 v7, vcc_lo, s11, v7, vcc_lo
	s_add_i32 s7, s7, 8
	s_waitcnt vmcnt(1)
	ds_store_b64 v16, v[18:19]
	s_waitcnt vmcnt(0)
	ds_store_b64 v17, v[20:21]
	s_waitcnt lgkmcnt(0)
	s_barrier
	buffer_gl0_inv
	ds_load_2addr_b64 v[18:21], v14 offset1:16
	ds_load_b128 v[22:25], v15
	ds_load_b128 v[26:29], v15 offset:1024
	ds_load_b128 v[30:33], v15 offset:16
	;; [unrolled: 1-line block ×3, first 2 shown]
	s_cmp_ge_i32 s7, s3
	s_waitcnt lgkmcnt(3)
	v_fma_f64 v[10:11], v[18:19], v[22:23], v[10:11]
	v_fma_f64 v[8:9], v[20:21], v[22:23], v[8:9]
	s_waitcnt lgkmcnt(2)
	v_fma_f64 v[18:19], v[18:19], v[26:27], v[2:3]
	v_fma_f64 v[20:21], v[20:21], v[26:27], v[0:1]
	ds_load_2addr_b64 v[0:3], v14 offset0:32 offset1:48
	s_waitcnt lgkmcnt(0)
	v_fma_f64 v[10:11], v[0:1], v[24:25], v[10:11]
	v_fma_f64 v[8:9], v[2:3], v[24:25], v[8:9]
	v_fma_f64 v[18:19], v[0:1], v[28:29], v[18:19]
	v_fma_f64 v[20:21], v[2:3], v[28:29], v[20:21]
	ds_load_2addr_b64 v[0:3], v14 offset0:64 offset1:80
	s_waitcnt lgkmcnt(0)
	v_fma_f64 v[10:11], v[0:1], v[30:31], v[10:11]
	v_fma_f64 v[8:9], v[2:3], v[30:31], v[8:9]
	;; [unrolled: 6-line block ×3, first 2 shown]
	v_fma_f64 v[34:35], v[0:1], v[36:37], v[18:19]
	v_fma_f64 v[36:37], v[2:3], v[36:37], v[20:21]
	ds_load_2addr_b64 v[0:3], v14 offset0:128 offset1:144
	ds_load_b128 v[8:11], v15 offset:32
	ds_load_b128 v[18:21], v15 offset:1056
	;; [unrolled: 1-line block ×4, first 2 shown]
	s_waitcnt lgkmcnt(3)
	v_fma_f64 v[30:31], v[0:1], v[8:9], v[30:31]
	v_fma_f64 v[8:9], v[2:3], v[8:9], v[32:33]
	s_waitcnt lgkmcnt(2)
	v_fma_f64 v[32:33], v[0:1], v[18:19], v[34:35]
	v_fma_f64 v[18:19], v[2:3], v[18:19], v[36:37]
	ds_load_2addr_b64 v[0:3], v14 offset0:160 offset1:176
	s_waitcnt lgkmcnt(0)
	v_fma_f64 v[30:31], v[0:1], v[10:11], v[30:31]
	v_fma_f64 v[8:9], v[2:3], v[10:11], v[8:9]
	;; [unrolled: 1-line block ×4, first 2 shown]
	ds_load_2addr_b64 v[0:3], v14 offset0:192 offset1:208
	s_waitcnt lgkmcnt(0)
	v_fma_f64 v[30:31], v[0:1], v[22:23], v[30:31]
	v_fma_f64 v[8:9], v[2:3], v[22:23], v[8:9]
	;; [unrolled: 1-line block ×4, first 2 shown]
	ds_load_2addr_b64 v[18:21], v14 offset0:224 offset1:240
	s_waitcnt lgkmcnt(0)
	s_barrier
	buffer_gl0_inv
	v_fma_f64 v[10:11], v[18:19], v[24:25], v[30:31]
	v_fma_f64 v[8:9], v[20:21], v[24:25], v[8:9]
	;; [unrolled: 1-line block ×4, first 2 shown]
	s_cbranch_scc0 .LBB564_2
.LBB564_3:
	s_load_b32 s3, s[0:1], 0x40
	v_add_nc_u32_e32 v13, s12, v13
	v_add_nc_u32_e32 v4, s6, v12
	s_delay_alu instid0(VALU_DEP_2) | instskip(NEXT) | instid1(VALU_DEP_2)
	v_cmp_gt_i32_e32 vcc_lo, s2, v13
	v_cmp_le_i32_e64 s0, v4, v13
	s_delay_alu instid0(VALU_DEP_1) | instskip(SKIP_2) | instid1(VALU_DEP_1)
	s_and_b32 s0, vcc_lo, s0
	s_waitcnt lgkmcnt(0)
	v_mad_i64_i32 v[5:6], null, v13, s3, 0
	v_lshlrev_b64 v[5:6], 3, v[5:6]
	s_delay_alu instid0(VALU_DEP_1) | instskip(NEXT) | instid1(VALU_DEP_1)
	v_add_co_u32 v12, s1, s4, v5
	v_add_co_ci_u32_e64 v14, s1, s5, v6, s1
	s_and_saveexec_b32 s1, s0
	s_cbranch_execz .LBB564_5
; %bb.4:
	v_ashrrev_i32_e32 v5, 31, v4
	v_xor_b32_e32 v11, 0x80000000, v11
	s_delay_alu instid0(VALU_DEP_2) | instskip(NEXT) | instid1(VALU_DEP_1)
	v_lshlrev_b64 v[5:6], 3, v[4:5]
	v_add_co_u32 v5, s0, v12, v5
	s_delay_alu instid0(VALU_DEP_1)
	v_add_co_ci_u32_e64 v6, s0, v14, v6, s0
	global_store_b64 v[5:6], v[10:11], off
.LBB564_5:
	s_or_b32 exec_lo, exec_lo, s1
	v_add_nc_u32_e32 v6, 16, v4
	s_delay_alu instid0(VALU_DEP_1) | instskip(NEXT) | instid1(VALU_DEP_1)
	v_cmp_le_i32_e64 s0, v6, v13
	s_and_b32 s1, vcc_lo, s0
	s_delay_alu instid0(SALU_CYCLE_1)
	s_and_saveexec_b32 s0, s1
	s_cbranch_execz .LBB564_7
; %bb.6:
	v_ashrrev_i32_e32 v7, 31, v6
	v_xor_b32_e32 v9, 0x80000000, v9
	s_delay_alu instid0(VALU_DEP_2) | instskip(NEXT) | instid1(VALU_DEP_1)
	v_lshlrev_b64 v[10:11], 3, v[6:7]
	v_add_co_u32 v10, vcc_lo, v12, v10
	s_delay_alu instid0(VALU_DEP_2)
	v_add_co_ci_u32_e32 v11, vcc_lo, v14, v11, vcc_lo
	global_store_b64 v[10:11], v[8:9], off
.LBB564_7:
	s_or_b32 exec_lo, exec_lo, s0
	v_add_nc_u32_e32 v7, 16, v13
	s_delay_alu instid0(VALU_DEP_1) | instskip(SKIP_2) | instid1(VALU_DEP_1)
	v_mad_i64_i32 v[8:9], null, v7, s3, 0
	v_cmp_gt_i32_e32 vcc_lo, s2, v7
	v_cmp_le_i32_e64 s0, v4, v7
	s_and_b32 s0, vcc_lo, s0
	s_delay_alu instid0(VALU_DEP_3) | instskip(NEXT) | instid1(VALU_DEP_1)
	v_lshlrev_b64 v[8:9], 3, v[8:9]
	v_add_co_u32 v8, s1, s4, v8
	s_delay_alu instid0(VALU_DEP_1)
	v_add_co_ci_u32_e64 v9, s1, s5, v9, s1
	s_and_saveexec_b32 s1, s0
	s_cbranch_execz .LBB564_9
; %bb.8:
	v_ashrrev_i32_e32 v5, 31, v4
	v_xor_b32_e32 v3, 0x80000000, v3
	s_delay_alu instid0(VALU_DEP_2) | instskip(NEXT) | instid1(VALU_DEP_1)
	v_lshlrev_b64 v[4:5], 3, v[4:5]
	v_add_co_u32 v4, s0, v8, v4
	s_delay_alu instid0(VALU_DEP_1)
	v_add_co_ci_u32_e64 v5, s0, v9, v5, s0
	global_store_b64 v[4:5], v[2:3], off
.LBB564_9:
	s_or_b32 exec_lo, exec_lo, s1
	v_cmp_le_i32_e64 s0, v6, v7
	s_delay_alu instid0(VALU_DEP_1) | instskip(NEXT) | instid1(SALU_CYCLE_1)
	s_and_b32 s0, vcc_lo, s0
	s_and_saveexec_b32 s1, s0
	s_cbranch_execz .LBB564_11
; %bb.10:
	v_ashrrev_i32_e32 v7, 31, v6
	v_xor_b32_e32 v1, 0x80000000, v1
	s_delay_alu instid0(VALU_DEP_2) | instskip(NEXT) | instid1(VALU_DEP_1)
	v_lshlrev_b64 v[2:3], 3, v[6:7]
	v_add_co_u32 v2, vcc_lo, v8, v2
	s_delay_alu instid0(VALU_DEP_2)
	v_add_co_ci_u32_e32 v3, vcc_lo, v9, v3, vcc_lo
	global_store_b64 v[2:3], v[0:1], off
.LBB564_11:
	s_nop 0
	s_sendmsg sendmsg(MSG_DEALLOC_VGPRS)
	s_endpgm
	.section	.rodata,"a",@progbits
	.p2align	6, 0x0
	.amdhsa_kernel _ZL37rocblas_syrkx_herkx_restricted_kernelIidLi16ELi32ELi8ELin1ELi0ELb0ELc78ELc85EKPKdKPdEviT_PT9_S5_lS7_S5_lPT10_S5_li
		.amdhsa_group_segment_fixed_size 4096
		.amdhsa_private_segment_fixed_size 0
		.amdhsa_kernarg_size 84
		.amdhsa_user_sgpr_count 13
		.amdhsa_user_sgpr_dispatch_ptr 0
		.amdhsa_user_sgpr_queue_ptr 0
		.amdhsa_user_sgpr_kernarg_segment_ptr 1
		.amdhsa_user_sgpr_dispatch_id 0
		.amdhsa_user_sgpr_private_segment_size 0
		.amdhsa_wavefront_size32 1
		.amdhsa_uses_dynamic_stack 0
		.amdhsa_enable_private_segment 0
		.amdhsa_system_sgpr_workgroup_id_x 1
		.amdhsa_system_sgpr_workgroup_id_y 1
		.amdhsa_system_sgpr_workgroup_id_z 1
		.amdhsa_system_sgpr_workgroup_info 0
		.amdhsa_system_vgpr_workitem_id 1
		.amdhsa_next_free_vgpr 38
		.amdhsa_next_free_sgpr 20
		.amdhsa_reserve_vcc 1
		.amdhsa_float_round_mode_32 0
		.amdhsa_float_round_mode_16_64 0
		.amdhsa_float_denorm_mode_32 3
		.amdhsa_float_denorm_mode_16_64 3
		.amdhsa_dx10_clamp 1
		.amdhsa_ieee_mode 1
		.amdhsa_fp16_overflow 0
		.amdhsa_workgroup_processor_mode 1
		.amdhsa_memory_ordered 1
		.amdhsa_forward_progress 0
		.amdhsa_shared_vgpr_count 0
		.amdhsa_exception_fp_ieee_invalid_op 0
		.amdhsa_exception_fp_denorm_src 0
		.amdhsa_exception_fp_ieee_div_zero 0
		.amdhsa_exception_fp_ieee_overflow 0
		.amdhsa_exception_fp_ieee_underflow 0
		.amdhsa_exception_fp_ieee_inexact 0
		.amdhsa_exception_int_div_zero 0
	.end_amdhsa_kernel
	.section	.text._ZL37rocblas_syrkx_herkx_restricted_kernelIidLi16ELi32ELi8ELin1ELi0ELb0ELc78ELc85EKPKdKPdEviT_PT9_S5_lS7_S5_lPT10_S5_li,"axG",@progbits,_ZL37rocblas_syrkx_herkx_restricted_kernelIidLi16ELi32ELi8ELin1ELi0ELb0ELc78ELc85EKPKdKPdEviT_PT9_S5_lS7_S5_lPT10_S5_li,comdat
.Lfunc_end564:
	.size	_ZL37rocblas_syrkx_herkx_restricted_kernelIidLi16ELi32ELi8ELin1ELi0ELb0ELc78ELc85EKPKdKPdEviT_PT9_S5_lS7_S5_lPT10_S5_li, .Lfunc_end564-_ZL37rocblas_syrkx_herkx_restricted_kernelIidLi16ELi32ELi8ELin1ELi0ELb0ELc78ELc85EKPKdKPdEviT_PT9_S5_lS7_S5_lPT10_S5_li
                                        ; -- End function
	.section	.AMDGPU.csdata,"",@progbits
; Kernel info:
; codeLenInByte = 1372
; NumSgprs: 22
; NumVgprs: 38
; ScratchSize: 0
; MemoryBound: 0
; FloatMode: 240
; IeeeMode: 1
; LDSByteSize: 4096 bytes/workgroup (compile time only)
; SGPRBlocks: 2
; VGPRBlocks: 4
; NumSGPRsForWavesPerEU: 22
; NumVGPRsForWavesPerEU: 38
; Occupancy: 16
; WaveLimiterHint : 1
; COMPUTE_PGM_RSRC2:SCRATCH_EN: 0
; COMPUTE_PGM_RSRC2:USER_SGPR: 13
; COMPUTE_PGM_RSRC2:TRAP_HANDLER: 0
; COMPUTE_PGM_RSRC2:TGID_X_EN: 1
; COMPUTE_PGM_RSRC2:TGID_Y_EN: 1
; COMPUTE_PGM_RSRC2:TGID_Z_EN: 1
; COMPUTE_PGM_RSRC2:TIDIG_COMP_CNT: 1
	.section	.text._ZL37rocblas_syrkx_herkx_restricted_kernelIidLi16ELi32ELi8ELb1ELb0ELc84ELc76EKPKdKPdEviT_T0_PT8_S5_lS8_S5_lS6_PT9_S5_li,"axG",@progbits,_ZL37rocblas_syrkx_herkx_restricted_kernelIidLi16ELi32ELi8ELb1ELb0ELc84ELc76EKPKdKPdEviT_T0_PT8_S5_lS8_S5_lS6_PT9_S5_li,comdat
	.globl	_ZL37rocblas_syrkx_herkx_restricted_kernelIidLi16ELi32ELi8ELb1ELb0ELc84ELc76EKPKdKPdEviT_T0_PT8_S5_lS8_S5_lS6_PT9_S5_li ; -- Begin function _ZL37rocblas_syrkx_herkx_restricted_kernelIidLi16ELi32ELi8ELb1ELb0ELc84ELc76EKPKdKPdEviT_T0_PT8_S5_lS8_S5_lS6_PT9_S5_li
	.p2align	8
	.type	_ZL37rocblas_syrkx_herkx_restricted_kernelIidLi16ELi32ELi8ELb1ELb0ELc84ELc76EKPKdKPdEviT_T0_PT8_S5_lS8_S5_lS6_PT9_S5_li,@function
_ZL37rocblas_syrkx_herkx_restricted_kernelIidLi16ELi32ELi8ELb1ELb0ELc84ELc76EKPKdKPdEviT_T0_PT8_S5_lS8_S5_lS6_PT9_S5_li: ; @_ZL37rocblas_syrkx_herkx_restricted_kernelIidLi16ELi32ELi8ELb1ELb0ELc84ELc76EKPKdKPdEviT_T0_PT8_S5_lS8_S5_lS6_PT9_S5_li
; %bb.0:
	s_clause 0x1
	s_load_b64 s[2:3], s[0:1], 0x48
	s_load_b64 s[8:9], s[0:1], 0x0
	s_mov_b32 s10, s15
	s_mov_b32 s11, 0
	v_mov_b32_e32 v10, 0
	s_lshl_b64 s[16:17], s[10:11], 3
	v_dual_mov_b32 v11, 0 :: v_dual_and_b32 v12, 0x3ff, v0
	v_bfe_u32 v13, v0, 10, 10
	s_delay_alu instid0(VALU_DEP_3) | instskip(NEXT) | instid1(VALU_DEP_3)
	v_mov_b32_e32 v8, v10
	v_dual_mov_b32 v2, v10 :: v_dual_mov_b32 v3, v11
	v_dual_mov_b32 v9, v11 :: v_dual_mov_b32 v0, v10
	v_mov_b32_e32 v1, v11
	s_waitcnt lgkmcnt(0)
	s_add_u32 s2, s2, s16
	s_addc_u32 s3, s3, s17
	s_load_b128 s[4:7], s[0:1], 0x8
	s_load_b64 s[2:3], s[2:3], 0x0
	s_lshl_b32 s10, s13, 5
	s_lshl_b32 s12, s14, 5
	s_cmp_lt_i32 s9, 1
	s_cbranch_scc1 .LBB565_3
; %bb.1:
	s_clause 0x2
	s_load_b64 s[14:15], s[0:1], 0x28
	s_load_b32 s13, s[0:1], 0x18
	s_load_b32 s18, s[0:1], 0x30
	v_lshl_add_u32 v4, v13, 4, v12
	v_dual_mov_b32 v3, 0 :: v_dual_and_b32 v2, 7, v12
	v_mov_b32_e32 v0, 0
	v_dual_mov_b32 v1, 0 :: v_dual_lshlrev_b32 v14, 3, v12
	s_delay_alu instid0(VALU_DEP_4)
	v_and_b32_e32 v8, 31, v4
	s_waitcnt lgkmcnt(0)
	s_add_u32 s6, s6, s16
	s_addc_u32 s7, s7, s17
	v_lshrrev_b32_e32 v9, 3, v4
	s_load_b64 s[6:7], s[6:7], 0x0
	v_lshrrev_b32_e32 v4, 5, v4
	v_dual_mov_b32 v5, v3 :: v_dual_add_nc_u32 v10, s10, v8
	s_delay_alu instid0(VALU_DEP_3)
	v_add_nc_u32_e32 v16, s12, v9
	v_lshl_add_u32 v15, v13, 6, 0x800
	s_add_u32 s14, s14, s16
	s_addc_u32 s15, s15, s17
	v_mad_i64_i32 v[6:7], null, s13, v10, v[4:5]
	s_load_b64 s[14:15], s[14:15], 0x0
	v_lshlrev_b32_e32 v5, 3, v2
	v_mad_i64_i32 v[10:11], null, s18, v16, v[2:3]
	v_dual_mov_b32 v3, v1 :: v_dual_mov_b32 v2, v0
	s_delay_alu instid0(VALU_DEP_3) | instskip(SKIP_3) | instid1(VALU_DEP_4)
	v_lshl_or_b32 v17, v9, 6, v5
	v_lshlrev_b64 v[5:6], 3, v[6:7]
	v_dual_mov_b32 v9, v1 :: v_dual_lshlrev_b32 v16, 3, v8
	v_lshlrev_b64 v[10:11], 3, v[10:11]
	v_dual_mov_b32 v8, v0 :: v_dual_add_nc_u32 v17, 0x800, v17
	s_delay_alu instid0(VALU_DEP_3)
	v_lshl_or_b32 v16, v4, 8, v16
	s_waitcnt lgkmcnt(0)
	v_add_co_u32 v4, vcc_lo, s6, v5
	v_add_co_ci_u32_e32 v5, vcc_lo, s7, v6, vcc_lo
	v_add_co_u32 v6, vcc_lo, s14, v10
	v_add_co_ci_u32_e32 v7, vcc_lo, s15, v11, vcc_lo
	v_dual_mov_b32 v11, v1 :: v_dual_mov_b32 v10, v0
.LBB565_2:                              ; =>This Inner Loop Header: Depth=1
	global_load_b64 v[18:19], v[4:5], off
	global_load_b64 v[20:21], v[6:7], off
	v_add_co_u32 v6, vcc_lo, v6, 64
	v_add_co_ci_u32_e32 v7, vcc_lo, 0, v7, vcc_lo
	v_add_co_u32 v4, vcc_lo, v4, 64
	v_add_co_ci_u32_e32 v5, vcc_lo, 0, v5, vcc_lo
	s_add_i32 s11, s11, 8
	s_waitcnt vmcnt(1)
	ds_store_b64 v16, v[18:19]
	s_waitcnt vmcnt(0)
	ds_store_b64 v17, v[20:21]
	s_waitcnt lgkmcnt(0)
	s_barrier
	buffer_gl0_inv
	ds_load_2addr_b64 v[18:21], v14 offset1:16
	ds_load_b128 v[22:25], v15
	ds_load_b128 v[26:29], v15 offset:1024
	ds_load_b128 v[30:33], v15 offset:16
	;; [unrolled: 1-line block ×3, first 2 shown]
	s_cmp_ge_i32 s11, s9
	s_waitcnt lgkmcnt(3)
	v_fma_f64 v[10:11], v[18:19], v[22:23], v[10:11]
	v_fma_f64 v[8:9], v[20:21], v[22:23], v[8:9]
	s_waitcnt lgkmcnt(2)
	v_fma_f64 v[18:19], v[18:19], v[26:27], v[2:3]
	v_fma_f64 v[20:21], v[20:21], v[26:27], v[0:1]
	ds_load_2addr_b64 v[0:3], v14 offset0:32 offset1:48
	s_waitcnt lgkmcnt(0)
	v_fma_f64 v[10:11], v[0:1], v[24:25], v[10:11]
	v_fma_f64 v[8:9], v[2:3], v[24:25], v[8:9]
	v_fma_f64 v[18:19], v[0:1], v[28:29], v[18:19]
	v_fma_f64 v[20:21], v[2:3], v[28:29], v[20:21]
	ds_load_2addr_b64 v[0:3], v14 offset0:64 offset1:80
	s_waitcnt lgkmcnt(0)
	v_fma_f64 v[10:11], v[0:1], v[30:31], v[10:11]
	v_fma_f64 v[8:9], v[2:3], v[30:31], v[8:9]
	;; [unrolled: 6-line block ×3, first 2 shown]
	v_fma_f64 v[34:35], v[0:1], v[36:37], v[18:19]
	v_fma_f64 v[36:37], v[2:3], v[36:37], v[20:21]
	ds_load_2addr_b64 v[0:3], v14 offset0:128 offset1:144
	ds_load_b128 v[8:11], v15 offset:32
	ds_load_b128 v[18:21], v15 offset:1056
	;; [unrolled: 1-line block ×4, first 2 shown]
	s_waitcnt lgkmcnt(3)
	v_fma_f64 v[30:31], v[0:1], v[8:9], v[30:31]
	v_fma_f64 v[8:9], v[2:3], v[8:9], v[32:33]
	s_waitcnt lgkmcnt(2)
	v_fma_f64 v[32:33], v[0:1], v[18:19], v[34:35]
	v_fma_f64 v[18:19], v[2:3], v[18:19], v[36:37]
	ds_load_2addr_b64 v[0:3], v14 offset0:160 offset1:176
	s_waitcnt lgkmcnt(0)
	v_fma_f64 v[30:31], v[0:1], v[10:11], v[30:31]
	v_fma_f64 v[8:9], v[2:3], v[10:11], v[8:9]
	;; [unrolled: 1-line block ×4, first 2 shown]
	ds_load_2addr_b64 v[0:3], v14 offset0:192 offset1:208
	s_waitcnt lgkmcnt(0)
	v_fma_f64 v[30:31], v[0:1], v[22:23], v[30:31]
	v_fma_f64 v[8:9], v[2:3], v[22:23], v[8:9]
	v_fma_f64 v[0:1], v[0:1], v[26:27], v[10:11]
	v_fma_f64 v[22:23], v[2:3], v[26:27], v[18:19]
	ds_load_2addr_b64 v[18:21], v14 offset0:224 offset1:240
	s_waitcnt lgkmcnt(0)
	s_barrier
	buffer_gl0_inv
	v_fma_f64 v[10:11], v[18:19], v[24:25], v[30:31]
	v_fma_f64 v[8:9], v[20:21], v[24:25], v[8:9]
	v_fma_f64 v[2:3], v[18:19], v[28:29], v[0:1]
	v_fma_f64 v[0:1], v[20:21], v[28:29], v[22:23]
	s_cbranch_scc0 .LBB565_2
.LBB565_3:
	s_waitcnt lgkmcnt(0)
	s_load_b32 s6, s[0:1], 0x50
	v_add_nc_u32_e32 v13, s12, v13
	v_add_nc_u32_e32 v4, s10, v12
	s_delay_alu instid0(VALU_DEP_1) | instskip(SKIP_1) | instid1(VALU_DEP_2)
	v_cmp_le_i32_e64 s0, v13, v4
	v_cmp_gt_i32_e32 vcc_lo, s8, v4
	s_and_b32 s0, s0, vcc_lo
	s_waitcnt lgkmcnt(0)
	v_mad_i64_i32 v[5:6], null, v13, s6, 0
	s_delay_alu instid0(VALU_DEP_1) | instskip(NEXT) | instid1(VALU_DEP_1)
	v_lshlrev_b64 v[5:6], 3, v[5:6]
	v_add_co_u32 v12, s1, s2, v5
	s_delay_alu instid0(VALU_DEP_1)
	v_add_co_ci_u32_e64 v14, s1, s3, v6, s1
	s_and_saveexec_b32 s1, s0
	s_cbranch_execz .LBB565_5
; %bb.4:
	v_mul_f64 v[6:7], v[10:11], s[4:5]
	v_ashrrev_i32_e32 v5, 31, v4
	s_delay_alu instid0(VALU_DEP_1) | instskip(NEXT) | instid1(VALU_DEP_1)
	v_lshlrev_b64 v[10:11], 3, v[4:5]
	v_add_co_u32 v10, s0, v12, v10
	s_delay_alu instid0(VALU_DEP_1)
	v_add_co_ci_u32_e64 v11, s0, v14, v11, s0
	global_store_b64 v[10:11], v[6:7], off
.LBB565_5:
	s_or_b32 exec_lo, exec_lo, s1
	v_add_nc_u32_e32 v6, 16, v4
	s_delay_alu instid0(VALU_DEP_1) | instskip(SKIP_1) | instid1(VALU_DEP_1)
	v_cmp_le_i32_e64 s1, v13, v6
	v_cmp_gt_i32_e64 s0, s8, v6
	s_and_b32 s1, s1, s0
	s_delay_alu instid0(SALU_CYCLE_1)
	s_and_saveexec_b32 s7, s1
	s_cbranch_execz .LBB565_7
; %bb.6:
	v_mul_f64 v[8:9], v[8:9], s[4:5]
	v_ashrrev_i32_e32 v7, 31, v6
	s_delay_alu instid0(VALU_DEP_1) | instskip(NEXT) | instid1(VALU_DEP_1)
	v_lshlrev_b64 v[10:11], 3, v[6:7]
	v_add_co_u32 v10, s1, v12, v10
	s_delay_alu instid0(VALU_DEP_1)
	v_add_co_ci_u32_e64 v11, s1, v14, v11, s1
	global_store_b64 v[10:11], v[8:9], off
.LBB565_7:
	s_or_b32 exec_lo, exec_lo, s7
	v_add_nc_u32_e32 v7, 16, v13
	s_delay_alu instid0(VALU_DEP_1) | instskip(SKIP_1) | instid1(VALU_DEP_2)
	v_mad_i64_i32 v[8:9], null, v7, s6, 0
	v_cmp_le_i32_e64 s1, v7, v4
	v_lshlrev_b64 v[8:9], 3, v[8:9]
	s_delay_alu instid0(VALU_DEP_1) | instskip(NEXT) | instid1(VALU_DEP_1)
	v_add_co_u32 v8, s2, s2, v8
	v_add_co_ci_u32_e64 v9, s2, s3, v9, s2
	s_delay_alu instid0(VALU_DEP_4) | instskip(NEXT) | instid1(SALU_CYCLE_1)
	s_and_b32 s2, s1, vcc_lo
	s_and_saveexec_b32 s1, s2
	s_cbranch_execz .LBB565_9
; %bb.8:
	v_mul_f64 v[2:3], v[2:3], s[4:5]
	v_ashrrev_i32_e32 v5, 31, v4
	s_delay_alu instid0(VALU_DEP_1) | instskip(NEXT) | instid1(VALU_DEP_1)
	v_lshlrev_b64 v[4:5], 3, v[4:5]
	v_add_co_u32 v4, vcc_lo, v8, v4
	s_delay_alu instid0(VALU_DEP_2)
	v_add_co_ci_u32_e32 v5, vcc_lo, v9, v5, vcc_lo
	global_store_b64 v[4:5], v[2:3], off
.LBB565_9:
	s_or_b32 exec_lo, exec_lo, s1
	v_cmp_le_i32_e32 vcc_lo, v7, v6
	s_and_b32 s0, vcc_lo, s0
	s_delay_alu instid0(SALU_CYCLE_1)
	s_and_saveexec_b32 s1, s0
	s_cbranch_execz .LBB565_11
; %bb.10:
	v_mul_f64 v[0:1], v[0:1], s[4:5]
	v_ashrrev_i32_e32 v7, 31, v6
	s_delay_alu instid0(VALU_DEP_1) | instskip(NEXT) | instid1(VALU_DEP_1)
	v_lshlrev_b64 v[2:3], 3, v[6:7]
	v_add_co_u32 v2, vcc_lo, v8, v2
	s_delay_alu instid0(VALU_DEP_2)
	v_add_co_ci_u32_e32 v3, vcc_lo, v9, v3, vcc_lo
	global_store_b64 v[2:3], v[0:1], off
.LBB565_11:
	s_nop 0
	s_sendmsg sendmsg(MSG_DEALLOC_VGPRS)
	s_endpgm
	.section	.rodata,"a",@progbits
	.p2align	6, 0x0
	.amdhsa_kernel _ZL37rocblas_syrkx_herkx_restricted_kernelIidLi16ELi32ELi8ELb1ELb0ELc84ELc76EKPKdKPdEviT_T0_PT8_S5_lS8_S5_lS6_PT9_S5_li
		.amdhsa_group_segment_fixed_size 4096
		.amdhsa_private_segment_fixed_size 0
		.amdhsa_kernarg_size 100
		.amdhsa_user_sgpr_count 13
		.amdhsa_user_sgpr_dispatch_ptr 0
		.amdhsa_user_sgpr_queue_ptr 0
		.amdhsa_user_sgpr_kernarg_segment_ptr 1
		.amdhsa_user_sgpr_dispatch_id 0
		.amdhsa_user_sgpr_private_segment_size 0
		.amdhsa_wavefront_size32 1
		.amdhsa_uses_dynamic_stack 0
		.amdhsa_enable_private_segment 0
		.amdhsa_system_sgpr_workgroup_id_x 1
		.amdhsa_system_sgpr_workgroup_id_y 1
		.amdhsa_system_sgpr_workgroup_id_z 1
		.amdhsa_system_sgpr_workgroup_info 0
		.amdhsa_system_vgpr_workitem_id 1
		.amdhsa_next_free_vgpr 38
		.amdhsa_next_free_sgpr 19
		.amdhsa_reserve_vcc 1
		.amdhsa_float_round_mode_32 0
		.amdhsa_float_round_mode_16_64 0
		.amdhsa_float_denorm_mode_32 3
		.amdhsa_float_denorm_mode_16_64 3
		.amdhsa_dx10_clamp 1
		.amdhsa_ieee_mode 1
		.amdhsa_fp16_overflow 0
		.amdhsa_workgroup_processor_mode 1
		.amdhsa_memory_ordered 1
		.amdhsa_forward_progress 0
		.amdhsa_shared_vgpr_count 0
		.amdhsa_exception_fp_ieee_invalid_op 0
		.amdhsa_exception_fp_denorm_src 0
		.amdhsa_exception_fp_ieee_div_zero 0
		.amdhsa_exception_fp_ieee_overflow 0
		.amdhsa_exception_fp_ieee_underflow 0
		.amdhsa_exception_fp_ieee_inexact 0
		.amdhsa_exception_int_div_zero 0
	.end_amdhsa_kernel
	.section	.text._ZL37rocblas_syrkx_herkx_restricted_kernelIidLi16ELi32ELi8ELb1ELb0ELc84ELc76EKPKdKPdEviT_T0_PT8_S5_lS8_S5_lS6_PT9_S5_li,"axG",@progbits,_ZL37rocblas_syrkx_herkx_restricted_kernelIidLi16ELi32ELi8ELb1ELb0ELc84ELc76EKPKdKPdEviT_T0_PT8_S5_lS8_S5_lS6_PT9_S5_li,comdat
.Lfunc_end565:
	.size	_ZL37rocblas_syrkx_herkx_restricted_kernelIidLi16ELi32ELi8ELb1ELb0ELc84ELc76EKPKdKPdEviT_T0_PT8_S5_lS8_S5_lS6_PT9_S5_li, .Lfunc_end565-_ZL37rocblas_syrkx_herkx_restricted_kernelIidLi16ELi32ELi8ELb1ELb0ELc84ELc76EKPKdKPdEviT_T0_PT8_S5_lS8_S5_lS6_PT9_S5_li
                                        ; -- End function
	.section	.AMDGPU.csdata,"",@progbits
; Kernel info:
; codeLenInByte = 1360
; NumSgprs: 21
; NumVgprs: 38
; ScratchSize: 0
; MemoryBound: 0
; FloatMode: 240
; IeeeMode: 1
; LDSByteSize: 4096 bytes/workgroup (compile time only)
; SGPRBlocks: 2
; VGPRBlocks: 4
; NumSGPRsForWavesPerEU: 21
; NumVGPRsForWavesPerEU: 38
; Occupancy: 16
; WaveLimiterHint : 1
; COMPUTE_PGM_RSRC2:SCRATCH_EN: 0
; COMPUTE_PGM_RSRC2:USER_SGPR: 13
; COMPUTE_PGM_RSRC2:TRAP_HANDLER: 0
; COMPUTE_PGM_RSRC2:TGID_X_EN: 1
; COMPUTE_PGM_RSRC2:TGID_Y_EN: 1
; COMPUTE_PGM_RSRC2:TGID_Z_EN: 1
; COMPUTE_PGM_RSRC2:TIDIG_COMP_CNT: 1
	.section	.text._ZL37rocblas_syrkx_herkx_restricted_kernelIidLi16ELi32ELi8ELb1ELb0ELc67ELc76EKPKdKPdEviT_T0_PT8_S5_lS8_S5_lS6_PT9_S5_li,"axG",@progbits,_ZL37rocblas_syrkx_herkx_restricted_kernelIidLi16ELi32ELi8ELb1ELb0ELc67ELc76EKPKdKPdEviT_T0_PT8_S5_lS8_S5_lS6_PT9_S5_li,comdat
	.globl	_ZL37rocblas_syrkx_herkx_restricted_kernelIidLi16ELi32ELi8ELb1ELb0ELc67ELc76EKPKdKPdEviT_T0_PT8_S5_lS8_S5_lS6_PT9_S5_li ; -- Begin function _ZL37rocblas_syrkx_herkx_restricted_kernelIidLi16ELi32ELi8ELb1ELb0ELc67ELc76EKPKdKPdEviT_T0_PT8_S5_lS8_S5_lS6_PT9_S5_li
	.p2align	8
	.type	_ZL37rocblas_syrkx_herkx_restricted_kernelIidLi16ELi32ELi8ELb1ELb0ELc67ELc76EKPKdKPdEviT_T0_PT8_S5_lS8_S5_lS6_PT9_S5_li,@function
_ZL37rocblas_syrkx_herkx_restricted_kernelIidLi16ELi32ELi8ELb1ELb0ELc67ELc76EKPKdKPdEviT_T0_PT8_S5_lS8_S5_lS6_PT9_S5_li: ; @_ZL37rocblas_syrkx_herkx_restricted_kernelIidLi16ELi32ELi8ELb1ELb0ELc67ELc76EKPKdKPdEviT_T0_PT8_S5_lS8_S5_lS6_PT9_S5_li
; %bb.0:
	s_clause 0x1
	s_load_b64 s[2:3], s[0:1], 0x48
	s_load_b64 s[8:9], s[0:1], 0x0
	s_mov_b32 s10, s15
	s_mov_b32 s11, 0
	v_mov_b32_e32 v10, 0
	s_lshl_b64 s[16:17], s[10:11], 3
	v_dual_mov_b32 v11, 0 :: v_dual_and_b32 v12, 0x3ff, v0
	v_bfe_u32 v13, v0, 10, 10
	s_delay_alu instid0(VALU_DEP_3) | instskip(NEXT) | instid1(VALU_DEP_3)
	v_mov_b32_e32 v8, v10
	v_dual_mov_b32 v2, v10 :: v_dual_mov_b32 v3, v11
	v_dual_mov_b32 v9, v11 :: v_dual_mov_b32 v0, v10
	v_mov_b32_e32 v1, v11
	s_waitcnt lgkmcnt(0)
	s_add_u32 s2, s2, s16
	s_addc_u32 s3, s3, s17
	s_load_b128 s[4:7], s[0:1], 0x8
	s_load_b64 s[2:3], s[2:3], 0x0
	s_lshl_b32 s10, s13, 5
	s_lshl_b32 s12, s14, 5
	s_cmp_lt_i32 s9, 1
	s_cbranch_scc1 .LBB566_3
; %bb.1:
	s_clause 0x2
	s_load_b64 s[14:15], s[0:1], 0x28
	s_load_b32 s13, s[0:1], 0x18
	s_load_b32 s18, s[0:1], 0x30
	v_lshl_add_u32 v4, v13, 4, v12
	v_dual_mov_b32 v3, 0 :: v_dual_and_b32 v2, 7, v12
	v_mov_b32_e32 v0, 0
	v_dual_mov_b32 v1, 0 :: v_dual_lshlrev_b32 v14, 3, v12
	s_delay_alu instid0(VALU_DEP_4)
	v_and_b32_e32 v8, 31, v4
	s_waitcnt lgkmcnt(0)
	s_add_u32 s6, s6, s16
	s_addc_u32 s7, s7, s17
	v_lshrrev_b32_e32 v9, 3, v4
	s_load_b64 s[6:7], s[6:7], 0x0
	v_lshrrev_b32_e32 v4, 5, v4
	v_dual_mov_b32 v5, v3 :: v_dual_add_nc_u32 v10, s10, v8
	s_delay_alu instid0(VALU_DEP_3)
	v_add_nc_u32_e32 v16, s12, v9
	v_lshl_add_u32 v15, v13, 6, 0x800
	s_add_u32 s14, s14, s16
	s_addc_u32 s15, s15, s17
	v_mad_i64_i32 v[6:7], null, s13, v10, v[4:5]
	s_load_b64 s[14:15], s[14:15], 0x0
	v_lshlrev_b32_e32 v5, 3, v2
	v_mad_i64_i32 v[10:11], null, s18, v16, v[2:3]
	v_dual_mov_b32 v3, v1 :: v_dual_mov_b32 v2, v0
	s_delay_alu instid0(VALU_DEP_3) | instskip(SKIP_3) | instid1(VALU_DEP_4)
	v_lshl_or_b32 v17, v9, 6, v5
	v_lshlrev_b64 v[5:6], 3, v[6:7]
	v_dual_mov_b32 v9, v1 :: v_dual_lshlrev_b32 v16, 3, v8
	v_lshlrev_b64 v[10:11], 3, v[10:11]
	v_dual_mov_b32 v8, v0 :: v_dual_add_nc_u32 v17, 0x800, v17
	s_delay_alu instid0(VALU_DEP_3)
	v_lshl_or_b32 v16, v4, 8, v16
	s_waitcnt lgkmcnt(0)
	v_add_co_u32 v4, vcc_lo, s6, v5
	v_add_co_ci_u32_e32 v5, vcc_lo, s7, v6, vcc_lo
	v_add_co_u32 v6, vcc_lo, s14, v10
	v_add_co_ci_u32_e32 v7, vcc_lo, s15, v11, vcc_lo
	v_dual_mov_b32 v11, v1 :: v_dual_mov_b32 v10, v0
.LBB566_2:                              ; =>This Inner Loop Header: Depth=1
	global_load_b64 v[18:19], v[4:5], off
	global_load_b64 v[20:21], v[6:7], off
	v_add_co_u32 v6, vcc_lo, v6, 64
	v_add_co_ci_u32_e32 v7, vcc_lo, 0, v7, vcc_lo
	v_add_co_u32 v4, vcc_lo, v4, 64
	v_add_co_ci_u32_e32 v5, vcc_lo, 0, v5, vcc_lo
	s_add_i32 s11, s11, 8
	s_waitcnt vmcnt(1)
	ds_store_b64 v16, v[18:19]
	s_waitcnt vmcnt(0)
	ds_store_b64 v17, v[20:21]
	s_waitcnt lgkmcnt(0)
	s_barrier
	buffer_gl0_inv
	ds_load_2addr_b64 v[18:21], v14 offset1:16
	ds_load_b128 v[22:25], v15
	ds_load_b128 v[26:29], v15 offset:1024
	ds_load_b128 v[30:33], v15 offset:16
	;; [unrolled: 1-line block ×3, first 2 shown]
	s_cmp_ge_i32 s11, s9
	s_waitcnt lgkmcnt(3)
	v_fma_f64 v[10:11], v[18:19], v[22:23], v[10:11]
	v_fma_f64 v[8:9], v[20:21], v[22:23], v[8:9]
	s_waitcnt lgkmcnt(2)
	v_fma_f64 v[18:19], v[18:19], v[26:27], v[2:3]
	v_fma_f64 v[20:21], v[20:21], v[26:27], v[0:1]
	ds_load_2addr_b64 v[0:3], v14 offset0:32 offset1:48
	s_waitcnt lgkmcnt(0)
	v_fma_f64 v[10:11], v[0:1], v[24:25], v[10:11]
	v_fma_f64 v[8:9], v[2:3], v[24:25], v[8:9]
	v_fma_f64 v[18:19], v[0:1], v[28:29], v[18:19]
	v_fma_f64 v[20:21], v[2:3], v[28:29], v[20:21]
	ds_load_2addr_b64 v[0:3], v14 offset0:64 offset1:80
	s_waitcnt lgkmcnt(0)
	v_fma_f64 v[10:11], v[0:1], v[30:31], v[10:11]
	v_fma_f64 v[8:9], v[2:3], v[30:31], v[8:9]
	;; [unrolled: 6-line block ×3, first 2 shown]
	v_fma_f64 v[34:35], v[0:1], v[36:37], v[18:19]
	v_fma_f64 v[36:37], v[2:3], v[36:37], v[20:21]
	ds_load_2addr_b64 v[0:3], v14 offset0:128 offset1:144
	ds_load_b128 v[8:11], v15 offset:32
	ds_load_b128 v[18:21], v15 offset:1056
	;; [unrolled: 1-line block ×4, first 2 shown]
	s_waitcnt lgkmcnt(3)
	v_fma_f64 v[30:31], v[0:1], v[8:9], v[30:31]
	v_fma_f64 v[8:9], v[2:3], v[8:9], v[32:33]
	s_waitcnt lgkmcnt(2)
	v_fma_f64 v[32:33], v[0:1], v[18:19], v[34:35]
	v_fma_f64 v[18:19], v[2:3], v[18:19], v[36:37]
	ds_load_2addr_b64 v[0:3], v14 offset0:160 offset1:176
	s_waitcnt lgkmcnt(0)
	v_fma_f64 v[30:31], v[0:1], v[10:11], v[30:31]
	v_fma_f64 v[8:9], v[2:3], v[10:11], v[8:9]
	;; [unrolled: 1-line block ×4, first 2 shown]
	ds_load_2addr_b64 v[0:3], v14 offset0:192 offset1:208
	s_waitcnt lgkmcnt(0)
	v_fma_f64 v[30:31], v[0:1], v[22:23], v[30:31]
	v_fma_f64 v[8:9], v[2:3], v[22:23], v[8:9]
	;; [unrolled: 1-line block ×4, first 2 shown]
	ds_load_2addr_b64 v[18:21], v14 offset0:224 offset1:240
	s_waitcnt lgkmcnt(0)
	s_barrier
	buffer_gl0_inv
	v_fma_f64 v[10:11], v[18:19], v[24:25], v[30:31]
	v_fma_f64 v[8:9], v[20:21], v[24:25], v[8:9]
	;; [unrolled: 1-line block ×4, first 2 shown]
	s_cbranch_scc0 .LBB566_2
.LBB566_3:
	s_waitcnt lgkmcnt(0)
	s_load_b32 s6, s[0:1], 0x50
	v_add_nc_u32_e32 v13, s12, v13
	v_add_nc_u32_e32 v4, s10, v12
	s_delay_alu instid0(VALU_DEP_1) | instskip(SKIP_1) | instid1(VALU_DEP_2)
	v_cmp_le_i32_e64 s0, v13, v4
	v_cmp_gt_i32_e32 vcc_lo, s8, v4
	s_and_b32 s0, s0, vcc_lo
	s_waitcnt lgkmcnt(0)
	v_mad_i64_i32 v[5:6], null, v13, s6, 0
	s_delay_alu instid0(VALU_DEP_1) | instskip(NEXT) | instid1(VALU_DEP_1)
	v_lshlrev_b64 v[5:6], 3, v[5:6]
	v_add_co_u32 v12, s1, s2, v5
	s_delay_alu instid0(VALU_DEP_1)
	v_add_co_ci_u32_e64 v14, s1, s3, v6, s1
	s_and_saveexec_b32 s1, s0
	s_cbranch_execz .LBB566_5
; %bb.4:
	v_mul_f64 v[6:7], v[10:11], s[4:5]
	v_ashrrev_i32_e32 v5, 31, v4
	s_delay_alu instid0(VALU_DEP_1) | instskip(NEXT) | instid1(VALU_DEP_1)
	v_lshlrev_b64 v[10:11], 3, v[4:5]
	v_add_co_u32 v10, s0, v12, v10
	s_delay_alu instid0(VALU_DEP_1)
	v_add_co_ci_u32_e64 v11, s0, v14, v11, s0
	global_store_b64 v[10:11], v[6:7], off
.LBB566_5:
	s_or_b32 exec_lo, exec_lo, s1
	v_add_nc_u32_e32 v6, 16, v4
	s_delay_alu instid0(VALU_DEP_1) | instskip(SKIP_1) | instid1(VALU_DEP_1)
	v_cmp_le_i32_e64 s1, v13, v6
	v_cmp_gt_i32_e64 s0, s8, v6
	s_and_b32 s1, s1, s0
	s_delay_alu instid0(SALU_CYCLE_1)
	s_and_saveexec_b32 s7, s1
	s_cbranch_execz .LBB566_7
; %bb.6:
	v_mul_f64 v[8:9], v[8:9], s[4:5]
	v_ashrrev_i32_e32 v7, 31, v6
	s_delay_alu instid0(VALU_DEP_1) | instskip(NEXT) | instid1(VALU_DEP_1)
	v_lshlrev_b64 v[10:11], 3, v[6:7]
	v_add_co_u32 v10, s1, v12, v10
	s_delay_alu instid0(VALU_DEP_1)
	v_add_co_ci_u32_e64 v11, s1, v14, v11, s1
	global_store_b64 v[10:11], v[8:9], off
.LBB566_7:
	s_or_b32 exec_lo, exec_lo, s7
	v_add_nc_u32_e32 v7, 16, v13
	s_delay_alu instid0(VALU_DEP_1) | instskip(SKIP_1) | instid1(VALU_DEP_2)
	v_mad_i64_i32 v[8:9], null, v7, s6, 0
	v_cmp_le_i32_e64 s1, v7, v4
	v_lshlrev_b64 v[8:9], 3, v[8:9]
	s_delay_alu instid0(VALU_DEP_1) | instskip(NEXT) | instid1(VALU_DEP_1)
	v_add_co_u32 v8, s2, s2, v8
	v_add_co_ci_u32_e64 v9, s2, s3, v9, s2
	s_delay_alu instid0(VALU_DEP_4) | instskip(NEXT) | instid1(SALU_CYCLE_1)
	s_and_b32 s2, s1, vcc_lo
	s_and_saveexec_b32 s1, s2
	s_cbranch_execz .LBB566_9
; %bb.8:
	v_mul_f64 v[2:3], v[2:3], s[4:5]
	v_ashrrev_i32_e32 v5, 31, v4
	s_delay_alu instid0(VALU_DEP_1) | instskip(NEXT) | instid1(VALU_DEP_1)
	v_lshlrev_b64 v[4:5], 3, v[4:5]
	v_add_co_u32 v4, vcc_lo, v8, v4
	s_delay_alu instid0(VALU_DEP_2)
	v_add_co_ci_u32_e32 v5, vcc_lo, v9, v5, vcc_lo
	global_store_b64 v[4:5], v[2:3], off
.LBB566_9:
	s_or_b32 exec_lo, exec_lo, s1
	v_cmp_le_i32_e32 vcc_lo, v7, v6
	s_and_b32 s0, vcc_lo, s0
	s_delay_alu instid0(SALU_CYCLE_1)
	s_and_saveexec_b32 s1, s0
	s_cbranch_execz .LBB566_11
; %bb.10:
	v_mul_f64 v[0:1], v[0:1], s[4:5]
	v_ashrrev_i32_e32 v7, 31, v6
	s_delay_alu instid0(VALU_DEP_1) | instskip(NEXT) | instid1(VALU_DEP_1)
	v_lshlrev_b64 v[2:3], 3, v[6:7]
	v_add_co_u32 v2, vcc_lo, v8, v2
	s_delay_alu instid0(VALU_DEP_2)
	v_add_co_ci_u32_e32 v3, vcc_lo, v9, v3, vcc_lo
	global_store_b64 v[2:3], v[0:1], off
.LBB566_11:
	s_nop 0
	s_sendmsg sendmsg(MSG_DEALLOC_VGPRS)
	s_endpgm
	.section	.rodata,"a",@progbits
	.p2align	6, 0x0
	.amdhsa_kernel _ZL37rocblas_syrkx_herkx_restricted_kernelIidLi16ELi32ELi8ELb1ELb0ELc67ELc76EKPKdKPdEviT_T0_PT8_S5_lS8_S5_lS6_PT9_S5_li
		.amdhsa_group_segment_fixed_size 4096
		.amdhsa_private_segment_fixed_size 0
		.amdhsa_kernarg_size 100
		.amdhsa_user_sgpr_count 13
		.amdhsa_user_sgpr_dispatch_ptr 0
		.amdhsa_user_sgpr_queue_ptr 0
		.amdhsa_user_sgpr_kernarg_segment_ptr 1
		.amdhsa_user_sgpr_dispatch_id 0
		.amdhsa_user_sgpr_private_segment_size 0
		.amdhsa_wavefront_size32 1
		.amdhsa_uses_dynamic_stack 0
		.amdhsa_enable_private_segment 0
		.amdhsa_system_sgpr_workgroup_id_x 1
		.amdhsa_system_sgpr_workgroup_id_y 1
		.amdhsa_system_sgpr_workgroup_id_z 1
		.amdhsa_system_sgpr_workgroup_info 0
		.amdhsa_system_vgpr_workitem_id 1
		.amdhsa_next_free_vgpr 38
		.amdhsa_next_free_sgpr 19
		.amdhsa_reserve_vcc 1
		.amdhsa_float_round_mode_32 0
		.amdhsa_float_round_mode_16_64 0
		.amdhsa_float_denorm_mode_32 3
		.amdhsa_float_denorm_mode_16_64 3
		.amdhsa_dx10_clamp 1
		.amdhsa_ieee_mode 1
		.amdhsa_fp16_overflow 0
		.amdhsa_workgroup_processor_mode 1
		.amdhsa_memory_ordered 1
		.amdhsa_forward_progress 0
		.amdhsa_shared_vgpr_count 0
		.amdhsa_exception_fp_ieee_invalid_op 0
		.amdhsa_exception_fp_denorm_src 0
		.amdhsa_exception_fp_ieee_div_zero 0
		.amdhsa_exception_fp_ieee_overflow 0
		.amdhsa_exception_fp_ieee_underflow 0
		.amdhsa_exception_fp_ieee_inexact 0
		.amdhsa_exception_int_div_zero 0
	.end_amdhsa_kernel
	.section	.text._ZL37rocblas_syrkx_herkx_restricted_kernelIidLi16ELi32ELi8ELb1ELb0ELc67ELc76EKPKdKPdEviT_T0_PT8_S5_lS8_S5_lS6_PT9_S5_li,"axG",@progbits,_ZL37rocblas_syrkx_herkx_restricted_kernelIidLi16ELi32ELi8ELb1ELb0ELc67ELc76EKPKdKPdEviT_T0_PT8_S5_lS8_S5_lS6_PT9_S5_li,comdat
.Lfunc_end566:
	.size	_ZL37rocblas_syrkx_herkx_restricted_kernelIidLi16ELi32ELi8ELb1ELb0ELc67ELc76EKPKdKPdEviT_T0_PT8_S5_lS8_S5_lS6_PT9_S5_li, .Lfunc_end566-_ZL37rocblas_syrkx_herkx_restricted_kernelIidLi16ELi32ELi8ELb1ELb0ELc67ELc76EKPKdKPdEviT_T0_PT8_S5_lS8_S5_lS6_PT9_S5_li
                                        ; -- End function
	.section	.AMDGPU.csdata,"",@progbits
; Kernel info:
; codeLenInByte = 1360
; NumSgprs: 21
; NumVgprs: 38
; ScratchSize: 0
; MemoryBound: 0
; FloatMode: 240
; IeeeMode: 1
; LDSByteSize: 4096 bytes/workgroup (compile time only)
; SGPRBlocks: 2
; VGPRBlocks: 4
; NumSGPRsForWavesPerEU: 21
; NumVGPRsForWavesPerEU: 38
; Occupancy: 16
; WaveLimiterHint : 1
; COMPUTE_PGM_RSRC2:SCRATCH_EN: 0
; COMPUTE_PGM_RSRC2:USER_SGPR: 13
; COMPUTE_PGM_RSRC2:TRAP_HANDLER: 0
; COMPUTE_PGM_RSRC2:TGID_X_EN: 1
; COMPUTE_PGM_RSRC2:TGID_Y_EN: 1
; COMPUTE_PGM_RSRC2:TGID_Z_EN: 1
; COMPUTE_PGM_RSRC2:TIDIG_COMP_CNT: 1
	.section	.text._ZL37rocblas_syrkx_herkx_restricted_kernelIidLi16ELi32ELi8ELb1ELb0ELc78ELc76EKPKdKPdEviT_T0_PT8_S5_lS8_S5_lS6_PT9_S5_li,"axG",@progbits,_ZL37rocblas_syrkx_herkx_restricted_kernelIidLi16ELi32ELi8ELb1ELb0ELc78ELc76EKPKdKPdEviT_T0_PT8_S5_lS8_S5_lS6_PT9_S5_li,comdat
	.globl	_ZL37rocblas_syrkx_herkx_restricted_kernelIidLi16ELi32ELi8ELb1ELb0ELc78ELc76EKPKdKPdEviT_T0_PT8_S5_lS8_S5_lS6_PT9_S5_li ; -- Begin function _ZL37rocblas_syrkx_herkx_restricted_kernelIidLi16ELi32ELi8ELb1ELb0ELc78ELc76EKPKdKPdEviT_T0_PT8_S5_lS8_S5_lS6_PT9_S5_li
	.p2align	8
	.type	_ZL37rocblas_syrkx_herkx_restricted_kernelIidLi16ELi32ELi8ELb1ELb0ELc78ELc76EKPKdKPdEviT_T0_PT8_S5_lS8_S5_lS6_PT9_S5_li,@function
_ZL37rocblas_syrkx_herkx_restricted_kernelIidLi16ELi32ELi8ELb1ELb0ELc78ELc76EKPKdKPdEviT_T0_PT8_S5_lS8_S5_lS6_PT9_S5_li: ; @_ZL37rocblas_syrkx_herkx_restricted_kernelIidLi16ELi32ELi8ELb1ELb0ELc78ELc76EKPKdKPdEviT_T0_PT8_S5_lS8_S5_lS6_PT9_S5_li
; %bb.0:
	s_clause 0x1
	s_load_b64 s[2:3], s[0:1], 0x48
	s_load_b64 s[8:9], s[0:1], 0x0
	s_mov_b32 s10, s15
	s_mov_b32 s11, 0
	v_mov_b32_e32 v10, 0
	s_lshl_b64 s[16:17], s[10:11], 3
	v_dual_mov_b32 v11, 0 :: v_dual_and_b32 v12, 0x3ff, v0
	v_bfe_u32 v13, v0, 10, 10
	s_delay_alu instid0(VALU_DEP_3) | instskip(NEXT) | instid1(VALU_DEP_3)
	v_mov_b32_e32 v8, v10
	v_dual_mov_b32 v2, v10 :: v_dual_mov_b32 v3, v11
	v_dual_mov_b32 v9, v11 :: v_dual_mov_b32 v0, v10
	v_mov_b32_e32 v1, v11
	s_waitcnt lgkmcnt(0)
	s_add_u32 s2, s2, s16
	s_addc_u32 s3, s3, s17
	s_load_b128 s[4:7], s[0:1], 0x8
	s_load_b64 s[2:3], s[2:3], 0x0
	s_lshl_b32 s10, s13, 5
	s_lshl_b32 s14, s14, 5
	s_cmp_lt_i32 s9, 1
	s_cbranch_scc1 .LBB567_3
; %bb.1:
	s_clause 0x2
	s_load_b32 s12, s[0:1], 0x18
	s_load_b32 s18, s[0:1], 0x30
	s_load_b64 s[20:21], s[0:1], 0x28
	v_lshl_add_u32 v2, v13, 4, v12
	v_mov_b32_e32 v0, 0
	v_dual_mov_b32 v1, 0 :: v_dual_and_b32 v8, 7, v12
	v_lshlrev_b32_e32 v14, 3, v12
	s_delay_alu instid0(VALU_DEP_4)
	v_and_b32_e32 v10, 31, v2
	v_lshrrev_b32_e32 v9, 3, v2
	v_lshrrev_b32_e32 v11, 5, v2
	v_lshlrev_b32_e32 v16, 3, v8
	v_lshl_add_u32 v15, v13, 6, 0x800
	v_add_nc_u32_e32 v4, s10, v10
	v_add_nc_u32_e32 v2, s14, v9
	s_delay_alu instid0(VALU_DEP_4) | instskip(NEXT) | instid1(VALU_DEP_3)
	v_lshl_or_b32 v17, v9, 6, v16
	v_ashrrev_i32_e32 v5, 31, v4
	s_delay_alu instid0(VALU_DEP_3)
	v_ashrrev_i32_e32 v3, 31, v2
	s_waitcnt lgkmcnt(0)
	s_ashr_i32 s13, s12, 31
	s_ashr_i32 s19, s18, 31
	s_add_u32 s6, s6, s16
	s_addc_u32 s7, s7, s17
	s_add_u32 s16, s20, s16
	s_load_b64 s[6:7], s[6:7], 0x0
	s_addc_u32 s17, s21, s17
	v_mad_i64_i32 v[6:7], null, s12, v11, v[4:5]
	s_load_b64 s[16:17], s[16:17], 0x0
	v_mad_i64_i32 v[4:5], null, s18, v8, v[2:3]
	v_dual_mov_b32 v3, v1 :: v_dual_lshlrev_b32 v10, 3, v10
	v_mov_b32_e32 v9, v1
	s_delay_alu instid0(VALU_DEP_4)
	v_lshlrev_b64 v[6:7], 3, v[6:7]
	v_mov_b32_e32 v2, v0
	v_mov_b32_e32 v8, v0
	v_lshl_or_b32 v16, v11, 8, v10
	v_lshlrev_b64 v[10:11], 3, v[4:5]
	v_add_nc_u32_e32 v17, 0x800, v17
	s_lshl_b64 s[12:13], s[12:13], 6
	s_waitcnt lgkmcnt(0)
	v_add_co_u32 v4, vcc_lo, s6, v6
	v_add_co_ci_u32_e32 v5, vcc_lo, s7, v7, vcc_lo
	v_add_co_u32 v6, vcc_lo, s16, v10
	v_add_co_ci_u32_e32 v7, vcc_lo, s17, v11, vcc_lo
	v_dual_mov_b32 v11, v1 :: v_dual_mov_b32 v10, v0
	s_lshl_b64 s[6:7], s[18:19], 6
.LBB567_2:                              ; =>This Inner Loop Header: Depth=1
	global_load_b64 v[18:19], v[4:5], off
	global_load_b64 v[20:21], v[6:7], off
	v_add_co_u32 v6, vcc_lo, v6, s6
	v_add_co_ci_u32_e32 v7, vcc_lo, s7, v7, vcc_lo
	v_add_co_u32 v4, vcc_lo, v4, s12
	v_add_co_ci_u32_e32 v5, vcc_lo, s13, v5, vcc_lo
	s_add_i32 s11, s11, 8
	s_waitcnt vmcnt(1)
	ds_store_b64 v16, v[18:19]
	s_waitcnt vmcnt(0)
	ds_store_b64 v17, v[20:21]
	s_waitcnt lgkmcnt(0)
	s_barrier
	buffer_gl0_inv
	ds_load_2addr_b64 v[18:21], v14 offset1:16
	ds_load_b128 v[22:25], v15
	ds_load_b128 v[26:29], v15 offset:1024
	ds_load_b128 v[30:33], v15 offset:16
	;; [unrolled: 1-line block ×3, first 2 shown]
	s_cmp_ge_i32 s11, s9
	s_waitcnt lgkmcnt(3)
	v_fma_f64 v[10:11], v[18:19], v[22:23], v[10:11]
	v_fma_f64 v[8:9], v[20:21], v[22:23], v[8:9]
	s_waitcnt lgkmcnt(2)
	v_fma_f64 v[18:19], v[18:19], v[26:27], v[2:3]
	v_fma_f64 v[20:21], v[20:21], v[26:27], v[0:1]
	ds_load_2addr_b64 v[0:3], v14 offset0:32 offset1:48
	s_waitcnt lgkmcnt(0)
	v_fma_f64 v[10:11], v[0:1], v[24:25], v[10:11]
	v_fma_f64 v[8:9], v[2:3], v[24:25], v[8:9]
	v_fma_f64 v[18:19], v[0:1], v[28:29], v[18:19]
	v_fma_f64 v[20:21], v[2:3], v[28:29], v[20:21]
	ds_load_2addr_b64 v[0:3], v14 offset0:64 offset1:80
	s_waitcnt lgkmcnt(0)
	v_fma_f64 v[10:11], v[0:1], v[30:31], v[10:11]
	v_fma_f64 v[8:9], v[2:3], v[30:31], v[8:9]
	;; [unrolled: 6-line block ×3, first 2 shown]
	v_fma_f64 v[34:35], v[0:1], v[36:37], v[18:19]
	v_fma_f64 v[36:37], v[2:3], v[36:37], v[20:21]
	ds_load_2addr_b64 v[0:3], v14 offset0:128 offset1:144
	ds_load_b128 v[8:11], v15 offset:32
	ds_load_b128 v[18:21], v15 offset:1056
	;; [unrolled: 1-line block ×4, first 2 shown]
	s_waitcnt lgkmcnt(3)
	v_fma_f64 v[30:31], v[0:1], v[8:9], v[30:31]
	v_fma_f64 v[8:9], v[2:3], v[8:9], v[32:33]
	s_waitcnt lgkmcnt(2)
	v_fma_f64 v[32:33], v[0:1], v[18:19], v[34:35]
	v_fma_f64 v[18:19], v[2:3], v[18:19], v[36:37]
	ds_load_2addr_b64 v[0:3], v14 offset0:160 offset1:176
	s_waitcnt lgkmcnt(0)
	v_fma_f64 v[30:31], v[0:1], v[10:11], v[30:31]
	v_fma_f64 v[8:9], v[2:3], v[10:11], v[8:9]
	;; [unrolled: 1-line block ×4, first 2 shown]
	ds_load_2addr_b64 v[0:3], v14 offset0:192 offset1:208
	s_waitcnt lgkmcnt(0)
	v_fma_f64 v[30:31], v[0:1], v[22:23], v[30:31]
	v_fma_f64 v[8:9], v[2:3], v[22:23], v[8:9]
	v_fma_f64 v[0:1], v[0:1], v[26:27], v[10:11]
	v_fma_f64 v[22:23], v[2:3], v[26:27], v[18:19]
	ds_load_2addr_b64 v[18:21], v14 offset0:224 offset1:240
	s_waitcnt lgkmcnt(0)
	s_barrier
	buffer_gl0_inv
	v_fma_f64 v[10:11], v[18:19], v[24:25], v[30:31]
	v_fma_f64 v[8:9], v[20:21], v[24:25], v[8:9]
	;; [unrolled: 1-line block ×4, first 2 shown]
	s_cbranch_scc0 .LBB567_2
.LBB567_3:
	s_waitcnt lgkmcnt(0)
	s_load_b32 s6, s[0:1], 0x50
	v_add_nc_u32_e32 v13, s14, v13
	v_add_nc_u32_e32 v4, s10, v12
	s_delay_alu instid0(VALU_DEP_1) | instskip(SKIP_1) | instid1(VALU_DEP_2)
	v_cmp_le_i32_e64 s0, v13, v4
	v_cmp_gt_i32_e32 vcc_lo, s8, v4
	s_and_b32 s0, s0, vcc_lo
	s_waitcnt lgkmcnt(0)
	v_mad_i64_i32 v[5:6], null, v13, s6, 0
	s_delay_alu instid0(VALU_DEP_1) | instskip(NEXT) | instid1(VALU_DEP_1)
	v_lshlrev_b64 v[5:6], 3, v[5:6]
	v_add_co_u32 v12, s1, s2, v5
	s_delay_alu instid0(VALU_DEP_1)
	v_add_co_ci_u32_e64 v14, s1, s3, v6, s1
	s_and_saveexec_b32 s1, s0
	s_cbranch_execz .LBB567_5
; %bb.4:
	v_mul_f64 v[6:7], v[10:11], s[4:5]
	v_ashrrev_i32_e32 v5, 31, v4
	s_delay_alu instid0(VALU_DEP_1) | instskip(NEXT) | instid1(VALU_DEP_1)
	v_lshlrev_b64 v[10:11], 3, v[4:5]
	v_add_co_u32 v10, s0, v12, v10
	s_delay_alu instid0(VALU_DEP_1)
	v_add_co_ci_u32_e64 v11, s0, v14, v11, s0
	global_store_b64 v[10:11], v[6:7], off
.LBB567_5:
	s_or_b32 exec_lo, exec_lo, s1
	v_add_nc_u32_e32 v6, 16, v4
	s_delay_alu instid0(VALU_DEP_1) | instskip(SKIP_1) | instid1(VALU_DEP_1)
	v_cmp_le_i32_e64 s1, v13, v6
	v_cmp_gt_i32_e64 s0, s8, v6
	s_and_b32 s1, s1, s0
	s_delay_alu instid0(SALU_CYCLE_1)
	s_and_saveexec_b32 s7, s1
	s_cbranch_execz .LBB567_7
; %bb.6:
	v_mul_f64 v[8:9], v[8:9], s[4:5]
	v_ashrrev_i32_e32 v7, 31, v6
	s_delay_alu instid0(VALU_DEP_1) | instskip(NEXT) | instid1(VALU_DEP_1)
	v_lshlrev_b64 v[10:11], 3, v[6:7]
	v_add_co_u32 v10, s1, v12, v10
	s_delay_alu instid0(VALU_DEP_1)
	v_add_co_ci_u32_e64 v11, s1, v14, v11, s1
	global_store_b64 v[10:11], v[8:9], off
.LBB567_7:
	s_or_b32 exec_lo, exec_lo, s7
	v_add_nc_u32_e32 v7, 16, v13
	s_delay_alu instid0(VALU_DEP_1) | instskip(SKIP_1) | instid1(VALU_DEP_2)
	v_mad_i64_i32 v[8:9], null, v7, s6, 0
	v_cmp_le_i32_e64 s1, v7, v4
	v_lshlrev_b64 v[8:9], 3, v[8:9]
	s_delay_alu instid0(VALU_DEP_1) | instskip(NEXT) | instid1(VALU_DEP_1)
	v_add_co_u32 v8, s2, s2, v8
	v_add_co_ci_u32_e64 v9, s2, s3, v9, s2
	s_delay_alu instid0(VALU_DEP_4) | instskip(NEXT) | instid1(SALU_CYCLE_1)
	s_and_b32 s2, s1, vcc_lo
	s_and_saveexec_b32 s1, s2
	s_cbranch_execz .LBB567_9
; %bb.8:
	v_mul_f64 v[2:3], v[2:3], s[4:5]
	v_ashrrev_i32_e32 v5, 31, v4
	s_delay_alu instid0(VALU_DEP_1) | instskip(NEXT) | instid1(VALU_DEP_1)
	v_lshlrev_b64 v[4:5], 3, v[4:5]
	v_add_co_u32 v4, vcc_lo, v8, v4
	s_delay_alu instid0(VALU_DEP_2)
	v_add_co_ci_u32_e32 v5, vcc_lo, v9, v5, vcc_lo
	global_store_b64 v[4:5], v[2:3], off
.LBB567_9:
	s_or_b32 exec_lo, exec_lo, s1
	v_cmp_le_i32_e32 vcc_lo, v7, v6
	s_and_b32 s0, vcc_lo, s0
	s_delay_alu instid0(SALU_CYCLE_1)
	s_and_saveexec_b32 s1, s0
	s_cbranch_execz .LBB567_11
; %bb.10:
	v_mul_f64 v[0:1], v[0:1], s[4:5]
	v_ashrrev_i32_e32 v7, 31, v6
	s_delay_alu instid0(VALU_DEP_1) | instskip(NEXT) | instid1(VALU_DEP_1)
	v_lshlrev_b64 v[2:3], 3, v[6:7]
	v_add_co_u32 v2, vcc_lo, v8, v2
	s_delay_alu instid0(VALU_DEP_2)
	v_add_co_ci_u32_e32 v3, vcc_lo, v9, v3, vcc_lo
	global_store_b64 v[2:3], v[0:1], off
.LBB567_11:
	s_nop 0
	s_sendmsg sendmsg(MSG_DEALLOC_VGPRS)
	s_endpgm
	.section	.rodata,"a",@progbits
	.p2align	6, 0x0
	.amdhsa_kernel _ZL37rocblas_syrkx_herkx_restricted_kernelIidLi16ELi32ELi8ELb1ELb0ELc78ELc76EKPKdKPdEviT_T0_PT8_S5_lS8_S5_lS6_PT9_S5_li
		.amdhsa_group_segment_fixed_size 4096
		.amdhsa_private_segment_fixed_size 0
		.amdhsa_kernarg_size 100
		.amdhsa_user_sgpr_count 13
		.amdhsa_user_sgpr_dispatch_ptr 0
		.amdhsa_user_sgpr_queue_ptr 0
		.amdhsa_user_sgpr_kernarg_segment_ptr 1
		.amdhsa_user_sgpr_dispatch_id 0
		.amdhsa_user_sgpr_private_segment_size 0
		.amdhsa_wavefront_size32 1
		.amdhsa_uses_dynamic_stack 0
		.amdhsa_enable_private_segment 0
		.amdhsa_system_sgpr_workgroup_id_x 1
		.amdhsa_system_sgpr_workgroup_id_y 1
		.amdhsa_system_sgpr_workgroup_id_z 1
		.amdhsa_system_sgpr_workgroup_info 0
		.amdhsa_system_vgpr_workitem_id 1
		.amdhsa_next_free_vgpr 38
		.amdhsa_next_free_sgpr 22
		.amdhsa_reserve_vcc 1
		.amdhsa_float_round_mode_32 0
		.amdhsa_float_round_mode_16_64 0
		.amdhsa_float_denorm_mode_32 3
		.amdhsa_float_denorm_mode_16_64 3
		.amdhsa_dx10_clamp 1
		.amdhsa_ieee_mode 1
		.amdhsa_fp16_overflow 0
		.amdhsa_workgroup_processor_mode 1
		.amdhsa_memory_ordered 1
		.amdhsa_forward_progress 0
		.amdhsa_shared_vgpr_count 0
		.amdhsa_exception_fp_ieee_invalid_op 0
		.amdhsa_exception_fp_denorm_src 0
		.amdhsa_exception_fp_ieee_div_zero 0
		.amdhsa_exception_fp_ieee_overflow 0
		.amdhsa_exception_fp_ieee_underflow 0
		.amdhsa_exception_fp_ieee_inexact 0
		.amdhsa_exception_int_div_zero 0
	.end_amdhsa_kernel
	.section	.text._ZL37rocblas_syrkx_herkx_restricted_kernelIidLi16ELi32ELi8ELb1ELb0ELc78ELc76EKPKdKPdEviT_T0_PT8_S5_lS8_S5_lS6_PT9_S5_li,"axG",@progbits,_ZL37rocblas_syrkx_herkx_restricted_kernelIidLi16ELi32ELi8ELb1ELb0ELc78ELc76EKPKdKPdEviT_T0_PT8_S5_lS8_S5_lS6_PT9_S5_li,comdat
.Lfunc_end567:
	.size	_ZL37rocblas_syrkx_herkx_restricted_kernelIidLi16ELi32ELi8ELb1ELb0ELc78ELc76EKPKdKPdEviT_T0_PT8_S5_lS8_S5_lS6_PT9_S5_li, .Lfunc_end567-_ZL37rocblas_syrkx_herkx_restricted_kernelIidLi16ELi32ELi8ELb1ELb0ELc78ELc76EKPKdKPdEviT_T0_PT8_S5_lS8_S5_lS6_PT9_S5_li
                                        ; -- End function
	.section	.AMDGPU.csdata,"",@progbits
; Kernel info:
; codeLenInByte = 1376
; NumSgprs: 24
; NumVgprs: 38
; ScratchSize: 0
; MemoryBound: 0
; FloatMode: 240
; IeeeMode: 1
; LDSByteSize: 4096 bytes/workgroup (compile time only)
; SGPRBlocks: 2
; VGPRBlocks: 4
; NumSGPRsForWavesPerEU: 24
; NumVGPRsForWavesPerEU: 38
; Occupancy: 16
; WaveLimiterHint : 1
; COMPUTE_PGM_RSRC2:SCRATCH_EN: 0
; COMPUTE_PGM_RSRC2:USER_SGPR: 13
; COMPUTE_PGM_RSRC2:TRAP_HANDLER: 0
; COMPUTE_PGM_RSRC2:TGID_X_EN: 1
; COMPUTE_PGM_RSRC2:TGID_Y_EN: 1
; COMPUTE_PGM_RSRC2:TGID_Z_EN: 1
; COMPUTE_PGM_RSRC2:TIDIG_COMP_CNT: 1
	.section	.text._ZL37rocblas_syrkx_herkx_restricted_kernelIidLi16ELi32ELi8ELb1ELb0ELc84ELc85EKPKdKPdEviT_T0_PT8_S5_lS8_S5_lS6_PT9_S5_li,"axG",@progbits,_ZL37rocblas_syrkx_herkx_restricted_kernelIidLi16ELi32ELi8ELb1ELb0ELc84ELc85EKPKdKPdEviT_T0_PT8_S5_lS8_S5_lS6_PT9_S5_li,comdat
	.globl	_ZL37rocblas_syrkx_herkx_restricted_kernelIidLi16ELi32ELi8ELb1ELb0ELc84ELc85EKPKdKPdEviT_T0_PT8_S5_lS8_S5_lS6_PT9_S5_li ; -- Begin function _ZL37rocblas_syrkx_herkx_restricted_kernelIidLi16ELi32ELi8ELb1ELb0ELc84ELc85EKPKdKPdEviT_T0_PT8_S5_lS8_S5_lS6_PT9_S5_li
	.p2align	8
	.type	_ZL37rocblas_syrkx_herkx_restricted_kernelIidLi16ELi32ELi8ELb1ELb0ELc84ELc85EKPKdKPdEviT_T0_PT8_S5_lS8_S5_lS6_PT9_S5_li,@function
_ZL37rocblas_syrkx_herkx_restricted_kernelIidLi16ELi32ELi8ELb1ELb0ELc84ELc85EKPKdKPdEviT_T0_PT8_S5_lS8_S5_lS6_PT9_S5_li: ; @_ZL37rocblas_syrkx_herkx_restricted_kernelIidLi16ELi32ELi8ELb1ELb0ELc84ELc85EKPKdKPdEviT_T0_PT8_S5_lS8_S5_lS6_PT9_S5_li
; %bb.0:
	s_clause 0x1
	s_load_b64 s[4:5], s[0:1], 0x48
	s_load_b64 s[2:3], s[0:1], 0x0
	s_mov_b32 s10, s15
	s_mov_b32 s11, 0
	v_mov_b32_e32 v10, 0
	s_lshl_b64 s[16:17], s[10:11], 3
	v_dual_mov_b32 v11, 0 :: v_dual_and_b32 v12, 0x3ff, v0
	v_bfe_u32 v13, v0, 10, 10
	s_delay_alu instid0(VALU_DEP_3) | instskip(NEXT) | instid1(VALU_DEP_3)
	v_mov_b32_e32 v8, v10
	v_dual_mov_b32 v2, v10 :: v_dual_mov_b32 v3, v11
	v_dual_mov_b32 v9, v11 :: v_dual_mov_b32 v0, v10
	v_mov_b32_e32 v1, v11
	s_waitcnt lgkmcnt(0)
	s_add_u32 s8, s4, s16
	s_addc_u32 s9, s5, s17
	s_load_b128 s[4:7], s[0:1], 0x8
	s_load_b64 s[8:9], s[8:9], 0x0
	s_lshl_b32 s10, s13, 5
	s_lshl_b32 s12, s14, 5
	s_cmp_lt_i32 s3, 1
	s_cbranch_scc1 .LBB568_3
; %bb.1:
	s_clause 0x2
	s_load_b64 s[14:15], s[0:1], 0x28
	s_load_b32 s13, s[0:1], 0x18
	s_load_b32 s18, s[0:1], 0x30
	v_lshl_add_u32 v4, v13, 4, v12
	v_dual_mov_b32 v3, 0 :: v_dual_and_b32 v2, 7, v12
	v_mov_b32_e32 v0, 0
	v_dual_mov_b32 v1, 0 :: v_dual_lshlrev_b32 v14, 3, v12
	s_delay_alu instid0(VALU_DEP_4)
	v_and_b32_e32 v8, 31, v4
	s_waitcnt lgkmcnt(0)
	s_add_u32 s6, s6, s16
	s_addc_u32 s7, s7, s17
	v_lshrrev_b32_e32 v9, 3, v4
	s_load_b64 s[6:7], s[6:7], 0x0
	v_lshrrev_b32_e32 v4, 5, v4
	v_dual_mov_b32 v5, v3 :: v_dual_add_nc_u32 v10, s10, v8
	s_delay_alu instid0(VALU_DEP_3)
	v_add_nc_u32_e32 v16, s12, v9
	v_lshl_add_u32 v15, v13, 6, 0x800
	s_add_u32 s14, s14, s16
	s_addc_u32 s15, s15, s17
	v_mad_i64_i32 v[6:7], null, s13, v10, v[4:5]
	s_load_b64 s[14:15], s[14:15], 0x0
	v_lshlrev_b32_e32 v5, 3, v2
	v_mad_i64_i32 v[10:11], null, s18, v16, v[2:3]
	v_dual_mov_b32 v3, v1 :: v_dual_mov_b32 v2, v0
	s_delay_alu instid0(VALU_DEP_3) | instskip(SKIP_3) | instid1(VALU_DEP_4)
	v_lshl_or_b32 v17, v9, 6, v5
	v_lshlrev_b64 v[5:6], 3, v[6:7]
	v_dual_mov_b32 v9, v1 :: v_dual_lshlrev_b32 v16, 3, v8
	v_lshlrev_b64 v[10:11], 3, v[10:11]
	v_dual_mov_b32 v8, v0 :: v_dual_add_nc_u32 v17, 0x800, v17
	s_delay_alu instid0(VALU_DEP_3)
	v_lshl_or_b32 v16, v4, 8, v16
	s_waitcnt lgkmcnt(0)
	v_add_co_u32 v4, vcc_lo, s6, v5
	v_add_co_ci_u32_e32 v5, vcc_lo, s7, v6, vcc_lo
	v_add_co_u32 v6, vcc_lo, s14, v10
	v_add_co_ci_u32_e32 v7, vcc_lo, s15, v11, vcc_lo
	v_dual_mov_b32 v11, v1 :: v_dual_mov_b32 v10, v0
.LBB568_2:                              ; =>This Inner Loop Header: Depth=1
	global_load_b64 v[18:19], v[4:5], off
	global_load_b64 v[20:21], v[6:7], off
	v_add_co_u32 v6, vcc_lo, v6, 64
	v_add_co_ci_u32_e32 v7, vcc_lo, 0, v7, vcc_lo
	v_add_co_u32 v4, vcc_lo, v4, 64
	v_add_co_ci_u32_e32 v5, vcc_lo, 0, v5, vcc_lo
	s_add_i32 s11, s11, 8
	s_waitcnt vmcnt(1)
	ds_store_b64 v16, v[18:19]
	s_waitcnt vmcnt(0)
	ds_store_b64 v17, v[20:21]
	s_waitcnt lgkmcnt(0)
	s_barrier
	buffer_gl0_inv
	ds_load_2addr_b64 v[18:21], v14 offset1:16
	ds_load_b128 v[22:25], v15
	ds_load_b128 v[26:29], v15 offset:1024
	ds_load_b128 v[30:33], v15 offset:16
	;; [unrolled: 1-line block ×3, first 2 shown]
	s_cmp_ge_i32 s11, s3
	s_waitcnt lgkmcnt(3)
	v_fma_f64 v[10:11], v[18:19], v[22:23], v[10:11]
	v_fma_f64 v[8:9], v[20:21], v[22:23], v[8:9]
	s_waitcnt lgkmcnt(2)
	v_fma_f64 v[18:19], v[18:19], v[26:27], v[2:3]
	v_fma_f64 v[20:21], v[20:21], v[26:27], v[0:1]
	ds_load_2addr_b64 v[0:3], v14 offset0:32 offset1:48
	s_waitcnt lgkmcnt(0)
	v_fma_f64 v[10:11], v[0:1], v[24:25], v[10:11]
	v_fma_f64 v[8:9], v[2:3], v[24:25], v[8:9]
	v_fma_f64 v[18:19], v[0:1], v[28:29], v[18:19]
	v_fma_f64 v[20:21], v[2:3], v[28:29], v[20:21]
	ds_load_2addr_b64 v[0:3], v14 offset0:64 offset1:80
	s_waitcnt lgkmcnt(0)
	v_fma_f64 v[10:11], v[0:1], v[30:31], v[10:11]
	v_fma_f64 v[8:9], v[2:3], v[30:31], v[8:9]
	;; [unrolled: 6-line block ×3, first 2 shown]
	v_fma_f64 v[34:35], v[0:1], v[36:37], v[18:19]
	v_fma_f64 v[36:37], v[2:3], v[36:37], v[20:21]
	ds_load_2addr_b64 v[0:3], v14 offset0:128 offset1:144
	ds_load_b128 v[8:11], v15 offset:32
	ds_load_b128 v[18:21], v15 offset:1056
	;; [unrolled: 1-line block ×4, first 2 shown]
	s_waitcnt lgkmcnt(3)
	v_fma_f64 v[30:31], v[0:1], v[8:9], v[30:31]
	v_fma_f64 v[8:9], v[2:3], v[8:9], v[32:33]
	s_waitcnt lgkmcnt(2)
	v_fma_f64 v[32:33], v[0:1], v[18:19], v[34:35]
	v_fma_f64 v[18:19], v[2:3], v[18:19], v[36:37]
	ds_load_2addr_b64 v[0:3], v14 offset0:160 offset1:176
	s_waitcnt lgkmcnt(0)
	v_fma_f64 v[30:31], v[0:1], v[10:11], v[30:31]
	v_fma_f64 v[8:9], v[2:3], v[10:11], v[8:9]
	;; [unrolled: 1-line block ×4, first 2 shown]
	ds_load_2addr_b64 v[0:3], v14 offset0:192 offset1:208
	s_waitcnt lgkmcnt(0)
	v_fma_f64 v[30:31], v[0:1], v[22:23], v[30:31]
	v_fma_f64 v[8:9], v[2:3], v[22:23], v[8:9]
	;; [unrolled: 1-line block ×4, first 2 shown]
	ds_load_2addr_b64 v[18:21], v14 offset0:224 offset1:240
	s_waitcnt lgkmcnt(0)
	s_barrier
	buffer_gl0_inv
	v_fma_f64 v[10:11], v[18:19], v[24:25], v[30:31]
	v_fma_f64 v[8:9], v[20:21], v[24:25], v[8:9]
	;; [unrolled: 1-line block ×4, first 2 shown]
	s_cbranch_scc0 .LBB568_2
.LBB568_3:
	s_load_b32 s3, s[0:1], 0x50
	v_add_nc_u32_e32 v13, s12, v13
	v_add_nc_u32_e32 v4, s10, v12
	s_delay_alu instid0(VALU_DEP_2) | instskip(NEXT) | instid1(VALU_DEP_2)
	v_cmp_gt_i32_e32 vcc_lo, s2, v13
	v_cmp_le_i32_e64 s0, v4, v13
	s_delay_alu instid0(VALU_DEP_1) | instskip(SKIP_2) | instid1(VALU_DEP_1)
	s_and_b32 s0, vcc_lo, s0
	s_waitcnt lgkmcnt(0)
	v_mad_i64_i32 v[5:6], null, v13, s3, 0
	v_lshlrev_b64 v[5:6], 3, v[5:6]
	s_delay_alu instid0(VALU_DEP_1) | instskip(NEXT) | instid1(VALU_DEP_1)
	v_add_co_u32 v12, s1, s8, v5
	v_add_co_ci_u32_e64 v14, s1, s9, v6, s1
	s_and_saveexec_b32 s1, s0
	s_cbranch_execz .LBB568_5
; %bb.4:
	v_mul_f64 v[6:7], v[10:11], s[4:5]
	v_ashrrev_i32_e32 v5, 31, v4
	s_delay_alu instid0(VALU_DEP_1) | instskip(NEXT) | instid1(VALU_DEP_1)
	v_lshlrev_b64 v[10:11], 3, v[4:5]
	v_add_co_u32 v10, s0, v12, v10
	s_delay_alu instid0(VALU_DEP_1)
	v_add_co_ci_u32_e64 v11, s0, v14, v11, s0
	global_store_b64 v[10:11], v[6:7], off
.LBB568_5:
	s_or_b32 exec_lo, exec_lo, s1
	v_add_nc_u32_e32 v6, 16, v4
	s_delay_alu instid0(VALU_DEP_1) | instskip(NEXT) | instid1(VALU_DEP_1)
	v_cmp_le_i32_e64 s0, v6, v13
	s_and_b32 s1, vcc_lo, s0
	s_delay_alu instid0(SALU_CYCLE_1)
	s_and_saveexec_b32 s0, s1
	s_cbranch_execz .LBB568_7
; %bb.6:
	v_mul_f64 v[8:9], v[8:9], s[4:5]
	v_ashrrev_i32_e32 v7, 31, v6
	s_delay_alu instid0(VALU_DEP_1) | instskip(NEXT) | instid1(VALU_DEP_1)
	v_lshlrev_b64 v[10:11], 3, v[6:7]
	v_add_co_u32 v10, vcc_lo, v12, v10
	s_delay_alu instid0(VALU_DEP_2)
	v_add_co_ci_u32_e32 v11, vcc_lo, v14, v11, vcc_lo
	global_store_b64 v[10:11], v[8:9], off
.LBB568_7:
	s_or_b32 exec_lo, exec_lo, s0
	v_add_nc_u32_e32 v7, 16, v13
	s_delay_alu instid0(VALU_DEP_1) | instskip(SKIP_2) | instid1(VALU_DEP_1)
	v_mad_i64_i32 v[8:9], null, v7, s3, 0
	v_cmp_gt_i32_e32 vcc_lo, s2, v7
	v_cmp_le_i32_e64 s0, v4, v7
	s_and_b32 s0, vcc_lo, s0
	s_delay_alu instid0(VALU_DEP_3) | instskip(NEXT) | instid1(VALU_DEP_1)
	v_lshlrev_b64 v[8:9], 3, v[8:9]
	v_add_co_u32 v8, s1, s8, v8
	s_delay_alu instid0(VALU_DEP_1)
	v_add_co_ci_u32_e64 v9, s1, s9, v9, s1
	s_and_saveexec_b32 s1, s0
	s_cbranch_execz .LBB568_9
; %bb.8:
	v_mul_f64 v[2:3], v[2:3], s[4:5]
	v_ashrrev_i32_e32 v5, 31, v4
	s_delay_alu instid0(VALU_DEP_1) | instskip(NEXT) | instid1(VALU_DEP_1)
	v_lshlrev_b64 v[4:5], 3, v[4:5]
	v_add_co_u32 v4, s0, v8, v4
	s_delay_alu instid0(VALU_DEP_1)
	v_add_co_ci_u32_e64 v5, s0, v9, v5, s0
	global_store_b64 v[4:5], v[2:3], off
.LBB568_9:
	s_or_b32 exec_lo, exec_lo, s1
	v_cmp_le_i32_e64 s0, v6, v7
	s_delay_alu instid0(VALU_DEP_1) | instskip(NEXT) | instid1(SALU_CYCLE_1)
	s_and_b32 s0, vcc_lo, s0
	s_and_saveexec_b32 s1, s0
	s_cbranch_execz .LBB568_11
; %bb.10:
	v_mul_f64 v[0:1], v[0:1], s[4:5]
	v_ashrrev_i32_e32 v7, 31, v6
	s_delay_alu instid0(VALU_DEP_1) | instskip(NEXT) | instid1(VALU_DEP_1)
	v_lshlrev_b64 v[2:3], 3, v[6:7]
	v_add_co_u32 v2, vcc_lo, v8, v2
	s_delay_alu instid0(VALU_DEP_2)
	v_add_co_ci_u32_e32 v3, vcc_lo, v9, v3, vcc_lo
	global_store_b64 v[2:3], v[0:1], off
.LBB568_11:
	s_nop 0
	s_sendmsg sendmsg(MSG_DEALLOC_VGPRS)
	s_endpgm
	.section	.rodata,"a",@progbits
	.p2align	6, 0x0
	.amdhsa_kernel _ZL37rocblas_syrkx_herkx_restricted_kernelIidLi16ELi32ELi8ELb1ELb0ELc84ELc85EKPKdKPdEviT_T0_PT8_S5_lS8_S5_lS6_PT9_S5_li
		.amdhsa_group_segment_fixed_size 4096
		.amdhsa_private_segment_fixed_size 0
		.amdhsa_kernarg_size 100
		.amdhsa_user_sgpr_count 13
		.amdhsa_user_sgpr_dispatch_ptr 0
		.amdhsa_user_sgpr_queue_ptr 0
		.amdhsa_user_sgpr_kernarg_segment_ptr 1
		.amdhsa_user_sgpr_dispatch_id 0
		.amdhsa_user_sgpr_private_segment_size 0
		.amdhsa_wavefront_size32 1
		.amdhsa_uses_dynamic_stack 0
		.amdhsa_enable_private_segment 0
		.amdhsa_system_sgpr_workgroup_id_x 1
		.amdhsa_system_sgpr_workgroup_id_y 1
		.amdhsa_system_sgpr_workgroup_id_z 1
		.amdhsa_system_sgpr_workgroup_info 0
		.amdhsa_system_vgpr_workitem_id 1
		.amdhsa_next_free_vgpr 38
		.amdhsa_next_free_sgpr 19
		.amdhsa_reserve_vcc 1
		.amdhsa_float_round_mode_32 0
		.amdhsa_float_round_mode_16_64 0
		.amdhsa_float_denorm_mode_32 3
		.amdhsa_float_denorm_mode_16_64 3
		.amdhsa_dx10_clamp 1
		.amdhsa_ieee_mode 1
		.amdhsa_fp16_overflow 0
		.amdhsa_workgroup_processor_mode 1
		.amdhsa_memory_ordered 1
		.amdhsa_forward_progress 0
		.amdhsa_shared_vgpr_count 0
		.amdhsa_exception_fp_ieee_invalid_op 0
		.amdhsa_exception_fp_denorm_src 0
		.amdhsa_exception_fp_ieee_div_zero 0
		.amdhsa_exception_fp_ieee_overflow 0
		.amdhsa_exception_fp_ieee_underflow 0
		.amdhsa_exception_fp_ieee_inexact 0
		.amdhsa_exception_int_div_zero 0
	.end_amdhsa_kernel
	.section	.text._ZL37rocblas_syrkx_herkx_restricted_kernelIidLi16ELi32ELi8ELb1ELb0ELc84ELc85EKPKdKPdEviT_T0_PT8_S5_lS8_S5_lS6_PT9_S5_li,"axG",@progbits,_ZL37rocblas_syrkx_herkx_restricted_kernelIidLi16ELi32ELi8ELb1ELb0ELc84ELc85EKPKdKPdEviT_T0_PT8_S5_lS8_S5_lS6_PT9_S5_li,comdat
.Lfunc_end568:
	.size	_ZL37rocblas_syrkx_herkx_restricted_kernelIidLi16ELi32ELi8ELb1ELb0ELc84ELc85EKPKdKPdEviT_T0_PT8_S5_lS8_S5_lS6_PT9_S5_li, .Lfunc_end568-_ZL37rocblas_syrkx_herkx_restricted_kernelIidLi16ELi32ELi8ELb1ELb0ELc84ELc85EKPKdKPdEviT_T0_PT8_S5_lS8_S5_lS6_PT9_S5_li
                                        ; -- End function
	.section	.AMDGPU.csdata,"",@progbits
; Kernel info:
; codeLenInByte = 1356
; NumSgprs: 21
; NumVgprs: 38
; ScratchSize: 0
; MemoryBound: 0
; FloatMode: 240
; IeeeMode: 1
; LDSByteSize: 4096 bytes/workgroup (compile time only)
; SGPRBlocks: 2
; VGPRBlocks: 4
; NumSGPRsForWavesPerEU: 21
; NumVGPRsForWavesPerEU: 38
; Occupancy: 16
; WaveLimiterHint : 1
; COMPUTE_PGM_RSRC2:SCRATCH_EN: 0
; COMPUTE_PGM_RSRC2:USER_SGPR: 13
; COMPUTE_PGM_RSRC2:TRAP_HANDLER: 0
; COMPUTE_PGM_RSRC2:TGID_X_EN: 1
; COMPUTE_PGM_RSRC2:TGID_Y_EN: 1
; COMPUTE_PGM_RSRC2:TGID_Z_EN: 1
; COMPUTE_PGM_RSRC2:TIDIG_COMP_CNT: 1
	.section	.text._ZL37rocblas_syrkx_herkx_restricted_kernelIidLi16ELi32ELi8ELb1ELb0ELc67ELc85EKPKdKPdEviT_T0_PT8_S5_lS8_S5_lS6_PT9_S5_li,"axG",@progbits,_ZL37rocblas_syrkx_herkx_restricted_kernelIidLi16ELi32ELi8ELb1ELb0ELc67ELc85EKPKdKPdEviT_T0_PT8_S5_lS8_S5_lS6_PT9_S5_li,comdat
	.globl	_ZL37rocblas_syrkx_herkx_restricted_kernelIidLi16ELi32ELi8ELb1ELb0ELc67ELc85EKPKdKPdEviT_T0_PT8_S5_lS8_S5_lS6_PT9_S5_li ; -- Begin function _ZL37rocblas_syrkx_herkx_restricted_kernelIidLi16ELi32ELi8ELb1ELb0ELc67ELc85EKPKdKPdEviT_T0_PT8_S5_lS8_S5_lS6_PT9_S5_li
	.p2align	8
	.type	_ZL37rocblas_syrkx_herkx_restricted_kernelIidLi16ELi32ELi8ELb1ELb0ELc67ELc85EKPKdKPdEviT_T0_PT8_S5_lS8_S5_lS6_PT9_S5_li,@function
_ZL37rocblas_syrkx_herkx_restricted_kernelIidLi16ELi32ELi8ELb1ELb0ELc67ELc85EKPKdKPdEviT_T0_PT8_S5_lS8_S5_lS6_PT9_S5_li: ; @_ZL37rocblas_syrkx_herkx_restricted_kernelIidLi16ELi32ELi8ELb1ELb0ELc67ELc85EKPKdKPdEviT_T0_PT8_S5_lS8_S5_lS6_PT9_S5_li
; %bb.0:
	s_clause 0x1
	s_load_b64 s[4:5], s[0:1], 0x48
	s_load_b64 s[2:3], s[0:1], 0x0
	s_mov_b32 s10, s15
	s_mov_b32 s11, 0
	v_mov_b32_e32 v10, 0
	s_lshl_b64 s[16:17], s[10:11], 3
	v_dual_mov_b32 v11, 0 :: v_dual_and_b32 v12, 0x3ff, v0
	v_bfe_u32 v13, v0, 10, 10
	s_delay_alu instid0(VALU_DEP_3) | instskip(NEXT) | instid1(VALU_DEP_3)
	v_mov_b32_e32 v8, v10
	v_dual_mov_b32 v2, v10 :: v_dual_mov_b32 v3, v11
	v_dual_mov_b32 v9, v11 :: v_dual_mov_b32 v0, v10
	v_mov_b32_e32 v1, v11
	s_waitcnt lgkmcnt(0)
	s_add_u32 s8, s4, s16
	s_addc_u32 s9, s5, s17
	s_load_b128 s[4:7], s[0:1], 0x8
	s_load_b64 s[8:9], s[8:9], 0x0
	s_lshl_b32 s10, s13, 5
	s_lshl_b32 s12, s14, 5
	s_cmp_lt_i32 s3, 1
	s_cbranch_scc1 .LBB569_3
; %bb.1:
	s_clause 0x2
	s_load_b64 s[14:15], s[0:1], 0x28
	s_load_b32 s13, s[0:1], 0x18
	s_load_b32 s18, s[0:1], 0x30
	v_lshl_add_u32 v4, v13, 4, v12
	v_dual_mov_b32 v3, 0 :: v_dual_and_b32 v2, 7, v12
	v_mov_b32_e32 v0, 0
	v_dual_mov_b32 v1, 0 :: v_dual_lshlrev_b32 v14, 3, v12
	s_delay_alu instid0(VALU_DEP_4)
	v_and_b32_e32 v8, 31, v4
	s_waitcnt lgkmcnt(0)
	s_add_u32 s6, s6, s16
	s_addc_u32 s7, s7, s17
	v_lshrrev_b32_e32 v9, 3, v4
	s_load_b64 s[6:7], s[6:7], 0x0
	v_lshrrev_b32_e32 v4, 5, v4
	v_dual_mov_b32 v5, v3 :: v_dual_add_nc_u32 v10, s10, v8
	s_delay_alu instid0(VALU_DEP_3)
	v_add_nc_u32_e32 v16, s12, v9
	v_lshl_add_u32 v15, v13, 6, 0x800
	s_add_u32 s14, s14, s16
	s_addc_u32 s15, s15, s17
	v_mad_i64_i32 v[6:7], null, s13, v10, v[4:5]
	s_load_b64 s[14:15], s[14:15], 0x0
	v_lshlrev_b32_e32 v5, 3, v2
	v_mad_i64_i32 v[10:11], null, s18, v16, v[2:3]
	v_dual_mov_b32 v3, v1 :: v_dual_mov_b32 v2, v0
	s_delay_alu instid0(VALU_DEP_3) | instskip(SKIP_3) | instid1(VALU_DEP_4)
	v_lshl_or_b32 v17, v9, 6, v5
	v_lshlrev_b64 v[5:6], 3, v[6:7]
	v_dual_mov_b32 v9, v1 :: v_dual_lshlrev_b32 v16, 3, v8
	v_lshlrev_b64 v[10:11], 3, v[10:11]
	v_dual_mov_b32 v8, v0 :: v_dual_add_nc_u32 v17, 0x800, v17
	s_delay_alu instid0(VALU_DEP_3)
	v_lshl_or_b32 v16, v4, 8, v16
	s_waitcnt lgkmcnt(0)
	v_add_co_u32 v4, vcc_lo, s6, v5
	v_add_co_ci_u32_e32 v5, vcc_lo, s7, v6, vcc_lo
	v_add_co_u32 v6, vcc_lo, s14, v10
	v_add_co_ci_u32_e32 v7, vcc_lo, s15, v11, vcc_lo
	v_dual_mov_b32 v11, v1 :: v_dual_mov_b32 v10, v0
.LBB569_2:                              ; =>This Inner Loop Header: Depth=1
	global_load_b64 v[18:19], v[4:5], off
	global_load_b64 v[20:21], v[6:7], off
	v_add_co_u32 v6, vcc_lo, v6, 64
	v_add_co_ci_u32_e32 v7, vcc_lo, 0, v7, vcc_lo
	v_add_co_u32 v4, vcc_lo, v4, 64
	v_add_co_ci_u32_e32 v5, vcc_lo, 0, v5, vcc_lo
	s_add_i32 s11, s11, 8
	s_waitcnt vmcnt(1)
	ds_store_b64 v16, v[18:19]
	s_waitcnt vmcnt(0)
	ds_store_b64 v17, v[20:21]
	s_waitcnt lgkmcnt(0)
	s_barrier
	buffer_gl0_inv
	ds_load_2addr_b64 v[18:21], v14 offset1:16
	ds_load_b128 v[22:25], v15
	ds_load_b128 v[26:29], v15 offset:1024
	ds_load_b128 v[30:33], v15 offset:16
	;; [unrolled: 1-line block ×3, first 2 shown]
	s_cmp_ge_i32 s11, s3
	s_waitcnt lgkmcnt(3)
	v_fma_f64 v[10:11], v[18:19], v[22:23], v[10:11]
	v_fma_f64 v[8:9], v[20:21], v[22:23], v[8:9]
	s_waitcnt lgkmcnt(2)
	v_fma_f64 v[18:19], v[18:19], v[26:27], v[2:3]
	v_fma_f64 v[20:21], v[20:21], v[26:27], v[0:1]
	ds_load_2addr_b64 v[0:3], v14 offset0:32 offset1:48
	s_waitcnt lgkmcnt(0)
	v_fma_f64 v[10:11], v[0:1], v[24:25], v[10:11]
	v_fma_f64 v[8:9], v[2:3], v[24:25], v[8:9]
	v_fma_f64 v[18:19], v[0:1], v[28:29], v[18:19]
	v_fma_f64 v[20:21], v[2:3], v[28:29], v[20:21]
	ds_load_2addr_b64 v[0:3], v14 offset0:64 offset1:80
	s_waitcnt lgkmcnt(0)
	v_fma_f64 v[10:11], v[0:1], v[30:31], v[10:11]
	v_fma_f64 v[8:9], v[2:3], v[30:31], v[8:9]
	;; [unrolled: 6-line block ×3, first 2 shown]
	v_fma_f64 v[34:35], v[0:1], v[36:37], v[18:19]
	v_fma_f64 v[36:37], v[2:3], v[36:37], v[20:21]
	ds_load_2addr_b64 v[0:3], v14 offset0:128 offset1:144
	ds_load_b128 v[8:11], v15 offset:32
	ds_load_b128 v[18:21], v15 offset:1056
	;; [unrolled: 1-line block ×4, first 2 shown]
	s_waitcnt lgkmcnt(3)
	v_fma_f64 v[30:31], v[0:1], v[8:9], v[30:31]
	v_fma_f64 v[8:9], v[2:3], v[8:9], v[32:33]
	s_waitcnt lgkmcnt(2)
	v_fma_f64 v[32:33], v[0:1], v[18:19], v[34:35]
	v_fma_f64 v[18:19], v[2:3], v[18:19], v[36:37]
	ds_load_2addr_b64 v[0:3], v14 offset0:160 offset1:176
	s_waitcnt lgkmcnt(0)
	v_fma_f64 v[30:31], v[0:1], v[10:11], v[30:31]
	v_fma_f64 v[8:9], v[2:3], v[10:11], v[8:9]
	;; [unrolled: 1-line block ×4, first 2 shown]
	ds_load_2addr_b64 v[0:3], v14 offset0:192 offset1:208
	s_waitcnt lgkmcnt(0)
	v_fma_f64 v[30:31], v[0:1], v[22:23], v[30:31]
	v_fma_f64 v[8:9], v[2:3], v[22:23], v[8:9]
	v_fma_f64 v[0:1], v[0:1], v[26:27], v[10:11]
	v_fma_f64 v[22:23], v[2:3], v[26:27], v[18:19]
	ds_load_2addr_b64 v[18:21], v14 offset0:224 offset1:240
	s_waitcnt lgkmcnt(0)
	s_barrier
	buffer_gl0_inv
	v_fma_f64 v[10:11], v[18:19], v[24:25], v[30:31]
	v_fma_f64 v[8:9], v[20:21], v[24:25], v[8:9]
	;; [unrolled: 1-line block ×4, first 2 shown]
	s_cbranch_scc0 .LBB569_2
.LBB569_3:
	s_load_b32 s3, s[0:1], 0x50
	v_add_nc_u32_e32 v13, s12, v13
	v_add_nc_u32_e32 v4, s10, v12
	s_delay_alu instid0(VALU_DEP_2) | instskip(NEXT) | instid1(VALU_DEP_2)
	v_cmp_gt_i32_e32 vcc_lo, s2, v13
	v_cmp_le_i32_e64 s0, v4, v13
	s_delay_alu instid0(VALU_DEP_1) | instskip(SKIP_2) | instid1(VALU_DEP_1)
	s_and_b32 s0, vcc_lo, s0
	s_waitcnt lgkmcnt(0)
	v_mad_i64_i32 v[5:6], null, v13, s3, 0
	v_lshlrev_b64 v[5:6], 3, v[5:6]
	s_delay_alu instid0(VALU_DEP_1) | instskip(NEXT) | instid1(VALU_DEP_1)
	v_add_co_u32 v12, s1, s8, v5
	v_add_co_ci_u32_e64 v14, s1, s9, v6, s1
	s_and_saveexec_b32 s1, s0
	s_cbranch_execz .LBB569_5
; %bb.4:
	v_mul_f64 v[6:7], v[10:11], s[4:5]
	v_ashrrev_i32_e32 v5, 31, v4
	s_delay_alu instid0(VALU_DEP_1) | instskip(NEXT) | instid1(VALU_DEP_1)
	v_lshlrev_b64 v[10:11], 3, v[4:5]
	v_add_co_u32 v10, s0, v12, v10
	s_delay_alu instid0(VALU_DEP_1)
	v_add_co_ci_u32_e64 v11, s0, v14, v11, s0
	global_store_b64 v[10:11], v[6:7], off
.LBB569_5:
	s_or_b32 exec_lo, exec_lo, s1
	v_add_nc_u32_e32 v6, 16, v4
	s_delay_alu instid0(VALU_DEP_1) | instskip(NEXT) | instid1(VALU_DEP_1)
	v_cmp_le_i32_e64 s0, v6, v13
	s_and_b32 s1, vcc_lo, s0
	s_delay_alu instid0(SALU_CYCLE_1)
	s_and_saveexec_b32 s0, s1
	s_cbranch_execz .LBB569_7
; %bb.6:
	v_mul_f64 v[8:9], v[8:9], s[4:5]
	v_ashrrev_i32_e32 v7, 31, v6
	s_delay_alu instid0(VALU_DEP_1) | instskip(NEXT) | instid1(VALU_DEP_1)
	v_lshlrev_b64 v[10:11], 3, v[6:7]
	v_add_co_u32 v10, vcc_lo, v12, v10
	s_delay_alu instid0(VALU_DEP_2)
	v_add_co_ci_u32_e32 v11, vcc_lo, v14, v11, vcc_lo
	global_store_b64 v[10:11], v[8:9], off
.LBB569_7:
	s_or_b32 exec_lo, exec_lo, s0
	v_add_nc_u32_e32 v7, 16, v13
	s_delay_alu instid0(VALU_DEP_1) | instskip(SKIP_2) | instid1(VALU_DEP_1)
	v_mad_i64_i32 v[8:9], null, v7, s3, 0
	v_cmp_gt_i32_e32 vcc_lo, s2, v7
	v_cmp_le_i32_e64 s0, v4, v7
	s_and_b32 s0, vcc_lo, s0
	s_delay_alu instid0(VALU_DEP_3) | instskip(NEXT) | instid1(VALU_DEP_1)
	v_lshlrev_b64 v[8:9], 3, v[8:9]
	v_add_co_u32 v8, s1, s8, v8
	s_delay_alu instid0(VALU_DEP_1)
	v_add_co_ci_u32_e64 v9, s1, s9, v9, s1
	s_and_saveexec_b32 s1, s0
	s_cbranch_execz .LBB569_9
; %bb.8:
	v_mul_f64 v[2:3], v[2:3], s[4:5]
	v_ashrrev_i32_e32 v5, 31, v4
	s_delay_alu instid0(VALU_DEP_1) | instskip(NEXT) | instid1(VALU_DEP_1)
	v_lshlrev_b64 v[4:5], 3, v[4:5]
	v_add_co_u32 v4, s0, v8, v4
	s_delay_alu instid0(VALU_DEP_1)
	v_add_co_ci_u32_e64 v5, s0, v9, v5, s0
	global_store_b64 v[4:5], v[2:3], off
.LBB569_9:
	s_or_b32 exec_lo, exec_lo, s1
	v_cmp_le_i32_e64 s0, v6, v7
	s_delay_alu instid0(VALU_DEP_1) | instskip(NEXT) | instid1(SALU_CYCLE_1)
	s_and_b32 s0, vcc_lo, s0
	s_and_saveexec_b32 s1, s0
	s_cbranch_execz .LBB569_11
; %bb.10:
	v_mul_f64 v[0:1], v[0:1], s[4:5]
	v_ashrrev_i32_e32 v7, 31, v6
	s_delay_alu instid0(VALU_DEP_1) | instskip(NEXT) | instid1(VALU_DEP_1)
	v_lshlrev_b64 v[2:3], 3, v[6:7]
	v_add_co_u32 v2, vcc_lo, v8, v2
	s_delay_alu instid0(VALU_DEP_2)
	v_add_co_ci_u32_e32 v3, vcc_lo, v9, v3, vcc_lo
	global_store_b64 v[2:3], v[0:1], off
.LBB569_11:
	s_nop 0
	s_sendmsg sendmsg(MSG_DEALLOC_VGPRS)
	s_endpgm
	.section	.rodata,"a",@progbits
	.p2align	6, 0x0
	.amdhsa_kernel _ZL37rocblas_syrkx_herkx_restricted_kernelIidLi16ELi32ELi8ELb1ELb0ELc67ELc85EKPKdKPdEviT_T0_PT8_S5_lS8_S5_lS6_PT9_S5_li
		.amdhsa_group_segment_fixed_size 4096
		.amdhsa_private_segment_fixed_size 0
		.amdhsa_kernarg_size 100
		.amdhsa_user_sgpr_count 13
		.amdhsa_user_sgpr_dispatch_ptr 0
		.amdhsa_user_sgpr_queue_ptr 0
		.amdhsa_user_sgpr_kernarg_segment_ptr 1
		.amdhsa_user_sgpr_dispatch_id 0
		.amdhsa_user_sgpr_private_segment_size 0
		.amdhsa_wavefront_size32 1
		.amdhsa_uses_dynamic_stack 0
		.amdhsa_enable_private_segment 0
		.amdhsa_system_sgpr_workgroup_id_x 1
		.amdhsa_system_sgpr_workgroup_id_y 1
		.amdhsa_system_sgpr_workgroup_id_z 1
		.amdhsa_system_sgpr_workgroup_info 0
		.amdhsa_system_vgpr_workitem_id 1
		.amdhsa_next_free_vgpr 38
		.amdhsa_next_free_sgpr 19
		.amdhsa_reserve_vcc 1
		.amdhsa_float_round_mode_32 0
		.amdhsa_float_round_mode_16_64 0
		.amdhsa_float_denorm_mode_32 3
		.amdhsa_float_denorm_mode_16_64 3
		.amdhsa_dx10_clamp 1
		.amdhsa_ieee_mode 1
		.amdhsa_fp16_overflow 0
		.amdhsa_workgroup_processor_mode 1
		.amdhsa_memory_ordered 1
		.amdhsa_forward_progress 0
		.amdhsa_shared_vgpr_count 0
		.amdhsa_exception_fp_ieee_invalid_op 0
		.amdhsa_exception_fp_denorm_src 0
		.amdhsa_exception_fp_ieee_div_zero 0
		.amdhsa_exception_fp_ieee_overflow 0
		.amdhsa_exception_fp_ieee_underflow 0
		.amdhsa_exception_fp_ieee_inexact 0
		.amdhsa_exception_int_div_zero 0
	.end_amdhsa_kernel
	.section	.text._ZL37rocblas_syrkx_herkx_restricted_kernelIidLi16ELi32ELi8ELb1ELb0ELc67ELc85EKPKdKPdEviT_T0_PT8_S5_lS8_S5_lS6_PT9_S5_li,"axG",@progbits,_ZL37rocblas_syrkx_herkx_restricted_kernelIidLi16ELi32ELi8ELb1ELb0ELc67ELc85EKPKdKPdEviT_T0_PT8_S5_lS8_S5_lS6_PT9_S5_li,comdat
.Lfunc_end569:
	.size	_ZL37rocblas_syrkx_herkx_restricted_kernelIidLi16ELi32ELi8ELb1ELb0ELc67ELc85EKPKdKPdEviT_T0_PT8_S5_lS8_S5_lS6_PT9_S5_li, .Lfunc_end569-_ZL37rocblas_syrkx_herkx_restricted_kernelIidLi16ELi32ELi8ELb1ELb0ELc67ELc85EKPKdKPdEviT_T0_PT8_S5_lS8_S5_lS6_PT9_S5_li
                                        ; -- End function
	.section	.AMDGPU.csdata,"",@progbits
; Kernel info:
; codeLenInByte = 1356
; NumSgprs: 21
; NumVgprs: 38
; ScratchSize: 0
; MemoryBound: 0
; FloatMode: 240
; IeeeMode: 1
; LDSByteSize: 4096 bytes/workgroup (compile time only)
; SGPRBlocks: 2
; VGPRBlocks: 4
; NumSGPRsForWavesPerEU: 21
; NumVGPRsForWavesPerEU: 38
; Occupancy: 16
; WaveLimiterHint : 1
; COMPUTE_PGM_RSRC2:SCRATCH_EN: 0
; COMPUTE_PGM_RSRC2:USER_SGPR: 13
; COMPUTE_PGM_RSRC2:TRAP_HANDLER: 0
; COMPUTE_PGM_RSRC2:TGID_X_EN: 1
; COMPUTE_PGM_RSRC2:TGID_Y_EN: 1
; COMPUTE_PGM_RSRC2:TGID_Z_EN: 1
; COMPUTE_PGM_RSRC2:TIDIG_COMP_CNT: 1
	.section	.text._ZL37rocblas_syrkx_herkx_restricted_kernelIidLi16ELi32ELi8ELb1ELb0ELc78ELc85EKPKdKPdEviT_T0_PT8_S5_lS8_S5_lS6_PT9_S5_li,"axG",@progbits,_ZL37rocblas_syrkx_herkx_restricted_kernelIidLi16ELi32ELi8ELb1ELb0ELc78ELc85EKPKdKPdEviT_T0_PT8_S5_lS8_S5_lS6_PT9_S5_li,comdat
	.globl	_ZL37rocblas_syrkx_herkx_restricted_kernelIidLi16ELi32ELi8ELb1ELb0ELc78ELc85EKPKdKPdEviT_T0_PT8_S5_lS8_S5_lS6_PT9_S5_li ; -- Begin function _ZL37rocblas_syrkx_herkx_restricted_kernelIidLi16ELi32ELi8ELb1ELb0ELc78ELc85EKPKdKPdEviT_T0_PT8_S5_lS8_S5_lS6_PT9_S5_li
	.p2align	8
	.type	_ZL37rocblas_syrkx_herkx_restricted_kernelIidLi16ELi32ELi8ELb1ELb0ELc78ELc85EKPKdKPdEviT_T0_PT8_S5_lS8_S5_lS6_PT9_S5_li,@function
_ZL37rocblas_syrkx_herkx_restricted_kernelIidLi16ELi32ELi8ELb1ELb0ELc78ELc85EKPKdKPdEviT_T0_PT8_S5_lS8_S5_lS6_PT9_S5_li: ; @_ZL37rocblas_syrkx_herkx_restricted_kernelIidLi16ELi32ELi8ELb1ELb0ELc78ELc85EKPKdKPdEviT_T0_PT8_S5_lS8_S5_lS6_PT9_S5_li
; %bb.0:
	s_clause 0x1
	s_load_b64 s[4:5], s[0:1], 0x48
	s_load_b64 s[2:3], s[0:1], 0x0
	s_mov_b32 s10, s15
	s_mov_b32 s11, 0
	v_mov_b32_e32 v10, 0
	s_lshl_b64 s[16:17], s[10:11], 3
	v_dual_mov_b32 v11, 0 :: v_dual_and_b32 v12, 0x3ff, v0
	v_bfe_u32 v13, v0, 10, 10
	s_delay_alu instid0(VALU_DEP_3) | instskip(NEXT) | instid1(VALU_DEP_3)
	v_mov_b32_e32 v8, v10
	v_dual_mov_b32 v2, v10 :: v_dual_mov_b32 v3, v11
	v_dual_mov_b32 v9, v11 :: v_dual_mov_b32 v0, v10
	v_mov_b32_e32 v1, v11
	s_waitcnt lgkmcnt(0)
	s_add_u32 s8, s4, s16
	s_addc_u32 s9, s5, s17
	s_load_b128 s[4:7], s[0:1], 0x8
	s_load_b64 s[8:9], s[8:9], 0x0
	s_lshl_b32 s10, s13, 5
	s_lshl_b32 s14, s14, 5
	s_cmp_lt_i32 s3, 1
	s_cbranch_scc1 .LBB570_3
; %bb.1:
	s_clause 0x2
	s_load_b32 s12, s[0:1], 0x18
	s_load_b32 s18, s[0:1], 0x30
	s_load_b64 s[20:21], s[0:1], 0x28
	v_lshl_add_u32 v2, v13, 4, v12
	v_mov_b32_e32 v0, 0
	v_dual_mov_b32 v1, 0 :: v_dual_and_b32 v8, 7, v12
	v_lshlrev_b32_e32 v14, 3, v12
	s_delay_alu instid0(VALU_DEP_4)
	v_and_b32_e32 v10, 31, v2
	v_lshrrev_b32_e32 v9, 3, v2
	v_lshrrev_b32_e32 v11, 5, v2
	v_lshlrev_b32_e32 v16, 3, v8
	v_lshl_add_u32 v15, v13, 6, 0x800
	v_add_nc_u32_e32 v4, s10, v10
	v_add_nc_u32_e32 v2, s14, v9
	s_delay_alu instid0(VALU_DEP_4) | instskip(NEXT) | instid1(VALU_DEP_3)
	v_lshl_or_b32 v17, v9, 6, v16
	v_ashrrev_i32_e32 v5, 31, v4
	s_delay_alu instid0(VALU_DEP_3)
	v_ashrrev_i32_e32 v3, 31, v2
	s_waitcnt lgkmcnt(0)
	s_ashr_i32 s13, s12, 31
	s_ashr_i32 s19, s18, 31
	s_add_u32 s6, s6, s16
	s_addc_u32 s7, s7, s17
	s_add_u32 s16, s20, s16
	s_load_b64 s[6:7], s[6:7], 0x0
	s_addc_u32 s17, s21, s17
	v_mad_i64_i32 v[6:7], null, s12, v11, v[4:5]
	s_load_b64 s[16:17], s[16:17], 0x0
	v_mad_i64_i32 v[4:5], null, s18, v8, v[2:3]
	v_dual_mov_b32 v3, v1 :: v_dual_lshlrev_b32 v10, 3, v10
	v_mov_b32_e32 v9, v1
	s_delay_alu instid0(VALU_DEP_4)
	v_lshlrev_b64 v[6:7], 3, v[6:7]
	v_mov_b32_e32 v2, v0
	v_mov_b32_e32 v8, v0
	v_lshl_or_b32 v16, v11, 8, v10
	v_lshlrev_b64 v[10:11], 3, v[4:5]
	v_add_nc_u32_e32 v17, 0x800, v17
	s_lshl_b64 s[12:13], s[12:13], 6
	s_waitcnt lgkmcnt(0)
	v_add_co_u32 v4, vcc_lo, s6, v6
	v_add_co_ci_u32_e32 v5, vcc_lo, s7, v7, vcc_lo
	v_add_co_u32 v6, vcc_lo, s16, v10
	v_add_co_ci_u32_e32 v7, vcc_lo, s17, v11, vcc_lo
	v_dual_mov_b32 v11, v1 :: v_dual_mov_b32 v10, v0
	s_lshl_b64 s[6:7], s[18:19], 6
.LBB570_2:                              ; =>This Inner Loop Header: Depth=1
	global_load_b64 v[18:19], v[4:5], off
	global_load_b64 v[20:21], v[6:7], off
	v_add_co_u32 v6, vcc_lo, v6, s6
	v_add_co_ci_u32_e32 v7, vcc_lo, s7, v7, vcc_lo
	v_add_co_u32 v4, vcc_lo, v4, s12
	v_add_co_ci_u32_e32 v5, vcc_lo, s13, v5, vcc_lo
	s_add_i32 s11, s11, 8
	s_waitcnt vmcnt(1)
	ds_store_b64 v16, v[18:19]
	s_waitcnt vmcnt(0)
	ds_store_b64 v17, v[20:21]
	s_waitcnt lgkmcnt(0)
	s_barrier
	buffer_gl0_inv
	ds_load_2addr_b64 v[18:21], v14 offset1:16
	ds_load_b128 v[22:25], v15
	ds_load_b128 v[26:29], v15 offset:1024
	ds_load_b128 v[30:33], v15 offset:16
	;; [unrolled: 1-line block ×3, first 2 shown]
	s_cmp_ge_i32 s11, s3
	s_waitcnt lgkmcnt(3)
	v_fma_f64 v[10:11], v[18:19], v[22:23], v[10:11]
	v_fma_f64 v[8:9], v[20:21], v[22:23], v[8:9]
	s_waitcnt lgkmcnt(2)
	v_fma_f64 v[18:19], v[18:19], v[26:27], v[2:3]
	v_fma_f64 v[20:21], v[20:21], v[26:27], v[0:1]
	ds_load_2addr_b64 v[0:3], v14 offset0:32 offset1:48
	s_waitcnt lgkmcnt(0)
	v_fma_f64 v[10:11], v[0:1], v[24:25], v[10:11]
	v_fma_f64 v[8:9], v[2:3], v[24:25], v[8:9]
	v_fma_f64 v[18:19], v[0:1], v[28:29], v[18:19]
	v_fma_f64 v[20:21], v[2:3], v[28:29], v[20:21]
	ds_load_2addr_b64 v[0:3], v14 offset0:64 offset1:80
	s_waitcnt lgkmcnt(0)
	v_fma_f64 v[10:11], v[0:1], v[30:31], v[10:11]
	v_fma_f64 v[8:9], v[2:3], v[30:31], v[8:9]
	;; [unrolled: 6-line block ×3, first 2 shown]
	v_fma_f64 v[34:35], v[0:1], v[36:37], v[18:19]
	v_fma_f64 v[36:37], v[2:3], v[36:37], v[20:21]
	ds_load_2addr_b64 v[0:3], v14 offset0:128 offset1:144
	ds_load_b128 v[8:11], v15 offset:32
	ds_load_b128 v[18:21], v15 offset:1056
	;; [unrolled: 1-line block ×4, first 2 shown]
	s_waitcnt lgkmcnt(3)
	v_fma_f64 v[30:31], v[0:1], v[8:9], v[30:31]
	v_fma_f64 v[8:9], v[2:3], v[8:9], v[32:33]
	s_waitcnt lgkmcnt(2)
	v_fma_f64 v[32:33], v[0:1], v[18:19], v[34:35]
	v_fma_f64 v[18:19], v[2:3], v[18:19], v[36:37]
	ds_load_2addr_b64 v[0:3], v14 offset0:160 offset1:176
	s_waitcnt lgkmcnt(0)
	v_fma_f64 v[30:31], v[0:1], v[10:11], v[30:31]
	v_fma_f64 v[8:9], v[2:3], v[10:11], v[8:9]
	;; [unrolled: 1-line block ×4, first 2 shown]
	ds_load_2addr_b64 v[0:3], v14 offset0:192 offset1:208
	s_waitcnt lgkmcnt(0)
	v_fma_f64 v[30:31], v[0:1], v[22:23], v[30:31]
	v_fma_f64 v[8:9], v[2:3], v[22:23], v[8:9]
	v_fma_f64 v[0:1], v[0:1], v[26:27], v[10:11]
	v_fma_f64 v[22:23], v[2:3], v[26:27], v[18:19]
	ds_load_2addr_b64 v[18:21], v14 offset0:224 offset1:240
	s_waitcnt lgkmcnt(0)
	s_barrier
	buffer_gl0_inv
	v_fma_f64 v[10:11], v[18:19], v[24:25], v[30:31]
	v_fma_f64 v[8:9], v[20:21], v[24:25], v[8:9]
	;; [unrolled: 1-line block ×4, first 2 shown]
	s_cbranch_scc0 .LBB570_2
.LBB570_3:
	s_load_b32 s3, s[0:1], 0x50
	v_add_nc_u32_e32 v13, s14, v13
	v_add_nc_u32_e32 v4, s10, v12
	s_delay_alu instid0(VALU_DEP_2) | instskip(NEXT) | instid1(VALU_DEP_2)
	v_cmp_gt_i32_e32 vcc_lo, s2, v13
	v_cmp_le_i32_e64 s0, v4, v13
	s_delay_alu instid0(VALU_DEP_1) | instskip(SKIP_2) | instid1(VALU_DEP_1)
	s_and_b32 s0, vcc_lo, s0
	s_waitcnt lgkmcnt(0)
	v_mad_i64_i32 v[5:6], null, v13, s3, 0
	v_lshlrev_b64 v[5:6], 3, v[5:6]
	s_delay_alu instid0(VALU_DEP_1) | instskip(NEXT) | instid1(VALU_DEP_1)
	v_add_co_u32 v12, s1, s8, v5
	v_add_co_ci_u32_e64 v14, s1, s9, v6, s1
	s_and_saveexec_b32 s1, s0
	s_cbranch_execz .LBB570_5
; %bb.4:
	v_mul_f64 v[6:7], v[10:11], s[4:5]
	v_ashrrev_i32_e32 v5, 31, v4
	s_delay_alu instid0(VALU_DEP_1) | instskip(NEXT) | instid1(VALU_DEP_1)
	v_lshlrev_b64 v[10:11], 3, v[4:5]
	v_add_co_u32 v10, s0, v12, v10
	s_delay_alu instid0(VALU_DEP_1)
	v_add_co_ci_u32_e64 v11, s0, v14, v11, s0
	global_store_b64 v[10:11], v[6:7], off
.LBB570_5:
	s_or_b32 exec_lo, exec_lo, s1
	v_add_nc_u32_e32 v6, 16, v4
	s_delay_alu instid0(VALU_DEP_1) | instskip(NEXT) | instid1(VALU_DEP_1)
	v_cmp_le_i32_e64 s0, v6, v13
	s_and_b32 s1, vcc_lo, s0
	s_delay_alu instid0(SALU_CYCLE_1)
	s_and_saveexec_b32 s0, s1
	s_cbranch_execz .LBB570_7
; %bb.6:
	v_mul_f64 v[8:9], v[8:9], s[4:5]
	v_ashrrev_i32_e32 v7, 31, v6
	s_delay_alu instid0(VALU_DEP_1) | instskip(NEXT) | instid1(VALU_DEP_1)
	v_lshlrev_b64 v[10:11], 3, v[6:7]
	v_add_co_u32 v10, vcc_lo, v12, v10
	s_delay_alu instid0(VALU_DEP_2)
	v_add_co_ci_u32_e32 v11, vcc_lo, v14, v11, vcc_lo
	global_store_b64 v[10:11], v[8:9], off
.LBB570_7:
	s_or_b32 exec_lo, exec_lo, s0
	v_add_nc_u32_e32 v7, 16, v13
	s_delay_alu instid0(VALU_DEP_1) | instskip(SKIP_2) | instid1(VALU_DEP_1)
	v_mad_i64_i32 v[8:9], null, v7, s3, 0
	v_cmp_gt_i32_e32 vcc_lo, s2, v7
	v_cmp_le_i32_e64 s0, v4, v7
	s_and_b32 s0, vcc_lo, s0
	s_delay_alu instid0(VALU_DEP_3) | instskip(NEXT) | instid1(VALU_DEP_1)
	v_lshlrev_b64 v[8:9], 3, v[8:9]
	v_add_co_u32 v8, s1, s8, v8
	s_delay_alu instid0(VALU_DEP_1)
	v_add_co_ci_u32_e64 v9, s1, s9, v9, s1
	s_and_saveexec_b32 s1, s0
	s_cbranch_execz .LBB570_9
; %bb.8:
	v_mul_f64 v[2:3], v[2:3], s[4:5]
	v_ashrrev_i32_e32 v5, 31, v4
	s_delay_alu instid0(VALU_DEP_1) | instskip(NEXT) | instid1(VALU_DEP_1)
	v_lshlrev_b64 v[4:5], 3, v[4:5]
	v_add_co_u32 v4, s0, v8, v4
	s_delay_alu instid0(VALU_DEP_1)
	v_add_co_ci_u32_e64 v5, s0, v9, v5, s0
	global_store_b64 v[4:5], v[2:3], off
.LBB570_9:
	s_or_b32 exec_lo, exec_lo, s1
	v_cmp_le_i32_e64 s0, v6, v7
	s_delay_alu instid0(VALU_DEP_1) | instskip(NEXT) | instid1(SALU_CYCLE_1)
	s_and_b32 s0, vcc_lo, s0
	s_and_saveexec_b32 s1, s0
	s_cbranch_execz .LBB570_11
; %bb.10:
	v_mul_f64 v[0:1], v[0:1], s[4:5]
	v_ashrrev_i32_e32 v7, 31, v6
	s_delay_alu instid0(VALU_DEP_1) | instskip(NEXT) | instid1(VALU_DEP_1)
	v_lshlrev_b64 v[2:3], 3, v[6:7]
	v_add_co_u32 v2, vcc_lo, v8, v2
	s_delay_alu instid0(VALU_DEP_2)
	v_add_co_ci_u32_e32 v3, vcc_lo, v9, v3, vcc_lo
	global_store_b64 v[2:3], v[0:1], off
.LBB570_11:
	s_nop 0
	s_sendmsg sendmsg(MSG_DEALLOC_VGPRS)
	s_endpgm
	.section	.rodata,"a",@progbits
	.p2align	6, 0x0
	.amdhsa_kernel _ZL37rocblas_syrkx_herkx_restricted_kernelIidLi16ELi32ELi8ELb1ELb0ELc78ELc85EKPKdKPdEviT_T0_PT8_S5_lS8_S5_lS6_PT9_S5_li
		.amdhsa_group_segment_fixed_size 4096
		.amdhsa_private_segment_fixed_size 0
		.amdhsa_kernarg_size 100
		.amdhsa_user_sgpr_count 13
		.amdhsa_user_sgpr_dispatch_ptr 0
		.amdhsa_user_sgpr_queue_ptr 0
		.amdhsa_user_sgpr_kernarg_segment_ptr 1
		.amdhsa_user_sgpr_dispatch_id 0
		.amdhsa_user_sgpr_private_segment_size 0
		.amdhsa_wavefront_size32 1
		.amdhsa_uses_dynamic_stack 0
		.amdhsa_enable_private_segment 0
		.amdhsa_system_sgpr_workgroup_id_x 1
		.amdhsa_system_sgpr_workgroup_id_y 1
		.amdhsa_system_sgpr_workgroup_id_z 1
		.amdhsa_system_sgpr_workgroup_info 0
		.amdhsa_system_vgpr_workitem_id 1
		.amdhsa_next_free_vgpr 38
		.amdhsa_next_free_sgpr 22
		.amdhsa_reserve_vcc 1
		.amdhsa_float_round_mode_32 0
		.amdhsa_float_round_mode_16_64 0
		.amdhsa_float_denorm_mode_32 3
		.amdhsa_float_denorm_mode_16_64 3
		.amdhsa_dx10_clamp 1
		.amdhsa_ieee_mode 1
		.amdhsa_fp16_overflow 0
		.amdhsa_workgroup_processor_mode 1
		.amdhsa_memory_ordered 1
		.amdhsa_forward_progress 0
		.amdhsa_shared_vgpr_count 0
		.amdhsa_exception_fp_ieee_invalid_op 0
		.amdhsa_exception_fp_denorm_src 0
		.amdhsa_exception_fp_ieee_div_zero 0
		.amdhsa_exception_fp_ieee_overflow 0
		.amdhsa_exception_fp_ieee_underflow 0
		.amdhsa_exception_fp_ieee_inexact 0
		.amdhsa_exception_int_div_zero 0
	.end_amdhsa_kernel
	.section	.text._ZL37rocblas_syrkx_herkx_restricted_kernelIidLi16ELi32ELi8ELb1ELb0ELc78ELc85EKPKdKPdEviT_T0_PT8_S5_lS8_S5_lS6_PT9_S5_li,"axG",@progbits,_ZL37rocblas_syrkx_herkx_restricted_kernelIidLi16ELi32ELi8ELb1ELb0ELc78ELc85EKPKdKPdEviT_T0_PT8_S5_lS8_S5_lS6_PT9_S5_li,comdat
.Lfunc_end570:
	.size	_ZL37rocblas_syrkx_herkx_restricted_kernelIidLi16ELi32ELi8ELb1ELb0ELc78ELc85EKPKdKPdEviT_T0_PT8_S5_lS8_S5_lS6_PT9_S5_li, .Lfunc_end570-_ZL37rocblas_syrkx_herkx_restricted_kernelIidLi16ELi32ELi8ELb1ELb0ELc78ELc85EKPKdKPdEviT_T0_PT8_S5_lS8_S5_lS6_PT9_S5_li
                                        ; -- End function
	.section	.AMDGPU.csdata,"",@progbits
; Kernel info:
; codeLenInByte = 1372
; NumSgprs: 24
; NumVgprs: 38
; ScratchSize: 0
; MemoryBound: 0
; FloatMode: 240
; IeeeMode: 1
; LDSByteSize: 4096 bytes/workgroup (compile time only)
; SGPRBlocks: 2
; VGPRBlocks: 4
; NumSGPRsForWavesPerEU: 24
; NumVGPRsForWavesPerEU: 38
; Occupancy: 16
; WaveLimiterHint : 1
; COMPUTE_PGM_RSRC2:SCRATCH_EN: 0
; COMPUTE_PGM_RSRC2:USER_SGPR: 13
; COMPUTE_PGM_RSRC2:TRAP_HANDLER: 0
; COMPUTE_PGM_RSRC2:TGID_X_EN: 1
; COMPUTE_PGM_RSRC2:TGID_Y_EN: 1
; COMPUTE_PGM_RSRC2:TGID_Z_EN: 1
; COMPUTE_PGM_RSRC2:TIDIG_COMP_CNT: 1
	.section	.text._ZL37rocblas_syrkx_herkx_restricted_kernelIidLi16ELi32ELi8ELb0ELb0ELc84ELc76EKPKdKPdEviT_T0_PT8_S5_lS8_S5_lS6_PT9_S5_li,"axG",@progbits,_ZL37rocblas_syrkx_herkx_restricted_kernelIidLi16ELi32ELi8ELb0ELb0ELc84ELc76EKPKdKPdEviT_T0_PT8_S5_lS8_S5_lS6_PT9_S5_li,comdat
	.globl	_ZL37rocblas_syrkx_herkx_restricted_kernelIidLi16ELi32ELi8ELb0ELb0ELc84ELc76EKPKdKPdEviT_T0_PT8_S5_lS8_S5_lS6_PT9_S5_li ; -- Begin function _ZL37rocblas_syrkx_herkx_restricted_kernelIidLi16ELi32ELi8ELb0ELb0ELc84ELc76EKPKdKPdEviT_T0_PT8_S5_lS8_S5_lS6_PT9_S5_li
	.p2align	8
	.type	_ZL37rocblas_syrkx_herkx_restricted_kernelIidLi16ELi32ELi8ELb0ELb0ELc84ELc76EKPKdKPdEviT_T0_PT8_S5_lS8_S5_lS6_PT9_S5_li,@function
_ZL37rocblas_syrkx_herkx_restricted_kernelIidLi16ELi32ELi8ELb0ELb0ELc84ELc76EKPKdKPdEviT_T0_PT8_S5_lS8_S5_lS6_PT9_S5_li: ; @_ZL37rocblas_syrkx_herkx_restricted_kernelIidLi16ELi32ELi8ELb0ELb0ELc84ELc76EKPKdKPdEviT_T0_PT8_S5_lS8_S5_lS6_PT9_S5_li
; %bb.0:
	s_clause 0x1
	s_load_b128 s[4:7], s[0:1], 0x40
	s_load_b64 s[16:17], s[0:1], 0x0
	s_mov_b32 s18, s15
	s_mov_b32 s19, 0
	v_mov_b32_e32 v10, 0
	s_lshl_b64 s[20:21], s[18:19], 3
	v_dual_mov_b32 v11, 0 :: v_dual_and_b32 v12, 0x3ff, v0
	v_bfe_u32 v13, v0, 10, 10
	s_delay_alu instid0(VALU_DEP_3) | instskip(NEXT) | instid1(VALU_DEP_3)
	v_mov_b32_e32 v8, v10
	v_dual_mov_b32 v2, v10 :: v_dual_mov_b32 v3, v11
	v_dual_mov_b32 v9, v11 :: v_dual_mov_b32 v0, v10
	v_mov_b32_e32 v1, v11
	s_waitcnt lgkmcnt(0)
	s_add_u32 s2, s6, s20
	s_addc_u32 s3, s7, s21
	s_load_b128 s[8:11], s[0:1], 0x8
	s_load_b64 s[2:3], s[2:3], 0x0
	s_lshl_b32 s6, s13, 5
	s_lshl_b32 s7, s14, 5
	s_cmp_lt_i32 s17, 1
	s_cbranch_scc1 .LBB571_3
; %bb.1:
	s_clause 0x2
	s_load_b64 s[12:13], s[0:1], 0x28
	s_load_b32 s14, s[0:1], 0x18
	s_load_b32 s15, s[0:1], 0x30
	v_lshl_add_u32 v4, v13, 4, v12
	v_dual_mov_b32 v3, 0 :: v_dual_and_b32 v2, 7, v12
	v_mov_b32_e32 v0, 0
	v_dual_mov_b32 v1, 0 :: v_dual_lshlrev_b32 v14, 3, v12
	s_delay_alu instid0(VALU_DEP_4)
	v_and_b32_e32 v8, 31, v4
	s_waitcnt lgkmcnt(0)
	s_add_u32 s10, s10, s20
	s_addc_u32 s11, s11, s21
	v_lshrrev_b32_e32 v9, 3, v4
	s_load_b64 s[10:11], s[10:11], 0x0
	v_lshrrev_b32_e32 v4, 5, v4
	v_dual_mov_b32 v5, v3 :: v_dual_add_nc_u32 v10, s6, v8
	s_delay_alu instid0(VALU_DEP_3)
	v_add_nc_u32_e32 v16, s7, v9
	v_lshl_add_u32 v15, v13, 6, 0x800
	s_add_u32 s12, s12, s20
	s_addc_u32 s13, s13, s21
	v_mad_i64_i32 v[6:7], null, s14, v10, v[4:5]
	s_load_b64 s[12:13], s[12:13], 0x0
	v_lshlrev_b32_e32 v5, 3, v2
	v_mad_i64_i32 v[10:11], null, s15, v16, v[2:3]
	v_dual_mov_b32 v3, v1 :: v_dual_mov_b32 v2, v0
	s_delay_alu instid0(VALU_DEP_3) | instskip(SKIP_3) | instid1(VALU_DEP_4)
	v_lshl_or_b32 v17, v9, 6, v5
	v_lshlrev_b64 v[5:6], 3, v[6:7]
	v_dual_mov_b32 v9, v1 :: v_dual_lshlrev_b32 v16, 3, v8
	v_lshlrev_b64 v[10:11], 3, v[10:11]
	v_dual_mov_b32 v8, v0 :: v_dual_add_nc_u32 v17, 0x800, v17
	s_delay_alu instid0(VALU_DEP_3)
	v_lshl_or_b32 v16, v4, 8, v16
	s_waitcnt lgkmcnt(0)
	v_add_co_u32 v4, vcc_lo, s10, v5
	v_add_co_ci_u32_e32 v5, vcc_lo, s11, v6, vcc_lo
	v_add_co_u32 v6, vcc_lo, s12, v10
	v_add_co_ci_u32_e32 v7, vcc_lo, s13, v11, vcc_lo
	v_dual_mov_b32 v11, v1 :: v_dual_mov_b32 v10, v0
.LBB571_2:                              ; =>This Inner Loop Header: Depth=1
	global_load_b64 v[18:19], v[4:5], off
	global_load_b64 v[20:21], v[6:7], off
	v_add_co_u32 v6, vcc_lo, v6, 64
	v_add_co_ci_u32_e32 v7, vcc_lo, 0, v7, vcc_lo
	v_add_co_u32 v4, vcc_lo, v4, 64
	v_add_co_ci_u32_e32 v5, vcc_lo, 0, v5, vcc_lo
	s_add_i32 s19, s19, 8
	s_waitcnt vmcnt(1)
	ds_store_b64 v16, v[18:19]
	s_waitcnt vmcnt(0)
	ds_store_b64 v17, v[20:21]
	s_waitcnt lgkmcnt(0)
	s_barrier
	buffer_gl0_inv
	ds_load_2addr_b64 v[18:21], v14 offset1:16
	ds_load_b128 v[22:25], v15
	ds_load_b128 v[26:29], v15 offset:1024
	ds_load_b128 v[30:33], v15 offset:16
	;; [unrolled: 1-line block ×3, first 2 shown]
	s_cmp_ge_i32 s19, s17
	s_waitcnt lgkmcnt(3)
	v_fma_f64 v[10:11], v[18:19], v[22:23], v[10:11]
	v_fma_f64 v[8:9], v[20:21], v[22:23], v[8:9]
	s_waitcnt lgkmcnt(2)
	v_fma_f64 v[18:19], v[18:19], v[26:27], v[2:3]
	v_fma_f64 v[20:21], v[20:21], v[26:27], v[0:1]
	ds_load_2addr_b64 v[0:3], v14 offset0:32 offset1:48
	s_waitcnt lgkmcnt(0)
	v_fma_f64 v[10:11], v[0:1], v[24:25], v[10:11]
	v_fma_f64 v[8:9], v[2:3], v[24:25], v[8:9]
	v_fma_f64 v[18:19], v[0:1], v[28:29], v[18:19]
	v_fma_f64 v[20:21], v[2:3], v[28:29], v[20:21]
	ds_load_2addr_b64 v[0:3], v14 offset0:64 offset1:80
	s_waitcnt lgkmcnt(0)
	v_fma_f64 v[10:11], v[0:1], v[30:31], v[10:11]
	v_fma_f64 v[8:9], v[2:3], v[30:31], v[8:9]
	;; [unrolled: 6-line block ×3, first 2 shown]
	v_fma_f64 v[34:35], v[0:1], v[36:37], v[18:19]
	v_fma_f64 v[36:37], v[2:3], v[36:37], v[20:21]
	ds_load_2addr_b64 v[0:3], v14 offset0:128 offset1:144
	ds_load_b128 v[8:11], v15 offset:32
	ds_load_b128 v[18:21], v15 offset:1056
	;; [unrolled: 1-line block ×4, first 2 shown]
	s_waitcnt lgkmcnt(3)
	v_fma_f64 v[30:31], v[0:1], v[8:9], v[30:31]
	v_fma_f64 v[8:9], v[2:3], v[8:9], v[32:33]
	s_waitcnt lgkmcnt(2)
	v_fma_f64 v[32:33], v[0:1], v[18:19], v[34:35]
	v_fma_f64 v[18:19], v[2:3], v[18:19], v[36:37]
	ds_load_2addr_b64 v[0:3], v14 offset0:160 offset1:176
	s_waitcnt lgkmcnt(0)
	v_fma_f64 v[30:31], v[0:1], v[10:11], v[30:31]
	v_fma_f64 v[8:9], v[2:3], v[10:11], v[8:9]
	;; [unrolled: 1-line block ×4, first 2 shown]
	ds_load_2addr_b64 v[0:3], v14 offset0:192 offset1:208
	s_waitcnt lgkmcnt(0)
	v_fma_f64 v[30:31], v[0:1], v[22:23], v[30:31]
	v_fma_f64 v[8:9], v[2:3], v[22:23], v[8:9]
	;; [unrolled: 1-line block ×4, first 2 shown]
	ds_load_2addr_b64 v[18:21], v14 offset0:224 offset1:240
	s_waitcnt lgkmcnt(0)
	s_barrier
	buffer_gl0_inv
	v_fma_f64 v[10:11], v[18:19], v[24:25], v[30:31]
	v_fma_f64 v[8:9], v[20:21], v[24:25], v[8:9]
	;; [unrolled: 1-line block ×4, first 2 shown]
	s_cbranch_scc0 .LBB571_2
.LBB571_3:
	s_waitcnt lgkmcnt(0)
	s_load_b32 s10, s[0:1], 0x50
	v_add_nc_u32_e32 v13, s7, v13
	v_add_nc_u32_e32 v4, s6, v12
	s_delay_alu instid0(VALU_DEP_1) | instskip(SKIP_1) | instid1(VALU_DEP_2)
	v_cmp_le_i32_e64 s0, v13, v4
	v_cmp_gt_i32_e32 vcc_lo, s16, v4
	s_and_b32 s0, s0, vcc_lo
	s_waitcnt lgkmcnt(0)
	v_mad_i64_i32 v[5:6], null, v13, s10, 0
	s_delay_alu instid0(VALU_DEP_1) | instskip(NEXT) | instid1(VALU_DEP_1)
	v_lshlrev_b64 v[5:6], 3, v[5:6]
	v_add_co_u32 v12, s1, s2, v5
	s_delay_alu instid0(VALU_DEP_1)
	v_add_co_ci_u32_e64 v14, s1, s3, v6, s1
	s_and_saveexec_b32 s1, s0
	s_cbranch_execz .LBB571_5
; %bb.4:
	v_ashrrev_i32_e32 v5, 31, v4
	s_delay_alu instid0(VALU_DEP_1) | instskip(NEXT) | instid1(VALU_DEP_1)
	v_lshlrev_b64 v[5:6], 3, v[4:5]
	v_add_co_u32 v5, s0, v12, v5
	s_delay_alu instid0(VALU_DEP_1) | instskip(SKIP_3) | instid1(VALU_DEP_1)
	v_add_co_ci_u32_e64 v6, s0, v14, v6, s0
	global_load_b64 v[15:16], v[5:6], off
	s_waitcnt vmcnt(0)
	v_mul_f64 v[15:16], v[15:16], s[4:5]
	v_fma_f64 v[10:11], v[10:11], s[8:9], v[15:16]
	global_store_b64 v[5:6], v[10:11], off
.LBB571_5:
	s_or_b32 exec_lo, exec_lo, s1
	v_add_nc_u32_e32 v6, 16, v4
	s_delay_alu instid0(VALU_DEP_1) | instskip(SKIP_1) | instid1(VALU_DEP_1)
	v_cmp_le_i32_e64 s1, v13, v6
	v_cmp_gt_i32_e64 s0, s16, v6
	s_and_b32 s1, s1, s0
	s_delay_alu instid0(SALU_CYCLE_1)
	s_and_saveexec_b32 s6, s1
	s_cbranch_execz .LBB571_7
; %bb.6:
	v_ashrrev_i32_e32 v7, 31, v6
	s_delay_alu instid0(VALU_DEP_1) | instskip(NEXT) | instid1(VALU_DEP_1)
	v_lshlrev_b64 v[10:11], 3, v[6:7]
	v_add_co_u32 v10, s1, v12, v10
	s_delay_alu instid0(VALU_DEP_1) | instskip(SKIP_3) | instid1(VALU_DEP_1)
	v_add_co_ci_u32_e64 v11, s1, v14, v11, s1
	global_load_b64 v[14:15], v[10:11], off
	s_waitcnt vmcnt(0)
	v_mul_f64 v[14:15], v[14:15], s[4:5]
	v_fma_f64 v[7:8], v[8:9], s[8:9], v[14:15]
	global_store_b64 v[10:11], v[7:8], off
.LBB571_7:
	s_or_b32 exec_lo, exec_lo, s6
	v_add_nc_u32_e32 v7, 16, v13
	s_delay_alu instid0(VALU_DEP_1) | instskip(SKIP_1) | instid1(VALU_DEP_2)
	v_mad_i64_i32 v[8:9], null, v7, s10, 0
	v_cmp_le_i32_e64 s1, v7, v4
	v_lshlrev_b64 v[8:9], 3, v[8:9]
	s_delay_alu instid0(VALU_DEP_1) | instskip(NEXT) | instid1(VALU_DEP_1)
	v_add_co_u32 v8, s2, s2, v8
	v_add_co_ci_u32_e64 v9, s2, s3, v9, s2
	s_delay_alu instid0(VALU_DEP_4) | instskip(NEXT) | instid1(SALU_CYCLE_1)
	s_and_b32 s2, s1, vcc_lo
	s_and_saveexec_b32 s1, s2
	s_cbranch_execz .LBB571_9
; %bb.8:
	v_ashrrev_i32_e32 v5, 31, v4
	s_delay_alu instid0(VALU_DEP_1) | instskip(NEXT) | instid1(VALU_DEP_1)
	v_lshlrev_b64 v[4:5], 3, v[4:5]
	v_add_co_u32 v4, vcc_lo, v8, v4
	s_delay_alu instid0(VALU_DEP_2) | instskip(SKIP_3) | instid1(VALU_DEP_1)
	v_add_co_ci_u32_e32 v5, vcc_lo, v9, v5, vcc_lo
	global_load_b64 v[10:11], v[4:5], off
	s_waitcnt vmcnt(0)
	v_mul_f64 v[10:11], v[10:11], s[4:5]
	v_fma_f64 v[2:3], v[2:3], s[8:9], v[10:11]
	global_store_b64 v[4:5], v[2:3], off
.LBB571_9:
	s_or_b32 exec_lo, exec_lo, s1
	v_cmp_le_i32_e32 vcc_lo, v7, v6
	s_and_b32 s0, vcc_lo, s0
	s_delay_alu instid0(SALU_CYCLE_1)
	s_and_saveexec_b32 s1, s0
	s_cbranch_execz .LBB571_11
; %bb.10:
	v_ashrrev_i32_e32 v7, 31, v6
	s_delay_alu instid0(VALU_DEP_1) | instskip(NEXT) | instid1(VALU_DEP_1)
	v_lshlrev_b64 v[2:3], 3, v[6:7]
	v_add_co_u32 v2, vcc_lo, v8, v2
	s_delay_alu instid0(VALU_DEP_2) | instskip(SKIP_3) | instid1(VALU_DEP_1)
	v_add_co_ci_u32_e32 v3, vcc_lo, v9, v3, vcc_lo
	global_load_b64 v[4:5], v[2:3], off
	s_waitcnt vmcnt(0)
	v_mul_f64 v[4:5], v[4:5], s[4:5]
	v_fma_f64 v[0:1], v[0:1], s[8:9], v[4:5]
	global_store_b64 v[2:3], v[0:1], off
.LBB571_11:
	s_nop 0
	s_sendmsg sendmsg(MSG_DEALLOC_VGPRS)
	s_endpgm
	.section	.rodata,"a",@progbits
	.p2align	6, 0x0
	.amdhsa_kernel _ZL37rocblas_syrkx_herkx_restricted_kernelIidLi16ELi32ELi8ELb0ELb0ELc84ELc76EKPKdKPdEviT_T0_PT8_S5_lS8_S5_lS6_PT9_S5_li
		.amdhsa_group_segment_fixed_size 4096
		.amdhsa_private_segment_fixed_size 0
		.amdhsa_kernarg_size 100
		.amdhsa_user_sgpr_count 13
		.amdhsa_user_sgpr_dispatch_ptr 0
		.amdhsa_user_sgpr_queue_ptr 0
		.amdhsa_user_sgpr_kernarg_segment_ptr 1
		.amdhsa_user_sgpr_dispatch_id 0
		.amdhsa_user_sgpr_private_segment_size 0
		.amdhsa_wavefront_size32 1
		.amdhsa_uses_dynamic_stack 0
		.amdhsa_enable_private_segment 0
		.amdhsa_system_sgpr_workgroup_id_x 1
		.amdhsa_system_sgpr_workgroup_id_y 1
		.amdhsa_system_sgpr_workgroup_id_z 1
		.amdhsa_system_sgpr_workgroup_info 0
		.amdhsa_system_vgpr_workitem_id 1
		.amdhsa_next_free_vgpr 38
		.amdhsa_next_free_sgpr 22
		.amdhsa_reserve_vcc 1
		.amdhsa_float_round_mode_32 0
		.amdhsa_float_round_mode_16_64 0
		.amdhsa_float_denorm_mode_32 3
		.amdhsa_float_denorm_mode_16_64 3
		.amdhsa_dx10_clamp 1
		.amdhsa_ieee_mode 1
		.amdhsa_fp16_overflow 0
		.amdhsa_workgroup_processor_mode 1
		.amdhsa_memory_ordered 1
		.amdhsa_forward_progress 0
		.amdhsa_shared_vgpr_count 0
		.amdhsa_exception_fp_ieee_invalid_op 0
		.amdhsa_exception_fp_denorm_src 0
		.amdhsa_exception_fp_ieee_div_zero 0
		.amdhsa_exception_fp_ieee_overflow 0
		.amdhsa_exception_fp_ieee_underflow 0
		.amdhsa_exception_fp_ieee_inexact 0
		.amdhsa_exception_int_div_zero 0
	.end_amdhsa_kernel
	.section	.text._ZL37rocblas_syrkx_herkx_restricted_kernelIidLi16ELi32ELi8ELb0ELb0ELc84ELc76EKPKdKPdEviT_T0_PT8_S5_lS8_S5_lS6_PT9_S5_li,"axG",@progbits,_ZL37rocblas_syrkx_herkx_restricted_kernelIidLi16ELi32ELi8ELb0ELb0ELc84ELc76EKPKdKPdEviT_T0_PT8_S5_lS8_S5_lS6_PT9_S5_li,comdat
.Lfunc_end571:
	.size	_ZL37rocblas_syrkx_herkx_restricted_kernelIidLi16ELi32ELi8ELb0ELb0ELc84ELc76EKPKdKPdEviT_T0_PT8_S5_lS8_S5_lS6_PT9_S5_li, .Lfunc_end571-_ZL37rocblas_syrkx_herkx_restricted_kernelIidLi16ELi32ELi8ELb0ELb0ELc84ELc76EKPKdKPdEviT_T0_PT8_S5_lS8_S5_lS6_PT9_S5_li
                                        ; -- End function
	.section	.AMDGPU.csdata,"",@progbits
; Kernel info:
; codeLenInByte = 1440
; NumSgprs: 24
; NumVgprs: 38
; ScratchSize: 0
; MemoryBound: 0
; FloatMode: 240
; IeeeMode: 1
; LDSByteSize: 4096 bytes/workgroup (compile time only)
; SGPRBlocks: 2
; VGPRBlocks: 4
; NumSGPRsForWavesPerEU: 24
; NumVGPRsForWavesPerEU: 38
; Occupancy: 16
; WaveLimiterHint : 1
; COMPUTE_PGM_RSRC2:SCRATCH_EN: 0
; COMPUTE_PGM_RSRC2:USER_SGPR: 13
; COMPUTE_PGM_RSRC2:TRAP_HANDLER: 0
; COMPUTE_PGM_RSRC2:TGID_X_EN: 1
; COMPUTE_PGM_RSRC2:TGID_Y_EN: 1
; COMPUTE_PGM_RSRC2:TGID_Z_EN: 1
; COMPUTE_PGM_RSRC2:TIDIG_COMP_CNT: 1
	.section	.text._ZL37rocblas_syrkx_herkx_restricted_kernelIidLi16ELi32ELi8ELb0ELb0ELc67ELc76EKPKdKPdEviT_T0_PT8_S5_lS8_S5_lS6_PT9_S5_li,"axG",@progbits,_ZL37rocblas_syrkx_herkx_restricted_kernelIidLi16ELi32ELi8ELb0ELb0ELc67ELc76EKPKdKPdEviT_T0_PT8_S5_lS8_S5_lS6_PT9_S5_li,comdat
	.globl	_ZL37rocblas_syrkx_herkx_restricted_kernelIidLi16ELi32ELi8ELb0ELb0ELc67ELc76EKPKdKPdEviT_T0_PT8_S5_lS8_S5_lS6_PT9_S5_li ; -- Begin function _ZL37rocblas_syrkx_herkx_restricted_kernelIidLi16ELi32ELi8ELb0ELb0ELc67ELc76EKPKdKPdEviT_T0_PT8_S5_lS8_S5_lS6_PT9_S5_li
	.p2align	8
	.type	_ZL37rocblas_syrkx_herkx_restricted_kernelIidLi16ELi32ELi8ELb0ELb0ELc67ELc76EKPKdKPdEviT_T0_PT8_S5_lS8_S5_lS6_PT9_S5_li,@function
_ZL37rocblas_syrkx_herkx_restricted_kernelIidLi16ELi32ELi8ELb0ELb0ELc67ELc76EKPKdKPdEviT_T0_PT8_S5_lS8_S5_lS6_PT9_S5_li: ; @_ZL37rocblas_syrkx_herkx_restricted_kernelIidLi16ELi32ELi8ELb0ELb0ELc67ELc76EKPKdKPdEviT_T0_PT8_S5_lS8_S5_lS6_PT9_S5_li
; %bb.0:
	s_clause 0x1
	s_load_b128 s[4:7], s[0:1], 0x40
	s_load_b64 s[16:17], s[0:1], 0x0
	s_mov_b32 s18, s15
	s_mov_b32 s19, 0
	v_mov_b32_e32 v10, 0
	s_lshl_b64 s[20:21], s[18:19], 3
	v_dual_mov_b32 v11, 0 :: v_dual_and_b32 v12, 0x3ff, v0
	v_bfe_u32 v13, v0, 10, 10
	s_delay_alu instid0(VALU_DEP_3) | instskip(NEXT) | instid1(VALU_DEP_3)
	v_mov_b32_e32 v8, v10
	v_dual_mov_b32 v2, v10 :: v_dual_mov_b32 v3, v11
	v_dual_mov_b32 v9, v11 :: v_dual_mov_b32 v0, v10
	v_mov_b32_e32 v1, v11
	s_waitcnt lgkmcnt(0)
	s_add_u32 s2, s6, s20
	s_addc_u32 s3, s7, s21
	s_load_b128 s[8:11], s[0:1], 0x8
	s_load_b64 s[2:3], s[2:3], 0x0
	s_lshl_b32 s6, s13, 5
	s_lshl_b32 s7, s14, 5
	s_cmp_lt_i32 s17, 1
	s_cbranch_scc1 .LBB572_3
; %bb.1:
	s_clause 0x2
	s_load_b64 s[12:13], s[0:1], 0x28
	s_load_b32 s14, s[0:1], 0x18
	s_load_b32 s15, s[0:1], 0x30
	v_lshl_add_u32 v4, v13, 4, v12
	v_dual_mov_b32 v3, 0 :: v_dual_and_b32 v2, 7, v12
	v_mov_b32_e32 v0, 0
	v_dual_mov_b32 v1, 0 :: v_dual_lshlrev_b32 v14, 3, v12
	s_delay_alu instid0(VALU_DEP_4)
	v_and_b32_e32 v8, 31, v4
	s_waitcnt lgkmcnt(0)
	s_add_u32 s10, s10, s20
	s_addc_u32 s11, s11, s21
	v_lshrrev_b32_e32 v9, 3, v4
	s_load_b64 s[10:11], s[10:11], 0x0
	v_lshrrev_b32_e32 v4, 5, v4
	v_dual_mov_b32 v5, v3 :: v_dual_add_nc_u32 v10, s6, v8
	s_delay_alu instid0(VALU_DEP_3)
	v_add_nc_u32_e32 v16, s7, v9
	v_lshl_add_u32 v15, v13, 6, 0x800
	s_add_u32 s12, s12, s20
	s_addc_u32 s13, s13, s21
	v_mad_i64_i32 v[6:7], null, s14, v10, v[4:5]
	s_load_b64 s[12:13], s[12:13], 0x0
	v_lshlrev_b32_e32 v5, 3, v2
	v_mad_i64_i32 v[10:11], null, s15, v16, v[2:3]
	v_dual_mov_b32 v3, v1 :: v_dual_mov_b32 v2, v0
	s_delay_alu instid0(VALU_DEP_3) | instskip(SKIP_3) | instid1(VALU_DEP_4)
	v_lshl_or_b32 v17, v9, 6, v5
	v_lshlrev_b64 v[5:6], 3, v[6:7]
	v_dual_mov_b32 v9, v1 :: v_dual_lshlrev_b32 v16, 3, v8
	v_lshlrev_b64 v[10:11], 3, v[10:11]
	v_dual_mov_b32 v8, v0 :: v_dual_add_nc_u32 v17, 0x800, v17
	s_delay_alu instid0(VALU_DEP_3)
	v_lshl_or_b32 v16, v4, 8, v16
	s_waitcnt lgkmcnt(0)
	v_add_co_u32 v4, vcc_lo, s10, v5
	v_add_co_ci_u32_e32 v5, vcc_lo, s11, v6, vcc_lo
	v_add_co_u32 v6, vcc_lo, s12, v10
	v_add_co_ci_u32_e32 v7, vcc_lo, s13, v11, vcc_lo
	v_dual_mov_b32 v11, v1 :: v_dual_mov_b32 v10, v0
.LBB572_2:                              ; =>This Inner Loop Header: Depth=1
	global_load_b64 v[18:19], v[4:5], off
	global_load_b64 v[20:21], v[6:7], off
	v_add_co_u32 v6, vcc_lo, v6, 64
	v_add_co_ci_u32_e32 v7, vcc_lo, 0, v7, vcc_lo
	v_add_co_u32 v4, vcc_lo, v4, 64
	v_add_co_ci_u32_e32 v5, vcc_lo, 0, v5, vcc_lo
	s_add_i32 s19, s19, 8
	s_waitcnt vmcnt(1)
	ds_store_b64 v16, v[18:19]
	s_waitcnt vmcnt(0)
	ds_store_b64 v17, v[20:21]
	s_waitcnt lgkmcnt(0)
	s_barrier
	buffer_gl0_inv
	ds_load_2addr_b64 v[18:21], v14 offset1:16
	ds_load_b128 v[22:25], v15
	ds_load_b128 v[26:29], v15 offset:1024
	ds_load_b128 v[30:33], v15 offset:16
	ds_load_b128 v[34:37], v15 offset:1040
	s_cmp_ge_i32 s19, s17
	s_waitcnt lgkmcnt(3)
	v_fma_f64 v[10:11], v[18:19], v[22:23], v[10:11]
	v_fma_f64 v[8:9], v[20:21], v[22:23], v[8:9]
	s_waitcnt lgkmcnt(2)
	v_fma_f64 v[18:19], v[18:19], v[26:27], v[2:3]
	v_fma_f64 v[20:21], v[20:21], v[26:27], v[0:1]
	ds_load_2addr_b64 v[0:3], v14 offset0:32 offset1:48
	s_waitcnt lgkmcnt(0)
	v_fma_f64 v[10:11], v[0:1], v[24:25], v[10:11]
	v_fma_f64 v[8:9], v[2:3], v[24:25], v[8:9]
	v_fma_f64 v[18:19], v[0:1], v[28:29], v[18:19]
	v_fma_f64 v[20:21], v[2:3], v[28:29], v[20:21]
	ds_load_2addr_b64 v[0:3], v14 offset0:64 offset1:80
	s_waitcnt lgkmcnt(0)
	v_fma_f64 v[10:11], v[0:1], v[30:31], v[10:11]
	v_fma_f64 v[8:9], v[2:3], v[30:31], v[8:9]
	;; [unrolled: 6-line block ×3, first 2 shown]
	v_fma_f64 v[34:35], v[0:1], v[36:37], v[18:19]
	v_fma_f64 v[36:37], v[2:3], v[36:37], v[20:21]
	ds_load_2addr_b64 v[0:3], v14 offset0:128 offset1:144
	ds_load_b128 v[8:11], v15 offset:32
	ds_load_b128 v[18:21], v15 offset:1056
	;; [unrolled: 1-line block ×4, first 2 shown]
	s_waitcnt lgkmcnt(3)
	v_fma_f64 v[30:31], v[0:1], v[8:9], v[30:31]
	v_fma_f64 v[8:9], v[2:3], v[8:9], v[32:33]
	s_waitcnt lgkmcnt(2)
	v_fma_f64 v[32:33], v[0:1], v[18:19], v[34:35]
	v_fma_f64 v[18:19], v[2:3], v[18:19], v[36:37]
	ds_load_2addr_b64 v[0:3], v14 offset0:160 offset1:176
	s_waitcnt lgkmcnt(0)
	v_fma_f64 v[30:31], v[0:1], v[10:11], v[30:31]
	v_fma_f64 v[8:9], v[2:3], v[10:11], v[8:9]
	;; [unrolled: 1-line block ×4, first 2 shown]
	ds_load_2addr_b64 v[0:3], v14 offset0:192 offset1:208
	s_waitcnt lgkmcnt(0)
	v_fma_f64 v[30:31], v[0:1], v[22:23], v[30:31]
	v_fma_f64 v[8:9], v[2:3], v[22:23], v[8:9]
	;; [unrolled: 1-line block ×4, first 2 shown]
	ds_load_2addr_b64 v[18:21], v14 offset0:224 offset1:240
	s_waitcnt lgkmcnt(0)
	s_barrier
	buffer_gl0_inv
	v_fma_f64 v[10:11], v[18:19], v[24:25], v[30:31]
	v_fma_f64 v[8:9], v[20:21], v[24:25], v[8:9]
	;; [unrolled: 1-line block ×4, first 2 shown]
	s_cbranch_scc0 .LBB572_2
.LBB572_3:
	s_waitcnt lgkmcnt(0)
	s_load_b32 s10, s[0:1], 0x50
	v_add_nc_u32_e32 v13, s7, v13
	v_add_nc_u32_e32 v4, s6, v12
	s_delay_alu instid0(VALU_DEP_1) | instskip(SKIP_1) | instid1(VALU_DEP_2)
	v_cmp_le_i32_e64 s0, v13, v4
	v_cmp_gt_i32_e32 vcc_lo, s16, v4
	s_and_b32 s0, s0, vcc_lo
	s_waitcnt lgkmcnt(0)
	v_mad_i64_i32 v[5:6], null, v13, s10, 0
	s_delay_alu instid0(VALU_DEP_1) | instskip(NEXT) | instid1(VALU_DEP_1)
	v_lshlrev_b64 v[5:6], 3, v[5:6]
	v_add_co_u32 v12, s1, s2, v5
	s_delay_alu instid0(VALU_DEP_1)
	v_add_co_ci_u32_e64 v14, s1, s3, v6, s1
	s_and_saveexec_b32 s1, s0
	s_cbranch_execz .LBB572_5
; %bb.4:
	v_ashrrev_i32_e32 v5, 31, v4
	s_delay_alu instid0(VALU_DEP_1) | instskip(NEXT) | instid1(VALU_DEP_1)
	v_lshlrev_b64 v[5:6], 3, v[4:5]
	v_add_co_u32 v5, s0, v12, v5
	s_delay_alu instid0(VALU_DEP_1) | instskip(SKIP_3) | instid1(VALU_DEP_1)
	v_add_co_ci_u32_e64 v6, s0, v14, v6, s0
	global_load_b64 v[15:16], v[5:6], off
	s_waitcnt vmcnt(0)
	v_mul_f64 v[15:16], v[15:16], s[4:5]
	v_fma_f64 v[10:11], v[10:11], s[8:9], v[15:16]
	global_store_b64 v[5:6], v[10:11], off
.LBB572_5:
	s_or_b32 exec_lo, exec_lo, s1
	v_add_nc_u32_e32 v6, 16, v4
	s_delay_alu instid0(VALU_DEP_1) | instskip(SKIP_1) | instid1(VALU_DEP_1)
	v_cmp_le_i32_e64 s1, v13, v6
	v_cmp_gt_i32_e64 s0, s16, v6
	s_and_b32 s1, s1, s0
	s_delay_alu instid0(SALU_CYCLE_1)
	s_and_saveexec_b32 s6, s1
	s_cbranch_execz .LBB572_7
; %bb.6:
	v_ashrrev_i32_e32 v7, 31, v6
	s_delay_alu instid0(VALU_DEP_1) | instskip(NEXT) | instid1(VALU_DEP_1)
	v_lshlrev_b64 v[10:11], 3, v[6:7]
	v_add_co_u32 v10, s1, v12, v10
	s_delay_alu instid0(VALU_DEP_1) | instskip(SKIP_3) | instid1(VALU_DEP_1)
	v_add_co_ci_u32_e64 v11, s1, v14, v11, s1
	global_load_b64 v[14:15], v[10:11], off
	s_waitcnt vmcnt(0)
	v_mul_f64 v[14:15], v[14:15], s[4:5]
	v_fma_f64 v[7:8], v[8:9], s[8:9], v[14:15]
	global_store_b64 v[10:11], v[7:8], off
.LBB572_7:
	s_or_b32 exec_lo, exec_lo, s6
	v_add_nc_u32_e32 v7, 16, v13
	s_delay_alu instid0(VALU_DEP_1) | instskip(SKIP_1) | instid1(VALU_DEP_2)
	v_mad_i64_i32 v[8:9], null, v7, s10, 0
	v_cmp_le_i32_e64 s1, v7, v4
	v_lshlrev_b64 v[8:9], 3, v[8:9]
	s_delay_alu instid0(VALU_DEP_1) | instskip(NEXT) | instid1(VALU_DEP_1)
	v_add_co_u32 v8, s2, s2, v8
	v_add_co_ci_u32_e64 v9, s2, s3, v9, s2
	s_delay_alu instid0(VALU_DEP_4) | instskip(NEXT) | instid1(SALU_CYCLE_1)
	s_and_b32 s2, s1, vcc_lo
	s_and_saveexec_b32 s1, s2
	s_cbranch_execz .LBB572_9
; %bb.8:
	v_ashrrev_i32_e32 v5, 31, v4
	s_delay_alu instid0(VALU_DEP_1) | instskip(NEXT) | instid1(VALU_DEP_1)
	v_lshlrev_b64 v[4:5], 3, v[4:5]
	v_add_co_u32 v4, vcc_lo, v8, v4
	s_delay_alu instid0(VALU_DEP_2) | instskip(SKIP_3) | instid1(VALU_DEP_1)
	v_add_co_ci_u32_e32 v5, vcc_lo, v9, v5, vcc_lo
	global_load_b64 v[10:11], v[4:5], off
	s_waitcnt vmcnt(0)
	v_mul_f64 v[10:11], v[10:11], s[4:5]
	v_fma_f64 v[2:3], v[2:3], s[8:9], v[10:11]
	global_store_b64 v[4:5], v[2:3], off
.LBB572_9:
	s_or_b32 exec_lo, exec_lo, s1
	v_cmp_le_i32_e32 vcc_lo, v7, v6
	s_and_b32 s0, vcc_lo, s0
	s_delay_alu instid0(SALU_CYCLE_1)
	s_and_saveexec_b32 s1, s0
	s_cbranch_execz .LBB572_11
; %bb.10:
	v_ashrrev_i32_e32 v7, 31, v6
	s_delay_alu instid0(VALU_DEP_1) | instskip(NEXT) | instid1(VALU_DEP_1)
	v_lshlrev_b64 v[2:3], 3, v[6:7]
	v_add_co_u32 v2, vcc_lo, v8, v2
	s_delay_alu instid0(VALU_DEP_2) | instskip(SKIP_3) | instid1(VALU_DEP_1)
	v_add_co_ci_u32_e32 v3, vcc_lo, v9, v3, vcc_lo
	global_load_b64 v[4:5], v[2:3], off
	s_waitcnt vmcnt(0)
	v_mul_f64 v[4:5], v[4:5], s[4:5]
	v_fma_f64 v[0:1], v[0:1], s[8:9], v[4:5]
	global_store_b64 v[2:3], v[0:1], off
.LBB572_11:
	s_nop 0
	s_sendmsg sendmsg(MSG_DEALLOC_VGPRS)
	s_endpgm
	.section	.rodata,"a",@progbits
	.p2align	6, 0x0
	.amdhsa_kernel _ZL37rocblas_syrkx_herkx_restricted_kernelIidLi16ELi32ELi8ELb0ELb0ELc67ELc76EKPKdKPdEviT_T0_PT8_S5_lS8_S5_lS6_PT9_S5_li
		.amdhsa_group_segment_fixed_size 4096
		.amdhsa_private_segment_fixed_size 0
		.amdhsa_kernarg_size 100
		.amdhsa_user_sgpr_count 13
		.amdhsa_user_sgpr_dispatch_ptr 0
		.amdhsa_user_sgpr_queue_ptr 0
		.amdhsa_user_sgpr_kernarg_segment_ptr 1
		.amdhsa_user_sgpr_dispatch_id 0
		.amdhsa_user_sgpr_private_segment_size 0
		.amdhsa_wavefront_size32 1
		.amdhsa_uses_dynamic_stack 0
		.amdhsa_enable_private_segment 0
		.amdhsa_system_sgpr_workgroup_id_x 1
		.amdhsa_system_sgpr_workgroup_id_y 1
		.amdhsa_system_sgpr_workgroup_id_z 1
		.amdhsa_system_sgpr_workgroup_info 0
		.amdhsa_system_vgpr_workitem_id 1
		.amdhsa_next_free_vgpr 38
		.amdhsa_next_free_sgpr 22
		.amdhsa_reserve_vcc 1
		.amdhsa_float_round_mode_32 0
		.amdhsa_float_round_mode_16_64 0
		.amdhsa_float_denorm_mode_32 3
		.amdhsa_float_denorm_mode_16_64 3
		.amdhsa_dx10_clamp 1
		.amdhsa_ieee_mode 1
		.amdhsa_fp16_overflow 0
		.amdhsa_workgroup_processor_mode 1
		.amdhsa_memory_ordered 1
		.amdhsa_forward_progress 0
		.amdhsa_shared_vgpr_count 0
		.amdhsa_exception_fp_ieee_invalid_op 0
		.amdhsa_exception_fp_denorm_src 0
		.amdhsa_exception_fp_ieee_div_zero 0
		.amdhsa_exception_fp_ieee_overflow 0
		.amdhsa_exception_fp_ieee_underflow 0
		.amdhsa_exception_fp_ieee_inexact 0
		.amdhsa_exception_int_div_zero 0
	.end_amdhsa_kernel
	.section	.text._ZL37rocblas_syrkx_herkx_restricted_kernelIidLi16ELi32ELi8ELb0ELb0ELc67ELc76EKPKdKPdEviT_T0_PT8_S5_lS8_S5_lS6_PT9_S5_li,"axG",@progbits,_ZL37rocblas_syrkx_herkx_restricted_kernelIidLi16ELi32ELi8ELb0ELb0ELc67ELc76EKPKdKPdEviT_T0_PT8_S5_lS8_S5_lS6_PT9_S5_li,comdat
.Lfunc_end572:
	.size	_ZL37rocblas_syrkx_herkx_restricted_kernelIidLi16ELi32ELi8ELb0ELb0ELc67ELc76EKPKdKPdEviT_T0_PT8_S5_lS8_S5_lS6_PT9_S5_li, .Lfunc_end572-_ZL37rocblas_syrkx_herkx_restricted_kernelIidLi16ELi32ELi8ELb0ELb0ELc67ELc76EKPKdKPdEviT_T0_PT8_S5_lS8_S5_lS6_PT9_S5_li
                                        ; -- End function
	.section	.AMDGPU.csdata,"",@progbits
; Kernel info:
; codeLenInByte = 1440
; NumSgprs: 24
; NumVgprs: 38
; ScratchSize: 0
; MemoryBound: 0
; FloatMode: 240
; IeeeMode: 1
; LDSByteSize: 4096 bytes/workgroup (compile time only)
; SGPRBlocks: 2
; VGPRBlocks: 4
; NumSGPRsForWavesPerEU: 24
; NumVGPRsForWavesPerEU: 38
; Occupancy: 16
; WaveLimiterHint : 1
; COMPUTE_PGM_RSRC2:SCRATCH_EN: 0
; COMPUTE_PGM_RSRC2:USER_SGPR: 13
; COMPUTE_PGM_RSRC2:TRAP_HANDLER: 0
; COMPUTE_PGM_RSRC2:TGID_X_EN: 1
; COMPUTE_PGM_RSRC2:TGID_Y_EN: 1
; COMPUTE_PGM_RSRC2:TGID_Z_EN: 1
; COMPUTE_PGM_RSRC2:TIDIG_COMP_CNT: 1
	.section	.text._ZL37rocblas_syrkx_herkx_restricted_kernelIidLi16ELi32ELi8ELb0ELb0ELc78ELc76EKPKdKPdEviT_T0_PT8_S5_lS8_S5_lS6_PT9_S5_li,"axG",@progbits,_ZL37rocblas_syrkx_herkx_restricted_kernelIidLi16ELi32ELi8ELb0ELb0ELc78ELc76EKPKdKPdEviT_T0_PT8_S5_lS8_S5_lS6_PT9_S5_li,comdat
	.globl	_ZL37rocblas_syrkx_herkx_restricted_kernelIidLi16ELi32ELi8ELb0ELb0ELc78ELc76EKPKdKPdEviT_T0_PT8_S5_lS8_S5_lS6_PT9_S5_li ; -- Begin function _ZL37rocblas_syrkx_herkx_restricted_kernelIidLi16ELi32ELi8ELb0ELb0ELc78ELc76EKPKdKPdEviT_T0_PT8_S5_lS8_S5_lS6_PT9_S5_li
	.p2align	8
	.type	_ZL37rocblas_syrkx_herkx_restricted_kernelIidLi16ELi32ELi8ELb0ELb0ELc78ELc76EKPKdKPdEviT_T0_PT8_S5_lS8_S5_lS6_PT9_S5_li,@function
_ZL37rocblas_syrkx_herkx_restricted_kernelIidLi16ELi32ELi8ELb0ELb0ELc78ELc76EKPKdKPdEviT_T0_PT8_S5_lS8_S5_lS6_PT9_S5_li: ; @_ZL37rocblas_syrkx_herkx_restricted_kernelIidLi16ELi32ELi8ELb0ELb0ELc78ELc76EKPKdKPdEviT_T0_PT8_S5_lS8_S5_lS6_PT9_S5_li
; %bb.0:
	s_clause 0x1
	s_load_b128 s[4:7], s[0:1], 0x40
	s_load_b64 s[16:17], s[0:1], 0x0
	s_mov_b32 s18, s15
	s_mov_b32 s19, 0
	v_mov_b32_e32 v10, 0
	s_lshl_b64 s[20:21], s[18:19], 3
	v_dual_mov_b32 v11, 0 :: v_dual_and_b32 v12, 0x3ff, v0
	v_bfe_u32 v13, v0, 10, 10
	s_delay_alu instid0(VALU_DEP_3) | instskip(NEXT) | instid1(VALU_DEP_3)
	v_mov_b32_e32 v8, v10
	v_dual_mov_b32 v2, v10 :: v_dual_mov_b32 v3, v11
	v_dual_mov_b32 v9, v11 :: v_dual_mov_b32 v0, v10
	v_mov_b32_e32 v1, v11
	s_waitcnt lgkmcnt(0)
	s_add_u32 s2, s6, s20
	s_addc_u32 s3, s7, s21
	s_load_b128 s[8:11], s[0:1], 0x8
	s_load_b64 s[2:3], s[2:3], 0x0
	s_lshl_b32 s12, s13, 5
	s_lshl_b32 s13, s14, 5
	s_cmp_lt_i32 s17, 1
	s_cbranch_scc1 .LBB573_3
; %bb.1:
	s_clause 0x2
	s_load_b32 s14, s[0:1], 0x18
	s_load_b32 s6, s[0:1], 0x30
	s_load_b64 s[22:23], s[0:1], 0x28
	v_lshl_add_u32 v2, v13, 4, v12
	v_mov_b32_e32 v0, 0
	v_dual_mov_b32 v1, 0 :: v_dual_and_b32 v8, 7, v12
	v_lshlrev_b32_e32 v14, 3, v12
	s_delay_alu instid0(VALU_DEP_4)
	v_and_b32_e32 v10, 31, v2
	v_lshrrev_b32_e32 v9, 3, v2
	v_lshrrev_b32_e32 v11, 5, v2
	v_lshlrev_b32_e32 v16, 3, v8
	v_lshl_add_u32 v15, v13, 6, 0x800
	v_add_nc_u32_e32 v4, s12, v10
	v_add_nc_u32_e32 v2, s13, v9
	s_delay_alu instid0(VALU_DEP_4) | instskip(NEXT) | instid1(VALU_DEP_3)
	v_lshl_or_b32 v17, v9, 6, v16
	v_ashrrev_i32_e32 v5, 31, v4
	s_delay_alu instid0(VALU_DEP_3)
	v_ashrrev_i32_e32 v3, 31, v2
	s_waitcnt lgkmcnt(0)
	s_ashr_i32 s15, s14, 31
	s_ashr_i32 s7, s6, 31
	s_add_u32 s10, s10, s20
	s_addc_u32 s11, s11, s21
	s_add_u32 s20, s22, s20
	s_load_b64 s[10:11], s[10:11], 0x0
	s_addc_u32 s21, s23, s21
	v_mad_i64_i32 v[6:7], null, s14, v11, v[4:5]
	s_load_b64 s[20:21], s[20:21], 0x0
	v_mad_i64_i32 v[4:5], null, s6, v8, v[2:3]
	v_dual_mov_b32 v3, v1 :: v_dual_lshlrev_b32 v10, 3, v10
	v_mov_b32_e32 v9, v1
	s_delay_alu instid0(VALU_DEP_4)
	v_lshlrev_b64 v[6:7], 3, v[6:7]
	v_mov_b32_e32 v2, v0
	v_mov_b32_e32 v8, v0
	v_lshl_or_b32 v16, v11, 8, v10
	v_lshlrev_b64 v[10:11], 3, v[4:5]
	v_add_nc_u32_e32 v17, 0x800, v17
	s_lshl_b64 s[6:7], s[6:7], 6
	s_waitcnt lgkmcnt(0)
	v_add_co_u32 v4, vcc_lo, s10, v6
	v_add_co_ci_u32_e32 v5, vcc_lo, s11, v7, vcc_lo
	v_add_co_u32 v6, vcc_lo, s20, v10
	v_add_co_ci_u32_e32 v7, vcc_lo, s21, v11, vcc_lo
	v_dual_mov_b32 v11, v1 :: v_dual_mov_b32 v10, v0
	s_lshl_b64 s[10:11], s[14:15], 6
.LBB573_2:                              ; =>This Inner Loop Header: Depth=1
	global_load_b64 v[18:19], v[4:5], off
	global_load_b64 v[20:21], v[6:7], off
	v_add_co_u32 v6, vcc_lo, v6, s6
	v_add_co_ci_u32_e32 v7, vcc_lo, s7, v7, vcc_lo
	v_add_co_u32 v4, vcc_lo, v4, s10
	v_add_co_ci_u32_e32 v5, vcc_lo, s11, v5, vcc_lo
	s_add_i32 s19, s19, 8
	s_waitcnt vmcnt(1)
	ds_store_b64 v16, v[18:19]
	s_waitcnt vmcnt(0)
	ds_store_b64 v17, v[20:21]
	s_waitcnt lgkmcnt(0)
	s_barrier
	buffer_gl0_inv
	ds_load_2addr_b64 v[18:21], v14 offset1:16
	ds_load_b128 v[22:25], v15
	ds_load_b128 v[26:29], v15 offset:1024
	ds_load_b128 v[30:33], v15 offset:16
	;; [unrolled: 1-line block ×3, first 2 shown]
	s_cmp_ge_i32 s19, s17
	s_waitcnt lgkmcnt(3)
	v_fma_f64 v[10:11], v[18:19], v[22:23], v[10:11]
	v_fma_f64 v[8:9], v[20:21], v[22:23], v[8:9]
	s_waitcnt lgkmcnt(2)
	v_fma_f64 v[18:19], v[18:19], v[26:27], v[2:3]
	v_fma_f64 v[20:21], v[20:21], v[26:27], v[0:1]
	ds_load_2addr_b64 v[0:3], v14 offset0:32 offset1:48
	s_waitcnt lgkmcnt(0)
	v_fma_f64 v[10:11], v[0:1], v[24:25], v[10:11]
	v_fma_f64 v[8:9], v[2:3], v[24:25], v[8:9]
	v_fma_f64 v[18:19], v[0:1], v[28:29], v[18:19]
	v_fma_f64 v[20:21], v[2:3], v[28:29], v[20:21]
	ds_load_2addr_b64 v[0:3], v14 offset0:64 offset1:80
	s_waitcnt lgkmcnt(0)
	v_fma_f64 v[10:11], v[0:1], v[30:31], v[10:11]
	v_fma_f64 v[8:9], v[2:3], v[30:31], v[8:9]
	;; [unrolled: 6-line block ×3, first 2 shown]
	v_fma_f64 v[34:35], v[0:1], v[36:37], v[18:19]
	v_fma_f64 v[36:37], v[2:3], v[36:37], v[20:21]
	ds_load_2addr_b64 v[0:3], v14 offset0:128 offset1:144
	ds_load_b128 v[8:11], v15 offset:32
	ds_load_b128 v[18:21], v15 offset:1056
	;; [unrolled: 1-line block ×4, first 2 shown]
	s_waitcnt lgkmcnt(3)
	v_fma_f64 v[30:31], v[0:1], v[8:9], v[30:31]
	v_fma_f64 v[8:9], v[2:3], v[8:9], v[32:33]
	s_waitcnt lgkmcnt(2)
	v_fma_f64 v[32:33], v[0:1], v[18:19], v[34:35]
	v_fma_f64 v[18:19], v[2:3], v[18:19], v[36:37]
	ds_load_2addr_b64 v[0:3], v14 offset0:160 offset1:176
	s_waitcnt lgkmcnt(0)
	v_fma_f64 v[30:31], v[0:1], v[10:11], v[30:31]
	v_fma_f64 v[8:9], v[2:3], v[10:11], v[8:9]
	;; [unrolled: 1-line block ×4, first 2 shown]
	ds_load_2addr_b64 v[0:3], v14 offset0:192 offset1:208
	s_waitcnt lgkmcnt(0)
	v_fma_f64 v[30:31], v[0:1], v[22:23], v[30:31]
	v_fma_f64 v[8:9], v[2:3], v[22:23], v[8:9]
	;; [unrolled: 1-line block ×4, first 2 shown]
	ds_load_2addr_b64 v[18:21], v14 offset0:224 offset1:240
	s_waitcnt lgkmcnt(0)
	s_barrier
	buffer_gl0_inv
	v_fma_f64 v[10:11], v[18:19], v[24:25], v[30:31]
	v_fma_f64 v[8:9], v[20:21], v[24:25], v[8:9]
	;; [unrolled: 1-line block ×4, first 2 shown]
	s_cbranch_scc0 .LBB573_2
.LBB573_3:
	s_load_b32 s6, s[0:1], 0x50
	v_add_nc_u32_e32 v13, s13, v13
	v_add_nc_u32_e32 v4, s12, v12
	s_delay_alu instid0(VALU_DEP_1) | instskip(SKIP_1) | instid1(VALU_DEP_2)
	v_cmp_le_i32_e64 s0, v13, v4
	v_cmp_gt_i32_e32 vcc_lo, s16, v4
	s_and_b32 s0, s0, vcc_lo
	s_waitcnt lgkmcnt(0)
	v_mad_i64_i32 v[5:6], null, v13, s6, 0
	s_delay_alu instid0(VALU_DEP_1) | instskip(NEXT) | instid1(VALU_DEP_1)
	v_lshlrev_b64 v[5:6], 3, v[5:6]
	v_add_co_u32 v12, s1, s2, v5
	s_delay_alu instid0(VALU_DEP_1)
	v_add_co_ci_u32_e64 v14, s1, s3, v6, s1
	s_and_saveexec_b32 s1, s0
	s_cbranch_execz .LBB573_5
; %bb.4:
	v_ashrrev_i32_e32 v5, 31, v4
	s_delay_alu instid0(VALU_DEP_1) | instskip(NEXT) | instid1(VALU_DEP_1)
	v_lshlrev_b64 v[5:6], 3, v[4:5]
	v_add_co_u32 v5, s0, v12, v5
	s_delay_alu instid0(VALU_DEP_1) | instskip(SKIP_3) | instid1(VALU_DEP_1)
	v_add_co_ci_u32_e64 v6, s0, v14, v6, s0
	global_load_b64 v[15:16], v[5:6], off
	s_waitcnt vmcnt(0)
	v_mul_f64 v[15:16], v[15:16], s[4:5]
	v_fma_f64 v[10:11], v[10:11], s[8:9], v[15:16]
	global_store_b64 v[5:6], v[10:11], off
.LBB573_5:
	s_or_b32 exec_lo, exec_lo, s1
	v_add_nc_u32_e32 v6, 16, v4
	s_delay_alu instid0(VALU_DEP_1) | instskip(SKIP_1) | instid1(VALU_DEP_1)
	v_cmp_le_i32_e64 s1, v13, v6
	v_cmp_gt_i32_e64 s0, s16, v6
	s_and_b32 s1, s1, s0
	s_delay_alu instid0(SALU_CYCLE_1)
	s_and_saveexec_b32 s7, s1
	s_cbranch_execz .LBB573_7
; %bb.6:
	v_ashrrev_i32_e32 v7, 31, v6
	s_delay_alu instid0(VALU_DEP_1) | instskip(NEXT) | instid1(VALU_DEP_1)
	v_lshlrev_b64 v[10:11], 3, v[6:7]
	v_add_co_u32 v10, s1, v12, v10
	s_delay_alu instid0(VALU_DEP_1) | instskip(SKIP_3) | instid1(VALU_DEP_1)
	v_add_co_ci_u32_e64 v11, s1, v14, v11, s1
	global_load_b64 v[14:15], v[10:11], off
	s_waitcnt vmcnt(0)
	v_mul_f64 v[14:15], v[14:15], s[4:5]
	v_fma_f64 v[7:8], v[8:9], s[8:9], v[14:15]
	global_store_b64 v[10:11], v[7:8], off
.LBB573_7:
	s_or_b32 exec_lo, exec_lo, s7
	v_add_nc_u32_e32 v7, 16, v13
	s_delay_alu instid0(VALU_DEP_1) | instskip(SKIP_1) | instid1(VALU_DEP_2)
	v_mad_i64_i32 v[8:9], null, v7, s6, 0
	v_cmp_le_i32_e64 s1, v7, v4
	v_lshlrev_b64 v[8:9], 3, v[8:9]
	s_delay_alu instid0(VALU_DEP_1) | instskip(NEXT) | instid1(VALU_DEP_1)
	v_add_co_u32 v8, s2, s2, v8
	v_add_co_ci_u32_e64 v9, s2, s3, v9, s2
	s_delay_alu instid0(VALU_DEP_4) | instskip(NEXT) | instid1(SALU_CYCLE_1)
	s_and_b32 s2, s1, vcc_lo
	s_and_saveexec_b32 s1, s2
	s_cbranch_execz .LBB573_9
; %bb.8:
	v_ashrrev_i32_e32 v5, 31, v4
	s_delay_alu instid0(VALU_DEP_1) | instskip(NEXT) | instid1(VALU_DEP_1)
	v_lshlrev_b64 v[4:5], 3, v[4:5]
	v_add_co_u32 v4, vcc_lo, v8, v4
	s_delay_alu instid0(VALU_DEP_2) | instskip(SKIP_3) | instid1(VALU_DEP_1)
	v_add_co_ci_u32_e32 v5, vcc_lo, v9, v5, vcc_lo
	global_load_b64 v[10:11], v[4:5], off
	s_waitcnt vmcnt(0)
	v_mul_f64 v[10:11], v[10:11], s[4:5]
	v_fma_f64 v[2:3], v[2:3], s[8:9], v[10:11]
	global_store_b64 v[4:5], v[2:3], off
.LBB573_9:
	s_or_b32 exec_lo, exec_lo, s1
	v_cmp_le_i32_e32 vcc_lo, v7, v6
	s_and_b32 s0, vcc_lo, s0
	s_delay_alu instid0(SALU_CYCLE_1)
	s_and_saveexec_b32 s1, s0
	s_cbranch_execz .LBB573_11
; %bb.10:
	v_ashrrev_i32_e32 v7, 31, v6
	s_delay_alu instid0(VALU_DEP_1) | instskip(NEXT) | instid1(VALU_DEP_1)
	v_lshlrev_b64 v[2:3], 3, v[6:7]
	v_add_co_u32 v2, vcc_lo, v8, v2
	s_delay_alu instid0(VALU_DEP_2) | instskip(SKIP_3) | instid1(VALU_DEP_1)
	v_add_co_ci_u32_e32 v3, vcc_lo, v9, v3, vcc_lo
	global_load_b64 v[4:5], v[2:3], off
	s_waitcnt vmcnt(0)
	v_mul_f64 v[4:5], v[4:5], s[4:5]
	v_fma_f64 v[0:1], v[0:1], s[8:9], v[4:5]
	global_store_b64 v[2:3], v[0:1], off
.LBB573_11:
	s_nop 0
	s_sendmsg sendmsg(MSG_DEALLOC_VGPRS)
	s_endpgm
	.section	.rodata,"a",@progbits
	.p2align	6, 0x0
	.amdhsa_kernel _ZL37rocblas_syrkx_herkx_restricted_kernelIidLi16ELi32ELi8ELb0ELb0ELc78ELc76EKPKdKPdEviT_T0_PT8_S5_lS8_S5_lS6_PT9_S5_li
		.amdhsa_group_segment_fixed_size 4096
		.amdhsa_private_segment_fixed_size 0
		.amdhsa_kernarg_size 100
		.amdhsa_user_sgpr_count 13
		.amdhsa_user_sgpr_dispatch_ptr 0
		.amdhsa_user_sgpr_queue_ptr 0
		.amdhsa_user_sgpr_kernarg_segment_ptr 1
		.amdhsa_user_sgpr_dispatch_id 0
		.amdhsa_user_sgpr_private_segment_size 0
		.amdhsa_wavefront_size32 1
		.amdhsa_uses_dynamic_stack 0
		.amdhsa_enable_private_segment 0
		.amdhsa_system_sgpr_workgroup_id_x 1
		.amdhsa_system_sgpr_workgroup_id_y 1
		.amdhsa_system_sgpr_workgroup_id_z 1
		.amdhsa_system_sgpr_workgroup_info 0
		.amdhsa_system_vgpr_workitem_id 1
		.amdhsa_next_free_vgpr 38
		.amdhsa_next_free_sgpr 24
		.amdhsa_reserve_vcc 1
		.amdhsa_float_round_mode_32 0
		.amdhsa_float_round_mode_16_64 0
		.amdhsa_float_denorm_mode_32 3
		.amdhsa_float_denorm_mode_16_64 3
		.amdhsa_dx10_clamp 1
		.amdhsa_ieee_mode 1
		.amdhsa_fp16_overflow 0
		.amdhsa_workgroup_processor_mode 1
		.amdhsa_memory_ordered 1
		.amdhsa_forward_progress 0
		.amdhsa_shared_vgpr_count 0
		.amdhsa_exception_fp_ieee_invalid_op 0
		.amdhsa_exception_fp_denorm_src 0
		.amdhsa_exception_fp_ieee_div_zero 0
		.amdhsa_exception_fp_ieee_overflow 0
		.amdhsa_exception_fp_ieee_underflow 0
		.amdhsa_exception_fp_ieee_inexact 0
		.amdhsa_exception_int_div_zero 0
	.end_amdhsa_kernel
	.section	.text._ZL37rocblas_syrkx_herkx_restricted_kernelIidLi16ELi32ELi8ELb0ELb0ELc78ELc76EKPKdKPdEviT_T0_PT8_S5_lS8_S5_lS6_PT9_S5_li,"axG",@progbits,_ZL37rocblas_syrkx_herkx_restricted_kernelIidLi16ELi32ELi8ELb0ELb0ELc78ELc76EKPKdKPdEviT_T0_PT8_S5_lS8_S5_lS6_PT9_S5_li,comdat
.Lfunc_end573:
	.size	_ZL37rocblas_syrkx_herkx_restricted_kernelIidLi16ELi32ELi8ELb0ELb0ELc78ELc76EKPKdKPdEviT_T0_PT8_S5_lS8_S5_lS6_PT9_S5_li, .Lfunc_end573-_ZL37rocblas_syrkx_herkx_restricted_kernelIidLi16ELi32ELi8ELb0ELb0ELc78ELc76EKPKdKPdEviT_T0_PT8_S5_lS8_S5_lS6_PT9_S5_li
                                        ; -- End function
	.section	.AMDGPU.csdata,"",@progbits
; Kernel info:
; codeLenInByte = 1452
; NumSgprs: 26
; NumVgprs: 38
; ScratchSize: 0
; MemoryBound: 0
; FloatMode: 240
; IeeeMode: 1
; LDSByteSize: 4096 bytes/workgroup (compile time only)
; SGPRBlocks: 3
; VGPRBlocks: 4
; NumSGPRsForWavesPerEU: 26
; NumVGPRsForWavesPerEU: 38
; Occupancy: 16
; WaveLimiterHint : 1
; COMPUTE_PGM_RSRC2:SCRATCH_EN: 0
; COMPUTE_PGM_RSRC2:USER_SGPR: 13
; COMPUTE_PGM_RSRC2:TRAP_HANDLER: 0
; COMPUTE_PGM_RSRC2:TGID_X_EN: 1
; COMPUTE_PGM_RSRC2:TGID_Y_EN: 1
; COMPUTE_PGM_RSRC2:TGID_Z_EN: 1
; COMPUTE_PGM_RSRC2:TIDIG_COMP_CNT: 1
	.section	.text._ZL37rocblas_syrkx_herkx_restricted_kernelIidLi16ELi32ELi8ELb0ELb0ELc84ELc85EKPKdKPdEviT_T0_PT8_S5_lS8_S5_lS6_PT9_S5_li,"axG",@progbits,_ZL37rocblas_syrkx_herkx_restricted_kernelIidLi16ELi32ELi8ELb0ELb0ELc84ELc85EKPKdKPdEviT_T0_PT8_S5_lS8_S5_lS6_PT9_S5_li,comdat
	.globl	_ZL37rocblas_syrkx_herkx_restricted_kernelIidLi16ELi32ELi8ELb0ELb0ELc84ELc85EKPKdKPdEviT_T0_PT8_S5_lS8_S5_lS6_PT9_S5_li ; -- Begin function _ZL37rocblas_syrkx_herkx_restricted_kernelIidLi16ELi32ELi8ELb0ELb0ELc84ELc85EKPKdKPdEviT_T0_PT8_S5_lS8_S5_lS6_PT9_S5_li
	.p2align	8
	.type	_ZL37rocblas_syrkx_herkx_restricted_kernelIidLi16ELi32ELi8ELb0ELb0ELc84ELc85EKPKdKPdEviT_T0_PT8_S5_lS8_S5_lS6_PT9_S5_li,@function
_ZL37rocblas_syrkx_herkx_restricted_kernelIidLi16ELi32ELi8ELb0ELb0ELc84ELc85EKPKdKPdEviT_T0_PT8_S5_lS8_S5_lS6_PT9_S5_li: ; @_ZL37rocblas_syrkx_herkx_restricted_kernelIidLi16ELi32ELi8ELb0ELb0ELc84ELc85EKPKdKPdEviT_T0_PT8_S5_lS8_S5_lS6_PT9_S5_li
; %bb.0:
	s_clause 0x1
	s_load_b128 s[4:7], s[0:1], 0x40
	s_load_b64 s[2:3], s[0:1], 0x0
	s_mov_b32 s16, s15
	s_mov_b32 s17, 0
	v_mov_b32_e32 v10, 0
	s_lshl_b64 s[18:19], s[16:17], 3
	v_dual_mov_b32 v11, 0 :: v_dual_and_b32 v12, 0x3ff, v0
	v_bfe_u32 v13, v0, 10, 10
	s_delay_alu instid0(VALU_DEP_3) | instskip(NEXT) | instid1(VALU_DEP_3)
	v_mov_b32_e32 v8, v10
	v_dual_mov_b32 v2, v10 :: v_dual_mov_b32 v3, v11
	v_dual_mov_b32 v9, v11 :: v_dual_mov_b32 v0, v10
	v_mov_b32_e32 v1, v11
	s_waitcnt lgkmcnt(0)
	s_add_u32 s6, s6, s18
	s_addc_u32 s7, s7, s19
	s_load_b128 s[8:11], s[0:1], 0x8
	s_load_b64 s[6:7], s[6:7], 0x0
	s_lshl_b32 s12, s13, 5
	s_lshl_b32 s13, s14, 5
	s_cmp_lt_i32 s3, 1
	s_cbranch_scc1 .LBB574_3
; %bb.1:
	s_clause 0x2
	s_load_b64 s[14:15], s[0:1], 0x28
	s_load_b32 s16, s[0:1], 0x18
	s_load_b32 s20, s[0:1], 0x30
	v_lshl_add_u32 v4, v13, 4, v12
	v_dual_mov_b32 v3, 0 :: v_dual_and_b32 v2, 7, v12
	v_mov_b32_e32 v0, 0
	v_dual_mov_b32 v1, 0 :: v_dual_lshlrev_b32 v14, 3, v12
	s_delay_alu instid0(VALU_DEP_4)
	v_and_b32_e32 v8, 31, v4
	s_waitcnt lgkmcnt(0)
	s_add_u32 s10, s10, s18
	s_addc_u32 s11, s11, s19
	v_lshrrev_b32_e32 v9, 3, v4
	s_load_b64 s[10:11], s[10:11], 0x0
	v_lshrrev_b32_e32 v4, 5, v4
	v_dual_mov_b32 v5, v3 :: v_dual_add_nc_u32 v10, s12, v8
	s_delay_alu instid0(VALU_DEP_3)
	v_add_nc_u32_e32 v16, s13, v9
	v_lshl_add_u32 v15, v13, 6, 0x800
	s_add_u32 s14, s14, s18
	s_addc_u32 s15, s15, s19
	v_mad_i64_i32 v[6:7], null, s16, v10, v[4:5]
	s_load_b64 s[14:15], s[14:15], 0x0
	v_lshlrev_b32_e32 v5, 3, v2
	v_mad_i64_i32 v[10:11], null, s20, v16, v[2:3]
	v_dual_mov_b32 v3, v1 :: v_dual_mov_b32 v2, v0
	s_delay_alu instid0(VALU_DEP_3) | instskip(SKIP_3) | instid1(VALU_DEP_4)
	v_lshl_or_b32 v17, v9, 6, v5
	v_lshlrev_b64 v[5:6], 3, v[6:7]
	v_dual_mov_b32 v9, v1 :: v_dual_lshlrev_b32 v16, 3, v8
	v_lshlrev_b64 v[10:11], 3, v[10:11]
	v_dual_mov_b32 v8, v0 :: v_dual_add_nc_u32 v17, 0x800, v17
	s_delay_alu instid0(VALU_DEP_3)
	v_lshl_or_b32 v16, v4, 8, v16
	s_waitcnt lgkmcnt(0)
	v_add_co_u32 v4, vcc_lo, s10, v5
	v_add_co_ci_u32_e32 v5, vcc_lo, s11, v6, vcc_lo
	v_add_co_u32 v6, vcc_lo, s14, v10
	v_add_co_ci_u32_e32 v7, vcc_lo, s15, v11, vcc_lo
	v_dual_mov_b32 v11, v1 :: v_dual_mov_b32 v10, v0
.LBB574_2:                              ; =>This Inner Loop Header: Depth=1
	global_load_b64 v[18:19], v[4:5], off
	global_load_b64 v[20:21], v[6:7], off
	v_add_co_u32 v6, vcc_lo, v6, 64
	v_add_co_ci_u32_e32 v7, vcc_lo, 0, v7, vcc_lo
	v_add_co_u32 v4, vcc_lo, v4, 64
	v_add_co_ci_u32_e32 v5, vcc_lo, 0, v5, vcc_lo
	s_add_i32 s17, s17, 8
	s_waitcnt vmcnt(1)
	ds_store_b64 v16, v[18:19]
	s_waitcnt vmcnt(0)
	ds_store_b64 v17, v[20:21]
	s_waitcnt lgkmcnt(0)
	s_barrier
	buffer_gl0_inv
	ds_load_2addr_b64 v[18:21], v14 offset1:16
	ds_load_b128 v[22:25], v15
	ds_load_b128 v[26:29], v15 offset:1024
	ds_load_b128 v[30:33], v15 offset:16
	;; [unrolled: 1-line block ×3, first 2 shown]
	s_cmp_ge_i32 s17, s3
	s_waitcnt lgkmcnt(3)
	v_fma_f64 v[10:11], v[18:19], v[22:23], v[10:11]
	v_fma_f64 v[8:9], v[20:21], v[22:23], v[8:9]
	s_waitcnt lgkmcnt(2)
	v_fma_f64 v[18:19], v[18:19], v[26:27], v[2:3]
	v_fma_f64 v[20:21], v[20:21], v[26:27], v[0:1]
	ds_load_2addr_b64 v[0:3], v14 offset0:32 offset1:48
	s_waitcnt lgkmcnt(0)
	v_fma_f64 v[10:11], v[0:1], v[24:25], v[10:11]
	v_fma_f64 v[8:9], v[2:3], v[24:25], v[8:9]
	v_fma_f64 v[18:19], v[0:1], v[28:29], v[18:19]
	v_fma_f64 v[20:21], v[2:3], v[28:29], v[20:21]
	ds_load_2addr_b64 v[0:3], v14 offset0:64 offset1:80
	s_waitcnt lgkmcnt(0)
	v_fma_f64 v[10:11], v[0:1], v[30:31], v[10:11]
	v_fma_f64 v[8:9], v[2:3], v[30:31], v[8:9]
	;; [unrolled: 6-line block ×3, first 2 shown]
	v_fma_f64 v[34:35], v[0:1], v[36:37], v[18:19]
	v_fma_f64 v[36:37], v[2:3], v[36:37], v[20:21]
	ds_load_2addr_b64 v[0:3], v14 offset0:128 offset1:144
	ds_load_b128 v[8:11], v15 offset:32
	ds_load_b128 v[18:21], v15 offset:1056
	;; [unrolled: 1-line block ×4, first 2 shown]
	s_waitcnt lgkmcnt(3)
	v_fma_f64 v[30:31], v[0:1], v[8:9], v[30:31]
	v_fma_f64 v[8:9], v[2:3], v[8:9], v[32:33]
	s_waitcnt lgkmcnt(2)
	v_fma_f64 v[32:33], v[0:1], v[18:19], v[34:35]
	v_fma_f64 v[18:19], v[2:3], v[18:19], v[36:37]
	ds_load_2addr_b64 v[0:3], v14 offset0:160 offset1:176
	s_waitcnt lgkmcnt(0)
	v_fma_f64 v[30:31], v[0:1], v[10:11], v[30:31]
	v_fma_f64 v[8:9], v[2:3], v[10:11], v[8:9]
	;; [unrolled: 1-line block ×4, first 2 shown]
	ds_load_2addr_b64 v[0:3], v14 offset0:192 offset1:208
	s_waitcnt lgkmcnt(0)
	v_fma_f64 v[30:31], v[0:1], v[22:23], v[30:31]
	v_fma_f64 v[8:9], v[2:3], v[22:23], v[8:9]
	;; [unrolled: 1-line block ×4, first 2 shown]
	ds_load_2addr_b64 v[18:21], v14 offset0:224 offset1:240
	s_waitcnt lgkmcnt(0)
	s_barrier
	buffer_gl0_inv
	v_fma_f64 v[10:11], v[18:19], v[24:25], v[30:31]
	v_fma_f64 v[8:9], v[20:21], v[24:25], v[8:9]
	;; [unrolled: 1-line block ×4, first 2 shown]
	s_cbranch_scc0 .LBB574_2
.LBB574_3:
	s_load_b32 s3, s[0:1], 0x50
	v_add_nc_u32_e32 v13, s13, v13
	v_add_nc_u32_e32 v4, s12, v12
	s_delay_alu instid0(VALU_DEP_2) | instskip(NEXT) | instid1(VALU_DEP_2)
	v_cmp_gt_i32_e32 vcc_lo, s2, v13
	v_cmp_le_i32_e64 s0, v4, v13
	s_delay_alu instid0(VALU_DEP_1) | instskip(SKIP_2) | instid1(VALU_DEP_1)
	s_and_b32 s0, vcc_lo, s0
	s_waitcnt lgkmcnt(0)
	v_mad_i64_i32 v[5:6], null, v13, s3, 0
	v_lshlrev_b64 v[5:6], 3, v[5:6]
	s_delay_alu instid0(VALU_DEP_1) | instskip(NEXT) | instid1(VALU_DEP_1)
	v_add_co_u32 v12, s1, s6, v5
	v_add_co_ci_u32_e64 v14, s1, s7, v6, s1
	s_and_saveexec_b32 s1, s0
	s_cbranch_execz .LBB574_5
; %bb.4:
	v_ashrrev_i32_e32 v5, 31, v4
	s_delay_alu instid0(VALU_DEP_1) | instskip(NEXT) | instid1(VALU_DEP_1)
	v_lshlrev_b64 v[5:6], 3, v[4:5]
	v_add_co_u32 v5, s0, v12, v5
	s_delay_alu instid0(VALU_DEP_1) | instskip(SKIP_3) | instid1(VALU_DEP_1)
	v_add_co_ci_u32_e64 v6, s0, v14, v6, s0
	global_load_b64 v[15:16], v[5:6], off
	s_waitcnt vmcnt(0)
	v_mul_f64 v[15:16], v[15:16], s[4:5]
	v_fma_f64 v[10:11], v[10:11], s[8:9], v[15:16]
	global_store_b64 v[5:6], v[10:11], off
.LBB574_5:
	s_or_b32 exec_lo, exec_lo, s1
	v_add_nc_u32_e32 v6, 16, v4
	s_delay_alu instid0(VALU_DEP_1) | instskip(NEXT) | instid1(VALU_DEP_1)
	v_cmp_le_i32_e64 s0, v6, v13
	s_and_b32 s1, vcc_lo, s0
	s_delay_alu instid0(SALU_CYCLE_1)
	s_and_saveexec_b32 s0, s1
	s_cbranch_execz .LBB574_7
; %bb.6:
	v_ashrrev_i32_e32 v7, 31, v6
	s_delay_alu instid0(VALU_DEP_1) | instskip(NEXT) | instid1(VALU_DEP_1)
	v_lshlrev_b64 v[10:11], 3, v[6:7]
	v_add_co_u32 v10, vcc_lo, v12, v10
	s_delay_alu instid0(VALU_DEP_2) | instskip(SKIP_3) | instid1(VALU_DEP_1)
	v_add_co_ci_u32_e32 v11, vcc_lo, v14, v11, vcc_lo
	global_load_b64 v[14:15], v[10:11], off
	s_waitcnt vmcnt(0)
	v_mul_f64 v[14:15], v[14:15], s[4:5]
	v_fma_f64 v[7:8], v[8:9], s[8:9], v[14:15]
	global_store_b64 v[10:11], v[7:8], off
.LBB574_7:
	s_or_b32 exec_lo, exec_lo, s0
	v_add_nc_u32_e32 v7, 16, v13
	s_delay_alu instid0(VALU_DEP_1) | instskip(SKIP_2) | instid1(VALU_DEP_1)
	v_mad_i64_i32 v[8:9], null, v7, s3, 0
	v_cmp_gt_i32_e32 vcc_lo, s2, v7
	v_cmp_le_i32_e64 s0, v4, v7
	s_and_b32 s0, vcc_lo, s0
	s_delay_alu instid0(VALU_DEP_3) | instskip(NEXT) | instid1(VALU_DEP_1)
	v_lshlrev_b64 v[8:9], 3, v[8:9]
	v_add_co_u32 v8, s1, s6, v8
	s_delay_alu instid0(VALU_DEP_1)
	v_add_co_ci_u32_e64 v9, s1, s7, v9, s1
	s_and_saveexec_b32 s1, s0
	s_cbranch_execz .LBB574_9
; %bb.8:
	v_ashrrev_i32_e32 v5, 31, v4
	s_delay_alu instid0(VALU_DEP_1) | instskip(NEXT) | instid1(VALU_DEP_1)
	v_lshlrev_b64 v[4:5], 3, v[4:5]
	v_add_co_u32 v4, s0, v8, v4
	s_delay_alu instid0(VALU_DEP_1) | instskip(SKIP_3) | instid1(VALU_DEP_1)
	v_add_co_ci_u32_e64 v5, s0, v9, v5, s0
	global_load_b64 v[10:11], v[4:5], off
	s_waitcnt vmcnt(0)
	v_mul_f64 v[10:11], v[10:11], s[4:5]
	v_fma_f64 v[2:3], v[2:3], s[8:9], v[10:11]
	global_store_b64 v[4:5], v[2:3], off
.LBB574_9:
	s_or_b32 exec_lo, exec_lo, s1
	v_cmp_le_i32_e64 s0, v6, v7
	s_delay_alu instid0(VALU_DEP_1) | instskip(NEXT) | instid1(SALU_CYCLE_1)
	s_and_b32 s0, vcc_lo, s0
	s_and_saveexec_b32 s1, s0
	s_cbranch_execz .LBB574_11
; %bb.10:
	v_ashrrev_i32_e32 v7, 31, v6
	s_delay_alu instid0(VALU_DEP_1) | instskip(NEXT) | instid1(VALU_DEP_1)
	v_lshlrev_b64 v[2:3], 3, v[6:7]
	v_add_co_u32 v2, vcc_lo, v8, v2
	s_delay_alu instid0(VALU_DEP_2) | instskip(SKIP_3) | instid1(VALU_DEP_1)
	v_add_co_ci_u32_e32 v3, vcc_lo, v9, v3, vcc_lo
	global_load_b64 v[4:5], v[2:3], off
	s_waitcnt vmcnt(0)
	v_mul_f64 v[4:5], v[4:5], s[4:5]
	v_fma_f64 v[0:1], v[0:1], s[8:9], v[4:5]
	global_store_b64 v[2:3], v[0:1], off
.LBB574_11:
	s_nop 0
	s_sendmsg sendmsg(MSG_DEALLOC_VGPRS)
	s_endpgm
	.section	.rodata,"a",@progbits
	.p2align	6, 0x0
	.amdhsa_kernel _ZL37rocblas_syrkx_herkx_restricted_kernelIidLi16ELi32ELi8ELb0ELb0ELc84ELc85EKPKdKPdEviT_T0_PT8_S5_lS8_S5_lS6_PT9_S5_li
		.amdhsa_group_segment_fixed_size 4096
		.amdhsa_private_segment_fixed_size 0
		.amdhsa_kernarg_size 100
		.amdhsa_user_sgpr_count 13
		.amdhsa_user_sgpr_dispatch_ptr 0
		.amdhsa_user_sgpr_queue_ptr 0
		.amdhsa_user_sgpr_kernarg_segment_ptr 1
		.amdhsa_user_sgpr_dispatch_id 0
		.amdhsa_user_sgpr_private_segment_size 0
		.amdhsa_wavefront_size32 1
		.amdhsa_uses_dynamic_stack 0
		.amdhsa_enable_private_segment 0
		.amdhsa_system_sgpr_workgroup_id_x 1
		.amdhsa_system_sgpr_workgroup_id_y 1
		.amdhsa_system_sgpr_workgroup_id_z 1
		.amdhsa_system_sgpr_workgroup_info 0
		.amdhsa_system_vgpr_workitem_id 1
		.amdhsa_next_free_vgpr 38
		.amdhsa_next_free_sgpr 21
		.amdhsa_reserve_vcc 1
		.amdhsa_float_round_mode_32 0
		.amdhsa_float_round_mode_16_64 0
		.amdhsa_float_denorm_mode_32 3
		.amdhsa_float_denorm_mode_16_64 3
		.amdhsa_dx10_clamp 1
		.amdhsa_ieee_mode 1
		.amdhsa_fp16_overflow 0
		.amdhsa_workgroup_processor_mode 1
		.amdhsa_memory_ordered 1
		.amdhsa_forward_progress 0
		.amdhsa_shared_vgpr_count 0
		.amdhsa_exception_fp_ieee_invalid_op 0
		.amdhsa_exception_fp_denorm_src 0
		.amdhsa_exception_fp_ieee_div_zero 0
		.amdhsa_exception_fp_ieee_overflow 0
		.amdhsa_exception_fp_ieee_underflow 0
		.amdhsa_exception_fp_ieee_inexact 0
		.amdhsa_exception_int_div_zero 0
	.end_amdhsa_kernel
	.section	.text._ZL37rocblas_syrkx_herkx_restricted_kernelIidLi16ELi32ELi8ELb0ELb0ELc84ELc85EKPKdKPdEviT_T0_PT8_S5_lS8_S5_lS6_PT9_S5_li,"axG",@progbits,_ZL37rocblas_syrkx_herkx_restricted_kernelIidLi16ELi32ELi8ELb0ELb0ELc84ELc85EKPKdKPdEviT_T0_PT8_S5_lS8_S5_lS6_PT9_S5_li,comdat
.Lfunc_end574:
	.size	_ZL37rocblas_syrkx_herkx_restricted_kernelIidLi16ELi32ELi8ELb0ELb0ELc84ELc85EKPKdKPdEviT_T0_PT8_S5_lS8_S5_lS6_PT9_S5_li, .Lfunc_end574-_ZL37rocblas_syrkx_herkx_restricted_kernelIidLi16ELi32ELi8ELb0ELb0ELc84ELc85EKPKdKPdEviT_T0_PT8_S5_lS8_S5_lS6_PT9_S5_li
                                        ; -- End function
	.section	.AMDGPU.csdata,"",@progbits
; Kernel info:
; codeLenInByte = 1436
; NumSgprs: 23
; NumVgprs: 38
; ScratchSize: 0
; MemoryBound: 0
; FloatMode: 240
; IeeeMode: 1
; LDSByteSize: 4096 bytes/workgroup (compile time only)
; SGPRBlocks: 2
; VGPRBlocks: 4
; NumSGPRsForWavesPerEU: 23
; NumVGPRsForWavesPerEU: 38
; Occupancy: 16
; WaveLimiterHint : 1
; COMPUTE_PGM_RSRC2:SCRATCH_EN: 0
; COMPUTE_PGM_RSRC2:USER_SGPR: 13
; COMPUTE_PGM_RSRC2:TRAP_HANDLER: 0
; COMPUTE_PGM_RSRC2:TGID_X_EN: 1
; COMPUTE_PGM_RSRC2:TGID_Y_EN: 1
; COMPUTE_PGM_RSRC2:TGID_Z_EN: 1
; COMPUTE_PGM_RSRC2:TIDIG_COMP_CNT: 1
	.section	.text._ZL37rocblas_syrkx_herkx_restricted_kernelIidLi16ELi32ELi8ELb0ELb0ELc67ELc85EKPKdKPdEviT_T0_PT8_S5_lS8_S5_lS6_PT9_S5_li,"axG",@progbits,_ZL37rocblas_syrkx_herkx_restricted_kernelIidLi16ELi32ELi8ELb0ELb0ELc67ELc85EKPKdKPdEviT_T0_PT8_S5_lS8_S5_lS6_PT9_S5_li,comdat
	.globl	_ZL37rocblas_syrkx_herkx_restricted_kernelIidLi16ELi32ELi8ELb0ELb0ELc67ELc85EKPKdKPdEviT_T0_PT8_S5_lS8_S5_lS6_PT9_S5_li ; -- Begin function _ZL37rocblas_syrkx_herkx_restricted_kernelIidLi16ELi32ELi8ELb0ELb0ELc67ELc85EKPKdKPdEviT_T0_PT8_S5_lS8_S5_lS6_PT9_S5_li
	.p2align	8
	.type	_ZL37rocblas_syrkx_herkx_restricted_kernelIidLi16ELi32ELi8ELb0ELb0ELc67ELc85EKPKdKPdEviT_T0_PT8_S5_lS8_S5_lS6_PT9_S5_li,@function
_ZL37rocblas_syrkx_herkx_restricted_kernelIidLi16ELi32ELi8ELb0ELb0ELc67ELc85EKPKdKPdEviT_T0_PT8_S5_lS8_S5_lS6_PT9_S5_li: ; @_ZL37rocblas_syrkx_herkx_restricted_kernelIidLi16ELi32ELi8ELb0ELb0ELc67ELc85EKPKdKPdEviT_T0_PT8_S5_lS8_S5_lS6_PT9_S5_li
; %bb.0:
	s_clause 0x1
	s_load_b128 s[4:7], s[0:1], 0x40
	s_load_b64 s[2:3], s[0:1], 0x0
	s_mov_b32 s16, s15
	s_mov_b32 s17, 0
	v_mov_b32_e32 v10, 0
	s_lshl_b64 s[18:19], s[16:17], 3
	v_dual_mov_b32 v11, 0 :: v_dual_and_b32 v12, 0x3ff, v0
	v_bfe_u32 v13, v0, 10, 10
	s_delay_alu instid0(VALU_DEP_3) | instskip(NEXT) | instid1(VALU_DEP_3)
	v_mov_b32_e32 v8, v10
	v_dual_mov_b32 v2, v10 :: v_dual_mov_b32 v3, v11
	v_dual_mov_b32 v9, v11 :: v_dual_mov_b32 v0, v10
	v_mov_b32_e32 v1, v11
	s_waitcnt lgkmcnt(0)
	s_add_u32 s6, s6, s18
	s_addc_u32 s7, s7, s19
	s_load_b128 s[8:11], s[0:1], 0x8
	s_load_b64 s[6:7], s[6:7], 0x0
	s_lshl_b32 s12, s13, 5
	s_lshl_b32 s13, s14, 5
	s_cmp_lt_i32 s3, 1
	s_cbranch_scc1 .LBB575_3
; %bb.1:
	s_clause 0x2
	s_load_b64 s[14:15], s[0:1], 0x28
	s_load_b32 s16, s[0:1], 0x18
	s_load_b32 s20, s[0:1], 0x30
	v_lshl_add_u32 v4, v13, 4, v12
	v_dual_mov_b32 v3, 0 :: v_dual_and_b32 v2, 7, v12
	v_mov_b32_e32 v0, 0
	v_dual_mov_b32 v1, 0 :: v_dual_lshlrev_b32 v14, 3, v12
	s_delay_alu instid0(VALU_DEP_4)
	v_and_b32_e32 v8, 31, v4
	s_waitcnt lgkmcnt(0)
	s_add_u32 s10, s10, s18
	s_addc_u32 s11, s11, s19
	v_lshrrev_b32_e32 v9, 3, v4
	s_load_b64 s[10:11], s[10:11], 0x0
	v_lshrrev_b32_e32 v4, 5, v4
	v_dual_mov_b32 v5, v3 :: v_dual_add_nc_u32 v10, s12, v8
	s_delay_alu instid0(VALU_DEP_3)
	v_add_nc_u32_e32 v16, s13, v9
	v_lshl_add_u32 v15, v13, 6, 0x800
	s_add_u32 s14, s14, s18
	s_addc_u32 s15, s15, s19
	v_mad_i64_i32 v[6:7], null, s16, v10, v[4:5]
	s_load_b64 s[14:15], s[14:15], 0x0
	v_lshlrev_b32_e32 v5, 3, v2
	v_mad_i64_i32 v[10:11], null, s20, v16, v[2:3]
	v_dual_mov_b32 v3, v1 :: v_dual_mov_b32 v2, v0
	s_delay_alu instid0(VALU_DEP_3) | instskip(SKIP_3) | instid1(VALU_DEP_4)
	v_lshl_or_b32 v17, v9, 6, v5
	v_lshlrev_b64 v[5:6], 3, v[6:7]
	v_dual_mov_b32 v9, v1 :: v_dual_lshlrev_b32 v16, 3, v8
	v_lshlrev_b64 v[10:11], 3, v[10:11]
	v_dual_mov_b32 v8, v0 :: v_dual_add_nc_u32 v17, 0x800, v17
	s_delay_alu instid0(VALU_DEP_3)
	v_lshl_or_b32 v16, v4, 8, v16
	s_waitcnt lgkmcnt(0)
	v_add_co_u32 v4, vcc_lo, s10, v5
	v_add_co_ci_u32_e32 v5, vcc_lo, s11, v6, vcc_lo
	v_add_co_u32 v6, vcc_lo, s14, v10
	v_add_co_ci_u32_e32 v7, vcc_lo, s15, v11, vcc_lo
	v_dual_mov_b32 v11, v1 :: v_dual_mov_b32 v10, v0
.LBB575_2:                              ; =>This Inner Loop Header: Depth=1
	global_load_b64 v[18:19], v[4:5], off
	global_load_b64 v[20:21], v[6:7], off
	v_add_co_u32 v6, vcc_lo, v6, 64
	v_add_co_ci_u32_e32 v7, vcc_lo, 0, v7, vcc_lo
	v_add_co_u32 v4, vcc_lo, v4, 64
	v_add_co_ci_u32_e32 v5, vcc_lo, 0, v5, vcc_lo
	s_add_i32 s17, s17, 8
	s_waitcnt vmcnt(1)
	ds_store_b64 v16, v[18:19]
	s_waitcnt vmcnt(0)
	ds_store_b64 v17, v[20:21]
	s_waitcnt lgkmcnt(0)
	s_barrier
	buffer_gl0_inv
	ds_load_2addr_b64 v[18:21], v14 offset1:16
	ds_load_b128 v[22:25], v15
	ds_load_b128 v[26:29], v15 offset:1024
	ds_load_b128 v[30:33], v15 offset:16
	;; [unrolled: 1-line block ×3, first 2 shown]
	s_cmp_ge_i32 s17, s3
	s_waitcnt lgkmcnt(3)
	v_fma_f64 v[10:11], v[18:19], v[22:23], v[10:11]
	v_fma_f64 v[8:9], v[20:21], v[22:23], v[8:9]
	s_waitcnt lgkmcnt(2)
	v_fma_f64 v[18:19], v[18:19], v[26:27], v[2:3]
	v_fma_f64 v[20:21], v[20:21], v[26:27], v[0:1]
	ds_load_2addr_b64 v[0:3], v14 offset0:32 offset1:48
	s_waitcnt lgkmcnt(0)
	v_fma_f64 v[10:11], v[0:1], v[24:25], v[10:11]
	v_fma_f64 v[8:9], v[2:3], v[24:25], v[8:9]
	v_fma_f64 v[18:19], v[0:1], v[28:29], v[18:19]
	v_fma_f64 v[20:21], v[2:3], v[28:29], v[20:21]
	ds_load_2addr_b64 v[0:3], v14 offset0:64 offset1:80
	s_waitcnt lgkmcnt(0)
	v_fma_f64 v[10:11], v[0:1], v[30:31], v[10:11]
	v_fma_f64 v[8:9], v[2:3], v[30:31], v[8:9]
	;; [unrolled: 6-line block ×3, first 2 shown]
	v_fma_f64 v[34:35], v[0:1], v[36:37], v[18:19]
	v_fma_f64 v[36:37], v[2:3], v[36:37], v[20:21]
	ds_load_2addr_b64 v[0:3], v14 offset0:128 offset1:144
	ds_load_b128 v[8:11], v15 offset:32
	ds_load_b128 v[18:21], v15 offset:1056
	;; [unrolled: 1-line block ×4, first 2 shown]
	s_waitcnt lgkmcnt(3)
	v_fma_f64 v[30:31], v[0:1], v[8:9], v[30:31]
	v_fma_f64 v[8:9], v[2:3], v[8:9], v[32:33]
	s_waitcnt lgkmcnt(2)
	v_fma_f64 v[32:33], v[0:1], v[18:19], v[34:35]
	v_fma_f64 v[18:19], v[2:3], v[18:19], v[36:37]
	ds_load_2addr_b64 v[0:3], v14 offset0:160 offset1:176
	s_waitcnt lgkmcnt(0)
	v_fma_f64 v[30:31], v[0:1], v[10:11], v[30:31]
	v_fma_f64 v[8:9], v[2:3], v[10:11], v[8:9]
	;; [unrolled: 1-line block ×4, first 2 shown]
	ds_load_2addr_b64 v[0:3], v14 offset0:192 offset1:208
	s_waitcnt lgkmcnt(0)
	v_fma_f64 v[30:31], v[0:1], v[22:23], v[30:31]
	v_fma_f64 v[8:9], v[2:3], v[22:23], v[8:9]
	;; [unrolled: 1-line block ×4, first 2 shown]
	ds_load_2addr_b64 v[18:21], v14 offset0:224 offset1:240
	s_waitcnt lgkmcnt(0)
	s_barrier
	buffer_gl0_inv
	v_fma_f64 v[10:11], v[18:19], v[24:25], v[30:31]
	v_fma_f64 v[8:9], v[20:21], v[24:25], v[8:9]
	;; [unrolled: 1-line block ×4, first 2 shown]
	s_cbranch_scc0 .LBB575_2
.LBB575_3:
	s_load_b32 s3, s[0:1], 0x50
	v_add_nc_u32_e32 v13, s13, v13
	v_add_nc_u32_e32 v4, s12, v12
	s_delay_alu instid0(VALU_DEP_2) | instskip(NEXT) | instid1(VALU_DEP_2)
	v_cmp_gt_i32_e32 vcc_lo, s2, v13
	v_cmp_le_i32_e64 s0, v4, v13
	s_delay_alu instid0(VALU_DEP_1) | instskip(SKIP_2) | instid1(VALU_DEP_1)
	s_and_b32 s0, vcc_lo, s0
	s_waitcnt lgkmcnt(0)
	v_mad_i64_i32 v[5:6], null, v13, s3, 0
	v_lshlrev_b64 v[5:6], 3, v[5:6]
	s_delay_alu instid0(VALU_DEP_1) | instskip(NEXT) | instid1(VALU_DEP_1)
	v_add_co_u32 v12, s1, s6, v5
	v_add_co_ci_u32_e64 v14, s1, s7, v6, s1
	s_and_saveexec_b32 s1, s0
	s_cbranch_execz .LBB575_5
; %bb.4:
	v_ashrrev_i32_e32 v5, 31, v4
	s_delay_alu instid0(VALU_DEP_1) | instskip(NEXT) | instid1(VALU_DEP_1)
	v_lshlrev_b64 v[5:6], 3, v[4:5]
	v_add_co_u32 v5, s0, v12, v5
	s_delay_alu instid0(VALU_DEP_1) | instskip(SKIP_3) | instid1(VALU_DEP_1)
	v_add_co_ci_u32_e64 v6, s0, v14, v6, s0
	global_load_b64 v[15:16], v[5:6], off
	s_waitcnt vmcnt(0)
	v_mul_f64 v[15:16], v[15:16], s[4:5]
	v_fma_f64 v[10:11], v[10:11], s[8:9], v[15:16]
	global_store_b64 v[5:6], v[10:11], off
.LBB575_5:
	s_or_b32 exec_lo, exec_lo, s1
	v_add_nc_u32_e32 v6, 16, v4
	s_delay_alu instid0(VALU_DEP_1) | instskip(NEXT) | instid1(VALU_DEP_1)
	v_cmp_le_i32_e64 s0, v6, v13
	s_and_b32 s1, vcc_lo, s0
	s_delay_alu instid0(SALU_CYCLE_1)
	s_and_saveexec_b32 s0, s1
	s_cbranch_execz .LBB575_7
; %bb.6:
	v_ashrrev_i32_e32 v7, 31, v6
	s_delay_alu instid0(VALU_DEP_1) | instskip(NEXT) | instid1(VALU_DEP_1)
	v_lshlrev_b64 v[10:11], 3, v[6:7]
	v_add_co_u32 v10, vcc_lo, v12, v10
	s_delay_alu instid0(VALU_DEP_2) | instskip(SKIP_3) | instid1(VALU_DEP_1)
	v_add_co_ci_u32_e32 v11, vcc_lo, v14, v11, vcc_lo
	global_load_b64 v[14:15], v[10:11], off
	s_waitcnt vmcnt(0)
	v_mul_f64 v[14:15], v[14:15], s[4:5]
	v_fma_f64 v[7:8], v[8:9], s[8:9], v[14:15]
	global_store_b64 v[10:11], v[7:8], off
.LBB575_7:
	s_or_b32 exec_lo, exec_lo, s0
	v_add_nc_u32_e32 v7, 16, v13
	s_delay_alu instid0(VALU_DEP_1) | instskip(SKIP_2) | instid1(VALU_DEP_1)
	v_mad_i64_i32 v[8:9], null, v7, s3, 0
	v_cmp_gt_i32_e32 vcc_lo, s2, v7
	v_cmp_le_i32_e64 s0, v4, v7
	s_and_b32 s0, vcc_lo, s0
	s_delay_alu instid0(VALU_DEP_3) | instskip(NEXT) | instid1(VALU_DEP_1)
	v_lshlrev_b64 v[8:9], 3, v[8:9]
	v_add_co_u32 v8, s1, s6, v8
	s_delay_alu instid0(VALU_DEP_1)
	v_add_co_ci_u32_e64 v9, s1, s7, v9, s1
	s_and_saveexec_b32 s1, s0
	s_cbranch_execz .LBB575_9
; %bb.8:
	v_ashrrev_i32_e32 v5, 31, v4
	s_delay_alu instid0(VALU_DEP_1) | instskip(NEXT) | instid1(VALU_DEP_1)
	v_lshlrev_b64 v[4:5], 3, v[4:5]
	v_add_co_u32 v4, s0, v8, v4
	s_delay_alu instid0(VALU_DEP_1) | instskip(SKIP_3) | instid1(VALU_DEP_1)
	v_add_co_ci_u32_e64 v5, s0, v9, v5, s0
	global_load_b64 v[10:11], v[4:5], off
	s_waitcnt vmcnt(0)
	v_mul_f64 v[10:11], v[10:11], s[4:5]
	v_fma_f64 v[2:3], v[2:3], s[8:9], v[10:11]
	global_store_b64 v[4:5], v[2:3], off
.LBB575_9:
	s_or_b32 exec_lo, exec_lo, s1
	v_cmp_le_i32_e64 s0, v6, v7
	s_delay_alu instid0(VALU_DEP_1) | instskip(NEXT) | instid1(SALU_CYCLE_1)
	s_and_b32 s0, vcc_lo, s0
	s_and_saveexec_b32 s1, s0
	s_cbranch_execz .LBB575_11
; %bb.10:
	v_ashrrev_i32_e32 v7, 31, v6
	s_delay_alu instid0(VALU_DEP_1) | instskip(NEXT) | instid1(VALU_DEP_1)
	v_lshlrev_b64 v[2:3], 3, v[6:7]
	v_add_co_u32 v2, vcc_lo, v8, v2
	s_delay_alu instid0(VALU_DEP_2) | instskip(SKIP_3) | instid1(VALU_DEP_1)
	v_add_co_ci_u32_e32 v3, vcc_lo, v9, v3, vcc_lo
	global_load_b64 v[4:5], v[2:3], off
	s_waitcnt vmcnt(0)
	v_mul_f64 v[4:5], v[4:5], s[4:5]
	v_fma_f64 v[0:1], v[0:1], s[8:9], v[4:5]
	global_store_b64 v[2:3], v[0:1], off
.LBB575_11:
	s_nop 0
	s_sendmsg sendmsg(MSG_DEALLOC_VGPRS)
	s_endpgm
	.section	.rodata,"a",@progbits
	.p2align	6, 0x0
	.amdhsa_kernel _ZL37rocblas_syrkx_herkx_restricted_kernelIidLi16ELi32ELi8ELb0ELb0ELc67ELc85EKPKdKPdEviT_T0_PT8_S5_lS8_S5_lS6_PT9_S5_li
		.amdhsa_group_segment_fixed_size 4096
		.amdhsa_private_segment_fixed_size 0
		.amdhsa_kernarg_size 100
		.amdhsa_user_sgpr_count 13
		.amdhsa_user_sgpr_dispatch_ptr 0
		.amdhsa_user_sgpr_queue_ptr 0
		.amdhsa_user_sgpr_kernarg_segment_ptr 1
		.amdhsa_user_sgpr_dispatch_id 0
		.amdhsa_user_sgpr_private_segment_size 0
		.amdhsa_wavefront_size32 1
		.amdhsa_uses_dynamic_stack 0
		.amdhsa_enable_private_segment 0
		.amdhsa_system_sgpr_workgroup_id_x 1
		.amdhsa_system_sgpr_workgroup_id_y 1
		.amdhsa_system_sgpr_workgroup_id_z 1
		.amdhsa_system_sgpr_workgroup_info 0
		.amdhsa_system_vgpr_workitem_id 1
		.amdhsa_next_free_vgpr 38
		.amdhsa_next_free_sgpr 21
		.amdhsa_reserve_vcc 1
		.amdhsa_float_round_mode_32 0
		.amdhsa_float_round_mode_16_64 0
		.amdhsa_float_denorm_mode_32 3
		.amdhsa_float_denorm_mode_16_64 3
		.amdhsa_dx10_clamp 1
		.amdhsa_ieee_mode 1
		.amdhsa_fp16_overflow 0
		.amdhsa_workgroup_processor_mode 1
		.amdhsa_memory_ordered 1
		.amdhsa_forward_progress 0
		.amdhsa_shared_vgpr_count 0
		.amdhsa_exception_fp_ieee_invalid_op 0
		.amdhsa_exception_fp_denorm_src 0
		.amdhsa_exception_fp_ieee_div_zero 0
		.amdhsa_exception_fp_ieee_overflow 0
		.amdhsa_exception_fp_ieee_underflow 0
		.amdhsa_exception_fp_ieee_inexact 0
		.amdhsa_exception_int_div_zero 0
	.end_amdhsa_kernel
	.section	.text._ZL37rocblas_syrkx_herkx_restricted_kernelIidLi16ELi32ELi8ELb0ELb0ELc67ELc85EKPKdKPdEviT_T0_PT8_S5_lS8_S5_lS6_PT9_S5_li,"axG",@progbits,_ZL37rocblas_syrkx_herkx_restricted_kernelIidLi16ELi32ELi8ELb0ELb0ELc67ELc85EKPKdKPdEviT_T0_PT8_S5_lS8_S5_lS6_PT9_S5_li,comdat
.Lfunc_end575:
	.size	_ZL37rocblas_syrkx_herkx_restricted_kernelIidLi16ELi32ELi8ELb0ELb0ELc67ELc85EKPKdKPdEviT_T0_PT8_S5_lS8_S5_lS6_PT9_S5_li, .Lfunc_end575-_ZL37rocblas_syrkx_herkx_restricted_kernelIidLi16ELi32ELi8ELb0ELb0ELc67ELc85EKPKdKPdEviT_T0_PT8_S5_lS8_S5_lS6_PT9_S5_li
                                        ; -- End function
	.section	.AMDGPU.csdata,"",@progbits
; Kernel info:
; codeLenInByte = 1436
; NumSgprs: 23
; NumVgprs: 38
; ScratchSize: 0
; MemoryBound: 0
; FloatMode: 240
; IeeeMode: 1
; LDSByteSize: 4096 bytes/workgroup (compile time only)
; SGPRBlocks: 2
; VGPRBlocks: 4
; NumSGPRsForWavesPerEU: 23
; NumVGPRsForWavesPerEU: 38
; Occupancy: 16
; WaveLimiterHint : 1
; COMPUTE_PGM_RSRC2:SCRATCH_EN: 0
; COMPUTE_PGM_RSRC2:USER_SGPR: 13
; COMPUTE_PGM_RSRC2:TRAP_HANDLER: 0
; COMPUTE_PGM_RSRC2:TGID_X_EN: 1
; COMPUTE_PGM_RSRC2:TGID_Y_EN: 1
; COMPUTE_PGM_RSRC2:TGID_Z_EN: 1
; COMPUTE_PGM_RSRC2:TIDIG_COMP_CNT: 1
	.section	.text._ZL37rocblas_syrkx_herkx_restricted_kernelIidLi16ELi32ELi8ELb0ELb0ELc78ELc85EKPKdKPdEviT_T0_PT8_S5_lS8_S5_lS6_PT9_S5_li,"axG",@progbits,_ZL37rocblas_syrkx_herkx_restricted_kernelIidLi16ELi32ELi8ELb0ELb0ELc78ELc85EKPKdKPdEviT_T0_PT8_S5_lS8_S5_lS6_PT9_S5_li,comdat
	.globl	_ZL37rocblas_syrkx_herkx_restricted_kernelIidLi16ELi32ELi8ELb0ELb0ELc78ELc85EKPKdKPdEviT_T0_PT8_S5_lS8_S5_lS6_PT9_S5_li ; -- Begin function _ZL37rocblas_syrkx_herkx_restricted_kernelIidLi16ELi32ELi8ELb0ELb0ELc78ELc85EKPKdKPdEviT_T0_PT8_S5_lS8_S5_lS6_PT9_S5_li
	.p2align	8
	.type	_ZL37rocblas_syrkx_herkx_restricted_kernelIidLi16ELi32ELi8ELb0ELb0ELc78ELc85EKPKdKPdEviT_T0_PT8_S5_lS8_S5_lS6_PT9_S5_li,@function
_ZL37rocblas_syrkx_herkx_restricted_kernelIidLi16ELi32ELi8ELb0ELb0ELc78ELc85EKPKdKPdEviT_T0_PT8_S5_lS8_S5_lS6_PT9_S5_li: ; @_ZL37rocblas_syrkx_herkx_restricted_kernelIidLi16ELi32ELi8ELb0ELb0ELc78ELc85EKPKdKPdEviT_T0_PT8_S5_lS8_S5_lS6_PT9_S5_li
; %bb.0:
	s_clause 0x1
	s_load_b128 s[4:7], s[0:1], 0x40
	s_load_b64 s[2:3], s[0:1], 0x0
	s_mov_b32 s16, s15
	s_mov_b32 s17, 0
	v_mov_b32_e32 v10, 0
	s_lshl_b64 s[18:19], s[16:17], 3
	v_dual_mov_b32 v11, 0 :: v_dual_and_b32 v12, 0x3ff, v0
	v_bfe_u32 v13, v0, 10, 10
	s_delay_alu instid0(VALU_DEP_3) | instskip(NEXT) | instid1(VALU_DEP_3)
	v_mov_b32_e32 v8, v10
	v_dual_mov_b32 v2, v10 :: v_dual_mov_b32 v3, v11
	v_dual_mov_b32 v9, v11 :: v_dual_mov_b32 v0, v10
	v_mov_b32_e32 v1, v11
	s_waitcnt lgkmcnt(0)
	s_add_u32 s6, s6, s18
	s_addc_u32 s7, s7, s19
	s_load_b128 s[8:11], s[0:1], 0x8
	s_load_b64 s[6:7], s[6:7], 0x0
	s_lshl_b32 s15, s13, 5
	s_lshl_b32 s14, s14, 5
	s_cmp_lt_i32 s3, 1
	s_cbranch_scc1 .LBB576_3
; %bb.1:
	s_clause 0x2
	s_load_b32 s12, s[0:1], 0x18
	s_load_b32 s20, s[0:1], 0x30
	s_load_b64 s[22:23], s[0:1], 0x28
	v_lshl_add_u32 v2, v13, 4, v12
	v_mov_b32_e32 v0, 0
	v_dual_mov_b32 v1, 0 :: v_dual_and_b32 v8, 7, v12
	v_lshlrev_b32_e32 v14, 3, v12
	s_delay_alu instid0(VALU_DEP_4)
	v_and_b32_e32 v10, 31, v2
	v_lshrrev_b32_e32 v9, 3, v2
	v_lshrrev_b32_e32 v11, 5, v2
	v_lshlrev_b32_e32 v16, 3, v8
	v_lshl_add_u32 v15, v13, 6, 0x800
	v_add_nc_u32_e32 v4, s15, v10
	v_add_nc_u32_e32 v2, s14, v9
	s_delay_alu instid0(VALU_DEP_4) | instskip(NEXT) | instid1(VALU_DEP_3)
	v_lshl_or_b32 v17, v9, 6, v16
	v_ashrrev_i32_e32 v5, 31, v4
	s_delay_alu instid0(VALU_DEP_3)
	v_ashrrev_i32_e32 v3, 31, v2
	s_waitcnt lgkmcnt(0)
	s_ashr_i32 s13, s12, 31
	s_ashr_i32 s21, s20, 31
	s_add_u32 s10, s10, s18
	s_addc_u32 s11, s11, s19
	s_add_u32 s18, s22, s18
	s_load_b64 s[10:11], s[10:11], 0x0
	s_addc_u32 s19, s23, s19
	v_mad_i64_i32 v[6:7], null, s12, v11, v[4:5]
	s_load_b64 s[18:19], s[18:19], 0x0
	v_mad_i64_i32 v[4:5], null, s20, v8, v[2:3]
	v_dual_mov_b32 v3, v1 :: v_dual_lshlrev_b32 v10, 3, v10
	v_mov_b32_e32 v9, v1
	s_delay_alu instid0(VALU_DEP_4)
	v_lshlrev_b64 v[6:7], 3, v[6:7]
	v_mov_b32_e32 v2, v0
	v_mov_b32_e32 v8, v0
	v_lshl_or_b32 v16, v11, 8, v10
	v_lshlrev_b64 v[10:11], 3, v[4:5]
	v_add_nc_u32_e32 v17, 0x800, v17
	s_lshl_b64 s[12:13], s[12:13], 6
	s_waitcnt lgkmcnt(0)
	v_add_co_u32 v4, vcc_lo, s10, v6
	v_add_co_ci_u32_e32 v5, vcc_lo, s11, v7, vcc_lo
	v_add_co_u32 v6, vcc_lo, s18, v10
	v_add_co_ci_u32_e32 v7, vcc_lo, s19, v11, vcc_lo
	v_dual_mov_b32 v11, v1 :: v_dual_mov_b32 v10, v0
	s_lshl_b64 s[10:11], s[20:21], 6
.LBB576_2:                              ; =>This Inner Loop Header: Depth=1
	global_load_b64 v[18:19], v[4:5], off
	global_load_b64 v[20:21], v[6:7], off
	v_add_co_u32 v6, vcc_lo, v6, s10
	v_add_co_ci_u32_e32 v7, vcc_lo, s11, v7, vcc_lo
	v_add_co_u32 v4, vcc_lo, v4, s12
	v_add_co_ci_u32_e32 v5, vcc_lo, s13, v5, vcc_lo
	s_add_i32 s17, s17, 8
	s_waitcnt vmcnt(1)
	ds_store_b64 v16, v[18:19]
	s_waitcnt vmcnt(0)
	ds_store_b64 v17, v[20:21]
	s_waitcnt lgkmcnt(0)
	s_barrier
	buffer_gl0_inv
	ds_load_2addr_b64 v[18:21], v14 offset1:16
	ds_load_b128 v[22:25], v15
	ds_load_b128 v[26:29], v15 offset:1024
	ds_load_b128 v[30:33], v15 offset:16
	;; [unrolled: 1-line block ×3, first 2 shown]
	s_cmp_ge_i32 s17, s3
	s_waitcnt lgkmcnt(3)
	v_fma_f64 v[10:11], v[18:19], v[22:23], v[10:11]
	v_fma_f64 v[8:9], v[20:21], v[22:23], v[8:9]
	s_waitcnt lgkmcnt(2)
	v_fma_f64 v[18:19], v[18:19], v[26:27], v[2:3]
	v_fma_f64 v[20:21], v[20:21], v[26:27], v[0:1]
	ds_load_2addr_b64 v[0:3], v14 offset0:32 offset1:48
	s_waitcnt lgkmcnt(0)
	v_fma_f64 v[10:11], v[0:1], v[24:25], v[10:11]
	v_fma_f64 v[8:9], v[2:3], v[24:25], v[8:9]
	v_fma_f64 v[18:19], v[0:1], v[28:29], v[18:19]
	v_fma_f64 v[20:21], v[2:3], v[28:29], v[20:21]
	ds_load_2addr_b64 v[0:3], v14 offset0:64 offset1:80
	s_waitcnt lgkmcnt(0)
	v_fma_f64 v[10:11], v[0:1], v[30:31], v[10:11]
	v_fma_f64 v[8:9], v[2:3], v[30:31], v[8:9]
	;; [unrolled: 6-line block ×3, first 2 shown]
	v_fma_f64 v[34:35], v[0:1], v[36:37], v[18:19]
	v_fma_f64 v[36:37], v[2:3], v[36:37], v[20:21]
	ds_load_2addr_b64 v[0:3], v14 offset0:128 offset1:144
	ds_load_b128 v[8:11], v15 offset:32
	ds_load_b128 v[18:21], v15 offset:1056
	;; [unrolled: 1-line block ×4, first 2 shown]
	s_waitcnt lgkmcnt(3)
	v_fma_f64 v[30:31], v[0:1], v[8:9], v[30:31]
	v_fma_f64 v[8:9], v[2:3], v[8:9], v[32:33]
	s_waitcnt lgkmcnt(2)
	v_fma_f64 v[32:33], v[0:1], v[18:19], v[34:35]
	v_fma_f64 v[18:19], v[2:3], v[18:19], v[36:37]
	ds_load_2addr_b64 v[0:3], v14 offset0:160 offset1:176
	s_waitcnt lgkmcnt(0)
	v_fma_f64 v[30:31], v[0:1], v[10:11], v[30:31]
	v_fma_f64 v[8:9], v[2:3], v[10:11], v[8:9]
	;; [unrolled: 1-line block ×4, first 2 shown]
	ds_load_2addr_b64 v[0:3], v14 offset0:192 offset1:208
	s_waitcnt lgkmcnt(0)
	v_fma_f64 v[30:31], v[0:1], v[22:23], v[30:31]
	v_fma_f64 v[8:9], v[2:3], v[22:23], v[8:9]
	;; [unrolled: 1-line block ×4, first 2 shown]
	ds_load_2addr_b64 v[18:21], v14 offset0:224 offset1:240
	s_waitcnt lgkmcnt(0)
	s_barrier
	buffer_gl0_inv
	v_fma_f64 v[10:11], v[18:19], v[24:25], v[30:31]
	v_fma_f64 v[8:9], v[20:21], v[24:25], v[8:9]
	;; [unrolled: 1-line block ×4, first 2 shown]
	s_cbranch_scc0 .LBB576_2
.LBB576_3:
	s_load_b32 s3, s[0:1], 0x50
	v_add_nc_u32_e32 v13, s14, v13
	v_add_nc_u32_e32 v4, s15, v12
	s_delay_alu instid0(VALU_DEP_2) | instskip(NEXT) | instid1(VALU_DEP_2)
	v_cmp_gt_i32_e32 vcc_lo, s2, v13
	v_cmp_le_i32_e64 s0, v4, v13
	s_delay_alu instid0(VALU_DEP_1) | instskip(SKIP_2) | instid1(VALU_DEP_1)
	s_and_b32 s0, vcc_lo, s0
	s_waitcnt lgkmcnt(0)
	v_mad_i64_i32 v[5:6], null, v13, s3, 0
	v_lshlrev_b64 v[5:6], 3, v[5:6]
	s_delay_alu instid0(VALU_DEP_1) | instskip(NEXT) | instid1(VALU_DEP_1)
	v_add_co_u32 v12, s1, s6, v5
	v_add_co_ci_u32_e64 v14, s1, s7, v6, s1
	s_and_saveexec_b32 s1, s0
	s_cbranch_execz .LBB576_5
; %bb.4:
	v_ashrrev_i32_e32 v5, 31, v4
	s_delay_alu instid0(VALU_DEP_1) | instskip(NEXT) | instid1(VALU_DEP_1)
	v_lshlrev_b64 v[5:6], 3, v[4:5]
	v_add_co_u32 v5, s0, v12, v5
	s_delay_alu instid0(VALU_DEP_1) | instskip(SKIP_3) | instid1(VALU_DEP_1)
	v_add_co_ci_u32_e64 v6, s0, v14, v6, s0
	global_load_b64 v[15:16], v[5:6], off
	s_waitcnt vmcnt(0)
	v_mul_f64 v[15:16], v[15:16], s[4:5]
	v_fma_f64 v[10:11], v[10:11], s[8:9], v[15:16]
	global_store_b64 v[5:6], v[10:11], off
.LBB576_5:
	s_or_b32 exec_lo, exec_lo, s1
	v_add_nc_u32_e32 v6, 16, v4
	s_delay_alu instid0(VALU_DEP_1) | instskip(NEXT) | instid1(VALU_DEP_1)
	v_cmp_le_i32_e64 s0, v6, v13
	s_and_b32 s1, vcc_lo, s0
	s_delay_alu instid0(SALU_CYCLE_1)
	s_and_saveexec_b32 s0, s1
	s_cbranch_execz .LBB576_7
; %bb.6:
	v_ashrrev_i32_e32 v7, 31, v6
	s_delay_alu instid0(VALU_DEP_1) | instskip(NEXT) | instid1(VALU_DEP_1)
	v_lshlrev_b64 v[10:11], 3, v[6:7]
	v_add_co_u32 v10, vcc_lo, v12, v10
	s_delay_alu instid0(VALU_DEP_2) | instskip(SKIP_3) | instid1(VALU_DEP_1)
	v_add_co_ci_u32_e32 v11, vcc_lo, v14, v11, vcc_lo
	global_load_b64 v[14:15], v[10:11], off
	s_waitcnt vmcnt(0)
	v_mul_f64 v[14:15], v[14:15], s[4:5]
	v_fma_f64 v[7:8], v[8:9], s[8:9], v[14:15]
	global_store_b64 v[10:11], v[7:8], off
.LBB576_7:
	s_or_b32 exec_lo, exec_lo, s0
	v_add_nc_u32_e32 v7, 16, v13
	s_delay_alu instid0(VALU_DEP_1) | instskip(SKIP_2) | instid1(VALU_DEP_1)
	v_mad_i64_i32 v[8:9], null, v7, s3, 0
	v_cmp_gt_i32_e32 vcc_lo, s2, v7
	v_cmp_le_i32_e64 s0, v4, v7
	s_and_b32 s0, vcc_lo, s0
	s_delay_alu instid0(VALU_DEP_3) | instskip(NEXT) | instid1(VALU_DEP_1)
	v_lshlrev_b64 v[8:9], 3, v[8:9]
	v_add_co_u32 v8, s1, s6, v8
	s_delay_alu instid0(VALU_DEP_1)
	v_add_co_ci_u32_e64 v9, s1, s7, v9, s1
	s_and_saveexec_b32 s1, s0
	s_cbranch_execz .LBB576_9
; %bb.8:
	v_ashrrev_i32_e32 v5, 31, v4
	s_delay_alu instid0(VALU_DEP_1) | instskip(NEXT) | instid1(VALU_DEP_1)
	v_lshlrev_b64 v[4:5], 3, v[4:5]
	v_add_co_u32 v4, s0, v8, v4
	s_delay_alu instid0(VALU_DEP_1) | instskip(SKIP_3) | instid1(VALU_DEP_1)
	v_add_co_ci_u32_e64 v5, s0, v9, v5, s0
	global_load_b64 v[10:11], v[4:5], off
	s_waitcnt vmcnt(0)
	v_mul_f64 v[10:11], v[10:11], s[4:5]
	v_fma_f64 v[2:3], v[2:3], s[8:9], v[10:11]
	global_store_b64 v[4:5], v[2:3], off
.LBB576_9:
	s_or_b32 exec_lo, exec_lo, s1
	v_cmp_le_i32_e64 s0, v6, v7
	s_delay_alu instid0(VALU_DEP_1) | instskip(NEXT) | instid1(SALU_CYCLE_1)
	s_and_b32 s0, vcc_lo, s0
	s_and_saveexec_b32 s1, s0
	s_cbranch_execz .LBB576_11
; %bb.10:
	v_ashrrev_i32_e32 v7, 31, v6
	s_delay_alu instid0(VALU_DEP_1) | instskip(NEXT) | instid1(VALU_DEP_1)
	v_lshlrev_b64 v[2:3], 3, v[6:7]
	v_add_co_u32 v2, vcc_lo, v8, v2
	s_delay_alu instid0(VALU_DEP_2) | instskip(SKIP_3) | instid1(VALU_DEP_1)
	v_add_co_ci_u32_e32 v3, vcc_lo, v9, v3, vcc_lo
	global_load_b64 v[4:5], v[2:3], off
	s_waitcnt vmcnt(0)
	v_mul_f64 v[4:5], v[4:5], s[4:5]
	v_fma_f64 v[0:1], v[0:1], s[8:9], v[4:5]
	global_store_b64 v[2:3], v[0:1], off
.LBB576_11:
	s_nop 0
	s_sendmsg sendmsg(MSG_DEALLOC_VGPRS)
	s_endpgm
	.section	.rodata,"a",@progbits
	.p2align	6, 0x0
	.amdhsa_kernel _ZL37rocblas_syrkx_herkx_restricted_kernelIidLi16ELi32ELi8ELb0ELb0ELc78ELc85EKPKdKPdEviT_T0_PT8_S5_lS8_S5_lS6_PT9_S5_li
		.amdhsa_group_segment_fixed_size 4096
		.amdhsa_private_segment_fixed_size 0
		.amdhsa_kernarg_size 100
		.amdhsa_user_sgpr_count 13
		.amdhsa_user_sgpr_dispatch_ptr 0
		.amdhsa_user_sgpr_queue_ptr 0
		.amdhsa_user_sgpr_kernarg_segment_ptr 1
		.amdhsa_user_sgpr_dispatch_id 0
		.amdhsa_user_sgpr_private_segment_size 0
		.amdhsa_wavefront_size32 1
		.amdhsa_uses_dynamic_stack 0
		.amdhsa_enable_private_segment 0
		.amdhsa_system_sgpr_workgroup_id_x 1
		.amdhsa_system_sgpr_workgroup_id_y 1
		.amdhsa_system_sgpr_workgroup_id_z 1
		.amdhsa_system_sgpr_workgroup_info 0
		.amdhsa_system_vgpr_workitem_id 1
		.amdhsa_next_free_vgpr 38
		.amdhsa_next_free_sgpr 24
		.amdhsa_reserve_vcc 1
		.amdhsa_float_round_mode_32 0
		.amdhsa_float_round_mode_16_64 0
		.amdhsa_float_denorm_mode_32 3
		.amdhsa_float_denorm_mode_16_64 3
		.amdhsa_dx10_clamp 1
		.amdhsa_ieee_mode 1
		.amdhsa_fp16_overflow 0
		.amdhsa_workgroup_processor_mode 1
		.amdhsa_memory_ordered 1
		.amdhsa_forward_progress 0
		.amdhsa_shared_vgpr_count 0
		.amdhsa_exception_fp_ieee_invalid_op 0
		.amdhsa_exception_fp_denorm_src 0
		.amdhsa_exception_fp_ieee_div_zero 0
		.amdhsa_exception_fp_ieee_overflow 0
		.amdhsa_exception_fp_ieee_underflow 0
		.amdhsa_exception_fp_ieee_inexact 0
		.amdhsa_exception_int_div_zero 0
	.end_amdhsa_kernel
	.section	.text._ZL37rocblas_syrkx_herkx_restricted_kernelIidLi16ELi32ELi8ELb0ELb0ELc78ELc85EKPKdKPdEviT_T0_PT8_S5_lS8_S5_lS6_PT9_S5_li,"axG",@progbits,_ZL37rocblas_syrkx_herkx_restricted_kernelIidLi16ELi32ELi8ELb0ELb0ELc78ELc85EKPKdKPdEviT_T0_PT8_S5_lS8_S5_lS6_PT9_S5_li,comdat
.Lfunc_end576:
	.size	_ZL37rocblas_syrkx_herkx_restricted_kernelIidLi16ELi32ELi8ELb0ELb0ELc78ELc85EKPKdKPdEviT_T0_PT8_S5_lS8_S5_lS6_PT9_S5_li, .Lfunc_end576-_ZL37rocblas_syrkx_herkx_restricted_kernelIidLi16ELi32ELi8ELb0ELb0ELc78ELc85EKPKdKPdEviT_T0_PT8_S5_lS8_S5_lS6_PT9_S5_li
                                        ; -- End function
	.section	.AMDGPU.csdata,"",@progbits
; Kernel info:
; codeLenInByte = 1452
; NumSgprs: 26
; NumVgprs: 38
; ScratchSize: 0
; MemoryBound: 0
; FloatMode: 240
; IeeeMode: 1
; LDSByteSize: 4096 bytes/workgroup (compile time only)
; SGPRBlocks: 3
; VGPRBlocks: 4
; NumSGPRsForWavesPerEU: 26
; NumVGPRsForWavesPerEU: 38
; Occupancy: 16
; WaveLimiterHint : 1
; COMPUTE_PGM_RSRC2:SCRATCH_EN: 0
; COMPUTE_PGM_RSRC2:USER_SGPR: 13
; COMPUTE_PGM_RSRC2:TRAP_HANDLER: 0
; COMPUTE_PGM_RSRC2:TGID_X_EN: 1
; COMPUTE_PGM_RSRC2:TGID_Y_EN: 1
; COMPUTE_PGM_RSRC2:TGID_Z_EN: 1
; COMPUTE_PGM_RSRC2:TIDIG_COMP_CNT: 1
	.section	.text._ZL41rocblas_syrkx_herkx_small_restrict_kernelIidLi16ELb1ELb0ELc84ELc76EKPKdKPdEviT_T0_PT6_S5_lS8_S5_lS6_PT7_S5_li,"axG",@progbits,_ZL41rocblas_syrkx_herkx_small_restrict_kernelIidLi16ELb1ELb0ELc84ELc76EKPKdKPdEviT_T0_PT6_S5_lS8_S5_lS6_PT7_S5_li,comdat
	.globl	_ZL41rocblas_syrkx_herkx_small_restrict_kernelIidLi16ELb1ELb0ELc84ELc76EKPKdKPdEviT_T0_PT6_S5_lS8_S5_lS6_PT7_S5_li ; -- Begin function _ZL41rocblas_syrkx_herkx_small_restrict_kernelIidLi16ELb1ELb0ELc84ELc76EKPKdKPdEviT_T0_PT6_S5_lS8_S5_lS6_PT7_S5_li
	.p2align	8
	.type	_ZL41rocblas_syrkx_herkx_small_restrict_kernelIidLi16ELb1ELb0ELc84ELc76EKPKdKPdEviT_T0_PT6_S5_lS8_S5_lS6_PT7_S5_li,@function
_ZL41rocblas_syrkx_herkx_small_restrict_kernelIidLi16ELb1ELb0ELc84ELc76EKPKdKPdEviT_T0_PT6_S5_lS8_S5_lS6_PT7_S5_li: ; @_ZL41rocblas_syrkx_herkx_small_restrict_kernelIidLi16ELb1ELb0ELc84ELc76EKPKdKPdEviT_T0_PT6_S5_lS8_S5_lS6_PT7_S5_li
; %bb.0:
	s_load_b64 s[2:3], s[0:1], 0x48
	s_mov_b32 s8, s15
	s_mov_b32 s9, 0
	v_and_b32_e32 v2, 0x3ff, v0
	s_lshl_b64 s[10:11], s[8:9], 3
	s_load_b32 s8, s[0:1], 0x4
	v_bfe_u32 v1, v0, 10, 10
	s_delay_alu instid0(VALU_DEP_2) | instskip(NEXT) | instid1(VALU_DEP_2)
	v_lshl_add_u32 v0, s13, 4, v2
	v_lshl_add_u32 v7, s14, 4, v1
	s_waitcnt lgkmcnt(0)
	s_add_u32 s2, s2, s10
	s_addc_u32 s3, s3, s11
	s_load_b128 s[4:7], s[0:1], 0x8
	s_load_b64 s[2:3], s[2:3], 0x0
	s_cmp_lt_i32 s8, 1
	s_cbranch_scc1 .LBB577_6
; %bb.1:
	s_clause 0x2
	s_load_b64 s[12:13], s[0:1], 0x28
	s_load_b32 s14, s[0:1], 0x30
	s_load_b32 s15, s[0:1], 0x18
	v_lshlrev_b32_e32 v8, 3, v2
	v_dual_mov_b32 v5, 0 :: v_dual_lshlrev_b32 v4, 7, v1
	v_lshlrev_b32_e32 v14, 3, v1
	s_delay_alu instid0(VALU_DEP_2) | instskip(NEXT) | instid1(VALU_DEP_4)
	v_dual_mov_b32 v6, 0 :: v_dual_add_nc_u32 v9, 0x800, v4
	v_add_nc_u32_e32 v10, v8, v4
	s_delay_alu instid0(VALU_DEP_2)
	v_add_nc_u32_e32 v11, v9, v8
	s_waitcnt lgkmcnt(0)
	s_add_u32 s12, s12, s10
	s_addc_u32 s13, s13, s11
	v_mad_i64_i32 v[2:3], null, s14, v7, 0
	s_load_b64 s[12:13], s[12:13], 0x0
	s_add_u32 s6, s6, s10
	s_addc_u32 s7, s7, s11
	v_mad_i64_i32 v[12:13], null, s15, v0, 0
	s_load_b64 s[6:7], s[6:7], 0x0
	s_delay_alu instid0(VALU_DEP_2) | instskip(NEXT) | instid1(VALU_DEP_2)
	v_lshlrev_b64 v[1:2], 3, v[2:3]
	v_lshlrev_b64 v[3:4], 3, v[12:13]
	s_delay_alu instid0(VALU_DEP_2) | instskip(NEXT) | instid1(VALU_DEP_3)
	v_add_co_u32 v1, vcc_lo, v1, v8
	v_add_co_ci_u32_e32 v2, vcc_lo, 0, v2, vcc_lo
	s_delay_alu instid0(VALU_DEP_3) | instskip(NEXT) | instid1(VALU_DEP_4)
	v_add_co_u32 v3, vcc_lo, v3, v14
	v_add_co_ci_u32_e32 v4, vcc_lo, 0, v4, vcc_lo
	s_waitcnt lgkmcnt(0)
	v_add_co_u32 v1, vcc_lo, s12, v1
	v_add_co_ci_u32_e32 v2, vcc_lo, s13, v2, vcc_lo
	v_add_co_u32 v3, vcc_lo, s6, v3
	v_add_co_ci_u32_e32 v4, vcc_lo, s7, v4, vcc_lo
.LBB577_2:                              ; =>This Inner Loop Header: Depth=1
	global_load_b64 v[12:13], v[3:4], off
	global_load_b64 v[14:15], v[1:2], off
	v_add_co_u32 v1, vcc_lo, 0x80, v1
	v_add_co_ci_u32_e32 v2, vcc_lo, 0, v2, vcc_lo
	v_add_co_u32 v3, vcc_lo, 0x80, v3
	v_add_co_ci_u32_e32 v4, vcc_lo, 0, v4, vcc_lo
	s_add_i32 s9, s9, 16
	s_waitcnt vmcnt(1)
	ds_store_b64 v10, v[12:13]
	s_waitcnt vmcnt(0)
	ds_store_b64 v11, v[14:15]
	s_waitcnt lgkmcnt(0)
	s_barrier
	buffer_gl0_inv
	ds_load_2addr_b64 v[12:15], v8 offset1:16
	ds_load_b128 v[16:19], v9
	ds_load_b128 v[20:23], v9 offset:16
	s_cmp_lt_i32 s9, s8
	s_waitcnt lgkmcnt(1)
	v_fma_f64 v[5:6], v[12:13], v[16:17], v[5:6]
	s_delay_alu instid0(VALU_DEP_1) | instskip(SKIP_3) | instid1(VALU_DEP_1)
	v_fma_f64 v[5:6], v[14:15], v[18:19], v[5:6]
	ds_load_2addr_b64 v[12:15], v8 offset0:32 offset1:48
	s_waitcnt lgkmcnt(0)
	v_fma_f64 v[5:6], v[12:13], v[20:21], v[5:6]
	v_fma_f64 v[5:6], v[14:15], v[22:23], v[5:6]
	ds_load_2addr_b64 v[12:15], v8 offset0:64 offset1:80
	ds_load_b128 v[16:19], v9 offset:32
	ds_load_b128 v[20:23], v9 offset:48
	s_waitcnt lgkmcnt(1)
	v_fma_f64 v[5:6], v[12:13], v[16:17], v[5:6]
	s_delay_alu instid0(VALU_DEP_1) | instskip(SKIP_3) | instid1(VALU_DEP_1)
	v_fma_f64 v[5:6], v[14:15], v[18:19], v[5:6]
	ds_load_2addr_b64 v[12:15], v8 offset0:96 offset1:112
	s_waitcnt lgkmcnt(0)
	v_fma_f64 v[5:6], v[12:13], v[20:21], v[5:6]
	v_fma_f64 v[5:6], v[14:15], v[22:23], v[5:6]
	ds_load_2addr_b64 v[12:15], v8 offset0:128 offset1:144
	ds_load_b128 v[16:19], v9 offset:64
	ds_load_b128 v[20:23], v9 offset:80
	;; [unrolled: 11-line block ×3, first 2 shown]
	s_waitcnt lgkmcnt(1)
	v_fma_f64 v[5:6], v[12:13], v[16:17], v[5:6]
	s_delay_alu instid0(VALU_DEP_1)
	v_fma_f64 v[5:6], v[14:15], v[18:19], v[5:6]
	ds_load_2addr_b64 v[12:15], v8 offset0:224 offset1:240
	s_waitcnt lgkmcnt(0)
	s_barrier
	buffer_gl0_inv
	v_fma_f64 v[5:6], v[12:13], v[20:21], v[5:6]
	s_delay_alu instid0(VALU_DEP_1)
	v_fma_f64 v[5:6], v[14:15], v[22:23], v[5:6]
	s_cbranch_scc1 .LBB577_2
; %bb.3:
	s_mov_b32 s6, exec_lo
	v_cmpx_le_i32_e64 v7, v0
	s_cbranch_execz .LBB577_5
.LBB577_4:
	s_load_b32 s0, s[0:1], 0x50
	s_delay_alu instid0(VALU_DEP_2) | instskip(SKIP_1) | instid1(VALU_DEP_1)
	v_mul_f64 v[2:3], v[5:6], s[4:5]
	v_ashrrev_i32_e32 v1, 31, v0
	v_lshlrev_b64 v[0:1], 3, v[0:1]
	s_waitcnt lgkmcnt(0)
	v_mad_i64_i32 v[4:5], null, s0, v7, 0
	s_delay_alu instid0(VALU_DEP_1) | instskip(NEXT) | instid1(VALU_DEP_1)
	v_lshlrev_b64 v[4:5], 3, v[4:5]
	v_add_co_u32 v4, vcc_lo, s2, v4
	s_delay_alu instid0(VALU_DEP_2) | instskip(NEXT) | instid1(VALU_DEP_2)
	v_add_co_ci_u32_e32 v5, vcc_lo, s3, v5, vcc_lo
	v_add_co_u32 v0, vcc_lo, v4, v0
	s_delay_alu instid0(VALU_DEP_2)
	v_add_co_ci_u32_e32 v1, vcc_lo, v5, v1, vcc_lo
	global_store_b64 v[0:1], v[2:3], off
.LBB577_5:
	s_nop 0
	s_sendmsg sendmsg(MSG_DEALLOC_VGPRS)
	s_endpgm
.LBB577_6:
	v_mov_b32_e32 v5, 0
	v_mov_b32_e32 v6, 0
	s_waitcnt lgkmcnt(0)
	s_mov_b32 s6, exec_lo
	v_cmpx_le_i32_e64 v7, v0
	s_cbranch_execnz .LBB577_4
	s_branch .LBB577_5
	.section	.rodata,"a",@progbits
	.p2align	6, 0x0
	.amdhsa_kernel _ZL41rocblas_syrkx_herkx_small_restrict_kernelIidLi16ELb1ELb0ELc84ELc76EKPKdKPdEviT_T0_PT6_S5_lS8_S5_lS6_PT7_S5_li
		.amdhsa_group_segment_fixed_size 4096
		.amdhsa_private_segment_fixed_size 0
		.amdhsa_kernarg_size 100
		.amdhsa_user_sgpr_count 13
		.amdhsa_user_sgpr_dispatch_ptr 0
		.amdhsa_user_sgpr_queue_ptr 0
		.amdhsa_user_sgpr_kernarg_segment_ptr 1
		.amdhsa_user_sgpr_dispatch_id 0
		.amdhsa_user_sgpr_private_segment_size 0
		.amdhsa_wavefront_size32 1
		.amdhsa_uses_dynamic_stack 0
		.amdhsa_enable_private_segment 0
		.amdhsa_system_sgpr_workgroup_id_x 1
		.amdhsa_system_sgpr_workgroup_id_y 1
		.amdhsa_system_sgpr_workgroup_id_z 1
		.amdhsa_system_sgpr_workgroup_info 0
		.amdhsa_system_vgpr_workitem_id 1
		.amdhsa_next_free_vgpr 24
		.amdhsa_next_free_sgpr 16
		.amdhsa_reserve_vcc 1
		.amdhsa_float_round_mode_32 0
		.amdhsa_float_round_mode_16_64 0
		.amdhsa_float_denorm_mode_32 3
		.amdhsa_float_denorm_mode_16_64 3
		.amdhsa_dx10_clamp 1
		.amdhsa_ieee_mode 1
		.amdhsa_fp16_overflow 0
		.amdhsa_workgroup_processor_mode 1
		.amdhsa_memory_ordered 1
		.amdhsa_forward_progress 0
		.amdhsa_shared_vgpr_count 0
		.amdhsa_exception_fp_ieee_invalid_op 0
		.amdhsa_exception_fp_denorm_src 0
		.amdhsa_exception_fp_ieee_div_zero 0
		.amdhsa_exception_fp_ieee_overflow 0
		.amdhsa_exception_fp_ieee_underflow 0
		.amdhsa_exception_fp_ieee_inexact 0
		.amdhsa_exception_int_div_zero 0
	.end_amdhsa_kernel
	.section	.text._ZL41rocblas_syrkx_herkx_small_restrict_kernelIidLi16ELb1ELb0ELc84ELc76EKPKdKPdEviT_T0_PT6_S5_lS8_S5_lS6_PT7_S5_li,"axG",@progbits,_ZL41rocblas_syrkx_herkx_small_restrict_kernelIidLi16ELb1ELb0ELc84ELc76EKPKdKPdEviT_T0_PT6_S5_lS8_S5_lS6_PT7_S5_li,comdat
.Lfunc_end577:
	.size	_ZL41rocblas_syrkx_herkx_small_restrict_kernelIidLi16ELb1ELb0ELc84ELc76EKPKdKPdEviT_T0_PT6_S5_lS8_S5_lS6_PT7_S5_li, .Lfunc_end577-_ZL41rocblas_syrkx_herkx_small_restrict_kernelIidLi16ELb1ELb0ELc84ELc76EKPKdKPdEviT_T0_PT6_S5_lS8_S5_lS6_PT7_S5_li
                                        ; -- End function
	.section	.AMDGPU.csdata,"",@progbits
; Kernel info:
; codeLenInByte = 880
; NumSgprs: 18
; NumVgprs: 24
; ScratchSize: 0
; MemoryBound: 0
; FloatMode: 240
; IeeeMode: 1
; LDSByteSize: 4096 bytes/workgroup (compile time only)
; SGPRBlocks: 2
; VGPRBlocks: 2
; NumSGPRsForWavesPerEU: 18
; NumVGPRsForWavesPerEU: 24
; Occupancy: 16
; WaveLimiterHint : 1
; COMPUTE_PGM_RSRC2:SCRATCH_EN: 0
; COMPUTE_PGM_RSRC2:USER_SGPR: 13
; COMPUTE_PGM_RSRC2:TRAP_HANDLER: 0
; COMPUTE_PGM_RSRC2:TGID_X_EN: 1
; COMPUTE_PGM_RSRC2:TGID_Y_EN: 1
; COMPUTE_PGM_RSRC2:TGID_Z_EN: 1
; COMPUTE_PGM_RSRC2:TIDIG_COMP_CNT: 1
	.section	.text._ZL41rocblas_syrkx_herkx_small_restrict_kernelIidLi16ELb1ELb0ELc67ELc76EKPKdKPdEviT_T0_PT6_S5_lS8_S5_lS6_PT7_S5_li,"axG",@progbits,_ZL41rocblas_syrkx_herkx_small_restrict_kernelIidLi16ELb1ELb0ELc67ELc76EKPKdKPdEviT_T0_PT6_S5_lS8_S5_lS6_PT7_S5_li,comdat
	.globl	_ZL41rocblas_syrkx_herkx_small_restrict_kernelIidLi16ELb1ELb0ELc67ELc76EKPKdKPdEviT_T0_PT6_S5_lS8_S5_lS6_PT7_S5_li ; -- Begin function _ZL41rocblas_syrkx_herkx_small_restrict_kernelIidLi16ELb1ELb0ELc67ELc76EKPKdKPdEviT_T0_PT6_S5_lS8_S5_lS6_PT7_S5_li
	.p2align	8
	.type	_ZL41rocblas_syrkx_herkx_small_restrict_kernelIidLi16ELb1ELb0ELc67ELc76EKPKdKPdEviT_T0_PT6_S5_lS8_S5_lS6_PT7_S5_li,@function
_ZL41rocblas_syrkx_herkx_small_restrict_kernelIidLi16ELb1ELb0ELc67ELc76EKPKdKPdEviT_T0_PT6_S5_lS8_S5_lS6_PT7_S5_li: ; @_ZL41rocblas_syrkx_herkx_small_restrict_kernelIidLi16ELb1ELb0ELc67ELc76EKPKdKPdEviT_T0_PT6_S5_lS8_S5_lS6_PT7_S5_li
; %bb.0:
	s_load_b64 s[2:3], s[0:1], 0x48
	s_mov_b32 s8, s15
	s_mov_b32 s9, 0
	v_and_b32_e32 v2, 0x3ff, v0
	s_lshl_b64 s[10:11], s[8:9], 3
	s_load_b32 s8, s[0:1], 0x4
	v_bfe_u32 v1, v0, 10, 10
	s_delay_alu instid0(VALU_DEP_2) | instskip(NEXT) | instid1(VALU_DEP_2)
	v_lshl_add_u32 v0, s13, 4, v2
	v_lshl_add_u32 v7, s14, 4, v1
	s_waitcnt lgkmcnt(0)
	s_add_u32 s2, s2, s10
	s_addc_u32 s3, s3, s11
	s_load_b128 s[4:7], s[0:1], 0x8
	s_load_b64 s[2:3], s[2:3], 0x0
	s_cmp_lt_i32 s8, 1
	s_cbranch_scc1 .LBB578_6
; %bb.1:
	s_clause 0x2
	s_load_b64 s[12:13], s[0:1], 0x28
	s_load_b32 s14, s[0:1], 0x30
	s_load_b32 s15, s[0:1], 0x18
	v_lshlrev_b32_e32 v8, 3, v2
	v_dual_mov_b32 v5, 0 :: v_dual_lshlrev_b32 v4, 7, v1
	v_lshlrev_b32_e32 v14, 3, v1
	s_delay_alu instid0(VALU_DEP_2) | instskip(NEXT) | instid1(VALU_DEP_4)
	v_dual_mov_b32 v6, 0 :: v_dual_add_nc_u32 v9, 0x800, v4
	v_add_nc_u32_e32 v10, v8, v4
	s_delay_alu instid0(VALU_DEP_2)
	v_add_nc_u32_e32 v11, v9, v8
	s_waitcnt lgkmcnt(0)
	s_add_u32 s12, s12, s10
	s_addc_u32 s13, s13, s11
	v_mad_i64_i32 v[2:3], null, s14, v7, 0
	s_load_b64 s[12:13], s[12:13], 0x0
	s_add_u32 s6, s6, s10
	s_addc_u32 s7, s7, s11
	v_mad_i64_i32 v[12:13], null, s15, v0, 0
	s_load_b64 s[6:7], s[6:7], 0x0
	s_delay_alu instid0(VALU_DEP_2) | instskip(NEXT) | instid1(VALU_DEP_2)
	v_lshlrev_b64 v[1:2], 3, v[2:3]
	v_lshlrev_b64 v[3:4], 3, v[12:13]
	s_delay_alu instid0(VALU_DEP_2) | instskip(NEXT) | instid1(VALU_DEP_3)
	v_add_co_u32 v1, vcc_lo, v1, v8
	v_add_co_ci_u32_e32 v2, vcc_lo, 0, v2, vcc_lo
	s_delay_alu instid0(VALU_DEP_3) | instskip(NEXT) | instid1(VALU_DEP_4)
	v_add_co_u32 v3, vcc_lo, v3, v14
	v_add_co_ci_u32_e32 v4, vcc_lo, 0, v4, vcc_lo
	s_waitcnt lgkmcnt(0)
	v_add_co_u32 v1, vcc_lo, s12, v1
	v_add_co_ci_u32_e32 v2, vcc_lo, s13, v2, vcc_lo
	v_add_co_u32 v3, vcc_lo, s6, v3
	v_add_co_ci_u32_e32 v4, vcc_lo, s7, v4, vcc_lo
.LBB578_2:                              ; =>This Inner Loop Header: Depth=1
	global_load_b64 v[12:13], v[3:4], off
	global_load_b64 v[14:15], v[1:2], off
	v_add_co_u32 v1, vcc_lo, 0x80, v1
	v_add_co_ci_u32_e32 v2, vcc_lo, 0, v2, vcc_lo
	v_add_co_u32 v3, vcc_lo, 0x80, v3
	v_add_co_ci_u32_e32 v4, vcc_lo, 0, v4, vcc_lo
	s_add_i32 s9, s9, 16
	s_waitcnt vmcnt(1)
	ds_store_b64 v10, v[12:13]
	s_waitcnt vmcnt(0)
	ds_store_b64 v11, v[14:15]
	s_waitcnt lgkmcnt(0)
	s_barrier
	buffer_gl0_inv
	ds_load_2addr_b64 v[12:15], v8 offset1:16
	ds_load_b128 v[16:19], v9
	ds_load_b128 v[20:23], v9 offset:16
	s_cmp_lt_i32 s9, s8
	s_waitcnt lgkmcnt(1)
	v_fma_f64 v[5:6], v[12:13], v[16:17], v[5:6]
	s_delay_alu instid0(VALU_DEP_1) | instskip(SKIP_3) | instid1(VALU_DEP_1)
	v_fma_f64 v[5:6], v[14:15], v[18:19], v[5:6]
	ds_load_2addr_b64 v[12:15], v8 offset0:32 offset1:48
	s_waitcnt lgkmcnt(0)
	v_fma_f64 v[5:6], v[12:13], v[20:21], v[5:6]
	v_fma_f64 v[5:6], v[14:15], v[22:23], v[5:6]
	ds_load_2addr_b64 v[12:15], v8 offset0:64 offset1:80
	ds_load_b128 v[16:19], v9 offset:32
	ds_load_b128 v[20:23], v9 offset:48
	s_waitcnt lgkmcnt(1)
	v_fma_f64 v[5:6], v[12:13], v[16:17], v[5:6]
	s_delay_alu instid0(VALU_DEP_1) | instskip(SKIP_3) | instid1(VALU_DEP_1)
	v_fma_f64 v[5:6], v[14:15], v[18:19], v[5:6]
	ds_load_2addr_b64 v[12:15], v8 offset0:96 offset1:112
	s_waitcnt lgkmcnt(0)
	v_fma_f64 v[5:6], v[12:13], v[20:21], v[5:6]
	v_fma_f64 v[5:6], v[14:15], v[22:23], v[5:6]
	ds_load_2addr_b64 v[12:15], v8 offset0:128 offset1:144
	ds_load_b128 v[16:19], v9 offset:64
	ds_load_b128 v[20:23], v9 offset:80
	;; [unrolled: 11-line block ×3, first 2 shown]
	s_waitcnt lgkmcnt(1)
	v_fma_f64 v[5:6], v[12:13], v[16:17], v[5:6]
	s_delay_alu instid0(VALU_DEP_1)
	v_fma_f64 v[5:6], v[14:15], v[18:19], v[5:6]
	ds_load_2addr_b64 v[12:15], v8 offset0:224 offset1:240
	s_waitcnt lgkmcnt(0)
	s_barrier
	buffer_gl0_inv
	v_fma_f64 v[5:6], v[12:13], v[20:21], v[5:6]
	s_delay_alu instid0(VALU_DEP_1)
	v_fma_f64 v[5:6], v[14:15], v[22:23], v[5:6]
	s_cbranch_scc1 .LBB578_2
; %bb.3:
	s_mov_b32 s6, exec_lo
	v_cmpx_le_i32_e64 v7, v0
	s_cbranch_execz .LBB578_5
.LBB578_4:
	s_load_b32 s0, s[0:1], 0x50
	s_delay_alu instid0(VALU_DEP_2) | instskip(SKIP_1) | instid1(VALU_DEP_1)
	v_mul_f64 v[2:3], v[5:6], s[4:5]
	v_ashrrev_i32_e32 v1, 31, v0
	v_lshlrev_b64 v[0:1], 3, v[0:1]
	s_waitcnt lgkmcnt(0)
	v_mad_i64_i32 v[4:5], null, s0, v7, 0
	s_delay_alu instid0(VALU_DEP_1) | instskip(NEXT) | instid1(VALU_DEP_1)
	v_lshlrev_b64 v[4:5], 3, v[4:5]
	v_add_co_u32 v4, vcc_lo, s2, v4
	s_delay_alu instid0(VALU_DEP_2) | instskip(NEXT) | instid1(VALU_DEP_2)
	v_add_co_ci_u32_e32 v5, vcc_lo, s3, v5, vcc_lo
	v_add_co_u32 v0, vcc_lo, v4, v0
	s_delay_alu instid0(VALU_DEP_2)
	v_add_co_ci_u32_e32 v1, vcc_lo, v5, v1, vcc_lo
	global_store_b64 v[0:1], v[2:3], off
.LBB578_5:
	s_nop 0
	s_sendmsg sendmsg(MSG_DEALLOC_VGPRS)
	s_endpgm
.LBB578_6:
	v_mov_b32_e32 v5, 0
	v_mov_b32_e32 v6, 0
	s_waitcnt lgkmcnt(0)
	s_mov_b32 s6, exec_lo
	v_cmpx_le_i32_e64 v7, v0
	s_cbranch_execnz .LBB578_4
	s_branch .LBB578_5
	.section	.rodata,"a",@progbits
	.p2align	6, 0x0
	.amdhsa_kernel _ZL41rocblas_syrkx_herkx_small_restrict_kernelIidLi16ELb1ELb0ELc67ELc76EKPKdKPdEviT_T0_PT6_S5_lS8_S5_lS6_PT7_S5_li
		.amdhsa_group_segment_fixed_size 4096
		.amdhsa_private_segment_fixed_size 0
		.amdhsa_kernarg_size 100
		.amdhsa_user_sgpr_count 13
		.amdhsa_user_sgpr_dispatch_ptr 0
		.amdhsa_user_sgpr_queue_ptr 0
		.amdhsa_user_sgpr_kernarg_segment_ptr 1
		.amdhsa_user_sgpr_dispatch_id 0
		.amdhsa_user_sgpr_private_segment_size 0
		.amdhsa_wavefront_size32 1
		.amdhsa_uses_dynamic_stack 0
		.amdhsa_enable_private_segment 0
		.amdhsa_system_sgpr_workgroup_id_x 1
		.amdhsa_system_sgpr_workgroup_id_y 1
		.amdhsa_system_sgpr_workgroup_id_z 1
		.amdhsa_system_sgpr_workgroup_info 0
		.amdhsa_system_vgpr_workitem_id 1
		.amdhsa_next_free_vgpr 24
		.amdhsa_next_free_sgpr 16
		.amdhsa_reserve_vcc 1
		.amdhsa_float_round_mode_32 0
		.amdhsa_float_round_mode_16_64 0
		.amdhsa_float_denorm_mode_32 3
		.amdhsa_float_denorm_mode_16_64 3
		.amdhsa_dx10_clamp 1
		.amdhsa_ieee_mode 1
		.amdhsa_fp16_overflow 0
		.amdhsa_workgroup_processor_mode 1
		.amdhsa_memory_ordered 1
		.amdhsa_forward_progress 0
		.amdhsa_shared_vgpr_count 0
		.amdhsa_exception_fp_ieee_invalid_op 0
		.amdhsa_exception_fp_denorm_src 0
		.amdhsa_exception_fp_ieee_div_zero 0
		.amdhsa_exception_fp_ieee_overflow 0
		.amdhsa_exception_fp_ieee_underflow 0
		.amdhsa_exception_fp_ieee_inexact 0
		.amdhsa_exception_int_div_zero 0
	.end_amdhsa_kernel
	.section	.text._ZL41rocblas_syrkx_herkx_small_restrict_kernelIidLi16ELb1ELb0ELc67ELc76EKPKdKPdEviT_T0_PT6_S5_lS8_S5_lS6_PT7_S5_li,"axG",@progbits,_ZL41rocblas_syrkx_herkx_small_restrict_kernelIidLi16ELb1ELb0ELc67ELc76EKPKdKPdEviT_T0_PT6_S5_lS8_S5_lS6_PT7_S5_li,comdat
.Lfunc_end578:
	.size	_ZL41rocblas_syrkx_herkx_small_restrict_kernelIidLi16ELb1ELb0ELc67ELc76EKPKdKPdEviT_T0_PT6_S5_lS8_S5_lS6_PT7_S5_li, .Lfunc_end578-_ZL41rocblas_syrkx_herkx_small_restrict_kernelIidLi16ELb1ELb0ELc67ELc76EKPKdKPdEviT_T0_PT6_S5_lS8_S5_lS6_PT7_S5_li
                                        ; -- End function
	.section	.AMDGPU.csdata,"",@progbits
; Kernel info:
; codeLenInByte = 880
; NumSgprs: 18
; NumVgprs: 24
; ScratchSize: 0
; MemoryBound: 0
; FloatMode: 240
; IeeeMode: 1
; LDSByteSize: 4096 bytes/workgroup (compile time only)
; SGPRBlocks: 2
; VGPRBlocks: 2
; NumSGPRsForWavesPerEU: 18
; NumVGPRsForWavesPerEU: 24
; Occupancy: 16
; WaveLimiterHint : 1
; COMPUTE_PGM_RSRC2:SCRATCH_EN: 0
; COMPUTE_PGM_RSRC2:USER_SGPR: 13
; COMPUTE_PGM_RSRC2:TRAP_HANDLER: 0
; COMPUTE_PGM_RSRC2:TGID_X_EN: 1
; COMPUTE_PGM_RSRC2:TGID_Y_EN: 1
; COMPUTE_PGM_RSRC2:TGID_Z_EN: 1
; COMPUTE_PGM_RSRC2:TIDIG_COMP_CNT: 1
	.section	.text._ZL41rocblas_syrkx_herkx_small_restrict_kernelIidLi16ELb1ELb0ELc78ELc76EKPKdKPdEviT_T0_PT6_S5_lS8_S5_lS6_PT7_S5_li,"axG",@progbits,_ZL41rocblas_syrkx_herkx_small_restrict_kernelIidLi16ELb1ELb0ELc78ELc76EKPKdKPdEviT_T0_PT6_S5_lS8_S5_lS6_PT7_S5_li,comdat
	.globl	_ZL41rocblas_syrkx_herkx_small_restrict_kernelIidLi16ELb1ELb0ELc78ELc76EKPKdKPdEviT_T0_PT6_S5_lS8_S5_lS6_PT7_S5_li ; -- Begin function _ZL41rocblas_syrkx_herkx_small_restrict_kernelIidLi16ELb1ELb0ELc78ELc76EKPKdKPdEviT_T0_PT6_S5_lS8_S5_lS6_PT7_S5_li
	.p2align	8
	.type	_ZL41rocblas_syrkx_herkx_small_restrict_kernelIidLi16ELb1ELb0ELc78ELc76EKPKdKPdEviT_T0_PT6_S5_lS8_S5_lS6_PT7_S5_li,@function
_ZL41rocblas_syrkx_herkx_small_restrict_kernelIidLi16ELb1ELb0ELc78ELc76EKPKdKPdEviT_T0_PT6_S5_lS8_S5_lS6_PT7_S5_li: ; @_ZL41rocblas_syrkx_herkx_small_restrict_kernelIidLi16ELb1ELb0ELc78ELc76EKPKdKPdEviT_T0_PT6_S5_lS8_S5_lS6_PT7_S5_li
; %bb.0:
	s_load_b64 s[2:3], s[0:1], 0x48
	s_mov_b32 s8, s15
	s_mov_b32 s9, 0
	v_and_b32_e32 v5, 0x3ff, v0
	s_lshl_b64 s[10:11], s[8:9], 3
	s_load_b32 s8, s[0:1], 0x4
	v_bfe_u32 v4, v0, 10, 10
	s_delay_alu instid0(VALU_DEP_2) | instskip(NEXT) | instid1(VALU_DEP_2)
	v_lshl_add_u32 v0, s13, 4, v5
	v_lshl_add_u32 v2, s14, 4, v4
	s_delay_alu instid0(VALU_DEP_2)
	v_ashrrev_i32_e32 v1, 31, v0
	s_waitcnt lgkmcnt(0)
	s_add_u32 s2, s2, s10
	s_addc_u32 s3, s3, s11
	s_load_b128 s[4:7], s[0:1], 0x8
	s_load_b64 s[2:3], s[2:3], 0x0
	s_cmp_lt_i32 s8, 1
	s_cbranch_scc1 .LBB579_6
; %bb.1:
	s_clause 0x2
	s_load_b32 s12, s[0:1], 0x18
	s_load_b32 s14, s[0:1], 0x30
	s_load_b64 s[16:17], s[0:1], 0x28
	v_ashrrev_i32_e32 v3, 31, v2
	v_lshlrev_b32_e32 v11, 7, v4
	v_lshlrev_b32_e32 v9, 3, v5
	v_lshlrev_b64 v[13:14], 3, v[0:1]
	s_waitcnt lgkmcnt(0)
	s_ashr_i32 s13, s12, 31
	s_ashr_i32 s15, s14, 31
	s_add_u32 s16, s16, s10
	s_addc_u32 s17, s17, s11
	v_mad_i64_i32 v[6:7], null, s14, v5, 0
	s_load_b64 s[16:17], s[16:17], 0x0
	s_add_u32 s6, s6, s10
	s_addc_u32 s7, s7, s11
	v_mad_i64_i32 v[15:16], null, s12, v4, 0
	s_load_b64 s[6:7], s[6:7], 0x0
	v_lshlrev_b64 v[3:4], 3, v[2:3]
	s_delay_alu instid0(VALU_DEP_3)
	v_lshlrev_b64 v[5:6], 3, v[6:7]
	v_mov_b32_e32 v7, 0
	v_mov_b32_e32 v8, 0
	v_add_nc_u32_e32 v10, 0x800, v11
	v_lshlrev_b64 v[15:16], 3, v[15:16]
	v_add_nc_u32_e32 v11, v9, v11
	v_add_co_u32 v3, vcc_lo, v5, v3
	s_delay_alu instid0(VALU_DEP_4)
	v_add_nc_u32_e32 v12, v10, v9
	v_add_co_ci_u32_e32 v4, vcc_lo, v6, v4, vcc_lo
	v_add_co_u32 v5, vcc_lo, v15, v13
	v_add_co_ci_u32_e32 v6, vcc_lo, v16, v14, vcc_lo
	s_waitcnt lgkmcnt(0)
	v_add_co_u32 v3, vcc_lo, s16, v3
	v_add_co_ci_u32_e32 v4, vcc_lo, s17, v4, vcc_lo
	v_add_co_u32 v5, vcc_lo, s6, v5
	v_add_co_ci_u32_e32 v6, vcc_lo, s7, v6, vcc_lo
	s_lshl_b64 s[6:7], s[14:15], 7
	s_lshl_b64 s[10:11], s[12:13], 7
.LBB579_2:                              ; =>This Inner Loop Header: Depth=1
	global_load_b64 v[13:14], v[5:6], off
	global_load_b64 v[15:16], v[3:4], off
	v_add_co_u32 v3, vcc_lo, v3, s6
	v_add_co_ci_u32_e32 v4, vcc_lo, s7, v4, vcc_lo
	v_add_co_u32 v5, vcc_lo, v5, s10
	v_add_co_ci_u32_e32 v6, vcc_lo, s11, v6, vcc_lo
	s_add_i32 s9, s9, 16
	s_waitcnt vmcnt(1)
	ds_store_b64 v11, v[13:14]
	s_waitcnt vmcnt(0)
	ds_store_b64 v12, v[15:16]
	s_waitcnt lgkmcnt(0)
	s_barrier
	buffer_gl0_inv
	ds_load_2addr_b64 v[13:16], v9 offset1:16
	ds_load_b128 v[17:20], v10
	ds_load_b128 v[21:24], v10 offset:16
	s_cmp_lt_i32 s9, s8
	s_waitcnt lgkmcnt(1)
	v_fma_f64 v[7:8], v[13:14], v[17:18], v[7:8]
	s_delay_alu instid0(VALU_DEP_1) | instskip(SKIP_3) | instid1(VALU_DEP_1)
	v_fma_f64 v[7:8], v[15:16], v[19:20], v[7:8]
	ds_load_2addr_b64 v[13:16], v9 offset0:32 offset1:48
	s_waitcnt lgkmcnt(0)
	v_fma_f64 v[7:8], v[13:14], v[21:22], v[7:8]
	v_fma_f64 v[7:8], v[15:16], v[23:24], v[7:8]
	ds_load_2addr_b64 v[13:16], v9 offset0:64 offset1:80
	ds_load_b128 v[17:20], v10 offset:32
	ds_load_b128 v[21:24], v10 offset:48
	s_waitcnt lgkmcnt(1)
	v_fma_f64 v[7:8], v[13:14], v[17:18], v[7:8]
	s_delay_alu instid0(VALU_DEP_1) | instskip(SKIP_3) | instid1(VALU_DEP_1)
	v_fma_f64 v[7:8], v[15:16], v[19:20], v[7:8]
	ds_load_2addr_b64 v[13:16], v9 offset0:96 offset1:112
	s_waitcnt lgkmcnt(0)
	v_fma_f64 v[7:8], v[13:14], v[21:22], v[7:8]
	v_fma_f64 v[7:8], v[15:16], v[23:24], v[7:8]
	ds_load_2addr_b64 v[13:16], v9 offset0:128 offset1:144
	ds_load_b128 v[17:20], v10 offset:64
	ds_load_b128 v[21:24], v10 offset:80
	;; [unrolled: 11-line block ×3, first 2 shown]
	s_waitcnt lgkmcnt(1)
	v_fma_f64 v[7:8], v[13:14], v[17:18], v[7:8]
	s_delay_alu instid0(VALU_DEP_1)
	v_fma_f64 v[7:8], v[15:16], v[19:20], v[7:8]
	ds_load_2addr_b64 v[13:16], v9 offset0:224 offset1:240
	s_waitcnt lgkmcnt(0)
	s_barrier
	buffer_gl0_inv
	v_fma_f64 v[7:8], v[13:14], v[21:22], v[7:8]
	s_delay_alu instid0(VALU_DEP_1)
	v_fma_f64 v[7:8], v[15:16], v[23:24], v[7:8]
	s_cbranch_scc1 .LBB579_2
; %bb.3:
	s_mov_b32 s6, exec_lo
	v_cmpx_le_i32_e64 v2, v0
	s_cbranch_execz .LBB579_5
.LBB579_4:
	s_load_b32 s0, s[0:1], 0x50
	s_delay_alu instid0(VALU_DEP_2) | instskip(SKIP_3) | instid1(VALU_DEP_1)
	v_mul_f64 v[3:4], v[7:8], s[4:5]
	v_lshlrev_b64 v[0:1], 3, v[0:1]
	s_waitcnt lgkmcnt(0)
	v_mad_i64_i32 v[5:6], null, s0, v2, 0
	v_lshlrev_b64 v[5:6], 3, v[5:6]
	s_delay_alu instid0(VALU_DEP_1) | instskip(NEXT) | instid1(VALU_DEP_2)
	v_add_co_u32 v2, vcc_lo, s2, v5
	v_add_co_ci_u32_e32 v5, vcc_lo, s3, v6, vcc_lo
	s_delay_alu instid0(VALU_DEP_2) | instskip(NEXT) | instid1(VALU_DEP_2)
	v_add_co_u32 v0, vcc_lo, v2, v0
	v_add_co_ci_u32_e32 v1, vcc_lo, v5, v1, vcc_lo
	global_store_b64 v[0:1], v[3:4], off
.LBB579_5:
	s_nop 0
	s_sendmsg sendmsg(MSG_DEALLOC_VGPRS)
	s_endpgm
.LBB579_6:
	v_mov_b32_e32 v7, 0
	v_mov_b32_e32 v8, 0
	s_waitcnt lgkmcnt(0)
	s_mov_b32 s6, exec_lo
	v_cmpx_le_i32_e64 v2, v0
	s_cbranch_execnz .LBB579_4
	s_branch .LBB579_5
	.section	.rodata,"a",@progbits
	.p2align	6, 0x0
	.amdhsa_kernel _ZL41rocblas_syrkx_herkx_small_restrict_kernelIidLi16ELb1ELb0ELc78ELc76EKPKdKPdEviT_T0_PT6_S5_lS8_S5_lS6_PT7_S5_li
		.amdhsa_group_segment_fixed_size 4096
		.amdhsa_private_segment_fixed_size 0
		.amdhsa_kernarg_size 100
		.amdhsa_user_sgpr_count 13
		.amdhsa_user_sgpr_dispatch_ptr 0
		.amdhsa_user_sgpr_queue_ptr 0
		.amdhsa_user_sgpr_kernarg_segment_ptr 1
		.amdhsa_user_sgpr_dispatch_id 0
		.amdhsa_user_sgpr_private_segment_size 0
		.amdhsa_wavefront_size32 1
		.amdhsa_uses_dynamic_stack 0
		.amdhsa_enable_private_segment 0
		.amdhsa_system_sgpr_workgroup_id_x 1
		.amdhsa_system_sgpr_workgroup_id_y 1
		.amdhsa_system_sgpr_workgroup_id_z 1
		.amdhsa_system_sgpr_workgroup_info 0
		.amdhsa_system_vgpr_workitem_id 1
		.amdhsa_next_free_vgpr 25
		.amdhsa_next_free_sgpr 18
		.amdhsa_reserve_vcc 1
		.amdhsa_float_round_mode_32 0
		.amdhsa_float_round_mode_16_64 0
		.amdhsa_float_denorm_mode_32 3
		.amdhsa_float_denorm_mode_16_64 3
		.amdhsa_dx10_clamp 1
		.amdhsa_ieee_mode 1
		.amdhsa_fp16_overflow 0
		.amdhsa_workgroup_processor_mode 1
		.amdhsa_memory_ordered 1
		.amdhsa_forward_progress 0
		.amdhsa_shared_vgpr_count 0
		.amdhsa_exception_fp_ieee_invalid_op 0
		.amdhsa_exception_fp_denorm_src 0
		.amdhsa_exception_fp_ieee_div_zero 0
		.amdhsa_exception_fp_ieee_overflow 0
		.amdhsa_exception_fp_ieee_underflow 0
		.amdhsa_exception_fp_ieee_inexact 0
		.amdhsa_exception_int_div_zero 0
	.end_amdhsa_kernel
	.section	.text._ZL41rocblas_syrkx_herkx_small_restrict_kernelIidLi16ELb1ELb0ELc78ELc76EKPKdKPdEviT_T0_PT6_S5_lS8_S5_lS6_PT7_S5_li,"axG",@progbits,_ZL41rocblas_syrkx_herkx_small_restrict_kernelIidLi16ELb1ELb0ELc78ELc76EKPKdKPdEviT_T0_PT6_S5_lS8_S5_lS6_PT7_S5_li,comdat
.Lfunc_end579:
	.size	_ZL41rocblas_syrkx_herkx_small_restrict_kernelIidLi16ELb1ELb0ELc78ELc76EKPKdKPdEviT_T0_PT6_S5_lS8_S5_lS6_PT7_S5_li, .Lfunc_end579-_ZL41rocblas_syrkx_herkx_small_restrict_kernelIidLi16ELb1ELb0ELc78ELc76EKPKdKPdEviT_T0_PT6_S5_lS8_S5_lS6_PT7_S5_li
                                        ; -- End function
	.section	.AMDGPU.csdata,"",@progbits
; Kernel info:
; codeLenInByte = 892
; NumSgprs: 20
; NumVgprs: 25
; ScratchSize: 0
; MemoryBound: 0
; FloatMode: 240
; IeeeMode: 1
; LDSByteSize: 4096 bytes/workgroup (compile time only)
; SGPRBlocks: 2
; VGPRBlocks: 3
; NumSGPRsForWavesPerEU: 20
; NumVGPRsForWavesPerEU: 25
; Occupancy: 16
; WaveLimiterHint : 1
; COMPUTE_PGM_RSRC2:SCRATCH_EN: 0
; COMPUTE_PGM_RSRC2:USER_SGPR: 13
; COMPUTE_PGM_RSRC2:TRAP_HANDLER: 0
; COMPUTE_PGM_RSRC2:TGID_X_EN: 1
; COMPUTE_PGM_RSRC2:TGID_Y_EN: 1
; COMPUTE_PGM_RSRC2:TGID_Z_EN: 1
; COMPUTE_PGM_RSRC2:TIDIG_COMP_CNT: 1
	.section	.text._ZL41rocblas_syrkx_herkx_small_restrict_kernelIidLi16ELb1ELb0ELc84ELc85EKPKdKPdEviT_T0_PT6_S5_lS8_S5_lS6_PT7_S5_li,"axG",@progbits,_ZL41rocblas_syrkx_herkx_small_restrict_kernelIidLi16ELb1ELb0ELc84ELc85EKPKdKPdEviT_T0_PT6_S5_lS8_S5_lS6_PT7_S5_li,comdat
	.globl	_ZL41rocblas_syrkx_herkx_small_restrict_kernelIidLi16ELb1ELb0ELc84ELc85EKPKdKPdEviT_T0_PT6_S5_lS8_S5_lS6_PT7_S5_li ; -- Begin function _ZL41rocblas_syrkx_herkx_small_restrict_kernelIidLi16ELb1ELb0ELc84ELc85EKPKdKPdEviT_T0_PT6_S5_lS8_S5_lS6_PT7_S5_li
	.p2align	8
	.type	_ZL41rocblas_syrkx_herkx_small_restrict_kernelIidLi16ELb1ELb0ELc84ELc85EKPKdKPdEviT_T0_PT6_S5_lS8_S5_lS6_PT7_S5_li,@function
_ZL41rocblas_syrkx_herkx_small_restrict_kernelIidLi16ELb1ELb0ELc84ELc85EKPKdKPdEviT_T0_PT6_S5_lS8_S5_lS6_PT7_S5_li: ; @_ZL41rocblas_syrkx_herkx_small_restrict_kernelIidLi16ELb1ELb0ELc84ELc85EKPKdKPdEviT_T0_PT6_S5_lS8_S5_lS6_PT7_S5_li
; %bb.0:
	s_load_b64 s[2:3], s[0:1], 0x48
	s_mov_b32 s8, s15
	s_mov_b32 s9, 0
	v_and_b32_e32 v2, 0x3ff, v0
	s_lshl_b64 s[10:11], s[8:9], 3
	s_load_b32 s8, s[0:1], 0x4
	v_bfe_u32 v1, v0, 10, 10
	s_delay_alu instid0(VALU_DEP_2) | instskip(NEXT) | instid1(VALU_DEP_2)
	v_lshl_add_u32 v0, s13, 4, v2
	v_lshl_add_u32 v7, s14, 4, v1
	s_waitcnt lgkmcnt(0)
	s_add_u32 s2, s2, s10
	s_addc_u32 s3, s3, s11
	s_load_b128 s[4:7], s[0:1], 0x8
	s_load_b64 s[2:3], s[2:3], 0x0
	s_cmp_lt_i32 s8, 1
	s_cbranch_scc1 .LBB580_6
; %bb.1:
	s_clause 0x2
	s_load_b64 s[12:13], s[0:1], 0x28
	s_load_b32 s14, s[0:1], 0x30
	s_load_b32 s15, s[0:1], 0x18
	v_lshlrev_b32_e32 v8, 3, v2
	v_dual_mov_b32 v5, 0 :: v_dual_lshlrev_b32 v4, 7, v1
	v_lshlrev_b32_e32 v14, 3, v1
	s_delay_alu instid0(VALU_DEP_2) | instskip(NEXT) | instid1(VALU_DEP_4)
	v_dual_mov_b32 v6, 0 :: v_dual_add_nc_u32 v9, 0x800, v4
	v_add_nc_u32_e32 v10, v8, v4
	s_delay_alu instid0(VALU_DEP_2)
	v_add_nc_u32_e32 v11, v9, v8
	s_waitcnt lgkmcnt(0)
	s_add_u32 s12, s12, s10
	s_addc_u32 s13, s13, s11
	v_mad_i64_i32 v[2:3], null, s14, v7, 0
	s_load_b64 s[12:13], s[12:13], 0x0
	s_add_u32 s6, s6, s10
	s_addc_u32 s7, s7, s11
	v_mad_i64_i32 v[12:13], null, s15, v0, 0
	s_load_b64 s[6:7], s[6:7], 0x0
	s_delay_alu instid0(VALU_DEP_2) | instskip(NEXT) | instid1(VALU_DEP_2)
	v_lshlrev_b64 v[1:2], 3, v[2:3]
	v_lshlrev_b64 v[3:4], 3, v[12:13]
	s_delay_alu instid0(VALU_DEP_2) | instskip(NEXT) | instid1(VALU_DEP_3)
	v_add_co_u32 v1, vcc_lo, v1, v8
	v_add_co_ci_u32_e32 v2, vcc_lo, 0, v2, vcc_lo
	s_delay_alu instid0(VALU_DEP_3) | instskip(NEXT) | instid1(VALU_DEP_4)
	v_add_co_u32 v3, vcc_lo, v3, v14
	v_add_co_ci_u32_e32 v4, vcc_lo, 0, v4, vcc_lo
	s_waitcnt lgkmcnt(0)
	v_add_co_u32 v1, vcc_lo, s12, v1
	v_add_co_ci_u32_e32 v2, vcc_lo, s13, v2, vcc_lo
	v_add_co_u32 v3, vcc_lo, s6, v3
	v_add_co_ci_u32_e32 v4, vcc_lo, s7, v4, vcc_lo
.LBB580_2:                              ; =>This Inner Loop Header: Depth=1
	global_load_b64 v[12:13], v[3:4], off
	global_load_b64 v[14:15], v[1:2], off
	v_add_co_u32 v1, vcc_lo, 0x80, v1
	v_add_co_ci_u32_e32 v2, vcc_lo, 0, v2, vcc_lo
	v_add_co_u32 v3, vcc_lo, 0x80, v3
	v_add_co_ci_u32_e32 v4, vcc_lo, 0, v4, vcc_lo
	s_add_i32 s9, s9, 16
	s_waitcnt vmcnt(1)
	ds_store_b64 v10, v[12:13]
	s_waitcnt vmcnt(0)
	ds_store_b64 v11, v[14:15]
	s_waitcnt lgkmcnt(0)
	s_barrier
	buffer_gl0_inv
	ds_load_2addr_b64 v[12:15], v8 offset1:16
	ds_load_b128 v[16:19], v9
	ds_load_b128 v[20:23], v9 offset:16
	s_cmp_lt_i32 s9, s8
	s_waitcnt lgkmcnt(1)
	v_fma_f64 v[5:6], v[12:13], v[16:17], v[5:6]
	s_delay_alu instid0(VALU_DEP_1) | instskip(SKIP_3) | instid1(VALU_DEP_1)
	v_fma_f64 v[5:6], v[14:15], v[18:19], v[5:6]
	ds_load_2addr_b64 v[12:15], v8 offset0:32 offset1:48
	s_waitcnt lgkmcnt(0)
	v_fma_f64 v[5:6], v[12:13], v[20:21], v[5:6]
	v_fma_f64 v[5:6], v[14:15], v[22:23], v[5:6]
	ds_load_2addr_b64 v[12:15], v8 offset0:64 offset1:80
	ds_load_b128 v[16:19], v9 offset:32
	ds_load_b128 v[20:23], v9 offset:48
	s_waitcnt lgkmcnt(1)
	v_fma_f64 v[5:6], v[12:13], v[16:17], v[5:6]
	s_delay_alu instid0(VALU_DEP_1) | instskip(SKIP_3) | instid1(VALU_DEP_1)
	v_fma_f64 v[5:6], v[14:15], v[18:19], v[5:6]
	ds_load_2addr_b64 v[12:15], v8 offset0:96 offset1:112
	s_waitcnt lgkmcnt(0)
	v_fma_f64 v[5:6], v[12:13], v[20:21], v[5:6]
	v_fma_f64 v[5:6], v[14:15], v[22:23], v[5:6]
	ds_load_2addr_b64 v[12:15], v8 offset0:128 offset1:144
	ds_load_b128 v[16:19], v9 offset:64
	ds_load_b128 v[20:23], v9 offset:80
	;; [unrolled: 11-line block ×3, first 2 shown]
	s_waitcnt lgkmcnt(1)
	v_fma_f64 v[5:6], v[12:13], v[16:17], v[5:6]
	s_delay_alu instid0(VALU_DEP_1)
	v_fma_f64 v[5:6], v[14:15], v[18:19], v[5:6]
	ds_load_2addr_b64 v[12:15], v8 offset0:224 offset1:240
	s_waitcnt lgkmcnt(0)
	s_barrier
	buffer_gl0_inv
	v_fma_f64 v[5:6], v[12:13], v[20:21], v[5:6]
	s_delay_alu instid0(VALU_DEP_1)
	v_fma_f64 v[5:6], v[14:15], v[22:23], v[5:6]
	s_cbranch_scc1 .LBB580_2
; %bb.3:
	s_mov_b32 s6, exec_lo
	v_cmpx_le_i32_e64 v0, v7
	s_cbranch_execz .LBB580_5
.LBB580_4:
	s_load_b32 s0, s[0:1], 0x50
	s_delay_alu instid0(VALU_DEP_2) | instskip(SKIP_1) | instid1(VALU_DEP_1)
	v_mul_f64 v[2:3], v[5:6], s[4:5]
	v_ashrrev_i32_e32 v1, 31, v0
	v_lshlrev_b64 v[0:1], 3, v[0:1]
	s_waitcnt lgkmcnt(0)
	v_mad_i64_i32 v[4:5], null, s0, v7, 0
	s_delay_alu instid0(VALU_DEP_1) | instskip(NEXT) | instid1(VALU_DEP_1)
	v_lshlrev_b64 v[4:5], 3, v[4:5]
	v_add_co_u32 v4, vcc_lo, s2, v4
	s_delay_alu instid0(VALU_DEP_2) | instskip(NEXT) | instid1(VALU_DEP_2)
	v_add_co_ci_u32_e32 v5, vcc_lo, s3, v5, vcc_lo
	v_add_co_u32 v0, vcc_lo, v4, v0
	s_delay_alu instid0(VALU_DEP_2)
	v_add_co_ci_u32_e32 v1, vcc_lo, v5, v1, vcc_lo
	global_store_b64 v[0:1], v[2:3], off
.LBB580_5:
	s_nop 0
	s_sendmsg sendmsg(MSG_DEALLOC_VGPRS)
	s_endpgm
.LBB580_6:
	v_mov_b32_e32 v5, 0
	v_mov_b32_e32 v6, 0
	s_waitcnt lgkmcnt(0)
	s_mov_b32 s6, exec_lo
	v_cmpx_le_i32_e64 v0, v7
	s_cbranch_execnz .LBB580_4
	s_branch .LBB580_5
	.section	.rodata,"a",@progbits
	.p2align	6, 0x0
	.amdhsa_kernel _ZL41rocblas_syrkx_herkx_small_restrict_kernelIidLi16ELb1ELb0ELc84ELc85EKPKdKPdEviT_T0_PT6_S5_lS8_S5_lS6_PT7_S5_li
		.amdhsa_group_segment_fixed_size 4096
		.amdhsa_private_segment_fixed_size 0
		.amdhsa_kernarg_size 100
		.amdhsa_user_sgpr_count 13
		.amdhsa_user_sgpr_dispatch_ptr 0
		.amdhsa_user_sgpr_queue_ptr 0
		.amdhsa_user_sgpr_kernarg_segment_ptr 1
		.amdhsa_user_sgpr_dispatch_id 0
		.amdhsa_user_sgpr_private_segment_size 0
		.amdhsa_wavefront_size32 1
		.amdhsa_uses_dynamic_stack 0
		.amdhsa_enable_private_segment 0
		.amdhsa_system_sgpr_workgroup_id_x 1
		.amdhsa_system_sgpr_workgroup_id_y 1
		.amdhsa_system_sgpr_workgroup_id_z 1
		.amdhsa_system_sgpr_workgroup_info 0
		.amdhsa_system_vgpr_workitem_id 1
		.amdhsa_next_free_vgpr 24
		.amdhsa_next_free_sgpr 16
		.amdhsa_reserve_vcc 1
		.amdhsa_float_round_mode_32 0
		.amdhsa_float_round_mode_16_64 0
		.amdhsa_float_denorm_mode_32 3
		.amdhsa_float_denorm_mode_16_64 3
		.amdhsa_dx10_clamp 1
		.amdhsa_ieee_mode 1
		.amdhsa_fp16_overflow 0
		.amdhsa_workgroup_processor_mode 1
		.amdhsa_memory_ordered 1
		.amdhsa_forward_progress 0
		.amdhsa_shared_vgpr_count 0
		.amdhsa_exception_fp_ieee_invalid_op 0
		.amdhsa_exception_fp_denorm_src 0
		.amdhsa_exception_fp_ieee_div_zero 0
		.amdhsa_exception_fp_ieee_overflow 0
		.amdhsa_exception_fp_ieee_underflow 0
		.amdhsa_exception_fp_ieee_inexact 0
		.amdhsa_exception_int_div_zero 0
	.end_amdhsa_kernel
	.section	.text._ZL41rocblas_syrkx_herkx_small_restrict_kernelIidLi16ELb1ELb0ELc84ELc85EKPKdKPdEviT_T0_PT6_S5_lS8_S5_lS6_PT7_S5_li,"axG",@progbits,_ZL41rocblas_syrkx_herkx_small_restrict_kernelIidLi16ELb1ELb0ELc84ELc85EKPKdKPdEviT_T0_PT6_S5_lS8_S5_lS6_PT7_S5_li,comdat
.Lfunc_end580:
	.size	_ZL41rocblas_syrkx_herkx_small_restrict_kernelIidLi16ELb1ELb0ELc84ELc85EKPKdKPdEviT_T0_PT6_S5_lS8_S5_lS6_PT7_S5_li, .Lfunc_end580-_ZL41rocblas_syrkx_herkx_small_restrict_kernelIidLi16ELb1ELb0ELc84ELc85EKPKdKPdEviT_T0_PT6_S5_lS8_S5_lS6_PT7_S5_li
                                        ; -- End function
	.section	.AMDGPU.csdata,"",@progbits
; Kernel info:
; codeLenInByte = 880
; NumSgprs: 18
; NumVgprs: 24
; ScratchSize: 0
; MemoryBound: 0
; FloatMode: 240
; IeeeMode: 1
; LDSByteSize: 4096 bytes/workgroup (compile time only)
; SGPRBlocks: 2
; VGPRBlocks: 2
; NumSGPRsForWavesPerEU: 18
; NumVGPRsForWavesPerEU: 24
; Occupancy: 16
; WaveLimiterHint : 1
; COMPUTE_PGM_RSRC2:SCRATCH_EN: 0
; COMPUTE_PGM_RSRC2:USER_SGPR: 13
; COMPUTE_PGM_RSRC2:TRAP_HANDLER: 0
; COMPUTE_PGM_RSRC2:TGID_X_EN: 1
; COMPUTE_PGM_RSRC2:TGID_Y_EN: 1
; COMPUTE_PGM_RSRC2:TGID_Z_EN: 1
; COMPUTE_PGM_RSRC2:TIDIG_COMP_CNT: 1
	.section	.text._ZL41rocblas_syrkx_herkx_small_restrict_kernelIidLi16ELb1ELb0ELc67ELc85EKPKdKPdEviT_T0_PT6_S5_lS8_S5_lS6_PT7_S5_li,"axG",@progbits,_ZL41rocblas_syrkx_herkx_small_restrict_kernelIidLi16ELb1ELb0ELc67ELc85EKPKdKPdEviT_T0_PT6_S5_lS8_S5_lS6_PT7_S5_li,comdat
	.globl	_ZL41rocblas_syrkx_herkx_small_restrict_kernelIidLi16ELb1ELb0ELc67ELc85EKPKdKPdEviT_T0_PT6_S5_lS8_S5_lS6_PT7_S5_li ; -- Begin function _ZL41rocblas_syrkx_herkx_small_restrict_kernelIidLi16ELb1ELb0ELc67ELc85EKPKdKPdEviT_T0_PT6_S5_lS8_S5_lS6_PT7_S5_li
	.p2align	8
	.type	_ZL41rocblas_syrkx_herkx_small_restrict_kernelIidLi16ELb1ELb0ELc67ELc85EKPKdKPdEviT_T0_PT6_S5_lS8_S5_lS6_PT7_S5_li,@function
_ZL41rocblas_syrkx_herkx_small_restrict_kernelIidLi16ELb1ELb0ELc67ELc85EKPKdKPdEviT_T0_PT6_S5_lS8_S5_lS6_PT7_S5_li: ; @_ZL41rocblas_syrkx_herkx_small_restrict_kernelIidLi16ELb1ELb0ELc67ELc85EKPKdKPdEviT_T0_PT6_S5_lS8_S5_lS6_PT7_S5_li
; %bb.0:
	s_load_b64 s[2:3], s[0:1], 0x48
	s_mov_b32 s8, s15
	s_mov_b32 s9, 0
	v_and_b32_e32 v2, 0x3ff, v0
	s_lshl_b64 s[10:11], s[8:9], 3
	s_load_b32 s8, s[0:1], 0x4
	v_bfe_u32 v1, v0, 10, 10
	s_delay_alu instid0(VALU_DEP_2) | instskip(NEXT) | instid1(VALU_DEP_2)
	v_lshl_add_u32 v0, s13, 4, v2
	v_lshl_add_u32 v7, s14, 4, v1
	s_waitcnt lgkmcnt(0)
	s_add_u32 s2, s2, s10
	s_addc_u32 s3, s3, s11
	s_load_b128 s[4:7], s[0:1], 0x8
	s_load_b64 s[2:3], s[2:3], 0x0
	s_cmp_lt_i32 s8, 1
	s_cbranch_scc1 .LBB581_6
; %bb.1:
	s_clause 0x2
	s_load_b64 s[12:13], s[0:1], 0x28
	s_load_b32 s14, s[0:1], 0x30
	s_load_b32 s15, s[0:1], 0x18
	v_lshlrev_b32_e32 v8, 3, v2
	v_dual_mov_b32 v5, 0 :: v_dual_lshlrev_b32 v4, 7, v1
	v_lshlrev_b32_e32 v14, 3, v1
	s_delay_alu instid0(VALU_DEP_2) | instskip(NEXT) | instid1(VALU_DEP_4)
	v_dual_mov_b32 v6, 0 :: v_dual_add_nc_u32 v9, 0x800, v4
	v_add_nc_u32_e32 v10, v8, v4
	s_delay_alu instid0(VALU_DEP_2)
	v_add_nc_u32_e32 v11, v9, v8
	s_waitcnt lgkmcnt(0)
	s_add_u32 s12, s12, s10
	s_addc_u32 s13, s13, s11
	v_mad_i64_i32 v[2:3], null, s14, v7, 0
	s_load_b64 s[12:13], s[12:13], 0x0
	s_add_u32 s6, s6, s10
	s_addc_u32 s7, s7, s11
	v_mad_i64_i32 v[12:13], null, s15, v0, 0
	s_load_b64 s[6:7], s[6:7], 0x0
	s_delay_alu instid0(VALU_DEP_2) | instskip(NEXT) | instid1(VALU_DEP_2)
	v_lshlrev_b64 v[1:2], 3, v[2:3]
	v_lshlrev_b64 v[3:4], 3, v[12:13]
	s_delay_alu instid0(VALU_DEP_2) | instskip(NEXT) | instid1(VALU_DEP_3)
	v_add_co_u32 v1, vcc_lo, v1, v8
	v_add_co_ci_u32_e32 v2, vcc_lo, 0, v2, vcc_lo
	s_delay_alu instid0(VALU_DEP_3) | instskip(NEXT) | instid1(VALU_DEP_4)
	v_add_co_u32 v3, vcc_lo, v3, v14
	v_add_co_ci_u32_e32 v4, vcc_lo, 0, v4, vcc_lo
	s_waitcnt lgkmcnt(0)
	v_add_co_u32 v1, vcc_lo, s12, v1
	v_add_co_ci_u32_e32 v2, vcc_lo, s13, v2, vcc_lo
	v_add_co_u32 v3, vcc_lo, s6, v3
	v_add_co_ci_u32_e32 v4, vcc_lo, s7, v4, vcc_lo
.LBB581_2:                              ; =>This Inner Loop Header: Depth=1
	global_load_b64 v[12:13], v[3:4], off
	global_load_b64 v[14:15], v[1:2], off
	v_add_co_u32 v1, vcc_lo, 0x80, v1
	v_add_co_ci_u32_e32 v2, vcc_lo, 0, v2, vcc_lo
	v_add_co_u32 v3, vcc_lo, 0x80, v3
	v_add_co_ci_u32_e32 v4, vcc_lo, 0, v4, vcc_lo
	s_add_i32 s9, s9, 16
	s_waitcnt vmcnt(1)
	ds_store_b64 v10, v[12:13]
	s_waitcnt vmcnt(0)
	ds_store_b64 v11, v[14:15]
	s_waitcnt lgkmcnt(0)
	s_barrier
	buffer_gl0_inv
	ds_load_2addr_b64 v[12:15], v8 offset1:16
	ds_load_b128 v[16:19], v9
	ds_load_b128 v[20:23], v9 offset:16
	s_cmp_lt_i32 s9, s8
	s_waitcnt lgkmcnt(1)
	v_fma_f64 v[5:6], v[12:13], v[16:17], v[5:6]
	s_delay_alu instid0(VALU_DEP_1) | instskip(SKIP_3) | instid1(VALU_DEP_1)
	v_fma_f64 v[5:6], v[14:15], v[18:19], v[5:6]
	ds_load_2addr_b64 v[12:15], v8 offset0:32 offset1:48
	s_waitcnt lgkmcnt(0)
	v_fma_f64 v[5:6], v[12:13], v[20:21], v[5:6]
	v_fma_f64 v[5:6], v[14:15], v[22:23], v[5:6]
	ds_load_2addr_b64 v[12:15], v8 offset0:64 offset1:80
	ds_load_b128 v[16:19], v9 offset:32
	ds_load_b128 v[20:23], v9 offset:48
	s_waitcnt lgkmcnt(1)
	v_fma_f64 v[5:6], v[12:13], v[16:17], v[5:6]
	s_delay_alu instid0(VALU_DEP_1) | instskip(SKIP_3) | instid1(VALU_DEP_1)
	v_fma_f64 v[5:6], v[14:15], v[18:19], v[5:6]
	ds_load_2addr_b64 v[12:15], v8 offset0:96 offset1:112
	s_waitcnt lgkmcnt(0)
	v_fma_f64 v[5:6], v[12:13], v[20:21], v[5:6]
	v_fma_f64 v[5:6], v[14:15], v[22:23], v[5:6]
	ds_load_2addr_b64 v[12:15], v8 offset0:128 offset1:144
	ds_load_b128 v[16:19], v9 offset:64
	ds_load_b128 v[20:23], v9 offset:80
	;; [unrolled: 11-line block ×3, first 2 shown]
	s_waitcnt lgkmcnt(1)
	v_fma_f64 v[5:6], v[12:13], v[16:17], v[5:6]
	s_delay_alu instid0(VALU_DEP_1)
	v_fma_f64 v[5:6], v[14:15], v[18:19], v[5:6]
	ds_load_2addr_b64 v[12:15], v8 offset0:224 offset1:240
	s_waitcnt lgkmcnt(0)
	s_barrier
	buffer_gl0_inv
	v_fma_f64 v[5:6], v[12:13], v[20:21], v[5:6]
	s_delay_alu instid0(VALU_DEP_1)
	v_fma_f64 v[5:6], v[14:15], v[22:23], v[5:6]
	s_cbranch_scc1 .LBB581_2
; %bb.3:
	s_mov_b32 s6, exec_lo
	v_cmpx_le_i32_e64 v0, v7
	s_cbranch_execz .LBB581_5
.LBB581_4:
	s_load_b32 s0, s[0:1], 0x50
	s_delay_alu instid0(VALU_DEP_2) | instskip(SKIP_1) | instid1(VALU_DEP_1)
	v_mul_f64 v[2:3], v[5:6], s[4:5]
	v_ashrrev_i32_e32 v1, 31, v0
	v_lshlrev_b64 v[0:1], 3, v[0:1]
	s_waitcnt lgkmcnt(0)
	v_mad_i64_i32 v[4:5], null, s0, v7, 0
	s_delay_alu instid0(VALU_DEP_1) | instskip(NEXT) | instid1(VALU_DEP_1)
	v_lshlrev_b64 v[4:5], 3, v[4:5]
	v_add_co_u32 v4, vcc_lo, s2, v4
	s_delay_alu instid0(VALU_DEP_2) | instskip(NEXT) | instid1(VALU_DEP_2)
	v_add_co_ci_u32_e32 v5, vcc_lo, s3, v5, vcc_lo
	v_add_co_u32 v0, vcc_lo, v4, v0
	s_delay_alu instid0(VALU_DEP_2)
	v_add_co_ci_u32_e32 v1, vcc_lo, v5, v1, vcc_lo
	global_store_b64 v[0:1], v[2:3], off
.LBB581_5:
	s_nop 0
	s_sendmsg sendmsg(MSG_DEALLOC_VGPRS)
	s_endpgm
.LBB581_6:
	v_mov_b32_e32 v5, 0
	v_mov_b32_e32 v6, 0
	s_waitcnt lgkmcnt(0)
	s_mov_b32 s6, exec_lo
	v_cmpx_le_i32_e64 v0, v7
	s_cbranch_execnz .LBB581_4
	s_branch .LBB581_5
	.section	.rodata,"a",@progbits
	.p2align	6, 0x0
	.amdhsa_kernel _ZL41rocblas_syrkx_herkx_small_restrict_kernelIidLi16ELb1ELb0ELc67ELc85EKPKdKPdEviT_T0_PT6_S5_lS8_S5_lS6_PT7_S5_li
		.amdhsa_group_segment_fixed_size 4096
		.amdhsa_private_segment_fixed_size 0
		.amdhsa_kernarg_size 100
		.amdhsa_user_sgpr_count 13
		.amdhsa_user_sgpr_dispatch_ptr 0
		.amdhsa_user_sgpr_queue_ptr 0
		.amdhsa_user_sgpr_kernarg_segment_ptr 1
		.amdhsa_user_sgpr_dispatch_id 0
		.amdhsa_user_sgpr_private_segment_size 0
		.amdhsa_wavefront_size32 1
		.amdhsa_uses_dynamic_stack 0
		.amdhsa_enable_private_segment 0
		.amdhsa_system_sgpr_workgroup_id_x 1
		.amdhsa_system_sgpr_workgroup_id_y 1
		.amdhsa_system_sgpr_workgroup_id_z 1
		.amdhsa_system_sgpr_workgroup_info 0
		.amdhsa_system_vgpr_workitem_id 1
		.amdhsa_next_free_vgpr 24
		.amdhsa_next_free_sgpr 16
		.amdhsa_reserve_vcc 1
		.amdhsa_float_round_mode_32 0
		.amdhsa_float_round_mode_16_64 0
		.amdhsa_float_denorm_mode_32 3
		.amdhsa_float_denorm_mode_16_64 3
		.amdhsa_dx10_clamp 1
		.amdhsa_ieee_mode 1
		.amdhsa_fp16_overflow 0
		.amdhsa_workgroup_processor_mode 1
		.amdhsa_memory_ordered 1
		.amdhsa_forward_progress 0
		.amdhsa_shared_vgpr_count 0
		.amdhsa_exception_fp_ieee_invalid_op 0
		.amdhsa_exception_fp_denorm_src 0
		.amdhsa_exception_fp_ieee_div_zero 0
		.amdhsa_exception_fp_ieee_overflow 0
		.amdhsa_exception_fp_ieee_underflow 0
		.amdhsa_exception_fp_ieee_inexact 0
		.amdhsa_exception_int_div_zero 0
	.end_amdhsa_kernel
	.section	.text._ZL41rocblas_syrkx_herkx_small_restrict_kernelIidLi16ELb1ELb0ELc67ELc85EKPKdKPdEviT_T0_PT6_S5_lS8_S5_lS6_PT7_S5_li,"axG",@progbits,_ZL41rocblas_syrkx_herkx_small_restrict_kernelIidLi16ELb1ELb0ELc67ELc85EKPKdKPdEviT_T0_PT6_S5_lS8_S5_lS6_PT7_S5_li,comdat
.Lfunc_end581:
	.size	_ZL41rocblas_syrkx_herkx_small_restrict_kernelIidLi16ELb1ELb0ELc67ELc85EKPKdKPdEviT_T0_PT6_S5_lS8_S5_lS6_PT7_S5_li, .Lfunc_end581-_ZL41rocblas_syrkx_herkx_small_restrict_kernelIidLi16ELb1ELb0ELc67ELc85EKPKdKPdEviT_T0_PT6_S5_lS8_S5_lS6_PT7_S5_li
                                        ; -- End function
	.section	.AMDGPU.csdata,"",@progbits
; Kernel info:
; codeLenInByte = 880
; NumSgprs: 18
; NumVgprs: 24
; ScratchSize: 0
; MemoryBound: 0
; FloatMode: 240
; IeeeMode: 1
; LDSByteSize: 4096 bytes/workgroup (compile time only)
; SGPRBlocks: 2
; VGPRBlocks: 2
; NumSGPRsForWavesPerEU: 18
; NumVGPRsForWavesPerEU: 24
; Occupancy: 16
; WaveLimiterHint : 1
; COMPUTE_PGM_RSRC2:SCRATCH_EN: 0
; COMPUTE_PGM_RSRC2:USER_SGPR: 13
; COMPUTE_PGM_RSRC2:TRAP_HANDLER: 0
; COMPUTE_PGM_RSRC2:TGID_X_EN: 1
; COMPUTE_PGM_RSRC2:TGID_Y_EN: 1
; COMPUTE_PGM_RSRC2:TGID_Z_EN: 1
; COMPUTE_PGM_RSRC2:TIDIG_COMP_CNT: 1
	.section	.text._ZL41rocblas_syrkx_herkx_small_restrict_kernelIidLi16ELb1ELb0ELc78ELc85EKPKdKPdEviT_T0_PT6_S5_lS8_S5_lS6_PT7_S5_li,"axG",@progbits,_ZL41rocblas_syrkx_herkx_small_restrict_kernelIidLi16ELb1ELb0ELc78ELc85EKPKdKPdEviT_T0_PT6_S5_lS8_S5_lS6_PT7_S5_li,comdat
	.globl	_ZL41rocblas_syrkx_herkx_small_restrict_kernelIidLi16ELb1ELb0ELc78ELc85EKPKdKPdEviT_T0_PT6_S5_lS8_S5_lS6_PT7_S5_li ; -- Begin function _ZL41rocblas_syrkx_herkx_small_restrict_kernelIidLi16ELb1ELb0ELc78ELc85EKPKdKPdEviT_T0_PT6_S5_lS8_S5_lS6_PT7_S5_li
	.p2align	8
	.type	_ZL41rocblas_syrkx_herkx_small_restrict_kernelIidLi16ELb1ELb0ELc78ELc85EKPKdKPdEviT_T0_PT6_S5_lS8_S5_lS6_PT7_S5_li,@function
_ZL41rocblas_syrkx_herkx_small_restrict_kernelIidLi16ELb1ELb0ELc78ELc85EKPKdKPdEviT_T0_PT6_S5_lS8_S5_lS6_PT7_S5_li: ; @_ZL41rocblas_syrkx_herkx_small_restrict_kernelIidLi16ELb1ELb0ELc78ELc85EKPKdKPdEviT_T0_PT6_S5_lS8_S5_lS6_PT7_S5_li
; %bb.0:
	s_load_b64 s[2:3], s[0:1], 0x48
	s_mov_b32 s8, s15
	s_mov_b32 s9, 0
	v_and_b32_e32 v5, 0x3ff, v0
	s_lshl_b64 s[10:11], s[8:9], 3
	s_load_b32 s8, s[0:1], 0x4
	v_bfe_u32 v4, v0, 10, 10
	s_delay_alu instid0(VALU_DEP_2) | instskip(NEXT) | instid1(VALU_DEP_2)
	v_lshl_add_u32 v0, s13, 4, v5
	v_lshl_add_u32 v2, s14, 4, v4
	s_delay_alu instid0(VALU_DEP_2)
	v_ashrrev_i32_e32 v1, 31, v0
	s_waitcnt lgkmcnt(0)
	s_add_u32 s2, s2, s10
	s_addc_u32 s3, s3, s11
	s_load_b128 s[4:7], s[0:1], 0x8
	s_load_b64 s[2:3], s[2:3], 0x0
	s_cmp_lt_i32 s8, 1
	s_cbranch_scc1 .LBB582_6
; %bb.1:
	s_clause 0x2
	s_load_b32 s12, s[0:1], 0x18
	s_load_b32 s14, s[0:1], 0x30
	s_load_b64 s[16:17], s[0:1], 0x28
	v_ashrrev_i32_e32 v3, 31, v2
	v_lshlrev_b32_e32 v11, 7, v4
	v_lshlrev_b32_e32 v9, 3, v5
	v_lshlrev_b64 v[13:14], 3, v[0:1]
	s_waitcnt lgkmcnt(0)
	s_ashr_i32 s13, s12, 31
	s_ashr_i32 s15, s14, 31
	s_add_u32 s16, s16, s10
	s_addc_u32 s17, s17, s11
	v_mad_i64_i32 v[6:7], null, s14, v5, 0
	s_load_b64 s[16:17], s[16:17], 0x0
	s_add_u32 s6, s6, s10
	s_addc_u32 s7, s7, s11
	v_mad_i64_i32 v[15:16], null, s12, v4, 0
	s_load_b64 s[6:7], s[6:7], 0x0
	v_lshlrev_b64 v[3:4], 3, v[2:3]
	s_delay_alu instid0(VALU_DEP_3)
	v_lshlrev_b64 v[5:6], 3, v[6:7]
	v_mov_b32_e32 v7, 0
	v_mov_b32_e32 v8, 0
	v_add_nc_u32_e32 v10, 0x800, v11
	v_lshlrev_b64 v[15:16], 3, v[15:16]
	v_add_nc_u32_e32 v11, v9, v11
	v_add_co_u32 v3, vcc_lo, v5, v3
	s_delay_alu instid0(VALU_DEP_4)
	v_add_nc_u32_e32 v12, v10, v9
	v_add_co_ci_u32_e32 v4, vcc_lo, v6, v4, vcc_lo
	v_add_co_u32 v5, vcc_lo, v15, v13
	v_add_co_ci_u32_e32 v6, vcc_lo, v16, v14, vcc_lo
	s_waitcnt lgkmcnt(0)
	v_add_co_u32 v3, vcc_lo, s16, v3
	v_add_co_ci_u32_e32 v4, vcc_lo, s17, v4, vcc_lo
	v_add_co_u32 v5, vcc_lo, s6, v5
	v_add_co_ci_u32_e32 v6, vcc_lo, s7, v6, vcc_lo
	s_lshl_b64 s[6:7], s[14:15], 7
	s_lshl_b64 s[10:11], s[12:13], 7
.LBB582_2:                              ; =>This Inner Loop Header: Depth=1
	global_load_b64 v[13:14], v[5:6], off
	global_load_b64 v[15:16], v[3:4], off
	v_add_co_u32 v3, vcc_lo, v3, s6
	v_add_co_ci_u32_e32 v4, vcc_lo, s7, v4, vcc_lo
	v_add_co_u32 v5, vcc_lo, v5, s10
	v_add_co_ci_u32_e32 v6, vcc_lo, s11, v6, vcc_lo
	s_add_i32 s9, s9, 16
	s_waitcnt vmcnt(1)
	ds_store_b64 v11, v[13:14]
	s_waitcnt vmcnt(0)
	ds_store_b64 v12, v[15:16]
	s_waitcnt lgkmcnt(0)
	s_barrier
	buffer_gl0_inv
	ds_load_2addr_b64 v[13:16], v9 offset1:16
	ds_load_b128 v[17:20], v10
	ds_load_b128 v[21:24], v10 offset:16
	s_cmp_lt_i32 s9, s8
	s_waitcnt lgkmcnt(1)
	v_fma_f64 v[7:8], v[13:14], v[17:18], v[7:8]
	s_delay_alu instid0(VALU_DEP_1) | instskip(SKIP_3) | instid1(VALU_DEP_1)
	v_fma_f64 v[7:8], v[15:16], v[19:20], v[7:8]
	ds_load_2addr_b64 v[13:16], v9 offset0:32 offset1:48
	s_waitcnt lgkmcnt(0)
	v_fma_f64 v[7:8], v[13:14], v[21:22], v[7:8]
	v_fma_f64 v[7:8], v[15:16], v[23:24], v[7:8]
	ds_load_2addr_b64 v[13:16], v9 offset0:64 offset1:80
	ds_load_b128 v[17:20], v10 offset:32
	ds_load_b128 v[21:24], v10 offset:48
	s_waitcnt lgkmcnt(1)
	v_fma_f64 v[7:8], v[13:14], v[17:18], v[7:8]
	s_delay_alu instid0(VALU_DEP_1) | instskip(SKIP_3) | instid1(VALU_DEP_1)
	v_fma_f64 v[7:8], v[15:16], v[19:20], v[7:8]
	ds_load_2addr_b64 v[13:16], v9 offset0:96 offset1:112
	s_waitcnt lgkmcnt(0)
	v_fma_f64 v[7:8], v[13:14], v[21:22], v[7:8]
	v_fma_f64 v[7:8], v[15:16], v[23:24], v[7:8]
	ds_load_2addr_b64 v[13:16], v9 offset0:128 offset1:144
	ds_load_b128 v[17:20], v10 offset:64
	ds_load_b128 v[21:24], v10 offset:80
	s_waitcnt lgkmcnt(1)
	v_fma_f64 v[7:8], v[13:14], v[17:18], v[7:8]
	s_delay_alu instid0(VALU_DEP_1) | instskip(SKIP_3) | instid1(VALU_DEP_1)
	v_fma_f64 v[7:8], v[15:16], v[19:20], v[7:8]
	ds_load_2addr_b64 v[13:16], v9 offset0:160 offset1:176
	s_waitcnt lgkmcnt(0)
	v_fma_f64 v[7:8], v[13:14], v[21:22], v[7:8]
	v_fma_f64 v[7:8], v[15:16], v[23:24], v[7:8]
	ds_load_2addr_b64 v[13:16], v9 offset0:192 offset1:208
	ds_load_b128 v[17:20], v10 offset:96
	ds_load_b128 v[21:24], v10 offset:112
	s_waitcnt lgkmcnt(1)
	v_fma_f64 v[7:8], v[13:14], v[17:18], v[7:8]
	s_delay_alu instid0(VALU_DEP_1)
	v_fma_f64 v[7:8], v[15:16], v[19:20], v[7:8]
	ds_load_2addr_b64 v[13:16], v9 offset0:224 offset1:240
	s_waitcnt lgkmcnt(0)
	s_barrier
	buffer_gl0_inv
	v_fma_f64 v[7:8], v[13:14], v[21:22], v[7:8]
	s_delay_alu instid0(VALU_DEP_1)
	v_fma_f64 v[7:8], v[15:16], v[23:24], v[7:8]
	s_cbranch_scc1 .LBB582_2
; %bb.3:
	s_mov_b32 s6, exec_lo
	v_cmpx_le_i32_e64 v0, v2
	s_cbranch_execz .LBB582_5
.LBB582_4:
	s_load_b32 s0, s[0:1], 0x50
	s_delay_alu instid0(VALU_DEP_2) | instskip(SKIP_3) | instid1(VALU_DEP_1)
	v_mul_f64 v[3:4], v[7:8], s[4:5]
	v_lshlrev_b64 v[0:1], 3, v[0:1]
	s_waitcnt lgkmcnt(0)
	v_mad_i64_i32 v[5:6], null, s0, v2, 0
	v_lshlrev_b64 v[5:6], 3, v[5:6]
	s_delay_alu instid0(VALU_DEP_1) | instskip(NEXT) | instid1(VALU_DEP_2)
	v_add_co_u32 v2, vcc_lo, s2, v5
	v_add_co_ci_u32_e32 v5, vcc_lo, s3, v6, vcc_lo
	s_delay_alu instid0(VALU_DEP_2) | instskip(NEXT) | instid1(VALU_DEP_2)
	v_add_co_u32 v0, vcc_lo, v2, v0
	v_add_co_ci_u32_e32 v1, vcc_lo, v5, v1, vcc_lo
	global_store_b64 v[0:1], v[3:4], off
.LBB582_5:
	s_nop 0
	s_sendmsg sendmsg(MSG_DEALLOC_VGPRS)
	s_endpgm
.LBB582_6:
	v_mov_b32_e32 v7, 0
	v_mov_b32_e32 v8, 0
	s_waitcnt lgkmcnt(0)
	s_mov_b32 s6, exec_lo
	v_cmpx_le_i32_e64 v0, v2
	s_cbranch_execnz .LBB582_4
	s_branch .LBB582_5
	.section	.rodata,"a",@progbits
	.p2align	6, 0x0
	.amdhsa_kernel _ZL41rocblas_syrkx_herkx_small_restrict_kernelIidLi16ELb1ELb0ELc78ELc85EKPKdKPdEviT_T0_PT6_S5_lS8_S5_lS6_PT7_S5_li
		.amdhsa_group_segment_fixed_size 4096
		.amdhsa_private_segment_fixed_size 0
		.amdhsa_kernarg_size 100
		.amdhsa_user_sgpr_count 13
		.amdhsa_user_sgpr_dispatch_ptr 0
		.amdhsa_user_sgpr_queue_ptr 0
		.amdhsa_user_sgpr_kernarg_segment_ptr 1
		.amdhsa_user_sgpr_dispatch_id 0
		.amdhsa_user_sgpr_private_segment_size 0
		.amdhsa_wavefront_size32 1
		.amdhsa_uses_dynamic_stack 0
		.amdhsa_enable_private_segment 0
		.amdhsa_system_sgpr_workgroup_id_x 1
		.amdhsa_system_sgpr_workgroup_id_y 1
		.amdhsa_system_sgpr_workgroup_id_z 1
		.amdhsa_system_sgpr_workgroup_info 0
		.amdhsa_system_vgpr_workitem_id 1
		.amdhsa_next_free_vgpr 25
		.amdhsa_next_free_sgpr 18
		.amdhsa_reserve_vcc 1
		.amdhsa_float_round_mode_32 0
		.amdhsa_float_round_mode_16_64 0
		.amdhsa_float_denorm_mode_32 3
		.amdhsa_float_denorm_mode_16_64 3
		.amdhsa_dx10_clamp 1
		.amdhsa_ieee_mode 1
		.amdhsa_fp16_overflow 0
		.amdhsa_workgroup_processor_mode 1
		.amdhsa_memory_ordered 1
		.amdhsa_forward_progress 0
		.amdhsa_shared_vgpr_count 0
		.amdhsa_exception_fp_ieee_invalid_op 0
		.amdhsa_exception_fp_denorm_src 0
		.amdhsa_exception_fp_ieee_div_zero 0
		.amdhsa_exception_fp_ieee_overflow 0
		.amdhsa_exception_fp_ieee_underflow 0
		.amdhsa_exception_fp_ieee_inexact 0
		.amdhsa_exception_int_div_zero 0
	.end_amdhsa_kernel
	.section	.text._ZL41rocblas_syrkx_herkx_small_restrict_kernelIidLi16ELb1ELb0ELc78ELc85EKPKdKPdEviT_T0_PT6_S5_lS8_S5_lS6_PT7_S5_li,"axG",@progbits,_ZL41rocblas_syrkx_herkx_small_restrict_kernelIidLi16ELb1ELb0ELc78ELc85EKPKdKPdEviT_T0_PT6_S5_lS8_S5_lS6_PT7_S5_li,comdat
.Lfunc_end582:
	.size	_ZL41rocblas_syrkx_herkx_small_restrict_kernelIidLi16ELb1ELb0ELc78ELc85EKPKdKPdEviT_T0_PT6_S5_lS8_S5_lS6_PT7_S5_li, .Lfunc_end582-_ZL41rocblas_syrkx_herkx_small_restrict_kernelIidLi16ELb1ELb0ELc78ELc85EKPKdKPdEviT_T0_PT6_S5_lS8_S5_lS6_PT7_S5_li
                                        ; -- End function
	.section	.AMDGPU.csdata,"",@progbits
; Kernel info:
; codeLenInByte = 892
; NumSgprs: 20
; NumVgprs: 25
; ScratchSize: 0
; MemoryBound: 0
; FloatMode: 240
; IeeeMode: 1
; LDSByteSize: 4096 bytes/workgroup (compile time only)
; SGPRBlocks: 2
; VGPRBlocks: 3
; NumSGPRsForWavesPerEU: 20
; NumVGPRsForWavesPerEU: 25
; Occupancy: 16
; WaveLimiterHint : 1
; COMPUTE_PGM_RSRC2:SCRATCH_EN: 0
; COMPUTE_PGM_RSRC2:USER_SGPR: 13
; COMPUTE_PGM_RSRC2:TRAP_HANDLER: 0
; COMPUTE_PGM_RSRC2:TGID_X_EN: 1
; COMPUTE_PGM_RSRC2:TGID_Y_EN: 1
; COMPUTE_PGM_RSRC2:TGID_Z_EN: 1
; COMPUTE_PGM_RSRC2:TIDIG_COMP_CNT: 1
	.section	.text._ZL41rocblas_syrkx_herkx_small_restrict_kernelIidLi16ELb0ELb0ELc84ELc76EKPKdKPdEviT_T0_PT6_S5_lS8_S5_lS6_PT7_S5_li,"axG",@progbits,_ZL41rocblas_syrkx_herkx_small_restrict_kernelIidLi16ELb0ELb0ELc84ELc76EKPKdKPdEviT_T0_PT6_S5_lS8_S5_lS6_PT7_S5_li,comdat
	.globl	_ZL41rocblas_syrkx_herkx_small_restrict_kernelIidLi16ELb0ELb0ELc84ELc76EKPKdKPdEviT_T0_PT6_S5_lS8_S5_lS6_PT7_S5_li ; -- Begin function _ZL41rocblas_syrkx_herkx_small_restrict_kernelIidLi16ELb0ELb0ELc84ELc76EKPKdKPdEviT_T0_PT6_S5_lS8_S5_lS6_PT7_S5_li
	.p2align	8
	.type	_ZL41rocblas_syrkx_herkx_small_restrict_kernelIidLi16ELb0ELb0ELc84ELc76EKPKdKPdEviT_T0_PT6_S5_lS8_S5_lS6_PT7_S5_li,@function
_ZL41rocblas_syrkx_herkx_small_restrict_kernelIidLi16ELb0ELb0ELc84ELc76EKPKdKPdEviT_T0_PT6_S5_lS8_S5_lS6_PT7_S5_li: ; @_ZL41rocblas_syrkx_herkx_small_restrict_kernelIidLi16ELb0ELb0ELc84ELc76EKPKdKPdEviT_T0_PT6_S5_lS8_S5_lS6_PT7_S5_li
; %bb.0:
	s_load_b128 s[4:7], s[0:1], 0x40
	s_mov_b32 s16, s15
	s_mov_b32 s17, 0
	v_and_b32_e32 v2, 0x3ff, v0
	s_lshl_b64 s[18:19], s[16:17], 3
	v_bfe_u32 v1, v0, 10, 10
	s_delay_alu instid0(VALU_DEP_2) | instskip(NEXT) | instid1(VALU_DEP_2)
	v_lshl_add_u32 v0, s13, 4, v2
	v_lshl_add_u32 v7, s14, 4, v1
	s_waitcnt lgkmcnt(0)
	s_add_u32 s2, s6, s18
	s_load_b32 s6, s[0:1], 0x4
	s_addc_u32 s3, s7, s19
	s_load_b128 s[8:11], s[0:1], 0x8
	s_load_b64 s[2:3], s[2:3], 0x0
	s_waitcnt lgkmcnt(0)
	s_cmp_lt_i32 s6, 1
	s_cbranch_scc1 .LBB583_6
; %bb.1:
	s_clause 0x2
	s_load_b64 s[12:13], s[0:1], 0x28
	s_load_b32 s7, s[0:1], 0x30
	s_load_b32 s14, s[0:1], 0x18
	v_lshlrev_b32_e32 v8, 3, v2
	v_dual_mov_b32 v5, 0 :: v_dual_lshlrev_b32 v4, 7, v1
	v_lshlrev_b32_e32 v14, 3, v1
	s_delay_alu instid0(VALU_DEP_2) | instskip(NEXT) | instid1(VALU_DEP_4)
	v_dual_mov_b32 v6, 0 :: v_dual_add_nc_u32 v9, 0x800, v4
	v_add_nc_u32_e32 v10, v8, v4
	s_delay_alu instid0(VALU_DEP_2)
	v_add_nc_u32_e32 v11, v9, v8
	s_waitcnt lgkmcnt(0)
	s_add_u32 s12, s12, s18
	s_addc_u32 s13, s13, s19
	v_mad_i64_i32 v[2:3], null, s7, v7, 0
	s_load_b64 s[12:13], s[12:13], 0x0
	s_add_u32 s10, s10, s18
	s_addc_u32 s11, s11, s19
	v_mad_i64_i32 v[12:13], null, s14, v0, 0
	s_load_b64 s[10:11], s[10:11], 0x0
	s_delay_alu instid0(VALU_DEP_2) | instskip(NEXT) | instid1(VALU_DEP_2)
	v_lshlrev_b64 v[1:2], 3, v[2:3]
	v_lshlrev_b64 v[3:4], 3, v[12:13]
	s_delay_alu instid0(VALU_DEP_2) | instskip(NEXT) | instid1(VALU_DEP_3)
	v_add_co_u32 v1, vcc_lo, v1, v8
	v_add_co_ci_u32_e32 v2, vcc_lo, 0, v2, vcc_lo
	s_delay_alu instid0(VALU_DEP_3) | instskip(NEXT) | instid1(VALU_DEP_4)
	v_add_co_u32 v3, vcc_lo, v3, v14
	v_add_co_ci_u32_e32 v4, vcc_lo, 0, v4, vcc_lo
	s_waitcnt lgkmcnt(0)
	v_add_co_u32 v1, vcc_lo, s12, v1
	v_add_co_ci_u32_e32 v2, vcc_lo, s13, v2, vcc_lo
	v_add_co_u32 v3, vcc_lo, s10, v3
	v_add_co_ci_u32_e32 v4, vcc_lo, s11, v4, vcc_lo
.LBB583_2:                              ; =>This Inner Loop Header: Depth=1
	global_load_b64 v[12:13], v[3:4], off
	global_load_b64 v[14:15], v[1:2], off
	v_add_co_u32 v1, vcc_lo, 0x80, v1
	v_add_co_ci_u32_e32 v2, vcc_lo, 0, v2, vcc_lo
	v_add_co_u32 v3, vcc_lo, 0x80, v3
	v_add_co_ci_u32_e32 v4, vcc_lo, 0, v4, vcc_lo
	s_add_i32 s17, s17, 16
	s_waitcnt vmcnt(1)
	ds_store_b64 v10, v[12:13]
	s_waitcnt vmcnt(0)
	ds_store_b64 v11, v[14:15]
	s_waitcnt lgkmcnt(0)
	s_barrier
	buffer_gl0_inv
	ds_load_2addr_b64 v[12:15], v8 offset1:16
	ds_load_b128 v[16:19], v9
	ds_load_b128 v[20:23], v9 offset:16
	s_cmp_lt_i32 s17, s6
	s_waitcnt lgkmcnt(1)
	v_fma_f64 v[5:6], v[12:13], v[16:17], v[5:6]
	s_delay_alu instid0(VALU_DEP_1) | instskip(SKIP_3) | instid1(VALU_DEP_1)
	v_fma_f64 v[5:6], v[14:15], v[18:19], v[5:6]
	ds_load_2addr_b64 v[12:15], v8 offset0:32 offset1:48
	s_waitcnt lgkmcnt(0)
	v_fma_f64 v[5:6], v[12:13], v[20:21], v[5:6]
	v_fma_f64 v[5:6], v[14:15], v[22:23], v[5:6]
	ds_load_2addr_b64 v[12:15], v8 offset0:64 offset1:80
	ds_load_b128 v[16:19], v9 offset:32
	ds_load_b128 v[20:23], v9 offset:48
	s_waitcnt lgkmcnt(1)
	v_fma_f64 v[5:6], v[12:13], v[16:17], v[5:6]
	s_delay_alu instid0(VALU_DEP_1) | instskip(SKIP_3) | instid1(VALU_DEP_1)
	v_fma_f64 v[5:6], v[14:15], v[18:19], v[5:6]
	ds_load_2addr_b64 v[12:15], v8 offset0:96 offset1:112
	s_waitcnt lgkmcnt(0)
	v_fma_f64 v[5:6], v[12:13], v[20:21], v[5:6]
	v_fma_f64 v[5:6], v[14:15], v[22:23], v[5:6]
	ds_load_2addr_b64 v[12:15], v8 offset0:128 offset1:144
	ds_load_b128 v[16:19], v9 offset:64
	ds_load_b128 v[20:23], v9 offset:80
	;; [unrolled: 11-line block ×3, first 2 shown]
	s_waitcnt lgkmcnt(1)
	v_fma_f64 v[5:6], v[12:13], v[16:17], v[5:6]
	s_delay_alu instid0(VALU_DEP_1)
	v_fma_f64 v[5:6], v[14:15], v[18:19], v[5:6]
	ds_load_2addr_b64 v[12:15], v8 offset0:224 offset1:240
	s_waitcnt lgkmcnt(0)
	s_barrier
	buffer_gl0_inv
	v_fma_f64 v[5:6], v[12:13], v[20:21], v[5:6]
	s_delay_alu instid0(VALU_DEP_1)
	v_fma_f64 v[5:6], v[14:15], v[22:23], v[5:6]
	s_cbranch_scc1 .LBB583_2
; %bb.3:
	s_mov_b32 s6, exec_lo
	v_cmpx_le_i32_e64 v7, v0
	s_cbranch_execz .LBB583_5
.LBB583_4:
	s_load_b32 s0, s[0:1], 0x50
	v_ashrrev_i32_e32 v1, 31, v0
	s_delay_alu instid0(VALU_DEP_1) | instskip(SKIP_2) | instid1(VALU_DEP_1)
	v_lshlrev_b64 v[0:1], 3, v[0:1]
	s_waitcnt lgkmcnt(0)
	v_mad_i64_i32 v[2:3], null, s0, v7, 0
	v_lshlrev_b64 v[2:3], 3, v[2:3]
	s_delay_alu instid0(VALU_DEP_1) | instskip(NEXT) | instid1(VALU_DEP_2)
	v_add_co_u32 v2, vcc_lo, s2, v2
	v_add_co_ci_u32_e32 v3, vcc_lo, s3, v3, vcc_lo
	s_delay_alu instid0(VALU_DEP_2) | instskip(NEXT) | instid1(VALU_DEP_2)
	v_add_co_u32 v0, vcc_lo, v2, v0
	v_add_co_ci_u32_e32 v1, vcc_lo, v3, v1, vcc_lo
	global_load_b64 v[2:3], v[0:1], off
	s_waitcnt vmcnt(0)
	v_mul_f64 v[2:3], v[2:3], s[4:5]
	s_delay_alu instid0(VALU_DEP_1)
	v_fma_f64 v[2:3], v[5:6], s[8:9], v[2:3]
	global_store_b64 v[0:1], v[2:3], off
.LBB583_5:
	s_nop 0
	s_sendmsg sendmsg(MSG_DEALLOC_VGPRS)
	s_endpgm
.LBB583_6:
	v_mov_b32_e32 v5, 0
	v_mov_b32_e32 v6, 0
	s_mov_b32 s6, exec_lo
	v_cmpx_le_i32_e64 v7, v0
	s_cbranch_execnz .LBB583_4
	s_branch .LBB583_5
	.section	.rodata,"a",@progbits
	.p2align	6, 0x0
	.amdhsa_kernel _ZL41rocblas_syrkx_herkx_small_restrict_kernelIidLi16ELb0ELb0ELc84ELc76EKPKdKPdEviT_T0_PT6_S5_lS8_S5_lS6_PT7_S5_li
		.amdhsa_group_segment_fixed_size 4096
		.amdhsa_private_segment_fixed_size 0
		.amdhsa_kernarg_size 100
		.amdhsa_user_sgpr_count 13
		.amdhsa_user_sgpr_dispatch_ptr 0
		.amdhsa_user_sgpr_queue_ptr 0
		.amdhsa_user_sgpr_kernarg_segment_ptr 1
		.amdhsa_user_sgpr_dispatch_id 0
		.amdhsa_user_sgpr_private_segment_size 0
		.amdhsa_wavefront_size32 1
		.amdhsa_uses_dynamic_stack 0
		.amdhsa_enable_private_segment 0
		.amdhsa_system_sgpr_workgroup_id_x 1
		.amdhsa_system_sgpr_workgroup_id_y 1
		.amdhsa_system_sgpr_workgroup_id_z 1
		.amdhsa_system_sgpr_workgroup_info 0
		.amdhsa_system_vgpr_workitem_id 1
		.amdhsa_next_free_vgpr 24
		.amdhsa_next_free_sgpr 20
		.amdhsa_reserve_vcc 1
		.amdhsa_float_round_mode_32 0
		.amdhsa_float_round_mode_16_64 0
		.amdhsa_float_denorm_mode_32 3
		.amdhsa_float_denorm_mode_16_64 3
		.amdhsa_dx10_clamp 1
		.amdhsa_ieee_mode 1
		.amdhsa_fp16_overflow 0
		.amdhsa_workgroup_processor_mode 1
		.amdhsa_memory_ordered 1
		.amdhsa_forward_progress 0
		.amdhsa_shared_vgpr_count 0
		.amdhsa_exception_fp_ieee_invalid_op 0
		.amdhsa_exception_fp_denorm_src 0
		.amdhsa_exception_fp_ieee_div_zero 0
		.amdhsa_exception_fp_ieee_overflow 0
		.amdhsa_exception_fp_ieee_underflow 0
		.amdhsa_exception_fp_ieee_inexact 0
		.amdhsa_exception_int_div_zero 0
	.end_amdhsa_kernel
	.section	.text._ZL41rocblas_syrkx_herkx_small_restrict_kernelIidLi16ELb0ELb0ELc84ELc76EKPKdKPdEviT_T0_PT6_S5_lS8_S5_lS6_PT7_S5_li,"axG",@progbits,_ZL41rocblas_syrkx_herkx_small_restrict_kernelIidLi16ELb0ELb0ELc84ELc76EKPKdKPdEviT_T0_PT6_S5_lS8_S5_lS6_PT7_S5_li,comdat
.Lfunc_end583:
	.size	_ZL41rocblas_syrkx_herkx_small_restrict_kernelIidLi16ELb0ELb0ELc84ELc76EKPKdKPdEviT_T0_PT6_S5_lS8_S5_lS6_PT7_S5_li, .Lfunc_end583-_ZL41rocblas_syrkx_herkx_small_restrict_kernelIidLi16ELb0ELb0ELc84ELc76EKPKdKPdEviT_T0_PT6_S5_lS8_S5_lS6_PT7_S5_li
                                        ; -- End function
	.section	.AMDGPU.csdata,"",@progbits
; Kernel info:
; codeLenInByte = 900
; NumSgprs: 22
; NumVgprs: 24
; ScratchSize: 0
; MemoryBound: 0
; FloatMode: 240
; IeeeMode: 1
; LDSByteSize: 4096 bytes/workgroup (compile time only)
; SGPRBlocks: 2
; VGPRBlocks: 2
; NumSGPRsForWavesPerEU: 22
; NumVGPRsForWavesPerEU: 24
; Occupancy: 16
; WaveLimiterHint : 1
; COMPUTE_PGM_RSRC2:SCRATCH_EN: 0
; COMPUTE_PGM_RSRC2:USER_SGPR: 13
; COMPUTE_PGM_RSRC2:TRAP_HANDLER: 0
; COMPUTE_PGM_RSRC2:TGID_X_EN: 1
; COMPUTE_PGM_RSRC2:TGID_Y_EN: 1
; COMPUTE_PGM_RSRC2:TGID_Z_EN: 1
; COMPUTE_PGM_RSRC2:TIDIG_COMP_CNT: 1
	.section	.text._ZL41rocblas_syrkx_herkx_small_restrict_kernelIidLi16ELb0ELb0ELc67ELc76EKPKdKPdEviT_T0_PT6_S5_lS8_S5_lS6_PT7_S5_li,"axG",@progbits,_ZL41rocblas_syrkx_herkx_small_restrict_kernelIidLi16ELb0ELb0ELc67ELc76EKPKdKPdEviT_T0_PT6_S5_lS8_S5_lS6_PT7_S5_li,comdat
	.globl	_ZL41rocblas_syrkx_herkx_small_restrict_kernelIidLi16ELb0ELb0ELc67ELc76EKPKdKPdEviT_T0_PT6_S5_lS8_S5_lS6_PT7_S5_li ; -- Begin function _ZL41rocblas_syrkx_herkx_small_restrict_kernelIidLi16ELb0ELb0ELc67ELc76EKPKdKPdEviT_T0_PT6_S5_lS8_S5_lS6_PT7_S5_li
	.p2align	8
	.type	_ZL41rocblas_syrkx_herkx_small_restrict_kernelIidLi16ELb0ELb0ELc67ELc76EKPKdKPdEviT_T0_PT6_S5_lS8_S5_lS6_PT7_S5_li,@function
_ZL41rocblas_syrkx_herkx_small_restrict_kernelIidLi16ELb0ELb0ELc67ELc76EKPKdKPdEviT_T0_PT6_S5_lS8_S5_lS6_PT7_S5_li: ; @_ZL41rocblas_syrkx_herkx_small_restrict_kernelIidLi16ELb0ELb0ELc67ELc76EKPKdKPdEviT_T0_PT6_S5_lS8_S5_lS6_PT7_S5_li
; %bb.0:
	s_load_b128 s[4:7], s[0:1], 0x40
	s_mov_b32 s16, s15
	s_mov_b32 s17, 0
	v_and_b32_e32 v2, 0x3ff, v0
	s_lshl_b64 s[18:19], s[16:17], 3
	v_bfe_u32 v1, v0, 10, 10
	s_delay_alu instid0(VALU_DEP_2) | instskip(NEXT) | instid1(VALU_DEP_2)
	v_lshl_add_u32 v0, s13, 4, v2
	v_lshl_add_u32 v7, s14, 4, v1
	s_waitcnt lgkmcnt(0)
	s_add_u32 s2, s6, s18
	s_load_b32 s6, s[0:1], 0x4
	s_addc_u32 s3, s7, s19
	s_load_b128 s[8:11], s[0:1], 0x8
	s_load_b64 s[2:3], s[2:3], 0x0
	s_waitcnt lgkmcnt(0)
	s_cmp_lt_i32 s6, 1
	s_cbranch_scc1 .LBB584_6
; %bb.1:
	s_clause 0x2
	s_load_b64 s[12:13], s[0:1], 0x28
	s_load_b32 s7, s[0:1], 0x30
	s_load_b32 s14, s[0:1], 0x18
	v_lshlrev_b32_e32 v8, 3, v2
	v_dual_mov_b32 v5, 0 :: v_dual_lshlrev_b32 v4, 7, v1
	v_lshlrev_b32_e32 v14, 3, v1
	s_delay_alu instid0(VALU_DEP_2) | instskip(NEXT) | instid1(VALU_DEP_4)
	v_dual_mov_b32 v6, 0 :: v_dual_add_nc_u32 v9, 0x800, v4
	v_add_nc_u32_e32 v10, v8, v4
	s_delay_alu instid0(VALU_DEP_2)
	v_add_nc_u32_e32 v11, v9, v8
	s_waitcnt lgkmcnt(0)
	s_add_u32 s12, s12, s18
	s_addc_u32 s13, s13, s19
	v_mad_i64_i32 v[2:3], null, s7, v7, 0
	s_load_b64 s[12:13], s[12:13], 0x0
	s_add_u32 s10, s10, s18
	s_addc_u32 s11, s11, s19
	v_mad_i64_i32 v[12:13], null, s14, v0, 0
	s_load_b64 s[10:11], s[10:11], 0x0
	s_delay_alu instid0(VALU_DEP_2) | instskip(NEXT) | instid1(VALU_DEP_2)
	v_lshlrev_b64 v[1:2], 3, v[2:3]
	v_lshlrev_b64 v[3:4], 3, v[12:13]
	s_delay_alu instid0(VALU_DEP_2) | instskip(NEXT) | instid1(VALU_DEP_3)
	v_add_co_u32 v1, vcc_lo, v1, v8
	v_add_co_ci_u32_e32 v2, vcc_lo, 0, v2, vcc_lo
	s_delay_alu instid0(VALU_DEP_3) | instskip(NEXT) | instid1(VALU_DEP_4)
	v_add_co_u32 v3, vcc_lo, v3, v14
	v_add_co_ci_u32_e32 v4, vcc_lo, 0, v4, vcc_lo
	s_waitcnt lgkmcnt(0)
	v_add_co_u32 v1, vcc_lo, s12, v1
	v_add_co_ci_u32_e32 v2, vcc_lo, s13, v2, vcc_lo
	v_add_co_u32 v3, vcc_lo, s10, v3
	v_add_co_ci_u32_e32 v4, vcc_lo, s11, v4, vcc_lo
.LBB584_2:                              ; =>This Inner Loop Header: Depth=1
	global_load_b64 v[12:13], v[3:4], off
	global_load_b64 v[14:15], v[1:2], off
	v_add_co_u32 v1, vcc_lo, 0x80, v1
	v_add_co_ci_u32_e32 v2, vcc_lo, 0, v2, vcc_lo
	v_add_co_u32 v3, vcc_lo, 0x80, v3
	v_add_co_ci_u32_e32 v4, vcc_lo, 0, v4, vcc_lo
	s_add_i32 s17, s17, 16
	s_waitcnt vmcnt(1)
	ds_store_b64 v10, v[12:13]
	s_waitcnt vmcnt(0)
	ds_store_b64 v11, v[14:15]
	s_waitcnt lgkmcnt(0)
	s_barrier
	buffer_gl0_inv
	ds_load_2addr_b64 v[12:15], v8 offset1:16
	ds_load_b128 v[16:19], v9
	ds_load_b128 v[20:23], v9 offset:16
	s_cmp_lt_i32 s17, s6
	s_waitcnt lgkmcnt(1)
	v_fma_f64 v[5:6], v[12:13], v[16:17], v[5:6]
	s_delay_alu instid0(VALU_DEP_1) | instskip(SKIP_3) | instid1(VALU_DEP_1)
	v_fma_f64 v[5:6], v[14:15], v[18:19], v[5:6]
	ds_load_2addr_b64 v[12:15], v8 offset0:32 offset1:48
	s_waitcnt lgkmcnt(0)
	v_fma_f64 v[5:6], v[12:13], v[20:21], v[5:6]
	v_fma_f64 v[5:6], v[14:15], v[22:23], v[5:6]
	ds_load_2addr_b64 v[12:15], v8 offset0:64 offset1:80
	ds_load_b128 v[16:19], v9 offset:32
	ds_load_b128 v[20:23], v9 offset:48
	s_waitcnt lgkmcnt(1)
	v_fma_f64 v[5:6], v[12:13], v[16:17], v[5:6]
	s_delay_alu instid0(VALU_DEP_1) | instskip(SKIP_3) | instid1(VALU_DEP_1)
	v_fma_f64 v[5:6], v[14:15], v[18:19], v[5:6]
	ds_load_2addr_b64 v[12:15], v8 offset0:96 offset1:112
	s_waitcnt lgkmcnt(0)
	v_fma_f64 v[5:6], v[12:13], v[20:21], v[5:6]
	v_fma_f64 v[5:6], v[14:15], v[22:23], v[5:6]
	ds_load_2addr_b64 v[12:15], v8 offset0:128 offset1:144
	ds_load_b128 v[16:19], v9 offset:64
	ds_load_b128 v[20:23], v9 offset:80
	s_waitcnt lgkmcnt(1)
	v_fma_f64 v[5:6], v[12:13], v[16:17], v[5:6]
	s_delay_alu instid0(VALU_DEP_1) | instskip(SKIP_3) | instid1(VALU_DEP_1)
	v_fma_f64 v[5:6], v[14:15], v[18:19], v[5:6]
	ds_load_2addr_b64 v[12:15], v8 offset0:160 offset1:176
	s_waitcnt lgkmcnt(0)
	v_fma_f64 v[5:6], v[12:13], v[20:21], v[5:6]
	v_fma_f64 v[5:6], v[14:15], v[22:23], v[5:6]
	ds_load_2addr_b64 v[12:15], v8 offset0:192 offset1:208
	ds_load_b128 v[16:19], v9 offset:96
	ds_load_b128 v[20:23], v9 offset:112
	s_waitcnt lgkmcnt(1)
	v_fma_f64 v[5:6], v[12:13], v[16:17], v[5:6]
	s_delay_alu instid0(VALU_DEP_1)
	v_fma_f64 v[5:6], v[14:15], v[18:19], v[5:6]
	ds_load_2addr_b64 v[12:15], v8 offset0:224 offset1:240
	s_waitcnt lgkmcnt(0)
	s_barrier
	buffer_gl0_inv
	v_fma_f64 v[5:6], v[12:13], v[20:21], v[5:6]
	s_delay_alu instid0(VALU_DEP_1)
	v_fma_f64 v[5:6], v[14:15], v[22:23], v[5:6]
	s_cbranch_scc1 .LBB584_2
; %bb.3:
	s_mov_b32 s6, exec_lo
	v_cmpx_le_i32_e64 v7, v0
	s_cbranch_execz .LBB584_5
.LBB584_4:
	s_load_b32 s0, s[0:1], 0x50
	v_ashrrev_i32_e32 v1, 31, v0
	s_delay_alu instid0(VALU_DEP_1) | instskip(SKIP_2) | instid1(VALU_DEP_1)
	v_lshlrev_b64 v[0:1], 3, v[0:1]
	s_waitcnt lgkmcnt(0)
	v_mad_i64_i32 v[2:3], null, s0, v7, 0
	v_lshlrev_b64 v[2:3], 3, v[2:3]
	s_delay_alu instid0(VALU_DEP_1) | instskip(NEXT) | instid1(VALU_DEP_2)
	v_add_co_u32 v2, vcc_lo, s2, v2
	v_add_co_ci_u32_e32 v3, vcc_lo, s3, v3, vcc_lo
	s_delay_alu instid0(VALU_DEP_2) | instskip(NEXT) | instid1(VALU_DEP_2)
	v_add_co_u32 v0, vcc_lo, v2, v0
	v_add_co_ci_u32_e32 v1, vcc_lo, v3, v1, vcc_lo
	global_load_b64 v[2:3], v[0:1], off
	s_waitcnt vmcnt(0)
	v_mul_f64 v[2:3], v[2:3], s[4:5]
	s_delay_alu instid0(VALU_DEP_1)
	v_fma_f64 v[2:3], v[5:6], s[8:9], v[2:3]
	global_store_b64 v[0:1], v[2:3], off
.LBB584_5:
	s_nop 0
	s_sendmsg sendmsg(MSG_DEALLOC_VGPRS)
	s_endpgm
.LBB584_6:
	v_mov_b32_e32 v5, 0
	v_mov_b32_e32 v6, 0
	s_mov_b32 s6, exec_lo
	v_cmpx_le_i32_e64 v7, v0
	s_cbranch_execnz .LBB584_4
	s_branch .LBB584_5
	.section	.rodata,"a",@progbits
	.p2align	6, 0x0
	.amdhsa_kernel _ZL41rocblas_syrkx_herkx_small_restrict_kernelIidLi16ELb0ELb0ELc67ELc76EKPKdKPdEviT_T0_PT6_S5_lS8_S5_lS6_PT7_S5_li
		.amdhsa_group_segment_fixed_size 4096
		.amdhsa_private_segment_fixed_size 0
		.amdhsa_kernarg_size 100
		.amdhsa_user_sgpr_count 13
		.amdhsa_user_sgpr_dispatch_ptr 0
		.amdhsa_user_sgpr_queue_ptr 0
		.amdhsa_user_sgpr_kernarg_segment_ptr 1
		.amdhsa_user_sgpr_dispatch_id 0
		.amdhsa_user_sgpr_private_segment_size 0
		.amdhsa_wavefront_size32 1
		.amdhsa_uses_dynamic_stack 0
		.amdhsa_enable_private_segment 0
		.amdhsa_system_sgpr_workgroup_id_x 1
		.amdhsa_system_sgpr_workgroup_id_y 1
		.amdhsa_system_sgpr_workgroup_id_z 1
		.amdhsa_system_sgpr_workgroup_info 0
		.amdhsa_system_vgpr_workitem_id 1
		.amdhsa_next_free_vgpr 24
		.amdhsa_next_free_sgpr 20
		.amdhsa_reserve_vcc 1
		.amdhsa_float_round_mode_32 0
		.amdhsa_float_round_mode_16_64 0
		.amdhsa_float_denorm_mode_32 3
		.amdhsa_float_denorm_mode_16_64 3
		.amdhsa_dx10_clamp 1
		.amdhsa_ieee_mode 1
		.amdhsa_fp16_overflow 0
		.amdhsa_workgroup_processor_mode 1
		.amdhsa_memory_ordered 1
		.amdhsa_forward_progress 0
		.amdhsa_shared_vgpr_count 0
		.amdhsa_exception_fp_ieee_invalid_op 0
		.amdhsa_exception_fp_denorm_src 0
		.amdhsa_exception_fp_ieee_div_zero 0
		.amdhsa_exception_fp_ieee_overflow 0
		.amdhsa_exception_fp_ieee_underflow 0
		.amdhsa_exception_fp_ieee_inexact 0
		.amdhsa_exception_int_div_zero 0
	.end_amdhsa_kernel
	.section	.text._ZL41rocblas_syrkx_herkx_small_restrict_kernelIidLi16ELb0ELb0ELc67ELc76EKPKdKPdEviT_T0_PT6_S5_lS8_S5_lS6_PT7_S5_li,"axG",@progbits,_ZL41rocblas_syrkx_herkx_small_restrict_kernelIidLi16ELb0ELb0ELc67ELc76EKPKdKPdEviT_T0_PT6_S5_lS8_S5_lS6_PT7_S5_li,comdat
.Lfunc_end584:
	.size	_ZL41rocblas_syrkx_herkx_small_restrict_kernelIidLi16ELb0ELb0ELc67ELc76EKPKdKPdEviT_T0_PT6_S5_lS8_S5_lS6_PT7_S5_li, .Lfunc_end584-_ZL41rocblas_syrkx_herkx_small_restrict_kernelIidLi16ELb0ELb0ELc67ELc76EKPKdKPdEviT_T0_PT6_S5_lS8_S5_lS6_PT7_S5_li
                                        ; -- End function
	.section	.AMDGPU.csdata,"",@progbits
; Kernel info:
; codeLenInByte = 900
; NumSgprs: 22
; NumVgprs: 24
; ScratchSize: 0
; MemoryBound: 0
; FloatMode: 240
; IeeeMode: 1
; LDSByteSize: 4096 bytes/workgroup (compile time only)
; SGPRBlocks: 2
; VGPRBlocks: 2
; NumSGPRsForWavesPerEU: 22
; NumVGPRsForWavesPerEU: 24
; Occupancy: 16
; WaveLimiterHint : 1
; COMPUTE_PGM_RSRC2:SCRATCH_EN: 0
; COMPUTE_PGM_RSRC2:USER_SGPR: 13
; COMPUTE_PGM_RSRC2:TRAP_HANDLER: 0
; COMPUTE_PGM_RSRC2:TGID_X_EN: 1
; COMPUTE_PGM_RSRC2:TGID_Y_EN: 1
; COMPUTE_PGM_RSRC2:TGID_Z_EN: 1
; COMPUTE_PGM_RSRC2:TIDIG_COMP_CNT: 1
	.section	.text._ZL41rocblas_syrkx_herkx_small_restrict_kernelIidLi16ELb0ELb0ELc78ELc76EKPKdKPdEviT_T0_PT6_S5_lS8_S5_lS6_PT7_S5_li,"axG",@progbits,_ZL41rocblas_syrkx_herkx_small_restrict_kernelIidLi16ELb0ELb0ELc78ELc76EKPKdKPdEviT_T0_PT6_S5_lS8_S5_lS6_PT7_S5_li,comdat
	.globl	_ZL41rocblas_syrkx_herkx_small_restrict_kernelIidLi16ELb0ELb0ELc78ELc76EKPKdKPdEviT_T0_PT6_S5_lS8_S5_lS6_PT7_S5_li ; -- Begin function _ZL41rocblas_syrkx_herkx_small_restrict_kernelIidLi16ELb0ELb0ELc78ELc76EKPKdKPdEviT_T0_PT6_S5_lS8_S5_lS6_PT7_S5_li
	.p2align	8
	.type	_ZL41rocblas_syrkx_herkx_small_restrict_kernelIidLi16ELb0ELb0ELc78ELc76EKPKdKPdEviT_T0_PT6_S5_lS8_S5_lS6_PT7_S5_li,@function
_ZL41rocblas_syrkx_herkx_small_restrict_kernelIidLi16ELb0ELb0ELc78ELc76EKPKdKPdEviT_T0_PT6_S5_lS8_S5_lS6_PT7_S5_li: ; @_ZL41rocblas_syrkx_herkx_small_restrict_kernelIidLi16ELb0ELb0ELc78ELc76EKPKdKPdEviT_T0_PT6_S5_lS8_S5_lS6_PT7_S5_li
; %bb.0:
	s_clause 0x1
	s_load_b128 s[4:7], s[0:1], 0x40
	s_load_b32 s12, s[0:1], 0x4
	s_mov_b32 s16, s15
	s_mov_b32 s17, 0
	v_and_b32_e32 v5, 0x3ff, v0
	s_lshl_b64 s[18:19], s[16:17], 3
	v_bfe_u32 v4, v0, 10, 10
	s_delay_alu instid0(VALU_DEP_2) | instskip(NEXT) | instid1(VALU_DEP_2)
	v_lshl_add_u32 v0, s13, 4, v5
	v_lshl_add_u32 v2, s14, 4, v4
	s_delay_alu instid0(VALU_DEP_2)
	v_ashrrev_i32_e32 v1, 31, v0
	s_waitcnt lgkmcnt(0)
	s_add_u32 s2, s6, s18
	s_addc_u32 s3, s7, s19
	s_load_b128 s[8:11], s[0:1], 0x8
	s_load_b64 s[2:3], s[2:3], 0x0
	s_cmp_lt_i32 s12, 1
	s_cbranch_scc1 .LBB585_6
; %bb.1:
	s_clause 0x2
	s_load_b32 s14, s[0:1], 0x18
	s_load_b32 s6, s[0:1], 0x30
	s_load_b64 s[20:21], s[0:1], 0x28
	v_ashrrev_i32_e32 v3, 31, v2
	v_lshlrev_b32_e32 v11, 7, v4
	v_lshlrev_b32_e32 v9, 3, v5
	v_lshlrev_b64 v[13:14], 3, v[0:1]
	s_waitcnt lgkmcnt(0)
	s_ashr_i32 s15, s14, 31
	s_ashr_i32 s7, s6, 31
	s_add_u32 s20, s20, s18
	s_addc_u32 s21, s21, s19
	v_mad_i64_i32 v[6:7], null, s6, v5, 0
	s_load_b64 s[20:21], s[20:21], 0x0
	s_add_u32 s10, s10, s18
	s_addc_u32 s11, s11, s19
	v_mad_i64_i32 v[15:16], null, s14, v4, 0
	s_load_b64 s[10:11], s[10:11], 0x0
	v_lshlrev_b64 v[3:4], 3, v[2:3]
	s_delay_alu instid0(VALU_DEP_3)
	v_lshlrev_b64 v[5:6], 3, v[6:7]
	v_mov_b32_e32 v7, 0
	v_mov_b32_e32 v8, 0
	v_add_nc_u32_e32 v10, 0x800, v11
	v_lshlrev_b64 v[15:16], 3, v[15:16]
	v_add_nc_u32_e32 v11, v9, v11
	v_add_co_u32 v3, vcc_lo, v5, v3
	s_delay_alu instid0(VALU_DEP_4)
	v_add_nc_u32_e32 v12, v10, v9
	v_add_co_ci_u32_e32 v4, vcc_lo, v6, v4, vcc_lo
	v_add_co_u32 v5, vcc_lo, v15, v13
	v_add_co_ci_u32_e32 v6, vcc_lo, v16, v14, vcc_lo
	s_waitcnt lgkmcnt(0)
	v_add_co_u32 v3, vcc_lo, s20, v3
	v_add_co_ci_u32_e32 v4, vcc_lo, s21, v4, vcc_lo
	v_add_co_u32 v5, vcc_lo, s10, v5
	v_add_co_ci_u32_e32 v6, vcc_lo, s11, v6, vcc_lo
	s_lshl_b64 s[6:7], s[6:7], 7
	s_lshl_b64 s[10:11], s[14:15], 7
.LBB585_2:                              ; =>This Inner Loop Header: Depth=1
	global_load_b64 v[13:14], v[5:6], off
	global_load_b64 v[15:16], v[3:4], off
	v_add_co_u32 v3, vcc_lo, v3, s6
	v_add_co_ci_u32_e32 v4, vcc_lo, s7, v4, vcc_lo
	v_add_co_u32 v5, vcc_lo, v5, s10
	v_add_co_ci_u32_e32 v6, vcc_lo, s11, v6, vcc_lo
	s_add_i32 s17, s17, 16
	s_waitcnt vmcnt(1)
	ds_store_b64 v11, v[13:14]
	s_waitcnt vmcnt(0)
	ds_store_b64 v12, v[15:16]
	s_waitcnt lgkmcnt(0)
	s_barrier
	buffer_gl0_inv
	ds_load_2addr_b64 v[13:16], v9 offset1:16
	ds_load_b128 v[17:20], v10
	ds_load_b128 v[21:24], v10 offset:16
	s_cmp_lt_i32 s17, s12
	s_waitcnt lgkmcnt(1)
	v_fma_f64 v[7:8], v[13:14], v[17:18], v[7:8]
	s_delay_alu instid0(VALU_DEP_1) | instskip(SKIP_3) | instid1(VALU_DEP_1)
	v_fma_f64 v[7:8], v[15:16], v[19:20], v[7:8]
	ds_load_2addr_b64 v[13:16], v9 offset0:32 offset1:48
	s_waitcnt lgkmcnt(0)
	v_fma_f64 v[7:8], v[13:14], v[21:22], v[7:8]
	v_fma_f64 v[7:8], v[15:16], v[23:24], v[7:8]
	ds_load_2addr_b64 v[13:16], v9 offset0:64 offset1:80
	ds_load_b128 v[17:20], v10 offset:32
	ds_load_b128 v[21:24], v10 offset:48
	s_waitcnt lgkmcnt(1)
	v_fma_f64 v[7:8], v[13:14], v[17:18], v[7:8]
	s_delay_alu instid0(VALU_DEP_1) | instskip(SKIP_3) | instid1(VALU_DEP_1)
	v_fma_f64 v[7:8], v[15:16], v[19:20], v[7:8]
	ds_load_2addr_b64 v[13:16], v9 offset0:96 offset1:112
	s_waitcnt lgkmcnt(0)
	v_fma_f64 v[7:8], v[13:14], v[21:22], v[7:8]
	v_fma_f64 v[7:8], v[15:16], v[23:24], v[7:8]
	ds_load_2addr_b64 v[13:16], v9 offset0:128 offset1:144
	ds_load_b128 v[17:20], v10 offset:64
	ds_load_b128 v[21:24], v10 offset:80
	;; [unrolled: 11-line block ×3, first 2 shown]
	s_waitcnt lgkmcnt(1)
	v_fma_f64 v[7:8], v[13:14], v[17:18], v[7:8]
	s_delay_alu instid0(VALU_DEP_1)
	v_fma_f64 v[7:8], v[15:16], v[19:20], v[7:8]
	ds_load_2addr_b64 v[13:16], v9 offset0:224 offset1:240
	s_waitcnt lgkmcnt(0)
	s_barrier
	buffer_gl0_inv
	v_fma_f64 v[7:8], v[13:14], v[21:22], v[7:8]
	s_delay_alu instid0(VALU_DEP_1)
	v_fma_f64 v[7:8], v[15:16], v[23:24], v[7:8]
	s_cbranch_scc1 .LBB585_2
; %bb.3:
	s_mov_b32 s6, exec_lo
	v_cmpx_le_i32_e64 v2, v0
	s_cbranch_execz .LBB585_5
.LBB585_4:
	s_load_b32 s0, s[0:1], 0x50
	v_lshlrev_b64 v[0:1], 3, v[0:1]
	s_waitcnt lgkmcnt(0)
	v_mad_i64_i32 v[3:4], null, s0, v2, 0
	s_delay_alu instid0(VALU_DEP_1) | instskip(NEXT) | instid1(VALU_DEP_1)
	v_lshlrev_b64 v[2:3], 3, v[3:4]
	v_add_co_u32 v2, vcc_lo, s2, v2
	s_delay_alu instid0(VALU_DEP_2) | instskip(NEXT) | instid1(VALU_DEP_2)
	v_add_co_ci_u32_e32 v3, vcc_lo, s3, v3, vcc_lo
	v_add_co_u32 v0, vcc_lo, v2, v0
	s_delay_alu instid0(VALU_DEP_2) | instskip(SKIP_3) | instid1(VALU_DEP_1)
	v_add_co_ci_u32_e32 v1, vcc_lo, v3, v1, vcc_lo
	global_load_b64 v[2:3], v[0:1], off
	s_waitcnt vmcnt(0)
	v_mul_f64 v[2:3], v[2:3], s[4:5]
	v_fma_f64 v[2:3], v[7:8], s[8:9], v[2:3]
	global_store_b64 v[0:1], v[2:3], off
.LBB585_5:
	s_nop 0
	s_sendmsg sendmsg(MSG_DEALLOC_VGPRS)
	s_endpgm
.LBB585_6:
	v_mov_b32_e32 v7, 0
	v_mov_b32_e32 v8, 0
	s_mov_b32 s6, exec_lo
	v_cmpx_le_i32_e64 v2, v0
	s_cbranch_execnz .LBB585_4
	s_branch .LBB585_5
	.section	.rodata,"a",@progbits
	.p2align	6, 0x0
	.amdhsa_kernel _ZL41rocblas_syrkx_herkx_small_restrict_kernelIidLi16ELb0ELb0ELc78ELc76EKPKdKPdEviT_T0_PT6_S5_lS8_S5_lS6_PT7_S5_li
		.amdhsa_group_segment_fixed_size 4096
		.amdhsa_private_segment_fixed_size 0
		.amdhsa_kernarg_size 100
		.amdhsa_user_sgpr_count 13
		.amdhsa_user_sgpr_dispatch_ptr 0
		.amdhsa_user_sgpr_queue_ptr 0
		.amdhsa_user_sgpr_kernarg_segment_ptr 1
		.amdhsa_user_sgpr_dispatch_id 0
		.amdhsa_user_sgpr_private_segment_size 0
		.amdhsa_wavefront_size32 1
		.amdhsa_uses_dynamic_stack 0
		.amdhsa_enable_private_segment 0
		.amdhsa_system_sgpr_workgroup_id_x 1
		.amdhsa_system_sgpr_workgroup_id_y 1
		.amdhsa_system_sgpr_workgroup_id_z 1
		.amdhsa_system_sgpr_workgroup_info 0
		.amdhsa_system_vgpr_workitem_id 1
		.amdhsa_next_free_vgpr 25
		.amdhsa_next_free_sgpr 22
		.amdhsa_reserve_vcc 1
		.amdhsa_float_round_mode_32 0
		.amdhsa_float_round_mode_16_64 0
		.amdhsa_float_denorm_mode_32 3
		.amdhsa_float_denorm_mode_16_64 3
		.amdhsa_dx10_clamp 1
		.amdhsa_ieee_mode 1
		.amdhsa_fp16_overflow 0
		.amdhsa_workgroup_processor_mode 1
		.amdhsa_memory_ordered 1
		.amdhsa_forward_progress 0
		.amdhsa_shared_vgpr_count 0
		.amdhsa_exception_fp_ieee_invalid_op 0
		.amdhsa_exception_fp_denorm_src 0
		.amdhsa_exception_fp_ieee_div_zero 0
		.amdhsa_exception_fp_ieee_overflow 0
		.amdhsa_exception_fp_ieee_underflow 0
		.amdhsa_exception_fp_ieee_inexact 0
		.amdhsa_exception_int_div_zero 0
	.end_amdhsa_kernel
	.section	.text._ZL41rocblas_syrkx_herkx_small_restrict_kernelIidLi16ELb0ELb0ELc78ELc76EKPKdKPdEviT_T0_PT6_S5_lS8_S5_lS6_PT7_S5_li,"axG",@progbits,_ZL41rocblas_syrkx_herkx_small_restrict_kernelIidLi16ELb0ELb0ELc78ELc76EKPKdKPdEviT_T0_PT6_S5_lS8_S5_lS6_PT7_S5_li,comdat
.Lfunc_end585:
	.size	_ZL41rocblas_syrkx_herkx_small_restrict_kernelIidLi16ELb0ELb0ELc78ELc76EKPKdKPdEviT_T0_PT6_S5_lS8_S5_lS6_PT7_S5_li, .Lfunc_end585-_ZL41rocblas_syrkx_herkx_small_restrict_kernelIidLi16ELb0ELb0ELc78ELc76EKPKdKPdEviT_T0_PT6_S5_lS8_S5_lS6_PT7_S5_li
                                        ; -- End function
	.section	.AMDGPU.csdata,"",@progbits
; Kernel info:
; codeLenInByte = 912
; NumSgprs: 24
; NumVgprs: 25
; ScratchSize: 0
; MemoryBound: 0
; FloatMode: 240
; IeeeMode: 1
; LDSByteSize: 4096 bytes/workgroup (compile time only)
; SGPRBlocks: 2
; VGPRBlocks: 3
; NumSGPRsForWavesPerEU: 24
; NumVGPRsForWavesPerEU: 25
; Occupancy: 16
; WaveLimiterHint : 1
; COMPUTE_PGM_RSRC2:SCRATCH_EN: 0
; COMPUTE_PGM_RSRC2:USER_SGPR: 13
; COMPUTE_PGM_RSRC2:TRAP_HANDLER: 0
; COMPUTE_PGM_RSRC2:TGID_X_EN: 1
; COMPUTE_PGM_RSRC2:TGID_Y_EN: 1
; COMPUTE_PGM_RSRC2:TGID_Z_EN: 1
; COMPUTE_PGM_RSRC2:TIDIG_COMP_CNT: 1
	.section	.text._ZL41rocblas_syrkx_herkx_small_restrict_kernelIidLi16ELb0ELb0ELc84ELc85EKPKdKPdEviT_T0_PT6_S5_lS8_S5_lS6_PT7_S5_li,"axG",@progbits,_ZL41rocblas_syrkx_herkx_small_restrict_kernelIidLi16ELb0ELb0ELc84ELc85EKPKdKPdEviT_T0_PT6_S5_lS8_S5_lS6_PT7_S5_li,comdat
	.globl	_ZL41rocblas_syrkx_herkx_small_restrict_kernelIidLi16ELb0ELb0ELc84ELc85EKPKdKPdEviT_T0_PT6_S5_lS8_S5_lS6_PT7_S5_li ; -- Begin function _ZL41rocblas_syrkx_herkx_small_restrict_kernelIidLi16ELb0ELb0ELc84ELc85EKPKdKPdEviT_T0_PT6_S5_lS8_S5_lS6_PT7_S5_li
	.p2align	8
	.type	_ZL41rocblas_syrkx_herkx_small_restrict_kernelIidLi16ELb0ELb0ELc84ELc85EKPKdKPdEviT_T0_PT6_S5_lS8_S5_lS6_PT7_S5_li,@function
_ZL41rocblas_syrkx_herkx_small_restrict_kernelIidLi16ELb0ELb0ELc84ELc85EKPKdKPdEviT_T0_PT6_S5_lS8_S5_lS6_PT7_S5_li: ; @_ZL41rocblas_syrkx_herkx_small_restrict_kernelIidLi16ELb0ELb0ELc84ELc85EKPKdKPdEviT_T0_PT6_S5_lS8_S5_lS6_PT7_S5_li
; %bb.0:
	s_load_b128 s[4:7], s[0:1], 0x40
	s_mov_b32 s16, s15
	s_mov_b32 s17, 0
	v_and_b32_e32 v2, 0x3ff, v0
	s_lshl_b64 s[18:19], s[16:17], 3
	v_bfe_u32 v1, v0, 10, 10
	s_delay_alu instid0(VALU_DEP_2) | instskip(NEXT) | instid1(VALU_DEP_2)
	v_lshl_add_u32 v0, s13, 4, v2
	v_lshl_add_u32 v7, s14, 4, v1
	s_waitcnt lgkmcnt(0)
	s_add_u32 s2, s6, s18
	s_load_b32 s6, s[0:1], 0x4
	s_addc_u32 s3, s7, s19
	s_load_b128 s[8:11], s[0:1], 0x8
	s_load_b64 s[2:3], s[2:3], 0x0
	s_waitcnt lgkmcnt(0)
	s_cmp_lt_i32 s6, 1
	s_cbranch_scc1 .LBB586_6
; %bb.1:
	s_clause 0x2
	s_load_b64 s[12:13], s[0:1], 0x28
	s_load_b32 s7, s[0:1], 0x30
	s_load_b32 s14, s[0:1], 0x18
	v_lshlrev_b32_e32 v8, 3, v2
	v_dual_mov_b32 v5, 0 :: v_dual_lshlrev_b32 v4, 7, v1
	v_lshlrev_b32_e32 v14, 3, v1
	s_delay_alu instid0(VALU_DEP_2) | instskip(NEXT) | instid1(VALU_DEP_4)
	v_dual_mov_b32 v6, 0 :: v_dual_add_nc_u32 v9, 0x800, v4
	v_add_nc_u32_e32 v10, v8, v4
	s_delay_alu instid0(VALU_DEP_2)
	v_add_nc_u32_e32 v11, v9, v8
	s_waitcnt lgkmcnt(0)
	s_add_u32 s12, s12, s18
	s_addc_u32 s13, s13, s19
	v_mad_i64_i32 v[2:3], null, s7, v7, 0
	s_load_b64 s[12:13], s[12:13], 0x0
	s_add_u32 s10, s10, s18
	s_addc_u32 s11, s11, s19
	v_mad_i64_i32 v[12:13], null, s14, v0, 0
	s_load_b64 s[10:11], s[10:11], 0x0
	s_delay_alu instid0(VALU_DEP_2) | instskip(NEXT) | instid1(VALU_DEP_2)
	v_lshlrev_b64 v[1:2], 3, v[2:3]
	v_lshlrev_b64 v[3:4], 3, v[12:13]
	s_delay_alu instid0(VALU_DEP_2) | instskip(NEXT) | instid1(VALU_DEP_3)
	v_add_co_u32 v1, vcc_lo, v1, v8
	v_add_co_ci_u32_e32 v2, vcc_lo, 0, v2, vcc_lo
	s_delay_alu instid0(VALU_DEP_3) | instskip(NEXT) | instid1(VALU_DEP_4)
	v_add_co_u32 v3, vcc_lo, v3, v14
	v_add_co_ci_u32_e32 v4, vcc_lo, 0, v4, vcc_lo
	s_waitcnt lgkmcnt(0)
	v_add_co_u32 v1, vcc_lo, s12, v1
	v_add_co_ci_u32_e32 v2, vcc_lo, s13, v2, vcc_lo
	v_add_co_u32 v3, vcc_lo, s10, v3
	v_add_co_ci_u32_e32 v4, vcc_lo, s11, v4, vcc_lo
.LBB586_2:                              ; =>This Inner Loop Header: Depth=1
	global_load_b64 v[12:13], v[3:4], off
	global_load_b64 v[14:15], v[1:2], off
	v_add_co_u32 v1, vcc_lo, 0x80, v1
	v_add_co_ci_u32_e32 v2, vcc_lo, 0, v2, vcc_lo
	v_add_co_u32 v3, vcc_lo, 0x80, v3
	v_add_co_ci_u32_e32 v4, vcc_lo, 0, v4, vcc_lo
	s_add_i32 s17, s17, 16
	s_waitcnt vmcnt(1)
	ds_store_b64 v10, v[12:13]
	s_waitcnt vmcnt(0)
	ds_store_b64 v11, v[14:15]
	s_waitcnt lgkmcnt(0)
	s_barrier
	buffer_gl0_inv
	ds_load_2addr_b64 v[12:15], v8 offset1:16
	ds_load_b128 v[16:19], v9
	ds_load_b128 v[20:23], v9 offset:16
	s_cmp_lt_i32 s17, s6
	s_waitcnt lgkmcnt(1)
	v_fma_f64 v[5:6], v[12:13], v[16:17], v[5:6]
	s_delay_alu instid0(VALU_DEP_1) | instskip(SKIP_3) | instid1(VALU_DEP_1)
	v_fma_f64 v[5:6], v[14:15], v[18:19], v[5:6]
	ds_load_2addr_b64 v[12:15], v8 offset0:32 offset1:48
	s_waitcnt lgkmcnt(0)
	v_fma_f64 v[5:6], v[12:13], v[20:21], v[5:6]
	v_fma_f64 v[5:6], v[14:15], v[22:23], v[5:6]
	ds_load_2addr_b64 v[12:15], v8 offset0:64 offset1:80
	ds_load_b128 v[16:19], v9 offset:32
	ds_load_b128 v[20:23], v9 offset:48
	s_waitcnt lgkmcnt(1)
	v_fma_f64 v[5:6], v[12:13], v[16:17], v[5:6]
	s_delay_alu instid0(VALU_DEP_1) | instskip(SKIP_3) | instid1(VALU_DEP_1)
	v_fma_f64 v[5:6], v[14:15], v[18:19], v[5:6]
	ds_load_2addr_b64 v[12:15], v8 offset0:96 offset1:112
	s_waitcnt lgkmcnt(0)
	v_fma_f64 v[5:6], v[12:13], v[20:21], v[5:6]
	v_fma_f64 v[5:6], v[14:15], v[22:23], v[5:6]
	ds_load_2addr_b64 v[12:15], v8 offset0:128 offset1:144
	ds_load_b128 v[16:19], v9 offset:64
	ds_load_b128 v[20:23], v9 offset:80
	;; [unrolled: 11-line block ×3, first 2 shown]
	s_waitcnt lgkmcnt(1)
	v_fma_f64 v[5:6], v[12:13], v[16:17], v[5:6]
	s_delay_alu instid0(VALU_DEP_1)
	v_fma_f64 v[5:6], v[14:15], v[18:19], v[5:6]
	ds_load_2addr_b64 v[12:15], v8 offset0:224 offset1:240
	s_waitcnt lgkmcnt(0)
	s_barrier
	buffer_gl0_inv
	v_fma_f64 v[5:6], v[12:13], v[20:21], v[5:6]
	s_delay_alu instid0(VALU_DEP_1)
	v_fma_f64 v[5:6], v[14:15], v[22:23], v[5:6]
	s_cbranch_scc1 .LBB586_2
; %bb.3:
	s_mov_b32 s6, exec_lo
	v_cmpx_le_i32_e64 v0, v7
	s_cbranch_execz .LBB586_5
.LBB586_4:
	s_load_b32 s0, s[0:1], 0x50
	v_ashrrev_i32_e32 v1, 31, v0
	s_delay_alu instid0(VALU_DEP_1) | instskip(SKIP_2) | instid1(VALU_DEP_1)
	v_lshlrev_b64 v[0:1], 3, v[0:1]
	s_waitcnt lgkmcnt(0)
	v_mad_i64_i32 v[2:3], null, s0, v7, 0
	v_lshlrev_b64 v[2:3], 3, v[2:3]
	s_delay_alu instid0(VALU_DEP_1) | instskip(NEXT) | instid1(VALU_DEP_2)
	v_add_co_u32 v2, vcc_lo, s2, v2
	v_add_co_ci_u32_e32 v3, vcc_lo, s3, v3, vcc_lo
	s_delay_alu instid0(VALU_DEP_2) | instskip(NEXT) | instid1(VALU_DEP_2)
	v_add_co_u32 v0, vcc_lo, v2, v0
	v_add_co_ci_u32_e32 v1, vcc_lo, v3, v1, vcc_lo
	global_load_b64 v[2:3], v[0:1], off
	s_waitcnt vmcnt(0)
	v_mul_f64 v[2:3], v[2:3], s[4:5]
	s_delay_alu instid0(VALU_DEP_1)
	v_fma_f64 v[2:3], v[5:6], s[8:9], v[2:3]
	global_store_b64 v[0:1], v[2:3], off
.LBB586_5:
	s_nop 0
	s_sendmsg sendmsg(MSG_DEALLOC_VGPRS)
	s_endpgm
.LBB586_6:
	v_mov_b32_e32 v5, 0
	v_mov_b32_e32 v6, 0
	s_mov_b32 s6, exec_lo
	v_cmpx_le_i32_e64 v0, v7
	s_cbranch_execnz .LBB586_4
	s_branch .LBB586_5
	.section	.rodata,"a",@progbits
	.p2align	6, 0x0
	.amdhsa_kernel _ZL41rocblas_syrkx_herkx_small_restrict_kernelIidLi16ELb0ELb0ELc84ELc85EKPKdKPdEviT_T0_PT6_S5_lS8_S5_lS6_PT7_S5_li
		.amdhsa_group_segment_fixed_size 4096
		.amdhsa_private_segment_fixed_size 0
		.amdhsa_kernarg_size 100
		.amdhsa_user_sgpr_count 13
		.amdhsa_user_sgpr_dispatch_ptr 0
		.amdhsa_user_sgpr_queue_ptr 0
		.amdhsa_user_sgpr_kernarg_segment_ptr 1
		.amdhsa_user_sgpr_dispatch_id 0
		.amdhsa_user_sgpr_private_segment_size 0
		.amdhsa_wavefront_size32 1
		.amdhsa_uses_dynamic_stack 0
		.amdhsa_enable_private_segment 0
		.amdhsa_system_sgpr_workgroup_id_x 1
		.amdhsa_system_sgpr_workgroup_id_y 1
		.amdhsa_system_sgpr_workgroup_id_z 1
		.amdhsa_system_sgpr_workgroup_info 0
		.amdhsa_system_vgpr_workitem_id 1
		.amdhsa_next_free_vgpr 24
		.amdhsa_next_free_sgpr 20
		.amdhsa_reserve_vcc 1
		.amdhsa_float_round_mode_32 0
		.amdhsa_float_round_mode_16_64 0
		.amdhsa_float_denorm_mode_32 3
		.amdhsa_float_denorm_mode_16_64 3
		.amdhsa_dx10_clamp 1
		.amdhsa_ieee_mode 1
		.amdhsa_fp16_overflow 0
		.amdhsa_workgroup_processor_mode 1
		.amdhsa_memory_ordered 1
		.amdhsa_forward_progress 0
		.amdhsa_shared_vgpr_count 0
		.amdhsa_exception_fp_ieee_invalid_op 0
		.amdhsa_exception_fp_denorm_src 0
		.amdhsa_exception_fp_ieee_div_zero 0
		.amdhsa_exception_fp_ieee_overflow 0
		.amdhsa_exception_fp_ieee_underflow 0
		.amdhsa_exception_fp_ieee_inexact 0
		.amdhsa_exception_int_div_zero 0
	.end_amdhsa_kernel
	.section	.text._ZL41rocblas_syrkx_herkx_small_restrict_kernelIidLi16ELb0ELb0ELc84ELc85EKPKdKPdEviT_T0_PT6_S5_lS8_S5_lS6_PT7_S5_li,"axG",@progbits,_ZL41rocblas_syrkx_herkx_small_restrict_kernelIidLi16ELb0ELb0ELc84ELc85EKPKdKPdEviT_T0_PT6_S5_lS8_S5_lS6_PT7_S5_li,comdat
.Lfunc_end586:
	.size	_ZL41rocblas_syrkx_herkx_small_restrict_kernelIidLi16ELb0ELb0ELc84ELc85EKPKdKPdEviT_T0_PT6_S5_lS8_S5_lS6_PT7_S5_li, .Lfunc_end586-_ZL41rocblas_syrkx_herkx_small_restrict_kernelIidLi16ELb0ELb0ELc84ELc85EKPKdKPdEviT_T0_PT6_S5_lS8_S5_lS6_PT7_S5_li
                                        ; -- End function
	.section	.AMDGPU.csdata,"",@progbits
; Kernel info:
; codeLenInByte = 900
; NumSgprs: 22
; NumVgprs: 24
; ScratchSize: 0
; MemoryBound: 0
; FloatMode: 240
; IeeeMode: 1
; LDSByteSize: 4096 bytes/workgroup (compile time only)
; SGPRBlocks: 2
; VGPRBlocks: 2
; NumSGPRsForWavesPerEU: 22
; NumVGPRsForWavesPerEU: 24
; Occupancy: 16
; WaveLimiterHint : 1
; COMPUTE_PGM_RSRC2:SCRATCH_EN: 0
; COMPUTE_PGM_RSRC2:USER_SGPR: 13
; COMPUTE_PGM_RSRC2:TRAP_HANDLER: 0
; COMPUTE_PGM_RSRC2:TGID_X_EN: 1
; COMPUTE_PGM_RSRC2:TGID_Y_EN: 1
; COMPUTE_PGM_RSRC2:TGID_Z_EN: 1
; COMPUTE_PGM_RSRC2:TIDIG_COMP_CNT: 1
	.section	.text._ZL41rocblas_syrkx_herkx_small_restrict_kernelIidLi16ELb0ELb0ELc67ELc85EKPKdKPdEviT_T0_PT6_S5_lS8_S5_lS6_PT7_S5_li,"axG",@progbits,_ZL41rocblas_syrkx_herkx_small_restrict_kernelIidLi16ELb0ELb0ELc67ELc85EKPKdKPdEviT_T0_PT6_S5_lS8_S5_lS6_PT7_S5_li,comdat
	.globl	_ZL41rocblas_syrkx_herkx_small_restrict_kernelIidLi16ELb0ELb0ELc67ELc85EKPKdKPdEviT_T0_PT6_S5_lS8_S5_lS6_PT7_S5_li ; -- Begin function _ZL41rocblas_syrkx_herkx_small_restrict_kernelIidLi16ELb0ELb0ELc67ELc85EKPKdKPdEviT_T0_PT6_S5_lS8_S5_lS6_PT7_S5_li
	.p2align	8
	.type	_ZL41rocblas_syrkx_herkx_small_restrict_kernelIidLi16ELb0ELb0ELc67ELc85EKPKdKPdEviT_T0_PT6_S5_lS8_S5_lS6_PT7_S5_li,@function
_ZL41rocblas_syrkx_herkx_small_restrict_kernelIidLi16ELb0ELb0ELc67ELc85EKPKdKPdEviT_T0_PT6_S5_lS8_S5_lS6_PT7_S5_li: ; @_ZL41rocblas_syrkx_herkx_small_restrict_kernelIidLi16ELb0ELb0ELc67ELc85EKPKdKPdEviT_T0_PT6_S5_lS8_S5_lS6_PT7_S5_li
; %bb.0:
	s_load_b128 s[4:7], s[0:1], 0x40
	s_mov_b32 s16, s15
	s_mov_b32 s17, 0
	v_and_b32_e32 v2, 0x3ff, v0
	s_lshl_b64 s[18:19], s[16:17], 3
	v_bfe_u32 v1, v0, 10, 10
	s_delay_alu instid0(VALU_DEP_2) | instskip(NEXT) | instid1(VALU_DEP_2)
	v_lshl_add_u32 v0, s13, 4, v2
	v_lshl_add_u32 v7, s14, 4, v1
	s_waitcnt lgkmcnt(0)
	s_add_u32 s2, s6, s18
	s_load_b32 s6, s[0:1], 0x4
	s_addc_u32 s3, s7, s19
	s_load_b128 s[8:11], s[0:1], 0x8
	s_load_b64 s[2:3], s[2:3], 0x0
	s_waitcnt lgkmcnt(0)
	s_cmp_lt_i32 s6, 1
	s_cbranch_scc1 .LBB587_6
; %bb.1:
	s_clause 0x2
	s_load_b64 s[12:13], s[0:1], 0x28
	s_load_b32 s7, s[0:1], 0x30
	s_load_b32 s14, s[0:1], 0x18
	v_lshlrev_b32_e32 v8, 3, v2
	v_dual_mov_b32 v5, 0 :: v_dual_lshlrev_b32 v4, 7, v1
	v_lshlrev_b32_e32 v14, 3, v1
	s_delay_alu instid0(VALU_DEP_2) | instskip(NEXT) | instid1(VALU_DEP_4)
	v_dual_mov_b32 v6, 0 :: v_dual_add_nc_u32 v9, 0x800, v4
	v_add_nc_u32_e32 v10, v8, v4
	s_delay_alu instid0(VALU_DEP_2)
	v_add_nc_u32_e32 v11, v9, v8
	s_waitcnt lgkmcnt(0)
	s_add_u32 s12, s12, s18
	s_addc_u32 s13, s13, s19
	v_mad_i64_i32 v[2:3], null, s7, v7, 0
	s_load_b64 s[12:13], s[12:13], 0x0
	s_add_u32 s10, s10, s18
	s_addc_u32 s11, s11, s19
	v_mad_i64_i32 v[12:13], null, s14, v0, 0
	s_load_b64 s[10:11], s[10:11], 0x0
	s_delay_alu instid0(VALU_DEP_2) | instskip(NEXT) | instid1(VALU_DEP_2)
	v_lshlrev_b64 v[1:2], 3, v[2:3]
	v_lshlrev_b64 v[3:4], 3, v[12:13]
	s_delay_alu instid0(VALU_DEP_2) | instskip(NEXT) | instid1(VALU_DEP_3)
	v_add_co_u32 v1, vcc_lo, v1, v8
	v_add_co_ci_u32_e32 v2, vcc_lo, 0, v2, vcc_lo
	s_delay_alu instid0(VALU_DEP_3) | instskip(NEXT) | instid1(VALU_DEP_4)
	v_add_co_u32 v3, vcc_lo, v3, v14
	v_add_co_ci_u32_e32 v4, vcc_lo, 0, v4, vcc_lo
	s_waitcnt lgkmcnt(0)
	v_add_co_u32 v1, vcc_lo, s12, v1
	v_add_co_ci_u32_e32 v2, vcc_lo, s13, v2, vcc_lo
	v_add_co_u32 v3, vcc_lo, s10, v3
	v_add_co_ci_u32_e32 v4, vcc_lo, s11, v4, vcc_lo
.LBB587_2:                              ; =>This Inner Loop Header: Depth=1
	global_load_b64 v[12:13], v[3:4], off
	global_load_b64 v[14:15], v[1:2], off
	v_add_co_u32 v1, vcc_lo, 0x80, v1
	v_add_co_ci_u32_e32 v2, vcc_lo, 0, v2, vcc_lo
	v_add_co_u32 v3, vcc_lo, 0x80, v3
	v_add_co_ci_u32_e32 v4, vcc_lo, 0, v4, vcc_lo
	s_add_i32 s17, s17, 16
	s_waitcnt vmcnt(1)
	ds_store_b64 v10, v[12:13]
	s_waitcnt vmcnt(0)
	ds_store_b64 v11, v[14:15]
	s_waitcnt lgkmcnt(0)
	s_barrier
	buffer_gl0_inv
	ds_load_2addr_b64 v[12:15], v8 offset1:16
	ds_load_b128 v[16:19], v9
	ds_load_b128 v[20:23], v9 offset:16
	s_cmp_lt_i32 s17, s6
	s_waitcnt lgkmcnt(1)
	v_fma_f64 v[5:6], v[12:13], v[16:17], v[5:6]
	s_delay_alu instid0(VALU_DEP_1) | instskip(SKIP_3) | instid1(VALU_DEP_1)
	v_fma_f64 v[5:6], v[14:15], v[18:19], v[5:6]
	ds_load_2addr_b64 v[12:15], v8 offset0:32 offset1:48
	s_waitcnt lgkmcnt(0)
	v_fma_f64 v[5:6], v[12:13], v[20:21], v[5:6]
	v_fma_f64 v[5:6], v[14:15], v[22:23], v[5:6]
	ds_load_2addr_b64 v[12:15], v8 offset0:64 offset1:80
	ds_load_b128 v[16:19], v9 offset:32
	ds_load_b128 v[20:23], v9 offset:48
	s_waitcnt lgkmcnt(1)
	v_fma_f64 v[5:6], v[12:13], v[16:17], v[5:6]
	s_delay_alu instid0(VALU_DEP_1) | instskip(SKIP_3) | instid1(VALU_DEP_1)
	v_fma_f64 v[5:6], v[14:15], v[18:19], v[5:6]
	ds_load_2addr_b64 v[12:15], v8 offset0:96 offset1:112
	s_waitcnt lgkmcnt(0)
	v_fma_f64 v[5:6], v[12:13], v[20:21], v[5:6]
	v_fma_f64 v[5:6], v[14:15], v[22:23], v[5:6]
	ds_load_2addr_b64 v[12:15], v8 offset0:128 offset1:144
	ds_load_b128 v[16:19], v9 offset:64
	ds_load_b128 v[20:23], v9 offset:80
	;; [unrolled: 11-line block ×3, first 2 shown]
	s_waitcnt lgkmcnt(1)
	v_fma_f64 v[5:6], v[12:13], v[16:17], v[5:6]
	s_delay_alu instid0(VALU_DEP_1)
	v_fma_f64 v[5:6], v[14:15], v[18:19], v[5:6]
	ds_load_2addr_b64 v[12:15], v8 offset0:224 offset1:240
	s_waitcnt lgkmcnt(0)
	s_barrier
	buffer_gl0_inv
	v_fma_f64 v[5:6], v[12:13], v[20:21], v[5:6]
	s_delay_alu instid0(VALU_DEP_1)
	v_fma_f64 v[5:6], v[14:15], v[22:23], v[5:6]
	s_cbranch_scc1 .LBB587_2
; %bb.3:
	s_mov_b32 s6, exec_lo
	v_cmpx_le_i32_e64 v0, v7
	s_cbranch_execz .LBB587_5
.LBB587_4:
	s_load_b32 s0, s[0:1], 0x50
	v_ashrrev_i32_e32 v1, 31, v0
	s_delay_alu instid0(VALU_DEP_1) | instskip(SKIP_2) | instid1(VALU_DEP_1)
	v_lshlrev_b64 v[0:1], 3, v[0:1]
	s_waitcnt lgkmcnt(0)
	v_mad_i64_i32 v[2:3], null, s0, v7, 0
	v_lshlrev_b64 v[2:3], 3, v[2:3]
	s_delay_alu instid0(VALU_DEP_1) | instskip(NEXT) | instid1(VALU_DEP_2)
	v_add_co_u32 v2, vcc_lo, s2, v2
	v_add_co_ci_u32_e32 v3, vcc_lo, s3, v3, vcc_lo
	s_delay_alu instid0(VALU_DEP_2) | instskip(NEXT) | instid1(VALU_DEP_2)
	v_add_co_u32 v0, vcc_lo, v2, v0
	v_add_co_ci_u32_e32 v1, vcc_lo, v3, v1, vcc_lo
	global_load_b64 v[2:3], v[0:1], off
	s_waitcnt vmcnt(0)
	v_mul_f64 v[2:3], v[2:3], s[4:5]
	s_delay_alu instid0(VALU_DEP_1)
	v_fma_f64 v[2:3], v[5:6], s[8:9], v[2:3]
	global_store_b64 v[0:1], v[2:3], off
.LBB587_5:
	s_nop 0
	s_sendmsg sendmsg(MSG_DEALLOC_VGPRS)
	s_endpgm
.LBB587_6:
	v_mov_b32_e32 v5, 0
	v_mov_b32_e32 v6, 0
	s_mov_b32 s6, exec_lo
	v_cmpx_le_i32_e64 v0, v7
	s_cbranch_execnz .LBB587_4
	s_branch .LBB587_5
	.section	.rodata,"a",@progbits
	.p2align	6, 0x0
	.amdhsa_kernel _ZL41rocblas_syrkx_herkx_small_restrict_kernelIidLi16ELb0ELb0ELc67ELc85EKPKdKPdEviT_T0_PT6_S5_lS8_S5_lS6_PT7_S5_li
		.amdhsa_group_segment_fixed_size 4096
		.amdhsa_private_segment_fixed_size 0
		.amdhsa_kernarg_size 100
		.amdhsa_user_sgpr_count 13
		.amdhsa_user_sgpr_dispatch_ptr 0
		.amdhsa_user_sgpr_queue_ptr 0
		.amdhsa_user_sgpr_kernarg_segment_ptr 1
		.amdhsa_user_sgpr_dispatch_id 0
		.amdhsa_user_sgpr_private_segment_size 0
		.amdhsa_wavefront_size32 1
		.amdhsa_uses_dynamic_stack 0
		.amdhsa_enable_private_segment 0
		.amdhsa_system_sgpr_workgroup_id_x 1
		.amdhsa_system_sgpr_workgroup_id_y 1
		.amdhsa_system_sgpr_workgroup_id_z 1
		.amdhsa_system_sgpr_workgroup_info 0
		.amdhsa_system_vgpr_workitem_id 1
		.amdhsa_next_free_vgpr 24
		.amdhsa_next_free_sgpr 20
		.amdhsa_reserve_vcc 1
		.amdhsa_float_round_mode_32 0
		.amdhsa_float_round_mode_16_64 0
		.amdhsa_float_denorm_mode_32 3
		.amdhsa_float_denorm_mode_16_64 3
		.amdhsa_dx10_clamp 1
		.amdhsa_ieee_mode 1
		.amdhsa_fp16_overflow 0
		.amdhsa_workgroup_processor_mode 1
		.amdhsa_memory_ordered 1
		.amdhsa_forward_progress 0
		.amdhsa_shared_vgpr_count 0
		.amdhsa_exception_fp_ieee_invalid_op 0
		.amdhsa_exception_fp_denorm_src 0
		.amdhsa_exception_fp_ieee_div_zero 0
		.amdhsa_exception_fp_ieee_overflow 0
		.amdhsa_exception_fp_ieee_underflow 0
		.amdhsa_exception_fp_ieee_inexact 0
		.amdhsa_exception_int_div_zero 0
	.end_amdhsa_kernel
	.section	.text._ZL41rocblas_syrkx_herkx_small_restrict_kernelIidLi16ELb0ELb0ELc67ELc85EKPKdKPdEviT_T0_PT6_S5_lS8_S5_lS6_PT7_S5_li,"axG",@progbits,_ZL41rocblas_syrkx_herkx_small_restrict_kernelIidLi16ELb0ELb0ELc67ELc85EKPKdKPdEviT_T0_PT6_S5_lS8_S5_lS6_PT7_S5_li,comdat
.Lfunc_end587:
	.size	_ZL41rocblas_syrkx_herkx_small_restrict_kernelIidLi16ELb0ELb0ELc67ELc85EKPKdKPdEviT_T0_PT6_S5_lS8_S5_lS6_PT7_S5_li, .Lfunc_end587-_ZL41rocblas_syrkx_herkx_small_restrict_kernelIidLi16ELb0ELb0ELc67ELc85EKPKdKPdEviT_T0_PT6_S5_lS8_S5_lS6_PT7_S5_li
                                        ; -- End function
	.section	.AMDGPU.csdata,"",@progbits
; Kernel info:
; codeLenInByte = 900
; NumSgprs: 22
; NumVgprs: 24
; ScratchSize: 0
; MemoryBound: 0
; FloatMode: 240
; IeeeMode: 1
; LDSByteSize: 4096 bytes/workgroup (compile time only)
; SGPRBlocks: 2
; VGPRBlocks: 2
; NumSGPRsForWavesPerEU: 22
; NumVGPRsForWavesPerEU: 24
; Occupancy: 16
; WaveLimiterHint : 1
; COMPUTE_PGM_RSRC2:SCRATCH_EN: 0
; COMPUTE_PGM_RSRC2:USER_SGPR: 13
; COMPUTE_PGM_RSRC2:TRAP_HANDLER: 0
; COMPUTE_PGM_RSRC2:TGID_X_EN: 1
; COMPUTE_PGM_RSRC2:TGID_Y_EN: 1
; COMPUTE_PGM_RSRC2:TGID_Z_EN: 1
; COMPUTE_PGM_RSRC2:TIDIG_COMP_CNT: 1
	.section	.text._ZL41rocblas_syrkx_herkx_small_restrict_kernelIidLi16ELb0ELb0ELc78ELc85EKPKdKPdEviT_T0_PT6_S5_lS8_S5_lS6_PT7_S5_li,"axG",@progbits,_ZL41rocblas_syrkx_herkx_small_restrict_kernelIidLi16ELb0ELb0ELc78ELc85EKPKdKPdEviT_T0_PT6_S5_lS8_S5_lS6_PT7_S5_li,comdat
	.globl	_ZL41rocblas_syrkx_herkx_small_restrict_kernelIidLi16ELb0ELb0ELc78ELc85EKPKdKPdEviT_T0_PT6_S5_lS8_S5_lS6_PT7_S5_li ; -- Begin function _ZL41rocblas_syrkx_herkx_small_restrict_kernelIidLi16ELb0ELb0ELc78ELc85EKPKdKPdEviT_T0_PT6_S5_lS8_S5_lS6_PT7_S5_li
	.p2align	8
	.type	_ZL41rocblas_syrkx_herkx_small_restrict_kernelIidLi16ELb0ELb0ELc78ELc85EKPKdKPdEviT_T0_PT6_S5_lS8_S5_lS6_PT7_S5_li,@function
_ZL41rocblas_syrkx_herkx_small_restrict_kernelIidLi16ELb0ELb0ELc78ELc85EKPKdKPdEviT_T0_PT6_S5_lS8_S5_lS6_PT7_S5_li: ; @_ZL41rocblas_syrkx_herkx_small_restrict_kernelIidLi16ELb0ELb0ELc78ELc85EKPKdKPdEviT_T0_PT6_S5_lS8_S5_lS6_PT7_S5_li
; %bb.0:
	s_clause 0x1
	s_load_b128 s[4:7], s[0:1], 0x40
	s_load_b32 s12, s[0:1], 0x4
	s_mov_b32 s16, s15
	s_mov_b32 s17, 0
	v_and_b32_e32 v5, 0x3ff, v0
	s_lshl_b64 s[18:19], s[16:17], 3
	v_bfe_u32 v4, v0, 10, 10
	s_delay_alu instid0(VALU_DEP_2) | instskip(NEXT) | instid1(VALU_DEP_2)
	v_lshl_add_u32 v0, s13, 4, v5
	v_lshl_add_u32 v2, s14, 4, v4
	s_delay_alu instid0(VALU_DEP_2)
	v_ashrrev_i32_e32 v1, 31, v0
	s_waitcnt lgkmcnt(0)
	s_add_u32 s2, s6, s18
	s_addc_u32 s3, s7, s19
	s_load_b128 s[8:11], s[0:1], 0x8
	s_load_b64 s[2:3], s[2:3], 0x0
	s_cmp_lt_i32 s12, 1
	s_cbranch_scc1 .LBB588_6
; %bb.1:
	s_clause 0x2
	s_load_b32 s14, s[0:1], 0x18
	s_load_b32 s6, s[0:1], 0x30
	s_load_b64 s[20:21], s[0:1], 0x28
	v_ashrrev_i32_e32 v3, 31, v2
	v_lshlrev_b32_e32 v11, 7, v4
	v_lshlrev_b32_e32 v9, 3, v5
	v_lshlrev_b64 v[13:14], 3, v[0:1]
	s_waitcnt lgkmcnt(0)
	s_ashr_i32 s15, s14, 31
	s_ashr_i32 s7, s6, 31
	s_add_u32 s20, s20, s18
	s_addc_u32 s21, s21, s19
	v_mad_i64_i32 v[6:7], null, s6, v5, 0
	s_load_b64 s[20:21], s[20:21], 0x0
	s_add_u32 s10, s10, s18
	s_addc_u32 s11, s11, s19
	v_mad_i64_i32 v[15:16], null, s14, v4, 0
	s_load_b64 s[10:11], s[10:11], 0x0
	v_lshlrev_b64 v[3:4], 3, v[2:3]
	s_delay_alu instid0(VALU_DEP_3)
	v_lshlrev_b64 v[5:6], 3, v[6:7]
	v_mov_b32_e32 v7, 0
	v_mov_b32_e32 v8, 0
	v_add_nc_u32_e32 v10, 0x800, v11
	v_lshlrev_b64 v[15:16], 3, v[15:16]
	v_add_nc_u32_e32 v11, v9, v11
	v_add_co_u32 v3, vcc_lo, v5, v3
	s_delay_alu instid0(VALU_DEP_4)
	v_add_nc_u32_e32 v12, v10, v9
	v_add_co_ci_u32_e32 v4, vcc_lo, v6, v4, vcc_lo
	v_add_co_u32 v5, vcc_lo, v15, v13
	v_add_co_ci_u32_e32 v6, vcc_lo, v16, v14, vcc_lo
	s_waitcnt lgkmcnt(0)
	v_add_co_u32 v3, vcc_lo, s20, v3
	v_add_co_ci_u32_e32 v4, vcc_lo, s21, v4, vcc_lo
	v_add_co_u32 v5, vcc_lo, s10, v5
	v_add_co_ci_u32_e32 v6, vcc_lo, s11, v6, vcc_lo
	s_lshl_b64 s[6:7], s[6:7], 7
	s_lshl_b64 s[10:11], s[14:15], 7
.LBB588_2:                              ; =>This Inner Loop Header: Depth=1
	global_load_b64 v[13:14], v[5:6], off
	global_load_b64 v[15:16], v[3:4], off
	v_add_co_u32 v3, vcc_lo, v3, s6
	v_add_co_ci_u32_e32 v4, vcc_lo, s7, v4, vcc_lo
	v_add_co_u32 v5, vcc_lo, v5, s10
	v_add_co_ci_u32_e32 v6, vcc_lo, s11, v6, vcc_lo
	s_add_i32 s17, s17, 16
	s_waitcnt vmcnt(1)
	ds_store_b64 v11, v[13:14]
	s_waitcnt vmcnt(0)
	ds_store_b64 v12, v[15:16]
	s_waitcnt lgkmcnt(0)
	s_barrier
	buffer_gl0_inv
	ds_load_2addr_b64 v[13:16], v9 offset1:16
	ds_load_b128 v[17:20], v10
	ds_load_b128 v[21:24], v10 offset:16
	s_cmp_lt_i32 s17, s12
	s_waitcnt lgkmcnt(1)
	v_fma_f64 v[7:8], v[13:14], v[17:18], v[7:8]
	s_delay_alu instid0(VALU_DEP_1) | instskip(SKIP_3) | instid1(VALU_DEP_1)
	v_fma_f64 v[7:8], v[15:16], v[19:20], v[7:8]
	ds_load_2addr_b64 v[13:16], v9 offset0:32 offset1:48
	s_waitcnt lgkmcnt(0)
	v_fma_f64 v[7:8], v[13:14], v[21:22], v[7:8]
	v_fma_f64 v[7:8], v[15:16], v[23:24], v[7:8]
	ds_load_2addr_b64 v[13:16], v9 offset0:64 offset1:80
	ds_load_b128 v[17:20], v10 offset:32
	ds_load_b128 v[21:24], v10 offset:48
	s_waitcnt lgkmcnt(1)
	v_fma_f64 v[7:8], v[13:14], v[17:18], v[7:8]
	s_delay_alu instid0(VALU_DEP_1) | instskip(SKIP_3) | instid1(VALU_DEP_1)
	v_fma_f64 v[7:8], v[15:16], v[19:20], v[7:8]
	ds_load_2addr_b64 v[13:16], v9 offset0:96 offset1:112
	s_waitcnt lgkmcnt(0)
	v_fma_f64 v[7:8], v[13:14], v[21:22], v[7:8]
	v_fma_f64 v[7:8], v[15:16], v[23:24], v[7:8]
	ds_load_2addr_b64 v[13:16], v9 offset0:128 offset1:144
	ds_load_b128 v[17:20], v10 offset:64
	ds_load_b128 v[21:24], v10 offset:80
	;; [unrolled: 11-line block ×3, first 2 shown]
	s_waitcnt lgkmcnt(1)
	v_fma_f64 v[7:8], v[13:14], v[17:18], v[7:8]
	s_delay_alu instid0(VALU_DEP_1)
	v_fma_f64 v[7:8], v[15:16], v[19:20], v[7:8]
	ds_load_2addr_b64 v[13:16], v9 offset0:224 offset1:240
	s_waitcnt lgkmcnt(0)
	s_barrier
	buffer_gl0_inv
	v_fma_f64 v[7:8], v[13:14], v[21:22], v[7:8]
	s_delay_alu instid0(VALU_DEP_1)
	v_fma_f64 v[7:8], v[15:16], v[23:24], v[7:8]
	s_cbranch_scc1 .LBB588_2
; %bb.3:
	s_mov_b32 s6, exec_lo
	v_cmpx_le_i32_e64 v0, v2
	s_cbranch_execz .LBB588_5
.LBB588_4:
	s_load_b32 s0, s[0:1], 0x50
	v_lshlrev_b64 v[0:1], 3, v[0:1]
	s_waitcnt lgkmcnt(0)
	v_mad_i64_i32 v[3:4], null, s0, v2, 0
	s_delay_alu instid0(VALU_DEP_1) | instskip(NEXT) | instid1(VALU_DEP_1)
	v_lshlrev_b64 v[2:3], 3, v[3:4]
	v_add_co_u32 v2, vcc_lo, s2, v2
	s_delay_alu instid0(VALU_DEP_2) | instskip(NEXT) | instid1(VALU_DEP_2)
	v_add_co_ci_u32_e32 v3, vcc_lo, s3, v3, vcc_lo
	v_add_co_u32 v0, vcc_lo, v2, v0
	s_delay_alu instid0(VALU_DEP_2) | instskip(SKIP_3) | instid1(VALU_DEP_1)
	v_add_co_ci_u32_e32 v1, vcc_lo, v3, v1, vcc_lo
	global_load_b64 v[2:3], v[0:1], off
	s_waitcnt vmcnt(0)
	v_mul_f64 v[2:3], v[2:3], s[4:5]
	v_fma_f64 v[2:3], v[7:8], s[8:9], v[2:3]
	global_store_b64 v[0:1], v[2:3], off
.LBB588_5:
	s_nop 0
	s_sendmsg sendmsg(MSG_DEALLOC_VGPRS)
	s_endpgm
.LBB588_6:
	v_mov_b32_e32 v7, 0
	v_mov_b32_e32 v8, 0
	s_mov_b32 s6, exec_lo
	v_cmpx_le_i32_e64 v0, v2
	s_cbranch_execnz .LBB588_4
	s_branch .LBB588_5
	.section	.rodata,"a",@progbits
	.p2align	6, 0x0
	.amdhsa_kernel _ZL41rocblas_syrkx_herkx_small_restrict_kernelIidLi16ELb0ELb0ELc78ELc85EKPKdKPdEviT_T0_PT6_S5_lS8_S5_lS6_PT7_S5_li
		.amdhsa_group_segment_fixed_size 4096
		.amdhsa_private_segment_fixed_size 0
		.amdhsa_kernarg_size 100
		.amdhsa_user_sgpr_count 13
		.amdhsa_user_sgpr_dispatch_ptr 0
		.amdhsa_user_sgpr_queue_ptr 0
		.amdhsa_user_sgpr_kernarg_segment_ptr 1
		.amdhsa_user_sgpr_dispatch_id 0
		.amdhsa_user_sgpr_private_segment_size 0
		.amdhsa_wavefront_size32 1
		.amdhsa_uses_dynamic_stack 0
		.amdhsa_enable_private_segment 0
		.amdhsa_system_sgpr_workgroup_id_x 1
		.amdhsa_system_sgpr_workgroup_id_y 1
		.amdhsa_system_sgpr_workgroup_id_z 1
		.amdhsa_system_sgpr_workgroup_info 0
		.amdhsa_system_vgpr_workitem_id 1
		.amdhsa_next_free_vgpr 25
		.amdhsa_next_free_sgpr 22
		.amdhsa_reserve_vcc 1
		.amdhsa_float_round_mode_32 0
		.amdhsa_float_round_mode_16_64 0
		.amdhsa_float_denorm_mode_32 3
		.amdhsa_float_denorm_mode_16_64 3
		.amdhsa_dx10_clamp 1
		.amdhsa_ieee_mode 1
		.amdhsa_fp16_overflow 0
		.amdhsa_workgroup_processor_mode 1
		.amdhsa_memory_ordered 1
		.amdhsa_forward_progress 0
		.amdhsa_shared_vgpr_count 0
		.amdhsa_exception_fp_ieee_invalid_op 0
		.amdhsa_exception_fp_denorm_src 0
		.amdhsa_exception_fp_ieee_div_zero 0
		.amdhsa_exception_fp_ieee_overflow 0
		.amdhsa_exception_fp_ieee_underflow 0
		.amdhsa_exception_fp_ieee_inexact 0
		.amdhsa_exception_int_div_zero 0
	.end_amdhsa_kernel
	.section	.text._ZL41rocblas_syrkx_herkx_small_restrict_kernelIidLi16ELb0ELb0ELc78ELc85EKPKdKPdEviT_T0_PT6_S5_lS8_S5_lS6_PT7_S5_li,"axG",@progbits,_ZL41rocblas_syrkx_herkx_small_restrict_kernelIidLi16ELb0ELb0ELc78ELc85EKPKdKPdEviT_T0_PT6_S5_lS8_S5_lS6_PT7_S5_li,comdat
.Lfunc_end588:
	.size	_ZL41rocblas_syrkx_herkx_small_restrict_kernelIidLi16ELb0ELb0ELc78ELc85EKPKdKPdEviT_T0_PT6_S5_lS8_S5_lS6_PT7_S5_li, .Lfunc_end588-_ZL41rocblas_syrkx_herkx_small_restrict_kernelIidLi16ELb0ELb0ELc78ELc85EKPKdKPdEviT_T0_PT6_S5_lS8_S5_lS6_PT7_S5_li
                                        ; -- End function
	.section	.AMDGPU.csdata,"",@progbits
; Kernel info:
; codeLenInByte = 912
; NumSgprs: 24
; NumVgprs: 25
; ScratchSize: 0
; MemoryBound: 0
; FloatMode: 240
; IeeeMode: 1
; LDSByteSize: 4096 bytes/workgroup (compile time only)
; SGPRBlocks: 2
; VGPRBlocks: 3
; NumSGPRsForWavesPerEU: 24
; NumVGPRsForWavesPerEU: 25
; Occupancy: 16
; WaveLimiterHint : 1
; COMPUTE_PGM_RSRC2:SCRATCH_EN: 0
; COMPUTE_PGM_RSRC2:USER_SGPR: 13
; COMPUTE_PGM_RSRC2:TRAP_HANDLER: 0
; COMPUTE_PGM_RSRC2:TGID_X_EN: 1
; COMPUTE_PGM_RSRC2:TGID_Y_EN: 1
; COMPUTE_PGM_RSRC2:TGID_Z_EN: 1
; COMPUTE_PGM_RSRC2:TIDIG_COMP_CNT: 1
	.section	.text._ZL32rocblas_syrkx_herkx_small_kernelIidLi16ELb1ELb0ELc84ELc76EKPKdKPdEviT_T0_PT6_S5_lS8_S5_lS6_PT7_S5_li,"axG",@progbits,_ZL32rocblas_syrkx_herkx_small_kernelIidLi16ELb1ELb0ELc84ELc76EKPKdKPdEviT_T0_PT6_S5_lS8_S5_lS6_PT7_S5_li,comdat
	.globl	_ZL32rocblas_syrkx_herkx_small_kernelIidLi16ELb1ELb0ELc84ELc76EKPKdKPdEviT_T0_PT6_S5_lS8_S5_lS6_PT7_S5_li ; -- Begin function _ZL32rocblas_syrkx_herkx_small_kernelIidLi16ELb1ELb0ELc84ELc76EKPKdKPdEviT_T0_PT6_S5_lS8_S5_lS6_PT7_S5_li
	.p2align	8
	.type	_ZL32rocblas_syrkx_herkx_small_kernelIidLi16ELb1ELb0ELc84ELc76EKPKdKPdEviT_T0_PT6_S5_lS8_S5_lS6_PT7_S5_li,@function
_ZL32rocblas_syrkx_herkx_small_kernelIidLi16ELb1ELb0ELc84ELc76EKPKdKPdEviT_T0_PT6_S5_lS8_S5_lS6_PT7_S5_li: ; @_ZL32rocblas_syrkx_herkx_small_kernelIidLi16ELb1ELb0ELc84ELc76EKPKdKPdEviT_T0_PT6_S5_lS8_S5_lS6_PT7_S5_li
; %bb.0:
	s_clause 0x1
	s_load_b64 s[2:3], s[0:1], 0x48
	s_load_b64 s[16:17], s[0:1], 0x0
	s_mov_b32 s10, s15
	s_mov_b32 s11, 0
	v_and_b32_e32 v14, 0x3ff, v0
	s_lshl_b64 s[18:19], s[10:11], 3
	v_bfe_u32 v15, v0, 10, 10
	s_delay_alu instid0(VALU_DEP_2) | instskip(NEXT) | instid1(VALU_DEP_2)
	v_lshl_add_u32 v0, s13, 4, v14
	v_lshl_add_u32 v13, s14, 4, v15
	s_waitcnt lgkmcnt(0)
	s_add_u32 s2, s2, s18
	s_addc_u32 s3, s3, s19
	s_load_b128 s[4:7], s[0:1], 0x8
	s_load_b64 s[8:9], s[2:3], 0x0
	v_cmp_gt_i32_e32 vcc_lo, s16, v0
	s_cmp_lt_i32 s17, 1
	s_cbranch_scc1 .LBB589_7
; %bb.1:
	s_clause 0x2
	s_load_b64 s[12:13], s[0:1], 0x28
	s_load_b32 s3, s[0:1], 0x30
	s_load_b32 s10, s[0:1], 0x18
	v_lshlrev_b32_e32 v16, 3, v14
	v_lshlrev_b32_e32 v7, 7, v15
	v_cmp_gt_i32_e64 s2, s16, v13
	s_waitcnt lgkmcnt(0)
	s_add_u32 s12, s12, s18
	s_addc_u32 s13, s13, s19
	v_mad_i64_i32 v[1:2], null, s3, v13, 0
	s_load_b64 s[12:13], s[12:13], 0x0
	s_add_u32 s6, s6, s18
	s_addc_u32 s7, s7, s19
	v_mad_i64_i32 v[3:4], null, s10, v0, 0
	s_load_b64 s[6:7], s[6:7], 0x0
	s_delay_alu instid0(VALU_DEP_2)
	v_lshlrev_b64 v[5:6], 3, v[1:2]
	v_mov_b32_e32 v1, 0
	v_mov_b32_e32 v2, 0
	v_lshlrev_b32_e32 v8, 3, v15
	v_add_nc_u32_e32 v17, 0x800, v7
	v_lshlrev_b64 v[3:4], 3, v[3:4]
	v_add_co_u32 v5, s3, v5, v16
	s_delay_alu instid0(VALU_DEP_1) | instskip(SKIP_1) | instid1(VALU_DEP_4)
	v_add_co_ci_u32_e64 v6, s3, 0, v6, s3
	v_add_nc_u32_e32 v18, v16, v7
	v_add_co_u32 v7, s3, v3, v8
	s_delay_alu instid0(VALU_DEP_1) | instskip(SKIP_2) | instid1(VALU_DEP_1)
	v_add_co_ci_u32_e64 v8, s3, 0, v4, s3
	s_waitcnt lgkmcnt(0)
	v_add_co_u32 v3, s3, s12, v5
	v_add_co_ci_u32_e64 v4, s3, s13, v6, s3
	v_add_co_u32 v5, s3, s6, v7
	s_delay_alu instid0(VALU_DEP_1)
	v_add_co_ci_u32_e64 v6, s3, s7, v8, s3
	v_dual_mov_b32 v8, v2 :: v_dual_add_nc_u32 v19, v17, v16
	v_mov_b32_e32 v7, v1
	s_branch .LBB589_3
.LBB589_2:                              ;   in Loop: Header=BB589_3 Depth=1
	s_or_b32 exec_lo, exec_lo, s3
	s_waitcnt vmcnt(0)
	ds_store_b64 v19, v[11:12]
	s_waitcnt lgkmcnt(0)
	s_barrier
	buffer_gl0_inv
	ds_load_2addr_b64 v[9:12], v16 offset1:16
	ds_load_b128 v[20:23], v17
	ds_load_b128 v[24:27], v17 offset:16
	v_add_co_u32 v3, s3, 0x80, v3
	s_delay_alu instid0(VALU_DEP_1) | instskip(SKIP_1) | instid1(VALU_DEP_1)
	v_add_co_ci_u32_e64 v4, s3, 0, v4, s3
	v_add_co_u32 v5, s3, 0x80, v5
	v_add_co_ci_u32_e64 v6, s3, 0, v6, s3
	s_add_i32 s11, s11, 16
	s_delay_alu instid0(SALU_CYCLE_1) | instskip(SKIP_2) | instid1(VALU_DEP_1)
	s_cmp_ge_i32 s11, s17
	s_waitcnt lgkmcnt(1)
	v_fma_f64 v[7:8], v[9:10], v[20:21], v[7:8]
	v_fma_f64 v[11:12], v[11:12], v[22:23], v[7:8]
	ds_load_2addr_b64 v[7:10], v16 offset0:32 offset1:48
	s_waitcnt lgkmcnt(0)
	v_fma_f64 v[7:8], v[7:8], v[24:25], v[11:12]
	s_delay_alu instid0(VALU_DEP_1)
	v_fma_f64 v[11:12], v[9:10], v[26:27], v[7:8]
	ds_load_2addr_b64 v[7:10], v16 offset0:64 offset1:80
	ds_load_b128 v[20:23], v17 offset:32
	ds_load_b128 v[24:27], v17 offset:48
	s_waitcnt lgkmcnt(1)
	v_fma_f64 v[7:8], v[7:8], v[20:21], v[11:12]
	s_delay_alu instid0(VALU_DEP_1) | instskip(SKIP_3) | instid1(VALU_DEP_1)
	v_fma_f64 v[11:12], v[9:10], v[22:23], v[7:8]
	ds_load_2addr_b64 v[7:10], v16 offset0:96 offset1:112
	s_waitcnt lgkmcnt(0)
	v_fma_f64 v[7:8], v[7:8], v[24:25], v[11:12]
	v_fma_f64 v[11:12], v[9:10], v[26:27], v[7:8]
	ds_load_2addr_b64 v[7:10], v16 offset0:128 offset1:144
	ds_load_b128 v[20:23], v17 offset:64
	ds_load_b128 v[24:27], v17 offset:80
	s_waitcnt lgkmcnt(1)
	v_fma_f64 v[7:8], v[7:8], v[20:21], v[11:12]
	s_delay_alu instid0(VALU_DEP_1) | instskip(SKIP_3) | instid1(VALU_DEP_1)
	v_fma_f64 v[11:12], v[9:10], v[22:23], v[7:8]
	ds_load_2addr_b64 v[7:10], v16 offset0:160 offset1:176
	s_waitcnt lgkmcnt(0)
	v_fma_f64 v[7:8], v[7:8], v[24:25], v[11:12]
	v_fma_f64 v[11:12], v[9:10], v[26:27], v[7:8]
	ds_load_2addr_b64 v[7:10], v16 offset0:192 offset1:208
	ds_load_b128 v[20:23], v17 offset:96
	ds_load_b128 v[24:27], v17 offset:112
	s_waitcnt lgkmcnt(1)
	v_fma_f64 v[7:8], v[7:8], v[20:21], v[11:12]
	s_delay_alu instid0(VALU_DEP_1)
	v_fma_f64 v[11:12], v[9:10], v[22:23], v[7:8]
	ds_load_2addr_b64 v[7:10], v16 offset0:224 offset1:240
	s_waitcnt lgkmcnt(0)
	s_barrier
	buffer_gl0_inv
	v_fma_f64 v[7:8], v[7:8], v[24:25], v[11:12]
	s_delay_alu instid0(VALU_DEP_1)
	v_fma_f64 v[7:8], v[9:10], v[26:27], v[7:8]
	s_cbranch_scc1 .LBB589_8
.LBB589_3:                              ; =>This Inner Loop Header: Depth=1
	v_add_nc_u32_e32 v9, s11, v15
	s_delay_alu instid0(VALU_DEP_1) | instskip(SKIP_1) | instid1(VALU_DEP_2)
	v_cmp_gt_i32_e64 s3, s17, v9
	v_dual_mov_b32 v10, v2 :: v_dual_mov_b32 v9, v1
	s_and_b32 s6, vcc_lo, s3
	s_delay_alu instid0(SALU_CYCLE_1)
	s_and_saveexec_b32 s3, s6
	s_cbranch_execz .LBB589_5
; %bb.4:                                ;   in Loop: Header=BB589_3 Depth=1
	global_load_b64 v[9:10], v[5:6], off
.LBB589_5:                              ;   in Loop: Header=BB589_3 Depth=1
	s_or_b32 exec_lo, exec_lo, s3
	v_add_nc_u32_e32 v11, s11, v14
	s_waitcnt vmcnt(0)
	ds_store_b64 v18, v[9:10]
	v_cmp_gt_i32_e64 s3, s17, v11
	v_mov_b32_e32 v11, 0
	v_mov_b32_e32 v12, 0
	s_delay_alu instid0(VALU_DEP_3) | instskip(NEXT) | instid1(SALU_CYCLE_1)
	s_and_b32 s6, s2, s3
	s_and_saveexec_b32 s3, s6
	s_cbranch_execz .LBB589_2
; %bb.6:                                ;   in Loop: Header=BB589_3 Depth=1
	global_load_b64 v[11:12], v[3:4], off
	s_branch .LBB589_2
.LBB589_7:
	v_mov_b32_e32 v7, 0
	v_mov_b32_e32 v8, 0
.LBB589_8:
	v_cmp_le_i32_e32 vcc_lo, v13, v0
	v_cmp_gt_i32_e64 s2, s16, v0
	s_delay_alu instid0(VALU_DEP_1) | instskip(NEXT) | instid1(SALU_CYCLE_1)
	s_and_b32 s2, vcc_lo, s2
	s_and_saveexec_b32 s3, s2
	s_cbranch_execz .LBB589_10
; %bb.9:
	s_load_b32 s0, s[0:1], 0x50
	s_waitcnt lgkmcnt(0)
	s_delay_alu instid0(VALU_DEP_3) | instskip(SKIP_1) | instid1(VALU_DEP_1)
	v_mul_f64 v[2:3], v[7:8], s[4:5]
	v_ashrrev_i32_e32 v1, 31, v0
	v_lshlrev_b64 v[0:1], 3, v[0:1]
	v_mad_i64_i32 v[4:5], null, s0, v13, 0
	s_delay_alu instid0(VALU_DEP_1) | instskip(NEXT) | instid1(VALU_DEP_1)
	v_lshlrev_b64 v[4:5], 3, v[4:5]
	v_add_co_u32 v4, vcc_lo, s8, v4
	s_delay_alu instid0(VALU_DEP_2) | instskip(NEXT) | instid1(VALU_DEP_2)
	v_add_co_ci_u32_e32 v5, vcc_lo, s9, v5, vcc_lo
	v_add_co_u32 v0, vcc_lo, v4, v0
	s_delay_alu instid0(VALU_DEP_2)
	v_add_co_ci_u32_e32 v1, vcc_lo, v5, v1, vcc_lo
	global_store_b64 v[0:1], v[2:3], off
.LBB589_10:
	s_nop 0
	s_sendmsg sendmsg(MSG_DEALLOC_VGPRS)
	s_endpgm
	.section	.rodata,"a",@progbits
	.p2align	6, 0x0
	.amdhsa_kernel _ZL32rocblas_syrkx_herkx_small_kernelIidLi16ELb1ELb0ELc84ELc76EKPKdKPdEviT_T0_PT6_S5_lS8_S5_lS6_PT7_S5_li
		.amdhsa_group_segment_fixed_size 4096
		.amdhsa_private_segment_fixed_size 0
		.amdhsa_kernarg_size 100
		.amdhsa_user_sgpr_count 13
		.amdhsa_user_sgpr_dispatch_ptr 0
		.amdhsa_user_sgpr_queue_ptr 0
		.amdhsa_user_sgpr_kernarg_segment_ptr 1
		.amdhsa_user_sgpr_dispatch_id 0
		.amdhsa_user_sgpr_private_segment_size 0
		.amdhsa_wavefront_size32 1
		.amdhsa_uses_dynamic_stack 0
		.amdhsa_enable_private_segment 0
		.amdhsa_system_sgpr_workgroup_id_x 1
		.amdhsa_system_sgpr_workgroup_id_y 1
		.amdhsa_system_sgpr_workgroup_id_z 1
		.amdhsa_system_sgpr_workgroup_info 0
		.amdhsa_system_vgpr_workitem_id 1
		.amdhsa_next_free_vgpr 28
		.amdhsa_next_free_sgpr 20
		.amdhsa_reserve_vcc 1
		.amdhsa_float_round_mode_32 0
		.amdhsa_float_round_mode_16_64 0
		.amdhsa_float_denorm_mode_32 3
		.amdhsa_float_denorm_mode_16_64 3
		.amdhsa_dx10_clamp 1
		.amdhsa_ieee_mode 1
		.amdhsa_fp16_overflow 0
		.amdhsa_workgroup_processor_mode 1
		.amdhsa_memory_ordered 1
		.amdhsa_forward_progress 0
		.amdhsa_shared_vgpr_count 0
		.amdhsa_exception_fp_ieee_invalid_op 0
		.amdhsa_exception_fp_denorm_src 0
		.amdhsa_exception_fp_ieee_div_zero 0
		.amdhsa_exception_fp_ieee_overflow 0
		.amdhsa_exception_fp_ieee_underflow 0
		.amdhsa_exception_fp_ieee_inexact 0
		.amdhsa_exception_int_div_zero 0
	.end_amdhsa_kernel
	.section	.text._ZL32rocblas_syrkx_herkx_small_kernelIidLi16ELb1ELb0ELc84ELc76EKPKdKPdEviT_T0_PT6_S5_lS8_S5_lS6_PT7_S5_li,"axG",@progbits,_ZL32rocblas_syrkx_herkx_small_kernelIidLi16ELb1ELb0ELc84ELc76EKPKdKPdEviT_T0_PT6_S5_lS8_S5_lS6_PT7_S5_li,comdat
.Lfunc_end589:
	.size	_ZL32rocblas_syrkx_herkx_small_kernelIidLi16ELb1ELb0ELc84ELc76EKPKdKPdEviT_T0_PT6_S5_lS8_S5_lS6_PT7_S5_li, .Lfunc_end589-_ZL32rocblas_syrkx_herkx_small_kernelIidLi16ELb1ELb0ELc84ELc76EKPKdKPdEviT_T0_PT6_S5_lS8_S5_lS6_PT7_S5_li
                                        ; -- End function
	.section	.AMDGPU.csdata,"",@progbits
; Kernel info:
; codeLenInByte = 1012
; NumSgprs: 22
; NumVgprs: 28
; ScratchSize: 0
; MemoryBound: 0
; FloatMode: 240
; IeeeMode: 1
; LDSByteSize: 4096 bytes/workgroup (compile time only)
; SGPRBlocks: 2
; VGPRBlocks: 3
; NumSGPRsForWavesPerEU: 22
; NumVGPRsForWavesPerEU: 28
; Occupancy: 16
; WaveLimiterHint : 1
; COMPUTE_PGM_RSRC2:SCRATCH_EN: 0
; COMPUTE_PGM_RSRC2:USER_SGPR: 13
; COMPUTE_PGM_RSRC2:TRAP_HANDLER: 0
; COMPUTE_PGM_RSRC2:TGID_X_EN: 1
; COMPUTE_PGM_RSRC2:TGID_Y_EN: 1
; COMPUTE_PGM_RSRC2:TGID_Z_EN: 1
; COMPUTE_PGM_RSRC2:TIDIG_COMP_CNT: 1
	.section	.text._ZL32rocblas_syrkx_herkx_small_kernelIidLi16ELb1ELb0ELc67ELc76EKPKdKPdEviT_T0_PT6_S5_lS8_S5_lS6_PT7_S5_li,"axG",@progbits,_ZL32rocblas_syrkx_herkx_small_kernelIidLi16ELb1ELb0ELc67ELc76EKPKdKPdEviT_T0_PT6_S5_lS8_S5_lS6_PT7_S5_li,comdat
	.globl	_ZL32rocblas_syrkx_herkx_small_kernelIidLi16ELb1ELb0ELc67ELc76EKPKdKPdEviT_T0_PT6_S5_lS8_S5_lS6_PT7_S5_li ; -- Begin function _ZL32rocblas_syrkx_herkx_small_kernelIidLi16ELb1ELb0ELc67ELc76EKPKdKPdEviT_T0_PT6_S5_lS8_S5_lS6_PT7_S5_li
	.p2align	8
	.type	_ZL32rocblas_syrkx_herkx_small_kernelIidLi16ELb1ELb0ELc67ELc76EKPKdKPdEviT_T0_PT6_S5_lS8_S5_lS6_PT7_S5_li,@function
_ZL32rocblas_syrkx_herkx_small_kernelIidLi16ELb1ELb0ELc67ELc76EKPKdKPdEviT_T0_PT6_S5_lS8_S5_lS6_PT7_S5_li: ; @_ZL32rocblas_syrkx_herkx_small_kernelIidLi16ELb1ELb0ELc67ELc76EKPKdKPdEviT_T0_PT6_S5_lS8_S5_lS6_PT7_S5_li
; %bb.0:
	s_clause 0x1
	s_load_b64 s[2:3], s[0:1], 0x48
	s_load_b64 s[16:17], s[0:1], 0x0
	s_mov_b32 s10, s15
	s_mov_b32 s11, 0
	v_and_b32_e32 v14, 0x3ff, v0
	s_lshl_b64 s[18:19], s[10:11], 3
	v_bfe_u32 v15, v0, 10, 10
	s_delay_alu instid0(VALU_DEP_2) | instskip(NEXT) | instid1(VALU_DEP_2)
	v_lshl_add_u32 v0, s13, 4, v14
	v_lshl_add_u32 v13, s14, 4, v15
	s_waitcnt lgkmcnt(0)
	s_add_u32 s2, s2, s18
	s_addc_u32 s3, s3, s19
	s_load_b128 s[4:7], s[0:1], 0x8
	s_load_b64 s[8:9], s[2:3], 0x0
	v_cmp_gt_i32_e32 vcc_lo, s16, v0
	s_cmp_lt_i32 s17, 1
	s_cbranch_scc1 .LBB590_7
; %bb.1:
	s_clause 0x2
	s_load_b64 s[12:13], s[0:1], 0x28
	s_load_b32 s3, s[0:1], 0x30
	s_load_b32 s10, s[0:1], 0x18
	v_lshlrev_b32_e32 v16, 3, v14
	v_lshlrev_b32_e32 v7, 7, v15
	v_cmp_gt_i32_e64 s2, s16, v13
	s_waitcnt lgkmcnt(0)
	s_add_u32 s12, s12, s18
	s_addc_u32 s13, s13, s19
	v_mad_i64_i32 v[1:2], null, s3, v13, 0
	s_load_b64 s[12:13], s[12:13], 0x0
	s_add_u32 s6, s6, s18
	s_addc_u32 s7, s7, s19
	v_mad_i64_i32 v[3:4], null, s10, v0, 0
	s_load_b64 s[6:7], s[6:7], 0x0
	s_delay_alu instid0(VALU_DEP_2)
	v_lshlrev_b64 v[5:6], 3, v[1:2]
	v_mov_b32_e32 v1, 0
	v_mov_b32_e32 v2, 0
	v_lshlrev_b32_e32 v8, 3, v15
	v_add_nc_u32_e32 v17, 0x800, v7
	v_lshlrev_b64 v[3:4], 3, v[3:4]
	v_add_co_u32 v5, s3, v5, v16
	s_delay_alu instid0(VALU_DEP_1) | instskip(SKIP_1) | instid1(VALU_DEP_4)
	v_add_co_ci_u32_e64 v6, s3, 0, v6, s3
	v_add_nc_u32_e32 v18, v16, v7
	v_add_co_u32 v7, s3, v3, v8
	s_delay_alu instid0(VALU_DEP_1) | instskip(SKIP_2) | instid1(VALU_DEP_1)
	v_add_co_ci_u32_e64 v8, s3, 0, v4, s3
	s_waitcnt lgkmcnt(0)
	v_add_co_u32 v3, s3, s12, v5
	v_add_co_ci_u32_e64 v4, s3, s13, v6, s3
	v_add_co_u32 v5, s3, s6, v7
	s_delay_alu instid0(VALU_DEP_1)
	v_add_co_ci_u32_e64 v6, s3, s7, v8, s3
	v_dual_mov_b32 v8, v2 :: v_dual_add_nc_u32 v19, v17, v16
	v_mov_b32_e32 v7, v1
	s_branch .LBB590_3
.LBB590_2:                              ;   in Loop: Header=BB590_3 Depth=1
	s_or_b32 exec_lo, exec_lo, s3
	s_waitcnt vmcnt(0)
	ds_store_b64 v19, v[11:12]
	s_waitcnt lgkmcnt(0)
	s_barrier
	buffer_gl0_inv
	ds_load_2addr_b64 v[9:12], v16 offset1:16
	ds_load_b128 v[20:23], v17
	ds_load_b128 v[24:27], v17 offset:16
	v_add_co_u32 v3, s3, 0x80, v3
	s_delay_alu instid0(VALU_DEP_1) | instskip(SKIP_1) | instid1(VALU_DEP_1)
	v_add_co_ci_u32_e64 v4, s3, 0, v4, s3
	v_add_co_u32 v5, s3, 0x80, v5
	v_add_co_ci_u32_e64 v6, s3, 0, v6, s3
	s_add_i32 s11, s11, 16
	s_delay_alu instid0(SALU_CYCLE_1) | instskip(SKIP_2) | instid1(VALU_DEP_1)
	s_cmp_ge_i32 s11, s17
	s_waitcnt lgkmcnt(1)
	v_fma_f64 v[7:8], v[9:10], v[20:21], v[7:8]
	v_fma_f64 v[11:12], v[11:12], v[22:23], v[7:8]
	ds_load_2addr_b64 v[7:10], v16 offset0:32 offset1:48
	s_waitcnt lgkmcnt(0)
	v_fma_f64 v[7:8], v[7:8], v[24:25], v[11:12]
	s_delay_alu instid0(VALU_DEP_1)
	v_fma_f64 v[11:12], v[9:10], v[26:27], v[7:8]
	ds_load_2addr_b64 v[7:10], v16 offset0:64 offset1:80
	ds_load_b128 v[20:23], v17 offset:32
	ds_load_b128 v[24:27], v17 offset:48
	s_waitcnt lgkmcnt(1)
	v_fma_f64 v[7:8], v[7:8], v[20:21], v[11:12]
	s_delay_alu instid0(VALU_DEP_1) | instskip(SKIP_3) | instid1(VALU_DEP_1)
	v_fma_f64 v[11:12], v[9:10], v[22:23], v[7:8]
	ds_load_2addr_b64 v[7:10], v16 offset0:96 offset1:112
	s_waitcnt lgkmcnt(0)
	v_fma_f64 v[7:8], v[7:8], v[24:25], v[11:12]
	v_fma_f64 v[11:12], v[9:10], v[26:27], v[7:8]
	ds_load_2addr_b64 v[7:10], v16 offset0:128 offset1:144
	ds_load_b128 v[20:23], v17 offset:64
	ds_load_b128 v[24:27], v17 offset:80
	s_waitcnt lgkmcnt(1)
	v_fma_f64 v[7:8], v[7:8], v[20:21], v[11:12]
	s_delay_alu instid0(VALU_DEP_1) | instskip(SKIP_3) | instid1(VALU_DEP_1)
	v_fma_f64 v[11:12], v[9:10], v[22:23], v[7:8]
	ds_load_2addr_b64 v[7:10], v16 offset0:160 offset1:176
	s_waitcnt lgkmcnt(0)
	v_fma_f64 v[7:8], v[7:8], v[24:25], v[11:12]
	v_fma_f64 v[11:12], v[9:10], v[26:27], v[7:8]
	ds_load_2addr_b64 v[7:10], v16 offset0:192 offset1:208
	ds_load_b128 v[20:23], v17 offset:96
	ds_load_b128 v[24:27], v17 offset:112
	s_waitcnt lgkmcnt(1)
	v_fma_f64 v[7:8], v[7:8], v[20:21], v[11:12]
	s_delay_alu instid0(VALU_DEP_1)
	v_fma_f64 v[11:12], v[9:10], v[22:23], v[7:8]
	ds_load_2addr_b64 v[7:10], v16 offset0:224 offset1:240
	s_waitcnt lgkmcnt(0)
	s_barrier
	buffer_gl0_inv
	v_fma_f64 v[7:8], v[7:8], v[24:25], v[11:12]
	s_delay_alu instid0(VALU_DEP_1)
	v_fma_f64 v[7:8], v[9:10], v[26:27], v[7:8]
	s_cbranch_scc1 .LBB590_8
.LBB590_3:                              ; =>This Inner Loop Header: Depth=1
	v_add_nc_u32_e32 v9, s11, v15
	s_delay_alu instid0(VALU_DEP_1) | instskip(SKIP_1) | instid1(VALU_DEP_2)
	v_cmp_gt_i32_e64 s3, s17, v9
	v_dual_mov_b32 v10, v2 :: v_dual_mov_b32 v9, v1
	s_and_b32 s6, vcc_lo, s3
	s_delay_alu instid0(SALU_CYCLE_1)
	s_and_saveexec_b32 s3, s6
	s_cbranch_execz .LBB590_5
; %bb.4:                                ;   in Loop: Header=BB590_3 Depth=1
	global_load_b64 v[9:10], v[5:6], off
.LBB590_5:                              ;   in Loop: Header=BB590_3 Depth=1
	s_or_b32 exec_lo, exec_lo, s3
	v_add_nc_u32_e32 v11, s11, v14
	s_waitcnt vmcnt(0)
	ds_store_b64 v18, v[9:10]
	v_cmp_gt_i32_e64 s3, s17, v11
	v_mov_b32_e32 v11, 0
	v_mov_b32_e32 v12, 0
	s_delay_alu instid0(VALU_DEP_3) | instskip(NEXT) | instid1(SALU_CYCLE_1)
	s_and_b32 s6, s2, s3
	s_and_saveexec_b32 s3, s6
	s_cbranch_execz .LBB590_2
; %bb.6:                                ;   in Loop: Header=BB590_3 Depth=1
	global_load_b64 v[11:12], v[3:4], off
	s_branch .LBB590_2
.LBB590_7:
	v_mov_b32_e32 v7, 0
	v_mov_b32_e32 v8, 0
.LBB590_8:
	v_cmp_le_i32_e32 vcc_lo, v13, v0
	v_cmp_gt_i32_e64 s2, s16, v0
	s_delay_alu instid0(VALU_DEP_1) | instskip(NEXT) | instid1(SALU_CYCLE_1)
	s_and_b32 s2, vcc_lo, s2
	s_and_saveexec_b32 s3, s2
	s_cbranch_execz .LBB590_10
; %bb.9:
	s_load_b32 s0, s[0:1], 0x50
	s_waitcnt lgkmcnt(0)
	s_delay_alu instid0(VALU_DEP_3) | instskip(SKIP_1) | instid1(VALU_DEP_1)
	v_mul_f64 v[2:3], v[7:8], s[4:5]
	v_ashrrev_i32_e32 v1, 31, v0
	v_lshlrev_b64 v[0:1], 3, v[0:1]
	v_mad_i64_i32 v[4:5], null, s0, v13, 0
	s_delay_alu instid0(VALU_DEP_1) | instskip(NEXT) | instid1(VALU_DEP_1)
	v_lshlrev_b64 v[4:5], 3, v[4:5]
	v_add_co_u32 v4, vcc_lo, s8, v4
	s_delay_alu instid0(VALU_DEP_2) | instskip(NEXT) | instid1(VALU_DEP_2)
	v_add_co_ci_u32_e32 v5, vcc_lo, s9, v5, vcc_lo
	v_add_co_u32 v0, vcc_lo, v4, v0
	s_delay_alu instid0(VALU_DEP_2)
	v_add_co_ci_u32_e32 v1, vcc_lo, v5, v1, vcc_lo
	global_store_b64 v[0:1], v[2:3], off
.LBB590_10:
	s_nop 0
	s_sendmsg sendmsg(MSG_DEALLOC_VGPRS)
	s_endpgm
	.section	.rodata,"a",@progbits
	.p2align	6, 0x0
	.amdhsa_kernel _ZL32rocblas_syrkx_herkx_small_kernelIidLi16ELb1ELb0ELc67ELc76EKPKdKPdEviT_T0_PT6_S5_lS8_S5_lS6_PT7_S5_li
		.amdhsa_group_segment_fixed_size 4096
		.amdhsa_private_segment_fixed_size 0
		.amdhsa_kernarg_size 100
		.amdhsa_user_sgpr_count 13
		.amdhsa_user_sgpr_dispatch_ptr 0
		.amdhsa_user_sgpr_queue_ptr 0
		.amdhsa_user_sgpr_kernarg_segment_ptr 1
		.amdhsa_user_sgpr_dispatch_id 0
		.amdhsa_user_sgpr_private_segment_size 0
		.amdhsa_wavefront_size32 1
		.amdhsa_uses_dynamic_stack 0
		.amdhsa_enable_private_segment 0
		.amdhsa_system_sgpr_workgroup_id_x 1
		.amdhsa_system_sgpr_workgroup_id_y 1
		.amdhsa_system_sgpr_workgroup_id_z 1
		.amdhsa_system_sgpr_workgroup_info 0
		.amdhsa_system_vgpr_workitem_id 1
		.amdhsa_next_free_vgpr 28
		.amdhsa_next_free_sgpr 20
		.amdhsa_reserve_vcc 1
		.amdhsa_float_round_mode_32 0
		.amdhsa_float_round_mode_16_64 0
		.amdhsa_float_denorm_mode_32 3
		.amdhsa_float_denorm_mode_16_64 3
		.amdhsa_dx10_clamp 1
		.amdhsa_ieee_mode 1
		.amdhsa_fp16_overflow 0
		.amdhsa_workgroup_processor_mode 1
		.amdhsa_memory_ordered 1
		.amdhsa_forward_progress 0
		.amdhsa_shared_vgpr_count 0
		.amdhsa_exception_fp_ieee_invalid_op 0
		.amdhsa_exception_fp_denorm_src 0
		.amdhsa_exception_fp_ieee_div_zero 0
		.amdhsa_exception_fp_ieee_overflow 0
		.amdhsa_exception_fp_ieee_underflow 0
		.amdhsa_exception_fp_ieee_inexact 0
		.amdhsa_exception_int_div_zero 0
	.end_amdhsa_kernel
	.section	.text._ZL32rocblas_syrkx_herkx_small_kernelIidLi16ELb1ELb0ELc67ELc76EKPKdKPdEviT_T0_PT6_S5_lS8_S5_lS6_PT7_S5_li,"axG",@progbits,_ZL32rocblas_syrkx_herkx_small_kernelIidLi16ELb1ELb0ELc67ELc76EKPKdKPdEviT_T0_PT6_S5_lS8_S5_lS6_PT7_S5_li,comdat
.Lfunc_end590:
	.size	_ZL32rocblas_syrkx_herkx_small_kernelIidLi16ELb1ELb0ELc67ELc76EKPKdKPdEviT_T0_PT6_S5_lS8_S5_lS6_PT7_S5_li, .Lfunc_end590-_ZL32rocblas_syrkx_herkx_small_kernelIidLi16ELb1ELb0ELc67ELc76EKPKdKPdEviT_T0_PT6_S5_lS8_S5_lS6_PT7_S5_li
                                        ; -- End function
	.section	.AMDGPU.csdata,"",@progbits
; Kernel info:
; codeLenInByte = 1012
; NumSgprs: 22
; NumVgprs: 28
; ScratchSize: 0
; MemoryBound: 0
; FloatMode: 240
; IeeeMode: 1
; LDSByteSize: 4096 bytes/workgroup (compile time only)
; SGPRBlocks: 2
; VGPRBlocks: 3
; NumSGPRsForWavesPerEU: 22
; NumVGPRsForWavesPerEU: 28
; Occupancy: 16
; WaveLimiterHint : 1
; COMPUTE_PGM_RSRC2:SCRATCH_EN: 0
; COMPUTE_PGM_RSRC2:USER_SGPR: 13
; COMPUTE_PGM_RSRC2:TRAP_HANDLER: 0
; COMPUTE_PGM_RSRC2:TGID_X_EN: 1
; COMPUTE_PGM_RSRC2:TGID_Y_EN: 1
; COMPUTE_PGM_RSRC2:TGID_Z_EN: 1
; COMPUTE_PGM_RSRC2:TIDIG_COMP_CNT: 1
	.section	.text._ZL32rocblas_syrkx_herkx_small_kernelIidLi16ELb1ELb0ELc78ELc76EKPKdKPdEviT_T0_PT6_S5_lS8_S5_lS6_PT7_S5_li,"axG",@progbits,_ZL32rocblas_syrkx_herkx_small_kernelIidLi16ELb1ELb0ELc78ELc76EKPKdKPdEviT_T0_PT6_S5_lS8_S5_lS6_PT7_S5_li,comdat
	.globl	_ZL32rocblas_syrkx_herkx_small_kernelIidLi16ELb1ELb0ELc78ELc76EKPKdKPdEviT_T0_PT6_S5_lS8_S5_lS6_PT7_S5_li ; -- Begin function _ZL32rocblas_syrkx_herkx_small_kernelIidLi16ELb1ELb0ELc78ELc76EKPKdKPdEviT_T0_PT6_S5_lS8_S5_lS6_PT7_S5_li
	.p2align	8
	.type	_ZL32rocblas_syrkx_herkx_small_kernelIidLi16ELb1ELb0ELc78ELc76EKPKdKPdEviT_T0_PT6_S5_lS8_S5_lS6_PT7_S5_li,@function
_ZL32rocblas_syrkx_herkx_small_kernelIidLi16ELb1ELb0ELc78ELc76EKPKdKPdEviT_T0_PT6_S5_lS8_S5_lS6_PT7_S5_li: ; @_ZL32rocblas_syrkx_herkx_small_kernelIidLi16ELb1ELb0ELc78ELc76EKPKdKPdEviT_T0_PT6_S5_lS8_S5_lS6_PT7_S5_li
; %bb.0:
	s_clause 0x1
	s_load_b64 s[2:3], s[0:1], 0x48
	s_load_b64 s[16:17], s[0:1], 0x0
	s_mov_b32 s10, s15
	s_mov_b32 s11, 0
	v_and_b32_e32 v15, 0x3ff, v0
	s_lshl_b64 s[18:19], s[10:11], 3
	v_bfe_u32 v16, v0, 10, 10
	s_delay_alu instid0(VALU_DEP_2) | instskip(NEXT) | instid1(VALU_DEP_2)
	v_lshl_add_u32 v0, s13, 4, v15
	v_lshl_add_u32 v2, s14, 4, v16
	s_delay_alu instid0(VALU_DEP_2)
	v_ashrrev_i32_e32 v1, 31, v0
	s_waitcnt lgkmcnt(0)
	s_add_u32 s2, s2, s18
	s_addc_u32 s3, s3, s19
	s_load_b128 s[4:7], s[0:1], 0x8
	s_load_b64 s[8:9], s[2:3], 0x0
	v_cmp_gt_i32_e32 vcc_lo, s16, v0
	s_cmp_lt_i32 s17, 1
	s_cbranch_scc1 .LBB591_7
; %bb.1:
	s_clause 0x2
	s_load_b32 s12, s[0:1], 0x18
	s_load_b32 s14, s[0:1], 0x30
	s_load_b64 s[20:21], s[0:1], 0x28
	v_ashrrev_i32_e32 v3, 31, v2
	v_lshlrev_b64 v[5:6], 3, v[0:1]
	v_lshlrev_b32_e32 v13, 7, v16
	v_cmp_gt_i32_e64 s2, s16, v2
	s_delay_alu instid0(VALU_DEP_4)
	v_lshlrev_b64 v[11:12], 3, v[2:3]
	v_mov_b32_e32 v3, 0
	v_dual_mov_b32 v4, 0 :: v_dual_lshlrev_b32 v17, 3, v15
	v_add_nc_u32_e32 v18, 0x800, v13
	s_waitcnt lgkmcnt(0)
	s_ashr_i32 s13, s12, 31
	s_ashr_i32 s15, s14, 31
	s_add_u32 s20, s20, s18
	s_addc_u32 s21, s21, s19
	v_mad_i64_i32 v[7:8], null, s14, v15, 0
	s_load_b64 s[20:21], s[20:21], 0x0
	s_add_u32 s6, s6, s18
	s_addc_u32 s7, s7, s19
	v_mad_i64_i32 v[9:10], null, s12, v16, 0
	s_load_b64 s[6:7], s[6:7], 0x0
	s_delay_alu instid0(VALU_DEP_2) | instskip(SKIP_1) | instid1(VALU_DEP_2)
	v_lshlrev_b64 v[7:8], 3, v[7:8]
	s_lshl_b64 s[12:13], s[12:13], 7
	v_lshlrev_b64 v[9:10], 3, v[9:10]
	s_delay_alu instid0(VALU_DEP_2) | instskip(NEXT) | instid1(VALU_DEP_1)
	v_add_co_u32 v7, s3, v7, v11
	v_add_co_ci_u32_e64 v8, s3, v8, v12, s3
	s_delay_alu instid0(VALU_DEP_3) | instskip(NEXT) | instid1(VALU_DEP_1)
	v_add_co_u32 v9, s3, v9, v5
	v_add_co_ci_u32_e64 v10, s3, v10, v6, s3
	s_waitcnt lgkmcnt(0)
	v_add_co_u32 v5, s3, s20, v7
	s_delay_alu instid0(VALU_DEP_1) | instskip(SKIP_1) | instid1(VALU_DEP_1)
	v_add_co_ci_u32_e64 v6, s3, s21, v8, s3
	v_add_co_u32 v7, s3, s6, v9
	v_add_co_ci_u32_e64 v8, s3, s7, v10, s3
	v_dual_mov_b32 v10, v4 :: v_dual_mov_b32 v9, v3
	v_add_nc_u32_e32 v19, v17, v13
	v_add_nc_u32_e32 v20, v18, v17
	s_lshl_b64 s[6:7], s[14:15], 7
	s_branch .LBB591_3
.LBB591_2:                              ;   in Loop: Header=BB591_3 Depth=1
	s_or_b32 exec_lo, exec_lo, s3
	s_waitcnt vmcnt(0)
	ds_store_b64 v20, v[13:14]
	s_waitcnt lgkmcnt(0)
	s_barrier
	buffer_gl0_inv
	ds_load_2addr_b64 v[11:14], v17 offset1:16
	ds_load_b128 v[21:24], v18
	ds_load_b128 v[25:28], v18 offset:16
	v_add_co_u32 v5, s3, v5, s6
	s_delay_alu instid0(VALU_DEP_1) | instskip(SKIP_1) | instid1(VALU_DEP_1)
	v_add_co_ci_u32_e64 v6, s3, s7, v6, s3
	v_add_co_u32 v7, s3, v7, s12
	v_add_co_ci_u32_e64 v8, s3, s13, v8, s3
	s_add_i32 s11, s11, 16
	s_delay_alu instid0(SALU_CYCLE_1) | instskip(SKIP_2) | instid1(VALU_DEP_1)
	s_cmp_ge_i32 s11, s17
	s_waitcnt lgkmcnt(1)
	v_fma_f64 v[9:10], v[11:12], v[21:22], v[9:10]
	v_fma_f64 v[13:14], v[13:14], v[23:24], v[9:10]
	ds_load_2addr_b64 v[9:12], v17 offset0:32 offset1:48
	s_waitcnt lgkmcnt(0)
	v_fma_f64 v[9:10], v[9:10], v[25:26], v[13:14]
	s_delay_alu instid0(VALU_DEP_1)
	v_fma_f64 v[13:14], v[11:12], v[27:28], v[9:10]
	ds_load_2addr_b64 v[9:12], v17 offset0:64 offset1:80
	ds_load_b128 v[21:24], v18 offset:32
	ds_load_b128 v[25:28], v18 offset:48
	s_waitcnt lgkmcnt(1)
	v_fma_f64 v[9:10], v[9:10], v[21:22], v[13:14]
	s_delay_alu instid0(VALU_DEP_1) | instskip(SKIP_3) | instid1(VALU_DEP_1)
	v_fma_f64 v[13:14], v[11:12], v[23:24], v[9:10]
	ds_load_2addr_b64 v[9:12], v17 offset0:96 offset1:112
	s_waitcnt lgkmcnt(0)
	v_fma_f64 v[9:10], v[9:10], v[25:26], v[13:14]
	v_fma_f64 v[13:14], v[11:12], v[27:28], v[9:10]
	ds_load_2addr_b64 v[9:12], v17 offset0:128 offset1:144
	ds_load_b128 v[21:24], v18 offset:64
	ds_load_b128 v[25:28], v18 offset:80
	s_waitcnt lgkmcnt(1)
	v_fma_f64 v[9:10], v[9:10], v[21:22], v[13:14]
	s_delay_alu instid0(VALU_DEP_1) | instskip(SKIP_3) | instid1(VALU_DEP_1)
	v_fma_f64 v[13:14], v[11:12], v[23:24], v[9:10]
	ds_load_2addr_b64 v[9:12], v17 offset0:160 offset1:176
	s_waitcnt lgkmcnt(0)
	v_fma_f64 v[9:10], v[9:10], v[25:26], v[13:14]
	v_fma_f64 v[13:14], v[11:12], v[27:28], v[9:10]
	ds_load_2addr_b64 v[9:12], v17 offset0:192 offset1:208
	ds_load_b128 v[21:24], v18 offset:96
	ds_load_b128 v[25:28], v18 offset:112
	s_waitcnt lgkmcnt(1)
	v_fma_f64 v[9:10], v[9:10], v[21:22], v[13:14]
	s_delay_alu instid0(VALU_DEP_1)
	v_fma_f64 v[13:14], v[11:12], v[23:24], v[9:10]
	ds_load_2addr_b64 v[9:12], v17 offset0:224 offset1:240
	s_waitcnt lgkmcnt(0)
	s_barrier
	buffer_gl0_inv
	v_fma_f64 v[9:10], v[9:10], v[25:26], v[13:14]
	s_delay_alu instid0(VALU_DEP_1)
	v_fma_f64 v[9:10], v[11:12], v[27:28], v[9:10]
	s_cbranch_scc1 .LBB591_8
.LBB591_3:                              ; =>This Inner Loop Header: Depth=1
	v_add_nc_u32_e32 v11, s11, v16
	s_delay_alu instid0(VALU_DEP_1) | instskip(SKIP_1) | instid1(VALU_DEP_2)
	v_cmp_gt_i32_e64 s3, s17, v11
	v_dual_mov_b32 v12, v4 :: v_dual_mov_b32 v11, v3
	s_and_b32 s10, vcc_lo, s3
	s_delay_alu instid0(SALU_CYCLE_1)
	s_and_saveexec_b32 s3, s10
	s_cbranch_execz .LBB591_5
; %bb.4:                                ;   in Loop: Header=BB591_3 Depth=1
	global_load_b64 v[11:12], v[7:8], off
.LBB591_5:                              ;   in Loop: Header=BB591_3 Depth=1
	s_or_b32 exec_lo, exec_lo, s3
	v_add_nc_u32_e32 v13, s11, v15
	s_waitcnt vmcnt(0)
	ds_store_b64 v19, v[11:12]
	v_cmp_gt_i32_e64 s3, s17, v13
	v_mov_b32_e32 v13, 0
	v_mov_b32_e32 v14, 0
	s_delay_alu instid0(VALU_DEP_3) | instskip(NEXT) | instid1(SALU_CYCLE_1)
	s_and_b32 s10, s2, s3
	s_and_saveexec_b32 s3, s10
	s_cbranch_execz .LBB591_2
; %bb.6:                                ;   in Loop: Header=BB591_3 Depth=1
	global_load_b64 v[13:14], v[5:6], off
	s_branch .LBB591_2
.LBB591_7:
	v_mov_b32_e32 v9, 0
	v_mov_b32_e32 v10, 0
.LBB591_8:
	v_cmp_le_i32_e32 vcc_lo, v2, v0
	v_cmp_gt_i32_e64 s2, s16, v0
	s_delay_alu instid0(VALU_DEP_1) | instskip(NEXT) | instid1(SALU_CYCLE_1)
	s_and_b32 s2, vcc_lo, s2
	s_and_saveexec_b32 s3, s2
	s_cbranch_execz .LBB591_10
; %bb.9:
	s_load_b32 s0, s[0:1], 0x50
	s_waitcnt lgkmcnt(0)
	s_delay_alu instid0(VALU_DEP_3) | instskip(SKIP_2) | instid1(VALU_DEP_1)
	v_mul_f64 v[3:4], v[9:10], s[4:5]
	v_lshlrev_b64 v[0:1], 3, v[0:1]
	v_mad_i64_i32 v[5:6], null, s0, v2, 0
	v_lshlrev_b64 v[5:6], 3, v[5:6]
	s_delay_alu instid0(VALU_DEP_1) | instskip(NEXT) | instid1(VALU_DEP_2)
	v_add_co_u32 v2, vcc_lo, s8, v5
	v_add_co_ci_u32_e32 v5, vcc_lo, s9, v6, vcc_lo
	s_delay_alu instid0(VALU_DEP_2) | instskip(NEXT) | instid1(VALU_DEP_2)
	v_add_co_u32 v0, vcc_lo, v2, v0
	v_add_co_ci_u32_e32 v1, vcc_lo, v5, v1, vcc_lo
	global_store_b64 v[0:1], v[3:4], off
.LBB591_10:
	s_nop 0
	s_sendmsg sendmsg(MSG_DEALLOC_VGPRS)
	s_endpgm
	.section	.rodata,"a",@progbits
	.p2align	6, 0x0
	.amdhsa_kernel _ZL32rocblas_syrkx_herkx_small_kernelIidLi16ELb1ELb0ELc78ELc76EKPKdKPdEviT_T0_PT6_S5_lS8_S5_lS6_PT7_S5_li
		.amdhsa_group_segment_fixed_size 4096
		.amdhsa_private_segment_fixed_size 0
		.amdhsa_kernarg_size 100
		.amdhsa_user_sgpr_count 13
		.amdhsa_user_sgpr_dispatch_ptr 0
		.amdhsa_user_sgpr_queue_ptr 0
		.amdhsa_user_sgpr_kernarg_segment_ptr 1
		.amdhsa_user_sgpr_dispatch_id 0
		.amdhsa_user_sgpr_private_segment_size 0
		.amdhsa_wavefront_size32 1
		.amdhsa_uses_dynamic_stack 0
		.amdhsa_enable_private_segment 0
		.amdhsa_system_sgpr_workgroup_id_x 1
		.amdhsa_system_sgpr_workgroup_id_y 1
		.amdhsa_system_sgpr_workgroup_id_z 1
		.amdhsa_system_sgpr_workgroup_info 0
		.amdhsa_system_vgpr_workitem_id 1
		.amdhsa_next_free_vgpr 29
		.amdhsa_next_free_sgpr 22
		.amdhsa_reserve_vcc 1
		.amdhsa_float_round_mode_32 0
		.amdhsa_float_round_mode_16_64 0
		.amdhsa_float_denorm_mode_32 3
		.amdhsa_float_denorm_mode_16_64 3
		.amdhsa_dx10_clamp 1
		.amdhsa_ieee_mode 1
		.amdhsa_fp16_overflow 0
		.amdhsa_workgroup_processor_mode 1
		.amdhsa_memory_ordered 1
		.amdhsa_forward_progress 0
		.amdhsa_shared_vgpr_count 0
		.amdhsa_exception_fp_ieee_invalid_op 0
		.amdhsa_exception_fp_denorm_src 0
		.amdhsa_exception_fp_ieee_div_zero 0
		.amdhsa_exception_fp_ieee_overflow 0
		.amdhsa_exception_fp_ieee_underflow 0
		.amdhsa_exception_fp_ieee_inexact 0
		.amdhsa_exception_int_div_zero 0
	.end_amdhsa_kernel
	.section	.text._ZL32rocblas_syrkx_herkx_small_kernelIidLi16ELb1ELb0ELc78ELc76EKPKdKPdEviT_T0_PT6_S5_lS8_S5_lS6_PT7_S5_li,"axG",@progbits,_ZL32rocblas_syrkx_herkx_small_kernelIidLi16ELb1ELb0ELc78ELc76EKPKdKPdEviT_T0_PT6_S5_lS8_S5_lS6_PT7_S5_li,comdat
.Lfunc_end591:
	.size	_ZL32rocblas_syrkx_herkx_small_kernelIidLi16ELb1ELb0ELc78ELc76EKPKdKPdEviT_T0_PT6_S5_lS8_S5_lS6_PT7_S5_li, .Lfunc_end591-_ZL32rocblas_syrkx_herkx_small_kernelIidLi16ELb1ELb0ELc78ELc76EKPKdKPdEviT_T0_PT6_S5_lS8_S5_lS6_PT7_S5_li
                                        ; -- End function
	.section	.AMDGPU.csdata,"",@progbits
; Kernel info:
; codeLenInByte = 1040
; NumSgprs: 24
; NumVgprs: 29
; ScratchSize: 0
; MemoryBound: 0
; FloatMode: 240
; IeeeMode: 1
; LDSByteSize: 4096 bytes/workgroup (compile time only)
; SGPRBlocks: 2
; VGPRBlocks: 3
; NumSGPRsForWavesPerEU: 24
; NumVGPRsForWavesPerEU: 29
; Occupancy: 16
; WaveLimiterHint : 1
; COMPUTE_PGM_RSRC2:SCRATCH_EN: 0
; COMPUTE_PGM_RSRC2:USER_SGPR: 13
; COMPUTE_PGM_RSRC2:TRAP_HANDLER: 0
; COMPUTE_PGM_RSRC2:TGID_X_EN: 1
; COMPUTE_PGM_RSRC2:TGID_Y_EN: 1
; COMPUTE_PGM_RSRC2:TGID_Z_EN: 1
; COMPUTE_PGM_RSRC2:TIDIG_COMP_CNT: 1
	.section	.text._ZL32rocblas_syrkx_herkx_small_kernelIidLi16ELb1ELb0ELc84ELc85EKPKdKPdEviT_T0_PT6_S5_lS8_S5_lS6_PT7_S5_li,"axG",@progbits,_ZL32rocblas_syrkx_herkx_small_kernelIidLi16ELb1ELb0ELc84ELc85EKPKdKPdEviT_T0_PT6_S5_lS8_S5_lS6_PT7_S5_li,comdat
	.globl	_ZL32rocblas_syrkx_herkx_small_kernelIidLi16ELb1ELb0ELc84ELc85EKPKdKPdEviT_T0_PT6_S5_lS8_S5_lS6_PT7_S5_li ; -- Begin function _ZL32rocblas_syrkx_herkx_small_kernelIidLi16ELb1ELb0ELc84ELc85EKPKdKPdEviT_T0_PT6_S5_lS8_S5_lS6_PT7_S5_li
	.p2align	8
	.type	_ZL32rocblas_syrkx_herkx_small_kernelIidLi16ELb1ELb0ELc84ELc85EKPKdKPdEviT_T0_PT6_S5_lS8_S5_lS6_PT7_S5_li,@function
_ZL32rocblas_syrkx_herkx_small_kernelIidLi16ELb1ELb0ELc84ELc85EKPKdKPdEviT_T0_PT6_S5_lS8_S5_lS6_PT7_S5_li: ; @_ZL32rocblas_syrkx_herkx_small_kernelIidLi16ELb1ELb0ELc84ELc85EKPKdKPdEviT_T0_PT6_S5_lS8_S5_lS6_PT7_S5_li
; %bb.0:
	s_clause 0x1
	s_load_b64 s[2:3], s[0:1], 0x48
	s_load_b64 s[16:17], s[0:1], 0x0
	s_mov_b32 s10, s15
	s_mov_b32 s11, 0
	v_bfe_u32 v14, v0, 10, 10
	s_lshl_b64 s[18:19], s[10:11], 3
	v_and_b32_e32 v15, 0x3ff, v0
	s_delay_alu instid0(VALU_DEP_2) | instskip(NEXT) | instid1(VALU_DEP_2)
	v_lshl_add_u32 v13, s14, 4, v14
	v_lshl_add_u32 v0, s13, 4, v15
	s_waitcnt lgkmcnt(0)
	s_add_u32 s2, s2, s18
	s_addc_u32 s3, s3, s19
	s_load_b128 s[4:7], s[0:1], 0x8
	s_load_b64 s[8:9], s[2:3], 0x0
	v_cmp_gt_i32_e32 vcc_lo, s16, v13
	s_cmp_lt_i32 s17, 1
	s_cbranch_scc1 .LBB592_7
; %bb.1:
	s_clause 0x2
	s_load_b64 s[12:13], s[0:1], 0x28
	s_load_b32 s3, s[0:1], 0x30
	s_load_b32 s10, s[0:1], 0x18
	v_lshlrev_b32_e32 v16, 3, v15
	v_lshlrev_b32_e32 v7, 7, v14
	v_cmp_gt_i32_e64 s2, s16, v0
	s_waitcnt lgkmcnt(0)
	s_add_u32 s12, s12, s18
	s_addc_u32 s13, s13, s19
	v_mad_i64_i32 v[1:2], null, s3, v13, 0
	s_load_b64 s[12:13], s[12:13], 0x0
	s_add_u32 s6, s6, s18
	s_addc_u32 s7, s7, s19
	v_mad_i64_i32 v[3:4], null, s10, v0, 0
	s_load_b64 s[6:7], s[6:7], 0x0
	s_delay_alu instid0(VALU_DEP_2)
	v_lshlrev_b64 v[5:6], 3, v[1:2]
	v_mov_b32_e32 v1, 0
	v_mov_b32_e32 v2, 0
	v_lshlrev_b32_e32 v8, 3, v14
	v_add_nc_u32_e32 v17, 0x800, v7
	v_lshlrev_b64 v[3:4], 3, v[3:4]
	v_add_co_u32 v5, s3, v5, v16
	s_delay_alu instid0(VALU_DEP_1) | instskip(SKIP_1) | instid1(VALU_DEP_4)
	v_add_co_ci_u32_e64 v6, s3, 0, v6, s3
	v_add_nc_u32_e32 v18, v16, v7
	v_add_co_u32 v7, s3, v3, v8
	s_delay_alu instid0(VALU_DEP_1) | instskip(SKIP_2) | instid1(VALU_DEP_1)
	v_add_co_ci_u32_e64 v8, s3, 0, v4, s3
	s_waitcnt lgkmcnt(0)
	v_add_co_u32 v3, s3, s12, v5
	v_add_co_ci_u32_e64 v4, s3, s13, v6, s3
	v_add_co_u32 v5, s3, s6, v7
	s_delay_alu instid0(VALU_DEP_1)
	v_add_co_ci_u32_e64 v6, s3, s7, v8, s3
	v_dual_mov_b32 v8, v2 :: v_dual_add_nc_u32 v19, v17, v16
	v_mov_b32_e32 v7, v1
	s_branch .LBB592_3
.LBB592_2:                              ;   in Loop: Header=BB592_3 Depth=1
	s_or_b32 exec_lo, exec_lo, s3
	s_waitcnt vmcnt(0)
	ds_store_b64 v19, v[11:12]
	s_waitcnt lgkmcnt(0)
	s_barrier
	buffer_gl0_inv
	ds_load_2addr_b64 v[9:12], v16 offset1:16
	ds_load_b128 v[20:23], v17
	ds_load_b128 v[24:27], v17 offset:16
	v_add_co_u32 v3, s3, 0x80, v3
	s_delay_alu instid0(VALU_DEP_1) | instskip(SKIP_1) | instid1(VALU_DEP_1)
	v_add_co_ci_u32_e64 v4, s3, 0, v4, s3
	v_add_co_u32 v5, s3, 0x80, v5
	v_add_co_ci_u32_e64 v6, s3, 0, v6, s3
	s_add_i32 s11, s11, 16
	s_delay_alu instid0(SALU_CYCLE_1) | instskip(SKIP_2) | instid1(VALU_DEP_1)
	s_cmp_ge_i32 s11, s17
	s_waitcnt lgkmcnt(1)
	v_fma_f64 v[7:8], v[9:10], v[20:21], v[7:8]
	v_fma_f64 v[11:12], v[11:12], v[22:23], v[7:8]
	ds_load_2addr_b64 v[7:10], v16 offset0:32 offset1:48
	s_waitcnt lgkmcnt(0)
	v_fma_f64 v[7:8], v[7:8], v[24:25], v[11:12]
	s_delay_alu instid0(VALU_DEP_1)
	v_fma_f64 v[11:12], v[9:10], v[26:27], v[7:8]
	ds_load_2addr_b64 v[7:10], v16 offset0:64 offset1:80
	ds_load_b128 v[20:23], v17 offset:32
	ds_load_b128 v[24:27], v17 offset:48
	s_waitcnt lgkmcnt(1)
	v_fma_f64 v[7:8], v[7:8], v[20:21], v[11:12]
	s_delay_alu instid0(VALU_DEP_1) | instskip(SKIP_3) | instid1(VALU_DEP_1)
	v_fma_f64 v[11:12], v[9:10], v[22:23], v[7:8]
	ds_load_2addr_b64 v[7:10], v16 offset0:96 offset1:112
	s_waitcnt lgkmcnt(0)
	v_fma_f64 v[7:8], v[7:8], v[24:25], v[11:12]
	v_fma_f64 v[11:12], v[9:10], v[26:27], v[7:8]
	ds_load_2addr_b64 v[7:10], v16 offset0:128 offset1:144
	ds_load_b128 v[20:23], v17 offset:64
	ds_load_b128 v[24:27], v17 offset:80
	s_waitcnt lgkmcnt(1)
	v_fma_f64 v[7:8], v[7:8], v[20:21], v[11:12]
	s_delay_alu instid0(VALU_DEP_1) | instskip(SKIP_3) | instid1(VALU_DEP_1)
	v_fma_f64 v[11:12], v[9:10], v[22:23], v[7:8]
	ds_load_2addr_b64 v[7:10], v16 offset0:160 offset1:176
	s_waitcnt lgkmcnt(0)
	v_fma_f64 v[7:8], v[7:8], v[24:25], v[11:12]
	v_fma_f64 v[11:12], v[9:10], v[26:27], v[7:8]
	ds_load_2addr_b64 v[7:10], v16 offset0:192 offset1:208
	ds_load_b128 v[20:23], v17 offset:96
	ds_load_b128 v[24:27], v17 offset:112
	s_waitcnt lgkmcnt(1)
	v_fma_f64 v[7:8], v[7:8], v[20:21], v[11:12]
	s_delay_alu instid0(VALU_DEP_1)
	v_fma_f64 v[11:12], v[9:10], v[22:23], v[7:8]
	ds_load_2addr_b64 v[7:10], v16 offset0:224 offset1:240
	s_waitcnt lgkmcnt(0)
	s_barrier
	buffer_gl0_inv
	v_fma_f64 v[7:8], v[7:8], v[24:25], v[11:12]
	s_delay_alu instid0(VALU_DEP_1)
	v_fma_f64 v[7:8], v[9:10], v[26:27], v[7:8]
	s_cbranch_scc1 .LBB592_8
.LBB592_3:                              ; =>This Inner Loop Header: Depth=1
	v_add_nc_u32_e32 v9, s11, v14
	s_delay_alu instid0(VALU_DEP_1) | instskip(SKIP_1) | instid1(VALU_DEP_2)
	v_cmp_gt_i32_e64 s3, s17, v9
	v_dual_mov_b32 v10, v2 :: v_dual_mov_b32 v9, v1
	s_and_b32 s6, s2, s3
	s_delay_alu instid0(SALU_CYCLE_1)
	s_and_saveexec_b32 s3, s6
	s_cbranch_execz .LBB592_5
; %bb.4:                                ;   in Loop: Header=BB592_3 Depth=1
	global_load_b64 v[9:10], v[5:6], off
.LBB592_5:                              ;   in Loop: Header=BB592_3 Depth=1
	s_or_b32 exec_lo, exec_lo, s3
	v_add_nc_u32_e32 v11, s11, v15
	s_waitcnt vmcnt(0)
	ds_store_b64 v18, v[9:10]
	v_cmp_gt_i32_e64 s3, s17, v11
	v_mov_b32_e32 v11, 0
	v_mov_b32_e32 v12, 0
	s_delay_alu instid0(VALU_DEP_3) | instskip(NEXT) | instid1(SALU_CYCLE_1)
	s_and_b32 s6, vcc_lo, s3
	s_and_saveexec_b32 s3, s6
	s_cbranch_execz .LBB592_2
; %bb.6:                                ;   in Loop: Header=BB592_3 Depth=1
	global_load_b64 v[11:12], v[3:4], off
	s_branch .LBB592_2
.LBB592_7:
	v_mov_b32_e32 v7, 0
	v_mov_b32_e32 v8, 0
.LBB592_8:
	v_cmp_le_i32_e32 vcc_lo, v0, v13
	v_cmp_gt_i32_e64 s2, s16, v13
	s_delay_alu instid0(VALU_DEP_1) | instskip(NEXT) | instid1(SALU_CYCLE_1)
	s_and_b32 s2, vcc_lo, s2
	s_and_saveexec_b32 s3, s2
	s_cbranch_execz .LBB592_10
; %bb.9:
	s_load_b32 s0, s[0:1], 0x50
	s_waitcnt lgkmcnt(0)
	s_delay_alu instid0(VALU_DEP_3) | instskip(SKIP_1) | instid1(VALU_DEP_1)
	v_mul_f64 v[2:3], v[7:8], s[4:5]
	v_ashrrev_i32_e32 v1, 31, v0
	v_lshlrev_b64 v[0:1], 3, v[0:1]
	v_mad_i64_i32 v[4:5], null, s0, v13, 0
	s_delay_alu instid0(VALU_DEP_1) | instskip(NEXT) | instid1(VALU_DEP_1)
	v_lshlrev_b64 v[4:5], 3, v[4:5]
	v_add_co_u32 v4, vcc_lo, s8, v4
	s_delay_alu instid0(VALU_DEP_2) | instskip(NEXT) | instid1(VALU_DEP_2)
	v_add_co_ci_u32_e32 v5, vcc_lo, s9, v5, vcc_lo
	v_add_co_u32 v0, vcc_lo, v4, v0
	s_delay_alu instid0(VALU_DEP_2)
	v_add_co_ci_u32_e32 v1, vcc_lo, v5, v1, vcc_lo
	global_store_b64 v[0:1], v[2:3], off
.LBB592_10:
	s_nop 0
	s_sendmsg sendmsg(MSG_DEALLOC_VGPRS)
	s_endpgm
	.section	.rodata,"a",@progbits
	.p2align	6, 0x0
	.amdhsa_kernel _ZL32rocblas_syrkx_herkx_small_kernelIidLi16ELb1ELb0ELc84ELc85EKPKdKPdEviT_T0_PT6_S5_lS8_S5_lS6_PT7_S5_li
		.amdhsa_group_segment_fixed_size 4096
		.amdhsa_private_segment_fixed_size 0
		.amdhsa_kernarg_size 100
		.amdhsa_user_sgpr_count 13
		.amdhsa_user_sgpr_dispatch_ptr 0
		.amdhsa_user_sgpr_queue_ptr 0
		.amdhsa_user_sgpr_kernarg_segment_ptr 1
		.amdhsa_user_sgpr_dispatch_id 0
		.amdhsa_user_sgpr_private_segment_size 0
		.amdhsa_wavefront_size32 1
		.amdhsa_uses_dynamic_stack 0
		.amdhsa_enable_private_segment 0
		.amdhsa_system_sgpr_workgroup_id_x 1
		.amdhsa_system_sgpr_workgroup_id_y 1
		.amdhsa_system_sgpr_workgroup_id_z 1
		.amdhsa_system_sgpr_workgroup_info 0
		.amdhsa_system_vgpr_workitem_id 1
		.amdhsa_next_free_vgpr 28
		.amdhsa_next_free_sgpr 20
		.amdhsa_reserve_vcc 1
		.amdhsa_float_round_mode_32 0
		.amdhsa_float_round_mode_16_64 0
		.amdhsa_float_denorm_mode_32 3
		.amdhsa_float_denorm_mode_16_64 3
		.amdhsa_dx10_clamp 1
		.amdhsa_ieee_mode 1
		.amdhsa_fp16_overflow 0
		.amdhsa_workgroup_processor_mode 1
		.amdhsa_memory_ordered 1
		.amdhsa_forward_progress 0
		.amdhsa_shared_vgpr_count 0
		.amdhsa_exception_fp_ieee_invalid_op 0
		.amdhsa_exception_fp_denorm_src 0
		.amdhsa_exception_fp_ieee_div_zero 0
		.amdhsa_exception_fp_ieee_overflow 0
		.amdhsa_exception_fp_ieee_underflow 0
		.amdhsa_exception_fp_ieee_inexact 0
		.amdhsa_exception_int_div_zero 0
	.end_amdhsa_kernel
	.section	.text._ZL32rocblas_syrkx_herkx_small_kernelIidLi16ELb1ELb0ELc84ELc85EKPKdKPdEviT_T0_PT6_S5_lS8_S5_lS6_PT7_S5_li,"axG",@progbits,_ZL32rocblas_syrkx_herkx_small_kernelIidLi16ELb1ELb0ELc84ELc85EKPKdKPdEviT_T0_PT6_S5_lS8_S5_lS6_PT7_S5_li,comdat
.Lfunc_end592:
	.size	_ZL32rocblas_syrkx_herkx_small_kernelIidLi16ELb1ELb0ELc84ELc85EKPKdKPdEviT_T0_PT6_S5_lS8_S5_lS6_PT7_S5_li, .Lfunc_end592-_ZL32rocblas_syrkx_herkx_small_kernelIidLi16ELb1ELb0ELc84ELc85EKPKdKPdEviT_T0_PT6_S5_lS8_S5_lS6_PT7_S5_li
                                        ; -- End function
	.section	.AMDGPU.csdata,"",@progbits
; Kernel info:
; codeLenInByte = 1012
; NumSgprs: 22
; NumVgprs: 28
; ScratchSize: 0
; MemoryBound: 0
; FloatMode: 240
; IeeeMode: 1
; LDSByteSize: 4096 bytes/workgroup (compile time only)
; SGPRBlocks: 2
; VGPRBlocks: 3
; NumSGPRsForWavesPerEU: 22
; NumVGPRsForWavesPerEU: 28
; Occupancy: 16
; WaveLimiterHint : 1
; COMPUTE_PGM_RSRC2:SCRATCH_EN: 0
; COMPUTE_PGM_RSRC2:USER_SGPR: 13
; COMPUTE_PGM_RSRC2:TRAP_HANDLER: 0
; COMPUTE_PGM_RSRC2:TGID_X_EN: 1
; COMPUTE_PGM_RSRC2:TGID_Y_EN: 1
; COMPUTE_PGM_RSRC2:TGID_Z_EN: 1
; COMPUTE_PGM_RSRC2:TIDIG_COMP_CNT: 1
	.section	.text._ZL32rocblas_syrkx_herkx_small_kernelIidLi16ELb1ELb0ELc67ELc85EKPKdKPdEviT_T0_PT6_S5_lS8_S5_lS6_PT7_S5_li,"axG",@progbits,_ZL32rocblas_syrkx_herkx_small_kernelIidLi16ELb1ELb0ELc67ELc85EKPKdKPdEviT_T0_PT6_S5_lS8_S5_lS6_PT7_S5_li,comdat
	.globl	_ZL32rocblas_syrkx_herkx_small_kernelIidLi16ELb1ELb0ELc67ELc85EKPKdKPdEviT_T0_PT6_S5_lS8_S5_lS6_PT7_S5_li ; -- Begin function _ZL32rocblas_syrkx_herkx_small_kernelIidLi16ELb1ELb0ELc67ELc85EKPKdKPdEviT_T0_PT6_S5_lS8_S5_lS6_PT7_S5_li
	.p2align	8
	.type	_ZL32rocblas_syrkx_herkx_small_kernelIidLi16ELb1ELb0ELc67ELc85EKPKdKPdEviT_T0_PT6_S5_lS8_S5_lS6_PT7_S5_li,@function
_ZL32rocblas_syrkx_herkx_small_kernelIidLi16ELb1ELb0ELc67ELc85EKPKdKPdEviT_T0_PT6_S5_lS8_S5_lS6_PT7_S5_li: ; @_ZL32rocblas_syrkx_herkx_small_kernelIidLi16ELb1ELb0ELc67ELc85EKPKdKPdEviT_T0_PT6_S5_lS8_S5_lS6_PT7_S5_li
; %bb.0:
	s_clause 0x1
	s_load_b64 s[2:3], s[0:1], 0x48
	s_load_b64 s[16:17], s[0:1], 0x0
	s_mov_b32 s10, s15
	s_mov_b32 s11, 0
	v_bfe_u32 v14, v0, 10, 10
	s_lshl_b64 s[18:19], s[10:11], 3
	v_and_b32_e32 v15, 0x3ff, v0
	s_delay_alu instid0(VALU_DEP_2) | instskip(NEXT) | instid1(VALU_DEP_2)
	v_lshl_add_u32 v13, s14, 4, v14
	v_lshl_add_u32 v0, s13, 4, v15
	s_waitcnt lgkmcnt(0)
	s_add_u32 s2, s2, s18
	s_addc_u32 s3, s3, s19
	s_load_b128 s[4:7], s[0:1], 0x8
	s_load_b64 s[8:9], s[2:3], 0x0
	v_cmp_gt_i32_e32 vcc_lo, s16, v13
	s_cmp_lt_i32 s17, 1
	s_cbranch_scc1 .LBB593_7
; %bb.1:
	s_clause 0x2
	s_load_b64 s[12:13], s[0:1], 0x28
	s_load_b32 s3, s[0:1], 0x30
	s_load_b32 s10, s[0:1], 0x18
	v_lshlrev_b32_e32 v16, 3, v15
	v_lshlrev_b32_e32 v7, 7, v14
	v_cmp_gt_i32_e64 s2, s16, v0
	s_waitcnt lgkmcnt(0)
	s_add_u32 s12, s12, s18
	s_addc_u32 s13, s13, s19
	v_mad_i64_i32 v[1:2], null, s3, v13, 0
	s_load_b64 s[12:13], s[12:13], 0x0
	s_add_u32 s6, s6, s18
	s_addc_u32 s7, s7, s19
	v_mad_i64_i32 v[3:4], null, s10, v0, 0
	s_load_b64 s[6:7], s[6:7], 0x0
	s_delay_alu instid0(VALU_DEP_2)
	v_lshlrev_b64 v[5:6], 3, v[1:2]
	v_mov_b32_e32 v1, 0
	v_mov_b32_e32 v2, 0
	v_lshlrev_b32_e32 v8, 3, v14
	v_add_nc_u32_e32 v17, 0x800, v7
	v_lshlrev_b64 v[3:4], 3, v[3:4]
	v_add_co_u32 v5, s3, v5, v16
	s_delay_alu instid0(VALU_DEP_1) | instskip(SKIP_1) | instid1(VALU_DEP_4)
	v_add_co_ci_u32_e64 v6, s3, 0, v6, s3
	v_add_nc_u32_e32 v18, v16, v7
	v_add_co_u32 v7, s3, v3, v8
	s_delay_alu instid0(VALU_DEP_1) | instskip(SKIP_2) | instid1(VALU_DEP_1)
	v_add_co_ci_u32_e64 v8, s3, 0, v4, s3
	s_waitcnt lgkmcnt(0)
	v_add_co_u32 v3, s3, s12, v5
	v_add_co_ci_u32_e64 v4, s3, s13, v6, s3
	v_add_co_u32 v5, s3, s6, v7
	s_delay_alu instid0(VALU_DEP_1)
	v_add_co_ci_u32_e64 v6, s3, s7, v8, s3
	v_dual_mov_b32 v8, v2 :: v_dual_add_nc_u32 v19, v17, v16
	v_mov_b32_e32 v7, v1
	s_branch .LBB593_3
.LBB593_2:                              ;   in Loop: Header=BB593_3 Depth=1
	s_or_b32 exec_lo, exec_lo, s3
	s_waitcnt vmcnt(0)
	ds_store_b64 v19, v[11:12]
	s_waitcnt lgkmcnt(0)
	s_barrier
	buffer_gl0_inv
	ds_load_2addr_b64 v[9:12], v16 offset1:16
	ds_load_b128 v[20:23], v17
	ds_load_b128 v[24:27], v17 offset:16
	v_add_co_u32 v3, s3, 0x80, v3
	s_delay_alu instid0(VALU_DEP_1) | instskip(SKIP_1) | instid1(VALU_DEP_1)
	v_add_co_ci_u32_e64 v4, s3, 0, v4, s3
	v_add_co_u32 v5, s3, 0x80, v5
	v_add_co_ci_u32_e64 v6, s3, 0, v6, s3
	s_add_i32 s11, s11, 16
	s_delay_alu instid0(SALU_CYCLE_1) | instskip(SKIP_2) | instid1(VALU_DEP_1)
	s_cmp_ge_i32 s11, s17
	s_waitcnt lgkmcnt(1)
	v_fma_f64 v[7:8], v[9:10], v[20:21], v[7:8]
	v_fma_f64 v[11:12], v[11:12], v[22:23], v[7:8]
	ds_load_2addr_b64 v[7:10], v16 offset0:32 offset1:48
	s_waitcnt lgkmcnt(0)
	v_fma_f64 v[7:8], v[7:8], v[24:25], v[11:12]
	s_delay_alu instid0(VALU_DEP_1)
	v_fma_f64 v[11:12], v[9:10], v[26:27], v[7:8]
	ds_load_2addr_b64 v[7:10], v16 offset0:64 offset1:80
	ds_load_b128 v[20:23], v17 offset:32
	ds_load_b128 v[24:27], v17 offset:48
	s_waitcnt lgkmcnt(1)
	v_fma_f64 v[7:8], v[7:8], v[20:21], v[11:12]
	s_delay_alu instid0(VALU_DEP_1) | instskip(SKIP_3) | instid1(VALU_DEP_1)
	v_fma_f64 v[11:12], v[9:10], v[22:23], v[7:8]
	ds_load_2addr_b64 v[7:10], v16 offset0:96 offset1:112
	s_waitcnt lgkmcnt(0)
	v_fma_f64 v[7:8], v[7:8], v[24:25], v[11:12]
	v_fma_f64 v[11:12], v[9:10], v[26:27], v[7:8]
	ds_load_2addr_b64 v[7:10], v16 offset0:128 offset1:144
	ds_load_b128 v[20:23], v17 offset:64
	ds_load_b128 v[24:27], v17 offset:80
	s_waitcnt lgkmcnt(1)
	v_fma_f64 v[7:8], v[7:8], v[20:21], v[11:12]
	s_delay_alu instid0(VALU_DEP_1) | instskip(SKIP_3) | instid1(VALU_DEP_1)
	v_fma_f64 v[11:12], v[9:10], v[22:23], v[7:8]
	ds_load_2addr_b64 v[7:10], v16 offset0:160 offset1:176
	s_waitcnt lgkmcnt(0)
	v_fma_f64 v[7:8], v[7:8], v[24:25], v[11:12]
	v_fma_f64 v[11:12], v[9:10], v[26:27], v[7:8]
	ds_load_2addr_b64 v[7:10], v16 offset0:192 offset1:208
	ds_load_b128 v[20:23], v17 offset:96
	ds_load_b128 v[24:27], v17 offset:112
	s_waitcnt lgkmcnt(1)
	v_fma_f64 v[7:8], v[7:8], v[20:21], v[11:12]
	s_delay_alu instid0(VALU_DEP_1)
	v_fma_f64 v[11:12], v[9:10], v[22:23], v[7:8]
	ds_load_2addr_b64 v[7:10], v16 offset0:224 offset1:240
	s_waitcnt lgkmcnt(0)
	s_barrier
	buffer_gl0_inv
	v_fma_f64 v[7:8], v[7:8], v[24:25], v[11:12]
	s_delay_alu instid0(VALU_DEP_1)
	v_fma_f64 v[7:8], v[9:10], v[26:27], v[7:8]
	s_cbranch_scc1 .LBB593_8
.LBB593_3:                              ; =>This Inner Loop Header: Depth=1
	v_add_nc_u32_e32 v9, s11, v14
	s_delay_alu instid0(VALU_DEP_1) | instskip(SKIP_1) | instid1(VALU_DEP_2)
	v_cmp_gt_i32_e64 s3, s17, v9
	v_dual_mov_b32 v10, v2 :: v_dual_mov_b32 v9, v1
	s_and_b32 s6, s2, s3
	s_delay_alu instid0(SALU_CYCLE_1)
	s_and_saveexec_b32 s3, s6
	s_cbranch_execz .LBB593_5
; %bb.4:                                ;   in Loop: Header=BB593_3 Depth=1
	global_load_b64 v[9:10], v[5:6], off
.LBB593_5:                              ;   in Loop: Header=BB593_3 Depth=1
	s_or_b32 exec_lo, exec_lo, s3
	v_add_nc_u32_e32 v11, s11, v15
	s_waitcnt vmcnt(0)
	ds_store_b64 v18, v[9:10]
	v_cmp_gt_i32_e64 s3, s17, v11
	v_mov_b32_e32 v11, 0
	v_mov_b32_e32 v12, 0
	s_delay_alu instid0(VALU_DEP_3) | instskip(NEXT) | instid1(SALU_CYCLE_1)
	s_and_b32 s6, vcc_lo, s3
	s_and_saveexec_b32 s3, s6
	s_cbranch_execz .LBB593_2
; %bb.6:                                ;   in Loop: Header=BB593_3 Depth=1
	global_load_b64 v[11:12], v[3:4], off
	s_branch .LBB593_2
.LBB593_7:
	v_mov_b32_e32 v7, 0
	v_mov_b32_e32 v8, 0
.LBB593_8:
	v_cmp_le_i32_e32 vcc_lo, v0, v13
	v_cmp_gt_i32_e64 s2, s16, v13
	s_delay_alu instid0(VALU_DEP_1) | instskip(NEXT) | instid1(SALU_CYCLE_1)
	s_and_b32 s2, vcc_lo, s2
	s_and_saveexec_b32 s3, s2
	s_cbranch_execz .LBB593_10
; %bb.9:
	s_load_b32 s0, s[0:1], 0x50
	s_waitcnt lgkmcnt(0)
	s_delay_alu instid0(VALU_DEP_3) | instskip(SKIP_1) | instid1(VALU_DEP_1)
	v_mul_f64 v[2:3], v[7:8], s[4:5]
	v_ashrrev_i32_e32 v1, 31, v0
	v_lshlrev_b64 v[0:1], 3, v[0:1]
	v_mad_i64_i32 v[4:5], null, s0, v13, 0
	s_delay_alu instid0(VALU_DEP_1) | instskip(NEXT) | instid1(VALU_DEP_1)
	v_lshlrev_b64 v[4:5], 3, v[4:5]
	v_add_co_u32 v4, vcc_lo, s8, v4
	s_delay_alu instid0(VALU_DEP_2) | instskip(NEXT) | instid1(VALU_DEP_2)
	v_add_co_ci_u32_e32 v5, vcc_lo, s9, v5, vcc_lo
	v_add_co_u32 v0, vcc_lo, v4, v0
	s_delay_alu instid0(VALU_DEP_2)
	v_add_co_ci_u32_e32 v1, vcc_lo, v5, v1, vcc_lo
	global_store_b64 v[0:1], v[2:3], off
.LBB593_10:
	s_nop 0
	s_sendmsg sendmsg(MSG_DEALLOC_VGPRS)
	s_endpgm
	.section	.rodata,"a",@progbits
	.p2align	6, 0x0
	.amdhsa_kernel _ZL32rocblas_syrkx_herkx_small_kernelIidLi16ELb1ELb0ELc67ELc85EKPKdKPdEviT_T0_PT6_S5_lS8_S5_lS6_PT7_S5_li
		.amdhsa_group_segment_fixed_size 4096
		.amdhsa_private_segment_fixed_size 0
		.amdhsa_kernarg_size 100
		.amdhsa_user_sgpr_count 13
		.amdhsa_user_sgpr_dispatch_ptr 0
		.amdhsa_user_sgpr_queue_ptr 0
		.amdhsa_user_sgpr_kernarg_segment_ptr 1
		.amdhsa_user_sgpr_dispatch_id 0
		.amdhsa_user_sgpr_private_segment_size 0
		.amdhsa_wavefront_size32 1
		.amdhsa_uses_dynamic_stack 0
		.amdhsa_enable_private_segment 0
		.amdhsa_system_sgpr_workgroup_id_x 1
		.amdhsa_system_sgpr_workgroup_id_y 1
		.amdhsa_system_sgpr_workgroup_id_z 1
		.amdhsa_system_sgpr_workgroup_info 0
		.amdhsa_system_vgpr_workitem_id 1
		.amdhsa_next_free_vgpr 28
		.amdhsa_next_free_sgpr 20
		.amdhsa_reserve_vcc 1
		.amdhsa_float_round_mode_32 0
		.amdhsa_float_round_mode_16_64 0
		.amdhsa_float_denorm_mode_32 3
		.amdhsa_float_denorm_mode_16_64 3
		.amdhsa_dx10_clamp 1
		.amdhsa_ieee_mode 1
		.amdhsa_fp16_overflow 0
		.amdhsa_workgroup_processor_mode 1
		.amdhsa_memory_ordered 1
		.amdhsa_forward_progress 0
		.amdhsa_shared_vgpr_count 0
		.amdhsa_exception_fp_ieee_invalid_op 0
		.amdhsa_exception_fp_denorm_src 0
		.amdhsa_exception_fp_ieee_div_zero 0
		.amdhsa_exception_fp_ieee_overflow 0
		.amdhsa_exception_fp_ieee_underflow 0
		.amdhsa_exception_fp_ieee_inexact 0
		.amdhsa_exception_int_div_zero 0
	.end_amdhsa_kernel
	.section	.text._ZL32rocblas_syrkx_herkx_small_kernelIidLi16ELb1ELb0ELc67ELc85EKPKdKPdEviT_T0_PT6_S5_lS8_S5_lS6_PT7_S5_li,"axG",@progbits,_ZL32rocblas_syrkx_herkx_small_kernelIidLi16ELb1ELb0ELc67ELc85EKPKdKPdEviT_T0_PT6_S5_lS8_S5_lS6_PT7_S5_li,comdat
.Lfunc_end593:
	.size	_ZL32rocblas_syrkx_herkx_small_kernelIidLi16ELb1ELb0ELc67ELc85EKPKdKPdEviT_T0_PT6_S5_lS8_S5_lS6_PT7_S5_li, .Lfunc_end593-_ZL32rocblas_syrkx_herkx_small_kernelIidLi16ELb1ELb0ELc67ELc85EKPKdKPdEviT_T0_PT6_S5_lS8_S5_lS6_PT7_S5_li
                                        ; -- End function
	.section	.AMDGPU.csdata,"",@progbits
; Kernel info:
; codeLenInByte = 1012
; NumSgprs: 22
; NumVgprs: 28
; ScratchSize: 0
; MemoryBound: 0
; FloatMode: 240
; IeeeMode: 1
; LDSByteSize: 4096 bytes/workgroup (compile time only)
; SGPRBlocks: 2
; VGPRBlocks: 3
; NumSGPRsForWavesPerEU: 22
; NumVGPRsForWavesPerEU: 28
; Occupancy: 16
; WaveLimiterHint : 1
; COMPUTE_PGM_RSRC2:SCRATCH_EN: 0
; COMPUTE_PGM_RSRC2:USER_SGPR: 13
; COMPUTE_PGM_RSRC2:TRAP_HANDLER: 0
; COMPUTE_PGM_RSRC2:TGID_X_EN: 1
; COMPUTE_PGM_RSRC2:TGID_Y_EN: 1
; COMPUTE_PGM_RSRC2:TGID_Z_EN: 1
; COMPUTE_PGM_RSRC2:TIDIG_COMP_CNT: 1
	.section	.text._ZL32rocblas_syrkx_herkx_small_kernelIidLi16ELb1ELb0ELc78ELc85EKPKdKPdEviT_T0_PT6_S5_lS8_S5_lS6_PT7_S5_li,"axG",@progbits,_ZL32rocblas_syrkx_herkx_small_kernelIidLi16ELb1ELb0ELc78ELc85EKPKdKPdEviT_T0_PT6_S5_lS8_S5_lS6_PT7_S5_li,comdat
	.globl	_ZL32rocblas_syrkx_herkx_small_kernelIidLi16ELb1ELb0ELc78ELc85EKPKdKPdEviT_T0_PT6_S5_lS8_S5_lS6_PT7_S5_li ; -- Begin function _ZL32rocblas_syrkx_herkx_small_kernelIidLi16ELb1ELb0ELc78ELc85EKPKdKPdEviT_T0_PT6_S5_lS8_S5_lS6_PT7_S5_li
	.p2align	8
	.type	_ZL32rocblas_syrkx_herkx_small_kernelIidLi16ELb1ELb0ELc78ELc85EKPKdKPdEviT_T0_PT6_S5_lS8_S5_lS6_PT7_S5_li,@function
_ZL32rocblas_syrkx_herkx_small_kernelIidLi16ELb1ELb0ELc78ELc85EKPKdKPdEviT_T0_PT6_S5_lS8_S5_lS6_PT7_S5_li: ; @_ZL32rocblas_syrkx_herkx_small_kernelIidLi16ELb1ELb0ELc78ELc85EKPKdKPdEviT_T0_PT6_S5_lS8_S5_lS6_PT7_S5_li
; %bb.0:
	s_clause 0x1
	s_load_b64 s[2:3], s[0:1], 0x48
	s_load_b64 s[16:17], s[0:1], 0x0
	s_mov_b32 s10, s15
	s_mov_b32 s11, 0
	v_and_b32_e32 v15, 0x3ff, v0
	s_lshl_b64 s[18:19], s[10:11], 3
	v_bfe_u32 v16, v0, 10, 10
	s_delay_alu instid0(VALU_DEP_2) | instskip(NEXT) | instid1(VALU_DEP_2)
	v_lshl_add_u32 v0, s13, 4, v15
	v_lshl_add_u32 v2, s14, 4, v16
	s_delay_alu instid0(VALU_DEP_2)
	v_ashrrev_i32_e32 v1, 31, v0
	s_waitcnt lgkmcnt(0)
	s_add_u32 s2, s2, s18
	s_addc_u32 s3, s3, s19
	s_load_b128 s[4:7], s[0:1], 0x8
	s_load_b64 s[8:9], s[2:3], 0x0
	v_cmp_gt_i32_e32 vcc_lo, s16, v2
	s_cmp_lt_i32 s17, 1
	s_cbranch_scc1 .LBB594_7
; %bb.1:
	s_clause 0x2
	s_load_b32 s12, s[0:1], 0x18
	s_load_b32 s14, s[0:1], 0x30
	s_load_b64 s[20:21], s[0:1], 0x28
	v_ashrrev_i32_e32 v3, 31, v2
	v_lshlrev_b64 v[5:6], 3, v[0:1]
	v_lshlrev_b32_e32 v13, 7, v16
	v_cmp_gt_i32_e64 s2, s16, v0
	s_delay_alu instid0(VALU_DEP_4)
	v_lshlrev_b64 v[11:12], 3, v[2:3]
	v_mov_b32_e32 v3, 0
	v_dual_mov_b32 v4, 0 :: v_dual_lshlrev_b32 v17, 3, v15
	v_add_nc_u32_e32 v18, 0x800, v13
	s_waitcnt lgkmcnt(0)
	s_ashr_i32 s13, s12, 31
	s_ashr_i32 s15, s14, 31
	s_add_u32 s20, s20, s18
	s_addc_u32 s21, s21, s19
	v_mad_i64_i32 v[7:8], null, s14, v15, 0
	s_load_b64 s[20:21], s[20:21], 0x0
	s_add_u32 s6, s6, s18
	s_addc_u32 s7, s7, s19
	v_mad_i64_i32 v[9:10], null, s12, v16, 0
	s_load_b64 s[6:7], s[6:7], 0x0
	s_delay_alu instid0(VALU_DEP_2) | instskip(SKIP_1) | instid1(VALU_DEP_2)
	v_lshlrev_b64 v[7:8], 3, v[7:8]
	s_lshl_b64 s[12:13], s[12:13], 7
	v_lshlrev_b64 v[9:10], 3, v[9:10]
	s_delay_alu instid0(VALU_DEP_2) | instskip(NEXT) | instid1(VALU_DEP_1)
	v_add_co_u32 v7, s3, v7, v11
	v_add_co_ci_u32_e64 v8, s3, v8, v12, s3
	s_delay_alu instid0(VALU_DEP_3) | instskip(NEXT) | instid1(VALU_DEP_1)
	v_add_co_u32 v9, s3, v9, v5
	v_add_co_ci_u32_e64 v10, s3, v10, v6, s3
	s_waitcnt lgkmcnt(0)
	v_add_co_u32 v5, s3, s20, v7
	s_delay_alu instid0(VALU_DEP_1) | instskip(SKIP_1) | instid1(VALU_DEP_1)
	v_add_co_ci_u32_e64 v6, s3, s21, v8, s3
	v_add_co_u32 v7, s3, s6, v9
	v_add_co_ci_u32_e64 v8, s3, s7, v10, s3
	v_dual_mov_b32 v10, v4 :: v_dual_mov_b32 v9, v3
	v_add_nc_u32_e32 v19, v17, v13
	v_add_nc_u32_e32 v20, v18, v17
	s_lshl_b64 s[6:7], s[14:15], 7
	s_branch .LBB594_3
.LBB594_2:                              ;   in Loop: Header=BB594_3 Depth=1
	s_or_b32 exec_lo, exec_lo, s3
	s_waitcnt vmcnt(0)
	ds_store_b64 v20, v[13:14]
	s_waitcnt lgkmcnt(0)
	s_barrier
	buffer_gl0_inv
	ds_load_2addr_b64 v[11:14], v17 offset1:16
	ds_load_b128 v[21:24], v18
	ds_load_b128 v[25:28], v18 offset:16
	v_add_co_u32 v5, s3, v5, s6
	s_delay_alu instid0(VALU_DEP_1) | instskip(SKIP_1) | instid1(VALU_DEP_1)
	v_add_co_ci_u32_e64 v6, s3, s7, v6, s3
	v_add_co_u32 v7, s3, v7, s12
	v_add_co_ci_u32_e64 v8, s3, s13, v8, s3
	s_add_i32 s11, s11, 16
	s_delay_alu instid0(SALU_CYCLE_1) | instskip(SKIP_2) | instid1(VALU_DEP_1)
	s_cmp_ge_i32 s11, s17
	s_waitcnt lgkmcnt(1)
	v_fma_f64 v[9:10], v[11:12], v[21:22], v[9:10]
	v_fma_f64 v[13:14], v[13:14], v[23:24], v[9:10]
	ds_load_2addr_b64 v[9:12], v17 offset0:32 offset1:48
	s_waitcnt lgkmcnt(0)
	v_fma_f64 v[9:10], v[9:10], v[25:26], v[13:14]
	s_delay_alu instid0(VALU_DEP_1)
	v_fma_f64 v[13:14], v[11:12], v[27:28], v[9:10]
	ds_load_2addr_b64 v[9:12], v17 offset0:64 offset1:80
	ds_load_b128 v[21:24], v18 offset:32
	ds_load_b128 v[25:28], v18 offset:48
	s_waitcnt lgkmcnt(1)
	v_fma_f64 v[9:10], v[9:10], v[21:22], v[13:14]
	s_delay_alu instid0(VALU_DEP_1) | instskip(SKIP_3) | instid1(VALU_DEP_1)
	v_fma_f64 v[13:14], v[11:12], v[23:24], v[9:10]
	ds_load_2addr_b64 v[9:12], v17 offset0:96 offset1:112
	s_waitcnt lgkmcnt(0)
	v_fma_f64 v[9:10], v[9:10], v[25:26], v[13:14]
	v_fma_f64 v[13:14], v[11:12], v[27:28], v[9:10]
	ds_load_2addr_b64 v[9:12], v17 offset0:128 offset1:144
	ds_load_b128 v[21:24], v18 offset:64
	ds_load_b128 v[25:28], v18 offset:80
	s_waitcnt lgkmcnt(1)
	v_fma_f64 v[9:10], v[9:10], v[21:22], v[13:14]
	s_delay_alu instid0(VALU_DEP_1) | instskip(SKIP_3) | instid1(VALU_DEP_1)
	v_fma_f64 v[13:14], v[11:12], v[23:24], v[9:10]
	ds_load_2addr_b64 v[9:12], v17 offset0:160 offset1:176
	s_waitcnt lgkmcnt(0)
	v_fma_f64 v[9:10], v[9:10], v[25:26], v[13:14]
	v_fma_f64 v[13:14], v[11:12], v[27:28], v[9:10]
	ds_load_2addr_b64 v[9:12], v17 offset0:192 offset1:208
	ds_load_b128 v[21:24], v18 offset:96
	ds_load_b128 v[25:28], v18 offset:112
	s_waitcnt lgkmcnt(1)
	v_fma_f64 v[9:10], v[9:10], v[21:22], v[13:14]
	s_delay_alu instid0(VALU_DEP_1)
	v_fma_f64 v[13:14], v[11:12], v[23:24], v[9:10]
	ds_load_2addr_b64 v[9:12], v17 offset0:224 offset1:240
	s_waitcnt lgkmcnt(0)
	s_barrier
	buffer_gl0_inv
	v_fma_f64 v[9:10], v[9:10], v[25:26], v[13:14]
	s_delay_alu instid0(VALU_DEP_1)
	v_fma_f64 v[9:10], v[11:12], v[27:28], v[9:10]
	s_cbranch_scc1 .LBB594_8
.LBB594_3:                              ; =>This Inner Loop Header: Depth=1
	v_add_nc_u32_e32 v11, s11, v16
	s_delay_alu instid0(VALU_DEP_1) | instskip(SKIP_1) | instid1(VALU_DEP_2)
	v_cmp_gt_i32_e64 s3, s17, v11
	v_dual_mov_b32 v12, v4 :: v_dual_mov_b32 v11, v3
	s_and_b32 s10, s2, s3
	s_delay_alu instid0(SALU_CYCLE_1)
	s_and_saveexec_b32 s3, s10
	s_cbranch_execz .LBB594_5
; %bb.4:                                ;   in Loop: Header=BB594_3 Depth=1
	global_load_b64 v[11:12], v[7:8], off
.LBB594_5:                              ;   in Loop: Header=BB594_3 Depth=1
	s_or_b32 exec_lo, exec_lo, s3
	v_add_nc_u32_e32 v13, s11, v15
	s_waitcnt vmcnt(0)
	ds_store_b64 v19, v[11:12]
	v_cmp_gt_i32_e64 s3, s17, v13
	v_mov_b32_e32 v13, 0
	v_mov_b32_e32 v14, 0
	s_delay_alu instid0(VALU_DEP_3) | instskip(NEXT) | instid1(SALU_CYCLE_1)
	s_and_b32 s10, vcc_lo, s3
	s_and_saveexec_b32 s3, s10
	s_cbranch_execz .LBB594_2
; %bb.6:                                ;   in Loop: Header=BB594_3 Depth=1
	global_load_b64 v[13:14], v[5:6], off
	s_branch .LBB594_2
.LBB594_7:
	v_mov_b32_e32 v9, 0
	v_mov_b32_e32 v10, 0
.LBB594_8:
	v_cmp_le_i32_e32 vcc_lo, v0, v2
	v_cmp_gt_i32_e64 s2, s16, v2
	s_delay_alu instid0(VALU_DEP_1) | instskip(NEXT) | instid1(SALU_CYCLE_1)
	s_and_b32 s2, vcc_lo, s2
	s_and_saveexec_b32 s3, s2
	s_cbranch_execz .LBB594_10
; %bb.9:
	s_load_b32 s0, s[0:1], 0x50
	s_waitcnt lgkmcnt(0)
	s_delay_alu instid0(VALU_DEP_3) | instskip(SKIP_2) | instid1(VALU_DEP_1)
	v_mul_f64 v[3:4], v[9:10], s[4:5]
	v_lshlrev_b64 v[0:1], 3, v[0:1]
	v_mad_i64_i32 v[5:6], null, s0, v2, 0
	v_lshlrev_b64 v[5:6], 3, v[5:6]
	s_delay_alu instid0(VALU_DEP_1) | instskip(NEXT) | instid1(VALU_DEP_2)
	v_add_co_u32 v2, vcc_lo, s8, v5
	v_add_co_ci_u32_e32 v5, vcc_lo, s9, v6, vcc_lo
	s_delay_alu instid0(VALU_DEP_2) | instskip(NEXT) | instid1(VALU_DEP_2)
	v_add_co_u32 v0, vcc_lo, v2, v0
	v_add_co_ci_u32_e32 v1, vcc_lo, v5, v1, vcc_lo
	global_store_b64 v[0:1], v[3:4], off
.LBB594_10:
	s_nop 0
	s_sendmsg sendmsg(MSG_DEALLOC_VGPRS)
	s_endpgm
	.section	.rodata,"a",@progbits
	.p2align	6, 0x0
	.amdhsa_kernel _ZL32rocblas_syrkx_herkx_small_kernelIidLi16ELb1ELb0ELc78ELc85EKPKdKPdEviT_T0_PT6_S5_lS8_S5_lS6_PT7_S5_li
		.amdhsa_group_segment_fixed_size 4096
		.amdhsa_private_segment_fixed_size 0
		.amdhsa_kernarg_size 100
		.amdhsa_user_sgpr_count 13
		.amdhsa_user_sgpr_dispatch_ptr 0
		.amdhsa_user_sgpr_queue_ptr 0
		.amdhsa_user_sgpr_kernarg_segment_ptr 1
		.amdhsa_user_sgpr_dispatch_id 0
		.amdhsa_user_sgpr_private_segment_size 0
		.amdhsa_wavefront_size32 1
		.amdhsa_uses_dynamic_stack 0
		.amdhsa_enable_private_segment 0
		.amdhsa_system_sgpr_workgroup_id_x 1
		.amdhsa_system_sgpr_workgroup_id_y 1
		.amdhsa_system_sgpr_workgroup_id_z 1
		.amdhsa_system_sgpr_workgroup_info 0
		.amdhsa_system_vgpr_workitem_id 1
		.amdhsa_next_free_vgpr 29
		.amdhsa_next_free_sgpr 22
		.amdhsa_reserve_vcc 1
		.amdhsa_float_round_mode_32 0
		.amdhsa_float_round_mode_16_64 0
		.amdhsa_float_denorm_mode_32 3
		.amdhsa_float_denorm_mode_16_64 3
		.amdhsa_dx10_clamp 1
		.amdhsa_ieee_mode 1
		.amdhsa_fp16_overflow 0
		.amdhsa_workgroup_processor_mode 1
		.amdhsa_memory_ordered 1
		.amdhsa_forward_progress 0
		.amdhsa_shared_vgpr_count 0
		.amdhsa_exception_fp_ieee_invalid_op 0
		.amdhsa_exception_fp_denorm_src 0
		.amdhsa_exception_fp_ieee_div_zero 0
		.amdhsa_exception_fp_ieee_overflow 0
		.amdhsa_exception_fp_ieee_underflow 0
		.amdhsa_exception_fp_ieee_inexact 0
		.amdhsa_exception_int_div_zero 0
	.end_amdhsa_kernel
	.section	.text._ZL32rocblas_syrkx_herkx_small_kernelIidLi16ELb1ELb0ELc78ELc85EKPKdKPdEviT_T0_PT6_S5_lS8_S5_lS6_PT7_S5_li,"axG",@progbits,_ZL32rocblas_syrkx_herkx_small_kernelIidLi16ELb1ELb0ELc78ELc85EKPKdKPdEviT_T0_PT6_S5_lS8_S5_lS6_PT7_S5_li,comdat
.Lfunc_end594:
	.size	_ZL32rocblas_syrkx_herkx_small_kernelIidLi16ELb1ELb0ELc78ELc85EKPKdKPdEviT_T0_PT6_S5_lS8_S5_lS6_PT7_S5_li, .Lfunc_end594-_ZL32rocblas_syrkx_herkx_small_kernelIidLi16ELb1ELb0ELc78ELc85EKPKdKPdEviT_T0_PT6_S5_lS8_S5_lS6_PT7_S5_li
                                        ; -- End function
	.section	.AMDGPU.csdata,"",@progbits
; Kernel info:
; codeLenInByte = 1040
; NumSgprs: 24
; NumVgprs: 29
; ScratchSize: 0
; MemoryBound: 0
; FloatMode: 240
; IeeeMode: 1
; LDSByteSize: 4096 bytes/workgroup (compile time only)
; SGPRBlocks: 2
; VGPRBlocks: 3
; NumSGPRsForWavesPerEU: 24
; NumVGPRsForWavesPerEU: 29
; Occupancy: 16
; WaveLimiterHint : 1
; COMPUTE_PGM_RSRC2:SCRATCH_EN: 0
; COMPUTE_PGM_RSRC2:USER_SGPR: 13
; COMPUTE_PGM_RSRC2:TRAP_HANDLER: 0
; COMPUTE_PGM_RSRC2:TGID_X_EN: 1
; COMPUTE_PGM_RSRC2:TGID_Y_EN: 1
; COMPUTE_PGM_RSRC2:TGID_Z_EN: 1
; COMPUTE_PGM_RSRC2:TIDIG_COMP_CNT: 1
	.section	.text._ZL32rocblas_syrkx_herkx_small_kernelIidLi16ELb0ELb0ELc84ELc76EKPKdKPdEviT_T0_PT6_S5_lS8_S5_lS6_PT7_S5_li,"axG",@progbits,_ZL32rocblas_syrkx_herkx_small_kernelIidLi16ELb0ELb0ELc84ELc76EKPKdKPdEviT_T0_PT6_S5_lS8_S5_lS6_PT7_S5_li,comdat
	.globl	_ZL32rocblas_syrkx_herkx_small_kernelIidLi16ELb0ELb0ELc84ELc76EKPKdKPdEviT_T0_PT6_S5_lS8_S5_lS6_PT7_S5_li ; -- Begin function _ZL32rocblas_syrkx_herkx_small_kernelIidLi16ELb0ELb0ELc84ELc76EKPKdKPdEviT_T0_PT6_S5_lS8_S5_lS6_PT7_S5_li
	.p2align	8
	.type	_ZL32rocblas_syrkx_herkx_small_kernelIidLi16ELb0ELb0ELc84ELc76EKPKdKPdEviT_T0_PT6_S5_lS8_S5_lS6_PT7_S5_li,@function
_ZL32rocblas_syrkx_herkx_small_kernelIidLi16ELb0ELb0ELc84ELc76EKPKdKPdEviT_T0_PT6_S5_lS8_S5_lS6_PT7_S5_li: ; @_ZL32rocblas_syrkx_herkx_small_kernelIidLi16ELb0ELb0ELc84ELc76EKPKdKPdEviT_T0_PT6_S5_lS8_S5_lS6_PT7_S5_li
; %bb.0:
	s_clause 0x1
	s_load_b128 s[4:7], s[0:1], 0x40
	s_load_b64 s[18:19], s[0:1], 0x0
	s_mov_b32 s16, s15
	s_mov_b32 s17, 0
	v_and_b32_e32 v14, 0x3ff, v0
	s_lshl_b64 s[20:21], s[16:17], 3
	v_bfe_u32 v15, v0, 10, 10
	s_delay_alu instid0(VALU_DEP_2) | instskip(NEXT) | instid1(VALU_DEP_2)
	v_lshl_add_u32 v0, s13, 4, v14
	v_lshl_add_u32 v13, s14, 4, v15
	s_waitcnt lgkmcnt(0)
	s_add_u32 s2, s6, s20
	s_addc_u32 s3, s7, s21
	s_load_b128 s[8:11], s[0:1], 0x8
	s_load_b64 s[6:7], s[2:3], 0x0
	v_cmp_gt_i32_e32 vcc_lo, s18, v0
	s_cmp_lt_i32 s19, 1
	s_cbranch_scc1 .LBB595_7
; %bb.1:
	s_clause 0x2
	s_load_b64 s[12:13], s[0:1], 0x28
	s_load_b32 s3, s[0:1], 0x30
	s_load_b32 s14, s[0:1], 0x18
	v_lshlrev_b32_e32 v16, 3, v14
	v_lshlrev_b32_e32 v7, 7, v15
	v_cmp_gt_i32_e64 s2, s18, v13
	s_waitcnt lgkmcnt(0)
	s_add_u32 s12, s12, s20
	s_addc_u32 s13, s13, s21
	v_mad_i64_i32 v[1:2], null, s3, v13, 0
	s_load_b64 s[12:13], s[12:13], 0x0
	s_add_u32 s10, s10, s20
	s_addc_u32 s11, s11, s21
	v_mad_i64_i32 v[3:4], null, s14, v0, 0
	s_load_b64 s[10:11], s[10:11], 0x0
	s_delay_alu instid0(VALU_DEP_2)
	v_lshlrev_b64 v[5:6], 3, v[1:2]
	v_mov_b32_e32 v1, 0
	v_mov_b32_e32 v2, 0
	v_lshlrev_b32_e32 v8, 3, v15
	v_add_nc_u32_e32 v17, 0x800, v7
	v_lshlrev_b64 v[3:4], 3, v[3:4]
	v_add_co_u32 v5, s3, v5, v16
	s_delay_alu instid0(VALU_DEP_1) | instskip(SKIP_1) | instid1(VALU_DEP_4)
	v_add_co_ci_u32_e64 v6, s3, 0, v6, s3
	v_add_nc_u32_e32 v18, v16, v7
	v_add_co_u32 v7, s3, v3, v8
	s_delay_alu instid0(VALU_DEP_1) | instskip(SKIP_2) | instid1(VALU_DEP_1)
	v_add_co_ci_u32_e64 v8, s3, 0, v4, s3
	s_waitcnt lgkmcnt(0)
	v_add_co_u32 v3, s3, s12, v5
	v_add_co_ci_u32_e64 v4, s3, s13, v6, s3
	v_add_co_u32 v5, s3, s10, v7
	s_delay_alu instid0(VALU_DEP_1)
	v_add_co_ci_u32_e64 v6, s3, s11, v8, s3
	v_dual_mov_b32 v8, v2 :: v_dual_add_nc_u32 v19, v17, v16
	v_mov_b32_e32 v7, v1
	s_branch .LBB595_3
.LBB595_2:                              ;   in Loop: Header=BB595_3 Depth=1
	s_or_b32 exec_lo, exec_lo, s3
	s_waitcnt vmcnt(0)
	ds_store_b64 v19, v[11:12]
	s_waitcnt lgkmcnt(0)
	s_barrier
	buffer_gl0_inv
	ds_load_2addr_b64 v[9:12], v16 offset1:16
	ds_load_b128 v[20:23], v17
	ds_load_b128 v[24:27], v17 offset:16
	v_add_co_u32 v3, s3, 0x80, v3
	s_delay_alu instid0(VALU_DEP_1) | instskip(SKIP_1) | instid1(VALU_DEP_1)
	v_add_co_ci_u32_e64 v4, s3, 0, v4, s3
	v_add_co_u32 v5, s3, 0x80, v5
	v_add_co_ci_u32_e64 v6, s3, 0, v6, s3
	s_add_i32 s17, s17, 16
	s_delay_alu instid0(SALU_CYCLE_1) | instskip(SKIP_2) | instid1(VALU_DEP_1)
	s_cmp_ge_i32 s17, s19
	s_waitcnt lgkmcnt(1)
	v_fma_f64 v[7:8], v[9:10], v[20:21], v[7:8]
	v_fma_f64 v[11:12], v[11:12], v[22:23], v[7:8]
	ds_load_2addr_b64 v[7:10], v16 offset0:32 offset1:48
	s_waitcnt lgkmcnt(0)
	v_fma_f64 v[7:8], v[7:8], v[24:25], v[11:12]
	s_delay_alu instid0(VALU_DEP_1)
	v_fma_f64 v[11:12], v[9:10], v[26:27], v[7:8]
	ds_load_2addr_b64 v[7:10], v16 offset0:64 offset1:80
	ds_load_b128 v[20:23], v17 offset:32
	ds_load_b128 v[24:27], v17 offset:48
	s_waitcnt lgkmcnt(1)
	v_fma_f64 v[7:8], v[7:8], v[20:21], v[11:12]
	s_delay_alu instid0(VALU_DEP_1) | instskip(SKIP_3) | instid1(VALU_DEP_1)
	v_fma_f64 v[11:12], v[9:10], v[22:23], v[7:8]
	ds_load_2addr_b64 v[7:10], v16 offset0:96 offset1:112
	s_waitcnt lgkmcnt(0)
	v_fma_f64 v[7:8], v[7:8], v[24:25], v[11:12]
	v_fma_f64 v[11:12], v[9:10], v[26:27], v[7:8]
	ds_load_2addr_b64 v[7:10], v16 offset0:128 offset1:144
	ds_load_b128 v[20:23], v17 offset:64
	ds_load_b128 v[24:27], v17 offset:80
	s_waitcnt lgkmcnt(1)
	v_fma_f64 v[7:8], v[7:8], v[20:21], v[11:12]
	s_delay_alu instid0(VALU_DEP_1) | instskip(SKIP_3) | instid1(VALU_DEP_1)
	v_fma_f64 v[11:12], v[9:10], v[22:23], v[7:8]
	ds_load_2addr_b64 v[7:10], v16 offset0:160 offset1:176
	s_waitcnt lgkmcnt(0)
	v_fma_f64 v[7:8], v[7:8], v[24:25], v[11:12]
	v_fma_f64 v[11:12], v[9:10], v[26:27], v[7:8]
	ds_load_2addr_b64 v[7:10], v16 offset0:192 offset1:208
	ds_load_b128 v[20:23], v17 offset:96
	ds_load_b128 v[24:27], v17 offset:112
	s_waitcnt lgkmcnt(1)
	v_fma_f64 v[7:8], v[7:8], v[20:21], v[11:12]
	s_delay_alu instid0(VALU_DEP_1)
	v_fma_f64 v[11:12], v[9:10], v[22:23], v[7:8]
	ds_load_2addr_b64 v[7:10], v16 offset0:224 offset1:240
	s_waitcnt lgkmcnt(0)
	s_barrier
	buffer_gl0_inv
	v_fma_f64 v[7:8], v[7:8], v[24:25], v[11:12]
	s_delay_alu instid0(VALU_DEP_1)
	v_fma_f64 v[7:8], v[9:10], v[26:27], v[7:8]
	s_cbranch_scc1 .LBB595_8
.LBB595_3:                              ; =>This Inner Loop Header: Depth=1
	v_add_nc_u32_e32 v9, s17, v15
	s_delay_alu instid0(VALU_DEP_1) | instskip(SKIP_1) | instid1(VALU_DEP_2)
	v_cmp_gt_i32_e64 s3, s19, v9
	v_dual_mov_b32 v10, v2 :: v_dual_mov_b32 v9, v1
	s_and_b32 s10, vcc_lo, s3
	s_delay_alu instid0(SALU_CYCLE_1)
	s_and_saveexec_b32 s3, s10
	s_cbranch_execz .LBB595_5
; %bb.4:                                ;   in Loop: Header=BB595_3 Depth=1
	global_load_b64 v[9:10], v[5:6], off
.LBB595_5:                              ;   in Loop: Header=BB595_3 Depth=1
	s_or_b32 exec_lo, exec_lo, s3
	v_add_nc_u32_e32 v11, s17, v14
	s_waitcnt vmcnt(0)
	ds_store_b64 v18, v[9:10]
	v_cmp_gt_i32_e64 s3, s19, v11
	v_mov_b32_e32 v11, 0
	v_mov_b32_e32 v12, 0
	s_delay_alu instid0(VALU_DEP_3) | instskip(NEXT) | instid1(SALU_CYCLE_1)
	s_and_b32 s10, s2, s3
	s_and_saveexec_b32 s3, s10
	s_cbranch_execz .LBB595_2
; %bb.6:                                ;   in Loop: Header=BB595_3 Depth=1
	global_load_b64 v[11:12], v[3:4], off
	s_branch .LBB595_2
.LBB595_7:
	v_mov_b32_e32 v7, 0
	v_mov_b32_e32 v8, 0
.LBB595_8:
	v_cmp_le_i32_e32 vcc_lo, v13, v0
	v_cmp_gt_i32_e64 s2, s18, v0
	s_delay_alu instid0(VALU_DEP_1) | instskip(NEXT) | instid1(SALU_CYCLE_1)
	s_and_b32 s2, vcc_lo, s2
	s_and_saveexec_b32 s3, s2
	s_cbranch_execz .LBB595_10
; %bb.9:
	s_load_b32 s0, s[0:1], 0x50
	v_ashrrev_i32_e32 v1, 31, v0
	s_delay_alu instid0(VALU_DEP_1) | instskip(SKIP_2) | instid1(VALU_DEP_1)
	v_lshlrev_b64 v[0:1], 3, v[0:1]
	s_waitcnt lgkmcnt(0)
	v_mad_i64_i32 v[2:3], null, s0, v13, 0
	v_lshlrev_b64 v[2:3], 3, v[2:3]
	s_delay_alu instid0(VALU_DEP_1) | instskip(NEXT) | instid1(VALU_DEP_2)
	v_add_co_u32 v2, vcc_lo, s6, v2
	v_add_co_ci_u32_e32 v3, vcc_lo, s7, v3, vcc_lo
	s_delay_alu instid0(VALU_DEP_2) | instskip(NEXT) | instid1(VALU_DEP_2)
	v_add_co_u32 v0, vcc_lo, v2, v0
	v_add_co_ci_u32_e32 v1, vcc_lo, v3, v1, vcc_lo
	global_load_b64 v[2:3], v[0:1], off
	s_waitcnt vmcnt(0)
	v_mul_f64 v[2:3], v[2:3], s[4:5]
	s_delay_alu instid0(VALU_DEP_1)
	v_fma_f64 v[2:3], v[7:8], s[8:9], v[2:3]
	global_store_b64 v[0:1], v[2:3], off
.LBB595_10:
	s_nop 0
	s_sendmsg sendmsg(MSG_DEALLOC_VGPRS)
	s_endpgm
	.section	.rodata,"a",@progbits
	.p2align	6, 0x0
	.amdhsa_kernel _ZL32rocblas_syrkx_herkx_small_kernelIidLi16ELb0ELb0ELc84ELc76EKPKdKPdEviT_T0_PT6_S5_lS8_S5_lS6_PT7_S5_li
		.amdhsa_group_segment_fixed_size 4096
		.amdhsa_private_segment_fixed_size 0
		.amdhsa_kernarg_size 100
		.amdhsa_user_sgpr_count 13
		.amdhsa_user_sgpr_dispatch_ptr 0
		.amdhsa_user_sgpr_queue_ptr 0
		.amdhsa_user_sgpr_kernarg_segment_ptr 1
		.amdhsa_user_sgpr_dispatch_id 0
		.amdhsa_user_sgpr_private_segment_size 0
		.amdhsa_wavefront_size32 1
		.amdhsa_uses_dynamic_stack 0
		.amdhsa_enable_private_segment 0
		.amdhsa_system_sgpr_workgroup_id_x 1
		.amdhsa_system_sgpr_workgroup_id_y 1
		.amdhsa_system_sgpr_workgroup_id_z 1
		.amdhsa_system_sgpr_workgroup_info 0
		.amdhsa_system_vgpr_workitem_id 1
		.amdhsa_next_free_vgpr 28
		.amdhsa_next_free_sgpr 22
		.amdhsa_reserve_vcc 1
		.amdhsa_float_round_mode_32 0
		.amdhsa_float_round_mode_16_64 0
		.amdhsa_float_denorm_mode_32 3
		.amdhsa_float_denorm_mode_16_64 3
		.amdhsa_dx10_clamp 1
		.amdhsa_ieee_mode 1
		.amdhsa_fp16_overflow 0
		.amdhsa_workgroup_processor_mode 1
		.amdhsa_memory_ordered 1
		.amdhsa_forward_progress 0
		.amdhsa_shared_vgpr_count 0
		.amdhsa_exception_fp_ieee_invalid_op 0
		.amdhsa_exception_fp_denorm_src 0
		.amdhsa_exception_fp_ieee_div_zero 0
		.amdhsa_exception_fp_ieee_overflow 0
		.amdhsa_exception_fp_ieee_underflow 0
		.amdhsa_exception_fp_ieee_inexact 0
		.amdhsa_exception_int_div_zero 0
	.end_amdhsa_kernel
	.section	.text._ZL32rocblas_syrkx_herkx_small_kernelIidLi16ELb0ELb0ELc84ELc76EKPKdKPdEviT_T0_PT6_S5_lS8_S5_lS6_PT7_S5_li,"axG",@progbits,_ZL32rocblas_syrkx_herkx_small_kernelIidLi16ELb0ELb0ELc84ELc76EKPKdKPdEviT_T0_PT6_S5_lS8_S5_lS6_PT7_S5_li,comdat
.Lfunc_end595:
	.size	_ZL32rocblas_syrkx_herkx_small_kernelIidLi16ELb0ELb0ELc84ELc76EKPKdKPdEviT_T0_PT6_S5_lS8_S5_lS6_PT7_S5_li, .Lfunc_end595-_ZL32rocblas_syrkx_herkx_small_kernelIidLi16ELb0ELb0ELc84ELc76EKPKdKPdEviT_T0_PT6_S5_lS8_S5_lS6_PT7_S5_li
                                        ; -- End function
	.section	.AMDGPU.csdata,"",@progbits
; Kernel info:
; codeLenInByte = 1032
; NumSgprs: 24
; NumVgprs: 28
; ScratchSize: 0
; MemoryBound: 0
; FloatMode: 240
; IeeeMode: 1
; LDSByteSize: 4096 bytes/workgroup (compile time only)
; SGPRBlocks: 2
; VGPRBlocks: 3
; NumSGPRsForWavesPerEU: 24
; NumVGPRsForWavesPerEU: 28
; Occupancy: 16
; WaveLimiterHint : 1
; COMPUTE_PGM_RSRC2:SCRATCH_EN: 0
; COMPUTE_PGM_RSRC2:USER_SGPR: 13
; COMPUTE_PGM_RSRC2:TRAP_HANDLER: 0
; COMPUTE_PGM_RSRC2:TGID_X_EN: 1
; COMPUTE_PGM_RSRC2:TGID_Y_EN: 1
; COMPUTE_PGM_RSRC2:TGID_Z_EN: 1
; COMPUTE_PGM_RSRC2:TIDIG_COMP_CNT: 1
	.section	.text._ZL32rocblas_syrkx_herkx_small_kernelIidLi16ELb0ELb0ELc67ELc76EKPKdKPdEviT_T0_PT6_S5_lS8_S5_lS6_PT7_S5_li,"axG",@progbits,_ZL32rocblas_syrkx_herkx_small_kernelIidLi16ELb0ELb0ELc67ELc76EKPKdKPdEviT_T0_PT6_S5_lS8_S5_lS6_PT7_S5_li,comdat
	.globl	_ZL32rocblas_syrkx_herkx_small_kernelIidLi16ELb0ELb0ELc67ELc76EKPKdKPdEviT_T0_PT6_S5_lS8_S5_lS6_PT7_S5_li ; -- Begin function _ZL32rocblas_syrkx_herkx_small_kernelIidLi16ELb0ELb0ELc67ELc76EKPKdKPdEviT_T0_PT6_S5_lS8_S5_lS6_PT7_S5_li
	.p2align	8
	.type	_ZL32rocblas_syrkx_herkx_small_kernelIidLi16ELb0ELb0ELc67ELc76EKPKdKPdEviT_T0_PT6_S5_lS8_S5_lS6_PT7_S5_li,@function
_ZL32rocblas_syrkx_herkx_small_kernelIidLi16ELb0ELb0ELc67ELc76EKPKdKPdEviT_T0_PT6_S5_lS8_S5_lS6_PT7_S5_li: ; @_ZL32rocblas_syrkx_herkx_small_kernelIidLi16ELb0ELb0ELc67ELc76EKPKdKPdEviT_T0_PT6_S5_lS8_S5_lS6_PT7_S5_li
; %bb.0:
	s_clause 0x1
	s_load_b128 s[4:7], s[0:1], 0x40
	s_load_b64 s[18:19], s[0:1], 0x0
	s_mov_b32 s16, s15
	s_mov_b32 s17, 0
	v_and_b32_e32 v14, 0x3ff, v0
	s_lshl_b64 s[20:21], s[16:17], 3
	v_bfe_u32 v15, v0, 10, 10
	s_delay_alu instid0(VALU_DEP_2) | instskip(NEXT) | instid1(VALU_DEP_2)
	v_lshl_add_u32 v0, s13, 4, v14
	v_lshl_add_u32 v13, s14, 4, v15
	s_waitcnt lgkmcnt(0)
	s_add_u32 s2, s6, s20
	s_addc_u32 s3, s7, s21
	s_load_b128 s[8:11], s[0:1], 0x8
	s_load_b64 s[6:7], s[2:3], 0x0
	v_cmp_gt_i32_e32 vcc_lo, s18, v0
	s_cmp_lt_i32 s19, 1
	s_cbranch_scc1 .LBB596_7
; %bb.1:
	s_clause 0x2
	s_load_b64 s[12:13], s[0:1], 0x28
	s_load_b32 s3, s[0:1], 0x30
	s_load_b32 s14, s[0:1], 0x18
	v_lshlrev_b32_e32 v16, 3, v14
	v_lshlrev_b32_e32 v7, 7, v15
	v_cmp_gt_i32_e64 s2, s18, v13
	s_waitcnt lgkmcnt(0)
	s_add_u32 s12, s12, s20
	s_addc_u32 s13, s13, s21
	v_mad_i64_i32 v[1:2], null, s3, v13, 0
	s_load_b64 s[12:13], s[12:13], 0x0
	s_add_u32 s10, s10, s20
	s_addc_u32 s11, s11, s21
	v_mad_i64_i32 v[3:4], null, s14, v0, 0
	s_load_b64 s[10:11], s[10:11], 0x0
	s_delay_alu instid0(VALU_DEP_2)
	v_lshlrev_b64 v[5:6], 3, v[1:2]
	v_mov_b32_e32 v1, 0
	v_mov_b32_e32 v2, 0
	v_lshlrev_b32_e32 v8, 3, v15
	v_add_nc_u32_e32 v17, 0x800, v7
	v_lshlrev_b64 v[3:4], 3, v[3:4]
	v_add_co_u32 v5, s3, v5, v16
	s_delay_alu instid0(VALU_DEP_1) | instskip(SKIP_1) | instid1(VALU_DEP_4)
	v_add_co_ci_u32_e64 v6, s3, 0, v6, s3
	v_add_nc_u32_e32 v18, v16, v7
	v_add_co_u32 v7, s3, v3, v8
	s_delay_alu instid0(VALU_DEP_1) | instskip(SKIP_2) | instid1(VALU_DEP_1)
	v_add_co_ci_u32_e64 v8, s3, 0, v4, s3
	s_waitcnt lgkmcnt(0)
	v_add_co_u32 v3, s3, s12, v5
	v_add_co_ci_u32_e64 v4, s3, s13, v6, s3
	v_add_co_u32 v5, s3, s10, v7
	s_delay_alu instid0(VALU_DEP_1)
	v_add_co_ci_u32_e64 v6, s3, s11, v8, s3
	v_dual_mov_b32 v8, v2 :: v_dual_add_nc_u32 v19, v17, v16
	v_mov_b32_e32 v7, v1
	s_branch .LBB596_3
.LBB596_2:                              ;   in Loop: Header=BB596_3 Depth=1
	s_or_b32 exec_lo, exec_lo, s3
	s_waitcnt vmcnt(0)
	ds_store_b64 v19, v[11:12]
	s_waitcnt lgkmcnt(0)
	s_barrier
	buffer_gl0_inv
	ds_load_2addr_b64 v[9:12], v16 offset1:16
	ds_load_b128 v[20:23], v17
	ds_load_b128 v[24:27], v17 offset:16
	v_add_co_u32 v3, s3, 0x80, v3
	s_delay_alu instid0(VALU_DEP_1) | instskip(SKIP_1) | instid1(VALU_DEP_1)
	v_add_co_ci_u32_e64 v4, s3, 0, v4, s3
	v_add_co_u32 v5, s3, 0x80, v5
	v_add_co_ci_u32_e64 v6, s3, 0, v6, s3
	s_add_i32 s17, s17, 16
	s_delay_alu instid0(SALU_CYCLE_1) | instskip(SKIP_2) | instid1(VALU_DEP_1)
	s_cmp_ge_i32 s17, s19
	s_waitcnt lgkmcnt(1)
	v_fma_f64 v[7:8], v[9:10], v[20:21], v[7:8]
	v_fma_f64 v[11:12], v[11:12], v[22:23], v[7:8]
	ds_load_2addr_b64 v[7:10], v16 offset0:32 offset1:48
	s_waitcnt lgkmcnt(0)
	v_fma_f64 v[7:8], v[7:8], v[24:25], v[11:12]
	s_delay_alu instid0(VALU_DEP_1)
	v_fma_f64 v[11:12], v[9:10], v[26:27], v[7:8]
	ds_load_2addr_b64 v[7:10], v16 offset0:64 offset1:80
	ds_load_b128 v[20:23], v17 offset:32
	ds_load_b128 v[24:27], v17 offset:48
	s_waitcnt lgkmcnt(1)
	v_fma_f64 v[7:8], v[7:8], v[20:21], v[11:12]
	s_delay_alu instid0(VALU_DEP_1) | instskip(SKIP_3) | instid1(VALU_DEP_1)
	v_fma_f64 v[11:12], v[9:10], v[22:23], v[7:8]
	ds_load_2addr_b64 v[7:10], v16 offset0:96 offset1:112
	s_waitcnt lgkmcnt(0)
	v_fma_f64 v[7:8], v[7:8], v[24:25], v[11:12]
	v_fma_f64 v[11:12], v[9:10], v[26:27], v[7:8]
	ds_load_2addr_b64 v[7:10], v16 offset0:128 offset1:144
	ds_load_b128 v[20:23], v17 offset:64
	ds_load_b128 v[24:27], v17 offset:80
	s_waitcnt lgkmcnt(1)
	v_fma_f64 v[7:8], v[7:8], v[20:21], v[11:12]
	s_delay_alu instid0(VALU_DEP_1) | instskip(SKIP_3) | instid1(VALU_DEP_1)
	v_fma_f64 v[11:12], v[9:10], v[22:23], v[7:8]
	ds_load_2addr_b64 v[7:10], v16 offset0:160 offset1:176
	s_waitcnt lgkmcnt(0)
	v_fma_f64 v[7:8], v[7:8], v[24:25], v[11:12]
	v_fma_f64 v[11:12], v[9:10], v[26:27], v[7:8]
	ds_load_2addr_b64 v[7:10], v16 offset0:192 offset1:208
	ds_load_b128 v[20:23], v17 offset:96
	ds_load_b128 v[24:27], v17 offset:112
	s_waitcnt lgkmcnt(1)
	v_fma_f64 v[7:8], v[7:8], v[20:21], v[11:12]
	s_delay_alu instid0(VALU_DEP_1)
	v_fma_f64 v[11:12], v[9:10], v[22:23], v[7:8]
	ds_load_2addr_b64 v[7:10], v16 offset0:224 offset1:240
	s_waitcnt lgkmcnt(0)
	s_barrier
	buffer_gl0_inv
	v_fma_f64 v[7:8], v[7:8], v[24:25], v[11:12]
	s_delay_alu instid0(VALU_DEP_1)
	v_fma_f64 v[7:8], v[9:10], v[26:27], v[7:8]
	s_cbranch_scc1 .LBB596_8
.LBB596_3:                              ; =>This Inner Loop Header: Depth=1
	v_add_nc_u32_e32 v9, s17, v15
	s_delay_alu instid0(VALU_DEP_1) | instskip(SKIP_1) | instid1(VALU_DEP_2)
	v_cmp_gt_i32_e64 s3, s19, v9
	v_dual_mov_b32 v10, v2 :: v_dual_mov_b32 v9, v1
	s_and_b32 s10, vcc_lo, s3
	s_delay_alu instid0(SALU_CYCLE_1)
	s_and_saveexec_b32 s3, s10
	s_cbranch_execz .LBB596_5
; %bb.4:                                ;   in Loop: Header=BB596_3 Depth=1
	global_load_b64 v[9:10], v[5:6], off
.LBB596_5:                              ;   in Loop: Header=BB596_3 Depth=1
	s_or_b32 exec_lo, exec_lo, s3
	v_add_nc_u32_e32 v11, s17, v14
	s_waitcnt vmcnt(0)
	ds_store_b64 v18, v[9:10]
	v_cmp_gt_i32_e64 s3, s19, v11
	v_mov_b32_e32 v11, 0
	v_mov_b32_e32 v12, 0
	s_delay_alu instid0(VALU_DEP_3) | instskip(NEXT) | instid1(SALU_CYCLE_1)
	s_and_b32 s10, s2, s3
	s_and_saveexec_b32 s3, s10
	s_cbranch_execz .LBB596_2
; %bb.6:                                ;   in Loop: Header=BB596_3 Depth=1
	global_load_b64 v[11:12], v[3:4], off
	s_branch .LBB596_2
.LBB596_7:
	v_mov_b32_e32 v7, 0
	v_mov_b32_e32 v8, 0
.LBB596_8:
	v_cmp_le_i32_e32 vcc_lo, v13, v0
	v_cmp_gt_i32_e64 s2, s18, v0
	s_delay_alu instid0(VALU_DEP_1) | instskip(NEXT) | instid1(SALU_CYCLE_1)
	s_and_b32 s2, vcc_lo, s2
	s_and_saveexec_b32 s3, s2
	s_cbranch_execz .LBB596_10
; %bb.9:
	s_load_b32 s0, s[0:1], 0x50
	v_ashrrev_i32_e32 v1, 31, v0
	s_delay_alu instid0(VALU_DEP_1) | instskip(SKIP_2) | instid1(VALU_DEP_1)
	v_lshlrev_b64 v[0:1], 3, v[0:1]
	s_waitcnt lgkmcnt(0)
	v_mad_i64_i32 v[2:3], null, s0, v13, 0
	v_lshlrev_b64 v[2:3], 3, v[2:3]
	s_delay_alu instid0(VALU_DEP_1) | instskip(NEXT) | instid1(VALU_DEP_2)
	v_add_co_u32 v2, vcc_lo, s6, v2
	v_add_co_ci_u32_e32 v3, vcc_lo, s7, v3, vcc_lo
	s_delay_alu instid0(VALU_DEP_2) | instskip(NEXT) | instid1(VALU_DEP_2)
	v_add_co_u32 v0, vcc_lo, v2, v0
	v_add_co_ci_u32_e32 v1, vcc_lo, v3, v1, vcc_lo
	global_load_b64 v[2:3], v[0:1], off
	s_waitcnt vmcnt(0)
	v_mul_f64 v[2:3], v[2:3], s[4:5]
	s_delay_alu instid0(VALU_DEP_1)
	v_fma_f64 v[2:3], v[7:8], s[8:9], v[2:3]
	global_store_b64 v[0:1], v[2:3], off
.LBB596_10:
	s_nop 0
	s_sendmsg sendmsg(MSG_DEALLOC_VGPRS)
	s_endpgm
	.section	.rodata,"a",@progbits
	.p2align	6, 0x0
	.amdhsa_kernel _ZL32rocblas_syrkx_herkx_small_kernelIidLi16ELb0ELb0ELc67ELc76EKPKdKPdEviT_T0_PT6_S5_lS8_S5_lS6_PT7_S5_li
		.amdhsa_group_segment_fixed_size 4096
		.amdhsa_private_segment_fixed_size 0
		.amdhsa_kernarg_size 100
		.amdhsa_user_sgpr_count 13
		.amdhsa_user_sgpr_dispatch_ptr 0
		.amdhsa_user_sgpr_queue_ptr 0
		.amdhsa_user_sgpr_kernarg_segment_ptr 1
		.amdhsa_user_sgpr_dispatch_id 0
		.amdhsa_user_sgpr_private_segment_size 0
		.amdhsa_wavefront_size32 1
		.amdhsa_uses_dynamic_stack 0
		.amdhsa_enable_private_segment 0
		.amdhsa_system_sgpr_workgroup_id_x 1
		.amdhsa_system_sgpr_workgroup_id_y 1
		.amdhsa_system_sgpr_workgroup_id_z 1
		.amdhsa_system_sgpr_workgroup_info 0
		.amdhsa_system_vgpr_workitem_id 1
		.amdhsa_next_free_vgpr 28
		.amdhsa_next_free_sgpr 22
		.amdhsa_reserve_vcc 1
		.amdhsa_float_round_mode_32 0
		.amdhsa_float_round_mode_16_64 0
		.amdhsa_float_denorm_mode_32 3
		.amdhsa_float_denorm_mode_16_64 3
		.amdhsa_dx10_clamp 1
		.amdhsa_ieee_mode 1
		.amdhsa_fp16_overflow 0
		.amdhsa_workgroup_processor_mode 1
		.amdhsa_memory_ordered 1
		.amdhsa_forward_progress 0
		.amdhsa_shared_vgpr_count 0
		.amdhsa_exception_fp_ieee_invalid_op 0
		.amdhsa_exception_fp_denorm_src 0
		.amdhsa_exception_fp_ieee_div_zero 0
		.amdhsa_exception_fp_ieee_overflow 0
		.amdhsa_exception_fp_ieee_underflow 0
		.amdhsa_exception_fp_ieee_inexact 0
		.amdhsa_exception_int_div_zero 0
	.end_amdhsa_kernel
	.section	.text._ZL32rocblas_syrkx_herkx_small_kernelIidLi16ELb0ELb0ELc67ELc76EKPKdKPdEviT_T0_PT6_S5_lS8_S5_lS6_PT7_S5_li,"axG",@progbits,_ZL32rocblas_syrkx_herkx_small_kernelIidLi16ELb0ELb0ELc67ELc76EKPKdKPdEviT_T0_PT6_S5_lS8_S5_lS6_PT7_S5_li,comdat
.Lfunc_end596:
	.size	_ZL32rocblas_syrkx_herkx_small_kernelIidLi16ELb0ELb0ELc67ELc76EKPKdKPdEviT_T0_PT6_S5_lS8_S5_lS6_PT7_S5_li, .Lfunc_end596-_ZL32rocblas_syrkx_herkx_small_kernelIidLi16ELb0ELb0ELc67ELc76EKPKdKPdEviT_T0_PT6_S5_lS8_S5_lS6_PT7_S5_li
                                        ; -- End function
	.section	.AMDGPU.csdata,"",@progbits
; Kernel info:
; codeLenInByte = 1032
; NumSgprs: 24
; NumVgprs: 28
; ScratchSize: 0
; MemoryBound: 0
; FloatMode: 240
; IeeeMode: 1
; LDSByteSize: 4096 bytes/workgroup (compile time only)
; SGPRBlocks: 2
; VGPRBlocks: 3
; NumSGPRsForWavesPerEU: 24
; NumVGPRsForWavesPerEU: 28
; Occupancy: 16
; WaveLimiterHint : 1
; COMPUTE_PGM_RSRC2:SCRATCH_EN: 0
; COMPUTE_PGM_RSRC2:USER_SGPR: 13
; COMPUTE_PGM_RSRC2:TRAP_HANDLER: 0
; COMPUTE_PGM_RSRC2:TGID_X_EN: 1
; COMPUTE_PGM_RSRC2:TGID_Y_EN: 1
; COMPUTE_PGM_RSRC2:TGID_Z_EN: 1
; COMPUTE_PGM_RSRC2:TIDIG_COMP_CNT: 1
	.section	.text._ZL32rocblas_syrkx_herkx_small_kernelIidLi16ELb0ELb0ELc78ELc76EKPKdKPdEviT_T0_PT6_S5_lS8_S5_lS6_PT7_S5_li,"axG",@progbits,_ZL32rocblas_syrkx_herkx_small_kernelIidLi16ELb0ELb0ELc78ELc76EKPKdKPdEviT_T0_PT6_S5_lS8_S5_lS6_PT7_S5_li,comdat
	.globl	_ZL32rocblas_syrkx_herkx_small_kernelIidLi16ELb0ELb0ELc78ELc76EKPKdKPdEviT_T0_PT6_S5_lS8_S5_lS6_PT7_S5_li ; -- Begin function _ZL32rocblas_syrkx_herkx_small_kernelIidLi16ELb0ELb0ELc78ELc76EKPKdKPdEviT_T0_PT6_S5_lS8_S5_lS6_PT7_S5_li
	.p2align	8
	.type	_ZL32rocblas_syrkx_herkx_small_kernelIidLi16ELb0ELb0ELc78ELc76EKPKdKPdEviT_T0_PT6_S5_lS8_S5_lS6_PT7_S5_li,@function
_ZL32rocblas_syrkx_herkx_small_kernelIidLi16ELb0ELb0ELc78ELc76EKPKdKPdEviT_T0_PT6_S5_lS8_S5_lS6_PT7_S5_li: ; @_ZL32rocblas_syrkx_herkx_small_kernelIidLi16ELb0ELb0ELc78ELc76EKPKdKPdEviT_T0_PT6_S5_lS8_S5_lS6_PT7_S5_li
; %bb.0:
	s_clause 0x1
	s_load_b128 s[4:7], s[0:1], 0x40
	s_load_b64 s[18:19], s[0:1], 0x0
	s_mov_b32 s16, s15
	s_mov_b32 s17, 0
	v_and_b32_e32 v15, 0x3ff, v0
	s_lshl_b64 s[20:21], s[16:17], 3
	v_bfe_u32 v16, v0, 10, 10
	s_delay_alu instid0(VALU_DEP_2) | instskip(NEXT) | instid1(VALU_DEP_2)
	v_lshl_add_u32 v0, s13, 4, v15
	v_lshl_add_u32 v2, s14, 4, v16
	s_delay_alu instid0(VALU_DEP_2)
	v_ashrrev_i32_e32 v1, 31, v0
	s_waitcnt lgkmcnt(0)
	s_add_u32 s2, s6, s20
	s_addc_u32 s3, s7, s21
	s_load_b128 s[8:11], s[0:1], 0x8
	s_load_b64 s[6:7], s[2:3], 0x0
	v_cmp_gt_i32_e32 vcc_lo, s18, v0
	s_cmp_lt_i32 s19, 1
	s_cbranch_scc1 .LBB597_7
; %bb.1:
	s_clause 0x2
	s_load_b32 s12, s[0:1], 0x18
	s_load_b32 s14, s[0:1], 0x30
	s_load_b64 s[22:23], s[0:1], 0x28
	v_ashrrev_i32_e32 v3, 31, v2
	v_lshlrev_b64 v[5:6], 3, v[0:1]
	v_lshlrev_b32_e32 v13, 7, v16
	v_cmp_gt_i32_e64 s2, s18, v2
	s_delay_alu instid0(VALU_DEP_4)
	v_lshlrev_b64 v[11:12], 3, v[2:3]
	v_mov_b32_e32 v3, 0
	v_dual_mov_b32 v4, 0 :: v_dual_lshlrev_b32 v17, 3, v15
	v_add_nc_u32_e32 v18, 0x800, v13
	s_waitcnt lgkmcnt(0)
	s_ashr_i32 s13, s12, 31
	s_ashr_i32 s15, s14, 31
	s_add_u32 s22, s22, s20
	s_addc_u32 s23, s23, s21
	v_mad_i64_i32 v[7:8], null, s14, v15, 0
	s_load_b64 s[22:23], s[22:23], 0x0
	s_add_u32 s10, s10, s20
	s_addc_u32 s11, s11, s21
	v_mad_i64_i32 v[9:10], null, s12, v16, 0
	s_load_b64 s[10:11], s[10:11], 0x0
	s_delay_alu instid0(VALU_DEP_2) | instskip(SKIP_1) | instid1(VALU_DEP_2)
	v_lshlrev_b64 v[7:8], 3, v[7:8]
	s_lshl_b64 s[12:13], s[12:13], 7
	v_lshlrev_b64 v[9:10], 3, v[9:10]
	s_delay_alu instid0(VALU_DEP_2) | instskip(NEXT) | instid1(VALU_DEP_1)
	v_add_co_u32 v7, s3, v7, v11
	v_add_co_ci_u32_e64 v8, s3, v8, v12, s3
	s_delay_alu instid0(VALU_DEP_3) | instskip(NEXT) | instid1(VALU_DEP_1)
	v_add_co_u32 v9, s3, v9, v5
	v_add_co_ci_u32_e64 v10, s3, v10, v6, s3
	s_waitcnt lgkmcnt(0)
	v_add_co_u32 v5, s3, s22, v7
	s_delay_alu instid0(VALU_DEP_1) | instskip(SKIP_1) | instid1(VALU_DEP_1)
	v_add_co_ci_u32_e64 v6, s3, s23, v8, s3
	v_add_co_u32 v7, s3, s10, v9
	v_add_co_ci_u32_e64 v8, s3, s11, v10, s3
	v_dual_mov_b32 v10, v4 :: v_dual_mov_b32 v9, v3
	v_add_nc_u32_e32 v19, v17, v13
	v_add_nc_u32_e32 v20, v18, v17
	s_lshl_b64 s[10:11], s[14:15], 7
	s_branch .LBB597_3
.LBB597_2:                              ;   in Loop: Header=BB597_3 Depth=1
	s_or_b32 exec_lo, exec_lo, s3
	s_waitcnt vmcnt(0)
	ds_store_b64 v20, v[13:14]
	s_waitcnt lgkmcnt(0)
	s_barrier
	buffer_gl0_inv
	ds_load_2addr_b64 v[11:14], v17 offset1:16
	ds_load_b128 v[21:24], v18
	ds_load_b128 v[25:28], v18 offset:16
	v_add_co_u32 v5, s3, v5, s10
	s_delay_alu instid0(VALU_DEP_1) | instskip(SKIP_1) | instid1(VALU_DEP_1)
	v_add_co_ci_u32_e64 v6, s3, s11, v6, s3
	v_add_co_u32 v7, s3, v7, s12
	v_add_co_ci_u32_e64 v8, s3, s13, v8, s3
	s_add_i32 s17, s17, 16
	s_delay_alu instid0(SALU_CYCLE_1) | instskip(SKIP_2) | instid1(VALU_DEP_1)
	s_cmp_ge_i32 s17, s19
	s_waitcnt lgkmcnt(1)
	v_fma_f64 v[9:10], v[11:12], v[21:22], v[9:10]
	v_fma_f64 v[13:14], v[13:14], v[23:24], v[9:10]
	ds_load_2addr_b64 v[9:12], v17 offset0:32 offset1:48
	s_waitcnt lgkmcnt(0)
	v_fma_f64 v[9:10], v[9:10], v[25:26], v[13:14]
	s_delay_alu instid0(VALU_DEP_1)
	v_fma_f64 v[13:14], v[11:12], v[27:28], v[9:10]
	ds_load_2addr_b64 v[9:12], v17 offset0:64 offset1:80
	ds_load_b128 v[21:24], v18 offset:32
	ds_load_b128 v[25:28], v18 offset:48
	s_waitcnt lgkmcnt(1)
	v_fma_f64 v[9:10], v[9:10], v[21:22], v[13:14]
	s_delay_alu instid0(VALU_DEP_1) | instskip(SKIP_3) | instid1(VALU_DEP_1)
	v_fma_f64 v[13:14], v[11:12], v[23:24], v[9:10]
	ds_load_2addr_b64 v[9:12], v17 offset0:96 offset1:112
	s_waitcnt lgkmcnt(0)
	v_fma_f64 v[9:10], v[9:10], v[25:26], v[13:14]
	v_fma_f64 v[13:14], v[11:12], v[27:28], v[9:10]
	ds_load_2addr_b64 v[9:12], v17 offset0:128 offset1:144
	ds_load_b128 v[21:24], v18 offset:64
	ds_load_b128 v[25:28], v18 offset:80
	s_waitcnt lgkmcnt(1)
	v_fma_f64 v[9:10], v[9:10], v[21:22], v[13:14]
	s_delay_alu instid0(VALU_DEP_1) | instskip(SKIP_3) | instid1(VALU_DEP_1)
	v_fma_f64 v[13:14], v[11:12], v[23:24], v[9:10]
	ds_load_2addr_b64 v[9:12], v17 offset0:160 offset1:176
	s_waitcnt lgkmcnt(0)
	v_fma_f64 v[9:10], v[9:10], v[25:26], v[13:14]
	v_fma_f64 v[13:14], v[11:12], v[27:28], v[9:10]
	ds_load_2addr_b64 v[9:12], v17 offset0:192 offset1:208
	ds_load_b128 v[21:24], v18 offset:96
	ds_load_b128 v[25:28], v18 offset:112
	s_waitcnt lgkmcnt(1)
	v_fma_f64 v[9:10], v[9:10], v[21:22], v[13:14]
	s_delay_alu instid0(VALU_DEP_1)
	v_fma_f64 v[13:14], v[11:12], v[23:24], v[9:10]
	ds_load_2addr_b64 v[9:12], v17 offset0:224 offset1:240
	s_waitcnt lgkmcnt(0)
	s_barrier
	buffer_gl0_inv
	v_fma_f64 v[9:10], v[9:10], v[25:26], v[13:14]
	s_delay_alu instid0(VALU_DEP_1)
	v_fma_f64 v[9:10], v[11:12], v[27:28], v[9:10]
	s_cbranch_scc1 .LBB597_8
.LBB597_3:                              ; =>This Inner Loop Header: Depth=1
	v_add_nc_u32_e32 v11, s17, v16
	s_delay_alu instid0(VALU_DEP_1) | instskip(SKIP_1) | instid1(VALU_DEP_2)
	v_cmp_gt_i32_e64 s3, s19, v11
	v_dual_mov_b32 v12, v4 :: v_dual_mov_b32 v11, v3
	s_and_b32 s14, vcc_lo, s3
	s_delay_alu instid0(SALU_CYCLE_1)
	s_and_saveexec_b32 s3, s14
	s_cbranch_execz .LBB597_5
; %bb.4:                                ;   in Loop: Header=BB597_3 Depth=1
	global_load_b64 v[11:12], v[7:8], off
.LBB597_5:                              ;   in Loop: Header=BB597_3 Depth=1
	s_or_b32 exec_lo, exec_lo, s3
	v_add_nc_u32_e32 v13, s17, v15
	s_waitcnt vmcnt(0)
	ds_store_b64 v19, v[11:12]
	v_cmp_gt_i32_e64 s3, s19, v13
	v_mov_b32_e32 v13, 0
	v_mov_b32_e32 v14, 0
	s_delay_alu instid0(VALU_DEP_3) | instskip(NEXT) | instid1(SALU_CYCLE_1)
	s_and_b32 s14, s2, s3
	s_and_saveexec_b32 s3, s14
	s_cbranch_execz .LBB597_2
; %bb.6:                                ;   in Loop: Header=BB597_3 Depth=1
	global_load_b64 v[13:14], v[5:6], off
	s_branch .LBB597_2
.LBB597_7:
	v_mov_b32_e32 v9, 0
	v_mov_b32_e32 v10, 0
.LBB597_8:
	v_cmp_le_i32_e32 vcc_lo, v2, v0
	v_cmp_gt_i32_e64 s2, s18, v0
	s_delay_alu instid0(VALU_DEP_1) | instskip(NEXT) | instid1(SALU_CYCLE_1)
	s_and_b32 s2, vcc_lo, s2
	s_and_saveexec_b32 s3, s2
	s_cbranch_execz .LBB597_10
; %bb.9:
	s_load_b32 s0, s[0:1], 0x50
	v_lshlrev_b64 v[0:1], 3, v[0:1]
	s_waitcnt lgkmcnt(0)
	v_mad_i64_i32 v[3:4], null, s0, v2, 0
	s_delay_alu instid0(VALU_DEP_1) | instskip(NEXT) | instid1(VALU_DEP_1)
	v_lshlrev_b64 v[2:3], 3, v[3:4]
	v_add_co_u32 v2, vcc_lo, s6, v2
	s_delay_alu instid0(VALU_DEP_2) | instskip(NEXT) | instid1(VALU_DEP_2)
	v_add_co_ci_u32_e32 v3, vcc_lo, s7, v3, vcc_lo
	v_add_co_u32 v0, vcc_lo, v2, v0
	s_delay_alu instid0(VALU_DEP_2) | instskip(SKIP_3) | instid1(VALU_DEP_1)
	v_add_co_ci_u32_e32 v1, vcc_lo, v3, v1, vcc_lo
	global_load_b64 v[2:3], v[0:1], off
	s_waitcnt vmcnt(0)
	v_mul_f64 v[2:3], v[2:3], s[4:5]
	v_fma_f64 v[2:3], v[9:10], s[8:9], v[2:3]
	global_store_b64 v[0:1], v[2:3], off
.LBB597_10:
	s_nop 0
	s_sendmsg sendmsg(MSG_DEALLOC_VGPRS)
	s_endpgm
	.section	.rodata,"a",@progbits
	.p2align	6, 0x0
	.amdhsa_kernel _ZL32rocblas_syrkx_herkx_small_kernelIidLi16ELb0ELb0ELc78ELc76EKPKdKPdEviT_T0_PT6_S5_lS8_S5_lS6_PT7_S5_li
		.amdhsa_group_segment_fixed_size 4096
		.amdhsa_private_segment_fixed_size 0
		.amdhsa_kernarg_size 100
		.amdhsa_user_sgpr_count 13
		.amdhsa_user_sgpr_dispatch_ptr 0
		.amdhsa_user_sgpr_queue_ptr 0
		.amdhsa_user_sgpr_kernarg_segment_ptr 1
		.amdhsa_user_sgpr_dispatch_id 0
		.amdhsa_user_sgpr_private_segment_size 0
		.amdhsa_wavefront_size32 1
		.amdhsa_uses_dynamic_stack 0
		.amdhsa_enable_private_segment 0
		.amdhsa_system_sgpr_workgroup_id_x 1
		.amdhsa_system_sgpr_workgroup_id_y 1
		.amdhsa_system_sgpr_workgroup_id_z 1
		.amdhsa_system_sgpr_workgroup_info 0
		.amdhsa_system_vgpr_workitem_id 1
		.amdhsa_next_free_vgpr 29
		.amdhsa_next_free_sgpr 24
		.amdhsa_reserve_vcc 1
		.amdhsa_float_round_mode_32 0
		.amdhsa_float_round_mode_16_64 0
		.amdhsa_float_denorm_mode_32 3
		.amdhsa_float_denorm_mode_16_64 3
		.amdhsa_dx10_clamp 1
		.amdhsa_ieee_mode 1
		.amdhsa_fp16_overflow 0
		.amdhsa_workgroup_processor_mode 1
		.amdhsa_memory_ordered 1
		.amdhsa_forward_progress 0
		.amdhsa_shared_vgpr_count 0
		.amdhsa_exception_fp_ieee_invalid_op 0
		.amdhsa_exception_fp_denorm_src 0
		.amdhsa_exception_fp_ieee_div_zero 0
		.amdhsa_exception_fp_ieee_overflow 0
		.amdhsa_exception_fp_ieee_underflow 0
		.amdhsa_exception_fp_ieee_inexact 0
		.amdhsa_exception_int_div_zero 0
	.end_amdhsa_kernel
	.section	.text._ZL32rocblas_syrkx_herkx_small_kernelIidLi16ELb0ELb0ELc78ELc76EKPKdKPdEviT_T0_PT6_S5_lS8_S5_lS6_PT7_S5_li,"axG",@progbits,_ZL32rocblas_syrkx_herkx_small_kernelIidLi16ELb0ELb0ELc78ELc76EKPKdKPdEviT_T0_PT6_S5_lS8_S5_lS6_PT7_S5_li,comdat
.Lfunc_end597:
	.size	_ZL32rocblas_syrkx_herkx_small_kernelIidLi16ELb0ELb0ELc78ELc76EKPKdKPdEviT_T0_PT6_S5_lS8_S5_lS6_PT7_S5_li, .Lfunc_end597-_ZL32rocblas_syrkx_herkx_small_kernelIidLi16ELb0ELb0ELc78ELc76EKPKdKPdEviT_T0_PT6_S5_lS8_S5_lS6_PT7_S5_li
                                        ; -- End function
	.section	.AMDGPU.csdata,"",@progbits
; Kernel info:
; codeLenInByte = 1060
; NumSgprs: 26
; NumVgprs: 29
; ScratchSize: 0
; MemoryBound: 0
; FloatMode: 240
; IeeeMode: 1
; LDSByteSize: 4096 bytes/workgroup (compile time only)
; SGPRBlocks: 3
; VGPRBlocks: 3
; NumSGPRsForWavesPerEU: 26
; NumVGPRsForWavesPerEU: 29
; Occupancy: 16
; WaveLimiterHint : 1
; COMPUTE_PGM_RSRC2:SCRATCH_EN: 0
; COMPUTE_PGM_RSRC2:USER_SGPR: 13
; COMPUTE_PGM_RSRC2:TRAP_HANDLER: 0
; COMPUTE_PGM_RSRC2:TGID_X_EN: 1
; COMPUTE_PGM_RSRC2:TGID_Y_EN: 1
; COMPUTE_PGM_RSRC2:TGID_Z_EN: 1
; COMPUTE_PGM_RSRC2:TIDIG_COMP_CNT: 1
	.section	.text._ZL32rocblas_syrkx_herkx_small_kernelIidLi16ELb0ELb0ELc84ELc85EKPKdKPdEviT_T0_PT6_S5_lS8_S5_lS6_PT7_S5_li,"axG",@progbits,_ZL32rocblas_syrkx_herkx_small_kernelIidLi16ELb0ELb0ELc84ELc85EKPKdKPdEviT_T0_PT6_S5_lS8_S5_lS6_PT7_S5_li,comdat
	.globl	_ZL32rocblas_syrkx_herkx_small_kernelIidLi16ELb0ELb0ELc84ELc85EKPKdKPdEviT_T0_PT6_S5_lS8_S5_lS6_PT7_S5_li ; -- Begin function _ZL32rocblas_syrkx_herkx_small_kernelIidLi16ELb0ELb0ELc84ELc85EKPKdKPdEviT_T0_PT6_S5_lS8_S5_lS6_PT7_S5_li
	.p2align	8
	.type	_ZL32rocblas_syrkx_herkx_small_kernelIidLi16ELb0ELb0ELc84ELc85EKPKdKPdEviT_T0_PT6_S5_lS8_S5_lS6_PT7_S5_li,@function
_ZL32rocblas_syrkx_herkx_small_kernelIidLi16ELb0ELb0ELc84ELc85EKPKdKPdEviT_T0_PT6_S5_lS8_S5_lS6_PT7_S5_li: ; @_ZL32rocblas_syrkx_herkx_small_kernelIidLi16ELb0ELb0ELc84ELc85EKPKdKPdEviT_T0_PT6_S5_lS8_S5_lS6_PT7_S5_li
; %bb.0:
	s_clause 0x1
	s_load_b128 s[4:7], s[0:1], 0x40
	s_load_b64 s[18:19], s[0:1], 0x0
	s_mov_b32 s16, s15
	s_mov_b32 s17, 0
	v_bfe_u32 v14, v0, 10, 10
	s_lshl_b64 s[20:21], s[16:17], 3
	v_and_b32_e32 v15, 0x3ff, v0
	s_delay_alu instid0(VALU_DEP_2) | instskip(NEXT) | instid1(VALU_DEP_2)
	v_lshl_add_u32 v13, s14, 4, v14
	v_lshl_add_u32 v0, s13, 4, v15
	s_waitcnt lgkmcnt(0)
	s_add_u32 s2, s6, s20
	s_addc_u32 s3, s7, s21
	s_load_b128 s[8:11], s[0:1], 0x8
	s_load_b64 s[6:7], s[2:3], 0x0
	v_cmp_gt_i32_e32 vcc_lo, s18, v13
	s_cmp_lt_i32 s19, 1
	s_cbranch_scc1 .LBB598_7
; %bb.1:
	s_clause 0x2
	s_load_b64 s[12:13], s[0:1], 0x28
	s_load_b32 s3, s[0:1], 0x30
	s_load_b32 s14, s[0:1], 0x18
	v_lshlrev_b32_e32 v16, 3, v15
	v_lshlrev_b32_e32 v7, 7, v14
	v_cmp_gt_i32_e64 s2, s18, v0
	s_waitcnt lgkmcnt(0)
	s_add_u32 s12, s12, s20
	s_addc_u32 s13, s13, s21
	v_mad_i64_i32 v[1:2], null, s3, v13, 0
	s_load_b64 s[12:13], s[12:13], 0x0
	s_add_u32 s10, s10, s20
	s_addc_u32 s11, s11, s21
	v_mad_i64_i32 v[3:4], null, s14, v0, 0
	s_load_b64 s[10:11], s[10:11], 0x0
	s_delay_alu instid0(VALU_DEP_2)
	v_lshlrev_b64 v[5:6], 3, v[1:2]
	v_mov_b32_e32 v1, 0
	v_mov_b32_e32 v2, 0
	v_lshlrev_b32_e32 v8, 3, v14
	v_add_nc_u32_e32 v17, 0x800, v7
	v_lshlrev_b64 v[3:4], 3, v[3:4]
	v_add_co_u32 v5, s3, v5, v16
	s_delay_alu instid0(VALU_DEP_1) | instskip(SKIP_1) | instid1(VALU_DEP_4)
	v_add_co_ci_u32_e64 v6, s3, 0, v6, s3
	v_add_nc_u32_e32 v18, v16, v7
	v_add_co_u32 v7, s3, v3, v8
	s_delay_alu instid0(VALU_DEP_1) | instskip(SKIP_2) | instid1(VALU_DEP_1)
	v_add_co_ci_u32_e64 v8, s3, 0, v4, s3
	s_waitcnt lgkmcnt(0)
	v_add_co_u32 v3, s3, s12, v5
	v_add_co_ci_u32_e64 v4, s3, s13, v6, s3
	v_add_co_u32 v5, s3, s10, v7
	s_delay_alu instid0(VALU_DEP_1)
	v_add_co_ci_u32_e64 v6, s3, s11, v8, s3
	v_dual_mov_b32 v8, v2 :: v_dual_add_nc_u32 v19, v17, v16
	v_mov_b32_e32 v7, v1
	s_branch .LBB598_3
.LBB598_2:                              ;   in Loop: Header=BB598_3 Depth=1
	s_or_b32 exec_lo, exec_lo, s3
	s_waitcnt vmcnt(0)
	ds_store_b64 v19, v[11:12]
	s_waitcnt lgkmcnt(0)
	s_barrier
	buffer_gl0_inv
	ds_load_2addr_b64 v[9:12], v16 offset1:16
	ds_load_b128 v[20:23], v17
	ds_load_b128 v[24:27], v17 offset:16
	v_add_co_u32 v3, s3, 0x80, v3
	s_delay_alu instid0(VALU_DEP_1) | instskip(SKIP_1) | instid1(VALU_DEP_1)
	v_add_co_ci_u32_e64 v4, s3, 0, v4, s3
	v_add_co_u32 v5, s3, 0x80, v5
	v_add_co_ci_u32_e64 v6, s3, 0, v6, s3
	s_add_i32 s17, s17, 16
	s_delay_alu instid0(SALU_CYCLE_1) | instskip(SKIP_2) | instid1(VALU_DEP_1)
	s_cmp_ge_i32 s17, s19
	s_waitcnt lgkmcnt(1)
	v_fma_f64 v[7:8], v[9:10], v[20:21], v[7:8]
	v_fma_f64 v[11:12], v[11:12], v[22:23], v[7:8]
	ds_load_2addr_b64 v[7:10], v16 offset0:32 offset1:48
	s_waitcnt lgkmcnt(0)
	v_fma_f64 v[7:8], v[7:8], v[24:25], v[11:12]
	s_delay_alu instid0(VALU_DEP_1)
	v_fma_f64 v[11:12], v[9:10], v[26:27], v[7:8]
	ds_load_2addr_b64 v[7:10], v16 offset0:64 offset1:80
	ds_load_b128 v[20:23], v17 offset:32
	ds_load_b128 v[24:27], v17 offset:48
	s_waitcnt lgkmcnt(1)
	v_fma_f64 v[7:8], v[7:8], v[20:21], v[11:12]
	s_delay_alu instid0(VALU_DEP_1) | instskip(SKIP_3) | instid1(VALU_DEP_1)
	v_fma_f64 v[11:12], v[9:10], v[22:23], v[7:8]
	ds_load_2addr_b64 v[7:10], v16 offset0:96 offset1:112
	s_waitcnt lgkmcnt(0)
	v_fma_f64 v[7:8], v[7:8], v[24:25], v[11:12]
	v_fma_f64 v[11:12], v[9:10], v[26:27], v[7:8]
	ds_load_2addr_b64 v[7:10], v16 offset0:128 offset1:144
	ds_load_b128 v[20:23], v17 offset:64
	ds_load_b128 v[24:27], v17 offset:80
	s_waitcnt lgkmcnt(1)
	v_fma_f64 v[7:8], v[7:8], v[20:21], v[11:12]
	s_delay_alu instid0(VALU_DEP_1) | instskip(SKIP_3) | instid1(VALU_DEP_1)
	v_fma_f64 v[11:12], v[9:10], v[22:23], v[7:8]
	ds_load_2addr_b64 v[7:10], v16 offset0:160 offset1:176
	s_waitcnt lgkmcnt(0)
	v_fma_f64 v[7:8], v[7:8], v[24:25], v[11:12]
	v_fma_f64 v[11:12], v[9:10], v[26:27], v[7:8]
	ds_load_2addr_b64 v[7:10], v16 offset0:192 offset1:208
	ds_load_b128 v[20:23], v17 offset:96
	ds_load_b128 v[24:27], v17 offset:112
	s_waitcnt lgkmcnt(1)
	v_fma_f64 v[7:8], v[7:8], v[20:21], v[11:12]
	s_delay_alu instid0(VALU_DEP_1)
	v_fma_f64 v[11:12], v[9:10], v[22:23], v[7:8]
	ds_load_2addr_b64 v[7:10], v16 offset0:224 offset1:240
	s_waitcnt lgkmcnt(0)
	s_barrier
	buffer_gl0_inv
	v_fma_f64 v[7:8], v[7:8], v[24:25], v[11:12]
	s_delay_alu instid0(VALU_DEP_1)
	v_fma_f64 v[7:8], v[9:10], v[26:27], v[7:8]
	s_cbranch_scc1 .LBB598_8
.LBB598_3:                              ; =>This Inner Loop Header: Depth=1
	v_add_nc_u32_e32 v9, s17, v14
	s_delay_alu instid0(VALU_DEP_1) | instskip(SKIP_1) | instid1(VALU_DEP_2)
	v_cmp_gt_i32_e64 s3, s19, v9
	v_dual_mov_b32 v10, v2 :: v_dual_mov_b32 v9, v1
	s_and_b32 s10, s2, s3
	s_delay_alu instid0(SALU_CYCLE_1)
	s_and_saveexec_b32 s3, s10
	s_cbranch_execz .LBB598_5
; %bb.4:                                ;   in Loop: Header=BB598_3 Depth=1
	global_load_b64 v[9:10], v[5:6], off
.LBB598_5:                              ;   in Loop: Header=BB598_3 Depth=1
	s_or_b32 exec_lo, exec_lo, s3
	v_add_nc_u32_e32 v11, s17, v15
	s_waitcnt vmcnt(0)
	ds_store_b64 v18, v[9:10]
	v_cmp_gt_i32_e64 s3, s19, v11
	v_mov_b32_e32 v11, 0
	v_mov_b32_e32 v12, 0
	s_delay_alu instid0(VALU_DEP_3) | instskip(NEXT) | instid1(SALU_CYCLE_1)
	s_and_b32 s10, vcc_lo, s3
	s_and_saveexec_b32 s3, s10
	s_cbranch_execz .LBB598_2
; %bb.6:                                ;   in Loop: Header=BB598_3 Depth=1
	global_load_b64 v[11:12], v[3:4], off
	s_branch .LBB598_2
.LBB598_7:
	v_mov_b32_e32 v7, 0
	v_mov_b32_e32 v8, 0
.LBB598_8:
	v_cmp_le_i32_e32 vcc_lo, v0, v13
	v_cmp_gt_i32_e64 s2, s18, v13
	s_delay_alu instid0(VALU_DEP_1) | instskip(NEXT) | instid1(SALU_CYCLE_1)
	s_and_b32 s2, vcc_lo, s2
	s_and_saveexec_b32 s3, s2
	s_cbranch_execz .LBB598_10
; %bb.9:
	s_load_b32 s0, s[0:1], 0x50
	v_ashrrev_i32_e32 v1, 31, v0
	s_delay_alu instid0(VALU_DEP_1) | instskip(SKIP_2) | instid1(VALU_DEP_1)
	v_lshlrev_b64 v[0:1], 3, v[0:1]
	s_waitcnt lgkmcnt(0)
	v_mad_i64_i32 v[2:3], null, s0, v13, 0
	v_lshlrev_b64 v[2:3], 3, v[2:3]
	s_delay_alu instid0(VALU_DEP_1) | instskip(NEXT) | instid1(VALU_DEP_2)
	v_add_co_u32 v2, vcc_lo, s6, v2
	v_add_co_ci_u32_e32 v3, vcc_lo, s7, v3, vcc_lo
	s_delay_alu instid0(VALU_DEP_2) | instskip(NEXT) | instid1(VALU_DEP_2)
	v_add_co_u32 v0, vcc_lo, v2, v0
	v_add_co_ci_u32_e32 v1, vcc_lo, v3, v1, vcc_lo
	global_load_b64 v[2:3], v[0:1], off
	s_waitcnt vmcnt(0)
	v_mul_f64 v[2:3], v[2:3], s[4:5]
	s_delay_alu instid0(VALU_DEP_1)
	v_fma_f64 v[2:3], v[7:8], s[8:9], v[2:3]
	global_store_b64 v[0:1], v[2:3], off
.LBB598_10:
	s_nop 0
	s_sendmsg sendmsg(MSG_DEALLOC_VGPRS)
	s_endpgm
	.section	.rodata,"a",@progbits
	.p2align	6, 0x0
	.amdhsa_kernel _ZL32rocblas_syrkx_herkx_small_kernelIidLi16ELb0ELb0ELc84ELc85EKPKdKPdEviT_T0_PT6_S5_lS8_S5_lS6_PT7_S5_li
		.amdhsa_group_segment_fixed_size 4096
		.amdhsa_private_segment_fixed_size 0
		.amdhsa_kernarg_size 100
		.amdhsa_user_sgpr_count 13
		.amdhsa_user_sgpr_dispatch_ptr 0
		.amdhsa_user_sgpr_queue_ptr 0
		.amdhsa_user_sgpr_kernarg_segment_ptr 1
		.amdhsa_user_sgpr_dispatch_id 0
		.amdhsa_user_sgpr_private_segment_size 0
		.amdhsa_wavefront_size32 1
		.amdhsa_uses_dynamic_stack 0
		.amdhsa_enable_private_segment 0
		.amdhsa_system_sgpr_workgroup_id_x 1
		.amdhsa_system_sgpr_workgroup_id_y 1
		.amdhsa_system_sgpr_workgroup_id_z 1
		.amdhsa_system_sgpr_workgroup_info 0
		.amdhsa_system_vgpr_workitem_id 1
		.amdhsa_next_free_vgpr 28
		.amdhsa_next_free_sgpr 22
		.amdhsa_reserve_vcc 1
		.amdhsa_float_round_mode_32 0
		.amdhsa_float_round_mode_16_64 0
		.amdhsa_float_denorm_mode_32 3
		.amdhsa_float_denorm_mode_16_64 3
		.amdhsa_dx10_clamp 1
		.amdhsa_ieee_mode 1
		.amdhsa_fp16_overflow 0
		.amdhsa_workgroup_processor_mode 1
		.amdhsa_memory_ordered 1
		.amdhsa_forward_progress 0
		.amdhsa_shared_vgpr_count 0
		.amdhsa_exception_fp_ieee_invalid_op 0
		.amdhsa_exception_fp_denorm_src 0
		.amdhsa_exception_fp_ieee_div_zero 0
		.amdhsa_exception_fp_ieee_overflow 0
		.amdhsa_exception_fp_ieee_underflow 0
		.amdhsa_exception_fp_ieee_inexact 0
		.amdhsa_exception_int_div_zero 0
	.end_amdhsa_kernel
	.section	.text._ZL32rocblas_syrkx_herkx_small_kernelIidLi16ELb0ELb0ELc84ELc85EKPKdKPdEviT_T0_PT6_S5_lS8_S5_lS6_PT7_S5_li,"axG",@progbits,_ZL32rocblas_syrkx_herkx_small_kernelIidLi16ELb0ELb0ELc84ELc85EKPKdKPdEviT_T0_PT6_S5_lS8_S5_lS6_PT7_S5_li,comdat
.Lfunc_end598:
	.size	_ZL32rocblas_syrkx_herkx_small_kernelIidLi16ELb0ELb0ELc84ELc85EKPKdKPdEviT_T0_PT6_S5_lS8_S5_lS6_PT7_S5_li, .Lfunc_end598-_ZL32rocblas_syrkx_herkx_small_kernelIidLi16ELb0ELb0ELc84ELc85EKPKdKPdEviT_T0_PT6_S5_lS8_S5_lS6_PT7_S5_li
                                        ; -- End function
	.section	.AMDGPU.csdata,"",@progbits
; Kernel info:
; codeLenInByte = 1032
; NumSgprs: 24
; NumVgprs: 28
; ScratchSize: 0
; MemoryBound: 0
; FloatMode: 240
; IeeeMode: 1
; LDSByteSize: 4096 bytes/workgroup (compile time only)
; SGPRBlocks: 2
; VGPRBlocks: 3
; NumSGPRsForWavesPerEU: 24
; NumVGPRsForWavesPerEU: 28
; Occupancy: 16
; WaveLimiterHint : 1
; COMPUTE_PGM_RSRC2:SCRATCH_EN: 0
; COMPUTE_PGM_RSRC2:USER_SGPR: 13
; COMPUTE_PGM_RSRC2:TRAP_HANDLER: 0
; COMPUTE_PGM_RSRC2:TGID_X_EN: 1
; COMPUTE_PGM_RSRC2:TGID_Y_EN: 1
; COMPUTE_PGM_RSRC2:TGID_Z_EN: 1
; COMPUTE_PGM_RSRC2:TIDIG_COMP_CNT: 1
	.section	.text._ZL32rocblas_syrkx_herkx_small_kernelIidLi16ELb0ELb0ELc67ELc85EKPKdKPdEviT_T0_PT6_S5_lS8_S5_lS6_PT7_S5_li,"axG",@progbits,_ZL32rocblas_syrkx_herkx_small_kernelIidLi16ELb0ELb0ELc67ELc85EKPKdKPdEviT_T0_PT6_S5_lS8_S5_lS6_PT7_S5_li,comdat
	.globl	_ZL32rocblas_syrkx_herkx_small_kernelIidLi16ELb0ELb0ELc67ELc85EKPKdKPdEviT_T0_PT6_S5_lS8_S5_lS6_PT7_S5_li ; -- Begin function _ZL32rocblas_syrkx_herkx_small_kernelIidLi16ELb0ELb0ELc67ELc85EKPKdKPdEviT_T0_PT6_S5_lS8_S5_lS6_PT7_S5_li
	.p2align	8
	.type	_ZL32rocblas_syrkx_herkx_small_kernelIidLi16ELb0ELb0ELc67ELc85EKPKdKPdEviT_T0_PT6_S5_lS8_S5_lS6_PT7_S5_li,@function
_ZL32rocblas_syrkx_herkx_small_kernelIidLi16ELb0ELb0ELc67ELc85EKPKdKPdEviT_T0_PT6_S5_lS8_S5_lS6_PT7_S5_li: ; @_ZL32rocblas_syrkx_herkx_small_kernelIidLi16ELb0ELb0ELc67ELc85EKPKdKPdEviT_T0_PT6_S5_lS8_S5_lS6_PT7_S5_li
; %bb.0:
	s_clause 0x1
	s_load_b128 s[4:7], s[0:1], 0x40
	s_load_b64 s[18:19], s[0:1], 0x0
	s_mov_b32 s16, s15
	s_mov_b32 s17, 0
	v_bfe_u32 v14, v0, 10, 10
	s_lshl_b64 s[20:21], s[16:17], 3
	v_and_b32_e32 v15, 0x3ff, v0
	s_delay_alu instid0(VALU_DEP_2) | instskip(NEXT) | instid1(VALU_DEP_2)
	v_lshl_add_u32 v13, s14, 4, v14
	v_lshl_add_u32 v0, s13, 4, v15
	s_waitcnt lgkmcnt(0)
	s_add_u32 s2, s6, s20
	s_addc_u32 s3, s7, s21
	s_load_b128 s[8:11], s[0:1], 0x8
	s_load_b64 s[6:7], s[2:3], 0x0
	v_cmp_gt_i32_e32 vcc_lo, s18, v13
	s_cmp_lt_i32 s19, 1
	s_cbranch_scc1 .LBB599_7
; %bb.1:
	s_clause 0x2
	s_load_b64 s[12:13], s[0:1], 0x28
	s_load_b32 s3, s[0:1], 0x30
	s_load_b32 s14, s[0:1], 0x18
	v_lshlrev_b32_e32 v16, 3, v15
	v_lshlrev_b32_e32 v7, 7, v14
	v_cmp_gt_i32_e64 s2, s18, v0
	s_waitcnt lgkmcnt(0)
	s_add_u32 s12, s12, s20
	s_addc_u32 s13, s13, s21
	v_mad_i64_i32 v[1:2], null, s3, v13, 0
	s_load_b64 s[12:13], s[12:13], 0x0
	s_add_u32 s10, s10, s20
	s_addc_u32 s11, s11, s21
	v_mad_i64_i32 v[3:4], null, s14, v0, 0
	s_load_b64 s[10:11], s[10:11], 0x0
	s_delay_alu instid0(VALU_DEP_2)
	v_lshlrev_b64 v[5:6], 3, v[1:2]
	v_mov_b32_e32 v1, 0
	v_mov_b32_e32 v2, 0
	v_lshlrev_b32_e32 v8, 3, v14
	v_add_nc_u32_e32 v17, 0x800, v7
	v_lshlrev_b64 v[3:4], 3, v[3:4]
	v_add_co_u32 v5, s3, v5, v16
	s_delay_alu instid0(VALU_DEP_1) | instskip(SKIP_1) | instid1(VALU_DEP_4)
	v_add_co_ci_u32_e64 v6, s3, 0, v6, s3
	v_add_nc_u32_e32 v18, v16, v7
	v_add_co_u32 v7, s3, v3, v8
	s_delay_alu instid0(VALU_DEP_1) | instskip(SKIP_2) | instid1(VALU_DEP_1)
	v_add_co_ci_u32_e64 v8, s3, 0, v4, s3
	s_waitcnt lgkmcnt(0)
	v_add_co_u32 v3, s3, s12, v5
	v_add_co_ci_u32_e64 v4, s3, s13, v6, s3
	v_add_co_u32 v5, s3, s10, v7
	s_delay_alu instid0(VALU_DEP_1)
	v_add_co_ci_u32_e64 v6, s3, s11, v8, s3
	v_dual_mov_b32 v8, v2 :: v_dual_add_nc_u32 v19, v17, v16
	v_mov_b32_e32 v7, v1
	s_branch .LBB599_3
.LBB599_2:                              ;   in Loop: Header=BB599_3 Depth=1
	s_or_b32 exec_lo, exec_lo, s3
	s_waitcnt vmcnt(0)
	ds_store_b64 v19, v[11:12]
	s_waitcnt lgkmcnt(0)
	s_barrier
	buffer_gl0_inv
	ds_load_2addr_b64 v[9:12], v16 offset1:16
	ds_load_b128 v[20:23], v17
	ds_load_b128 v[24:27], v17 offset:16
	v_add_co_u32 v3, s3, 0x80, v3
	s_delay_alu instid0(VALU_DEP_1) | instskip(SKIP_1) | instid1(VALU_DEP_1)
	v_add_co_ci_u32_e64 v4, s3, 0, v4, s3
	v_add_co_u32 v5, s3, 0x80, v5
	v_add_co_ci_u32_e64 v6, s3, 0, v6, s3
	s_add_i32 s17, s17, 16
	s_delay_alu instid0(SALU_CYCLE_1) | instskip(SKIP_2) | instid1(VALU_DEP_1)
	s_cmp_ge_i32 s17, s19
	s_waitcnt lgkmcnt(1)
	v_fma_f64 v[7:8], v[9:10], v[20:21], v[7:8]
	v_fma_f64 v[11:12], v[11:12], v[22:23], v[7:8]
	ds_load_2addr_b64 v[7:10], v16 offset0:32 offset1:48
	s_waitcnt lgkmcnt(0)
	v_fma_f64 v[7:8], v[7:8], v[24:25], v[11:12]
	s_delay_alu instid0(VALU_DEP_1)
	v_fma_f64 v[11:12], v[9:10], v[26:27], v[7:8]
	ds_load_2addr_b64 v[7:10], v16 offset0:64 offset1:80
	ds_load_b128 v[20:23], v17 offset:32
	ds_load_b128 v[24:27], v17 offset:48
	s_waitcnt lgkmcnt(1)
	v_fma_f64 v[7:8], v[7:8], v[20:21], v[11:12]
	s_delay_alu instid0(VALU_DEP_1) | instskip(SKIP_3) | instid1(VALU_DEP_1)
	v_fma_f64 v[11:12], v[9:10], v[22:23], v[7:8]
	ds_load_2addr_b64 v[7:10], v16 offset0:96 offset1:112
	s_waitcnt lgkmcnt(0)
	v_fma_f64 v[7:8], v[7:8], v[24:25], v[11:12]
	v_fma_f64 v[11:12], v[9:10], v[26:27], v[7:8]
	ds_load_2addr_b64 v[7:10], v16 offset0:128 offset1:144
	ds_load_b128 v[20:23], v17 offset:64
	ds_load_b128 v[24:27], v17 offset:80
	s_waitcnt lgkmcnt(1)
	v_fma_f64 v[7:8], v[7:8], v[20:21], v[11:12]
	s_delay_alu instid0(VALU_DEP_1) | instskip(SKIP_3) | instid1(VALU_DEP_1)
	v_fma_f64 v[11:12], v[9:10], v[22:23], v[7:8]
	ds_load_2addr_b64 v[7:10], v16 offset0:160 offset1:176
	s_waitcnt lgkmcnt(0)
	v_fma_f64 v[7:8], v[7:8], v[24:25], v[11:12]
	v_fma_f64 v[11:12], v[9:10], v[26:27], v[7:8]
	ds_load_2addr_b64 v[7:10], v16 offset0:192 offset1:208
	ds_load_b128 v[20:23], v17 offset:96
	ds_load_b128 v[24:27], v17 offset:112
	s_waitcnt lgkmcnt(1)
	v_fma_f64 v[7:8], v[7:8], v[20:21], v[11:12]
	s_delay_alu instid0(VALU_DEP_1)
	v_fma_f64 v[11:12], v[9:10], v[22:23], v[7:8]
	ds_load_2addr_b64 v[7:10], v16 offset0:224 offset1:240
	s_waitcnt lgkmcnt(0)
	s_barrier
	buffer_gl0_inv
	v_fma_f64 v[7:8], v[7:8], v[24:25], v[11:12]
	s_delay_alu instid0(VALU_DEP_1)
	v_fma_f64 v[7:8], v[9:10], v[26:27], v[7:8]
	s_cbranch_scc1 .LBB599_8
.LBB599_3:                              ; =>This Inner Loop Header: Depth=1
	v_add_nc_u32_e32 v9, s17, v14
	s_delay_alu instid0(VALU_DEP_1) | instskip(SKIP_1) | instid1(VALU_DEP_2)
	v_cmp_gt_i32_e64 s3, s19, v9
	v_dual_mov_b32 v10, v2 :: v_dual_mov_b32 v9, v1
	s_and_b32 s10, s2, s3
	s_delay_alu instid0(SALU_CYCLE_1)
	s_and_saveexec_b32 s3, s10
	s_cbranch_execz .LBB599_5
; %bb.4:                                ;   in Loop: Header=BB599_3 Depth=1
	global_load_b64 v[9:10], v[5:6], off
.LBB599_5:                              ;   in Loop: Header=BB599_3 Depth=1
	s_or_b32 exec_lo, exec_lo, s3
	v_add_nc_u32_e32 v11, s17, v15
	s_waitcnt vmcnt(0)
	ds_store_b64 v18, v[9:10]
	v_cmp_gt_i32_e64 s3, s19, v11
	v_mov_b32_e32 v11, 0
	v_mov_b32_e32 v12, 0
	s_delay_alu instid0(VALU_DEP_3) | instskip(NEXT) | instid1(SALU_CYCLE_1)
	s_and_b32 s10, vcc_lo, s3
	s_and_saveexec_b32 s3, s10
	s_cbranch_execz .LBB599_2
; %bb.6:                                ;   in Loop: Header=BB599_3 Depth=1
	global_load_b64 v[11:12], v[3:4], off
	s_branch .LBB599_2
.LBB599_7:
	v_mov_b32_e32 v7, 0
	v_mov_b32_e32 v8, 0
.LBB599_8:
	v_cmp_le_i32_e32 vcc_lo, v0, v13
	v_cmp_gt_i32_e64 s2, s18, v13
	s_delay_alu instid0(VALU_DEP_1) | instskip(NEXT) | instid1(SALU_CYCLE_1)
	s_and_b32 s2, vcc_lo, s2
	s_and_saveexec_b32 s3, s2
	s_cbranch_execz .LBB599_10
; %bb.9:
	s_load_b32 s0, s[0:1], 0x50
	v_ashrrev_i32_e32 v1, 31, v0
	s_delay_alu instid0(VALU_DEP_1) | instskip(SKIP_2) | instid1(VALU_DEP_1)
	v_lshlrev_b64 v[0:1], 3, v[0:1]
	s_waitcnt lgkmcnt(0)
	v_mad_i64_i32 v[2:3], null, s0, v13, 0
	v_lshlrev_b64 v[2:3], 3, v[2:3]
	s_delay_alu instid0(VALU_DEP_1) | instskip(NEXT) | instid1(VALU_DEP_2)
	v_add_co_u32 v2, vcc_lo, s6, v2
	v_add_co_ci_u32_e32 v3, vcc_lo, s7, v3, vcc_lo
	s_delay_alu instid0(VALU_DEP_2) | instskip(NEXT) | instid1(VALU_DEP_2)
	v_add_co_u32 v0, vcc_lo, v2, v0
	v_add_co_ci_u32_e32 v1, vcc_lo, v3, v1, vcc_lo
	global_load_b64 v[2:3], v[0:1], off
	s_waitcnt vmcnt(0)
	v_mul_f64 v[2:3], v[2:3], s[4:5]
	s_delay_alu instid0(VALU_DEP_1)
	v_fma_f64 v[2:3], v[7:8], s[8:9], v[2:3]
	global_store_b64 v[0:1], v[2:3], off
.LBB599_10:
	s_nop 0
	s_sendmsg sendmsg(MSG_DEALLOC_VGPRS)
	s_endpgm
	.section	.rodata,"a",@progbits
	.p2align	6, 0x0
	.amdhsa_kernel _ZL32rocblas_syrkx_herkx_small_kernelIidLi16ELb0ELb0ELc67ELc85EKPKdKPdEviT_T0_PT6_S5_lS8_S5_lS6_PT7_S5_li
		.amdhsa_group_segment_fixed_size 4096
		.amdhsa_private_segment_fixed_size 0
		.amdhsa_kernarg_size 100
		.amdhsa_user_sgpr_count 13
		.amdhsa_user_sgpr_dispatch_ptr 0
		.amdhsa_user_sgpr_queue_ptr 0
		.amdhsa_user_sgpr_kernarg_segment_ptr 1
		.amdhsa_user_sgpr_dispatch_id 0
		.amdhsa_user_sgpr_private_segment_size 0
		.amdhsa_wavefront_size32 1
		.amdhsa_uses_dynamic_stack 0
		.amdhsa_enable_private_segment 0
		.amdhsa_system_sgpr_workgroup_id_x 1
		.amdhsa_system_sgpr_workgroup_id_y 1
		.amdhsa_system_sgpr_workgroup_id_z 1
		.amdhsa_system_sgpr_workgroup_info 0
		.amdhsa_system_vgpr_workitem_id 1
		.amdhsa_next_free_vgpr 28
		.amdhsa_next_free_sgpr 22
		.amdhsa_reserve_vcc 1
		.amdhsa_float_round_mode_32 0
		.amdhsa_float_round_mode_16_64 0
		.amdhsa_float_denorm_mode_32 3
		.amdhsa_float_denorm_mode_16_64 3
		.amdhsa_dx10_clamp 1
		.amdhsa_ieee_mode 1
		.amdhsa_fp16_overflow 0
		.amdhsa_workgroup_processor_mode 1
		.amdhsa_memory_ordered 1
		.amdhsa_forward_progress 0
		.amdhsa_shared_vgpr_count 0
		.amdhsa_exception_fp_ieee_invalid_op 0
		.amdhsa_exception_fp_denorm_src 0
		.amdhsa_exception_fp_ieee_div_zero 0
		.amdhsa_exception_fp_ieee_overflow 0
		.amdhsa_exception_fp_ieee_underflow 0
		.amdhsa_exception_fp_ieee_inexact 0
		.amdhsa_exception_int_div_zero 0
	.end_amdhsa_kernel
	.section	.text._ZL32rocblas_syrkx_herkx_small_kernelIidLi16ELb0ELb0ELc67ELc85EKPKdKPdEviT_T0_PT6_S5_lS8_S5_lS6_PT7_S5_li,"axG",@progbits,_ZL32rocblas_syrkx_herkx_small_kernelIidLi16ELb0ELb0ELc67ELc85EKPKdKPdEviT_T0_PT6_S5_lS8_S5_lS6_PT7_S5_li,comdat
.Lfunc_end599:
	.size	_ZL32rocblas_syrkx_herkx_small_kernelIidLi16ELb0ELb0ELc67ELc85EKPKdKPdEviT_T0_PT6_S5_lS8_S5_lS6_PT7_S5_li, .Lfunc_end599-_ZL32rocblas_syrkx_herkx_small_kernelIidLi16ELb0ELb0ELc67ELc85EKPKdKPdEviT_T0_PT6_S5_lS8_S5_lS6_PT7_S5_li
                                        ; -- End function
	.section	.AMDGPU.csdata,"",@progbits
; Kernel info:
; codeLenInByte = 1032
; NumSgprs: 24
; NumVgprs: 28
; ScratchSize: 0
; MemoryBound: 0
; FloatMode: 240
; IeeeMode: 1
; LDSByteSize: 4096 bytes/workgroup (compile time only)
; SGPRBlocks: 2
; VGPRBlocks: 3
; NumSGPRsForWavesPerEU: 24
; NumVGPRsForWavesPerEU: 28
; Occupancy: 16
; WaveLimiterHint : 1
; COMPUTE_PGM_RSRC2:SCRATCH_EN: 0
; COMPUTE_PGM_RSRC2:USER_SGPR: 13
; COMPUTE_PGM_RSRC2:TRAP_HANDLER: 0
; COMPUTE_PGM_RSRC2:TGID_X_EN: 1
; COMPUTE_PGM_RSRC2:TGID_Y_EN: 1
; COMPUTE_PGM_RSRC2:TGID_Z_EN: 1
; COMPUTE_PGM_RSRC2:TIDIG_COMP_CNT: 1
	.section	.text._ZL32rocblas_syrkx_herkx_small_kernelIidLi16ELb0ELb0ELc78ELc85EKPKdKPdEviT_T0_PT6_S5_lS8_S5_lS6_PT7_S5_li,"axG",@progbits,_ZL32rocblas_syrkx_herkx_small_kernelIidLi16ELb0ELb0ELc78ELc85EKPKdKPdEviT_T0_PT6_S5_lS8_S5_lS6_PT7_S5_li,comdat
	.globl	_ZL32rocblas_syrkx_herkx_small_kernelIidLi16ELb0ELb0ELc78ELc85EKPKdKPdEviT_T0_PT6_S5_lS8_S5_lS6_PT7_S5_li ; -- Begin function _ZL32rocblas_syrkx_herkx_small_kernelIidLi16ELb0ELb0ELc78ELc85EKPKdKPdEviT_T0_PT6_S5_lS8_S5_lS6_PT7_S5_li
	.p2align	8
	.type	_ZL32rocblas_syrkx_herkx_small_kernelIidLi16ELb0ELb0ELc78ELc85EKPKdKPdEviT_T0_PT6_S5_lS8_S5_lS6_PT7_S5_li,@function
_ZL32rocblas_syrkx_herkx_small_kernelIidLi16ELb0ELb0ELc78ELc85EKPKdKPdEviT_T0_PT6_S5_lS8_S5_lS6_PT7_S5_li: ; @_ZL32rocblas_syrkx_herkx_small_kernelIidLi16ELb0ELb0ELc78ELc85EKPKdKPdEviT_T0_PT6_S5_lS8_S5_lS6_PT7_S5_li
; %bb.0:
	s_clause 0x1
	s_load_b128 s[4:7], s[0:1], 0x40
	s_load_b64 s[18:19], s[0:1], 0x0
	s_mov_b32 s16, s15
	s_mov_b32 s17, 0
	v_and_b32_e32 v15, 0x3ff, v0
	s_lshl_b64 s[20:21], s[16:17], 3
	v_bfe_u32 v16, v0, 10, 10
	s_delay_alu instid0(VALU_DEP_2) | instskip(NEXT) | instid1(VALU_DEP_2)
	v_lshl_add_u32 v0, s13, 4, v15
	v_lshl_add_u32 v2, s14, 4, v16
	s_delay_alu instid0(VALU_DEP_2)
	v_ashrrev_i32_e32 v1, 31, v0
	s_waitcnt lgkmcnt(0)
	s_add_u32 s2, s6, s20
	s_addc_u32 s3, s7, s21
	s_load_b128 s[8:11], s[0:1], 0x8
	s_load_b64 s[6:7], s[2:3], 0x0
	v_cmp_gt_i32_e32 vcc_lo, s18, v2
	s_cmp_lt_i32 s19, 1
	s_cbranch_scc1 .LBB600_7
; %bb.1:
	s_clause 0x2
	s_load_b32 s12, s[0:1], 0x18
	s_load_b32 s14, s[0:1], 0x30
	s_load_b64 s[22:23], s[0:1], 0x28
	v_ashrrev_i32_e32 v3, 31, v2
	v_lshlrev_b64 v[5:6], 3, v[0:1]
	v_lshlrev_b32_e32 v13, 7, v16
	v_cmp_gt_i32_e64 s2, s18, v0
	s_delay_alu instid0(VALU_DEP_4)
	v_lshlrev_b64 v[11:12], 3, v[2:3]
	v_mov_b32_e32 v3, 0
	v_dual_mov_b32 v4, 0 :: v_dual_lshlrev_b32 v17, 3, v15
	v_add_nc_u32_e32 v18, 0x800, v13
	s_waitcnt lgkmcnt(0)
	s_ashr_i32 s13, s12, 31
	s_ashr_i32 s15, s14, 31
	s_add_u32 s22, s22, s20
	s_addc_u32 s23, s23, s21
	v_mad_i64_i32 v[7:8], null, s14, v15, 0
	s_load_b64 s[22:23], s[22:23], 0x0
	s_add_u32 s10, s10, s20
	s_addc_u32 s11, s11, s21
	v_mad_i64_i32 v[9:10], null, s12, v16, 0
	s_load_b64 s[10:11], s[10:11], 0x0
	s_delay_alu instid0(VALU_DEP_2) | instskip(SKIP_1) | instid1(VALU_DEP_2)
	v_lshlrev_b64 v[7:8], 3, v[7:8]
	s_lshl_b64 s[12:13], s[12:13], 7
	v_lshlrev_b64 v[9:10], 3, v[9:10]
	s_delay_alu instid0(VALU_DEP_2) | instskip(NEXT) | instid1(VALU_DEP_1)
	v_add_co_u32 v7, s3, v7, v11
	v_add_co_ci_u32_e64 v8, s3, v8, v12, s3
	s_delay_alu instid0(VALU_DEP_3) | instskip(NEXT) | instid1(VALU_DEP_1)
	v_add_co_u32 v9, s3, v9, v5
	v_add_co_ci_u32_e64 v10, s3, v10, v6, s3
	s_waitcnt lgkmcnt(0)
	v_add_co_u32 v5, s3, s22, v7
	s_delay_alu instid0(VALU_DEP_1) | instskip(SKIP_1) | instid1(VALU_DEP_1)
	v_add_co_ci_u32_e64 v6, s3, s23, v8, s3
	v_add_co_u32 v7, s3, s10, v9
	v_add_co_ci_u32_e64 v8, s3, s11, v10, s3
	v_dual_mov_b32 v10, v4 :: v_dual_mov_b32 v9, v3
	v_add_nc_u32_e32 v19, v17, v13
	v_add_nc_u32_e32 v20, v18, v17
	s_lshl_b64 s[10:11], s[14:15], 7
	s_branch .LBB600_3
.LBB600_2:                              ;   in Loop: Header=BB600_3 Depth=1
	s_or_b32 exec_lo, exec_lo, s3
	s_waitcnt vmcnt(0)
	ds_store_b64 v20, v[13:14]
	s_waitcnt lgkmcnt(0)
	s_barrier
	buffer_gl0_inv
	ds_load_2addr_b64 v[11:14], v17 offset1:16
	ds_load_b128 v[21:24], v18
	ds_load_b128 v[25:28], v18 offset:16
	v_add_co_u32 v5, s3, v5, s10
	s_delay_alu instid0(VALU_DEP_1) | instskip(SKIP_1) | instid1(VALU_DEP_1)
	v_add_co_ci_u32_e64 v6, s3, s11, v6, s3
	v_add_co_u32 v7, s3, v7, s12
	v_add_co_ci_u32_e64 v8, s3, s13, v8, s3
	s_add_i32 s17, s17, 16
	s_delay_alu instid0(SALU_CYCLE_1) | instskip(SKIP_2) | instid1(VALU_DEP_1)
	s_cmp_ge_i32 s17, s19
	s_waitcnt lgkmcnt(1)
	v_fma_f64 v[9:10], v[11:12], v[21:22], v[9:10]
	v_fma_f64 v[13:14], v[13:14], v[23:24], v[9:10]
	ds_load_2addr_b64 v[9:12], v17 offset0:32 offset1:48
	s_waitcnt lgkmcnt(0)
	v_fma_f64 v[9:10], v[9:10], v[25:26], v[13:14]
	s_delay_alu instid0(VALU_DEP_1)
	v_fma_f64 v[13:14], v[11:12], v[27:28], v[9:10]
	ds_load_2addr_b64 v[9:12], v17 offset0:64 offset1:80
	ds_load_b128 v[21:24], v18 offset:32
	ds_load_b128 v[25:28], v18 offset:48
	s_waitcnt lgkmcnt(1)
	v_fma_f64 v[9:10], v[9:10], v[21:22], v[13:14]
	s_delay_alu instid0(VALU_DEP_1) | instskip(SKIP_3) | instid1(VALU_DEP_1)
	v_fma_f64 v[13:14], v[11:12], v[23:24], v[9:10]
	ds_load_2addr_b64 v[9:12], v17 offset0:96 offset1:112
	s_waitcnt lgkmcnt(0)
	v_fma_f64 v[9:10], v[9:10], v[25:26], v[13:14]
	v_fma_f64 v[13:14], v[11:12], v[27:28], v[9:10]
	ds_load_2addr_b64 v[9:12], v17 offset0:128 offset1:144
	ds_load_b128 v[21:24], v18 offset:64
	ds_load_b128 v[25:28], v18 offset:80
	s_waitcnt lgkmcnt(1)
	v_fma_f64 v[9:10], v[9:10], v[21:22], v[13:14]
	s_delay_alu instid0(VALU_DEP_1) | instskip(SKIP_3) | instid1(VALU_DEP_1)
	v_fma_f64 v[13:14], v[11:12], v[23:24], v[9:10]
	ds_load_2addr_b64 v[9:12], v17 offset0:160 offset1:176
	s_waitcnt lgkmcnt(0)
	v_fma_f64 v[9:10], v[9:10], v[25:26], v[13:14]
	v_fma_f64 v[13:14], v[11:12], v[27:28], v[9:10]
	ds_load_2addr_b64 v[9:12], v17 offset0:192 offset1:208
	ds_load_b128 v[21:24], v18 offset:96
	ds_load_b128 v[25:28], v18 offset:112
	s_waitcnt lgkmcnt(1)
	v_fma_f64 v[9:10], v[9:10], v[21:22], v[13:14]
	s_delay_alu instid0(VALU_DEP_1)
	v_fma_f64 v[13:14], v[11:12], v[23:24], v[9:10]
	ds_load_2addr_b64 v[9:12], v17 offset0:224 offset1:240
	s_waitcnt lgkmcnt(0)
	s_barrier
	buffer_gl0_inv
	v_fma_f64 v[9:10], v[9:10], v[25:26], v[13:14]
	s_delay_alu instid0(VALU_DEP_1)
	v_fma_f64 v[9:10], v[11:12], v[27:28], v[9:10]
	s_cbranch_scc1 .LBB600_8
.LBB600_3:                              ; =>This Inner Loop Header: Depth=1
	v_add_nc_u32_e32 v11, s17, v16
	s_delay_alu instid0(VALU_DEP_1) | instskip(SKIP_1) | instid1(VALU_DEP_2)
	v_cmp_gt_i32_e64 s3, s19, v11
	v_dual_mov_b32 v12, v4 :: v_dual_mov_b32 v11, v3
	s_and_b32 s14, s2, s3
	s_delay_alu instid0(SALU_CYCLE_1)
	s_and_saveexec_b32 s3, s14
	s_cbranch_execz .LBB600_5
; %bb.4:                                ;   in Loop: Header=BB600_3 Depth=1
	global_load_b64 v[11:12], v[7:8], off
.LBB600_5:                              ;   in Loop: Header=BB600_3 Depth=1
	s_or_b32 exec_lo, exec_lo, s3
	v_add_nc_u32_e32 v13, s17, v15
	s_waitcnt vmcnt(0)
	ds_store_b64 v19, v[11:12]
	v_cmp_gt_i32_e64 s3, s19, v13
	v_mov_b32_e32 v13, 0
	v_mov_b32_e32 v14, 0
	s_delay_alu instid0(VALU_DEP_3) | instskip(NEXT) | instid1(SALU_CYCLE_1)
	s_and_b32 s14, vcc_lo, s3
	s_and_saveexec_b32 s3, s14
	s_cbranch_execz .LBB600_2
; %bb.6:                                ;   in Loop: Header=BB600_3 Depth=1
	global_load_b64 v[13:14], v[5:6], off
	s_branch .LBB600_2
.LBB600_7:
	v_mov_b32_e32 v9, 0
	v_mov_b32_e32 v10, 0
.LBB600_8:
	v_cmp_le_i32_e32 vcc_lo, v0, v2
	v_cmp_gt_i32_e64 s2, s18, v2
	s_delay_alu instid0(VALU_DEP_1) | instskip(NEXT) | instid1(SALU_CYCLE_1)
	s_and_b32 s2, vcc_lo, s2
	s_and_saveexec_b32 s3, s2
	s_cbranch_execz .LBB600_10
; %bb.9:
	s_load_b32 s0, s[0:1], 0x50
	v_lshlrev_b64 v[0:1], 3, v[0:1]
	s_waitcnt lgkmcnt(0)
	v_mad_i64_i32 v[3:4], null, s0, v2, 0
	s_delay_alu instid0(VALU_DEP_1) | instskip(NEXT) | instid1(VALU_DEP_1)
	v_lshlrev_b64 v[2:3], 3, v[3:4]
	v_add_co_u32 v2, vcc_lo, s6, v2
	s_delay_alu instid0(VALU_DEP_2) | instskip(NEXT) | instid1(VALU_DEP_2)
	v_add_co_ci_u32_e32 v3, vcc_lo, s7, v3, vcc_lo
	v_add_co_u32 v0, vcc_lo, v2, v0
	s_delay_alu instid0(VALU_DEP_2) | instskip(SKIP_3) | instid1(VALU_DEP_1)
	v_add_co_ci_u32_e32 v1, vcc_lo, v3, v1, vcc_lo
	global_load_b64 v[2:3], v[0:1], off
	s_waitcnt vmcnt(0)
	v_mul_f64 v[2:3], v[2:3], s[4:5]
	v_fma_f64 v[2:3], v[9:10], s[8:9], v[2:3]
	global_store_b64 v[0:1], v[2:3], off
.LBB600_10:
	s_nop 0
	s_sendmsg sendmsg(MSG_DEALLOC_VGPRS)
	s_endpgm
	.section	.rodata,"a",@progbits
	.p2align	6, 0x0
	.amdhsa_kernel _ZL32rocblas_syrkx_herkx_small_kernelIidLi16ELb0ELb0ELc78ELc85EKPKdKPdEviT_T0_PT6_S5_lS8_S5_lS6_PT7_S5_li
		.amdhsa_group_segment_fixed_size 4096
		.amdhsa_private_segment_fixed_size 0
		.amdhsa_kernarg_size 100
		.amdhsa_user_sgpr_count 13
		.amdhsa_user_sgpr_dispatch_ptr 0
		.amdhsa_user_sgpr_queue_ptr 0
		.amdhsa_user_sgpr_kernarg_segment_ptr 1
		.amdhsa_user_sgpr_dispatch_id 0
		.amdhsa_user_sgpr_private_segment_size 0
		.amdhsa_wavefront_size32 1
		.amdhsa_uses_dynamic_stack 0
		.amdhsa_enable_private_segment 0
		.amdhsa_system_sgpr_workgroup_id_x 1
		.amdhsa_system_sgpr_workgroup_id_y 1
		.amdhsa_system_sgpr_workgroup_id_z 1
		.amdhsa_system_sgpr_workgroup_info 0
		.amdhsa_system_vgpr_workitem_id 1
		.amdhsa_next_free_vgpr 29
		.amdhsa_next_free_sgpr 24
		.amdhsa_reserve_vcc 1
		.amdhsa_float_round_mode_32 0
		.amdhsa_float_round_mode_16_64 0
		.amdhsa_float_denorm_mode_32 3
		.amdhsa_float_denorm_mode_16_64 3
		.amdhsa_dx10_clamp 1
		.amdhsa_ieee_mode 1
		.amdhsa_fp16_overflow 0
		.amdhsa_workgroup_processor_mode 1
		.amdhsa_memory_ordered 1
		.amdhsa_forward_progress 0
		.amdhsa_shared_vgpr_count 0
		.amdhsa_exception_fp_ieee_invalid_op 0
		.amdhsa_exception_fp_denorm_src 0
		.amdhsa_exception_fp_ieee_div_zero 0
		.amdhsa_exception_fp_ieee_overflow 0
		.amdhsa_exception_fp_ieee_underflow 0
		.amdhsa_exception_fp_ieee_inexact 0
		.amdhsa_exception_int_div_zero 0
	.end_amdhsa_kernel
	.section	.text._ZL32rocblas_syrkx_herkx_small_kernelIidLi16ELb0ELb0ELc78ELc85EKPKdKPdEviT_T0_PT6_S5_lS8_S5_lS6_PT7_S5_li,"axG",@progbits,_ZL32rocblas_syrkx_herkx_small_kernelIidLi16ELb0ELb0ELc78ELc85EKPKdKPdEviT_T0_PT6_S5_lS8_S5_lS6_PT7_S5_li,comdat
.Lfunc_end600:
	.size	_ZL32rocblas_syrkx_herkx_small_kernelIidLi16ELb0ELb0ELc78ELc85EKPKdKPdEviT_T0_PT6_S5_lS8_S5_lS6_PT7_S5_li, .Lfunc_end600-_ZL32rocblas_syrkx_herkx_small_kernelIidLi16ELb0ELb0ELc78ELc85EKPKdKPdEviT_T0_PT6_S5_lS8_S5_lS6_PT7_S5_li
                                        ; -- End function
	.section	.AMDGPU.csdata,"",@progbits
; Kernel info:
; codeLenInByte = 1060
; NumSgprs: 26
; NumVgprs: 29
; ScratchSize: 0
; MemoryBound: 0
; FloatMode: 240
; IeeeMode: 1
; LDSByteSize: 4096 bytes/workgroup (compile time only)
; SGPRBlocks: 3
; VGPRBlocks: 3
; NumSGPRsForWavesPerEU: 26
; NumVGPRsForWavesPerEU: 29
; Occupancy: 16
; WaveLimiterHint : 1
; COMPUTE_PGM_RSRC2:SCRATCH_EN: 0
; COMPUTE_PGM_RSRC2:USER_SGPR: 13
; COMPUTE_PGM_RSRC2:TRAP_HANDLER: 0
; COMPUTE_PGM_RSRC2:TGID_X_EN: 1
; COMPUTE_PGM_RSRC2:TGID_Y_EN: 1
; COMPUTE_PGM_RSRC2:TGID_Z_EN: 1
; COMPUTE_PGM_RSRC2:TIDIG_COMP_CNT: 1
	.section	.text._ZL34rocblas_syrkx_herkx_general_kernelIidLi16ELi32ELi8ELb1ELb0ELc84ELc76EKPKdKPdEviT_T0_PT8_S5_lS8_S5_lS6_PT9_S5_li,"axG",@progbits,_ZL34rocblas_syrkx_herkx_general_kernelIidLi16ELi32ELi8ELb1ELb0ELc84ELc76EKPKdKPdEviT_T0_PT8_S5_lS8_S5_lS6_PT9_S5_li,comdat
	.globl	_ZL34rocblas_syrkx_herkx_general_kernelIidLi16ELi32ELi8ELb1ELb0ELc84ELc76EKPKdKPdEviT_T0_PT8_S5_lS8_S5_lS6_PT9_S5_li ; -- Begin function _ZL34rocblas_syrkx_herkx_general_kernelIidLi16ELi32ELi8ELb1ELb0ELc84ELc76EKPKdKPdEviT_T0_PT8_S5_lS8_S5_lS6_PT9_S5_li
	.p2align	8
	.type	_ZL34rocblas_syrkx_herkx_general_kernelIidLi16ELi32ELi8ELb1ELb0ELc84ELc76EKPKdKPdEviT_T0_PT8_S5_lS8_S5_lS6_PT9_S5_li,@function
_ZL34rocblas_syrkx_herkx_general_kernelIidLi16ELi32ELi8ELb1ELb0ELc84ELc76EKPKdKPdEviT_T0_PT8_S5_lS8_S5_lS6_PT9_S5_li: ; @_ZL34rocblas_syrkx_herkx_general_kernelIidLi16ELi32ELi8ELb1ELb0ELc84ELc76EKPKdKPdEviT_T0_PT8_S5_lS8_S5_lS6_PT9_S5_li
; %bb.0:
	s_clause 0x1
	s_load_b64 s[4:5], s[0:1], 0x48
	s_load_b64 s[10:11], s[0:1], 0x0
	s_mov_b32 s16, s15
	s_mov_b32 s17, 0
	v_mov_b32_e32 v12, 0
	s_lshl_b64 s[2:3], s[16:17], 3
	v_dual_mov_b32 v13, 0 :: v_dual_and_b32 v18, 0x3ff, v0
	v_bfe_u32 v19, v0, 10, 10
	s_delay_alu instid0(VALU_DEP_3) | instskip(NEXT) | instid1(VALU_DEP_3)
	v_mov_b32_e32 v10, v12
	v_dual_mov_b32 v6, v12 :: v_dual_mov_b32 v7, v13
	v_dual_mov_b32 v11, v13 :: v_dual_mov_b32 v2, v12
	v_mov_b32_e32 v3, v13
	s_waitcnt lgkmcnt(0)
	s_add_u32 s8, s4, s2
	s_addc_u32 s9, s5, s3
	s_load_b128 s[4:7], s[0:1], 0x8
	s_load_b64 s[8:9], s[8:9], 0x0
	s_lshl_b32 s12, s13, 5
	s_lshl_b32 s13, s14, 5
	s_cmp_lt_i32 s11, 1
	s_cbranch_scc1 .LBB601_7
; %bb.1:
	s_clause 0x2
	s_load_b64 s[14:15], s[0:1], 0x28
	s_load_b32 s16, s[0:1], 0x18
	s_load_b32 s18, s[0:1], 0x30
	v_lshl_add_u32 v2, v19, 4, v18
	v_dual_mov_b32 v0, 0 :: v_dual_lshlrev_b32 v21, 3, v18
	v_dual_mov_b32 v1, 0 :: v_dual_and_b32 v20, 7, v18
	s_delay_alu instid0(VALU_DEP_3) | instskip(SKIP_2) | instid1(VALU_DEP_4)
	v_and_b32_e32 v3, 31, v2
	v_lshrrev_b32_e32 v4, 3, v2
	v_lshrrev_b32_e32 v23, 5, v2
	v_dual_mov_b32 v13, v1 :: v_dual_lshlrev_b32 v6, 3, v20
	s_delay_alu instid0(VALU_DEP_4) | instskip(NEXT) | instid1(VALU_DEP_4)
	v_add_nc_u32_e32 v5, s12, v3
	v_add_nc_u32_e32 v7, s13, v4
	v_or_b32_e32 v8, s12, v3
	v_dual_mov_b32 v12, v0 :: v_dual_lshlrev_b32 v9, 3, v3
	v_lshl_or_b32 v10, v4, 6, v6
	v_lshlrev_b32_e32 v11, 3, v23
	s_waitcnt lgkmcnt(0)
	s_add_u32 s14, s14, s2
	s_addc_u32 s15, s15, s3
	s_add_u32 s2, s6, s2
	s_addc_u32 s3, s7, s3
	v_mad_i64_i32 v[2:3], null, s16, v5, 0
	s_load_b64 s[6:7], s[2:3], 0x0
	v_mad_i64_i32 v[4:5], null, s18, v7, 0
	s_load_b64 s[14:15], s[14:15], 0x0
	v_cmp_gt_i32_e64 s2, s10, v7
	v_cmp_gt_i32_e32 vcc_lo, s10, v8
	s_delay_alu instid0(VALU_DEP_4)
	v_lshlrev_b64 v[2:3], 3, v[2:3]
	v_lshl_or_b32 v24, v23, 8, v9
	v_add_nc_u32_e32 v25, 0x800, v10
	v_lshlrev_b64 v[4:5], 3, v[4:5]
	v_lshl_add_u32 v22, v19, 6, 0x800
	v_add_co_u32 v2, s3, v2, v11
	s_delay_alu instid0(VALU_DEP_1) | instskip(NEXT) | instid1(VALU_DEP_4)
	v_add_co_ci_u32_e64 v3, s3, 0, v3, s3
	v_add_co_u32 v6, s3, v4, v6
	s_delay_alu instid0(VALU_DEP_1) | instskip(SKIP_2) | instid1(VALU_DEP_1)
	v_add_co_ci_u32_e64 v7, s3, 0, v5, s3
	s_waitcnt lgkmcnt(0)
	v_add_co_u32 v4, s3, s6, v2
	v_add_co_ci_u32_e64 v5, s3, s7, v3, s3
	v_add_co_u32 v8, s3, s14, v6
	s_delay_alu instid0(VALU_DEP_1)
	v_add_co_ci_u32_e64 v9, s3, s15, v7, s3
	v_mov_b32_e32 v3, v1
	v_mov_b32_e32 v7, v1
	v_dual_mov_b32 v11, v1 :: v_dual_mov_b32 v2, v0
	v_mov_b32_e32 v6, v0
	v_mov_b32_e32 v10, v0
	s_branch .LBB601_3
.LBB601_2:                              ;   in Loop: Header=BB601_3 Depth=1
	s_or_b32 exec_lo, exec_lo, s3
	s_waitcnt vmcnt(0)
	ds_store_b64 v25, v[16:17]
	s_waitcnt lgkmcnt(0)
	s_barrier
	buffer_gl0_inv
	ds_load_2addr_b64 v[14:17], v21 offset1:16
	ds_load_b128 v[26:29], v22
	ds_load_b128 v[30:33], v22 offset:1024
	ds_load_b128 v[34:37], v22 offset:16
	;; [unrolled: 1-line block ×3, first 2 shown]
	v_add_co_u32 v4, s3, v4, 64
	s_delay_alu instid0(VALU_DEP_1) | instskip(SKIP_1) | instid1(VALU_DEP_1)
	v_add_co_ci_u32_e64 v5, s3, 0, v5, s3
	v_add_co_u32 v8, s3, v8, 64
	v_add_co_ci_u32_e64 v9, s3, 0, v9, s3
	s_add_i32 s17, s17, 8
	s_delay_alu instid0(SALU_CYCLE_1)
	s_cmp_ge_i32 s17, s11
	s_waitcnt lgkmcnt(3)
	v_fma_f64 v[42:43], v[14:15], v[26:27], v[12:13]
	v_fma_f64 v[26:27], v[16:17], v[26:27], v[10:11]
	s_waitcnt lgkmcnt(2)
	v_fma_f64 v[6:7], v[14:15], v[30:31], v[6:7]
	v_fma_f64 v[2:3], v[16:17], v[30:31], v[2:3]
	ds_load_2addr_b64 v[10:13], v21 offset0:32 offset1:48
	s_waitcnt lgkmcnt(0)
	v_fma_f64 v[14:15], v[10:11], v[28:29], v[42:43]
	v_fma_f64 v[16:17], v[12:13], v[28:29], v[26:27]
	v_fma_f64 v[6:7], v[10:11], v[32:33], v[6:7]
	v_fma_f64 v[2:3], v[12:13], v[32:33], v[2:3]
	ds_load_2addr_b64 v[10:13], v21 offset0:64 offset1:80
	s_waitcnt lgkmcnt(0)
	v_fma_f64 v[14:15], v[10:11], v[34:35], v[14:15]
	v_fma_f64 v[16:17], v[12:13], v[34:35], v[16:17]
	;; [unrolled: 6-line block ×3, first 2 shown]
	v_fma_f64 v[6:7], v[10:11], v[40:41], v[6:7]
	v_fma_f64 v[2:3], v[12:13], v[40:41], v[2:3]
	ds_load_2addr_b64 v[10:13], v21 offset0:128 offset1:144
	ds_load_b128 v[14:17], v22 offset:32
	ds_load_b128 v[26:29], v22 offset:1056
	ds_load_b128 v[30:33], v22 offset:48
	ds_load_b128 v[34:37], v22 offset:1072
	s_waitcnt lgkmcnt(3)
	v_fma_f64 v[38:39], v[10:11], v[14:15], v[38:39]
	v_fma_f64 v[14:15], v[12:13], v[14:15], v[42:43]
	s_waitcnt lgkmcnt(2)
	v_fma_f64 v[6:7], v[10:11], v[26:27], v[6:7]
	v_fma_f64 v[2:3], v[12:13], v[26:27], v[2:3]
	ds_load_2addr_b64 v[10:13], v21 offset0:160 offset1:176
	s_waitcnt lgkmcnt(0)
	v_fma_f64 v[26:27], v[10:11], v[16:17], v[38:39]
	v_fma_f64 v[14:15], v[12:13], v[16:17], v[14:15]
	v_fma_f64 v[6:7], v[10:11], v[28:29], v[6:7]
	v_fma_f64 v[2:3], v[12:13], v[28:29], v[2:3]
	ds_load_2addr_b64 v[10:13], v21 offset0:192 offset1:208
	s_waitcnt lgkmcnt(0)
	v_fma_f64 v[26:27], v[10:11], v[30:31], v[26:27]
	v_fma_f64 v[28:29], v[12:13], v[30:31], v[14:15]
	;; [unrolled: 1-line block ×4, first 2 shown]
	ds_load_2addr_b64 v[14:17], v21 offset0:224 offset1:240
	s_waitcnt lgkmcnt(0)
	s_barrier
	buffer_gl0_inv
	v_fma_f64 v[12:13], v[14:15], v[32:33], v[26:27]
	v_fma_f64 v[10:11], v[16:17], v[32:33], v[28:29]
	;; [unrolled: 1-line block ×4, first 2 shown]
	s_cbranch_scc1 .LBB601_7
.LBB601_3:                              ; =>This Inner Loop Header: Depth=1
	v_add_nc_u32_e32 v14, s17, v23
	s_delay_alu instid0(VALU_DEP_1) | instskip(SKIP_1) | instid1(VALU_DEP_2)
	v_cmp_gt_i32_e64 s3, s11, v14
	v_dual_mov_b32 v15, v1 :: v_dual_mov_b32 v14, v0
	s_and_b32 s6, vcc_lo, s3
	s_delay_alu instid0(SALU_CYCLE_1)
	s_and_saveexec_b32 s3, s6
	s_cbranch_execz .LBB601_5
; %bb.4:                                ;   in Loop: Header=BB601_3 Depth=1
	global_load_b64 v[14:15], v[4:5], off
.LBB601_5:                              ;   in Loop: Header=BB601_3 Depth=1
	s_or_b32 exec_lo, exec_lo, s3
	v_add_nc_u32_e32 v16, s17, v20
	s_waitcnt vmcnt(0)
	ds_store_b64 v24, v[14:15]
	v_cmp_gt_i32_e64 s3, s11, v16
	v_dual_mov_b32 v17, v1 :: v_dual_mov_b32 v16, v0
	s_delay_alu instid0(VALU_DEP_2) | instskip(NEXT) | instid1(SALU_CYCLE_1)
	s_and_b32 s6, s3, s2
	s_and_saveexec_b32 s3, s6
	s_cbranch_execz .LBB601_2
; %bb.6:                                ;   in Loop: Header=BB601_3 Depth=1
	global_load_b64 v[16:17], v[8:9], off
	s_branch .LBB601_2
.LBB601_7:
	s_load_b32 s2, s[0:1], 0x50
	v_add_nc_u32_e32 v8, s13, v19
	v_add_nc_u32_e32 v0, s12, v18
	s_delay_alu instid0(VALU_DEP_1) | instskip(SKIP_1) | instid1(VALU_DEP_2)
	v_cmp_le_i32_e64 s0, v8, v0
	v_cmp_gt_i32_e32 vcc_lo, s10, v0
	s_and_b32 s0, s0, vcc_lo
	s_waitcnt lgkmcnt(0)
	v_mad_i64_i32 v[4:5], null, v8, s2, 0
	s_delay_alu instid0(VALU_DEP_1) | instskip(NEXT) | instid1(VALU_DEP_1)
	v_lshlrev_b64 v[4:5], 3, v[4:5]
	v_add_co_u32 v9, s1, s8, v4
	s_delay_alu instid0(VALU_DEP_1)
	v_add_co_ci_u32_e64 v14, s1, s9, v5, s1
	s_and_saveexec_b32 s1, s0
	s_cbranch_execz .LBB601_9
; %bb.8:
	v_mul_f64 v[4:5], v[12:13], s[4:5]
	v_ashrrev_i32_e32 v1, 31, v0
	s_delay_alu instid0(VALU_DEP_1) | instskip(NEXT) | instid1(VALU_DEP_1)
	v_lshlrev_b64 v[12:13], 3, v[0:1]
	v_add_co_u32 v12, s0, v9, v12
	s_delay_alu instid0(VALU_DEP_1)
	v_add_co_ci_u32_e64 v13, s0, v14, v13, s0
	global_store_b64 v[12:13], v[4:5], off
.LBB601_9:
	s_or_b32 exec_lo, exec_lo, s1
	v_add_nc_u32_e32 v4, 16, v0
	s_delay_alu instid0(VALU_DEP_1) | instskip(SKIP_1) | instid1(VALU_DEP_1)
	v_cmp_le_i32_e64 s1, v8, v4
	v_cmp_gt_i32_e64 s0, s10, v4
	s_and_b32 s1, s1, s0
	s_delay_alu instid0(SALU_CYCLE_1)
	s_and_saveexec_b32 s3, s1
	s_cbranch_execz .LBB601_11
; %bb.10:
	v_mul_f64 v[10:11], v[10:11], s[4:5]
	v_ashrrev_i32_e32 v5, 31, v4
	s_delay_alu instid0(VALU_DEP_1) | instskip(NEXT) | instid1(VALU_DEP_1)
	v_lshlrev_b64 v[12:13], 3, v[4:5]
	v_add_co_u32 v12, s1, v9, v12
	s_delay_alu instid0(VALU_DEP_1)
	v_add_co_ci_u32_e64 v13, s1, v14, v13, s1
	global_store_b64 v[12:13], v[10:11], off
.LBB601_11:
	s_or_b32 exec_lo, exec_lo, s3
	v_add_nc_u32_e32 v5, 16, v8
	s_delay_alu instid0(VALU_DEP_1) | instskip(SKIP_1) | instid1(VALU_DEP_2)
	v_mad_i64_i32 v[8:9], null, v5, s2, 0
	v_cmp_le_i32_e64 s1, v5, v0
	v_lshlrev_b64 v[8:9], 3, v[8:9]
	s_delay_alu instid0(VALU_DEP_1) | instskip(NEXT) | instid1(VALU_DEP_1)
	v_add_co_u32 v8, s2, s8, v8
	v_add_co_ci_u32_e64 v9, s2, s9, v9, s2
	s_delay_alu instid0(VALU_DEP_4) | instskip(NEXT) | instid1(SALU_CYCLE_1)
	s_and_b32 s2, s1, vcc_lo
	s_and_saveexec_b32 s1, s2
	s_cbranch_execz .LBB601_13
; %bb.12:
	v_mul_f64 v[6:7], v[6:7], s[4:5]
	v_ashrrev_i32_e32 v1, 31, v0
	s_delay_alu instid0(VALU_DEP_1) | instskip(NEXT) | instid1(VALU_DEP_1)
	v_lshlrev_b64 v[0:1], 3, v[0:1]
	v_add_co_u32 v0, vcc_lo, v8, v0
	s_delay_alu instid0(VALU_DEP_2)
	v_add_co_ci_u32_e32 v1, vcc_lo, v9, v1, vcc_lo
	global_store_b64 v[0:1], v[6:7], off
.LBB601_13:
	s_or_b32 exec_lo, exec_lo, s1
	v_cmp_le_i32_e32 vcc_lo, v5, v4
	s_and_b32 s0, vcc_lo, s0
	s_delay_alu instid0(SALU_CYCLE_1)
	s_and_saveexec_b32 s1, s0
	s_cbranch_execz .LBB601_15
; %bb.14:
	v_mul_f64 v[0:1], v[2:3], s[4:5]
	v_ashrrev_i32_e32 v5, 31, v4
	s_delay_alu instid0(VALU_DEP_1) | instskip(NEXT) | instid1(VALU_DEP_1)
	v_lshlrev_b64 v[2:3], 3, v[4:5]
	v_add_co_u32 v2, vcc_lo, v8, v2
	s_delay_alu instid0(VALU_DEP_2)
	v_add_co_ci_u32_e32 v3, vcc_lo, v9, v3, vcc_lo
	global_store_b64 v[2:3], v[0:1], off
.LBB601_15:
	s_nop 0
	s_sendmsg sendmsg(MSG_DEALLOC_VGPRS)
	s_endpgm
	.section	.rodata,"a",@progbits
	.p2align	6, 0x0
	.amdhsa_kernel _ZL34rocblas_syrkx_herkx_general_kernelIidLi16ELi32ELi8ELb1ELb0ELc84ELc76EKPKdKPdEviT_T0_PT8_S5_lS8_S5_lS6_PT9_S5_li
		.amdhsa_group_segment_fixed_size 4096
		.amdhsa_private_segment_fixed_size 0
		.amdhsa_kernarg_size 100
		.amdhsa_user_sgpr_count 13
		.amdhsa_user_sgpr_dispatch_ptr 0
		.amdhsa_user_sgpr_queue_ptr 0
		.amdhsa_user_sgpr_kernarg_segment_ptr 1
		.amdhsa_user_sgpr_dispatch_id 0
		.amdhsa_user_sgpr_private_segment_size 0
		.amdhsa_wavefront_size32 1
		.amdhsa_uses_dynamic_stack 0
		.amdhsa_enable_private_segment 0
		.amdhsa_system_sgpr_workgroup_id_x 1
		.amdhsa_system_sgpr_workgroup_id_y 1
		.amdhsa_system_sgpr_workgroup_id_z 1
		.amdhsa_system_sgpr_workgroup_info 0
		.amdhsa_system_vgpr_workitem_id 1
		.amdhsa_next_free_vgpr 44
		.amdhsa_next_free_sgpr 19
		.amdhsa_reserve_vcc 1
		.amdhsa_float_round_mode_32 0
		.amdhsa_float_round_mode_16_64 0
		.amdhsa_float_denorm_mode_32 3
		.amdhsa_float_denorm_mode_16_64 3
		.amdhsa_dx10_clamp 1
		.amdhsa_ieee_mode 1
		.amdhsa_fp16_overflow 0
		.amdhsa_workgroup_processor_mode 1
		.amdhsa_memory_ordered 1
		.amdhsa_forward_progress 0
		.amdhsa_shared_vgpr_count 0
		.amdhsa_exception_fp_ieee_invalid_op 0
		.amdhsa_exception_fp_denorm_src 0
		.amdhsa_exception_fp_ieee_div_zero 0
		.amdhsa_exception_fp_ieee_overflow 0
		.amdhsa_exception_fp_ieee_underflow 0
		.amdhsa_exception_fp_ieee_inexact 0
		.amdhsa_exception_int_div_zero 0
	.end_amdhsa_kernel
	.section	.text._ZL34rocblas_syrkx_herkx_general_kernelIidLi16ELi32ELi8ELb1ELb0ELc84ELc76EKPKdKPdEviT_T0_PT8_S5_lS8_S5_lS6_PT9_S5_li,"axG",@progbits,_ZL34rocblas_syrkx_herkx_general_kernelIidLi16ELi32ELi8ELb1ELb0ELc84ELc76EKPKdKPdEviT_T0_PT8_S5_lS8_S5_lS6_PT9_S5_li,comdat
.Lfunc_end601:
	.size	_ZL34rocblas_syrkx_herkx_general_kernelIidLi16ELi32ELi8ELb1ELb0ELc84ELc76EKPKdKPdEviT_T0_PT8_S5_lS8_S5_lS6_PT9_S5_li, .Lfunc_end601-_ZL34rocblas_syrkx_herkx_general_kernelIidLi16ELi32ELi8ELb1ELb0ELc84ELc76EKPKdKPdEviT_T0_PT8_S5_lS8_S5_lS6_PT9_S5_li
                                        ; -- End function
	.section	.AMDGPU.csdata,"",@progbits
; Kernel info:
; codeLenInByte = 1532
; NumSgprs: 21
; NumVgprs: 44
; ScratchSize: 0
; MemoryBound: 0
; FloatMode: 240
; IeeeMode: 1
; LDSByteSize: 4096 bytes/workgroup (compile time only)
; SGPRBlocks: 2
; VGPRBlocks: 5
; NumSGPRsForWavesPerEU: 21
; NumVGPRsForWavesPerEU: 44
; Occupancy: 16
; WaveLimiterHint : 1
; COMPUTE_PGM_RSRC2:SCRATCH_EN: 0
; COMPUTE_PGM_RSRC2:USER_SGPR: 13
; COMPUTE_PGM_RSRC2:TRAP_HANDLER: 0
; COMPUTE_PGM_RSRC2:TGID_X_EN: 1
; COMPUTE_PGM_RSRC2:TGID_Y_EN: 1
; COMPUTE_PGM_RSRC2:TGID_Z_EN: 1
; COMPUTE_PGM_RSRC2:TIDIG_COMP_CNT: 1
	.section	.text._ZL34rocblas_syrkx_herkx_general_kernelIidLi16ELi32ELi8ELb1ELb0ELc67ELc76EKPKdKPdEviT_T0_PT8_S5_lS8_S5_lS6_PT9_S5_li,"axG",@progbits,_ZL34rocblas_syrkx_herkx_general_kernelIidLi16ELi32ELi8ELb1ELb0ELc67ELc76EKPKdKPdEviT_T0_PT8_S5_lS8_S5_lS6_PT9_S5_li,comdat
	.globl	_ZL34rocblas_syrkx_herkx_general_kernelIidLi16ELi32ELi8ELb1ELb0ELc67ELc76EKPKdKPdEviT_T0_PT8_S5_lS8_S5_lS6_PT9_S5_li ; -- Begin function _ZL34rocblas_syrkx_herkx_general_kernelIidLi16ELi32ELi8ELb1ELb0ELc67ELc76EKPKdKPdEviT_T0_PT8_S5_lS8_S5_lS6_PT9_S5_li
	.p2align	8
	.type	_ZL34rocblas_syrkx_herkx_general_kernelIidLi16ELi32ELi8ELb1ELb0ELc67ELc76EKPKdKPdEviT_T0_PT8_S5_lS8_S5_lS6_PT9_S5_li,@function
_ZL34rocblas_syrkx_herkx_general_kernelIidLi16ELi32ELi8ELb1ELb0ELc67ELc76EKPKdKPdEviT_T0_PT8_S5_lS8_S5_lS6_PT9_S5_li: ; @_ZL34rocblas_syrkx_herkx_general_kernelIidLi16ELi32ELi8ELb1ELb0ELc67ELc76EKPKdKPdEviT_T0_PT8_S5_lS8_S5_lS6_PT9_S5_li
; %bb.0:
	s_clause 0x1
	s_load_b64 s[4:5], s[0:1], 0x48
	s_load_b64 s[10:11], s[0:1], 0x0
	s_mov_b32 s16, s15
	s_mov_b32 s17, 0
	v_mov_b32_e32 v12, 0
	s_lshl_b64 s[2:3], s[16:17], 3
	v_dual_mov_b32 v13, 0 :: v_dual_and_b32 v18, 0x3ff, v0
	v_bfe_u32 v19, v0, 10, 10
	s_delay_alu instid0(VALU_DEP_3) | instskip(NEXT) | instid1(VALU_DEP_3)
	v_mov_b32_e32 v10, v12
	v_dual_mov_b32 v6, v12 :: v_dual_mov_b32 v7, v13
	v_dual_mov_b32 v11, v13 :: v_dual_mov_b32 v2, v12
	v_mov_b32_e32 v3, v13
	s_waitcnt lgkmcnt(0)
	s_add_u32 s8, s4, s2
	s_addc_u32 s9, s5, s3
	s_load_b128 s[4:7], s[0:1], 0x8
	s_load_b64 s[8:9], s[8:9], 0x0
	s_lshl_b32 s12, s13, 5
	s_lshl_b32 s13, s14, 5
	s_cmp_lt_i32 s11, 1
	s_cbranch_scc1 .LBB602_7
; %bb.1:
	s_clause 0x2
	s_load_b64 s[14:15], s[0:1], 0x28
	s_load_b32 s16, s[0:1], 0x18
	s_load_b32 s18, s[0:1], 0x30
	v_lshl_add_u32 v2, v19, 4, v18
	v_dual_mov_b32 v0, 0 :: v_dual_lshlrev_b32 v21, 3, v18
	v_dual_mov_b32 v1, 0 :: v_dual_and_b32 v20, 7, v18
	s_delay_alu instid0(VALU_DEP_3) | instskip(SKIP_2) | instid1(VALU_DEP_4)
	v_and_b32_e32 v3, 31, v2
	v_lshrrev_b32_e32 v4, 3, v2
	v_lshrrev_b32_e32 v23, 5, v2
	v_dual_mov_b32 v13, v1 :: v_dual_lshlrev_b32 v6, 3, v20
	s_delay_alu instid0(VALU_DEP_4) | instskip(NEXT) | instid1(VALU_DEP_4)
	v_add_nc_u32_e32 v5, s12, v3
	v_add_nc_u32_e32 v7, s13, v4
	v_or_b32_e32 v8, s12, v3
	v_dual_mov_b32 v12, v0 :: v_dual_lshlrev_b32 v9, 3, v3
	v_lshl_or_b32 v10, v4, 6, v6
	v_lshlrev_b32_e32 v11, 3, v23
	s_waitcnt lgkmcnt(0)
	s_add_u32 s14, s14, s2
	s_addc_u32 s15, s15, s3
	s_add_u32 s2, s6, s2
	s_addc_u32 s3, s7, s3
	v_mad_i64_i32 v[2:3], null, s16, v5, 0
	s_load_b64 s[6:7], s[2:3], 0x0
	v_mad_i64_i32 v[4:5], null, s18, v7, 0
	s_load_b64 s[14:15], s[14:15], 0x0
	v_cmp_gt_i32_e64 s2, s10, v7
	v_cmp_gt_i32_e32 vcc_lo, s10, v8
	s_delay_alu instid0(VALU_DEP_4)
	v_lshlrev_b64 v[2:3], 3, v[2:3]
	v_lshl_or_b32 v24, v23, 8, v9
	v_add_nc_u32_e32 v25, 0x800, v10
	v_lshlrev_b64 v[4:5], 3, v[4:5]
	v_lshl_add_u32 v22, v19, 6, 0x800
	v_add_co_u32 v2, s3, v2, v11
	s_delay_alu instid0(VALU_DEP_1) | instskip(NEXT) | instid1(VALU_DEP_4)
	v_add_co_ci_u32_e64 v3, s3, 0, v3, s3
	v_add_co_u32 v6, s3, v4, v6
	s_delay_alu instid0(VALU_DEP_1) | instskip(SKIP_2) | instid1(VALU_DEP_1)
	v_add_co_ci_u32_e64 v7, s3, 0, v5, s3
	s_waitcnt lgkmcnt(0)
	v_add_co_u32 v4, s3, s6, v2
	v_add_co_ci_u32_e64 v5, s3, s7, v3, s3
	v_add_co_u32 v8, s3, s14, v6
	s_delay_alu instid0(VALU_DEP_1)
	v_add_co_ci_u32_e64 v9, s3, s15, v7, s3
	v_mov_b32_e32 v3, v1
	v_mov_b32_e32 v7, v1
	v_dual_mov_b32 v11, v1 :: v_dual_mov_b32 v2, v0
	v_mov_b32_e32 v6, v0
	v_mov_b32_e32 v10, v0
	s_branch .LBB602_3
.LBB602_2:                              ;   in Loop: Header=BB602_3 Depth=1
	s_or_b32 exec_lo, exec_lo, s3
	s_waitcnt vmcnt(0)
	ds_store_b64 v25, v[16:17]
	s_waitcnt lgkmcnt(0)
	s_barrier
	buffer_gl0_inv
	ds_load_2addr_b64 v[14:17], v21 offset1:16
	ds_load_b128 v[26:29], v22
	ds_load_b128 v[30:33], v22 offset:1024
	ds_load_b128 v[34:37], v22 offset:16
	;; [unrolled: 1-line block ×3, first 2 shown]
	v_add_co_u32 v4, s3, v4, 64
	s_delay_alu instid0(VALU_DEP_1) | instskip(SKIP_1) | instid1(VALU_DEP_1)
	v_add_co_ci_u32_e64 v5, s3, 0, v5, s3
	v_add_co_u32 v8, s3, v8, 64
	v_add_co_ci_u32_e64 v9, s3, 0, v9, s3
	s_add_i32 s17, s17, 8
	s_delay_alu instid0(SALU_CYCLE_1)
	s_cmp_ge_i32 s17, s11
	s_waitcnt lgkmcnt(3)
	v_fma_f64 v[42:43], v[14:15], v[26:27], v[12:13]
	v_fma_f64 v[26:27], v[16:17], v[26:27], v[10:11]
	s_waitcnt lgkmcnt(2)
	v_fma_f64 v[6:7], v[14:15], v[30:31], v[6:7]
	v_fma_f64 v[2:3], v[16:17], v[30:31], v[2:3]
	ds_load_2addr_b64 v[10:13], v21 offset0:32 offset1:48
	s_waitcnt lgkmcnt(0)
	v_fma_f64 v[14:15], v[10:11], v[28:29], v[42:43]
	v_fma_f64 v[16:17], v[12:13], v[28:29], v[26:27]
	v_fma_f64 v[6:7], v[10:11], v[32:33], v[6:7]
	v_fma_f64 v[2:3], v[12:13], v[32:33], v[2:3]
	ds_load_2addr_b64 v[10:13], v21 offset0:64 offset1:80
	s_waitcnt lgkmcnt(0)
	v_fma_f64 v[14:15], v[10:11], v[34:35], v[14:15]
	v_fma_f64 v[16:17], v[12:13], v[34:35], v[16:17]
	v_fma_f64 v[6:7], v[10:11], v[38:39], v[6:7]
	v_fma_f64 v[2:3], v[12:13], v[38:39], v[2:3]
	ds_load_2addr_b64 v[10:13], v21 offset0:96 offset1:112
	s_waitcnt lgkmcnt(0)
	v_fma_f64 v[38:39], v[10:11], v[36:37], v[14:15]
	v_fma_f64 v[42:43], v[12:13], v[36:37], v[16:17]
	v_fma_f64 v[6:7], v[10:11], v[40:41], v[6:7]
	v_fma_f64 v[2:3], v[12:13], v[40:41], v[2:3]
	ds_load_2addr_b64 v[10:13], v21 offset0:128 offset1:144
	ds_load_b128 v[14:17], v22 offset:32
	ds_load_b128 v[26:29], v22 offset:1056
	;; [unrolled: 1-line block ×4, first 2 shown]
	s_waitcnt lgkmcnt(3)
	v_fma_f64 v[38:39], v[10:11], v[14:15], v[38:39]
	v_fma_f64 v[14:15], v[12:13], v[14:15], v[42:43]
	s_waitcnt lgkmcnt(2)
	v_fma_f64 v[6:7], v[10:11], v[26:27], v[6:7]
	v_fma_f64 v[2:3], v[12:13], v[26:27], v[2:3]
	ds_load_2addr_b64 v[10:13], v21 offset0:160 offset1:176
	s_waitcnt lgkmcnt(0)
	v_fma_f64 v[26:27], v[10:11], v[16:17], v[38:39]
	v_fma_f64 v[14:15], v[12:13], v[16:17], v[14:15]
	;; [unrolled: 1-line block ×4, first 2 shown]
	ds_load_2addr_b64 v[10:13], v21 offset0:192 offset1:208
	s_waitcnt lgkmcnt(0)
	v_fma_f64 v[26:27], v[10:11], v[30:31], v[26:27]
	v_fma_f64 v[28:29], v[12:13], v[30:31], v[14:15]
	;; [unrolled: 1-line block ×4, first 2 shown]
	ds_load_2addr_b64 v[14:17], v21 offset0:224 offset1:240
	s_waitcnt lgkmcnt(0)
	s_barrier
	buffer_gl0_inv
	v_fma_f64 v[12:13], v[14:15], v[32:33], v[26:27]
	v_fma_f64 v[10:11], v[16:17], v[32:33], v[28:29]
	;; [unrolled: 1-line block ×4, first 2 shown]
	s_cbranch_scc1 .LBB602_7
.LBB602_3:                              ; =>This Inner Loop Header: Depth=1
	v_add_nc_u32_e32 v14, s17, v23
	s_delay_alu instid0(VALU_DEP_1) | instskip(SKIP_1) | instid1(VALU_DEP_2)
	v_cmp_gt_i32_e64 s3, s11, v14
	v_dual_mov_b32 v15, v1 :: v_dual_mov_b32 v14, v0
	s_and_b32 s6, vcc_lo, s3
	s_delay_alu instid0(SALU_CYCLE_1)
	s_and_saveexec_b32 s3, s6
	s_cbranch_execz .LBB602_5
; %bb.4:                                ;   in Loop: Header=BB602_3 Depth=1
	global_load_b64 v[14:15], v[4:5], off
.LBB602_5:                              ;   in Loop: Header=BB602_3 Depth=1
	s_or_b32 exec_lo, exec_lo, s3
	v_add_nc_u32_e32 v16, s17, v20
	s_waitcnt vmcnt(0)
	ds_store_b64 v24, v[14:15]
	v_cmp_gt_i32_e64 s3, s11, v16
	v_dual_mov_b32 v17, v1 :: v_dual_mov_b32 v16, v0
	s_delay_alu instid0(VALU_DEP_2) | instskip(NEXT) | instid1(SALU_CYCLE_1)
	s_and_b32 s6, s3, s2
	s_and_saveexec_b32 s3, s6
	s_cbranch_execz .LBB602_2
; %bb.6:                                ;   in Loop: Header=BB602_3 Depth=1
	global_load_b64 v[16:17], v[8:9], off
	s_branch .LBB602_2
.LBB602_7:
	s_load_b32 s2, s[0:1], 0x50
	v_add_nc_u32_e32 v8, s13, v19
	v_add_nc_u32_e32 v0, s12, v18
	s_delay_alu instid0(VALU_DEP_1) | instskip(SKIP_1) | instid1(VALU_DEP_2)
	v_cmp_le_i32_e64 s0, v8, v0
	v_cmp_gt_i32_e32 vcc_lo, s10, v0
	s_and_b32 s0, s0, vcc_lo
	s_waitcnt lgkmcnt(0)
	v_mad_i64_i32 v[4:5], null, v8, s2, 0
	s_delay_alu instid0(VALU_DEP_1) | instskip(NEXT) | instid1(VALU_DEP_1)
	v_lshlrev_b64 v[4:5], 3, v[4:5]
	v_add_co_u32 v9, s1, s8, v4
	s_delay_alu instid0(VALU_DEP_1)
	v_add_co_ci_u32_e64 v14, s1, s9, v5, s1
	s_and_saveexec_b32 s1, s0
	s_cbranch_execz .LBB602_9
; %bb.8:
	v_mul_f64 v[4:5], v[12:13], s[4:5]
	v_ashrrev_i32_e32 v1, 31, v0
	s_delay_alu instid0(VALU_DEP_1) | instskip(NEXT) | instid1(VALU_DEP_1)
	v_lshlrev_b64 v[12:13], 3, v[0:1]
	v_add_co_u32 v12, s0, v9, v12
	s_delay_alu instid0(VALU_DEP_1)
	v_add_co_ci_u32_e64 v13, s0, v14, v13, s0
	global_store_b64 v[12:13], v[4:5], off
.LBB602_9:
	s_or_b32 exec_lo, exec_lo, s1
	v_add_nc_u32_e32 v4, 16, v0
	s_delay_alu instid0(VALU_DEP_1) | instskip(SKIP_1) | instid1(VALU_DEP_1)
	v_cmp_le_i32_e64 s1, v8, v4
	v_cmp_gt_i32_e64 s0, s10, v4
	s_and_b32 s1, s1, s0
	s_delay_alu instid0(SALU_CYCLE_1)
	s_and_saveexec_b32 s3, s1
	s_cbranch_execz .LBB602_11
; %bb.10:
	v_mul_f64 v[10:11], v[10:11], s[4:5]
	v_ashrrev_i32_e32 v5, 31, v4
	s_delay_alu instid0(VALU_DEP_1) | instskip(NEXT) | instid1(VALU_DEP_1)
	v_lshlrev_b64 v[12:13], 3, v[4:5]
	v_add_co_u32 v12, s1, v9, v12
	s_delay_alu instid0(VALU_DEP_1)
	v_add_co_ci_u32_e64 v13, s1, v14, v13, s1
	global_store_b64 v[12:13], v[10:11], off
.LBB602_11:
	s_or_b32 exec_lo, exec_lo, s3
	v_add_nc_u32_e32 v5, 16, v8
	s_delay_alu instid0(VALU_DEP_1) | instskip(SKIP_1) | instid1(VALU_DEP_2)
	v_mad_i64_i32 v[8:9], null, v5, s2, 0
	v_cmp_le_i32_e64 s1, v5, v0
	v_lshlrev_b64 v[8:9], 3, v[8:9]
	s_delay_alu instid0(VALU_DEP_1) | instskip(NEXT) | instid1(VALU_DEP_1)
	v_add_co_u32 v8, s2, s8, v8
	v_add_co_ci_u32_e64 v9, s2, s9, v9, s2
	s_delay_alu instid0(VALU_DEP_4) | instskip(NEXT) | instid1(SALU_CYCLE_1)
	s_and_b32 s2, s1, vcc_lo
	s_and_saveexec_b32 s1, s2
	s_cbranch_execz .LBB602_13
; %bb.12:
	v_mul_f64 v[6:7], v[6:7], s[4:5]
	v_ashrrev_i32_e32 v1, 31, v0
	s_delay_alu instid0(VALU_DEP_1) | instskip(NEXT) | instid1(VALU_DEP_1)
	v_lshlrev_b64 v[0:1], 3, v[0:1]
	v_add_co_u32 v0, vcc_lo, v8, v0
	s_delay_alu instid0(VALU_DEP_2)
	v_add_co_ci_u32_e32 v1, vcc_lo, v9, v1, vcc_lo
	global_store_b64 v[0:1], v[6:7], off
.LBB602_13:
	s_or_b32 exec_lo, exec_lo, s1
	v_cmp_le_i32_e32 vcc_lo, v5, v4
	s_and_b32 s0, vcc_lo, s0
	s_delay_alu instid0(SALU_CYCLE_1)
	s_and_saveexec_b32 s1, s0
	s_cbranch_execz .LBB602_15
; %bb.14:
	v_mul_f64 v[0:1], v[2:3], s[4:5]
	v_ashrrev_i32_e32 v5, 31, v4
	s_delay_alu instid0(VALU_DEP_1) | instskip(NEXT) | instid1(VALU_DEP_1)
	v_lshlrev_b64 v[2:3], 3, v[4:5]
	v_add_co_u32 v2, vcc_lo, v8, v2
	s_delay_alu instid0(VALU_DEP_2)
	v_add_co_ci_u32_e32 v3, vcc_lo, v9, v3, vcc_lo
	global_store_b64 v[2:3], v[0:1], off
.LBB602_15:
	s_nop 0
	s_sendmsg sendmsg(MSG_DEALLOC_VGPRS)
	s_endpgm
	.section	.rodata,"a",@progbits
	.p2align	6, 0x0
	.amdhsa_kernel _ZL34rocblas_syrkx_herkx_general_kernelIidLi16ELi32ELi8ELb1ELb0ELc67ELc76EKPKdKPdEviT_T0_PT8_S5_lS8_S5_lS6_PT9_S5_li
		.amdhsa_group_segment_fixed_size 4096
		.amdhsa_private_segment_fixed_size 0
		.amdhsa_kernarg_size 100
		.amdhsa_user_sgpr_count 13
		.amdhsa_user_sgpr_dispatch_ptr 0
		.amdhsa_user_sgpr_queue_ptr 0
		.amdhsa_user_sgpr_kernarg_segment_ptr 1
		.amdhsa_user_sgpr_dispatch_id 0
		.amdhsa_user_sgpr_private_segment_size 0
		.amdhsa_wavefront_size32 1
		.amdhsa_uses_dynamic_stack 0
		.amdhsa_enable_private_segment 0
		.amdhsa_system_sgpr_workgroup_id_x 1
		.amdhsa_system_sgpr_workgroup_id_y 1
		.amdhsa_system_sgpr_workgroup_id_z 1
		.amdhsa_system_sgpr_workgroup_info 0
		.amdhsa_system_vgpr_workitem_id 1
		.amdhsa_next_free_vgpr 44
		.amdhsa_next_free_sgpr 19
		.amdhsa_reserve_vcc 1
		.amdhsa_float_round_mode_32 0
		.amdhsa_float_round_mode_16_64 0
		.amdhsa_float_denorm_mode_32 3
		.amdhsa_float_denorm_mode_16_64 3
		.amdhsa_dx10_clamp 1
		.amdhsa_ieee_mode 1
		.amdhsa_fp16_overflow 0
		.amdhsa_workgroup_processor_mode 1
		.amdhsa_memory_ordered 1
		.amdhsa_forward_progress 0
		.amdhsa_shared_vgpr_count 0
		.amdhsa_exception_fp_ieee_invalid_op 0
		.amdhsa_exception_fp_denorm_src 0
		.amdhsa_exception_fp_ieee_div_zero 0
		.amdhsa_exception_fp_ieee_overflow 0
		.amdhsa_exception_fp_ieee_underflow 0
		.amdhsa_exception_fp_ieee_inexact 0
		.amdhsa_exception_int_div_zero 0
	.end_amdhsa_kernel
	.section	.text._ZL34rocblas_syrkx_herkx_general_kernelIidLi16ELi32ELi8ELb1ELb0ELc67ELc76EKPKdKPdEviT_T0_PT8_S5_lS8_S5_lS6_PT9_S5_li,"axG",@progbits,_ZL34rocblas_syrkx_herkx_general_kernelIidLi16ELi32ELi8ELb1ELb0ELc67ELc76EKPKdKPdEviT_T0_PT8_S5_lS8_S5_lS6_PT9_S5_li,comdat
.Lfunc_end602:
	.size	_ZL34rocblas_syrkx_herkx_general_kernelIidLi16ELi32ELi8ELb1ELb0ELc67ELc76EKPKdKPdEviT_T0_PT8_S5_lS8_S5_lS6_PT9_S5_li, .Lfunc_end602-_ZL34rocblas_syrkx_herkx_general_kernelIidLi16ELi32ELi8ELb1ELb0ELc67ELc76EKPKdKPdEviT_T0_PT8_S5_lS8_S5_lS6_PT9_S5_li
                                        ; -- End function
	.section	.AMDGPU.csdata,"",@progbits
; Kernel info:
; codeLenInByte = 1532
; NumSgprs: 21
; NumVgprs: 44
; ScratchSize: 0
; MemoryBound: 0
; FloatMode: 240
; IeeeMode: 1
; LDSByteSize: 4096 bytes/workgroup (compile time only)
; SGPRBlocks: 2
; VGPRBlocks: 5
; NumSGPRsForWavesPerEU: 21
; NumVGPRsForWavesPerEU: 44
; Occupancy: 16
; WaveLimiterHint : 1
; COMPUTE_PGM_RSRC2:SCRATCH_EN: 0
; COMPUTE_PGM_RSRC2:USER_SGPR: 13
; COMPUTE_PGM_RSRC2:TRAP_HANDLER: 0
; COMPUTE_PGM_RSRC2:TGID_X_EN: 1
; COMPUTE_PGM_RSRC2:TGID_Y_EN: 1
; COMPUTE_PGM_RSRC2:TGID_Z_EN: 1
; COMPUTE_PGM_RSRC2:TIDIG_COMP_CNT: 1
	.section	.text._ZL34rocblas_syrkx_herkx_general_kernelIidLi16ELi32ELi8ELb1ELb0ELc78ELc76EKPKdKPdEviT_T0_PT8_S5_lS8_S5_lS6_PT9_S5_li,"axG",@progbits,_ZL34rocblas_syrkx_herkx_general_kernelIidLi16ELi32ELi8ELb1ELb0ELc78ELc76EKPKdKPdEviT_T0_PT8_S5_lS8_S5_lS6_PT9_S5_li,comdat
	.globl	_ZL34rocblas_syrkx_herkx_general_kernelIidLi16ELi32ELi8ELb1ELb0ELc78ELc76EKPKdKPdEviT_T0_PT8_S5_lS8_S5_lS6_PT9_S5_li ; -- Begin function _ZL34rocblas_syrkx_herkx_general_kernelIidLi16ELi32ELi8ELb1ELb0ELc78ELc76EKPKdKPdEviT_T0_PT8_S5_lS8_S5_lS6_PT9_S5_li
	.p2align	8
	.type	_ZL34rocblas_syrkx_herkx_general_kernelIidLi16ELi32ELi8ELb1ELb0ELc78ELc76EKPKdKPdEviT_T0_PT8_S5_lS8_S5_lS6_PT9_S5_li,@function
_ZL34rocblas_syrkx_herkx_general_kernelIidLi16ELi32ELi8ELb1ELb0ELc78ELc76EKPKdKPdEviT_T0_PT8_S5_lS8_S5_lS6_PT9_S5_li: ; @_ZL34rocblas_syrkx_herkx_general_kernelIidLi16ELi32ELi8ELb1ELb0ELc78ELc76EKPKdKPdEviT_T0_PT8_S5_lS8_S5_lS6_PT9_S5_li
; %bb.0:
	s_clause 0x1
	s_load_b64 s[4:5], s[0:1], 0x48
	s_load_b64 s[10:11], s[0:1], 0x0
	s_mov_b32 s16, s15
	s_mov_b32 s17, 0
	v_mov_b32_e32 v12, 0
	s_lshl_b64 s[2:3], s[16:17], 3
	v_dual_mov_b32 v13, 0 :: v_dual_and_b32 v18, 0x3ff, v0
	v_bfe_u32 v19, v0, 10, 10
	s_delay_alu instid0(VALU_DEP_3) | instskip(NEXT) | instid1(VALU_DEP_3)
	v_mov_b32_e32 v10, v12
	v_dual_mov_b32 v6, v12 :: v_dual_mov_b32 v7, v13
	v_dual_mov_b32 v11, v13 :: v_dual_mov_b32 v0, v12
	v_mov_b32_e32 v1, v13
	s_waitcnt lgkmcnt(0)
	s_add_u32 s8, s4, s2
	s_addc_u32 s9, s5, s3
	s_load_b128 s[4:7], s[0:1], 0x8
	s_load_b64 s[8:9], s[8:9], 0x0
	s_lshl_b32 s15, s13, 5
	s_lshl_b32 s14, s14, 5
	s_cmp_lt_i32 s11, 1
	s_cbranch_scc1 .LBB603_7
; %bb.1:
	s_clause 0x2
	s_load_b32 s12, s[0:1], 0x18
	s_load_b32 s18, s[0:1], 0x30
	s_load_b64 s[20:21], s[0:1], 0x28
	v_lshl_add_u32 v0, v19, 4, v18
	v_and_b32_e32 v20, 7, v18
	v_lshl_add_u32 v25, v19, 6, 0x800
	s_delay_alu instid0(VALU_DEP_3) | instskip(SKIP_3) | instid1(VALU_DEP_4)
	v_and_b32_e32 v1, 31, v0
	v_lshrrev_b32_e32 v21, 5, v0
	v_lshrrev_b32_e32 v3, 3, v0
	v_lshlrev_b32_e32 v4, 3, v20
	v_or_b32_e32 v5, s15, v1
	v_lshlrev_b32_e32 v6, 3, v1
	v_add_nc_u32_e32 v0, s15, v1
	v_add_nc_u32_e32 v2, s14, v3
	v_lshl_or_b32 v3, v3, 6, v4
	v_cmp_gt_i32_e32 vcc_lo, s10, v5
	v_lshl_or_b32 v22, v21, 8, v6
	s_waitcnt lgkmcnt(0)
	s_ashr_i32 s13, s12, 31
	s_ashr_i32 s19, s18, 31
	s_add_u32 s20, s20, s2
	s_addc_u32 s21, s21, s3
	s_add_u32 s2, s6, s2
	s_addc_u32 s3, s7, s3
	v_mad_i64_i32 v[4:5], null, v21, s12, 0
	s_load_b64 s[6:7], s[20:21], 0x0
	s_load_b64 s[20:21], s[2:3], 0x0
	v_ashrrev_i32_e32 v1, 31, v0
	v_mad_i64_i32 v[6:7], null, s18, v20, 0
	v_add_nc_u32_e32 v23, 0x800, v3
	v_ashrrev_i32_e32 v3, 31, v2
	v_lshlrev_b64 v[4:5], 3, v[4:5]
	v_lshlrev_b64 v[0:1], 3, v[0:1]
	v_cmp_gt_i32_e64 s2, s10, v2
	v_lshlrev_b64 v[6:7], 3, v[6:7]
	v_lshlrev_b64 v[2:3], 3, v[2:3]
	s_delay_alu instid0(VALU_DEP_4) | instskip(NEXT) | instid1(VALU_DEP_1)
	v_add_co_u32 v0, s3, v4, v0
	v_add_co_ci_u32_e64 v1, s3, v5, v1, s3
	s_delay_alu instid0(VALU_DEP_3) | instskip(NEXT) | instid1(VALU_DEP_1)
	v_add_co_u32 v6, s3, v6, v2
	v_add_co_ci_u32_e64 v7, s3, v7, v3, s3
	v_mov_b32_e32 v2, 0
	v_mov_b32_e32 v3, 0
	s_waitcnt lgkmcnt(0)
	v_add_co_u32 v4, s3, s20, v0
	s_delay_alu instid0(VALU_DEP_1)
	v_add_co_ci_u32_e64 v5, s3, s21, v1, s3
	v_mov_b32_e32 v0, v2
	v_add_co_u32 v8, s3, s6, v6
	v_dual_mov_b32 v13, v3 :: v_dual_lshlrev_b32 v24, 3, v18
	v_add_co_ci_u32_e64 v9, s3, s7, v7, s3
	v_mov_b32_e32 v7, v3
	v_mov_b32_e32 v11, v3
	v_dual_mov_b32 v1, v3 :: v_dual_mov_b32 v6, v2
	v_mov_b32_e32 v10, v2
	v_mov_b32_e32 v12, v2
	s_lshl_b64 s[6:7], s[12:13], 6
	s_lshl_b64 s[12:13], s[18:19], 6
	s_branch .LBB603_3
.LBB603_2:                              ;   in Loop: Header=BB603_3 Depth=1
	s_or_b32 exec_lo, exec_lo, s3
	s_waitcnt vmcnt(0)
	ds_store_b64 v23, v[16:17]
	s_waitcnt lgkmcnt(0)
	s_barrier
	buffer_gl0_inv
	ds_load_2addr_b64 v[14:17], v24 offset1:16
	ds_load_b128 v[26:29], v25
	ds_load_b128 v[30:33], v25 offset:1024
	ds_load_b128 v[34:37], v25 offset:16
	;; [unrolled: 1-line block ×3, first 2 shown]
	v_add_co_u32 v4, s3, v4, s6
	s_delay_alu instid0(VALU_DEP_1) | instskip(SKIP_1) | instid1(VALU_DEP_1)
	v_add_co_ci_u32_e64 v5, s3, s7, v5, s3
	v_add_co_u32 v8, s3, v8, s12
	v_add_co_ci_u32_e64 v9, s3, s13, v9, s3
	s_add_i32 s17, s17, 8
	s_delay_alu instid0(SALU_CYCLE_1)
	s_cmp_ge_i32 s17, s11
	s_waitcnt lgkmcnt(3)
	v_fma_f64 v[42:43], v[14:15], v[26:27], v[12:13]
	v_fma_f64 v[26:27], v[16:17], v[26:27], v[10:11]
	s_waitcnt lgkmcnt(2)
	v_fma_f64 v[6:7], v[14:15], v[30:31], v[6:7]
	v_fma_f64 v[0:1], v[16:17], v[30:31], v[0:1]
	ds_load_2addr_b64 v[10:13], v24 offset0:32 offset1:48
	s_waitcnt lgkmcnt(0)
	v_fma_f64 v[14:15], v[10:11], v[28:29], v[42:43]
	v_fma_f64 v[16:17], v[12:13], v[28:29], v[26:27]
	v_fma_f64 v[6:7], v[10:11], v[32:33], v[6:7]
	v_fma_f64 v[0:1], v[12:13], v[32:33], v[0:1]
	ds_load_2addr_b64 v[10:13], v24 offset0:64 offset1:80
	s_waitcnt lgkmcnt(0)
	v_fma_f64 v[14:15], v[10:11], v[34:35], v[14:15]
	v_fma_f64 v[16:17], v[12:13], v[34:35], v[16:17]
	;; [unrolled: 6-line block ×3, first 2 shown]
	v_fma_f64 v[6:7], v[10:11], v[40:41], v[6:7]
	v_fma_f64 v[0:1], v[12:13], v[40:41], v[0:1]
	ds_load_2addr_b64 v[10:13], v24 offset0:128 offset1:144
	ds_load_b128 v[14:17], v25 offset:32
	ds_load_b128 v[26:29], v25 offset:1056
	;; [unrolled: 1-line block ×4, first 2 shown]
	s_waitcnt lgkmcnt(3)
	v_fma_f64 v[38:39], v[10:11], v[14:15], v[38:39]
	v_fma_f64 v[14:15], v[12:13], v[14:15], v[42:43]
	s_waitcnt lgkmcnt(2)
	v_fma_f64 v[6:7], v[10:11], v[26:27], v[6:7]
	v_fma_f64 v[0:1], v[12:13], v[26:27], v[0:1]
	ds_load_2addr_b64 v[10:13], v24 offset0:160 offset1:176
	s_waitcnt lgkmcnt(0)
	v_fma_f64 v[26:27], v[10:11], v[16:17], v[38:39]
	v_fma_f64 v[14:15], v[12:13], v[16:17], v[14:15]
	;; [unrolled: 1-line block ×4, first 2 shown]
	ds_load_2addr_b64 v[10:13], v24 offset0:192 offset1:208
	s_waitcnt lgkmcnt(0)
	v_fma_f64 v[26:27], v[10:11], v[30:31], v[26:27]
	v_fma_f64 v[28:29], v[12:13], v[30:31], v[14:15]
	;; [unrolled: 1-line block ×4, first 2 shown]
	ds_load_2addr_b64 v[14:17], v24 offset0:224 offset1:240
	s_waitcnt lgkmcnt(0)
	s_barrier
	buffer_gl0_inv
	v_fma_f64 v[12:13], v[14:15], v[32:33], v[26:27]
	v_fma_f64 v[10:11], v[16:17], v[32:33], v[28:29]
	v_fma_f64 v[6:7], v[14:15], v[36:37], v[6:7]
	v_fma_f64 v[0:1], v[16:17], v[36:37], v[0:1]
	s_cbranch_scc1 .LBB603_7
.LBB603_3:                              ; =>This Inner Loop Header: Depth=1
	v_add_nc_u32_e32 v14, s17, v21
	s_delay_alu instid0(VALU_DEP_1) | instskip(SKIP_1) | instid1(VALU_DEP_2)
	v_cmp_gt_i32_e64 s3, s11, v14
	v_dual_mov_b32 v15, v3 :: v_dual_mov_b32 v14, v2
	s_and_b32 s16, vcc_lo, s3
	s_delay_alu instid0(SALU_CYCLE_1)
	s_and_saveexec_b32 s3, s16
	s_cbranch_execz .LBB603_5
; %bb.4:                                ;   in Loop: Header=BB603_3 Depth=1
	global_load_b64 v[14:15], v[4:5], off
.LBB603_5:                              ;   in Loop: Header=BB603_3 Depth=1
	s_or_b32 exec_lo, exec_lo, s3
	v_add_nc_u32_e32 v16, s17, v20
	s_waitcnt vmcnt(0)
	ds_store_b64 v22, v[14:15]
	v_cmp_gt_i32_e64 s3, s11, v16
	v_dual_mov_b32 v17, v3 :: v_dual_mov_b32 v16, v2
	s_delay_alu instid0(VALU_DEP_2) | instskip(NEXT) | instid1(SALU_CYCLE_1)
	s_and_b32 s16, s3, s2
	s_and_saveexec_b32 s3, s16
	s_cbranch_execz .LBB603_2
; %bb.6:                                ;   in Loop: Header=BB603_3 Depth=1
	global_load_b64 v[16:17], v[8:9], off
	s_branch .LBB603_2
.LBB603_7:
	s_load_b32 s2, s[0:1], 0x50
	v_add_nc_u32_e32 v8, s14, v19
	v_add_nc_u32_e32 v2, s15, v18
	s_delay_alu instid0(VALU_DEP_1) | instskip(SKIP_1) | instid1(VALU_DEP_2)
	v_cmp_le_i32_e64 s0, v8, v2
	v_cmp_gt_i32_e32 vcc_lo, s10, v2
	s_and_b32 s0, s0, vcc_lo
	s_waitcnt lgkmcnt(0)
	v_mad_i64_i32 v[3:4], null, v8, s2, 0
	s_delay_alu instid0(VALU_DEP_1) | instskip(NEXT) | instid1(VALU_DEP_1)
	v_lshlrev_b64 v[3:4], 3, v[3:4]
	v_add_co_u32 v9, s1, s8, v3
	s_delay_alu instid0(VALU_DEP_1)
	v_add_co_ci_u32_e64 v14, s1, s9, v4, s1
	s_and_saveexec_b32 s1, s0
	s_cbranch_execz .LBB603_9
; %bb.8:
	v_mul_f64 v[4:5], v[12:13], s[4:5]
	v_ashrrev_i32_e32 v3, 31, v2
	s_delay_alu instid0(VALU_DEP_1) | instskip(NEXT) | instid1(VALU_DEP_1)
	v_lshlrev_b64 v[12:13], 3, v[2:3]
	v_add_co_u32 v12, s0, v9, v12
	s_delay_alu instid0(VALU_DEP_1)
	v_add_co_ci_u32_e64 v13, s0, v14, v13, s0
	global_store_b64 v[12:13], v[4:5], off
.LBB603_9:
	s_or_b32 exec_lo, exec_lo, s1
	v_add_nc_u32_e32 v4, 16, v2
	s_delay_alu instid0(VALU_DEP_1) | instskip(SKIP_1) | instid1(VALU_DEP_1)
	v_cmp_le_i32_e64 s1, v8, v4
	v_cmp_gt_i32_e64 s0, s10, v4
	s_and_b32 s1, s1, s0
	s_delay_alu instid0(SALU_CYCLE_1)
	s_and_saveexec_b32 s3, s1
	s_cbranch_execz .LBB603_11
; %bb.10:
	v_mul_f64 v[10:11], v[10:11], s[4:5]
	v_ashrrev_i32_e32 v5, 31, v4
	s_delay_alu instid0(VALU_DEP_1) | instskip(NEXT) | instid1(VALU_DEP_1)
	v_lshlrev_b64 v[12:13], 3, v[4:5]
	v_add_co_u32 v12, s1, v9, v12
	s_delay_alu instid0(VALU_DEP_1)
	v_add_co_ci_u32_e64 v13, s1, v14, v13, s1
	global_store_b64 v[12:13], v[10:11], off
.LBB603_11:
	s_or_b32 exec_lo, exec_lo, s3
	v_add_nc_u32_e32 v5, 16, v8
	s_delay_alu instid0(VALU_DEP_1) | instskip(SKIP_1) | instid1(VALU_DEP_2)
	v_mad_i64_i32 v[8:9], null, v5, s2, 0
	v_cmp_le_i32_e64 s1, v5, v2
	v_lshlrev_b64 v[8:9], 3, v[8:9]
	s_delay_alu instid0(VALU_DEP_1) | instskip(NEXT) | instid1(VALU_DEP_1)
	v_add_co_u32 v8, s2, s8, v8
	v_add_co_ci_u32_e64 v9, s2, s9, v9, s2
	s_delay_alu instid0(VALU_DEP_4) | instskip(NEXT) | instid1(SALU_CYCLE_1)
	s_and_b32 s2, s1, vcc_lo
	s_and_saveexec_b32 s1, s2
	s_cbranch_execz .LBB603_13
; %bb.12:
	v_mul_f64 v[6:7], v[6:7], s[4:5]
	v_ashrrev_i32_e32 v3, 31, v2
	s_delay_alu instid0(VALU_DEP_1) | instskip(NEXT) | instid1(VALU_DEP_1)
	v_lshlrev_b64 v[2:3], 3, v[2:3]
	v_add_co_u32 v2, vcc_lo, v8, v2
	s_delay_alu instid0(VALU_DEP_2)
	v_add_co_ci_u32_e32 v3, vcc_lo, v9, v3, vcc_lo
	global_store_b64 v[2:3], v[6:7], off
.LBB603_13:
	s_or_b32 exec_lo, exec_lo, s1
	v_cmp_le_i32_e32 vcc_lo, v5, v4
	s_and_b32 s0, vcc_lo, s0
	s_delay_alu instid0(SALU_CYCLE_1)
	s_and_saveexec_b32 s1, s0
	s_cbranch_execz .LBB603_15
; %bb.14:
	v_mul_f64 v[0:1], v[0:1], s[4:5]
	v_ashrrev_i32_e32 v5, 31, v4
	s_delay_alu instid0(VALU_DEP_1) | instskip(NEXT) | instid1(VALU_DEP_1)
	v_lshlrev_b64 v[2:3], 3, v[4:5]
	v_add_co_u32 v2, vcc_lo, v8, v2
	s_delay_alu instid0(VALU_DEP_2)
	v_add_co_ci_u32_e32 v3, vcc_lo, v9, v3, vcc_lo
	global_store_b64 v[2:3], v[0:1], off
.LBB603_15:
	s_nop 0
	s_sendmsg sendmsg(MSG_DEALLOC_VGPRS)
	s_endpgm
	.section	.rodata,"a",@progbits
	.p2align	6, 0x0
	.amdhsa_kernel _ZL34rocblas_syrkx_herkx_general_kernelIidLi16ELi32ELi8ELb1ELb0ELc78ELc76EKPKdKPdEviT_T0_PT8_S5_lS8_S5_lS6_PT9_S5_li
		.amdhsa_group_segment_fixed_size 4096
		.amdhsa_private_segment_fixed_size 0
		.amdhsa_kernarg_size 100
		.amdhsa_user_sgpr_count 13
		.amdhsa_user_sgpr_dispatch_ptr 0
		.amdhsa_user_sgpr_queue_ptr 0
		.amdhsa_user_sgpr_kernarg_segment_ptr 1
		.amdhsa_user_sgpr_dispatch_id 0
		.amdhsa_user_sgpr_private_segment_size 0
		.amdhsa_wavefront_size32 1
		.amdhsa_uses_dynamic_stack 0
		.amdhsa_enable_private_segment 0
		.amdhsa_system_sgpr_workgroup_id_x 1
		.amdhsa_system_sgpr_workgroup_id_y 1
		.amdhsa_system_sgpr_workgroup_id_z 1
		.amdhsa_system_sgpr_workgroup_info 0
		.amdhsa_system_vgpr_workitem_id 1
		.amdhsa_next_free_vgpr 44
		.amdhsa_next_free_sgpr 22
		.amdhsa_reserve_vcc 1
		.amdhsa_float_round_mode_32 0
		.amdhsa_float_round_mode_16_64 0
		.amdhsa_float_denorm_mode_32 3
		.amdhsa_float_denorm_mode_16_64 3
		.amdhsa_dx10_clamp 1
		.amdhsa_ieee_mode 1
		.amdhsa_fp16_overflow 0
		.amdhsa_workgroup_processor_mode 1
		.amdhsa_memory_ordered 1
		.amdhsa_forward_progress 0
		.amdhsa_shared_vgpr_count 0
		.amdhsa_exception_fp_ieee_invalid_op 0
		.amdhsa_exception_fp_denorm_src 0
		.amdhsa_exception_fp_ieee_div_zero 0
		.amdhsa_exception_fp_ieee_overflow 0
		.amdhsa_exception_fp_ieee_underflow 0
		.amdhsa_exception_fp_ieee_inexact 0
		.amdhsa_exception_int_div_zero 0
	.end_amdhsa_kernel
	.section	.text._ZL34rocblas_syrkx_herkx_general_kernelIidLi16ELi32ELi8ELb1ELb0ELc78ELc76EKPKdKPdEviT_T0_PT8_S5_lS8_S5_lS6_PT9_S5_li,"axG",@progbits,_ZL34rocblas_syrkx_herkx_general_kernelIidLi16ELi32ELi8ELb1ELb0ELc78ELc76EKPKdKPdEviT_T0_PT8_S5_lS8_S5_lS6_PT9_S5_li,comdat
.Lfunc_end603:
	.size	_ZL34rocblas_syrkx_herkx_general_kernelIidLi16ELi32ELi8ELb1ELb0ELc78ELc76EKPKdKPdEviT_T0_PT8_S5_lS8_S5_lS6_PT9_S5_li, .Lfunc_end603-_ZL34rocblas_syrkx_herkx_general_kernelIidLi16ELi32ELi8ELb1ELb0ELc78ELc76EKPKdKPdEviT_T0_PT8_S5_lS8_S5_lS6_PT9_S5_li
                                        ; -- End function
	.section	.AMDGPU.csdata,"",@progbits
; Kernel info:
; codeLenInByte = 1560
; NumSgprs: 24
; NumVgprs: 44
; ScratchSize: 0
; MemoryBound: 0
; FloatMode: 240
; IeeeMode: 1
; LDSByteSize: 4096 bytes/workgroup (compile time only)
; SGPRBlocks: 2
; VGPRBlocks: 5
; NumSGPRsForWavesPerEU: 24
; NumVGPRsForWavesPerEU: 44
; Occupancy: 16
; WaveLimiterHint : 1
; COMPUTE_PGM_RSRC2:SCRATCH_EN: 0
; COMPUTE_PGM_RSRC2:USER_SGPR: 13
; COMPUTE_PGM_RSRC2:TRAP_HANDLER: 0
; COMPUTE_PGM_RSRC2:TGID_X_EN: 1
; COMPUTE_PGM_RSRC2:TGID_Y_EN: 1
; COMPUTE_PGM_RSRC2:TGID_Z_EN: 1
; COMPUTE_PGM_RSRC2:TIDIG_COMP_CNT: 1
	.section	.text._ZL34rocblas_syrkx_herkx_general_kernelIidLi16ELi32ELi8ELb1ELb0ELc84ELc85EKPKdKPdEviT_T0_PT8_S5_lS8_S5_lS6_PT9_S5_li,"axG",@progbits,_ZL34rocblas_syrkx_herkx_general_kernelIidLi16ELi32ELi8ELb1ELb0ELc84ELc85EKPKdKPdEviT_T0_PT8_S5_lS8_S5_lS6_PT9_S5_li,comdat
	.globl	_ZL34rocblas_syrkx_herkx_general_kernelIidLi16ELi32ELi8ELb1ELb0ELc84ELc85EKPKdKPdEviT_T0_PT8_S5_lS8_S5_lS6_PT9_S5_li ; -- Begin function _ZL34rocblas_syrkx_herkx_general_kernelIidLi16ELi32ELi8ELb1ELb0ELc84ELc85EKPKdKPdEviT_T0_PT8_S5_lS8_S5_lS6_PT9_S5_li
	.p2align	8
	.type	_ZL34rocblas_syrkx_herkx_general_kernelIidLi16ELi32ELi8ELb1ELb0ELc84ELc85EKPKdKPdEviT_T0_PT8_S5_lS8_S5_lS6_PT9_S5_li,@function
_ZL34rocblas_syrkx_herkx_general_kernelIidLi16ELi32ELi8ELb1ELb0ELc84ELc85EKPKdKPdEviT_T0_PT8_S5_lS8_S5_lS6_PT9_S5_li: ; @_ZL34rocblas_syrkx_herkx_general_kernelIidLi16ELi32ELi8ELb1ELb0ELc84ELc85EKPKdKPdEviT_T0_PT8_S5_lS8_S5_lS6_PT9_S5_li
; %bb.0:
	s_clause 0x1
	s_load_b64 s[4:5], s[0:1], 0x48
	s_load_b64 s[8:9], s[0:1], 0x0
	s_mov_b32 s16, s15
	s_mov_b32 s17, 0
	v_mov_b32_e32 v12, 0
	s_lshl_b64 s[2:3], s[16:17], 3
	v_dual_mov_b32 v13, 0 :: v_dual_and_b32 v18, 0x3ff, v0
	v_bfe_u32 v19, v0, 10, 10
	s_delay_alu instid0(VALU_DEP_3) | instskip(NEXT) | instid1(VALU_DEP_3)
	v_mov_b32_e32 v10, v12
	v_dual_mov_b32 v4, v12 :: v_dual_mov_b32 v5, v13
	v_dual_mov_b32 v11, v13 :: v_dual_mov_b32 v2, v12
	v_mov_b32_e32 v3, v13
	s_waitcnt lgkmcnt(0)
	s_add_u32 s10, s4, s2
	s_addc_u32 s11, s5, s3
	s_load_b128 s[4:7], s[0:1], 0x8
	s_load_b64 s[10:11], s[10:11], 0x0
	s_lshl_b32 s12, s13, 5
	s_lshl_b32 s13, s14, 5
	s_cmp_lt_i32 s9, 1
	s_cbranch_scc1 .LBB604_7
; %bb.1:
	s_clause 0x2
	s_load_b64 s[14:15], s[0:1], 0x28
	s_load_b32 s16, s[0:1], 0x18
	s_load_b32 s18, s[0:1], 0x30
	v_lshl_add_u32 v2, v19, 4, v18
	v_dual_mov_b32 v0, 0 :: v_dual_lshlrev_b32 v21, 3, v18
	v_dual_mov_b32 v1, 0 :: v_dual_and_b32 v20, 7, v18
	s_delay_alu instid0(VALU_DEP_3) | instskip(SKIP_2) | instid1(VALU_DEP_4)
	v_and_b32_e32 v3, 31, v2
	v_lshrrev_b32_e32 v4, 3, v2
	v_lshrrev_b32_e32 v23, 5, v2
	v_dual_mov_b32 v13, v1 :: v_dual_lshlrev_b32 v6, 3, v20
	s_delay_alu instid0(VALU_DEP_4) | instskip(NEXT) | instid1(VALU_DEP_4)
	v_add_nc_u32_e32 v5, s12, v3
	v_add_nc_u32_e32 v7, s13, v4
	v_or_b32_e32 v8, s12, v3
	v_dual_mov_b32 v12, v0 :: v_dual_lshlrev_b32 v9, 3, v3
	v_lshl_or_b32 v10, v4, 6, v6
	v_lshlrev_b32_e32 v11, 3, v23
	s_waitcnt lgkmcnt(0)
	s_add_u32 s14, s14, s2
	s_addc_u32 s15, s15, s3
	s_add_u32 s2, s6, s2
	s_addc_u32 s3, s7, s3
	v_mad_i64_i32 v[2:3], null, s16, v5, 0
	s_load_b64 s[6:7], s[2:3], 0x0
	v_mad_i64_i32 v[4:5], null, s18, v7, 0
	s_load_b64 s[14:15], s[14:15], 0x0
	v_cmp_gt_i32_e64 s2, s8, v7
	v_cmp_gt_i32_e32 vcc_lo, s8, v8
	s_delay_alu instid0(VALU_DEP_4)
	v_lshlrev_b64 v[2:3], 3, v[2:3]
	v_lshl_or_b32 v24, v23, 8, v9
	v_add_nc_u32_e32 v25, 0x800, v10
	v_lshlrev_b64 v[4:5], 3, v[4:5]
	v_lshl_add_u32 v22, v19, 6, 0x800
	v_add_co_u32 v2, s3, v2, v11
	s_delay_alu instid0(VALU_DEP_1) | instskip(NEXT) | instid1(VALU_DEP_4)
	v_add_co_ci_u32_e64 v3, s3, 0, v3, s3
	v_add_co_u32 v4, s3, v4, v6
	s_delay_alu instid0(VALU_DEP_1) | instskip(SKIP_2) | instid1(VALU_DEP_1)
	v_add_co_ci_u32_e64 v5, s3, 0, v5, s3
	s_waitcnt lgkmcnt(0)
	v_add_co_u32 v6, s3, s6, v2
	v_add_co_ci_u32_e64 v7, s3, s7, v3, s3
	v_add_co_u32 v8, s3, s14, v4
	s_delay_alu instid0(VALU_DEP_1)
	v_add_co_ci_u32_e64 v9, s3, s15, v5, s3
	v_mov_b32_e32 v3, v1
	v_mov_b32_e32 v5, v1
	v_dual_mov_b32 v11, v1 :: v_dual_mov_b32 v2, v0
	v_mov_b32_e32 v4, v0
	v_mov_b32_e32 v10, v0
	s_branch .LBB604_3
.LBB604_2:                              ;   in Loop: Header=BB604_3 Depth=1
	s_or_b32 exec_lo, exec_lo, s3
	s_waitcnt vmcnt(0)
	ds_store_b64 v25, v[16:17]
	s_waitcnt lgkmcnt(0)
	s_barrier
	buffer_gl0_inv
	ds_load_2addr_b64 v[14:17], v21 offset1:16
	ds_load_b128 v[26:29], v22
	ds_load_b128 v[30:33], v22 offset:1024
	ds_load_b128 v[34:37], v22 offset:16
	;; [unrolled: 1-line block ×3, first 2 shown]
	v_add_co_u32 v6, s3, v6, 64
	s_delay_alu instid0(VALU_DEP_1) | instskip(SKIP_1) | instid1(VALU_DEP_1)
	v_add_co_ci_u32_e64 v7, s3, 0, v7, s3
	v_add_co_u32 v8, s3, v8, 64
	v_add_co_ci_u32_e64 v9, s3, 0, v9, s3
	s_add_i32 s17, s17, 8
	s_delay_alu instid0(SALU_CYCLE_1)
	s_cmp_ge_i32 s17, s9
	s_waitcnt lgkmcnt(3)
	v_fma_f64 v[12:13], v[14:15], v[26:27], v[12:13]
	v_fma_f64 v[10:11], v[16:17], v[26:27], v[10:11]
	s_waitcnt lgkmcnt(2)
	v_fma_f64 v[14:15], v[14:15], v[30:31], v[4:5]
	v_fma_f64 v[16:17], v[16:17], v[30:31], v[2:3]
	ds_load_2addr_b64 v[2:5], v21 offset0:32 offset1:48
	s_waitcnt lgkmcnt(0)
	v_fma_f64 v[12:13], v[2:3], v[28:29], v[12:13]
	v_fma_f64 v[10:11], v[4:5], v[28:29], v[10:11]
	v_fma_f64 v[14:15], v[2:3], v[32:33], v[14:15]
	v_fma_f64 v[16:17], v[4:5], v[32:33], v[16:17]
	ds_load_2addr_b64 v[2:5], v21 offset0:64 offset1:80
	s_waitcnt lgkmcnt(0)
	v_fma_f64 v[12:13], v[2:3], v[34:35], v[12:13]
	v_fma_f64 v[10:11], v[4:5], v[34:35], v[10:11]
	;; [unrolled: 6-line block ×3, first 2 shown]
	v_fma_f64 v[38:39], v[2:3], v[40:41], v[14:15]
	v_fma_f64 v[40:41], v[4:5], v[40:41], v[16:17]
	ds_load_2addr_b64 v[2:5], v21 offset0:128 offset1:144
	ds_load_b128 v[10:13], v22 offset:32
	ds_load_b128 v[14:17], v22 offset:1056
	ds_load_b128 v[26:29], v22 offset:48
	ds_load_b128 v[30:33], v22 offset:1072
	s_waitcnt lgkmcnt(3)
	v_fma_f64 v[34:35], v[2:3], v[10:11], v[34:35]
	v_fma_f64 v[10:11], v[4:5], v[10:11], v[36:37]
	s_waitcnt lgkmcnt(2)
	v_fma_f64 v[36:37], v[2:3], v[14:15], v[38:39]
	v_fma_f64 v[14:15], v[4:5], v[14:15], v[40:41]
	ds_load_2addr_b64 v[2:5], v21 offset0:160 offset1:176
	s_waitcnt lgkmcnt(0)
	v_fma_f64 v[34:35], v[2:3], v[12:13], v[34:35]
	v_fma_f64 v[10:11], v[4:5], v[12:13], v[10:11]
	;; [unrolled: 1-line block ×4, first 2 shown]
	ds_load_2addr_b64 v[2:5], v21 offset0:192 offset1:208
	s_waitcnt lgkmcnt(0)
	v_fma_f64 v[34:35], v[2:3], v[26:27], v[34:35]
	v_fma_f64 v[10:11], v[4:5], v[26:27], v[10:11]
	;; [unrolled: 1-line block ×4, first 2 shown]
	ds_load_2addr_b64 v[14:17], v21 offset0:224 offset1:240
	s_waitcnt lgkmcnt(0)
	s_barrier
	buffer_gl0_inv
	v_fma_f64 v[12:13], v[14:15], v[28:29], v[34:35]
	v_fma_f64 v[10:11], v[16:17], v[28:29], v[10:11]
	v_fma_f64 v[4:5], v[14:15], v[32:33], v[2:3]
	v_fma_f64 v[2:3], v[16:17], v[32:33], v[26:27]
	s_cbranch_scc1 .LBB604_7
.LBB604_3:                              ; =>This Inner Loop Header: Depth=1
	v_add_nc_u32_e32 v14, s17, v23
	s_delay_alu instid0(VALU_DEP_1) | instskip(SKIP_1) | instid1(VALU_DEP_2)
	v_cmp_gt_i32_e64 s3, s9, v14
	v_dual_mov_b32 v15, v1 :: v_dual_mov_b32 v14, v0
	s_and_b32 s6, vcc_lo, s3
	s_delay_alu instid0(SALU_CYCLE_1)
	s_and_saveexec_b32 s3, s6
	s_cbranch_execz .LBB604_5
; %bb.4:                                ;   in Loop: Header=BB604_3 Depth=1
	global_load_b64 v[14:15], v[6:7], off
.LBB604_5:                              ;   in Loop: Header=BB604_3 Depth=1
	s_or_b32 exec_lo, exec_lo, s3
	v_add_nc_u32_e32 v16, s17, v20
	s_waitcnt vmcnt(0)
	ds_store_b64 v24, v[14:15]
	v_cmp_gt_i32_e64 s3, s9, v16
	v_dual_mov_b32 v17, v1 :: v_dual_mov_b32 v16, v0
	s_delay_alu instid0(VALU_DEP_2) | instskip(NEXT) | instid1(SALU_CYCLE_1)
	s_and_b32 s6, s3, s2
	s_and_saveexec_b32 s3, s6
	s_cbranch_execz .LBB604_2
; %bb.6:                                ;   in Loop: Header=BB604_3 Depth=1
	global_load_b64 v[16:17], v[8:9], off
	s_branch .LBB604_2
.LBB604_7:
	s_load_b32 s2, s[0:1], 0x50
	v_add_nc_u32_e32 v8, s13, v19
	v_add_nc_u32_e32 v0, s12, v18
	s_delay_alu instid0(VALU_DEP_2) | instskip(NEXT) | instid1(VALU_DEP_2)
	v_cmp_gt_i32_e32 vcc_lo, s8, v8
	v_cmp_le_i32_e64 s0, v0, v8
	s_delay_alu instid0(VALU_DEP_1) | instskip(SKIP_2) | instid1(VALU_DEP_1)
	s_and_b32 s0, vcc_lo, s0
	s_waitcnt lgkmcnt(0)
	v_mad_i64_i32 v[6:7], null, v8, s2, 0
	v_lshlrev_b64 v[6:7], 3, v[6:7]
	s_delay_alu instid0(VALU_DEP_1) | instskip(NEXT) | instid1(VALU_DEP_1)
	v_add_co_u32 v9, s1, s10, v6
	v_add_co_ci_u32_e64 v14, s1, s11, v7, s1
	s_and_saveexec_b32 s1, s0
	s_cbranch_execz .LBB604_9
; %bb.8:
	v_mul_f64 v[6:7], v[12:13], s[4:5]
	v_ashrrev_i32_e32 v1, 31, v0
	s_delay_alu instid0(VALU_DEP_1) | instskip(NEXT) | instid1(VALU_DEP_1)
	v_lshlrev_b64 v[12:13], 3, v[0:1]
	v_add_co_u32 v12, s0, v9, v12
	s_delay_alu instid0(VALU_DEP_1)
	v_add_co_ci_u32_e64 v13, s0, v14, v13, s0
	global_store_b64 v[12:13], v[6:7], off
.LBB604_9:
	s_or_b32 exec_lo, exec_lo, s1
	v_add_nc_u32_e32 v6, 16, v0
	s_delay_alu instid0(VALU_DEP_1) | instskip(NEXT) | instid1(VALU_DEP_1)
	v_cmp_le_i32_e64 s0, v6, v8
	s_and_b32 s1, vcc_lo, s0
	s_delay_alu instid0(SALU_CYCLE_1)
	s_and_saveexec_b32 s0, s1
	s_cbranch_execz .LBB604_11
; %bb.10:
	v_mul_f64 v[10:11], v[10:11], s[4:5]
	v_ashrrev_i32_e32 v7, 31, v6
	s_delay_alu instid0(VALU_DEP_1) | instskip(NEXT) | instid1(VALU_DEP_1)
	v_lshlrev_b64 v[12:13], 3, v[6:7]
	v_add_co_u32 v12, vcc_lo, v9, v12
	s_delay_alu instid0(VALU_DEP_2)
	v_add_co_ci_u32_e32 v13, vcc_lo, v14, v13, vcc_lo
	global_store_b64 v[12:13], v[10:11], off
.LBB604_11:
	s_or_b32 exec_lo, exec_lo, s0
	v_add_nc_u32_e32 v7, 16, v8
	s_delay_alu instid0(VALU_DEP_1) | instskip(SKIP_2) | instid1(VALU_DEP_1)
	v_mad_i64_i32 v[8:9], null, v7, s2, 0
	v_cmp_gt_i32_e32 vcc_lo, s8, v7
	v_cmp_le_i32_e64 s0, v0, v7
	s_and_b32 s0, vcc_lo, s0
	s_delay_alu instid0(VALU_DEP_3) | instskip(NEXT) | instid1(VALU_DEP_1)
	v_lshlrev_b64 v[8:9], 3, v[8:9]
	v_add_co_u32 v8, s1, s10, v8
	s_delay_alu instid0(VALU_DEP_1)
	v_add_co_ci_u32_e64 v9, s1, s11, v9, s1
	s_and_saveexec_b32 s1, s0
	s_cbranch_execz .LBB604_13
; %bb.12:
	v_mul_f64 v[4:5], v[4:5], s[4:5]
	v_ashrrev_i32_e32 v1, 31, v0
	s_delay_alu instid0(VALU_DEP_1) | instskip(NEXT) | instid1(VALU_DEP_1)
	v_lshlrev_b64 v[0:1], 3, v[0:1]
	v_add_co_u32 v0, s0, v8, v0
	s_delay_alu instid0(VALU_DEP_1)
	v_add_co_ci_u32_e64 v1, s0, v9, v1, s0
	global_store_b64 v[0:1], v[4:5], off
.LBB604_13:
	s_or_b32 exec_lo, exec_lo, s1
	v_cmp_le_i32_e64 s0, v6, v7
	s_delay_alu instid0(VALU_DEP_1) | instskip(NEXT) | instid1(SALU_CYCLE_1)
	s_and_b32 s0, vcc_lo, s0
	s_and_saveexec_b32 s1, s0
	s_cbranch_execz .LBB604_15
; %bb.14:
	v_mul_f64 v[0:1], v[2:3], s[4:5]
	v_ashrrev_i32_e32 v7, 31, v6
	s_delay_alu instid0(VALU_DEP_1) | instskip(NEXT) | instid1(VALU_DEP_1)
	v_lshlrev_b64 v[2:3], 3, v[6:7]
	v_add_co_u32 v2, vcc_lo, v8, v2
	s_delay_alu instid0(VALU_DEP_2)
	v_add_co_ci_u32_e32 v3, vcc_lo, v9, v3, vcc_lo
	global_store_b64 v[2:3], v[0:1], off
.LBB604_15:
	s_nop 0
	s_sendmsg sendmsg(MSG_DEALLOC_VGPRS)
	s_endpgm
	.section	.rodata,"a",@progbits
	.p2align	6, 0x0
	.amdhsa_kernel _ZL34rocblas_syrkx_herkx_general_kernelIidLi16ELi32ELi8ELb1ELb0ELc84ELc85EKPKdKPdEviT_T0_PT8_S5_lS8_S5_lS6_PT9_S5_li
		.amdhsa_group_segment_fixed_size 4096
		.amdhsa_private_segment_fixed_size 0
		.amdhsa_kernarg_size 100
		.amdhsa_user_sgpr_count 13
		.amdhsa_user_sgpr_dispatch_ptr 0
		.amdhsa_user_sgpr_queue_ptr 0
		.amdhsa_user_sgpr_kernarg_segment_ptr 1
		.amdhsa_user_sgpr_dispatch_id 0
		.amdhsa_user_sgpr_private_segment_size 0
		.amdhsa_wavefront_size32 1
		.amdhsa_uses_dynamic_stack 0
		.amdhsa_enable_private_segment 0
		.amdhsa_system_sgpr_workgroup_id_x 1
		.amdhsa_system_sgpr_workgroup_id_y 1
		.amdhsa_system_sgpr_workgroup_id_z 1
		.amdhsa_system_sgpr_workgroup_info 0
		.amdhsa_system_vgpr_workitem_id 1
		.amdhsa_next_free_vgpr 42
		.amdhsa_next_free_sgpr 19
		.amdhsa_reserve_vcc 1
		.amdhsa_float_round_mode_32 0
		.amdhsa_float_round_mode_16_64 0
		.amdhsa_float_denorm_mode_32 3
		.amdhsa_float_denorm_mode_16_64 3
		.amdhsa_dx10_clamp 1
		.amdhsa_ieee_mode 1
		.amdhsa_fp16_overflow 0
		.amdhsa_workgroup_processor_mode 1
		.amdhsa_memory_ordered 1
		.amdhsa_forward_progress 0
		.amdhsa_shared_vgpr_count 0
		.amdhsa_exception_fp_ieee_invalid_op 0
		.amdhsa_exception_fp_denorm_src 0
		.amdhsa_exception_fp_ieee_div_zero 0
		.amdhsa_exception_fp_ieee_overflow 0
		.amdhsa_exception_fp_ieee_underflow 0
		.amdhsa_exception_fp_ieee_inexact 0
		.amdhsa_exception_int_div_zero 0
	.end_amdhsa_kernel
	.section	.text._ZL34rocblas_syrkx_herkx_general_kernelIidLi16ELi32ELi8ELb1ELb0ELc84ELc85EKPKdKPdEviT_T0_PT8_S5_lS8_S5_lS6_PT9_S5_li,"axG",@progbits,_ZL34rocblas_syrkx_herkx_general_kernelIidLi16ELi32ELi8ELb1ELb0ELc84ELc85EKPKdKPdEviT_T0_PT8_S5_lS8_S5_lS6_PT9_S5_li,comdat
.Lfunc_end604:
	.size	_ZL34rocblas_syrkx_herkx_general_kernelIidLi16ELi32ELi8ELb1ELb0ELc84ELc85EKPKdKPdEviT_T0_PT8_S5_lS8_S5_lS6_PT9_S5_li, .Lfunc_end604-_ZL34rocblas_syrkx_herkx_general_kernelIidLi16ELi32ELi8ELb1ELb0ELc84ELc85EKPKdKPdEviT_T0_PT8_S5_lS8_S5_lS6_PT9_S5_li
                                        ; -- End function
	.section	.AMDGPU.csdata,"",@progbits
; Kernel info:
; codeLenInByte = 1532
; NumSgprs: 21
; NumVgprs: 42
; ScratchSize: 0
; MemoryBound: 0
; FloatMode: 240
; IeeeMode: 1
; LDSByteSize: 4096 bytes/workgroup (compile time only)
; SGPRBlocks: 2
; VGPRBlocks: 5
; NumSGPRsForWavesPerEU: 21
; NumVGPRsForWavesPerEU: 42
; Occupancy: 16
; WaveLimiterHint : 1
; COMPUTE_PGM_RSRC2:SCRATCH_EN: 0
; COMPUTE_PGM_RSRC2:USER_SGPR: 13
; COMPUTE_PGM_RSRC2:TRAP_HANDLER: 0
; COMPUTE_PGM_RSRC2:TGID_X_EN: 1
; COMPUTE_PGM_RSRC2:TGID_Y_EN: 1
; COMPUTE_PGM_RSRC2:TGID_Z_EN: 1
; COMPUTE_PGM_RSRC2:TIDIG_COMP_CNT: 1
	.section	.text._ZL34rocblas_syrkx_herkx_general_kernelIidLi16ELi32ELi8ELb1ELb0ELc67ELc85EKPKdKPdEviT_T0_PT8_S5_lS8_S5_lS6_PT9_S5_li,"axG",@progbits,_ZL34rocblas_syrkx_herkx_general_kernelIidLi16ELi32ELi8ELb1ELb0ELc67ELc85EKPKdKPdEviT_T0_PT8_S5_lS8_S5_lS6_PT9_S5_li,comdat
	.globl	_ZL34rocblas_syrkx_herkx_general_kernelIidLi16ELi32ELi8ELb1ELb0ELc67ELc85EKPKdKPdEviT_T0_PT8_S5_lS8_S5_lS6_PT9_S5_li ; -- Begin function _ZL34rocblas_syrkx_herkx_general_kernelIidLi16ELi32ELi8ELb1ELb0ELc67ELc85EKPKdKPdEviT_T0_PT8_S5_lS8_S5_lS6_PT9_S5_li
	.p2align	8
	.type	_ZL34rocblas_syrkx_herkx_general_kernelIidLi16ELi32ELi8ELb1ELb0ELc67ELc85EKPKdKPdEviT_T0_PT8_S5_lS8_S5_lS6_PT9_S5_li,@function
_ZL34rocblas_syrkx_herkx_general_kernelIidLi16ELi32ELi8ELb1ELb0ELc67ELc85EKPKdKPdEviT_T0_PT8_S5_lS8_S5_lS6_PT9_S5_li: ; @_ZL34rocblas_syrkx_herkx_general_kernelIidLi16ELi32ELi8ELb1ELb0ELc67ELc85EKPKdKPdEviT_T0_PT8_S5_lS8_S5_lS6_PT9_S5_li
; %bb.0:
	s_clause 0x1
	s_load_b64 s[4:5], s[0:1], 0x48
	s_load_b64 s[8:9], s[0:1], 0x0
	s_mov_b32 s16, s15
	s_mov_b32 s17, 0
	v_mov_b32_e32 v12, 0
	s_lshl_b64 s[2:3], s[16:17], 3
	v_dual_mov_b32 v13, 0 :: v_dual_and_b32 v18, 0x3ff, v0
	v_bfe_u32 v19, v0, 10, 10
	s_delay_alu instid0(VALU_DEP_3) | instskip(NEXT) | instid1(VALU_DEP_3)
	v_mov_b32_e32 v10, v12
	v_dual_mov_b32 v4, v12 :: v_dual_mov_b32 v5, v13
	v_dual_mov_b32 v11, v13 :: v_dual_mov_b32 v2, v12
	v_mov_b32_e32 v3, v13
	s_waitcnt lgkmcnt(0)
	s_add_u32 s10, s4, s2
	s_addc_u32 s11, s5, s3
	s_load_b128 s[4:7], s[0:1], 0x8
	s_load_b64 s[10:11], s[10:11], 0x0
	s_lshl_b32 s12, s13, 5
	s_lshl_b32 s13, s14, 5
	s_cmp_lt_i32 s9, 1
	s_cbranch_scc1 .LBB605_7
; %bb.1:
	s_clause 0x2
	s_load_b64 s[14:15], s[0:1], 0x28
	s_load_b32 s16, s[0:1], 0x18
	s_load_b32 s18, s[0:1], 0x30
	v_lshl_add_u32 v2, v19, 4, v18
	v_dual_mov_b32 v0, 0 :: v_dual_lshlrev_b32 v21, 3, v18
	v_dual_mov_b32 v1, 0 :: v_dual_and_b32 v20, 7, v18
	s_delay_alu instid0(VALU_DEP_3) | instskip(SKIP_2) | instid1(VALU_DEP_4)
	v_and_b32_e32 v3, 31, v2
	v_lshrrev_b32_e32 v4, 3, v2
	v_lshrrev_b32_e32 v23, 5, v2
	v_dual_mov_b32 v13, v1 :: v_dual_lshlrev_b32 v6, 3, v20
	s_delay_alu instid0(VALU_DEP_4) | instskip(NEXT) | instid1(VALU_DEP_4)
	v_add_nc_u32_e32 v5, s12, v3
	v_add_nc_u32_e32 v7, s13, v4
	v_or_b32_e32 v8, s12, v3
	v_dual_mov_b32 v12, v0 :: v_dual_lshlrev_b32 v9, 3, v3
	v_lshl_or_b32 v10, v4, 6, v6
	v_lshlrev_b32_e32 v11, 3, v23
	s_waitcnt lgkmcnt(0)
	s_add_u32 s14, s14, s2
	s_addc_u32 s15, s15, s3
	s_add_u32 s2, s6, s2
	s_addc_u32 s3, s7, s3
	v_mad_i64_i32 v[2:3], null, s16, v5, 0
	s_load_b64 s[6:7], s[2:3], 0x0
	v_mad_i64_i32 v[4:5], null, s18, v7, 0
	s_load_b64 s[14:15], s[14:15], 0x0
	v_cmp_gt_i32_e64 s2, s8, v7
	v_cmp_gt_i32_e32 vcc_lo, s8, v8
	s_delay_alu instid0(VALU_DEP_4)
	v_lshlrev_b64 v[2:3], 3, v[2:3]
	v_lshl_or_b32 v24, v23, 8, v9
	v_add_nc_u32_e32 v25, 0x800, v10
	v_lshlrev_b64 v[4:5], 3, v[4:5]
	v_lshl_add_u32 v22, v19, 6, 0x800
	v_add_co_u32 v2, s3, v2, v11
	s_delay_alu instid0(VALU_DEP_1) | instskip(NEXT) | instid1(VALU_DEP_4)
	v_add_co_ci_u32_e64 v3, s3, 0, v3, s3
	v_add_co_u32 v4, s3, v4, v6
	s_delay_alu instid0(VALU_DEP_1) | instskip(SKIP_2) | instid1(VALU_DEP_1)
	v_add_co_ci_u32_e64 v5, s3, 0, v5, s3
	s_waitcnt lgkmcnt(0)
	v_add_co_u32 v6, s3, s6, v2
	v_add_co_ci_u32_e64 v7, s3, s7, v3, s3
	v_add_co_u32 v8, s3, s14, v4
	s_delay_alu instid0(VALU_DEP_1)
	v_add_co_ci_u32_e64 v9, s3, s15, v5, s3
	v_mov_b32_e32 v3, v1
	v_mov_b32_e32 v5, v1
	v_dual_mov_b32 v11, v1 :: v_dual_mov_b32 v2, v0
	v_mov_b32_e32 v4, v0
	v_mov_b32_e32 v10, v0
	s_branch .LBB605_3
.LBB605_2:                              ;   in Loop: Header=BB605_3 Depth=1
	s_or_b32 exec_lo, exec_lo, s3
	s_waitcnt vmcnt(0)
	ds_store_b64 v25, v[16:17]
	s_waitcnt lgkmcnt(0)
	s_barrier
	buffer_gl0_inv
	ds_load_2addr_b64 v[14:17], v21 offset1:16
	ds_load_b128 v[26:29], v22
	ds_load_b128 v[30:33], v22 offset:1024
	ds_load_b128 v[34:37], v22 offset:16
	;; [unrolled: 1-line block ×3, first 2 shown]
	v_add_co_u32 v6, s3, v6, 64
	s_delay_alu instid0(VALU_DEP_1) | instskip(SKIP_1) | instid1(VALU_DEP_1)
	v_add_co_ci_u32_e64 v7, s3, 0, v7, s3
	v_add_co_u32 v8, s3, v8, 64
	v_add_co_ci_u32_e64 v9, s3, 0, v9, s3
	s_add_i32 s17, s17, 8
	s_delay_alu instid0(SALU_CYCLE_1)
	s_cmp_ge_i32 s17, s9
	s_waitcnt lgkmcnt(3)
	v_fma_f64 v[12:13], v[14:15], v[26:27], v[12:13]
	v_fma_f64 v[10:11], v[16:17], v[26:27], v[10:11]
	s_waitcnt lgkmcnt(2)
	v_fma_f64 v[14:15], v[14:15], v[30:31], v[4:5]
	v_fma_f64 v[16:17], v[16:17], v[30:31], v[2:3]
	ds_load_2addr_b64 v[2:5], v21 offset0:32 offset1:48
	s_waitcnt lgkmcnt(0)
	v_fma_f64 v[12:13], v[2:3], v[28:29], v[12:13]
	v_fma_f64 v[10:11], v[4:5], v[28:29], v[10:11]
	v_fma_f64 v[14:15], v[2:3], v[32:33], v[14:15]
	v_fma_f64 v[16:17], v[4:5], v[32:33], v[16:17]
	ds_load_2addr_b64 v[2:5], v21 offset0:64 offset1:80
	s_waitcnt lgkmcnt(0)
	v_fma_f64 v[12:13], v[2:3], v[34:35], v[12:13]
	v_fma_f64 v[10:11], v[4:5], v[34:35], v[10:11]
	;; [unrolled: 6-line block ×3, first 2 shown]
	v_fma_f64 v[38:39], v[2:3], v[40:41], v[14:15]
	v_fma_f64 v[40:41], v[4:5], v[40:41], v[16:17]
	ds_load_2addr_b64 v[2:5], v21 offset0:128 offset1:144
	ds_load_b128 v[10:13], v22 offset:32
	ds_load_b128 v[14:17], v22 offset:1056
	;; [unrolled: 1-line block ×4, first 2 shown]
	s_waitcnt lgkmcnt(3)
	v_fma_f64 v[34:35], v[2:3], v[10:11], v[34:35]
	v_fma_f64 v[10:11], v[4:5], v[10:11], v[36:37]
	s_waitcnt lgkmcnt(2)
	v_fma_f64 v[36:37], v[2:3], v[14:15], v[38:39]
	v_fma_f64 v[14:15], v[4:5], v[14:15], v[40:41]
	ds_load_2addr_b64 v[2:5], v21 offset0:160 offset1:176
	s_waitcnt lgkmcnt(0)
	v_fma_f64 v[34:35], v[2:3], v[12:13], v[34:35]
	v_fma_f64 v[10:11], v[4:5], v[12:13], v[10:11]
	;; [unrolled: 1-line block ×4, first 2 shown]
	ds_load_2addr_b64 v[2:5], v21 offset0:192 offset1:208
	s_waitcnt lgkmcnt(0)
	v_fma_f64 v[34:35], v[2:3], v[26:27], v[34:35]
	v_fma_f64 v[10:11], v[4:5], v[26:27], v[10:11]
	;; [unrolled: 1-line block ×4, first 2 shown]
	ds_load_2addr_b64 v[14:17], v21 offset0:224 offset1:240
	s_waitcnt lgkmcnt(0)
	s_barrier
	buffer_gl0_inv
	v_fma_f64 v[12:13], v[14:15], v[28:29], v[34:35]
	v_fma_f64 v[10:11], v[16:17], v[28:29], v[10:11]
	;; [unrolled: 1-line block ×4, first 2 shown]
	s_cbranch_scc1 .LBB605_7
.LBB605_3:                              ; =>This Inner Loop Header: Depth=1
	v_add_nc_u32_e32 v14, s17, v23
	s_delay_alu instid0(VALU_DEP_1) | instskip(SKIP_1) | instid1(VALU_DEP_2)
	v_cmp_gt_i32_e64 s3, s9, v14
	v_dual_mov_b32 v15, v1 :: v_dual_mov_b32 v14, v0
	s_and_b32 s6, vcc_lo, s3
	s_delay_alu instid0(SALU_CYCLE_1)
	s_and_saveexec_b32 s3, s6
	s_cbranch_execz .LBB605_5
; %bb.4:                                ;   in Loop: Header=BB605_3 Depth=1
	global_load_b64 v[14:15], v[6:7], off
.LBB605_5:                              ;   in Loop: Header=BB605_3 Depth=1
	s_or_b32 exec_lo, exec_lo, s3
	v_add_nc_u32_e32 v16, s17, v20
	s_waitcnt vmcnt(0)
	ds_store_b64 v24, v[14:15]
	v_cmp_gt_i32_e64 s3, s9, v16
	v_dual_mov_b32 v17, v1 :: v_dual_mov_b32 v16, v0
	s_delay_alu instid0(VALU_DEP_2) | instskip(NEXT) | instid1(SALU_CYCLE_1)
	s_and_b32 s6, s3, s2
	s_and_saveexec_b32 s3, s6
	s_cbranch_execz .LBB605_2
; %bb.6:                                ;   in Loop: Header=BB605_3 Depth=1
	global_load_b64 v[16:17], v[8:9], off
	s_branch .LBB605_2
.LBB605_7:
	s_load_b32 s2, s[0:1], 0x50
	v_add_nc_u32_e32 v8, s13, v19
	v_add_nc_u32_e32 v0, s12, v18
	s_delay_alu instid0(VALU_DEP_2) | instskip(NEXT) | instid1(VALU_DEP_2)
	v_cmp_gt_i32_e32 vcc_lo, s8, v8
	v_cmp_le_i32_e64 s0, v0, v8
	s_delay_alu instid0(VALU_DEP_1) | instskip(SKIP_2) | instid1(VALU_DEP_1)
	s_and_b32 s0, vcc_lo, s0
	s_waitcnt lgkmcnt(0)
	v_mad_i64_i32 v[6:7], null, v8, s2, 0
	v_lshlrev_b64 v[6:7], 3, v[6:7]
	s_delay_alu instid0(VALU_DEP_1) | instskip(NEXT) | instid1(VALU_DEP_1)
	v_add_co_u32 v9, s1, s10, v6
	v_add_co_ci_u32_e64 v14, s1, s11, v7, s1
	s_and_saveexec_b32 s1, s0
	s_cbranch_execz .LBB605_9
; %bb.8:
	v_mul_f64 v[6:7], v[12:13], s[4:5]
	v_ashrrev_i32_e32 v1, 31, v0
	s_delay_alu instid0(VALU_DEP_1) | instskip(NEXT) | instid1(VALU_DEP_1)
	v_lshlrev_b64 v[12:13], 3, v[0:1]
	v_add_co_u32 v12, s0, v9, v12
	s_delay_alu instid0(VALU_DEP_1)
	v_add_co_ci_u32_e64 v13, s0, v14, v13, s0
	global_store_b64 v[12:13], v[6:7], off
.LBB605_9:
	s_or_b32 exec_lo, exec_lo, s1
	v_add_nc_u32_e32 v6, 16, v0
	s_delay_alu instid0(VALU_DEP_1) | instskip(NEXT) | instid1(VALU_DEP_1)
	v_cmp_le_i32_e64 s0, v6, v8
	s_and_b32 s1, vcc_lo, s0
	s_delay_alu instid0(SALU_CYCLE_1)
	s_and_saveexec_b32 s0, s1
	s_cbranch_execz .LBB605_11
; %bb.10:
	v_mul_f64 v[10:11], v[10:11], s[4:5]
	v_ashrrev_i32_e32 v7, 31, v6
	s_delay_alu instid0(VALU_DEP_1) | instskip(NEXT) | instid1(VALU_DEP_1)
	v_lshlrev_b64 v[12:13], 3, v[6:7]
	v_add_co_u32 v12, vcc_lo, v9, v12
	s_delay_alu instid0(VALU_DEP_2)
	v_add_co_ci_u32_e32 v13, vcc_lo, v14, v13, vcc_lo
	global_store_b64 v[12:13], v[10:11], off
.LBB605_11:
	s_or_b32 exec_lo, exec_lo, s0
	v_add_nc_u32_e32 v7, 16, v8
	s_delay_alu instid0(VALU_DEP_1) | instskip(SKIP_2) | instid1(VALU_DEP_1)
	v_mad_i64_i32 v[8:9], null, v7, s2, 0
	v_cmp_gt_i32_e32 vcc_lo, s8, v7
	v_cmp_le_i32_e64 s0, v0, v7
	s_and_b32 s0, vcc_lo, s0
	s_delay_alu instid0(VALU_DEP_3) | instskip(NEXT) | instid1(VALU_DEP_1)
	v_lshlrev_b64 v[8:9], 3, v[8:9]
	v_add_co_u32 v8, s1, s10, v8
	s_delay_alu instid0(VALU_DEP_1)
	v_add_co_ci_u32_e64 v9, s1, s11, v9, s1
	s_and_saveexec_b32 s1, s0
	s_cbranch_execz .LBB605_13
; %bb.12:
	v_mul_f64 v[4:5], v[4:5], s[4:5]
	v_ashrrev_i32_e32 v1, 31, v0
	s_delay_alu instid0(VALU_DEP_1) | instskip(NEXT) | instid1(VALU_DEP_1)
	v_lshlrev_b64 v[0:1], 3, v[0:1]
	v_add_co_u32 v0, s0, v8, v0
	s_delay_alu instid0(VALU_DEP_1)
	v_add_co_ci_u32_e64 v1, s0, v9, v1, s0
	global_store_b64 v[0:1], v[4:5], off
.LBB605_13:
	s_or_b32 exec_lo, exec_lo, s1
	v_cmp_le_i32_e64 s0, v6, v7
	s_delay_alu instid0(VALU_DEP_1) | instskip(NEXT) | instid1(SALU_CYCLE_1)
	s_and_b32 s0, vcc_lo, s0
	s_and_saveexec_b32 s1, s0
	s_cbranch_execz .LBB605_15
; %bb.14:
	v_mul_f64 v[0:1], v[2:3], s[4:5]
	v_ashrrev_i32_e32 v7, 31, v6
	s_delay_alu instid0(VALU_DEP_1) | instskip(NEXT) | instid1(VALU_DEP_1)
	v_lshlrev_b64 v[2:3], 3, v[6:7]
	v_add_co_u32 v2, vcc_lo, v8, v2
	s_delay_alu instid0(VALU_DEP_2)
	v_add_co_ci_u32_e32 v3, vcc_lo, v9, v3, vcc_lo
	global_store_b64 v[2:3], v[0:1], off
.LBB605_15:
	s_nop 0
	s_sendmsg sendmsg(MSG_DEALLOC_VGPRS)
	s_endpgm
	.section	.rodata,"a",@progbits
	.p2align	6, 0x0
	.amdhsa_kernel _ZL34rocblas_syrkx_herkx_general_kernelIidLi16ELi32ELi8ELb1ELb0ELc67ELc85EKPKdKPdEviT_T0_PT8_S5_lS8_S5_lS6_PT9_S5_li
		.amdhsa_group_segment_fixed_size 4096
		.amdhsa_private_segment_fixed_size 0
		.amdhsa_kernarg_size 100
		.amdhsa_user_sgpr_count 13
		.amdhsa_user_sgpr_dispatch_ptr 0
		.amdhsa_user_sgpr_queue_ptr 0
		.amdhsa_user_sgpr_kernarg_segment_ptr 1
		.amdhsa_user_sgpr_dispatch_id 0
		.amdhsa_user_sgpr_private_segment_size 0
		.amdhsa_wavefront_size32 1
		.amdhsa_uses_dynamic_stack 0
		.amdhsa_enable_private_segment 0
		.amdhsa_system_sgpr_workgroup_id_x 1
		.amdhsa_system_sgpr_workgroup_id_y 1
		.amdhsa_system_sgpr_workgroup_id_z 1
		.amdhsa_system_sgpr_workgroup_info 0
		.amdhsa_system_vgpr_workitem_id 1
		.amdhsa_next_free_vgpr 42
		.amdhsa_next_free_sgpr 19
		.amdhsa_reserve_vcc 1
		.amdhsa_float_round_mode_32 0
		.amdhsa_float_round_mode_16_64 0
		.amdhsa_float_denorm_mode_32 3
		.amdhsa_float_denorm_mode_16_64 3
		.amdhsa_dx10_clamp 1
		.amdhsa_ieee_mode 1
		.amdhsa_fp16_overflow 0
		.amdhsa_workgroup_processor_mode 1
		.amdhsa_memory_ordered 1
		.amdhsa_forward_progress 0
		.amdhsa_shared_vgpr_count 0
		.amdhsa_exception_fp_ieee_invalid_op 0
		.amdhsa_exception_fp_denorm_src 0
		.amdhsa_exception_fp_ieee_div_zero 0
		.amdhsa_exception_fp_ieee_overflow 0
		.amdhsa_exception_fp_ieee_underflow 0
		.amdhsa_exception_fp_ieee_inexact 0
		.amdhsa_exception_int_div_zero 0
	.end_amdhsa_kernel
	.section	.text._ZL34rocblas_syrkx_herkx_general_kernelIidLi16ELi32ELi8ELb1ELb0ELc67ELc85EKPKdKPdEviT_T0_PT8_S5_lS8_S5_lS6_PT9_S5_li,"axG",@progbits,_ZL34rocblas_syrkx_herkx_general_kernelIidLi16ELi32ELi8ELb1ELb0ELc67ELc85EKPKdKPdEviT_T0_PT8_S5_lS8_S5_lS6_PT9_S5_li,comdat
.Lfunc_end605:
	.size	_ZL34rocblas_syrkx_herkx_general_kernelIidLi16ELi32ELi8ELb1ELb0ELc67ELc85EKPKdKPdEviT_T0_PT8_S5_lS8_S5_lS6_PT9_S5_li, .Lfunc_end605-_ZL34rocblas_syrkx_herkx_general_kernelIidLi16ELi32ELi8ELb1ELb0ELc67ELc85EKPKdKPdEviT_T0_PT8_S5_lS8_S5_lS6_PT9_S5_li
                                        ; -- End function
	.section	.AMDGPU.csdata,"",@progbits
; Kernel info:
; codeLenInByte = 1532
; NumSgprs: 21
; NumVgprs: 42
; ScratchSize: 0
; MemoryBound: 0
; FloatMode: 240
; IeeeMode: 1
; LDSByteSize: 4096 bytes/workgroup (compile time only)
; SGPRBlocks: 2
; VGPRBlocks: 5
; NumSGPRsForWavesPerEU: 21
; NumVGPRsForWavesPerEU: 42
; Occupancy: 16
; WaveLimiterHint : 1
; COMPUTE_PGM_RSRC2:SCRATCH_EN: 0
; COMPUTE_PGM_RSRC2:USER_SGPR: 13
; COMPUTE_PGM_RSRC2:TRAP_HANDLER: 0
; COMPUTE_PGM_RSRC2:TGID_X_EN: 1
; COMPUTE_PGM_RSRC2:TGID_Y_EN: 1
; COMPUTE_PGM_RSRC2:TGID_Z_EN: 1
; COMPUTE_PGM_RSRC2:TIDIG_COMP_CNT: 1
	.section	.text._ZL34rocblas_syrkx_herkx_general_kernelIidLi16ELi32ELi8ELb1ELb0ELc78ELc85EKPKdKPdEviT_T0_PT8_S5_lS8_S5_lS6_PT9_S5_li,"axG",@progbits,_ZL34rocblas_syrkx_herkx_general_kernelIidLi16ELi32ELi8ELb1ELb0ELc78ELc85EKPKdKPdEviT_T0_PT8_S5_lS8_S5_lS6_PT9_S5_li,comdat
	.globl	_ZL34rocblas_syrkx_herkx_general_kernelIidLi16ELi32ELi8ELb1ELb0ELc78ELc85EKPKdKPdEviT_T0_PT8_S5_lS8_S5_lS6_PT9_S5_li ; -- Begin function _ZL34rocblas_syrkx_herkx_general_kernelIidLi16ELi32ELi8ELb1ELb0ELc78ELc85EKPKdKPdEviT_T0_PT8_S5_lS8_S5_lS6_PT9_S5_li
	.p2align	8
	.type	_ZL34rocblas_syrkx_herkx_general_kernelIidLi16ELi32ELi8ELb1ELb0ELc78ELc85EKPKdKPdEviT_T0_PT8_S5_lS8_S5_lS6_PT9_S5_li,@function
_ZL34rocblas_syrkx_herkx_general_kernelIidLi16ELi32ELi8ELb1ELb0ELc78ELc85EKPKdKPdEviT_T0_PT8_S5_lS8_S5_lS6_PT9_S5_li: ; @_ZL34rocblas_syrkx_herkx_general_kernelIidLi16ELi32ELi8ELb1ELb0ELc78ELc85EKPKdKPdEviT_T0_PT8_S5_lS8_S5_lS6_PT9_S5_li
; %bb.0:
	s_clause 0x1
	s_load_b64 s[4:5], s[0:1], 0x48
	s_load_b64 s[8:9], s[0:1], 0x0
	s_mov_b32 s16, s15
	s_mov_b32 s17, 0
	v_mov_b32_e32 v12, 0
	s_lshl_b64 s[2:3], s[16:17], 3
	v_dual_mov_b32 v13, 0 :: v_dual_and_b32 v18, 0x3ff, v0
	v_bfe_u32 v19, v0, 10, 10
	s_delay_alu instid0(VALU_DEP_3) | instskip(NEXT) | instid1(VALU_DEP_3)
	v_mov_b32_e32 v10, v12
	v_dual_mov_b32 v4, v12 :: v_dual_mov_b32 v5, v13
	v_dual_mov_b32 v11, v13 :: v_dual_mov_b32 v0, v12
	v_mov_b32_e32 v1, v13
	s_waitcnt lgkmcnt(0)
	s_add_u32 s10, s4, s2
	s_addc_u32 s11, s5, s3
	s_load_b128 s[4:7], s[0:1], 0x8
	s_load_b64 s[10:11], s[10:11], 0x0
	s_lshl_b32 s15, s13, 5
	s_lshl_b32 s14, s14, 5
	s_cmp_lt_i32 s9, 1
	s_cbranch_scc1 .LBB606_7
; %bb.1:
	s_clause 0x2
	s_load_b32 s12, s[0:1], 0x18
	s_load_b32 s18, s[0:1], 0x30
	s_load_b64 s[20:21], s[0:1], 0x28
	v_lshl_add_u32 v0, v19, 4, v18
	v_and_b32_e32 v20, 7, v18
	v_lshl_add_u32 v25, v19, 6, 0x800
	s_delay_alu instid0(VALU_DEP_3) | instskip(SKIP_3) | instid1(VALU_DEP_4)
	v_and_b32_e32 v1, 31, v0
	v_lshrrev_b32_e32 v21, 5, v0
	v_lshrrev_b32_e32 v3, 3, v0
	v_lshlrev_b32_e32 v4, 3, v20
	v_or_b32_e32 v5, s15, v1
	v_lshlrev_b32_e32 v6, 3, v1
	v_add_nc_u32_e32 v0, s15, v1
	v_add_nc_u32_e32 v2, s14, v3
	v_lshl_or_b32 v3, v3, 6, v4
	v_cmp_gt_i32_e32 vcc_lo, s8, v5
	v_lshl_or_b32 v22, v21, 8, v6
	s_waitcnt lgkmcnt(0)
	s_ashr_i32 s13, s12, 31
	s_ashr_i32 s19, s18, 31
	s_add_u32 s20, s20, s2
	s_addc_u32 s21, s21, s3
	s_add_u32 s2, s6, s2
	s_addc_u32 s3, s7, s3
	v_mad_i64_i32 v[4:5], null, v21, s12, 0
	s_load_b64 s[6:7], s[20:21], 0x0
	s_load_b64 s[20:21], s[2:3], 0x0
	v_ashrrev_i32_e32 v1, 31, v0
	v_mad_i64_i32 v[6:7], null, s18, v20, 0
	v_add_nc_u32_e32 v23, 0x800, v3
	v_ashrrev_i32_e32 v3, 31, v2
	v_lshlrev_b64 v[4:5], 3, v[4:5]
	v_lshlrev_b64 v[0:1], 3, v[0:1]
	v_cmp_gt_i32_e64 s2, s8, v2
	v_lshlrev_b64 v[6:7], 3, v[6:7]
	v_lshlrev_b64 v[2:3], 3, v[2:3]
	s_delay_alu instid0(VALU_DEP_4) | instskip(NEXT) | instid1(VALU_DEP_1)
	v_add_co_u32 v0, s3, v4, v0
	v_add_co_ci_u32_e64 v1, s3, v5, v1, s3
	s_delay_alu instid0(VALU_DEP_3) | instskip(NEXT) | instid1(VALU_DEP_1)
	v_add_co_u32 v4, s3, v6, v2
	v_add_co_ci_u32_e64 v5, s3, v7, v3, s3
	v_mov_b32_e32 v2, 0
	v_mov_b32_e32 v3, 0
	s_waitcnt lgkmcnt(0)
	v_add_co_u32 v6, s3, s20, v0
	s_delay_alu instid0(VALU_DEP_1)
	v_add_co_ci_u32_e64 v7, s3, s21, v1, s3
	v_mov_b32_e32 v0, v2
	v_add_co_u32 v8, s3, s6, v4
	v_dual_mov_b32 v13, v3 :: v_dual_lshlrev_b32 v24, 3, v18
	v_add_co_ci_u32_e64 v9, s3, s7, v5, s3
	v_mov_b32_e32 v5, v3
	v_mov_b32_e32 v11, v3
	v_dual_mov_b32 v1, v3 :: v_dual_mov_b32 v4, v2
	v_mov_b32_e32 v10, v2
	v_mov_b32_e32 v12, v2
	s_lshl_b64 s[6:7], s[12:13], 6
	s_lshl_b64 s[12:13], s[18:19], 6
	s_branch .LBB606_3
.LBB606_2:                              ;   in Loop: Header=BB606_3 Depth=1
	s_or_b32 exec_lo, exec_lo, s3
	s_waitcnt vmcnt(0)
	ds_store_b64 v23, v[16:17]
	s_waitcnt lgkmcnt(0)
	s_barrier
	buffer_gl0_inv
	ds_load_2addr_b64 v[14:17], v24 offset1:16
	ds_load_b128 v[26:29], v25
	ds_load_b128 v[30:33], v25 offset:1024
	ds_load_b128 v[34:37], v25 offset:16
	;; [unrolled: 1-line block ×3, first 2 shown]
	v_add_co_u32 v6, s3, v6, s6
	s_delay_alu instid0(VALU_DEP_1) | instskip(SKIP_1) | instid1(VALU_DEP_1)
	v_add_co_ci_u32_e64 v7, s3, s7, v7, s3
	v_add_co_u32 v8, s3, v8, s12
	v_add_co_ci_u32_e64 v9, s3, s13, v9, s3
	s_add_i32 s17, s17, 8
	s_delay_alu instid0(SALU_CYCLE_1)
	s_cmp_ge_i32 s17, s9
	s_waitcnt lgkmcnt(3)
	v_fma_f64 v[42:43], v[14:15], v[26:27], v[12:13]
	v_fma_f64 v[26:27], v[16:17], v[26:27], v[10:11]
	s_waitcnt lgkmcnt(2)
	v_fma_f64 v[4:5], v[14:15], v[30:31], v[4:5]
	v_fma_f64 v[0:1], v[16:17], v[30:31], v[0:1]
	ds_load_2addr_b64 v[10:13], v24 offset0:32 offset1:48
	s_waitcnt lgkmcnt(0)
	v_fma_f64 v[14:15], v[10:11], v[28:29], v[42:43]
	v_fma_f64 v[16:17], v[12:13], v[28:29], v[26:27]
	v_fma_f64 v[4:5], v[10:11], v[32:33], v[4:5]
	v_fma_f64 v[0:1], v[12:13], v[32:33], v[0:1]
	ds_load_2addr_b64 v[10:13], v24 offset0:64 offset1:80
	s_waitcnt lgkmcnt(0)
	v_fma_f64 v[14:15], v[10:11], v[34:35], v[14:15]
	v_fma_f64 v[16:17], v[12:13], v[34:35], v[16:17]
	;; [unrolled: 6-line block ×3, first 2 shown]
	v_fma_f64 v[4:5], v[10:11], v[40:41], v[4:5]
	v_fma_f64 v[0:1], v[12:13], v[40:41], v[0:1]
	ds_load_2addr_b64 v[10:13], v24 offset0:128 offset1:144
	ds_load_b128 v[14:17], v25 offset:32
	ds_load_b128 v[26:29], v25 offset:1056
	;; [unrolled: 1-line block ×4, first 2 shown]
	s_waitcnt lgkmcnt(3)
	v_fma_f64 v[38:39], v[10:11], v[14:15], v[38:39]
	v_fma_f64 v[14:15], v[12:13], v[14:15], v[42:43]
	s_waitcnt lgkmcnt(2)
	v_fma_f64 v[4:5], v[10:11], v[26:27], v[4:5]
	v_fma_f64 v[0:1], v[12:13], v[26:27], v[0:1]
	ds_load_2addr_b64 v[10:13], v24 offset0:160 offset1:176
	s_waitcnt lgkmcnt(0)
	v_fma_f64 v[26:27], v[10:11], v[16:17], v[38:39]
	v_fma_f64 v[14:15], v[12:13], v[16:17], v[14:15]
	;; [unrolled: 1-line block ×4, first 2 shown]
	ds_load_2addr_b64 v[10:13], v24 offset0:192 offset1:208
	s_waitcnt lgkmcnt(0)
	v_fma_f64 v[26:27], v[10:11], v[30:31], v[26:27]
	v_fma_f64 v[28:29], v[12:13], v[30:31], v[14:15]
	;; [unrolled: 1-line block ×4, first 2 shown]
	ds_load_2addr_b64 v[14:17], v24 offset0:224 offset1:240
	s_waitcnt lgkmcnt(0)
	s_barrier
	buffer_gl0_inv
	v_fma_f64 v[12:13], v[14:15], v[32:33], v[26:27]
	v_fma_f64 v[10:11], v[16:17], v[32:33], v[28:29]
	;; [unrolled: 1-line block ×4, first 2 shown]
	s_cbranch_scc1 .LBB606_7
.LBB606_3:                              ; =>This Inner Loop Header: Depth=1
	v_add_nc_u32_e32 v14, s17, v21
	s_delay_alu instid0(VALU_DEP_1) | instskip(SKIP_1) | instid1(VALU_DEP_2)
	v_cmp_gt_i32_e64 s3, s9, v14
	v_dual_mov_b32 v15, v3 :: v_dual_mov_b32 v14, v2
	s_and_b32 s16, vcc_lo, s3
	s_delay_alu instid0(SALU_CYCLE_1)
	s_and_saveexec_b32 s3, s16
	s_cbranch_execz .LBB606_5
; %bb.4:                                ;   in Loop: Header=BB606_3 Depth=1
	global_load_b64 v[14:15], v[6:7], off
.LBB606_5:                              ;   in Loop: Header=BB606_3 Depth=1
	s_or_b32 exec_lo, exec_lo, s3
	v_add_nc_u32_e32 v16, s17, v20
	s_waitcnt vmcnt(0)
	ds_store_b64 v22, v[14:15]
	v_cmp_gt_i32_e64 s3, s9, v16
	v_dual_mov_b32 v17, v3 :: v_dual_mov_b32 v16, v2
	s_delay_alu instid0(VALU_DEP_2) | instskip(NEXT) | instid1(SALU_CYCLE_1)
	s_and_b32 s16, s3, s2
	s_and_saveexec_b32 s3, s16
	s_cbranch_execz .LBB606_2
; %bb.6:                                ;   in Loop: Header=BB606_3 Depth=1
	global_load_b64 v[16:17], v[8:9], off
	s_branch .LBB606_2
.LBB606_7:
	s_load_b32 s2, s[0:1], 0x50
	v_add_nc_u32_e32 v8, s14, v19
	v_add_nc_u32_e32 v2, s15, v18
	s_delay_alu instid0(VALU_DEP_2) | instskip(NEXT) | instid1(VALU_DEP_2)
	v_cmp_gt_i32_e32 vcc_lo, s8, v8
	v_cmp_le_i32_e64 s0, v2, v8
	s_delay_alu instid0(VALU_DEP_1) | instskip(SKIP_2) | instid1(VALU_DEP_1)
	s_and_b32 s0, vcc_lo, s0
	s_waitcnt lgkmcnt(0)
	v_mad_i64_i32 v[6:7], null, v8, s2, 0
	v_lshlrev_b64 v[6:7], 3, v[6:7]
	s_delay_alu instid0(VALU_DEP_1) | instskip(NEXT) | instid1(VALU_DEP_1)
	v_add_co_u32 v9, s1, s10, v6
	v_add_co_ci_u32_e64 v14, s1, s11, v7, s1
	s_and_saveexec_b32 s1, s0
	s_cbranch_execz .LBB606_9
; %bb.8:
	v_mul_f64 v[6:7], v[12:13], s[4:5]
	v_ashrrev_i32_e32 v3, 31, v2
	s_delay_alu instid0(VALU_DEP_1) | instskip(NEXT) | instid1(VALU_DEP_1)
	v_lshlrev_b64 v[12:13], 3, v[2:3]
	v_add_co_u32 v12, s0, v9, v12
	s_delay_alu instid0(VALU_DEP_1)
	v_add_co_ci_u32_e64 v13, s0, v14, v13, s0
	global_store_b64 v[12:13], v[6:7], off
.LBB606_9:
	s_or_b32 exec_lo, exec_lo, s1
	v_add_nc_u32_e32 v6, 16, v2
	s_delay_alu instid0(VALU_DEP_1) | instskip(NEXT) | instid1(VALU_DEP_1)
	v_cmp_le_i32_e64 s0, v6, v8
	s_and_b32 s1, vcc_lo, s0
	s_delay_alu instid0(SALU_CYCLE_1)
	s_and_saveexec_b32 s0, s1
	s_cbranch_execz .LBB606_11
; %bb.10:
	v_mul_f64 v[10:11], v[10:11], s[4:5]
	v_ashrrev_i32_e32 v7, 31, v6
	s_delay_alu instid0(VALU_DEP_1) | instskip(NEXT) | instid1(VALU_DEP_1)
	v_lshlrev_b64 v[12:13], 3, v[6:7]
	v_add_co_u32 v12, vcc_lo, v9, v12
	s_delay_alu instid0(VALU_DEP_2)
	v_add_co_ci_u32_e32 v13, vcc_lo, v14, v13, vcc_lo
	global_store_b64 v[12:13], v[10:11], off
.LBB606_11:
	s_or_b32 exec_lo, exec_lo, s0
	v_add_nc_u32_e32 v7, 16, v8
	s_delay_alu instid0(VALU_DEP_1) | instskip(SKIP_2) | instid1(VALU_DEP_1)
	v_mad_i64_i32 v[8:9], null, v7, s2, 0
	v_cmp_gt_i32_e32 vcc_lo, s8, v7
	v_cmp_le_i32_e64 s0, v2, v7
	s_and_b32 s0, vcc_lo, s0
	s_delay_alu instid0(VALU_DEP_3) | instskip(NEXT) | instid1(VALU_DEP_1)
	v_lshlrev_b64 v[8:9], 3, v[8:9]
	v_add_co_u32 v8, s1, s10, v8
	s_delay_alu instid0(VALU_DEP_1)
	v_add_co_ci_u32_e64 v9, s1, s11, v9, s1
	s_and_saveexec_b32 s1, s0
	s_cbranch_execz .LBB606_13
; %bb.12:
	v_mul_f64 v[4:5], v[4:5], s[4:5]
	v_ashrrev_i32_e32 v3, 31, v2
	s_delay_alu instid0(VALU_DEP_1) | instskip(NEXT) | instid1(VALU_DEP_1)
	v_lshlrev_b64 v[2:3], 3, v[2:3]
	v_add_co_u32 v2, s0, v8, v2
	s_delay_alu instid0(VALU_DEP_1)
	v_add_co_ci_u32_e64 v3, s0, v9, v3, s0
	global_store_b64 v[2:3], v[4:5], off
.LBB606_13:
	s_or_b32 exec_lo, exec_lo, s1
	v_cmp_le_i32_e64 s0, v6, v7
	s_delay_alu instid0(VALU_DEP_1) | instskip(NEXT) | instid1(SALU_CYCLE_1)
	s_and_b32 s0, vcc_lo, s0
	s_and_saveexec_b32 s1, s0
	s_cbranch_execz .LBB606_15
; %bb.14:
	v_mul_f64 v[0:1], v[0:1], s[4:5]
	v_ashrrev_i32_e32 v7, 31, v6
	s_delay_alu instid0(VALU_DEP_1) | instskip(NEXT) | instid1(VALU_DEP_1)
	v_lshlrev_b64 v[2:3], 3, v[6:7]
	v_add_co_u32 v2, vcc_lo, v8, v2
	s_delay_alu instid0(VALU_DEP_2)
	v_add_co_ci_u32_e32 v3, vcc_lo, v9, v3, vcc_lo
	global_store_b64 v[2:3], v[0:1], off
.LBB606_15:
	s_nop 0
	s_sendmsg sendmsg(MSG_DEALLOC_VGPRS)
	s_endpgm
	.section	.rodata,"a",@progbits
	.p2align	6, 0x0
	.amdhsa_kernel _ZL34rocblas_syrkx_herkx_general_kernelIidLi16ELi32ELi8ELb1ELb0ELc78ELc85EKPKdKPdEviT_T0_PT8_S5_lS8_S5_lS6_PT9_S5_li
		.amdhsa_group_segment_fixed_size 4096
		.amdhsa_private_segment_fixed_size 0
		.amdhsa_kernarg_size 100
		.amdhsa_user_sgpr_count 13
		.amdhsa_user_sgpr_dispatch_ptr 0
		.amdhsa_user_sgpr_queue_ptr 0
		.amdhsa_user_sgpr_kernarg_segment_ptr 1
		.amdhsa_user_sgpr_dispatch_id 0
		.amdhsa_user_sgpr_private_segment_size 0
		.amdhsa_wavefront_size32 1
		.amdhsa_uses_dynamic_stack 0
		.amdhsa_enable_private_segment 0
		.amdhsa_system_sgpr_workgroup_id_x 1
		.amdhsa_system_sgpr_workgroup_id_y 1
		.amdhsa_system_sgpr_workgroup_id_z 1
		.amdhsa_system_sgpr_workgroup_info 0
		.amdhsa_system_vgpr_workitem_id 1
		.amdhsa_next_free_vgpr 44
		.amdhsa_next_free_sgpr 22
		.amdhsa_reserve_vcc 1
		.amdhsa_float_round_mode_32 0
		.amdhsa_float_round_mode_16_64 0
		.amdhsa_float_denorm_mode_32 3
		.amdhsa_float_denorm_mode_16_64 3
		.amdhsa_dx10_clamp 1
		.amdhsa_ieee_mode 1
		.amdhsa_fp16_overflow 0
		.amdhsa_workgroup_processor_mode 1
		.amdhsa_memory_ordered 1
		.amdhsa_forward_progress 0
		.amdhsa_shared_vgpr_count 0
		.amdhsa_exception_fp_ieee_invalid_op 0
		.amdhsa_exception_fp_denorm_src 0
		.amdhsa_exception_fp_ieee_div_zero 0
		.amdhsa_exception_fp_ieee_overflow 0
		.amdhsa_exception_fp_ieee_underflow 0
		.amdhsa_exception_fp_ieee_inexact 0
		.amdhsa_exception_int_div_zero 0
	.end_amdhsa_kernel
	.section	.text._ZL34rocblas_syrkx_herkx_general_kernelIidLi16ELi32ELi8ELb1ELb0ELc78ELc85EKPKdKPdEviT_T0_PT8_S5_lS8_S5_lS6_PT9_S5_li,"axG",@progbits,_ZL34rocblas_syrkx_herkx_general_kernelIidLi16ELi32ELi8ELb1ELb0ELc78ELc85EKPKdKPdEviT_T0_PT8_S5_lS8_S5_lS6_PT9_S5_li,comdat
.Lfunc_end606:
	.size	_ZL34rocblas_syrkx_herkx_general_kernelIidLi16ELi32ELi8ELb1ELb0ELc78ELc85EKPKdKPdEviT_T0_PT8_S5_lS8_S5_lS6_PT9_S5_li, .Lfunc_end606-_ZL34rocblas_syrkx_herkx_general_kernelIidLi16ELi32ELi8ELb1ELb0ELc78ELc85EKPKdKPdEviT_T0_PT8_S5_lS8_S5_lS6_PT9_S5_li
                                        ; -- End function
	.section	.AMDGPU.csdata,"",@progbits
; Kernel info:
; codeLenInByte = 1560
; NumSgprs: 24
; NumVgprs: 44
; ScratchSize: 0
; MemoryBound: 0
; FloatMode: 240
; IeeeMode: 1
; LDSByteSize: 4096 bytes/workgroup (compile time only)
; SGPRBlocks: 2
; VGPRBlocks: 5
; NumSGPRsForWavesPerEU: 24
; NumVGPRsForWavesPerEU: 44
; Occupancy: 16
; WaveLimiterHint : 1
; COMPUTE_PGM_RSRC2:SCRATCH_EN: 0
; COMPUTE_PGM_RSRC2:USER_SGPR: 13
; COMPUTE_PGM_RSRC2:TRAP_HANDLER: 0
; COMPUTE_PGM_RSRC2:TGID_X_EN: 1
; COMPUTE_PGM_RSRC2:TGID_Y_EN: 1
; COMPUTE_PGM_RSRC2:TGID_Z_EN: 1
; COMPUTE_PGM_RSRC2:TIDIG_COMP_CNT: 1
	.section	.text._ZL34rocblas_syrkx_herkx_general_kernelIidLi16ELi32ELi8ELb0ELb0ELc84ELc76EKPKdKPdEviT_T0_PT8_S5_lS8_S5_lS6_PT9_S5_li,"axG",@progbits,_ZL34rocblas_syrkx_herkx_general_kernelIidLi16ELi32ELi8ELb0ELb0ELc84ELc76EKPKdKPdEviT_T0_PT8_S5_lS8_S5_lS6_PT9_S5_li,comdat
	.globl	_ZL34rocblas_syrkx_herkx_general_kernelIidLi16ELi32ELi8ELb0ELb0ELc84ELc76EKPKdKPdEviT_T0_PT8_S5_lS8_S5_lS6_PT9_S5_li ; -- Begin function _ZL34rocblas_syrkx_herkx_general_kernelIidLi16ELi32ELi8ELb0ELb0ELc84ELc76EKPKdKPdEviT_T0_PT8_S5_lS8_S5_lS6_PT9_S5_li
	.p2align	8
	.type	_ZL34rocblas_syrkx_herkx_general_kernelIidLi16ELi32ELi8ELb0ELb0ELc84ELc76EKPKdKPdEviT_T0_PT8_S5_lS8_S5_lS6_PT9_S5_li,@function
_ZL34rocblas_syrkx_herkx_general_kernelIidLi16ELi32ELi8ELb0ELb0ELc84ELc76EKPKdKPdEviT_T0_PT8_S5_lS8_S5_lS6_PT9_S5_li: ; @_ZL34rocblas_syrkx_herkx_general_kernelIidLi16ELi32ELi8ELb0ELb0ELc84ELc76EKPKdKPdEviT_T0_PT8_S5_lS8_S5_lS6_PT9_S5_li
; %bb.0:
	s_clause 0x1
	s_load_b128 s[4:7], s[0:1], 0x40
	s_load_b64 s[16:17], s[0:1], 0x0
	s_mov_b32 s18, s15
	s_mov_b32 s19, 0
	v_mov_b32_e32 v12, 0
	s_lshl_b64 s[2:3], s[18:19], 3
	v_dual_mov_b32 v13, 0 :: v_dual_and_b32 v18, 0x3ff, v0
	v_bfe_u32 v19, v0, 10, 10
	s_delay_alu instid0(VALU_DEP_3) | instskip(NEXT) | instid1(VALU_DEP_3)
	v_mov_b32_e32 v10, v12
	v_dual_mov_b32 v4, v12 :: v_dual_mov_b32 v5, v13
	v_dual_mov_b32 v11, v13 :: v_dual_mov_b32 v0, v12
	v_mov_b32_e32 v1, v13
	s_waitcnt lgkmcnt(0)
	s_add_u32 s6, s6, s2
	s_addc_u32 s7, s7, s3
	s_load_b128 s[8:11], s[0:1], 0x8
	s_load_b64 s[6:7], s[6:7], 0x0
	s_lshl_b32 s12, s13, 5
	s_lshl_b32 s13, s14, 5
	s_cmp_lt_i32 s17, 1
	s_cbranch_scc1 .LBB607_7
; %bb.1:
	s_clause 0x2
	s_load_b64 s[14:15], s[0:1], 0x28
	s_load_b32 s18, s[0:1], 0x18
	s_load_b32 s20, s[0:1], 0x30
	v_lshl_add_u32 v0, v19, 4, v18
	v_dual_mov_b32 v2, 0 :: v_dual_lshlrev_b32 v21, 3, v18
	v_dual_mov_b32 v3, 0 :: v_dual_and_b32 v20, 7, v18
	s_delay_alu instid0(VALU_DEP_3) | instskip(SKIP_2) | instid1(VALU_DEP_4)
	v_and_b32_e32 v1, 31, v0
	v_lshrrev_b32_e32 v4, 3, v0
	v_lshrrev_b32_e32 v23, 5, v0
	v_dual_mov_b32 v13, v3 :: v_dual_lshlrev_b32 v6, 3, v20
	s_delay_alu instid0(VALU_DEP_4) | instskip(NEXT) | instid1(VALU_DEP_4)
	v_add_nc_u32_e32 v5, s12, v1
	v_add_nc_u32_e32 v7, s13, v4
	v_or_b32_e32 v8, s12, v1
	v_dual_mov_b32 v12, v2 :: v_dual_lshlrev_b32 v9, 3, v1
	v_lshl_or_b32 v10, v4, 6, v6
	v_lshlrev_b32_e32 v11, 3, v23
	s_waitcnt lgkmcnt(0)
	s_add_u32 s14, s14, s2
	s_addc_u32 s15, s15, s3
	s_add_u32 s2, s10, s2
	s_addc_u32 s3, s11, s3
	v_mad_i64_i32 v[0:1], null, s18, v5, 0
	s_load_b64 s[10:11], s[2:3], 0x0
	v_mad_i64_i32 v[4:5], null, s20, v7, 0
	s_load_b64 s[14:15], s[14:15], 0x0
	v_cmp_gt_i32_e64 s2, s16, v7
	v_cmp_gt_i32_e32 vcc_lo, s16, v8
	s_delay_alu instid0(VALU_DEP_4)
	v_lshlrev_b64 v[0:1], 3, v[0:1]
	v_lshl_or_b32 v24, v23, 8, v9
	v_add_nc_u32_e32 v25, 0x800, v10
	v_lshlrev_b64 v[4:5], 3, v[4:5]
	v_lshl_add_u32 v22, v19, 6, 0x800
	v_add_co_u32 v0, s3, v0, v11
	s_delay_alu instid0(VALU_DEP_1) | instskip(NEXT) | instid1(VALU_DEP_4)
	v_add_co_ci_u32_e64 v1, s3, 0, v1, s3
	v_add_co_u32 v4, s3, v4, v6
	s_delay_alu instid0(VALU_DEP_1) | instskip(SKIP_2) | instid1(VALU_DEP_1)
	v_add_co_ci_u32_e64 v5, s3, 0, v5, s3
	s_waitcnt lgkmcnt(0)
	v_add_co_u32 v6, s3, s10, v0
	v_add_co_ci_u32_e64 v7, s3, s11, v1, s3
	v_add_co_u32 v8, s3, s14, v4
	s_delay_alu instid0(VALU_DEP_1)
	v_add_co_ci_u32_e64 v9, s3, s15, v5, s3
	v_dual_mov_b32 v0, v2 :: v_dual_mov_b32 v5, v3
	v_mov_b32_e32 v11, v3
	v_dual_mov_b32 v1, v3 :: v_dual_mov_b32 v4, v2
	v_mov_b32_e32 v10, v2
	s_branch .LBB607_3
.LBB607_2:                              ;   in Loop: Header=BB607_3 Depth=1
	s_or_b32 exec_lo, exec_lo, s3
	s_waitcnt vmcnt(0)
	ds_store_b64 v25, v[16:17]
	s_waitcnt lgkmcnt(0)
	s_barrier
	buffer_gl0_inv
	ds_load_2addr_b64 v[14:17], v21 offset1:16
	ds_load_b128 v[26:29], v22
	ds_load_b128 v[30:33], v22 offset:1024
	ds_load_b128 v[34:37], v22 offset:16
	;; [unrolled: 1-line block ×3, first 2 shown]
	v_add_co_u32 v6, s3, v6, 64
	s_delay_alu instid0(VALU_DEP_1) | instskip(SKIP_1) | instid1(VALU_DEP_1)
	v_add_co_ci_u32_e64 v7, s3, 0, v7, s3
	v_add_co_u32 v8, s3, v8, 64
	v_add_co_ci_u32_e64 v9, s3, 0, v9, s3
	s_add_i32 s19, s19, 8
	s_delay_alu instid0(SALU_CYCLE_1)
	s_cmp_ge_i32 s19, s17
	s_waitcnt lgkmcnt(3)
	v_fma_f64 v[42:43], v[14:15], v[26:27], v[12:13]
	v_fma_f64 v[26:27], v[16:17], v[26:27], v[10:11]
	s_waitcnt lgkmcnt(2)
	v_fma_f64 v[4:5], v[14:15], v[30:31], v[4:5]
	v_fma_f64 v[0:1], v[16:17], v[30:31], v[0:1]
	ds_load_2addr_b64 v[10:13], v21 offset0:32 offset1:48
	s_waitcnt lgkmcnt(0)
	v_fma_f64 v[14:15], v[10:11], v[28:29], v[42:43]
	v_fma_f64 v[16:17], v[12:13], v[28:29], v[26:27]
	v_fma_f64 v[4:5], v[10:11], v[32:33], v[4:5]
	v_fma_f64 v[0:1], v[12:13], v[32:33], v[0:1]
	ds_load_2addr_b64 v[10:13], v21 offset0:64 offset1:80
	s_waitcnt lgkmcnt(0)
	v_fma_f64 v[14:15], v[10:11], v[34:35], v[14:15]
	v_fma_f64 v[16:17], v[12:13], v[34:35], v[16:17]
	;; [unrolled: 6-line block ×3, first 2 shown]
	v_fma_f64 v[4:5], v[10:11], v[40:41], v[4:5]
	v_fma_f64 v[0:1], v[12:13], v[40:41], v[0:1]
	ds_load_2addr_b64 v[10:13], v21 offset0:128 offset1:144
	ds_load_b128 v[14:17], v22 offset:32
	ds_load_b128 v[26:29], v22 offset:1056
	;; [unrolled: 1-line block ×4, first 2 shown]
	s_waitcnt lgkmcnt(3)
	v_fma_f64 v[38:39], v[10:11], v[14:15], v[38:39]
	v_fma_f64 v[14:15], v[12:13], v[14:15], v[42:43]
	s_waitcnt lgkmcnt(2)
	v_fma_f64 v[4:5], v[10:11], v[26:27], v[4:5]
	v_fma_f64 v[0:1], v[12:13], v[26:27], v[0:1]
	ds_load_2addr_b64 v[10:13], v21 offset0:160 offset1:176
	s_waitcnt lgkmcnt(0)
	v_fma_f64 v[26:27], v[10:11], v[16:17], v[38:39]
	v_fma_f64 v[14:15], v[12:13], v[16:17], v[14:15]
	v_fma_f64 v[4:5], v[10:11], v[28:29], v[4:5]
	v_fma_f64 v[0:1], v[12:13], v[28:29], v[0:1]
	ds_load_2addr_b64 v[10:13], v21 offset0:192 offset1:208
	s_waitcnt lgkmcnt(0)
	v_fma_f64 v[26:27], v[10:11], v[30:31], v[26:27]
	v_fma_f64 v[28:29], v[12:13], v[30:31], v[14:15]
	;; [unrolled: 1-line block ×4, first 2 shown]
	ds_load_2addr_b64 v[14:17], v21 offset0:224 offset1:240
	s_waitcnt lgkmcnt(0)
	s_barrier
	buffer_gl0_inv
	v_fma_f64 v[12:13], v[14:15], v[32:33], v[26:27]
	v_fma_f64 v[10:11], v[16:17], v[32:33], v[28:29]
	;; [unrolled: 1-line block ×4, first 2 shown]
	s_cbranch_scc1 .LBB607_7
.LBB607_3:                              ; =>This Inner Loop Header: Depth=1
	v_add_nc_u32_e32 v14, s19, v23
	s_delay_alu instid0(VALU_DEP_1) | instskip(SKIP_1) | instid1(VALU_DEP_2)
	v_cmp_gt_i32_e64 s3, s17, v14
	v_dual_mov_b32 v15, v3 :: v_dual_mov_b32 v14, v2
	s_and_b32 s10, vcc_lo, s3
	s_delay_alu instid0(SALU_CYCLE_1)
	s_and_saveexec_b32 s3, s10
	s_cbranch_execz .LBB607_5
; %bb.4:                                ;   in Loop: Header=BB607_3 Depth=1
	global_load_b64 v[14:15], v[6:7], off
.LBB607_5:                              ;   in Loop: Header=BB607_3 Depth=1
	s_or_b32 exec_lo, exec_lo, s3
	v_add_nc_u32_e32 v16, s19, v20
	s_waitcnt vmcnt(0)
	ds_store_b64 v24, v[14:15]
	v_cmp_gt_i32_e64 s3, s17, v16
	v_dual_mov_b32 v17, v3 :: v_dual_mov_b32 v16, v2
	s_delay_alu instid0(VALU_DEP_2) | instskip(NEXT) | instid1(SALU_CYCLE_1)
	s_and_b32 s10, s3, s2
	s_and_saveexec_b32 s3, s10
	s_cbranch_execz .LBB607_2
; %bb.6:                                ;   in Loop: Header=BB607_3 Depth=1
	global_load_b64 v[16:17], v[8:9], off
	s_branch .LBB607_2
.LBB607_7:
	s_load_b32 s2, s[0:1], 0x50
	v_add_nc_u32_e32 v8, s13, v19
	v_add_nc_u32_e32 v2, s12, v18
	s_delay_alu instid0(VALU_DEP_1) | instskip(SKIP_1) | instid1(VALU_DEP_2)
	v_cmp_le_i32_e64 s0, v8, v2
	v_cmp_gt_i32_e32 vcc_lo, s16, v2
	s_and_b32 s0, s0, vcc_lo
	s_waitcnt lgkmcnt(0)
	v_mad_i64_i32 v[6:7], null, v8, s2, 0
	s_delay_alu instid0(VALU_DEP_1) | instskip(NEXT) | instid1(VALU_DEP_1)
	v_lshlrev_b64 v[6:7], 3, v[6:7]
	v_add_co_u32 v9, s1, s6, v6
	s_delay_alu instid0(VALU_DEP_1)
	v_add_co_ci_u32_e64 v14, s1, s7, v7, s1
	s_and_saveexec_b32 s1, s0
	s_cbranch_execz .LBB607_9
; %bb.8:
	v_ashrrev_i32_e32 v3, 31, v2
	s_delay_alu instid0(VALU_DEP_1) | instskip(NEXT) | instid1(VALU_DEP_1)
	v_lshlrev_b64 v[6:7], 3, v[2:3]
	v_add_co_u32 v6, s0, v9, v6
	s_delay_alu instid0(VALU_DEP_1) | instskip(SKIP_3) | instid1(VALU_DEP_1)
	v_add_co_ci_u32_e64 v7, s0, v14, v7, s0
	global_load_b64 v[15:16], v[6:7], off
	s_waitcnt vmcnt(0)
	v_mul_f64 v[15:16], v[15:16], s[4:5]
	v_fma_f64 v[12:13], v[12:13], s[8:9], v[15:16]
	global_store_b64 v[6:7], v[12:13], off
.LBB607_9:
	s_or_b32 exec_lo, exec_lo, s1
	v_add_nc_u32_e32 v6, 16, v2
	s_delay_alu instid0(VALU_DEP_1) | instskip(SKIP_1) | instid1(VALU_DEP_1)
	v_cmp_le_i32_e64 s1, v8, v6
	v_cmp_gt_i32_e64 s0, s16, v6
	s_and_b32 s1, s1, s0
	s_delay_alu instid0(SALU_CYCLE_1)
	s_and_saveexec_b32 s3, s1
	s_cbranch_execz .LBB607_11
; %bb.10:
	v_ashrrev_i32_e32 v7, 31, v6
	s_delay_alu instid0(VALU_DEP_1) | instskip(NEXT) | instid1(VALU_DEP_1)
	v_lshlrev_b64 v[12:13], 3, v[6:7]
	v_add_co_u32 v12, s1, v9, v12
	s_delay_alu instid0(VALU_DEP_1) | instskip(SKIP_3) | instid1(VALU_DEP_1)
	v_add_co_ci_u32_e64 v13, s1, v14, v13, s1
	global_load_b64 v[14:15], v[12:13], off
	s_waitcnt vmcnt(0)
	v_mul_f64 v[14:15], v[14:15], s[4:5]
	v_fma_f64 v[9:10], v[10:11], s[8:9], v[14:15]
	global_store_b64 v[12:13], v[9:10], off
.LBB607_11:
	s_or_b32 exec_lo, exec_lo, s3
	v_add_nc_u32_e32 v7, 16, v8
	s_delay_alu instid0(VALU_DEP_1) | instskip(SKIP_1) | instid1(VALU_DEP_2)
	v_mad_i64_i32 v[8:9], null, v7, s2, 0
	v_cmp_le_i32_e64 s1, v7, v2
	v_lshlrev_b64 v[8:9], 3, v[8:9]
	s_delay_alu instid0(VALU_DEP_1) | instskip(NEXT) | instid1(VALU_DEP_1)
	v_add_co_u32 v8, s2, s6, v8
	v_add_co_ci_u32_e64 v9, s2, s7, v9, s2
	s_delay_alu instid0(VALU_DEP_4) | instskip(NEXT) | instid1(SALU_CYCLE_1)
	s_and_b32 s2, s1, vcc_lo
	s_and_saveexec_b32 s1, s2
	s_cbranch_execz .LBB607_13
; %bb.12:
	v_ashrrev_i32_e32 v3, 31, v2
	s_delay_alu instid0(VALU_DEP_1) | instskip(NEXT) | instid1(VALU_DEP_1)
	v_lshlrev_b64 v[2:3], 3, v[2:3]
	v_add_co_u32 v2, vcc_lo, v8, v2
	s_delay_alu instid0(VALU_DEP_2) | instskip(SKIP_3) | instid1(VALU_DEP_1)
	v_add_co_ci_u32_e32 v3, vcc_lo, v9, v3, vcc_lo
	global_load_b64 v[10:11], v[2:3], off
	s_waitcnt vmcnt(0)
	v_mul_f64 v[10:11], v[10:11], s[4:5]
	v_fma_f64 v[4:5], v[4:5], s[8:9], v[10:11]
	global_store_b64 v[2:3], v[4:5], off
.LBB607_13:
	s_or_b32 exec_lo, exec_lo, s1
	v_cmp_le_i32_e32 vcc_lo, v7, v6
	s_and_b32 s0, vcc_lo, s0
	s_delay_alu instid0(SALU_CYCLE_1)
	s_and_saveexec_b32 s1, s0
	s_cbranch_execz .LBB607_15
; %bb.14:
	v_ashrrev_i32_e32 v7, 31, v6
	s_delay_alu instid0(VALU_DEP_1) | instskip(NEXT) | instid1(VALU_DEP_1)
	v_lshlrev_b64 v[2:3], 3, v[6:7]
	v_add_co_u32 v2, vcc_lo, v8, v2
	s_delay_alu instid0(VALU_DEP_2) | instskip(SKIP_3) | instid1(VALU_DEP_1)
	v_add_co_ci_u32_e32 v3, vcc_lo, v9, v3, vcc_lo
	global_load_b64 v[4:5], v[2:3], off
	s_waitcnt vmcnt(0)
	v_mul_f64 v[4:5], v[4:5], s[4:5]
	v_fma_f64 v[0:1], v[0:1], s[8:9], v[4:5]
	global_store_b64 v[2:3], v[0:1], off
.LBB607_15:
	s_nop 0
	s_sendmsg sendmsg(MSG_DEALLOC_VGPRS)
	s_endpgm
	.section	.rodata,"a",@progbits
	.p2align	6, 0x0
	.amdhsa_kernel _ZL34rocblas_syrkx_herkx_general_kernelIidLi16ELi32ELi8ELb0ELb0ELc84ELc76EKPKdKPdEviT_T0_PT8_S5_lS8_S5_lS6_PT9_S5_li
		.amdhsa_group_segment_fixed_size 4096
		.amdhsa_private_segment_fixed_size 0
		.amdhsa_kernarg_size 100
		.amdhsa_user_sgpr_count 13
		.amdhsa_user_sgpr_dispatch_ptr 0
		.amdhsa_user_sgpr_queue_ptr 0
		.amdhsa_user_sgpr_kernarg_segment_ptr 1
		.amdhsa_user_sgpr_dispatch_id 0
		.amdhsa_user_sgpr_private_segment_size 0
		.amdhsa_wavefront_size32 1
		.amdhsa_uses_dynamic_stack 0
		.amdhsa_enable_private_segment 0
		.amdhsa_system_sgpr_workgroup_id_x 1
		.amdhsa_system_sgpr_workgroup_id_y 1
		.amdhsa_system_sgpr_workgroup_id_z 1
		.amdhsa_system_sgpr_workgroup_info 0
		.amdhsa_system_vgpr_workitem_id 1
		.amdhsa_next_free_vgpr 44
		.amdhsa_next_free_sgpr 21
		.amdhsa_reserve_vcc 1
		.amdhsa_float_round_mode_32 0
		.amdhsa_float_round_mode_16_64 0
		.amdhsa_float_denorm_mode_32 3
		.amdhsa_float_denorm_mode_16_64 3
		.amdhsa_dx10_clamp 1
		.amdhsa_ieee_mode 1
		.amdhsa_fp16_overflow 0
		.amdhsa_workgroup_processor_mode 1
		.amdhsa_memory_ordered 1
		.amdhsa_forward_progress 0
		.amdhsa_shared_vgpr_count 0
		.amdhsa_exception_fp_ieee_invalid_op 0
		.amdhsa_exception_fp_denorm_src 0
		.amdhsa_exception_fp_ieee_div_zero 0
		.amdhsa_exception_fp_ieee_overflow 0
		.amdhsa_exception_fp_ieee_underflow 0
		.amdhsa_exception_fp_ieee_inexact 0
		.amdhsa_exception_int_div_zero 0
	.end_amdhsa_kernel
	.section	.text._ZL34rocblas_syrkx_herkx_general_kernelIidLi16ELi32ELi8ELb0ELb0ELc84ELc76EKPKdKPdEviT_T0_PT8_S5_lS8_S5_lS6_PT9_S5_li,"axG",@progbits,_ZL34rocblas_syrkx_herkx_general_kernelIidLi16ELi32ELi8ELb0ELb0ELc84ELc76EKPKdKPdEviT_T0_PT8_S5_lS8_S5_lS6_PT9_S5_li,comdat
.Lfunc_end607:
	.size	_ZL34rocblas_syrkx_herkx_general_kernelIidLi16ELi32ELi8ELb0ELb0ELc84ELc76EKPKdKPdEviT_T0_PT8_S5_lS8_S5_lS6_PT9_S5_li, .Lfunc_end607-_ZL34rocblas_syrkx_herkx_general_kernelIidLi16ELi32ELi8ELb0ELb0ELc84ELc76EKPKdKPdEviT_T0_PT8_S5_lS8_S5_lS6_PT9_S5_li
                                        ; -- End function
	.section	.AMDGPU.csdata,"",@progbits
; Kernel info:
; codeLenInByte = 1612
; NumSgprs: 23
; NumVgprs: 44
; ScratchSize: 0
; MemoryBound: 0
; FloatMode: 240
; IeeeMode: 1
; LDSByteSize: 4096 bytes/workgroup (compile time only)
; SGPRBlocks: 2
; VGPRBlocks: 5
; NumSGPRsForWavesPerEU: 23
; NumVGPRsForWavesPerEU: 44
; Occupancy: 16
; WaveLimiterHint : 1
; COMPUTE_PGM_RSRC2:SCRATCH_EN: 0
; COMPUTE_PGM_RSRC2:USER_SGPR: 13
; COMPUTE_PGM_RSRC2:TRAP_HANDLER: 0
; COMPUTE_PGM_RSRC2:TGID_X_EN: 1
; COMPUTE_PGM_RSRC2:TGID_Y_EN: 1
; COMPUTE_PGM_RSRC2:TGID_Z_EN: 1
; COMPUTE_PGM_RSRC2:TIDIG_COMP_CNT: 1
	.section	.text._ZL34rocblas_syrkx_herkx_general_kernelIidLi16ELi32ELi8ELb0ELb0ELc67ELc76EKPKdKPdEviT_T0_PT8_S5_lS8_S5_lS6_PT9_S5_li,"axG",@progbits,_ZL34rocblas_syrkx_herkx_general_kernelIidLi16ELi32ELi8ELb0ELb0ELc67ELc76EKPKdKPdEviT_T0_PT8_S5_lS8_S5_lS6_PT9_S5_li,comdat
	.globl	_ZL34rocblas_syrkx_herkx_general_kernelIidLi16ELi32ELi8ELb0ELb0ELc67ELc76EKPKdKPdEviT_T0_PT8_S5_lS8_S5_lS6_PT9_S5_li ; -- Begin function _ZL34rocblas_syrkx_herkx_general_kernelIidLi16ELi32ELi8ELb0ELb0ELc67ELc76EKPKdKPdEviT_T0_PT8_S5_lS8_S5_lS6_PT9_S5_li
	.p2align	8
	.type	_ZL34rocblas_syrkx_herkx_general_kernelIidLi16ELi32ELi8ELb0ELb0ELc67ELc76EKPKdKPdEviT_T0_PT8_S5_lS8_S5_lS6_PT9_S5_li,@function
_ZL34rocblas_syrkx_herkx_general_kernelIidLi16ELi32ELi8ELb0ELb0ELc67ELc76EKPKdKPdEviT_T0_PT8_S5_lS8_S5_lS6_PT9_S5_li: ; @_ZL34rocblas_syrkx_herkx_general_kernelIidLi16ELi32ELi8ELb0ELb0ELc67ELc76EKPKdKPdEviT_T0_PT8_S5_lS8_S5_lS6_PT9_S5_li
; %bb.0:
	s_clause 0x1
	s_load_b128 s[4:7], s[0:1], 0x40
	s_load_b64 s[16:17], s[0:1], 0x0
	s_mov_b32 s18, s15
	s_mov_b32 s19, 0
	v_mov_b32_e32 v12, 0
	s_lshl_b64 s[2:3], s[18:19], 3
	v_dual_mov_b32 v13, 0 :: v_dual_and_b32 v18, 0x3ff, v0
	v_bfe_u32 v19, v0, 10, 10
	s_delay_alu instid0(VALU_DEP_3) | instskip(NEXT) | instid1(VALU_DEP_3)
	v_mov_b32_e32 v10, v12
	v_dual_mov_b32 v4, v12 :: v_dual_mov_b32 v5, v13
	v_dual_mov_b32 v11, v13 :: v_dual_mov_b32 v0, v12
	v_mov_b32_e32 v1, v13
	s_waitcnt lgkmcnt(0)
	s_add_u32 s6, s6, s2
	s_addc_u32 s7, s7, s3
	s_load_b128 s[8:11], s[0:1], 0x8
	s_load_b64 s[6:7], s[6:7], 0x0
	s_lshl_b32 s12, s13, 5
	s_lshl_b32 s13, s14, 5
	s_cmp_lt_i32 s17, 1
	s_cbranch_scc1 .LBB608_7
; %bb.1:
	s_clause 0x2
	s_load_b64 s[14:15], s[0:1], 0x28
	s_load_b32 s18, s[0:1], 0x18
	s_load_b32 s20, s[0:1], 0x30
	v_lshl_add_u32 v0, v19, 4, v18
	v_dual_mov_b32 v2, 0 :: v_dual_lshlrev_b32 v21, 3, v18
	v_dual_mov_b32 v3, 0 :: v_dual_and_b32 v20, 7, v18
	s_delay_alu instid0(VALU_DEP_3) | instskip(SKIP_2) | instid1(VALU_DEP_4)
	v_and_b32_e32 v1, 31, v0
	v_lshrrev_b32_e32 v4, 3, v0
	v_lshrrev_b32_e32 v23, 5, v0
	v_dual_mov_b32 v13, v3 :: v_dual_lshlrev_b32 v6, 3, v20
	s_delay_alu instid0(VALU_DEP_4) | instskip(NEXT) | instid1(VALU_DEP_4)
	v_add_nc_u32_e32 v5, s12, v1
	v_add_nc_u32_e32 v7, s13, v4
	v_or_b32_e32 v8, s12, v1
	v_dual_mov_b32 v12, v2 :: v_dual_lshlrev_b32 v9, 3, v1
	v_lshl_or_b32 v10, v4, 6, v6
	v_lshlrev_b32_e32 v11, 3, v23
	s_waitcnt lgkmcnt(0)
	s_add_u32 s14, s14, s2
	s_addc_u32 s15, s15, s3
	s_add_u32 s2, s10, s2
	s_addc_u32 s3, s11, s3
	v_mad_i64_i32 v[0:1], null, s18, v5, 0
	s_load_b64 s[10:11], s[2:3], 0x0
	v_mad_i64_i32 v[4:5], null, s20, v7, 0
	s_load_b64 s[14:15], s[14:15], 0x0
	v_cmp_gt_i32_e64 s2, s16, v7
	v_cmp_gt_i32_e32 vcc_lo, s16, v8
	s_delay_alu instid0(VALU_DEP_4)
	v_lshlrev_b64 v[0:1], 3, v[0:1]
	v_lshl_or_b32 v24, v23, 8, v9
	v_add_nc_u32_e32 v25, 0x800, v10
	v_lshlrev_b64 v[4:5], 3, v[4:5]
	v_lshl_add_u32 v22, v19, 6, 0x800
	v_add_co_u32 v0, s3, v0, v11
	s_delay_alu instid0(VALU_DEP_1) | instskip(NEXT) | instid1(VALU_DEP_4)
	v_add_co_ci_u32_e64 v1, s3, 0, v1, s3
	v_add_co_u32 v4, s3, v4, v6
	s_delay_alu instid0(VALU_DEP_1) | instskip(SKIP_2) | instid1(VALU_DEP_1)
	v_add_co_ci_u32_e64 v5, s3, 0, v5, s3
	s_waitcnt lgkmcnt(0)
	v_add_co_u32 v6, s3, s10, v0
	v_add_co_ci_u32_e64 v7, s3, s11, v1, s3
	v_add_co_u32 v8, s3, s14, v4
	s_delay_alu instid0(VALU_DEP_1)
	v_add_co_ci_u32_e64 v9, s3, s15, v5, s3
	v_dual_mov_b32 v0, v2 :: v_dual_mov_b32 v5, v3
	v_mov_b32_e32 v11, v3
	v_dual_mov_b32 v1, v3 :: v_dual_mov_b32 v4, v2
	v_mov_b32_e32 v10, v2
	s_branch .LBB608_3
.LBB608_2:                              ;   in Loop: Header=BB608_3 Depth=1
	s_or_b32 exec_lo, exec_lo, s3
	s_waitcnt vmcnt(0)
	ds_store_b64 v25, v[16:17]
	s_waitcnt lgkmcnt(0)
	s_barrier
	buffer_gl0_inv
	ds_load_2addr_b64 v[14:17], v21 offset1:16
	ds_load_b128 v[26:29], v22
	ds_load_b128 v[30:33], v22 offset:1024
	ds_load_b128 v[34:37], v22 offset:16
	;; [unrolled: 1-line block ×3, first 2 shown]
	v_add_co_u32 v6, s3, v6, 64
	s_delay_alu instid0(VALU_DEP_1) | instskip(SKIP_1) | instid1(VALU_DEP_1)
	v_add_co_ci_u32_e64 v7, s3, 0, v7, s3
	v_add_co_u32 v8, s3, v8, 64
	v_add_co_ci_u32_e64 v9, s3, 0, v9, s3
	s_add_i32 s19, s19, 8
	s_delay_alu instid0(SALU_CYCLE_1)
	s_cmp_ge_i32 s19, s17
	s_waitcnt lgkmcnt(3)
	v_fma_f64 v[42:43], v[14:15], v[26:27], v[12:13]
	v_fma_f64 v[26:27], v[16:17], v[26:27], v[10:11]
	s_waitcnt lgkmcnt(2)
	v_fma_f64 v[4:5], v[14:15], v[30:31], v[4:5]
	v_fma_f64 v[0:1], v[16:17], v[30:31], v[0:1]
	ds_load_2addr_b64 v[10:13], v21 offset0:32 offset1:48
	s_waitcnt lgkmcnt(0)
	v_fma_f64 v[14:15], v[10:11], v[28:29], v[42:43]
	v_fma_f64 v[16:17], v[12:13], v[28:29], v[26:27]
	v_fma_f64 v[4:5], v[10:11], v[32:33], v[4:5]
	v_fma_f64 v[0:1], v[12:13], v[32:33], v[0:1]
	ds_load_2addr_b64 v[10:13], v21 offset0:64 offset1:80
	s_waitcnt lgkmcnt(0)
	v_fma_f64 v[14:15], v[10:11], v[34:35], v[14:15]
	v_fma_f64 v[16:17], v[12:13], v[34:35], v[16:17]
	;; [unrolled: 6-line block ×3, first 2 shown]
	v_fma_f64 v[4:5], v[10:11], v[40:41], v[4:5]
	v_fma_f64 v[0:1], v[12:13], v[40:41], v[0:1]
	ds_load_2addr_b64 v[10:13], v21 offset0:128 offset1:144
	ds_load_b128 v[14:17], v22 offset:32
	ds_load_b128 v[26:29], v22 offset:1056
	;; [unrolled: 1-line block ×4, first 2 shown]
	s_waitcnt lgkmcnt(3)
	v_fma_f64 v[38:39], v[10:11], v[14:15], v[38:39]
	v_fma_f64 v[14:15], v[12:13], v[14:15], v[42:43]
	s_waitcnt lgkmcnt(2)
	v_fma_f64 v[4:5], v[10:11], v[26:27], v[4:5]
	v_fma_f64 v[0:1], v[12:13], v[26:27], v[0:1]
	ds_load_2addr_b64 v[10:13], v21 offset0:160 offset1:176
	s_waitcnt lgkmcnt(0)
	v_fma_f64 v[26:27], v[10:11], v[16:17], v[38:39]
	v_fma_f64 v[14:15], v[12:13], v[16:17], v[14:15]
	;; [unrolled: 1-line block ×4, first 2 shown]
	ds_load_2addr_b64 v[10:13], v21 offset0:192 offset1:208
	s_waitcnt lgkmcnt(0)
	v_fma_f64 v[26:27], v[10:11], v[30:31], v[26:27]
	v_fma_f64 v[28:29], v[12:13], v[30:31], v[14:15]
	;; [unrolled: 1-line block ×4, first 2 shown]
	ds_load_2addr_b64 v[14:17], v21 offset0:224 offset1:240
	s_waitcnt lgkmcnt(0)
	s_barrier
	buffer_gl0_inv
	v_fma_f64 v[12:13], v[14:15], v[32:33], v[26:27]
	v_fma_f64 v[10:11], v[16:17], v[32:33], v[28:29]
	;; [unrolled: 1-line block ×4, first 2 shown]
	s_cbranch_scc1 .LBB608_7
.LBB608_3:                              ; =>This Inner Loop Header: Depth=1
	v_add_nc_u32_e32 v14, s19, v23
	s_delay_alu instid0(VALU_DEP_1) | instskip(SKIP_1) | instid1(VALU_DEP_2)
	v_cmp_gt_i32_e64 s3, s17, v14
	v_dual_mov_b32 v15, v3 :: v_dual_mov_b32 v14, v2
	s_and_b32 s10, vcc_lo, s3
	s_delay_alu instid0(SALU_CYCLE_1)
	s_and_saveexec_b32 s3, s10
	s_cbranch_execz .LBB608_5
; %bb.4:                                ;   in Loop: Header=BB608_3 Depth=1
	global_load_b64 v[14:15], v[6:7], off
.LBB608_5:                              ;   in Loop: Header=BB608_3 Depth=1
	s_or_b32 exec_lo, exec_lo, s3
	v_add_nc_u32_e32 v16, s19, v20
	s_waitcnt vmcnt(0)
	ds_store_b64 v24, v[14:15]
	v_cmp_gt_i32_e64 s3, s17, v16
	v_dual_mov_b32 v17, v3 :: v_dual_mov_b32 v16, v2
	s_delay_alu instid0(VALU_DEP_2) | instskip(NEXT) | instid1(SALU_CYCLE_1)
	s_and_b32 s10, s3, s2
	s_and_saveexec_b32 s3, s10
	s_cbranch_execz .LBB608_2
; %bb.6:                                ;   in Loop: Header=BB608_3 Depth=1
	global_load_b64 v[16:17], v[8:9], off
	s_branch .LBB608_2
.LBB608_7:
	s_load_b32 s2, s[0:1], 0x50
	v_add_nc_u32_e32 v8, s13, v19
	v_add_nc_u32_e32 v2, s12, v18
	s_delay_alu instid0(VALU_DEP_1) | instskip(SKIP_1) | instid1(VALU_DEP_2)
	v_cmp_le_i32_e64 s0, v8, v2
	v_cmp_gt_i32_e32 vcc_lo, s16, v2
	s_and_b32 s0, s0, vcc_lo
	s_waitcnt lgkmcnt(0)
	v_mad_i64_i32 v[6:7], null, v8, s2, 0
	s_delay_alu instid0(VALU_DEP_1) | instskip(NEXT) | instid1(VALU_DEP_1)
	v_lshlrev_b64 v[6:7], 3, v[6:7]
	v_add_co_u32 v9, s1, s6, v6
	s_delay_alu instid0(VALU_DEP_1)
	v_add_co_ci_u32_e64 v14, s1, s7, v7, s1
	s_and_saveexec_b32 s1, s0
	s_cbranch_execz .LBB608_9
; %bb.8:
	v_ashrrev_i32_e32 v3, 31, v2
	s_delay_alu instid0(VALU_DEP_1) | instskip(NEXT) | instid1(VALU_DEP_1)
	v_lshlrev_b64 v[6:7], 3, v[2:3]
	v_add_co_u32 v6, s0, v9, v6
	s_delay_alu instid0(VALU_DEP_1) | instskip(SKIP_3) | instid1(VALU_DEP_1)
	v_add_co_ci_u32_e64 v7, s0, v14, v7, s0
	global_load_b64 v[15:16], v[6:7], off
	s_waitcnt vmcnt(0)
	v_mul_f64 v[15:16], v[15:16], s[4:5]
	v_fma_f64 v[12:13], v[12:13], s[8:9], v[15:16]
	global_store_b64 v[6:7], v[12:13], off
.LBB608_9:
	s_or_b32 exec_lo, exec_lo, s1
	v_add_nc_u32_e32 v6, 16, v2
	s_delay_alu instid0(VALU_DEP_1) | instskip(SKIP_1) | instid1(VALU_DEP_1)
	v_cmp_le_i32_e64 s1, v8, v6
	v_cmp_gt_i32_e64 s0, s16, v6
	s_and_b32 s1, s1, s0
	s_delay_alu instid0(SALU_CYCLE_1)
	s_and_saveexec_b32 s3, s1
	s_cbranch_execz .LBB608_11
; %bb.10:
	v_ashrrev_i32_e32 v7, 31, v6
	s_delay_alu instid0(VALU_DEP_1) | instskip(NEXT) | instid1(VALU_DEP_1)
	v_lshlrev_b64 v[12:13], 3, v[6:7]
	v_add_co_u32 v12, s1, v9, v12
	s_delay_alu instid0(VALU_DEP_1) | instskip(SKIP_3) | instid1(VALU_DEP_1)
	v_add_co_ci_u32_e64 v13, s1, v14, v13, s1
	global_load_b64 v[14:15], v[12:13], off
	s_waitcnt vmcnt(0)
	v_mul_f64 v[14:15], v[14:15], s[4:5]
	v_fma_f64 v[9:10], v[10:11], s[8:9], v[14:15]
	global_store_b64 v[12:13], v[9:10], off
.LBB608_11:
	s_or_b32 exec_lo, exec_lo, s3
	v_add_nc_u32_e32 v7, 16, v8
	s_delay_alu instid0(VALU_DEP_1) | instskip(SKIP_1) | instid1(VALU_DEP_2)
	v_mad_i64_i32 v[8:9], null, v7, s2, 0
	v_cmp_le_i32_e64 s1, v7, v2
	v_lshlrev_b64 v[8:9], 3, v[8:9]
	s_delay_alu instid0(VALU_DEP_1) | instskip(NEXT) | instid1(VALU_DEP_1)
	v_add_co_u32 v8, s2, s6, v8
	v_add_co_ci_u32_e64 v9, s2, s7, v9, s2
	s_delay_alu instid0(VALU_DEP_4) | instskip(NEXT) | instid1(SALU_CYCLE_1)
	s_and_b32 s2, s1, vcc_lo
	s_and_saveexec_b32 s1, s2
	s_cbranch_execz .LBB608_13
; %bb.12:
	v_ashrrev_i32_e32 v3, 31, v2
	s_delay_alu instid0(VALU_DEP_1) | instskip(NEXT) | instid1(VALU_DEP_1)
	v_lshlrev_b64 v[2:3], 3, v[2:3]
	v_add_co_u32 v2, vcc_lo, v8, v2
	s_delay_alu instid0(VALU_DEP_2) | instskip(SKIP_3) | instid1(VALU_DEP_1)
	v_add_co_ci_u32_e32 v3, vcc_lo, v9, v3, vcc_lo
	global_load_b64 v[10:11], v[2:3], off
	s_waitcnt vmcnt(0)
	v_mul_f64 v[10:11], v[10:11], s[4:5]
	v_fma_f64 v[4:5], v[4:5], s[8:9], v[10:11]
	global_store_b64 v[2:3], v[4:5], off
.LBB608_13:
	s_or_b32 exec_lo, exec_lo, s1
	v_cmp_le_i32_e32 vcc_lo, v7, v6
	s_and_b32 s0, vcc_lo, s0
	s_delay_alu instid0(SALU_CYCLE_1)
	s_and_saveexec_b32 s1, s0
	s_cbranch_execz .LBB608_15
; %bb.14:
	v_ashrrev_i32_e32 v7, 31, v6
	s_delay_alu instid0(VALU_DEP_1) | instskip(NEXT) | instid1(VALU_DEP_1)
	v_lshlrev_b64 v[2:3], 3, v[6:7]
	v_add_co_u32 v2, vcc_lo, v8, v2
	s_delay_alu instid0(VALU_DEP_2) | instskip(SKIP_3) | instid1(VALU_DEP_1)
	v_add_co_ci_u32_e32 v3, vcc_lo, v9, v3, vcc_lo
	global_load_b64 v[4:5], v[2:3], off
	s_waitcnt vmcnt(0)
	v_mul_f64 v[4:5], v[4:5], s[4:5]
	v_fma_f64 v[0:1], v[0:1], s[8:9], v[4:5]
	global_store_b64 v[2:3], v[0:1], off
.LBB608_15:
	s_nop 0
	s_sendmsg sendmsg(MSG_DEALLOC_VGPRS)
	s_endpgm
	.section	.rodata,"a",@progbits
	.p2align	6, 0x0
	.amdhsa_kernel _ZL34rocblas_syrkx_herkx_general_kernelIidLi16ELi32ELi8ELb0ELb0ELc67ELc76EKPKdKPdEviT_T0_PT8_S5_lS8_S5_lS6_PT9_S5_li
		.amdhsa_group_segment_fixed_size 4096
		.amdhsa_private_segment_fixed_size 0
		.amdhsa_kernarg_size 100
		.amdhsa_user_sgpr_count 13
		.amdhsa_user_sgpr_dispatch_ptr 0
		.amdhsa_user_sgpr_queue_ptr 0
		.amdhsa_user_sgpr_kernarg_segment_ptr 1
		.amdhsa_user_sgpr_dispatch_id 0
		.amdhsa_user_sgpr_private_segment_size 0
		.amdhsa_wavefront_size32 1
		.amdhsa_uses_dynamic_stack 0
		.amdhsa_enable_private_segment 0
		.amdhsa_system_sgpr_workgroup_id_x 1
		.amdhsa_system_sgpr_workgroup_id_y 1
		.amdhsa_system_sgpr_workgroup_id_z 1
		.amdhsa_system_sgpr_workgroup_info 0
		.amdhsa_system_vgpr_workitem_id 1
		.amdhsa_next_free_vgpr 44
		.amdhsa_next_free_sgpr 21
		.amdhsa_reserve_vcc 1
		.amdhsa_float_round_mode_32 0
		.amdhsa_float_round_mode_16_64 0
		.amdhsa_float_denorm_mode_32 3
		.amdhsa_float_denorm_mode_16_64 3
		.amdhsa_dx10_clamp 1
		.amdhsa_ieee_mode 1
		.amdhsa_fp16_overflow 0
		.amdhsa_workgroup_processor_mode 1
		.amdhsa_memory_ordered 1
		.amdhsa_forward_progress 0
		.amdhsa_shared_vgpr_count 0
		.amdhsa_exception_fp_ieee_invalid_op 0
		.amdhsa_exception_fp_denorm_src 0
		.amdhsa_exception_fp_ieee_div_zero 0
		.amdhsa_exception_fp_ieee_overflow 0
		.amdhsa_exception_fp_ieee_underflow 0
		.amdhsa_exception_fp_ieee_inexact 0
		.amdhsa_exception_int_div_zero 0
	.end_amdhsa_kernel
	.section	.text._ZL34rocblas_syrkx_herkx_general_kernelIidLi16ELi32ELi8ELb0ELb0ELc67ELc76EKPKdKPdEviT_T0_PT8_S5_lS8_S5_lS6_PT9_S5_li,"axG",@progbits,_ZL34rocblas_syrkx_herkx_general_kernelIidLi16ELi32ELi8ELb0ELb0ELc67ELc76EKPKdKPdEviT_T0_PT8_S5_lS8_S5_lS6_PT9_S5_li,comdat
.Lfunc_end608:
	.size	_ZL34rocblas_syrkx_herkx_general_kernelIidLi16ELi32ELi8ELb0ELb0ELc67ELc76EKPKdKPdEviT_T0_PT8_S5_lS8_S5_lS6_PT9_S5_li, .Lfunc_end608-_ZL34rocblas_syrkx_herkx_general_kernelIidLi16ELi32ELi8ELb0ELb0ELc67ELc76EKPKdKPdEviT_T0_PT8_S5_lS8_S5_lS6_PT9_S5_li
                                        ; -- End function
	.section	.AMDGPU.csdata,"",@progbits
; Kernel info:
; codeLenInByte = 1612
; NumSgprs: 23
; NumVgprs: 44
; ScratchSize: 0
; MemoryBound: 0
; FloatMode: 240
; IeeeMode: 1
; LDSByteSize: 4096 bytes/workgroup (compile time only)
; SGPRBlocks: 2
; VGPRBlocks: 5
; NumSGPRsForWavesPerEU: 23
; NumVGPRsForWavesPerEU: 44
; Occupancy: 16
; WaveLimiterHint : 1
; COMPUTE_PGM_RSRC2:SCRATCH_EN: 0
; COMPUTE_PGM_RSRC2:USER_SGPR: 13
; COMPUTE_PGM_RSRC2:TRAP_HANDLER: 0
; COMPUTE_PGM_RSRC2:TGID_X_EN: 1
; COMPUTE_PGM_RSRC2:TGID_Y_EN: 1
; COMPUTE_PGM_RSRC2:TGID_Z_EN: 1
; COMPUTE_PGM_RSRC2:TIDIG_COMP_CNT: 1
	.section	.text._ZL34rocblas_syrkx_herkx_general_kernelIidLi16ELi32ELi8ELb0ELb0ELc78ELc76EKPKdKPdEviT_T0_PT8_S5_lS8_S5_lS6_PT9_S5_li,"axG",@progbits,_ZL34rocblas_syrkx_herkx_general_kernelIidLi16ELi32ELi8ELb0ELb0ELc78ELc76EKPKdKPdEviT_T0_PT8_S5_lS8_S5_lS6_PT9_S5_li,comdat
	.globl	_ZL34rocblas_syrkx_herkx_general_kernelIidLi16ELi32ELi8ELb0ELb0ELc78ELc76EKPKdKPdEviT_T0_PT8_S5_lS8_S5_lS6_PT9_S5_li ; -- Begin function _ZL34rocblas_syrkx_herkx_general_kernelIidLi16ELi32ELi8ELb0ELb0ELc78ELc76EKPKdKPdEviT_T0_PT8_S5_lS8_S5_lS6_PT9_S5_li
	.p2align	8
	.type	_ZL34rocblas_syrkx_herkx_general_kernelIidLi16ELi32ELi8ELb0ELb0ELc78ELc76EKPKdKPdEviT_T0_PT8_S5_lS8_S5_lS6_PT9_S5_li,@function
_ZL34rocblas_syrkx_herkx_general_kernelIidLi16ELi32ELi8ELb0ELb0ELc78ELc76EKPKdKPdEviT_T0_PT8_S5_lS8_S5_lS6_PT9_S5_li: ; @_ZL34rocblas_syrkx_herkx_general_kernelIidLi16ELi32ELi8ELb0ELb0ELc78ELc76EKPKdKPdEviT_T0_PT8_S5_lS8_S5_lS6_PT9_S5_li
; %bb.0:
	s_clause 0x1
	s_load_b128 s[4:7], s[0:1], 0x40
	s_load_b64 s[16:17], s[0:1], 0x0
	s_mov_b32 s18, s15
	s_mov_b32 s19, 0
	v_mov_b32_e32 v12, 0
	s_lshl_b64 s[2:3], s[18:19], 3
	v_dual_mov_b32 v13, 0 :: v_dual_and_b32 v18, 0x3ff, v0
	v_bfe_u32 v19, v0, 10, 10
	s_delay_alu instid0(VALU_DEP_3) | instskip(NEXT) | instid1(VALU_DEP_3)
	v_mov_b32_e32 v10, v12
	v_dual_mov_b32 v2, v12 :: v_dual_mov_b32 v3, v13
	v_dual_mov_b32 v11, v13 :: v_dual_mov_b32 v0, v12
	v_mov_b32_e32 v1, v13
	s_waitcnt lgkmcnt(0)
	s_add_u32 s6, s6, s2
	s_addc_u32 s7, s7, s3
	s_load_b128 s[8:11], s[0:1], 0x8
	s_load_b64 s[6:7], s[6:7], 0x0
	s_lshl_b32 s15, s13, 5
	s_lshl_b32 s14, s14, 5
	s_cmp_lt_i32 s17, 1
	s_cbranch_scc1 .LBB609_7
; %bb.1:
	s_clause 0x1
	s_load_b32 s12, s[0:1], 0x18
	s_load_b32 s20, s[0:1], 0x30
	v_lshl_add_u32 v0, v19, 4, v18
	s_load_b64 s[22:23], s[0:1], 0x28
	v_and_b32_e32 v20, 7, v18
	v_lshl_add_u32 v25, v19, 6, 0x800
	s_delay_alu instid0(VALU_DEP_3) | instskip(SKIP_3) | instid1(VALU_DEP_4)
	v_and_b32_e32 v1, 31, v0
	v_lshrrev_b32_e32 v21, 5, v0
	v_lshrrev_b32_e32 v3, 3, v0
	v_lshlrev_b32_e32 v4, 3, v20
	v_or_b32_e32 v5, s15, v1
	v_add_nc_u32_e32 v0, s15, v1
	s_delay_alu instid0(VALU_DEP_4) | instskip(NEXT) | instid1(VALU_DEP_4)
	v_add_nc_u32_e32 v2, s14, v3
	v_lshl_or_b32 v3, v3, 6, v4
	v_lshlrev_b32_e32 v6, 3, v1
	v_cmp_gt_i32_e32 vcc_lo, s16, v5
	v_ashrrev_i32_e32 v1, 31, v0
	s_waitcnt lgkmcnt(0)
	v_mad_i64_i32 v[4:5], null, v21, s12, 0
	s_ashr_i32 s13, s12, 31
	s_delay_alu instid0(VALU_DEP_2) | instskip(SKIP_4) | instid1(VALU_DEP_2)
	v_lshlrev_b64 v[0:1], 3, v[0:1]
	s_ashr_i32 s21, s20, 31
	s_add_u32 s22, s22, s2
	s_addc_u32 s23, s23, s3
	s_add_u32 s2, s10, s2
	v_lshlrev_b64 v[4:5], 3, v[4:5]
	s_addc_u32 s3, s11, s3
	s_load_b64 s[10:11], s[22:23], 0x0
	s_load_b64 s[22:23], s[2:3], 0x0
	v_lshl_or_b32 v22, v21, 8, v6
	s_delay_alu instid0(VALU_DEP_2) | instskip(NEXT) | instid1(VALU_DEP_1)
	v_add_co_u32 v0, s3, v4, v0
	v_add_co_ci_u32_e64 v1, s3, v5, v1, s3
	v_mov_b32_e32 v4, 0
	v_mov_b32_e32 v5, 0
	v_mad_i64_i32 v[6:7], null, s20, v20, 0
	v_add_nc_u32_e32 v23, 0x800, v3
	s_delay_alu instid0(VALU_DEP_3)
	v_dual_mov_b32 v13, v5 :: v_dual_lshlrev_b32 v24, 3, v18
	v_mov_b32_e32 v11, v5
	v_ashrrev_i32_e32 v3, 31, v2
	v_cmp_gt_i32_e64 s2, s16, v2
	v_lshlrev_b64 v[6:7], 3, v[6:7]
	v_mov_b32_e32 v10, v4
	v_mov_b32_e32 v12, v4
	v_lshlrev_b64 v[2:3], 3, v[2:3]
	s_delay_alu instid0(VALU_DEP_1) | instskip(NEXT) | instid1(VALU_DEP_1)
	v_add_co_u32 v2, s3, v6, v2
	v_add_co_ci_u32_e64 v3, s3, v7, v3, s3
	s_waitcnt lgkmcnt(0)
	v_add_co_u32 v6, s3, s22, v0
	s_delay_alu instid0(VALU_DEP_1) | instskip(SKIP_1) | instid1(VALU_DEP_1)
	v_add_co_ci_u32_e64 v7, s3, s23, v1, s3
	v_add_co_u32 v8, s3, s10, v2
	v_add_co_ci_u32_e64 v9, s3, s11, v3, s3
	v_mov_b32_e32 v0, v4
	v_dual_mov_b32 v2, v4 :: v_dual_mov_b32 v1, v5
	v_mov_b32_e32 v3, v5
	s_lshl_b64 s[10:11], s[12:13], 6
	s_lshl_b64 s[12:13], s[20:21], 6
	s_branch .LBB609_3
.LBB609_2:                              ;   in Loop: Header=BB609_3 Depth=1
	s_or_b32 exec_lo, exec_lo, s3
	s_waitcnt vmcnt(0)
	ds_store_b64 v23, v[16:17]
	s_waitcnt lgkmcnt(0)
	s_barrier
	buffer_gl0_inv
	ds_load_2addr_b64 v[14:17], v24 offset1:16
	ds_load_b128 v[26:29], v25
	ds_load_b128 v[30:33], v25 offset:1024
	ds_load_b128 v[34:37], v25 offset:16
	ds_load_b128 v[38:41], v25 offset:1040
	v_add_co_u32 v6, s3, v6, s10
	s_delay_alu instid0(VALU_DEP_1) | instskip(SKIP_1) | instid1(VALU_DEP_1)
	v_add_co_ci_u32_e64 v7, s3, s11, v7, s3
	v_add_co_u32 v8, s3, v8, s12
	v_add_co_ci_u32_e64 v9, s3, s13, v9, s3
	s_add_i32 s19, s19, 8
	s_delay_alu instid0(SALU_CYCLE_1)
	s_cmp_ge_i32 s19, s17
	s_waitcnt lgkmcnt(3)
	v_fma_f64 v[12:13], v[14:15], v[26:27], v[12:13]
	v_fma_f64 v[10:11], v[16:17], v[26:27], v[10:11]
	s_waitcnt lgkmcnt(2)
	v_fma_f64 v[14:15], v[14:15], v[30:31], v[2:3]
	v_fma_f64 v[16:17], v[16:17], v[30:31], v[0:1]
	ds_load_2addr_b64 v[0:3], v24 offset0:32 offset1:48
	s_waitcnt lgkmcnt(0)
	v_fma_f64 v[12:13], v[0:1], v[28:29], v[12:13]
	v_fma_f64 v[10:11], v[2:3], v[28:29], v[10:11]
	v_fma_f64 v[14:15], v[0:1], v[32:33], v[14:15]
	v_fma_f64 v[16:17], v[2:3], v[32:33], v[16:17]
	ds_load_2addr_b64 v[0:3], v24 offset0:64 offset1:80
	s_waitcnt lgkmcnt(0)
	v_fma_f64 v[12:13], v[0:1], v[34:35], v[12:13]
	v_fma_f64 v[10:11], v[2:3], v[34:35], v[10:11]
	;; [unrolled: 6-line block ×3, first 2 shown]
	v_fma_f64 v[38:39], v[0:1], v[40:41], v[14:15]
	v_fma_f64 v[40:41], v[2:3], v[40:41], v[16:17]
	ds_load_2addr_b64 v[0:3], v24 offset0:128 offset1:144
	ds_load_b128 v[10:13], v25 offset:32
	ds_load_b128 v[14:17], v25 offset:1056
	;; [unrolled: 1-line block ×4, first 2 shown]
	s_waitcnt lgkmcnt(3)
	v_fma_f64 v[34:35], v[0:1], v[10:11], v[34:35]
	v_fma_f64 v[10:11], v[2:3], v[10:11], v[36:37]
	s_waitcnt lgkmcnt(2)
	v_fma_f64 v[36:37], v[0:1], v[14:15], v[38:39]
	v_fma_f64 v[14:15], v[2:3], v[14:15], v[40:41]
	ds_load_2addr_b64 v[0:3], v24 offset0:160 offset1:176
	s_waitcnt lgkmcnt(0)
	v_fma_f64 v[34:35], v[0:1], v[12:13], v[34:35]
	v_fma_f64 v[10:11], v[2:3], v[12:13], v[10:11]
	v_fma_f64 v[12:13], v[0:1], v[16:17], v[36:37]
	v_fma_f64 v[14:15], v[2:3], v[16:17], v[14:15]
	ds_load_2addr_b64 v[0:3], v24 offset0:192 offset1:208
	s_waitcnt lgkmcnt(0)
	v_fma_f64 v[34:35], v[0:1], v[26:27], v[34:35]
	v_fma_f64 v[10:11], v[2:3], v[26:27], v[10:11]
	;; [unrolled: 1-line block ×4, first 2 shown]
	ds_load_2addr_b64 v[14:17], v24 offset0:224 offset1:240
	s_waitcnt lgkmcnt(0)
	s_barrier
	buffer_gl0_inv
	v_fma_f64 v[12:13], v[14:15], v[28:29], v[34:35]
	v_fma_f64 v[10:11], v[16:17], v[28:29], v[10:11]
	;; [unrolled: 1-line block ×4, first 2 shown]
	s_cbranch_scc1 .LBB609_7
.LBB609_3:                              ; =>This Inner Loop Header: Depth=1
	v_add_nc_u32_e32 v14, s19, v21
	s_delay_alu instid0(VALU_DEP_1) | instskip(SKIP_1) | instid1(VALU_DEP_2)
	v_cmp_gt_i32_e64 s3, s17, v14
	v_dual_mov_b32 v15, v5 :: v_dual_mov_b32 v14, v4
	s_and_b32 s18, vcc_lo, s3
	s_delay_alu instid0(SALU_CYCLE_1)
	s_and_saveexec_b32 s3, s18
	s_cbranch_execz .LBB609_5
; %bb.4:                                ;   in Loop: Header=BB609_3 Depth=1
	global_load_b64 v[14:15], v[6:7], off
.LBB609_5:                              ;   in Loop: Header=BB609_3 Depth=1
	s_or_b32 exec_lo, exec_lo, s3
	v_add_nc_u32_e32 v16, s19, v20
	s_waitcnt vmcnt(0)
	ds_store_b64 v22, v[14:15]
	v_cmp_gt_i32_e64 s3, s17, v16
	v_dual_mov_b32 v17, v5 :: v_dual_mov_b32 v16, v4
	s_delay_alu instid0(VALU_DEP_2) | instskip(NEXT) | instid1(SALU_CYCLE_1)
	s_and_b32 s18, s3, s2
	s_and_saveexec_b32 s3, s18
	s_cbranch_execz .LBB609_2
; %bb.6:                                ;   in Loop: Header=BB609_3 Depth=1
	global_load_b64 v[16:17], v[8:9], off
	s_branch .LBB609_2
.LBB609_7:
	s_load_b32 s2, s[0:1], 0x50
	v_add_nc_u32_e32 v8, s14, v19
	v_add_nc_u32_e32 v4, s15, v18
	s_delay_alu instid0(VALU_DEP_1) | instskip(SKIP_1) | instid1(VALU_DEP_2)
	v_cmp_le_i32_e64 s0, v8, v4
	v_cmp_gt_i32_e32 vcc_lo, s16, v4
	s_and_b32 s0, s0, vcc_lo
	s_waitcnt lgkmcnt(0)
	v_mad_i64_i32 v[5:6], null, v8, s2, 0
	s_delay_alu instid0(VALU_DEP_1) | instskip(NEXT) | instid1(VALU_DEP_1)
	v_lshlrev_b64 v[5:6], 3, v[5:6]
	v_add_co_u32 v9, s1, s6, v5
	s_delay_alu instid0(VALU_DEP_1)
	v_add_co_ci_u32_e64 v14, s1, s7, v6, s1
	s_and_saveexec_b32 s1, s0
	s_cbranch_execz .LBB609_9
; %bb.8:
	v_ashrrev_i32_e32 v5, 31, v4
	s_delay_alu instid0(VALU_DEP_1) | instskip(NEXT) | instid1(VALU_DEP_1)
	v_lshlrev_b64 v[5:6], 3, v[4:5]
	v_add_co_u32 v5, s0, v9, v5
	s_delay_alu instid0(VALU_DEP_1) | instskip(SKIP_3) | instid1(VALU_DEP_1)
	v_add_co_ci_u32_e64 v6, s0, v14, v6, s0
	global_load_b64 v[15:16], v[5:6], off
	s_waitcnt vmcnt(0)
	v_mul_f64 v[15:16], v[15:16], s[4:5]
	v_fma_f64 v[12:13], v[12:13], s[8:9], v[15:16]
	global_store_b64 v[5:6], v[12:13], off
.LBB609_9:
	s_or_b32 exec_lo, exec_lo, s1
	v_add_nc_u32_e32 v6, 16, v4
	s_delay_alu instid0(VALU_DEP_1) | instskip(SKIP_1) | instid1(VALU_DEP_1)
	v_cmp_le_i32_e64 s1, v8, v6
	v_cmp_gt_i32_e64 s0, s16, v6
	s_and_b32 s1, s1, s0
	s_delay_alu instid0(SALU_CYCLE_1)
	s_and_saveexec_b32 s3, s1
	s_cbranch_execz .LBB609_11
; %bb.10:
	v_ashrrev_i32_e32 v7, 31, v6
	s_delay_alu instid0(VALU_DEP_1) | instskip(NEXT) | instid1(VALU_DEP_1)
	v_lshlrev_b64 v[12:13], 3, v[6:7]
	v_add_co_u32 v12, s1, v9, v12
	s_delay_alu instid0(VALU_DEP_1) | instskip(SKIP_3) | instid1(VALU_DEP_1)
	v_add_co_ci_u32_e64 v13, s1, v14, v13, s1
	global_load_b64 v[14:15], v[12:13], off
	s_waitcnt vmcnt(0)
	v_mul_f64 v[14:15], v[14:15], s[4:5]
	v_fma_f64 v[9:10], v[10:11], s[8:9], v[14:15]
	global_store_b64 v[12:13], v[9:10], off
.LBB609_11:
	s_or_b32 exec_lo, exec_lo, s3
	v_add_nc_u32_e32 v7, 16, v8
	s_delay_alu instid0(VALU_DEP_1) | instskip(SKIP_1) | instid1(VALU_DEP_2)
	v_mad_i64_i32 v[8:9], null, v7, s2, 0
	v_cmp_le_i32_e64 s1, v7, v4
	v_lshlrev_b64 v[8:9], 3, v[8:9]
	s_delay_alu instid0(VALU_DEP_1) | instskip(NEXT) | instid1(VALU_DEP_1)
	v_add_co_u32 v8, s2, s6, v8
	v_add_co_ci_u32_e64 v9, s2, s7, v9, s2
	s_delay_alu instid0(VALU_DEP_4) | instskip(NEXT) | instid1(SALU_CYCLE_1)
	s_and_b32 s2, s1, vcc_lo
	s_and_saveexec_b32 s1, s2
	s_cbranch_execz .LBB609_13
; %bb.12:
	v_ashrrev_i32_e32 v5, 31, v4
	s_delay_alu instid0(VALU_DEP_1) | instskip(NEXT) | instid1(VALU_DEP_1)
	v_lshlrev_b64 v[4:5], 3, v[4:5]
	v_add_co_u32 v4, vcc_lo, v8, v4
	s_delay_alu instid0(VALU_DEP_2) | instskip(SKIP_3) | instid1(VALU_DEP_1)
	v_add_co_ci_u32_e32 v5, vcc_lo, v9, v5, vcc_lo
	global_load_b64 v[10:11], v[4:5], off
	s_waitcnt vmcnt(0)
	v_mul_f64 v[10:11], v[10:11], s[4:5]
	v_fma_f64 v[2:3], v[2:3], s[8:9], v[10:11]
	global_store_b64 v[4:5], v[2:3], off
.LBB609_13:
	s_or_b32 exec_lo, exec_lo, s1
	v_cmp_le_i32_e32 vcc_lo, v7, v6
	s_and_b32 s0, vcc_lo, s0
	s_delay_alu instid0(SALU_CYCLE_1)
	s_and_saveexec_b32 s1, s0
	s_cbranch_execz .LBB609_15
; %bb.14:
	v_ashrrev_i32_e32 v7, 31, v6
	s_delay_alu instid0(VALU_DEP_1) | instskip(NEXT) | instid1(VALU_DEP_1)
	v_lshlrev_b64 v[2:3], 3, v[6:7]
	v_add_co_u32 v2, vcc_lo, v8, v2
	s_delay_alu instid0(VALU_DEP_2) | instskip(SKIP_3) | instid1(VALU_DEP_1)
	v_add_co_ci_u32_e32 v3, vcc_lo, v9, v3, vcc_lo
	global_load_b64 v[4:5], v[2:3], off
	s_waitcnt vmcnt(0)
	v_mul_f64 v[4:5], v[4:5], s[4:5]
	v_fma_f64 v[0:1], v[0:1], s[8:9], v[4:5]
	global_store_b64 v[2:3], v[0:1], off
.LBB609_15:
	s_nop 0
	s_sendmsg sendmsg(MSG_DEALLOC_VGPRS)
	s_endpgm
	.section	.rodata,"a",@progbits
	.p2align	6, 0x0
	.amdhsa_kernel _ZL34rocblas_syrkx_herkx_general_kernelIidLi16ELi32ELi8ELb0ELb0ELc78ELc76EKPKdKPdEviT_T0_PT8_S5_lS8_S5_lS6_PT9_S5_li
		.amdhsa_group_segment_fixed_size 4096
		.amdhsa_private_segment_fixed_size 0
		.amdhsa_kernarg_size 100
		.amdhsa_user_sgpr_count 13
		.amdhsa_user_sgpr_dispatch_ptr 0
		.amdhsa_user_sgpr_queue_ptr 0
		.amdhsa_user_sgpr_kernarg_segment_ptr 1
		.amdhsa_user_sgpr_dispatch_id 0
		.amdhsa_user_sgpr_private_segment_size 0
		.amdhsa_wavefront_size32 1
		.amdhsa_uses_dynamic_stack 0
		.amdhsa_enable_private_segment 0
		.amdhsa_system_sgpr_workgroup_id_x 1
		.amdhsa_system_sgpr_workgroup_id_y 1
		.amdhsa_system_sgpr_workgroup_id_z 1
		.amdhsa_system_sgpr_workgroup_info 0
		.amdhsa_system_vgpr_workitem_id 1
		.amdhsa_next_free_vgpr 42
		.amdhsa_next_free_sgpr 24
		.amdhsa_reserve_vcc 1
		.amdhsa_float_round_mode_32 0
		.amdhsa_float_round_mode_16_64 0
		.amdhsa_float_denorm_mode_32 3
		.amdhsa_float_denorm_mode_16_64 3
		.amdhsa_dx10_clamp 1
		.amdhsa_ieee_mode 1
		.amdhsa_fp16_overflow 0
		.amdhsa_workgroup_processor_mode 1
		.amdhsa_memory_ordered 1
		.amdhsa_forward_progress 0
		.amdhsa_shared_vgpr_count 0
		.amdhsa_exception_fp_ieee_invalid_op 0
		.amdhsa_exception_fp_denorm_src 0
		.amdhsa_exception_fp_ieee_div_zero 0
		.amdhsa_exception_fp_ieee_overflow 0
		.amdhsa_exception_fp_ieee_underflow 0
		.amdhsa_exception_fp_ieee_inexact 0
		.amdhsa_exception_int_div_zero 0
	.end_amdhsa_kernel
	.section	.text._ZL34rocblas_syrkx_herkx_general_kernelIidLi16ELi32ELi8ELb0ELb0ELc78ELc76EKPKdKPdEviT_T0_PT8_S5_lS8_S5_lS6_PT9_S5_li,"axG",@progbits,_ZL34rocblas_syrkx_herkx_general_kernelIidLi16ELi32ELi8ELb0ELb0ELc78ELc76EKPKdKPdEviT_T0_PT8_S5_lS8_S5_lS6_PT9_S5_li,comdat
.Lfunc_end609:
	.size	_ZL34rocblas_syrkx_herkx_general_kernelIidLi16ELi32ELi8ELb0ELb0ELc78ELc76EKPKdKPdEviT_T0_PT8_S5_lS8_S5_lS6_PT9_S5_li, .Lfunc_end609-_ZL34rocblas_syrkx_herkx_general_kernelIidLi16ELi32ELi8ELb0ELb0ELc78ELc76EKPKdKPdEviT_T0_PT8_S5_lS8_S5_lS6_PT9_S5_li
                                        ; -- End function
	.section	.AMDGPU.csdata,"",@progbits
; Kernel info:
; codeLenInByte = 1652
; NumSgprs: 26
; NumVgprs: 42
; ScratchSize: 0
; MemoryBound: 0
; FloatMode: 240
; IeeeMode: 1
; LDSByteSize: 4096 bytes/workgroup (compile time only)
; SGPRBlocks: 3
; VGPRBlocks: 5
; NumSGPRsForWavesPerEU: 26
; NumVGPRsForWavesPerEU: 42
; Occupancy: 16
; WaveLimiterHint : 1
; COMPUTE_PGM_RSRC2:SCRATCH_EN: 0
; COMPUTE_PGM_RSRC2:USER_SGPR: 13
; COMPUTE_PGM_RSRC2:TRAP_HANDLER: 0
; COMPUTE_PGM_RSRC2:TGID_X_EN: 1
; COMPUTE_PGM_RSRC2:TGID_Y_EN: 1
; COMPUTE_PGM_RSRC2:TGID_Z_EN: 1
; COMPUTE_PGM_RSRC2:TIDIG_COMP_CNT: 1
	.section	.text._ZL34rocblas_syrkx_herkx_general_kernelIidLi16ELi32ELi8ELb0ELb0ELc84ELc85EKPKdKPdEviT_T0_PT8_S5_lS8_S5_lS6_PT9_S5_li,"axG",@progbits,_ZL34rocblas_syrkx_herkx_general_kernelIidLi16ELi32ELi8ELb0ELb0ELc84ELc85EKPKdKPdEviT_T0_PT8_S5_lS8_S5_lS6_PT9_S5_li,comdat
	.globl	_ZL34rocblas_syrkx_herkx_general_kernelIidLi16ELi32ELi8ELb0ELb0ELc84ELc85EKPKdKPdEviT_T0_PT8_S5_lS8_S5_lS6_PT9_S5_li ; -- Begin function _ZL34rocblas_syrkx_herkx_general_kernelIidLi16ELi32ELi8ELb0ELb0ELc84ELc85EKPKdKPdEviT_T0_PT8_S5_lS8_S5_lS6_PT9_S5_li
	.p2align	8
	.type	_ZL34rocblas_syrkx_herkx_general_kernelIidLi16ELi32ELi8ELb0ELb0ELc84ELc85EKPKdKPdEviT_T0_PT8_S5_lS8_S5_lS6_PT9_S5_li,@function
_ZL34rocblas_syrkx_herkx_general_kernelIidLi16ELi32ELi8ELb0ELb0ELc84ELc85EKPKdKPdEviT_T0_PT8_S5_lS8_S5_lS6_PT9_S5_li: ; @_ZL34rocblas_syrkx_herkx_general_kernelIidLi16ELi32ELi8ELb0ELb0ELc84ELc85EKPKdKPdEviT_T0_PT8_S5_lS8_S5_lS6_PT9_S5_li
; %bb.0:
	s_clause 0x1
	s_load_b128 s[4:7], s[0:1], 0x40
	s_load_b64 s[16:17], s[0:1], 0x0
	s_mov_b32 s18, s15
	s_mov_b32 s19, 0
	v_mov_b32_e32 v12, 0
	s_lshl_b64 s[2:3], s[18:19], 3
	v_dual_mov_b32 v13, 0 :: v_dual_and_b32 v18, 0x3ff, v0
	v_bfe_u32 v19, v0, 10, 10
	s_delay_alu instid0(VALU_DEP_3) | instskip(NEXT) | instid1(VALU_DEP_3)
	v_mov_b32_e32 v10, v12
	v_dual_mov_b32 v4, v12 :: v_dual_mov_b32 v5, v13
	v_dual_mov_b32 v11, v13 :: v_dual_mov_b32 v0, v12
	v_mov_b32_e32 v1, v13
	s_waitcnt lgkmcnt(0)
	s_add_u32 s6, s6, s2
	s_addc_u32 s7, s7, s3
	s_load_b128 s[8:11], s[0:1], 0x8
	s_load_b64 s[6:7], s[6:7], 0x0
	s_lshl_b32 s12, s13, 5
	s_lshl_b32 s13, s14, 5
	s_cmp_lt_i32 s17, 1
	s_cbranch_scc1 .LBB610_7
; %bb.1:
	s_clause 0x2
	s_load_b64 s[14:15], s[0:1], 0x28
	s_load_b32 s18, s[0:1], 0x18
	s_load_b32 s20, s[0:1], 0x30
	v_lshl_add_u32 v0, v19, 4, v18
	v_dual_mov_b32 v2, 0 :: v_dual_lshlrev_b32 v21, 3, v18
	v_dual_mov_b32 v3, 0 :: v_dual_and_b32 v20, 7, v18
	s_delay_alu instid0(VALU_DEP_3) | instskip(SKIP_2) | instid1(VALU_DEP_4)
	v_and_b32_e32 v1, 31, v0
	v_lshrrev_b32_e32 v4, 3, v0
	v_lshrrev_b32_e32 v23, 5, v0
	v_dual_mov_b32 v13, v3 :: v_dual_lshlrev_b32 v6, 3, v20
	s_delay_alu instid0(VALU_DEP_4) | instskip(NEXT) | instid1(VALU_DEP_4)
	v_add_nc_u32_e32 v5, s12, v1
	v_add_nc_u32_e32 v7, s13, v4
	v_or_b32_e32 v8, s12, v1
	v_dual_mov_b32 v12, v2 :: v_dual_lshlrev_b32 v9, 3, v1
	v_lshl_or_b32 v10, v4, 6, v6
	v_lshlrev_b32_e32 v11, 3, v23
	s_waitcnt lgkmcnt(0)
	s_add_u32 s14, s14, s2
	s_addc_u32 s15, s15, s3
	s_add_u32 s2, s10, s2
	s_addc_u32 s3, s11, s3
	v_mad_i64_i32 v[0:1], null, s18, v5, 0
	s_load_b64 s[10:11], s[2:3], 0x0
	v_mad_i64_i32 v[4:5], null, s20, v7, 0
	s_load_b64 s[14:15], s[14:15], 0x0
	v_cmp_gt_i32_e64 s2, s16, v7
	v_cmp_gt_i32_e32 vcc_lo, s16, v8
	s_delay_alu instid0(VALU_DEP_4)
	v_lshlrev_b64 v[0:1], 3, v[0:1]
	v_lshl_or_b32 v24, v23, 8, v9
	v_add_nc_u32_e32 v25, 0x800, v10
	v_lshlrev_b64 v[4:5], 3, v[4:5]
	v_lshl_add_u32 v22, v19, 6, 0x800
	v_add_co_u32 v0, s3, v0, v11
	s_delay_alu instid0(VALU_DEP_1) | instskip(NEXT) | instid1(VALU_DEP_4)
	v_add_co_ci_u32_e64 v1, s3, 0, v1, s3
	v_add_co_u32 v4, s3, v4, v6
	s_delay_alu instid0(VALU_DEP_1) | instskip(SKIP_2) | instid1(VALU_DEP_1)
	v_add_co_ci_u32_e64 v5, s3, 0, v5, s3
	s_waitcnt lgkmcnt(0)
	v_add_co_u32 v6, s3, s10, v0
	v_add_co_ci_u32_e64 v7, s3, s11, v1, s3
	v_add_co_u32 v8, s3, s14, v4
	s_delay_alu instid0(VALU_DEP_1)
	v_add_co_ci_u32_e64 v9, s3, s15, v5, s3
	v_dual_mov_b32 v0, v2 :: v_dual_mov_b32 v5, v3
	v_mov_b32_e32 v11, v3
	v_dual_mov_b32 v1, v3 :: v_dual_mov_b32 v4, v2
	v_mov_b32_e32 v10, v2
	s_branch .LBB610_3
.LBB610_2:                              ;   in Loop: Header=BB610_3 Depth=1
	s_or_b32 exec_lo, exec_lo, s3
	s_waitcnt vmcnt(0)
	ds_store_b64 v25, v[16:17]
	s_waitcnt lgkmcnt(0)
	s_barrier
	buffer_gl0_inv
	ds_load_2addr_b64 v[14:17], v21 offset1:16
	ds_load_b128 v[26:29], v22
	ds_load_b128 v[30:33], v22 offset:1024
	ds_load_b128 v[34:37], v22 offset:16
	;; [unrolled: 1-line block ×3, first 2 shown]
	v_add_co_u32 v6, s3, v6, 64
	s_delay_alu instid0(VALU_DEP_1) | instskip(SKIP_1) | instid1(VALU_DEP_1)
	v_add_co_ci_u32_e64 v7, s3, 0, v7, s3
	v_add_co_u32 v8, s3, v8, 64
	v_add_co_ci_u32_e64 v9, s3, 0, v9, s3
	s_add_i32 s19, s19, 8
	s_delay_alu instid0(SALU_CYCLE_1)
	s_cmp_ge_i32 s19, s17
	s_waitcnt lgkmcnt(3)
	v_fma_f64 v[42:43], v[14:15], v[26:27], v[12:13]
	v_fma_f64 v[26:27], v[16:17], v[26:27], v[10:11]
	s_waitcnt lgkmcnt(2)
	v_fma_f64 v[4:5], v[14:15], v[30:31], v[4:5]
	v_fma_f64 v[0:1], v[16:17], v[30:31], v[0:1]
	ds_load_2addr_b64 v[10:13], v21 offset0:32 offset1:48
	s_waitcnt lgkmcnt(0)
	v_fma_f64 v[14:15], v[10:11], v[28:29], v[42:43]
	v_fma_f64 v[16:17], v[12:13], v[28:29], v[26:27]
	v_fma_f64 v[4:5], v[10:11], v[32:33], v[4:5]
	v_fma_f64 v[0:1], v[12:13], v[32:33], v[0:1]
	ds_load_2addr_b64 v[10:13], v21 offset0:64 offset1:80
	s_waitcnt lgkmcnt(0)
	v_fma_f64 v[14:15], v[10:11], v[34:35], v[14:15]
	v_fma_f64 v[16:17], v[12:13], v[34:35], v[16:17]
	;; [unrolled: 6-line block ×3, first 2 shown]
	v_fma_f64 v[4:5], v[10:11], v[40:41], v[4:5]
	v_fma_f64 v[0:1], v[12:13], v[40:41], v[0:1]
	ds_load_2addr_b64 v[10:13], v21 offset0:128 offset1:144
	ds_load_b128 v[14:17], v22 offset:32
	ds_load_b128 v[26:29], v22 offset:1056
	;; [unrolled: 1-line block ×4, first 2 shown]
	s_waitcnt lgkmcnt(3)
	v_fma_f64 v[38:39], v[10:11], v[14:15], v[38:39]
	v_fma_f64 v[14:15], v[12:13], v[14:15], v[42:43]
	s_waitcnt lgkmcnt(2)
	v_fma_f64 v[4:5], v[10:11], v[26:27], v[4:5]
	v_fma_f64 v[0:1], v[12:13], v[26:27], v[0:1]
	ds_load_2addr_b64 v[10:13], v21 offset0:160 offset1:176
	s_waitcnt lgkmcnt(0)
	v_fma_f64 v[26:27], v[10:11], v[16:17], v[38:39]
	v_fma_f64 v[14:15], v[12:13], v[16:17], v[14:15]
	;; [unrolled: 1-line block ×4, first 2 shown]
	ds_load_2addr_b64 v[10:13], v21 offset0:192 offset1:208
	s_waitcnt lgkmcnt(0)
	v_fma_f64 v[26:27], v[10:11], v[30:31], v[26:27]
	v_fma_f64 v[28:29], v[12:13], v[30:31], v[14:15]
	v_fma_f64 v[4:5], v[10:11], v[34:35], v[4:5]
	v_fma_f64 v[0:1], v[12:13], v[34:35], v[0:1]
	ds_load_2addr_b64 v[14:17], v21 offset0:224 offset1:240
	s_waitcnt lgkmcnt(0)
	s_barrier
	buffer_gl0_inv
	v_fma_f64 v[12:13], v[14:15], v[32:33], v[26:27]
	v_fma_f64 v[10:11], v[16:17], v[32:33], v[28:29]
	;; [unrolled: 1-line block ×4, first 2 shown]
	s_cbranch_scc1 .LBB610_7
.LBB610_3:                              ; =>This Inner Loop Header: Depth=1
	v_add_nc_u32_e32 v14, s19, v23
	s_delay_alu instid0(VALU_DEP_1) | instskip(SKIP_1) | instid1(VALU_DEP_2)
	v_cmp_gt_i32_e64 s3, s17, v14
	v_dual_mov_b32 v15, v3 :: v_dual_mov_b32 v14, v2
	s_and_b32 s10, vcc_lo, s3
	s_delay_alu instid0(SALU_CYCLE_1)
	s_and_saveexec_b32 s3, s10
	s_cbranch_execz .LBB610_5
; %bb.4:                                ;   in Loop: Header=BB610_3 Depth=1
	global_load_b64 v[14:15], v[6:7], off
.LBB610_5:                              ;   in Loop: Header=BB610_3 Depth=1
	s_or_b32 exec_lo, exec_lo, s3
	v_add_nc_u32_e32 v16, s19, v20
	s_waitcnt vmcnt(0)
	ds_store_b64 v24, v[14:15]
	v_cmp_gt_i32_e64 s3, s17, v16
	v_dual_mov_b32 v17, v3 :: v_dual_mov_b32 v16, v2
	s_delay_alu instid0(VALU_DEP_2) | instskip(NEXT) | instid1(SALU_CYCLE_1)
	s_and_b32 s10, s3, s2
	s_and_saveexec_b32 s3, s10
	s_cbranch_execz .LBB610_2
; %bb.6:                                ;   in Loop: Header=BB610_3 Depth=1
	global_load_b64 v[16:17], v[8:9], off
	s_branch .LBB610_2
.LBB610_7:
	s_load_b32 s2, s[0:1], 0x50
	v_add_nc_u32_e32 v8, s13, v19
	v_add_nc_u32_e32 v2, s12, v18
	s_delay_alu instid0(VALU_DEP_2) | instskip(NEXT) | instid1(VALU_DEP_2)
	v_cmp_gt_i32_e32 vcc_lo, s16, v8
	v_cmp_le_i32_e64 s0, v2, v8
	s_delay_alu instid0(VALU_DEP_1) | instskip(SKIP_2) | instid1(VALU_DEP_1)
	s_and_b32 s0, vcc_lo, s0
	s_waitcnt lgkmcnt(0)
	v_mad_i64_i32 v[6:7], null, v8, s2, 0
	v_lshlrev_b64 v[6:7], 3, v[6:7]
	s_delay_alu instid0(VALU_DEP_1) | instskip(NEXT) | instid1(VALU_DEP_1)
	v_add_co_u32 v9, s1, s6, v6
	v_add_co_ci_u32_e64 v14, s1, s7, v7, s1
	s_and_saveexec_b32 s1, s0
	s_cbranch_execz .LBB610_9
; %bb.8:
	v_ashrrev_i32_e32 v3, 31, v2
	s_delay_alu instid0(VALU_DEP_1) | instskip(NEXT) | instid1(VALU_DEP_1)
	v_lshlrev_b64 v[6:7], 3, v[2:3]
	v_add_co_u32 v6, s0, v9, v6
	s_delay_alu instid0(VALU_DEP_1) | instskip(SKIP_3) | instid1(VALU_DEP_1)
	v_add_co_ci_u32_e64 v7, s0, v14, v7, s0
	global_load_b64 v[15:16], v[6:7], off
	s_waitcnt vmcnt(0)
	v_mul_f64 v[15:16], v[15:16], s[4:5]
	v_fma_f64 v[12:13], v[12:13], s[8:9], v[15:16]
	global_store_b64 v[6:7], v[12:13], off
.LBB610_9:
	s_or_b32 exec_lo, exec_lo, s1
	v_add_nc_u32_e32 v6, 16, v2
	s_delay_alu instid0(VALU_DEP_1) | instskip(NEXT) | instid1(VALU_DEP_1)
	v_cmp_le_i32_e64 s0, v6, v8
	s_and_b32 s1, vcc_lo, s0
	s_delay_alu instid0(SALU_CYCLE_1)
	s_and_saveexec_b32 s0, s1
	s_cbranch_execz .LBB610_11
; %bb.10:
	v_ashrrev_i32_e32 v7, 31, v6
	s_delay_alu instid0(VALU_DEP_1) | instskip(NEXT) | instid1(VALU_DEP_1)
	v_lshlrev_b64 v[12:13], 3, v[6:7]
	v_add_co_u32 v12, vcc_lo, v9, v12
	s_delay_alu instid0(VALU_DEP_2) | instskip(SKIP_3) | instid1(VALU_DEP_1)
	v_add_co_ci_u32_e32 v13, vcc_lo, v14, v13, vcc_lo
	global_load_b64 v[14:15], v[12:13], off
	s_waitcnt vmcnt(0)
	v_mul_f64 v[14:15], v[14:15], s[4:5]
	v_fma_f64 v[9:10], v[10:11], s[8:9], v[14:15]
	global_store_b64 v[12:13], v[9:10], off
.LBB610_11:
	s_or_b32 exec_lo, exec_lo, s0
	v_add_nc_u32_e32 v7, 16, v8
	s_delay_alu instid0(VALU_DEP_1) | instskip(SKIP_2) | instid1(VALU_DEP_1)
	v_mad_i64_i32 v[8:9], null, v7, s2, 0
	v_cmp_gt_i32_e32 vcc_lo, s16, v7
	v_cmp_le_i32_e64 s0, v2, v7
	s_and_b32 s0, vcc_lo, s0
	s_delay_alu instid0(VALU_DEP_3) | instskip(NEXT) | instid1(VALU_DEP_1)
	v_lshlrev_b64 v[8:9], 3, v[8:9]
	v_add_co_u32 v8, s1, s6, v8
	s_delay_alu instid0(VALU_DEP_1)
	v_add_co_ci_u32_e64 v9, s1, s7, v9, s1
	s_and_saveexec_b32 s1, s0
	s_cbranch_execz .LBB610_13
; %bb.12:
	v_ashrrev_i32_e32 v3, 31, v2
	s_delay_alu instid0(VALU_DEP_1) | instskip(NEXT) | instid1(VALU_DEP_1)
	v_lshlrev_b64 v[2:3], 3, v[2:3]
	v_add_co_u32 v2, s0, v8, v2
	s_delay_alu instid0(VALU_DEP_1) | instskip(SKIP_3) | instid1(VALU_DEP_1)
	v_add_co_ci_u32_e64 v3, s0, v9, v3, s0
	global_load_b64 v[10:11], v[2:3], off
	s_waitcnt vmcnt(0)
	v_mul_f64 v[10:11], v[10:11], s[4:5]
	v_fma_f64 v[4:5], v[4:5], s[8:9], v[10:11]
	global_store_b64 v[2:3], v[4:5], off
.LBB610_13:
	s_or_b32 exec_lo, exec_lo, s1
	v_cmp_le_i32_e64 s0, v6, v7
	s_delay_alu instid0(VALU_DEP_1) | instskip(NEXT) | instid1(SALU_CYCLE_1)
	s_and_b32 s0, vcc_lo, s0
	s_and_saveexec_b32 s1, s0
	s_cbranch_execz .LBB610_15
; %bb.14:
	v_ashrrev_i32_e32 v7, 31, v6
	s_delay_alu instid0(VALU_DEP_1) | instskip(NEXT) | instid1(VALU_DEP_1)
	v_lshlrev_b64 v[2:3], 3, v[6:7]
	v_add_co_u32 v2, vcc_lo, v8, v2
	s_delay_alu instid0(VALU_DEP_2) | instskip(SKIP_3) | instid1(VALU_DEP_1)
	v_add_co_ci_u32_e32 v3, vcc_lo, v9, v3, vcc_lo
	global_load_b64 v[4:5], v[2:3], off
	s_waitcnt vmcnt(0)
	v_mul_f64 v[4:5], v[4:5], s[4:5]
	v_fma_f64 v[0:1], v[0:1], s[8:9], v[4:5]
	global_store_b64 v[2:3], v[0:1], off
.LBB610_15:
	s_nop 0
	s_sendmsg sendmsg(MSG_DEALLOC_VGPRS)
	s_endpgm
	.section	.rodata,"a",@progbits
	.p2align	6, 0x0
	.amdhsa_kernel _ZL34rocblas_syrkx_herkx_general_kernelIidLi16ELi32ELi8ELb0ELb0ELc84ELc85EKPKdKPdEviT_T0_PT8_S5_lS8_S5_lS6_PT9_S5_li
		.amdhsa_group_segment_fixed_size 4096
		.amdhsa_private_segment_fixed_size 0
		.amdhsa_kernarg_size 100
		.amdhsa_user_sgpr_count 13
		.amdhsa_user_sgpr_dispatch_ptr 0
		.amdhsa_user_sgpr_queue_ptr 0
		.amdhsa_user_sgpr_kernarg_segment_ptr 1
		.amdhsa_user_sgpr_dispatch_id 0
		.amdhsa_user_sgpr_private_segment_size 0
		.amdhsa_wavefront_size32 1
		.amdhsa_uses_dynamic_stack 0
		.amdhsa_enable_private_segment 0
		.amdhsa_system_sgpr_workgroup_id_x 1
		.amdhsa_system_sgpr_workgroup_id_y 1
		.amdhsa_system_sgpr_workgroup_id_z 1
		.amdhsa_system_sgpr_workgroup_info 0
		.amdhsa_system_vgpr_workitem_id 1
		.amdhsa_next_free_vgpr 44
		.amdhsa_next_free_sgpr 21
		.amdhsa_reserve_vcc 1
		.amdhsa_float_round_mode_32 0
		.amdhsa_float_round_mode_16_64 0
		.amdhsa_float_denorm_mode_32 3
		.amdhsa_float_denorm_mode_16_64 3
		.amdhsa_dx10_clamp 1
		.amdhsa_ieee_mode 1
		.amdhsa_fp16_overflow 0
		.amdhsa_workgroup_processor_mode 1
		.amdhsa_memory_ordered 1
		.amdhsa_forward_progress 0
		.amdhsa_shared_vgpr_count 0
		.amdhsa_exception_fp_ieee_invalid_op 0
		.amdhsa_exception_fp_denorm_src 0
		.amdhsa_exception_fp_ieee_div_zero 0
		.amdhsa_exception_fp_ieee_overflow 0
		.amdhsa_exception_fp_ieee_underflow 0
		.amdhsa_exception_fp_ieee_inexact 0
		.amdhsa_exception_int_div_zero 0
	.end_amdhsa_kernel
	.section	.text._ZL34rocblas_syrkx_herkx_general_kernelIidLi16ELi32ELi8ELb0ELb0ELc84ELc85EKPKdKPdEviT_T0_PT8_S5_lS8_S5_lS6_PT9_S5_li,"axG",@progbits,_ZL34rocblas_syrkx_herkx_general_kernelIidLi16ELi32ELi8ELb0ELb0ELc84ELc85EKPKdKPdEviT_T0_PT8_S5_lS8_S5_lS6_PT9_S5_li,comdat
.Lfunc_end610:
	.size	_ZL34rocblas_syrkx_herkx_general_kernelIidLi16ELi32ELi8ELb0ELb0ELc84ELc85EKPKdKPdEviT_T0_PT8_S5_lS8_S5_lS6_PT9_S5_li, .Lfunc_end610-_ZL34rocblas_syrkx_herkx_general_kernelIidLi16ELi32ELi8ELb0ELb0ELc84ELc85EKPKdKPdEviT_T0_PT8_S5_lS8_S5_lS6_PT9_S5_li
                                        ; -- End function
	.section	.AMDGPU.csdata,"",@progbits
; Kernel info:
; codeLenInByte = 1612
; NumSgprs: 23
; NumVgprs: 44
; ScratchSize: 0
; MemoryBound: 0
; FloatMode: 240
; IeeeMode: 1
; LDSByteSize: 4096 bytes/workgroup (compile time only)
; SGPRBlocks: 2
; VGPRBlocks: 5
; NumSGPRsForWavesPerEU: 23
; NumVGPRsForWavesPerEU: 44
; Occupancy: 16
; WaveLimiterHint : 1
; COMPUTE_PGM_RSRC2:SCRATCH_EN: 0
; COMPUTE_PGM_RSRC2:USER_SGPR: 13
; COMPUTE_PGM_RSRC2:TRAP_HANDLER: 0
; COMPUTE_PGM_RSRC2:TGID_X_EN: 1
; COMPUTE_PGM_RSRC2:TGID_Y_EN: 1
; COMPUTE_PGM_RSRC2:TGID_Z_EN: 1
; COMPUTE_PGM_RSRC2:TIDIG_COMP_CNT: 1
	.section	.text._ZL34rocblas_syrkx_herkx_general_kernelIidLi16ELi32ELi8ELb0ELb0ELc67ELc85EKPKdKPdEviT_T0_PT8_S5_lS8_S5_lS6_PT9_S5_li,"axG",@progbits,_ZL34rocblas_syrkx_herkx_general_kernelIidLi16ELi32ELi8ELb0ELb0ELc67ELc85EKPKdKPdEviT_T0_PT8_S5_lS8_S5_lS6_PT9_S5_li,comdat
	.globl	_ZL34rocblas_syrkx_herkx_general_kernelIidLi16ELi32ELi8ELb0ELb0ELc67ELc85EKPKdKPdEviT_T0_PT8_S5_lS8_S5_lS6_PT9_S5_li ; -- Begin function _ZL34rocblas_syrkx_herkx_general_kernelIidLi16ELi32ELi8ELb0ELb0ELc67ELc85EKPKdKPdEviT_T0_PT8_S5_lS8_S5_lS6_PT9_S5_li
	.p2align	8
	.type	_ZL34rocblas_syrkx_herkx_general_kernelIidLi16ELi32ELi8ELb0ELb0ELc67ELc85EKPKdKPdEviT_T0_PT8_S5_lS8_S5_lS6_PT9_S5_li,@function
_ZL34rocblas_syrkx_herkx_general_kernelIidLi16ELi32ELi8ELb0ELb0ELc67ELc85EKPKdKPdEviT_T0_PT8_S5_lS8_S5_lS6_PT9_S5_li: ; @_ZL34rocblas_syrkx_herkx_general_kernelIidLi16ELi32ELi8ELb0ELb0ELc67ELc85EKPKdKPdEviT_T0_PT8_S5_lS8_S5_lS6_PT9_S5_li
; %bb.0:
	s_clause 0x1
	s_load_b128 s[4:7], s[0:1], 0x40
	s_load_b64 s[16:17], s[0:1], 0x0
	s_mov_b32 s18, s15
	s_mov_b32 s19, 0
	v_mov_b32_e32 v12, 0
	s_lshl_b64 s[2:3], s[18:19], 3
	v_dual_mov_b32 v13, 0 :: v_dual_and_b32 v18, 0x3ff, v0
	v_bfe_u32 v19, v0, 10, 10
	s_delay_alu instid0(VALU_DEP_3) | instskip(NEXT) | instid1(VALU_DEP_3)
	v_mov_b32_e32 v10, v12
	v_dual_mov_b32 v4, v12 :: v_dual_mov_b32 v5, v13
	v_dual_mov_b32 v11, v13 :: v_dual_mov_b32 v0, v12
	v_mov_b32_e32 v1, v13
	s_waitcnt lgkmcnt(0)
	s_add_u32 s6, s6, s2
	s_addc_u32 s7, s7, s3
	s_load_b128 s[8:11], s[0:1], 0x8
	s_load_b64 s[6:7], s[6:7], 0x0
	s_lshl_b32 s12, s13, 5
	s_lshl_b32 s13, s14, 5
	s_cmp_lt_i32 s17, 1
	s_cbranch_scc1 .LBB611_7
; %bb.1:
	s_clause 0x2
	s_load_b64 s[14:15], s[0:1], 0x28
	s_load_b32 s18, s[0:1], 0x18
	s_load_b32 s20, s[0:1], 0x30
	v_lshl_add_u32 v0, v19, 4, v18
	v_dual_mov_b32 v2, 0 :: v_dual_lshlrev_b32 v21, 3, v18
	v_dual_mov_b32 v3, 0 :: v_dual_and_b32 v20, 7, v18
	s_delay_alu instid0(VALU_DEP_3) | instskip(SKIP_2) | instid1(VALU_DEP_4)
	v_and_b32_e32 v1, 31, v0
	v_lshrrev_b32_e32 v4, 3, v0
	v_lshrrev_b32_e32 v23, 5, v0
	v_dual_mov_b32 v13, v3 :: v_dual_lshlrev_b32 v6, 3, v20
	s_delay_alu instid0(VALU_DEP_4) | instskip(NEXT) | instid1(VALU_DEP_4)
	v_add_nc_u32_e32 v5, s12, v1
	v_add_nc_u32_e32 v7, s13, v4
	v_or_b32_e32 v8, s12, v1
	v_dual_mov_b32 v12, v2 :: v_dual_lshlrev_b32 v9, 3, v1
	v_lshl_or_b32 v10, v4, 6, v6
	v_lshlrev_b32_e32 v11, 3, v23
	s_waitcnt lgkmcnt(0)
	s_add_u32 s14, s14, s2
	s_addc_u32 s15, s15, s3
	s_add_u32 s2, s10, s2
	s_addc_u32 s3, s11, s3
	v_mad_i64_i32 v[0:1], null, s18, v5, 0
	s_load_b64 s[10:11], s[2:3], 0x0
	v_mad_i64_i32 v[4:5], null, s20, v7, 0
	s_load_b64 s[14:15], s[14:15], 0x0
	v_cmp_gt_i32_e64 s2, s16, v7
	v_cmp_gt_i32_e32 vcc_lo, s16, v8
	s_delay_alu instid0(VALU_DEP_4)
	v_lshlrev_b64 v[0:1], 3, v[0:1]
	v_lshl_or_b32 v24, v23, 8, v9
	v_add_nc_u32_e32 v25, 0x800, v10
	v_lshlrev_b64 v[4:5], 3, v[4:5]
	v_lshl_add_u32 v22, v19, 6, 0x800
	v_add_co_u32 v0, s3, v0, v11
	s_delay_alu instid0(VALU_DEP_1) | instskip(NEXT) | instid1(VALU_DEP_4)
	v_add_co_ci_u32_e64 v1, s3, 0, v1, s3
	v_add_co_u32 v4, s3, v4, v6
	s_delay_alu instid0(VALU_DEP_1) | instskip(SKIP_2) | instid1(VALU_DEP_1)
	v_add_co_ci_u32_e64 v5, s3, 0, v5, s3
	s_waitcnt lgkmcnt(0)
	v_add_co_u32 v6, s3, s10, v0
	v_add_co_ci_u32_e64 v7, s3, s11, v1, s3
	v_add_co_u32 v8, s3, s14, v4
	s_delay_alu instid0(VALU_DEP_1)
	v_add_co_ci_u32_e64 v9, s3, s15, v5, s3
	v_dual_mov_b32 v0, v2 :: v_dual_mov_b32 v5, v3
	v_mov_b32_e32 v11, v3
	v_dual_mov_b32 v1, v3 :: v_dual_mov_b32 v4, v2
	v_mov_b32_e32 v10, v2
	s_branch .LBB611_3
.LBB611_2:                              ;   in Loop: Header=BB611_3 Depth=1
	s_or_b32 exec_lo, exec_lo, s3
	s_waitcnt vmcnt(0)
	ds_store_b64 v25, v[16:17]
	s_waitcnt lgkmcnt(0)
	s_barrier
	buffer_gl0_inv
	ds_load_2addr_b64 v[14:17], v21 offset1:16
	ds_load_b128 v[26:29], v22
	ds_load_b128 v[30:33], v22 offset:1024
	ds_load_b128 v[34:37], v22 offset:16
	;; [unrolled: 1-line block ×3, first 2 shown]
	v_add_co_u32 v6, s3, v6, 64
	s_delay_alu instid0(VALU_DEP_1) | instskip(SKIP_1) | instid1(VALU_DEP_1)
	v_add_co_ci_u32_e64 v7, s3, 0, v7, s3
	v_add_co_u32 v8, s3, v8, 64
	v_add_co_ci_u32_e64 v9, s3, 0, v9, s3
	s_add_i32 s19, s19, 8
	s_delay_alu instid0(SALU_CYCLE_1)
	s_cmp_ge_i32 s19, s17
	s_waitcnt lgkmcnt(3)
	v_fma_f64 v[42:43], v[14:15], v[26:27], v[12:13]
	v_fma_f64 v[26:27], v[16:17], v[26:27], v[10:11]
	s_waitcnt lgkmcnt(2)
	v_fma_f64 v[4:5], v[14:15], v[30:31], v[4:5]
	v_fma_f64 v[0:1], v[16:17], v[30:31], v[0:1]
	ds_load_2addr_b64 v[10:13], v21 offset0:32 offset1:48
	s_waitcnt lgkmcnt(0)
	v_fma_f64 v[14:15], v[10:11], v[28:29], v[42:43]
	v_fma_f64 v[16:17], v[12:13], v[28:29], v[26:27]
	v_fma_f64 v[4:5], v[10:11], v[32:33], v[4:5]
	v_fma_f64 v[0:1], v[12:13], v[32:33], v[0:1]
	ds_load_2addr_b64 v[10:13], v21 offset0:64 offset1:80
	s_waitcnt lgkmcnt(0)
	v_fma_f64 v[14:15], v[10:11], v[34:35], v[14:15]
	v_fma_f64 v[16:17], v[12:13], v[34:35], v[16:17]
	;; [unrolled: 6-line block ×3, first 2 shown]
	v_fma_f64 v[4:5], v[10:11], v[40:41], v[4:5]
	v_fma_f64 v[0:1], v[12:13], v[40:41], v[0:1]
	ds_load_2addr_b64 v[10:13], v21 offset0:128 offset1:144
	ds_load_b128 v[14:17], v22 offset:32
	ds_load_b128 v[26:29], v22 offset:1056
	;; [unrolled: 1-line block ×4, first 2 shown]
	s_waitcnt lgkmcnt(3)
	v_fma_f64 v[38:39], v[10:11], v[14:15], v[38:39]
	v_fma_f64 v[14:15], v[12:13], v[14:15], v[42:43]
	s_waitcnt lgkmcnt(2)
	v_fma_f64 v[4:5], v[10:11], v[26:27], v[4:5]
	v_fma_f64 v[0:1], v[12:13], v[26:27], v[0:1]
	ds_load_2addr_b64 v[10:13], v21 offset0:160 offset1:176
	s_waitcnt lgkmcnt(0)
	v_fma_f64 v[26:27], v[10:11], v[16:17], v[38:39]
	v_fma_f64 v[14:15], v[12:13], v[16:17], v[14:15]
	;; [unrolled: 1-line block ×4, first 2 shown]
	ds_load_2addr_b64 v[10:13], v21 offset0:192 offset1:208
	s_waitcnt lgkmcnt(0)
	v_fma_f64 v[26:27], v[10:11], v[30:31], v[26:27]
	v_fma_f64 v[28:29], v[12:13], v[30:31], v[14:15]
	v_fma_f64 v[4:5], v[10:11], v[34:35], v[4:5]
	v_fma_f64 v[0:1], v[12:13], v[34:35], v[0:1]
	ds_load_2addr_b64 v[14:17], v21 offset0:224 offset1:240
	s_waitcnt lgkmcnt(0)
	s_barrier
	buffer_gl0_inv
	v_fma_f64 v[12:13], v[14:15], v[32:33], v[26:27]
	v_fma_f64 v[10:11], v[16:17], v[32:33], v[28:29]
	;; [unrolled: 1-line block ×4, first 2 shown]
	s_cbranch_scc1 .LBB611_7
.LBB611_3:                              ; =>This Inner Loop Header: Depth=1
	v_add_nc_u32_e32 v14, s19, v23
	s_delay_alu instid0(VALU_DEP_1) | instskip(SKIP_1) | instid1(VALU_DEP_2)
	v_cmp_gt_i32_e64 s3, s17, v14
	v_dual_mov_b32 v15, v3 :: v_dual_mov_b32 v14, v2
	s_and_b32 s10, vcc_lo, s3
	s_delay_alu instid0(SALU_CYCLE_1)
	s_and_saveexec_b32 s3, s10
	s_cbranch_execz .LBB611_5
; %bb.4:                                ;   in Loop: Header=BB611_3 Depth=1
	global_load_b64 v[14:15], v[6:7], off
.LBB611_5:                              ;   in Loop: Header=BB611_3 Depth=1
	s_or_b32 exec_lo, exec_lo, s3
	v_add_nc_u32_e32 v16, s19, v20
	s_waitcnt vmcnt(0)
	ds_store_b64 v24, v[14:15]
	v_cmp_gt_i32_e64 s3, s17, v16
	v_dual_mov_b32 v17, v3 :: v_dual_mov_b32 v16, v2
	s_delay_alu instid0(VALU_DEP_2) | instskip(NEXT) | instid1(SALU_CYCLE_1)
	s_and_b32 s10, s3, s2
	s_and_saveexec_b32 s3, s10
	s_cbranch_execz .LBB611_2
; %bb.6:                                ;   in Loop: Header=BB611_3 Depth=1
	global_load_b64 v[16:17], v[8:9], off
	s_branch .LBB611_2
.LBB611_7:
	s_load_b32 s2, s[0:1], 0x50
	v_add_nc_u32_e32 v8, s13, v19
	v_add_nc_u32_e32 v2, s12, v18
	s_delay_alu instid0(VALU_DEP_2) | instskip(NEXT) | instid1(VALU_DEP_2)
	v_cmp_gt_i32_e32 vcc_lo, s16, v8
	v_cmp_le_i32_e64 s0, v2, v8
	s_delay_alu instid0(VALU_DEP_1) | instskip(SKIP_2) | instid1(VALU_DEP_1)
	s_and_b32 s0, vcc_lo, s0
	s_waitcnt lgkmcnt(0)
	v_mad_i64_i32 v[6:7], null, v8, s2, 0
	v_lshlrev_b64 v[6:7], 3, v[6:7]
	s_delay_alu instid0(VALU_DEP_1) | instskip(NEXT) | instid1(VALU_DEP_1)
	v_add_co_u32 v9, s1, s6, v6
	v_add_co_ci_u32_e64 v14, s1, s7, v7, s1
	s_and_saveexec_b32 s1, s0
	s_cbranch_execz .LBB611_9
; %bb.8:
	v_ashrrev_i32_e32 v3, 31, v2
	s_delay_alu instid0(VALU_DEP_1) | instskip(NEXT) | instid1(VALU_DEP_1)
	v_lshlrev_b64 v[6:7], 3, v[2:3]
	v_add_co_u32 v6, s0, v9, v6
	s_delay_alu instid0(VALU_DEP_1) | instskip(SKIP_3) | instid1(VALU_DEP_1)
	v_add_co_ci_u32_e64 v7, s0, v14, v7, s0
	global_load_b64 v[15:16], v[6:7], off
	s_waitcnt vmcnt(0)
	v_mul_f64 v[15:16], v[15:16], s[4:5]
	v_fma_f64 v[12:13], v[12:13], s[8:9], v[15:16]
	global_store_b64 v[6:7], v[12:13], off
.LBB611_9:
	s_or_b32 exec_lo, exec_lo, s1
	v_add_nc_u32_e32 v6, 16, v2
	s_delay_alu instid0(VALU_DEP_1) | instskip(NEXT) | instid1(VALU_DEP_1)
	v_cmp_le_i32_e64 s0, v6, v8
	s_and_b32 s1, vcc_lo, s0
	s_delay_alu instid0(SALU_CYCLE_1)
	s_and_saveexec_b32 s0, s1
	s_cbranch_execz .LBB611_11
; %bb.10:
	v_ashrrev_i32_e32 v7, 31, v6
	s_delay_alu instid0(VALU_DEP_1) | instskip(NEXT) | instid1(VALU_DEP_1)
	v_lshlrev_b64 v[12:13], 3, v[6:7]
	v_add_co_u32 v12, vcc_lo, v9, v12
	s_delay_alu instid0(VALU_DEP_2) | instskip(SKIP_3) | instid1(VALU_DEP_1)
	v_add_co_ci_u32_e32 v13, vcc_lo, v14, v13, vcc_lo
	global_load_b64 v[14:15], v[12:13], off
	s_waitcnt vmcnt(0)
	v_mul_f64 v[14:15], v[14:15], s[4:5]
	v_fma_f64 v[9:10], v[10:11], s[8:9], v[14:15]
	global_store_b64 v[12:13], v[9:10], off
.LBB611_11:
	s_or_b32 exec_lo, exec_lo, s0
	v_add_nc_u32_e32 v7, 16, v8
	s_delay_alu instid0(VALU_DEP_1) | instskip(SKIP_2) | instid1(VALU_DEP_1)
	v_mad_i64_i32 v[8:9], null, v7, s2, 0
	v_cmp_gt_i32_e32 vcc_lo, s16, v7
	v_cmp_le_i32_e64 s0, v2, v7
	s_and_b32 s0, vcc_lo, s0
	s_delay_alu instid0(VALU_DEP_3) | instskip(NEXT) | instid1(VALU_DEP_1)
	v_lshlrev_b64 v[8:9], 3, v[8:9]
	v_add_co_u32 v8, s1, s6, v8
	s_delay_alu instid0(VALU_DEP_1)
	v_add_co_ci_u32_e64 v9, s1, s7, v9, s1
	s_and_saveexec_b32 s1, s0
	s_cbranch_execz .LBB611_13
; %bb.12:
	v_ashrrev_i32_e32 v3, 31, v2
	s_delay_alu instid0(VALU_DEP_1) | instskip(NEXT) | instid1(VALU_DEP_1)
	v_lshlrev_b64 v[2:3], 3, v[2:3]
	v_add_co_u32 v2, s0, v8, v2
	s_delay_alu instid0(VALU_DEP_1) | instskip(SKIP_3) | instid1(VALU_DEP_1)
	v_add_co_ci_u32_e64 v3, s0, v9, v3, s0
	global_load_b64 v[10:11], v[2:3], off
	s_waitcnt vmcnt(0)
	v_mul_f64 v[10:11], v[10:11], s[4:5]
	v_fma_f64 v[4:5], v[4:5], s[8:9], v[10:11]
	global_store_b64 v[2:3], v[4:5], off
.LBB611_13:
	s_or_b32 exec_lo, exec_lo, s1
	v_cmp_le_i32_e64 s0, v6, v7
	s_delay_alu instid0(VALU_DEP_1) | instskip(NEXT) | instid1(SALU_CYCLE_1)
	s_and_b32 s0, vcc_lo, s0
	s_and_saveexec_b32 s1, s0
	s_cbranch_execz .LBB611_15
; %bb.14:
	v_ashrrev_i32_e32 v7, 31, v6
	s_delay_alu instid0(VALU_DEP_1) | instskip(NEXT) | instid1(VALU_DEP_1)
	v_lshlrev_b64 v[2:3], 3, v[6:7]
	v_add_co_u32 v2, vcc_lo, v8, v2
	s_delay_alu instid0(VALU_DEP_2) | instskip(SKIP_3) | instid1(VALU_DEP_1)
	v_add_co_ci_u32_e32 v3, vcc_lo, v9, v3, vcc_lo
	global_load_b64 v[4:5], v[2:3], off
	s_waitcnt vmcnt(0)
	v_mul_f64 v[4:5], v[4:5], s[4:5]
	v_fma_f64 v[0:1], v[0:1], s[8:9], v[4:5]
	global_store_b64 v[2:3], v[0:1], off
.LBB611_15:
	s_nop 0
	s_sendmsg sendmsg(MSG_DEALLOC_VGPRS)
	s_endpgm
	.section	.rodata,"a",@progbits
	.p2align	6, 0x0
	.amdhsa_kernel _ZL34rocblas_syrkx_herkx_general_kernelIidLi16ELi32ELi8ELb0ELb0ELc67ELc85EKPKdKPdEviT_T0_PT8_S5_lS8_S5_lS6_PT9_S5_li
		.amdhsa_group_segment_fixed_size 4096
		.amdhsa_private_segment_fixed_size 0
		.amdhsa_kernarg_size 100
		.amdhsa_user_sgpr_count 13
		.amdhsa_user_sgpr_dispatch_ptr 0
		.amdhsa_user_sgpr_queue_ptr 0
		.amdhsa_user_sgpr_kernarg_segment_ptr 1
		.amdhsa_user_sgpr_dispatch_id 0
		.amdhsa_user_sgpr_private_segment_size 0
		.amdhsa_wavefront_size32 1
		.amdhsa_uses_dynamic_stack 0
		.amdhsa_enable_private_segment 0
		.amdhsa_system_sgpr_workgroup_id_x 1
		.amdhsa_system_sgpr_workgroup_id_y 1
		.amdhsa_system_sgpr_workgroup_id_z 1
		.amdhsa_system_sgpr_workgroup_info 0
		.amdhsa_system_vgpr_workitem_id 1
		.amdhsa_next_free_vgpr 44
		.amdhsa_next_free_sgpr 21
		.amdhsa_reserve_vcc 1
		.amdhsa_float_round_mode_32 0
		.amdhsa_float_round_mode_16_64 0
		.amdhsa_float_denorm_mode_32 3
		.amdhsa_float_denorm_mode_16_64 3
		.amdhsa_dx10_clamp 1
		.amdhsa_ieee_mode 1
		.amdhsa_fp16_overflow 0
		.amdhsa_workgroup_processor_mode 1
		.amdhsa_memory_ordered 1
		.amdhsa_forward_progress 0
		.amdhsa_shared_vgpr_count 0
		.amdhsa_exception_fp_ieee_invalid_op 0
		.amdhsa_exception_fp_denorm_src 0
		.amdhsa_exception_fp_ieee_div_zero 0
		.amdhsa_exception_fp_ieee_overflow 0
		.amdhsa_exception_fp_ieee_underflow 0
		.amdhsa_exception_fp_ieee_inexact 0
		.amdhsa_exception_int_div_zero 0
	.end_amdhsa_kernel
	.section	.text._ZL34rocblas_syrkx_herkx_general_kernelIidLi16ELi32ELi8ELb0ELb0ELc67ELc85EKPKdKPdEviT_T0_PT8_S5_lS8_S5_lS6_PT9_S5_li,"axG",@progbits,_ZL34rocblas_syrkx_herkx_general_kernelIidLi16ELi32ELi8ELb0ELb0ELc67ELc85EKPKdKPdEviT_T0_PT8_S5_lS8_S5_lS6_PT9_S5_li,comdat
.Lfunc_end611:
	.size	_ZL34rocblas_syrkx_herkx_general_kernelIidLi16ELi32ELi8ELb0ELb0ELc67ELc85EKPKdKPdEviT_T0_PT8_S5_lS8_S5_lS6_PT9_S5_li, .Lfunc_end611-_ZL34rocblas_syrkx_herkx_general_kernelIidLi16ELi32ELi8ELb0ELb0ELc67ELc85EKPKdKPdEviT_T0_PT8_S5_lS8_S5_lS6_PT9_S5_li
                                        ; -- End function
	.section	.AMDGPU.csdata,"",@progbits
; Kernel info:
; codeLenInByte = 1612
; NumSgprs: 23
; NumVgprs: 44
; ScratchSize: 0
; MemoryBound: 0
; FloatMode: 240
; IeeeMode: 1
; LDSByteSize: 4096 bytes/workgroup (compile time only)
; SGPRBlocks: 2
; VGPRBlocks: 5
; NumSGPRsForWavesPerEU: 23
; NumVGPRsForWavesPerEU: 44
; Occupancy: 16
; WaveLimiterHint : 1
; COMPUTE_PGM_RSRC2:SCRATCH_EN: 0
; COMPUTE_PGM_RSRC2:USER_SGPR: 13
; COMPUTE_PGM_RSRC2:TRAP_HANDLER: 0
; COMPUTE_PGM_RSRC2:TGID_X_EN: 1
; COMPUTE_PGM_RSRC2:TGID_Y_EN: 1
; COMPUTE_PGM_RSRC2:TGID_Z_EN: 1
; COMPUTE_PGM_RSRC2:TIDIG_COMP_CNT: 1
	.section	.text._ZL34rocblas_syrkx_herkx_general_kernelIidLi16ELi32ELi8ELb0ELb0ELc78ELc85EKPKdKPdEviT_T0_PT8_S5_lS8_S5_lS6_PT9_S5_li,"axG",@progbits,_ZL34rocblas_syrkx_herkx_general_kernelIidLi16ELi32ELi8ELb0ELb0ELc78ELc85EKPKdKPdEviT_T0_PT8_S5_lS8_S5_lS6_PT9_S5_li,comdat
	.globl	_ZL34rocblas_syrkx_herkx_general_kernelIidLi16ELi32ELi8ELb0ELb0ELc78ELc85EKPKdKPdEviT_T0_PT8_S5_lS8_S5_lS6_PT9_S5_li ; -- Begin function _ZL34rocblas_syrkx_herkx_general_kernelIidLi16ELi32ELi8ELb0ELb0ELc78ELc85EKPKdKPdEviT_T0_PT8_S5_lS8_S5_lS6_PT9_S5_li
	.p2align	8
	.type	_ZL34rocblas_syrkx_herkx_general_kernelIidLi16ELi32ELi8ELb0ELb0ELc78ELc85EKPKdKPdEviT_T0_PT8_S5_lS8_S5_lS6_PT9_S5_li,@function
_ZL34rocblas_syrkx_herkx_general_kernelIidLi16ELi32ELi8ELb0ELb0ELc78ELc85EKPKdKPdEviT_T0_PT8_S5_lS8_S5_lS6_PT9_S5_li: ; @_ZL34rocblas_syrkx_herkx_general_kernelIidLi16ELi32ELi8ELb0ELb0ELc78ELc85EKPKdKPdEviT_T0_PT8_S5_lS8_S5_lS6_PT9_S5_li
; %bb.0:
	s_clause 0x1
	s_load_b128 s[4:7], s[0:1], 0x40
	s_load_b64 s[16:17], s[0:1], 0x0
	s_mov_b32 s18, s15
	s_mov_b32 s19, 0
	v_mov_b32_e32 v12, 0
	s_lshl_b64 s[2:3], s[18:19], 3
	v_dual_mov_b32 v13, 0 :: v_dual_and_b32 v18, 0x3ff, v0
	v_bfe_u32 v19, v0, 10, 10
	s_delay_alu instid0(VALU_DEP_3) | instskip(NEXT) | instid1(VALU_DEP_3)
	v_mov_b32_e32 v10, v12
	v_dual_mov_b32 v2, v12 :: v_dual_mov_b32 v3, v13
	v_dual_mov_b32 v11, v13 :: v_dual_mov_b32 v0, v12
	v_mov_b32_e32 v1, v13
	s_waitcnt lgkmcnt(0)
	s_add_u32 s6, s6, s2
	s_addc_u32 s7, s7, s3
	s_load_b128 s[8:11], s[0:1], 0x8
	s_load_b64 s[6:7], s[6:7], 0x0
	s_lshl_b32 s15, s13, 5
	s_lshl_b32 s14, s14, 5
	s_cmp_lt_i32 s17, 1
	s_cbranch_scc1 .LBB612_7
; %bb.1:
	s_clause 0x1
	s_load_b32 s12, s[0:1], 0x18
	s_load_b32 s20, s[0:1], 0x30
	v_lshl_add_u32 v0, v19, 4, v18
	s_load_b64 s[22:23], s[0:1], 0x28
	v_and_b32_e32 v20, 7, v18
	v_lshl_add_u32 v25, v19, 6, 0x800
	s_delay_alu instid0(VALU_DEP_3) | instskip(SKIP_3) | instid1(VALU_DEP_4)
	v_and_b32_e32 v1, 31, v0
	v_lshrrev_b32_e32 v21, 5, v0
	v_lshrrev_b32_e32 v3, 3, v0
	v_lshlrev_b32_e32 v4, 3, v20
	v_or_b32_e32 v5, s15, v1
	v_add_nc_u32_e32 v0, s15, v1
	s_delay_alu instid0(VALU_DEP_4) | instskip(NEXT) | instid1(VALU_DEP_4)
	v_add_nc_u32_e32 v2, s14, v3
	v_lshl_or_b32 v3, v3, 6, v4
	v_lshlrev_b32_e32 v6, 3, v1
	v_cmp_gt_i32_e32 vcc_lo, s16, v5
	v_ashrrev_i32_e32 v1, 31, v0
	s_waitcnt lgkmcnt(0)
	v_mad_i64_i32 v[4:5], null, v21, s12, 0
	s_ashr_i32 s13, s12, 31
	s_delay_alu instid0(VALU_DEP_2) | instskip(SKIP_4) | instid1(VALU_DEP_2)
	v_lshlrev_b64 v[0:1], 3, v[0:1]
	s_ashr_i32 s21, s20, 31
	s_add_u32 s22, s22, s2
	s_addc_u32 s23, s23, s3
	s_add_u32 s2, s10, s2
	v_lshlrev_b64 v[4:5], 3, v[4:5]
	s_addc_u32 s3, s11, s3
	s_load_b64 s[10:11], s[22:23], 0x0
	s_load_b64 s[22:23], s[2:3], 0x0
	v_lshl_or_b32 v22, v21, 8, v6
	s_delay_alu instid0(VALU_DEP_2) | instskip(NEXT) | instid1(VALU_DEP_1)
	v_add_co_u32 v0, s3, v4, v0
	v_add_co_ci_u32_e64 v1, s3, v5, v1, s3
	v_mov_b32_e32 v4, 0
	v_mov_b32_e32 v5, 0
	v_mad_i64_i32 v[6:7], null, s20, v20, 0
	v_add_nc_u32_e32 v23, 0x800, v3
	s_delay_alu instid0(VALU_DEP_3)
	v_dual_mov_b32 v13, v5 :: v_dual_lshlrev_b32 v24, 3, v18
	v_mov_b32_e32 v11, v5
	v_ashrrev_i32_e32 v3, 31, v2
	v_cmp_gt_i32_e64 s2, s16, v2
	v_lshlrev_b64 v[6:7], 3, v[6:7]
	v_mov_b32_e32 v10, v4
	v_mov_b32_e32 v12, v4
	v_lshlrev_b64 v[2:3], 3, v[2:3]
	s_delay_alu instid0(VALU_DEP_1) | instskip(NEXT) | instid1(VALU_DEP_1)
	v_add_co_u32 v2, s3, v6, v2
	v_add_co_ci_u32_e64 v3, s3, v7, v3, s3
	s_waitcnt lgkmcnt(0)
	v_add_co_u32 v6, s3, s22, v0
	s_delay_alu instid0(VALU_DEP_1) | instskip(SKIP_1) | instid1(VALU_DEP_1)
	v_add_co_ci_u32_e64 v7, s3, s23, v1, s3
	v_add_co_u32 v8, s3, s10, v2
	v_add_co_ci_u32_e64 v9, s3, s11, v3, s3
	v_mov_b32_e32 v0, v4
	v_dual_mov_b32 v2, v4 :: v_dual_mov_b32 v1, v5
	v_mov_b32_e32 v3, v5
	s_lshl_b64 s[10:11], s[12:13], 6
	s_lshl_b64 s[12:13], s[20:21], 6
	s_branch .LBB612_3
.LBB612_2:                              ;   in Loop: Header=BB612_3 Depth=1
	s_or_b32 exec_lo, exec_lo, s3
	s_waitcnt vmcnt(0)
	ds_store_b64 v23, v[16:17]
	s_waitcnt lgkmcnt(0)
	s_barrier
	buffer_gl0_inv
	ds_load_2addr_b64 v[14:17], v24 offset1:16
	ds_load_b128 v[26:29], v25
	ds_load_b128 v[30:33], v25 offset:1024
	ds_load_b128 v[34:37], v25 offset:16
	;; [unrolled: 1-line block ×3, first 2 shown]
	v_add_co_u32 v6, s3, v6, s10
	s_delay_alu instid0(VALU_DEP_1) | instskip(SKIP_1) | instid1(VALU_DEP_1)
	v_add_co_ci_u32_e64 v7, s3, s11, v7, s3
	v_add_co_u32 v8, s3, v8, s12
	v_add_co_ci_u32_e64 v9, s3, s13, v9, s3
	s_add_i32 s19, s19, 8
	s_delay_alu instid0(SALU_CYCLE_1)
	s_cmp_ge_i32 s19, s17
	s_waitcnt lgkmcnt(3)
	v_fma_f64 v[12:13], v[14:15], v[26:27], v[12:13]
	v_fma_f64 v[10:11], v[16:17], v[26:27], v[10:11]
	s_waitcnt lgkmcnt(2)
	v_fma_f64 v[14:15], v[14:15], v[30:31], v[2:3]
	v_fma_f64 v[16:17], v[16:17], v[30:31], v[0:1]
	ds_load_2addr_b64 v[0:3], v24 offset0:32 offset1:48
	s_waitcnt lgkmcnt(0)
	v_fma_f64 v[12:13], v[0:1], v[28:29], v[12:13]
	v_fma_f64 v[10:11], v[2:3], v[28:29], v[10:11]
	v_fma_f64 v[14:15], v[0:1], v[32:33], v[14:15]
	v_fma_f64 v[16:17], v[2:3], v[32:33], v[16:17]
	ds_load_2addr_b64 v[0:3], v24 offset0:64 offset1:80
	s_waitcnt lgkmcnt(0)
	v_fma_f64 v[12:13], v[0:1], v[34:35], v[12:13]
	v_fma_f64 v[10:11], v[2:3], v[34:35], v[10:11]
	;; [unrolled: 6-line block ×3, first 2 shown]
	v_fma_f64 v[38:39], v[0:1], v[40:41], v[14:15]
	v_fma_f64 v[40:41], v[2:3], v[40:41], v[16:17]
	ds_load_2addr_b64 v[0:3], v24 offset0:128 offset1:144
	ds_load_b128 v[10:13], v25 offset:32
	ds_load_b128 v[14:17], v25 offset:1056
	;; [unrolled: 1-line block ×4, first 2 shown]
	s_waitcnt lgkmcnt(3)
	v_fma_f64 v[34:35], v[0:1], v[10:11], v[34:35]
	v_fma_f64 v[10:11], v[2:3], v[10:11], v[36:37]
	s_waitcnt lgkmcnt(2)
	v_fma_f64 v[36:37], v[0:1], v[14:15], v[38:39]
	v_fma_f64 v[14:15], v[2:3], v[14:15], v[40:41]
	ds_load_2addr_b64 v[0:3], v24 offset0:160 offset1:176
	s_waitcnt lgkmcnt(0)
	v_fma_f64 v[34:35], v[0:1], v[12:13], v[34:35]
	v_fma_f64 v[10:11], v[2:3], v[12:13], v[10:11]
	;; [unrolled: 1-line block ×4, first 2 shown]
	ds_load_2addr_b64 v[0:3], v24 offset0:192 offset1:208
	s_waitcnt lgkmcnt(0)
	v_fma_f64 v[34:35], v[0:1], v[26:27], v[34:35]
	v_fma_f64 v[10:11], v[2:3], v[26:27], v[10:11]
	;; [unrolled: 1-line block ×4, first 2 shown]
	ds_load_2addr_b64 v[14:17], v24 offset0:224 offset1:240
	s_waitcnt lgkmcnt(0)
	s_barrier
	buffer_gl0_inv
	v_fma_f64 v[12:13], v[14:15], v[28:29], v[34:35]
	v_fma_f64 v[10:11], v[16:17], v[28:29], v[10:11]
	;; [unrolled: 1-line block ×4, first 2 shown]
	s_cbranch_scc1 .LBB612_7
.LBB612_3:                              ; =>This Inner Loop Header: Depth=1
	v_add_nc_u32_e32 v14, s19, v21
	s_delay_alu instid0(VALU_DEP_1) | instskip(SKIP_1) | instid1(VALU_DEP_2)
	v_cmp_gt_i32_e64 s3, s17, v14
	v_dual_mov_b32 v15, v5 :: v_dual_mov_b32 v14, v4
	s_and_b32 s18, vcc_lo, s3
	s_delay_alu instid0(SALU_CYCLE_1)
	s_and_saveexec_b32 s3, s18
	s_cbranch_execz .LBB612_5
; %bb.4:                                ;   in Loop: Header=BB612_3 Depth=1
	global_load_b64 v[14:15], v[6:7], off
.LBB612_5:                              ;   in Loop: Header=BB612_3 Depth=1
	s_or_b32 exec_lo, exec_lo, s3
	v_add_nc_u32_e32 v16, s19, v20
	s_waitcnt vmcnt(0)
	ds_store_b64 v22, v[14:15]
	v_cmp_gt_i32_e64 s3, s17, v16
	v_dual_mov_b32 v17, v5 :: v_dual_mov_b32 v16, v4
	s_delay_alu instid0(VALU_DEP_2) | instskip(NEXT) | instid1(SALU_CYCLE_1)
	s_and_b32 s18, s3, s2
	s_and_saveexec_b32 s3, s18
	s_cbranch_execz .LBB612_2
; %bb.6:                                ;   in Loop: Header=BB612_3 Depth=1
	global_load_b64 v[16:17], v[8:9], off
	s_branch .LBB612_2
.LBB612_7:
	s_load_b32 s2, s[0:1], 0x50
	v_add_nc_u32_e32 v8, s14, v19
	v_add_nc_u32_e32 v4, s15, v18
	s_delay_alu instid0(VALU_DEP_2) | instskip(NEXT) | instid1(VALU_DEP_2)
	v_cmp_gt_i32_e32 vcc_lo, s16, v8
	v_cmp_le_i32_e64 s0, v4, v8
	s_delay_alu instid0(VALU_DEP_1) | instskip(SKIP_2) | instid1(VALU_DEP_1)
	s_and_b32 s0, vcc_lo, s0
	s_waitcnt lgkmcnt(0)
	v_mad_i64_i32 v[5:6], null, v8, s2, 0
	v_lshlrev_b64 v[5:6], 3, v[5:6]
	s_delay_alu instid0(VALU_DEP_1) | instskip(NEXT) | instid1(VALU_DEP_1)
	v_add_co_u32 v9, s1, s6, v5
	v_add_co_ci_u32_e64 v14, s1, s7, v6, s1
	s_and_saveexec_b32 s1, s0
	s_cbranch_execz .LBB612_9
; %bb.8:
	v_ashrrev_i32_e32 v5, 31, v4
	s_delay_alu instid0(VALU_DEP_1) | instskip(NEXT) | instid1(VALU_DEP_1)
	v_lshlrev_b64 v[5:6], 3, v[4:5]
	v_add_co_u32 v5, s0, v9, v5
	s_delay_alu instid0(VALU_DEP_1) | instskip(SKIP_3) | instid1(VALU_DEP_1)
	v_add_co_ci_u32_e64 v6, s0, v14, v6, s0
	global_load_b64 v[15:16], v[5:6], off
	s_waitcnt vmcnt(0)
	v_mul_f64 v[15:16], v[15:16], s[4:5]
	v_fma_f64 v[12:13], v[12:13], s[8:9], v[15:16]
	global_store_b64 v[5:6], v[12:13], off
.LBB612_9:
	s_or_b32 exec_lo, exec_lo, s1
	v_add_nc_u32_e32 v6, 16, v4
	s_delay_alu instid0(VALU_DEP_1) | instskip(NEXT) | instid1(VALU_DEP_1)
	v_cmp_le_i32_e64 s0, v6, v8
	s_and_b32 s1, vcc_lo, s0
	s_delay_alu instid0(SALU_CYCLE_1)
	s_and_saveexec_b32 s0, s1
	s_cbranch_execz .LBB612_11
; %bb.10:
	v_ashrrev_i32_e32 v7, 31, v6
	s_delay_alu instid0(VALU_DEP_1) | instskip(NEXT) | instid1(VALU_DEP_1)
	v_lshlrev_b64 v[12:13], 3, v[6:7]
	v_add_co_u32 v12, vcc_lo, v9, v12
	s_delay_alu instid0(VALU_DEP_2) | instskip(SKIP_3) | instid1(VALU_DEP_1)
	v_add_co_ci_u32_e32 v13, vcc_lo, v14, v13, vcc_lo
	global_load_b64 v[14:15], v[12:13], off
	s_waitcnt vmcnt(0)
	v_mul_f64 v[14:15], v[14:15], s[4:5]
	v_fma_f64 v[9:10], v[10:11], s[8:9], v[14:15]
	global_store_b64 v[12:13], v[9:10], off
.LBB612_11:
	s_or_b32 exec_lo, exec_lo, s0
	v_add_nc_u32_e32 v7, 16, v8
	s_delay_alu instid0(VALU_DEP_1) | instskip(SKIP_2) | instid1(VALU_DEP_1)
	v_mad_i64_i32 v[8:9], null, v7, s2, 0
	v_cmp_gt_i32_e32 vcc_lo, s16, v7
	v_cmp_le_i32_e64 s0, v4, v7
	s_and_b32 s0, vcc_lo, s0
	s_delay_alu instid0(VALU_DEP_3) | instskip(NEXT) | instid1(VALU_DEP_1)
	v_lshlrev_b64 v[8:9], 3, v[8:9]
	v_add_co_u32 v8, s1, s6, v8
	s_delay_alu instid0(VALU_DEP_1)
	v_add_co_ci_u32_e64 v9, s1, s7, v9, s1
	s_and_saveexec_b32 s1, s0
	s_cbranch_execz .LBB612_13
; %bb.12:
	v_ashrrev_i32_e32 v5, 31, v4
	s_delay_alu instid0(VALU_DEP_1) | instskip(NEXT) | instid1(VALU_DEP_1)
	v_lshlrev_b64 v[4:5], 3, v[4:5]
	v_add_co_u32 v4, s0, v8, v4
	s_delay_alu instid0(VALU_DEP_1) | instskip(SKIP_3) | instid1(VALU_DEP_1)
	v_add_co_ci_u32_e64 v5, s0, v9, v5, s0
	global_load_b64 v[10:11], v[4:5], off
	s_waitcnt vmcnt(0)
	v_mul_f64 v[10:11], v[10:11], s[4:5]
	v_fma_f64 v[2:3], v[2:3], s[8:9], v[10:11]
	global_store_b64 v[4:5], v[2:3], off
.LBB612_13:
	s_or_b32 exec_lo, exec_lo, s1
	v_cmp_le_i32_e64 s0, v6, v7
	s_delay_alu instid0(VALU_DEP_1) | instskip(NEXT) | instid1(SALU_CYCLE_1)
	s_and_b32 s0, vcc_lo, s0
	s_and_saveexec_b32 s1, s0
	s_cbranch_execz .LBB612_15
; %bb.14:
	v_ashrrev_i32_e32 v7, 31, v6
	s_delay_alu instid0(VALU_DEP_1) | instskip(NEXT) | instid1(VALU_DEP_1)
	v_lshlrev_b64 v[2:3], 3, v[6:7]
	v_add_co_u32 v2, vcc_lo, v8, v2
	s_delay_alu instid0(VALU_DEP_2) | instskip(SKIP_3) | instid1(VALU_DEP_1)
	v_add_co_ci_u32_e32 v3, vcc_lo, v9, v3, vcc_lo
	global_load_b64 v[4:5], v[2:3], off
	s_waitcnt vmcnt(0)
	v_mul_f64 v[4:5], v[4:5], s[4:5]
	v_fma_f64 v[0:1], v[0:1], s[8:9], v[4:5]
	global_store_b64 v[2:3], v[0:1], off
.LBB612_15:
	s_nop 0
	s_sendmsg sendmsg(MSG_DEALLOC_VGPRS)
	s_endpgm
	.section	.rodata,"a",@progbits
	.p2align	6, 0x0
	.amdhsa_kernel _ZL34rocblas_syrkx_herkx_general_kernelIidLi16ELi32ELi8ELb0ELb0ELc78ELc85EKPKdKPdEviT_T0_PT8_S5_lS8_S5_lS6_PT9_S5_li
		.amdhsa_group_segment_fixed_size 4096
		.amdhsa_private_segment_fixed_size 0
		.amdhsa_kernarg_size 100
		.amdhsa_user_sgpr_count 13
		.amdhsa_user_sgpr_dispatch_ptr 0
		.amdhsa_user_sgpr_queue_ptr 0
		.amdhsa_user_sgpr_kernarg_segment_ptr 1
		.amdhsa_user_sgpr_dispatch_id 0
		.amdhsa_user_sgpr_private_segment_size 0
		.amdhsa_wavefront_size32 1
		.amdhsa_uses_dynamic_stack 0
		.amdhsa_enable_private_segment 0
		.amdhsa_system_sgpr_workgroup_id_x 1
		.amdhsa_system_sgpr_workgroup_id_y 1
		.amdhsa_system_sgpr_workgroup_id_z 1
		.amdhsa_system_sgpr_workgroup_info 0
		.amdhsa_system_vgpr_workitem_id 1
		.amdhsa_next_free_vgpr 42
		.amdhsa_next_free_sgpr 24
		.amdhsa_reserve_vcc 1
		.amdhsa_float_round_mode_32 0
		.amdhsa_float_round_mode_16_64 0
		.amdhsa_float_denorm_mode_32 3
		.amdhsa_float_denorm_mode_16_64 3
		.amdhsa_dx10_clamp 1
		.amdhsa_ieee_mode 1
		.amdhsa_fp16_overflow 0
		.amdhsa_workgroup_processor_mode 1
		.amdhsa_memory_ordered 1
		.amdhsa_forward_progress 0
		.amdhsa_shared_vgpr_count 0
		.amdhsa_exception_fp_ieee_invalid_op 0
		.amdhsa_exception_fp_denorm_src 0
		.amdhsa_exception_fp_ieee_div_zero 0
		.amdhsa_exception_fp_ieee_overflow 0
		.amdhsa_exception_fp_ieee_underflow 0
		.amdhsa_exception_fp_ieee_inexact 0
		.amdhsa_exception_int_div_zero 0
	.end_amdhsa_kernel
	.section	.text._ZL34rocblas_syrkx_herkx_general_kernelIidLi16ELi32ELi8ELb0ELb0ELc78ELc85EKPKdKPdEviT_T0_PT8_S5_lS8_S5_lS6_PT9_S5_li,"axG",@progbits,_ZL34rocblas_syrkx_herkx_general_kernelIidLi16ELi32ELi8ELb0ELb0ELc78ELc85EKPKdKPdEviT_T0_PT8_S5_lS8_S5_lS6_PT9_S5_li,comdat
.Lfunc_end612:
	.size	_ZL34rocblas_syrkx_herkx_general_kernelIidLi16ELi32ELi8ELb0ELb0ELc78ELc85EKPKdKPdEviT_T0_PT8_S5_lS8_S5_lS6_PT9_S5_li, .Lfunc_end612-_ZL34rocblas_syrkx_herkx_general_kernelIidLi16ELi32ELi8ELb0ELb0ELc78ELc85EKPKdKPdEviT_T0_PT8_S5_lS8_S5_lS6_PT9_S5_li
                                        ; -- End function
	.section	.AMDGPU.csdata,"",@progbits
; Kernel info:
; codeLenInByte = 1652
; NumSgprs: 26
; NumVgprs: 42
; ScratchSize: 0
; MemoryBound: 0
; FloatMode: 240
; IeeeMode: 1
; LDSByteSize: 4096 bytes/workgroup (compile time only)
; SGPRBlocks: 3
; VGPRBlocks: 5
; NumSGPRsForWavesPerEU: 26
; NumVGPRsForWavesPerEU: 42
; Occupancy: 16
; WaveLimiterHint : 1
; COMPUTE_PGM_RSRC2:SCRATCH_EN: 0
; COMPUTE_PGM_RSRC2:USER_SGPR: 13
; COMPUTE_PGM_RSRC2:TRAP_HANDLER: 0
; COMPUTE_PGM_RSRC2:TGID_X_EN: 1
; COMPUTE_PGM_RSRC2:TGID_Y_EN: 1
; COMPUTE_PGM_RSRC2:TGID_Z_EN: 1
; COMPUTE_PGM_RSRC2:TIDIG_COMP_CNT: 1
	.section	.text._ZL26rocblas_syr2k_scale_kernelIiLi128ELi8ELb0EddPKPdEvbiT_T3_T4_T5_S3_li,"axG",@progbits,_ZL26rocblas_syr2k_scale_kernelIiLi128ELi8ELb0EddPKPdEvbiT_T3_T4_T5_S3_li,comdat
	.globl	_ZL26rocblas_syr2k_scale_kernelIiLi128ELi8ELb0EddPKPdEvbiT_T3_T4_T5_S3_li ; -- Begin function _ZL26rocblas_syr2k_scale_kernelIiLi128ELi8ELb0EddPKPdEvbiT_T3_T4_T5_S3_li
	.p2align	8
	.type	_ZL26rocblas_syr2k_scale_kernelIiLi128ELi8ELb0EddPKPdEvbiT_T3_T4_T5_S3_li,@function
_ZL26rocblas_syr2k_scale_kernelIiLi128ELi8ELb0EddPKPdEvbiT_T3_T4_T5_S3_li: ; @_ZL26rocblas_syr2k_scale_kernelIiLi128ELi8ELb0EddPKPdEvbiT_T3_T4_T5_S3_li
; %bb.0:
	s_load_b128 s[4:7], s[0:1], 0x18
	s_waitcnt lgkmcnt(0)
	v_cmp_eq_f64_e64 s2, s[4:5], 1.0
	s_delay_alu instid0(VALU_DEP_1)
	s_and_b32 vcc_lo, exec_lo, s2
	s_cbranch_vccnz .LBB613_5
; %bb.1:
	s_clause 0x1
	s_load_b64 s[2:3], s[0:1], 0x0
	s_load_b32 s9, s[0:1], 0x4c
	v_and_b32_e32 v2, 0x3ff, v0
	v_bfe_u32 v3, v0, 10, 10
	s_waitcnt lgkmcnt(0)
	s_bitcmp1_b32 s2, 0
	s_cselect_b32 vcc_lo, -1, 0
	s_lshr_b32 s2, s9, 16
	s_and_b32 s9, s9, 0xffff
	s_delay_alu instid0(SALU_CYCLE_1) | instskip(SKIP_1) | instid1(VALU_DEP_1)
	v_mad_u64_u32 v[0:1], null, s13, s9, v[2:3]
	v_mad_u64_u32 v[1:2], null, s14, s2, v[3:4]
	v_cndmask_b32_e32 v2, v1, v0, vcc_lo
	v_max_u32_e32 v3, v0, v1
	v_cndmask_b32_e32 v4, v0, v1, vcc_lo
	s_delay_alu instid0(VALU_DEP_2) | instskip(NEXT) | instid1(VALU_DEP_2)
	v_cmp_gt_u32_e32 vcc_lo, s3, v3
	v_cmp_le_i32_e64 s2, v2, v4
	s_delay_alu instid0(VALU_DEP_1) | instskip(NEXT) | instid1(SALU_CYCLE_1)
	s_and_b32 s2, vcc_lo, s2
	s_and_saveexec_b32 s3, s2
	s_cbranch_execz .LBB613_5
; %bb.2:
	s_clause 0x1
	s_load_b32 s10, s[0:1], 0x28
	s_load_b64 s[0:1], s[0:1], 0x30
	s_mov_b32 s8, s15
	s_mov_b32 s9, 0
	v_cmp_eq_f64_e64 s11, s[4:5], 0
	s_lshl_b64 s[2:3], s[8:9], 3
	s_waitcnt lgkmcnt(0)
	v_mad_u64_u32 v[2:3], null, v1, s10, 0
	s_ashr_i32 s8, s10, 31
	s_add_u32 s2, s6, s2
	s_addc_u32 s3, s7, s3
	s_lshl_b64 s[0:1], s[0:1], 3
	s_load_b64 s[2:3], s[2:3], 0x0
	s_delay_alu instid0(VALU_DEP_1) | instskip(SKIP_1) | instid1(VALU_DEP_2)
	v_mad_u64_u32 v[4:5], null, v1, s8, v[3:4]
	v_mov_b32_e32 v1, 0
	v_mov_b32_e32 v3, v4
	s_delay_alu instid0(VALU_DEP_1) | instskip(SKIP_3) | instid1(VALU_DEP_1)
	v_lshlrev_b64 v[2:3], 3, v[2:3]
	s_waitcnt lgkmcnt(0)
	s_add_u32 s0, s2, s0
	s_addc_u32 s1, s3, s1
	v_add_co_u32 v4, vcc_lo, s0, v2
	s_delay_alu instid0(VALU_DEP_2) | instskip(SKIP_3) | instid1(VALU_DEP_2)
	v_add_co_ci_u32_e32 v5, vcc_lo, s1, v3, vcc_lo
	v_mov_b32_e32 v2, 0
	v_lshlrev_b64 v[0:1], 3, v[0:1]
	v_mov_b32_e32 v3, 0
	v_add_co_u32 v0, vcc_lo, v4, v0
	s_delay_alu instid0(VALU_DEP_3)
	v_add_co_ci_u32_e32 v1, vcc_lo, v5, v1, vcc_lo
	s_and_b32 vcc_lo, exec_lo, s11
	s_cbranch_vccnz .LBB613_4
; %bb.3:
	global_load_b64 v[2:3], v[0:1], off
	s_waitcnt vmcnt(0)
	v_mul_f64 v[2:3], v[2:3], s[4:5]
.LBB613_4:
	global_store_b64 v[0:1], v[2:3], off
.LBB613_5:
	s_nop 0
	s_sendmsg sendmsg(MSG_DEALLOC_VGPRS)
	s_endpgm
	.section	.rodata,"a",@progbits
	.p2align	6, 0x0
	.amdhsa_kernel _ZL26rocblas_syr2k_scale_kernelIiLi128ELi8ELb0EddPKPdEvbiT_T3_T4_T5_S3_li
		.amdhsa_group_segment_fixed_size 0
		.amdhsa_private_segment_fixed_size 0
		.amdhsa_kernarg_size 320
		.amdhsa_user_sgpr_count 13
		.amdhsa_user_sgpr_dispatch_ptr 0
		.amdhsa_user_sgpr_queue_ptr 0
		.amdhsa_user_sgpr_kernarg_segment_ptr 1
		.amdhsa_user_sgpr_dispatch_id 0
		.amdhsa_user_sgpr_private_segment_size 0
		.amdhsa_wavefront_size32 1
		.amdhsa_uses_dynamic_stack 0
		.amdhsa_enable_private_segment 0
		.amdhsa_system_sgpr_workgroup_id_x 1
		.amdhsa_system_sgpr_workgroup_id_y 1
		.amdhsa_system_sgpr_workgroup_id_z 1
		.amdhsa_system_sgpr_workgroup_info 0
		.amdhsa_system_vgpr_workitem_id 1
		.amdhsa_next_free_vgpr 6
		.amdhsa_next_free_sgpr 16
		.amdhsa_reserve_vcc 1
		.amdhsa_float_round_mode_32 0
		.amdhsa_float_round_mode_16_64 0
		.amdhsa_float_denorm_mode_32 3
		.amdhsa_float_denorm_mode_16_64 3
		.amdhsa_dx10_clamp 1
		.amdhsa_ieee_mode 1
		.amdhsa_fp16_overflow 0
		.amdhsa_workgroup_processor_mode 1
		.amdhsa_memory_ordered 1
		.amdhsa_forward_progress 0
		.amdhsa_shared_vgpr_count 0
		.amdhsa_exception_fp_ieee_invalid_op 0
		.amdhsa_exception_fp_denorm_src 0
		.amdhsa_exception_fp_ieee_div_zero 0
		.amdhsa_exception_fp_ieee_overflow 0
		.amdhsa_exception_fp_ieee_underflow 0
		.amdhsa_exception_fp_ieee_inexact 0
		.amdhsa_exception_int_div_zero 0
	.end_amdhsa_kernel
	.section	.text._ZL26rocblas_syr2k_scale_kernelIiLi128ELi8ELb0EddPKPdEvbiT_T3_T4_T5_S3_li,"axG",@progbits,_ZL26rocblas_syr2k_scale_kernelIiLi128ELi8ELb0EddPKPdEvbiT_T3_T4_T5_S3_li,comdat
.Lfunc_end613:
	.size	_ZL26rocblas_syr2k_scale_kernelIiLi128ELi8ELb0EddPKPdEvbiT_T3_T4_T5_S3_li, .Lfunc_end613-_ZL26rocblas_syr2k_scale_kernelIiLi128ELi8ELb0EddPKPdEvbiT_T3_T4_T5_S3_li
                                        ; -- End function
	.section	.AMDGPU.csdata,"",@progbits
; Kernel info:
; codeLenInByte = 372
; NumSgprs: 18
; NumVgprs: 6
; ScratchSize: 0
; MemoryBound: 1
; FloatMode: 240
; IeeeMode: 1
; LDSByteSize: 0 bytes/workgroup (compile time only)
; SGPRBlocks: 2
; VGPRBlocks: 0
; NumSGPRsForWavesPerEU: 18
; NumVGPRsForWavesPerEU: 6
; Occupancy: 16
; WaveLimiterHint : 1
; COMPUTE_PGM_RSRC2:SCRATCH_EN: 0
; COMPUTE_PGM_RSRC2:USER_SGPR: 13
; COMPUTE_PGM_RSRC2:TRAP_HANDLER: 0
; COMPUTE_PGM_RSRC2:TGID_X_EN: 1
; COMPUTE_PGM_RSRC2:TGID_Y_EN: 1
; COMPUTE_PGM_RSRC2:TGID_Z_EN: 1
; COMPUTE_PGM_RSRC2:TIDIG_COMP_CNT: 1
	.section	.text._ZL26rocblas_syr2k_her2k_kernelIiLb0ELb0ELb0ELi32EPKdPKS1_PKPdEvbiT_T4_T5_S7_lS9_S7_lT6_S7_li,"axG",@progbits,_ZL26rocblas_syr2k_her2k_kernelIiLb0ELb0ELb0ELi32EPKdPKS1_PKPdEvbiT_T4_T5_S7_lS9_S7_lT6_S7_li,comdat
	.globl	_ZL26rocblas_syr2k_her2k_kernelIiLb0ELb0ELb0ELi32EPKdPKS1_PKPdEvbiT_T4_T5_S7_lS9_S7_lT6_S7_li ; -- Begin function _ZL26rocblas_syr2k_her2k_kernelIiLb0ELb0ELb0ELi32EPKdPKS1_PKPdEvbiT_T4_T5_S7_lS9_S7_lT6_S7_li
	.p2align	8
	.type	_ZL26rocblas_syr2k_her2k_kernelIiLb0ELb0ELb0ELi32EPKdPKS1_PKPdEvbiT_T4_T5_S7_lS9_S7_lT6_S7_li,@function
_ZL26rocblas_syr2k_her2k_kernelIiLb0ELb0ELb0ELi32EPKdPKS1_PKPdEvbiT_T4_T5_S7_lS9_S7_lT6_S7_li: ; @_ZL26rocblas_syr2k_her2k_kernelIiLb0ELb0ELb0ELi32EPKdPKS1_PKPdEvbiT_T4_T5_S7_lS9_S7_lT6_S7_li
; %bb.0:
	s_load_b128 s[16:19], s[0:1], 0x10
	s_waitcnt lgkmcnt(0)
	s_load_b64 s[16:17], s[16:17], 0x0
	s_waitcnt lgkmcnt(0)
	v_cmp_eq_f64_e64 s3, s[16:17], 0
	s_delay_alu instid0(VALU_DEP_1)
	s_and_b32 vcc_lo, exec_lo, s3
	s_cbranch_vccnz .LBB614_11
; %bb.1:
	s_load_b128 s[4:7], s[0:1], 0x0
	s_lshl_b32 s20, s14, 5
	s_lshl_b32 s21, s13, 5
	s_waitcnt lgkmcnt(0)
	s_and_b32 s3, 1, s4
	s_delay_alu instid0(SALU_CYCLE_1) | instskip(SKIP_1) | instid1(SALU_CYCLE_1)
	s_cmp_eq_u32 s3, 1
	s_cselect_b32 vcc_lo, -1, 0
	s_and_b32 s3, vcc_lo, exec_lo
	s_cselect_b32 s3, s21, s20
	s_cselect_b32 s4, s20, s21
	s_delay_alu instid0(SALU_CYCLE_1)
	s_cmp_gt_i32 s3, s4
	s_cbranch_scc1 .LBB614_11
; %bb.2:
	s_cmp_lt_i32 s6, 1
	s_cbranch_scc1 .LBB614_11
; %bb.3:
	s_mov_b32 s2, s15
	s_clause 0x4
	s_load_b128 s[12:15], s[0:1], 0x28
	s_load_b32 s4, s[0:1], 0x20
	s_load_b32 s7, s[0:1], 0x38
	s_load_b128 s[8:11], s[0:1], 0x40
	s_load_b32 s26, s[0:1], 0x50
	s_mov_b32 s3, 0
	s_load_b64 s[24:25], s[0:1], 0x58
	s_lshl_b64 s[22:23], s[2:3], 3
	v_and_b32_e32 v6, 0x3ff, v0
	s_add_u32 s0, s18, s22
	s_addc_u32 s1, s19, s23
	v_bfe_u32 v7, v0, 10, 10
	s_load_b64 s[18:19], s[0:1], 0x0
	v_add_nc_u32_e32 v2, s21, v6
	s_delay_alu instid0(VALU_DEP_2) | instskip(SKIP_1) | instid1(VALU_DEP_3)
	v_add_nc_u32_e32 v0, s20, v7
	v_lshlrev_b32_e32 v4, 3, v7
	v_ashrrev_i32_e32 v3, 31, v2
	s_waitcnt lgkmcnt(0)
	s_add_u32 s0, s14, s22
	v_cndmask_b32_e32 v17, v0, v2, vcc_lo
	s_addc_u32 s1, s15, s23
	v_lshlrev_b32_e32 v8, 8, v6
	s_load_b64 s[14:15], s[0:1], 0x0
	s_add_u32 s0, s10, s22
	s_addc_u32 s1, s11, s23
	v_ashrrev_i32_e32 v1, 31, v0
	s_load_b64 s[10:11], s[0:1], 0x0
	v_mad_i64_i32 v[13:14], null, s26, v0, 0
	v_or_b32_e32 v10, 0x2000, v4
	v_cndmask_b32_e32 v16, v2, v0, vcc_lo
	v_cmp_gt_i32_e32 vcc_lo, s5, v2
	v_lshlrev_b64 v[2:3], 3, v[2:3]
	s_lshl_b64 s[12:13], s[12:13], 3
	v_add_nc_u32_e32 v9, v8, v4
	v_lshlrev_b64 v[4:5], 3, v[0:1]
	s_add_u32 s1, s18, s12
	s_addc_u32 s2, s19, s13
	s_lshl_b64 s[8:9], s[8:9], 3
	v_cmp_gt_i32_e64 s0, s5, v0
	v_add_co_u32 v11, s1, s1, v2
	v_lshlrev_b64 v[0:1], 3, v[13:14]
	s_waitcnt lgkmcnt(0)
	s_add_u32 s5, s14, s8
	s_addc_u32 s12, s15, s9
	s_lshl_b64 s[8:9], s[24:25], 3
	v_add_co_ci_u32_e64 v12, s1, s2, v3, s1
	v_add_co_u32 v13, s1, s5, v4
	s_add_u32 s2, s10, s8
	v_add_co_ci_u32_e64 v14, s1, s12, v5, s1
	s_addc_u32 s8, s11, s9
	v_add_co_u32 v0, s1, s2, v0
	s_delay_alu instid0(VALU_DEP_1) | instskip(SKIP_2) | instid1(VALU_DEP_4)
	v_add_co_ci_u32_e64 v1, s1, s8, v1, s1
	v_cmp_le_i32_e64 s1, v17, v16
	v_add_nc_u32_e32 v17, 0x1000, v10
	v_add_co_u32 v0, s2, v0, v2
	v_add_nc_u32_e32 v15, v10, v8
	v_add_co_ci_u32_e64 v1, s2, v1, v3, s2
	v_add_nc_u32_e32 v16, 0x800, v10
	v_add_nc_u32_e32 v18, 0x1800, v10
	s_and_b32 s2, s0, vcc_lo
	s_delay_alu instid0(SALU_CYCLE_1)
	s_and_b32 s2, s2, s1
	s_branch .LBB614_5
.LBB614_4:                              ;   in Loop: Header=BB614_5 Depth=1
	s_or_b32 exec_lo, exec_lo, s1
	s_add_i32 s3, s3, 32
	s_waitcnt_vscnt null, 0x0
	s_cmp_lt_i32 s3, s6
	s_barrier
	buffer_gl0_inv
	s_cbranch_scc0 .LBB614_11
.LBB614_5:                              ; =>This Inner Loop Header: Depth=1
	v_dual_mov_b32 v2, 0 :: v_dual_add_nc_u32 v19, s3, v7
	v_mov_b32_e32 v3, 0
	s_delay_alu instid0(VALU_DEP_2) | instskip(NEXT) | instid1(VALU_DEP_2)
	v_cmp_gt_i32_e64 s1, s6, v19
	v_dual_mov_b32 v5, v3 :: v_dual_mov_b32 v4, v2
	s_delay_alu instid0(VALU_DEP_2) | instskip(NEXT) | instid1(SALU_CYCLE_1)
	s_and_b32 s1, vcc_lo, s1
	s_and_saveexec_b32 s5, s1
	s_cbranch_execz .LBB614_7
; %bb.6:                                ;   in Loop: Header=BB614_5 Depth=1
	v_mad_i64_i32 v[4:5], null, v19, s4, 0
	s_delay_alu instid0(VALU_DEP_1) | instskip(NEXT) | instid1(VALU_DEP_1)
	v_lshlrev_b64 v[4:5], 3, v[4:5]
	v_add_co_u32 v4, s1, v11, v4
	s_delay_alu instid0(VALU_DEP_1)
	v_add_co_ci_u32_e64 v5, s1, v12, v5, s1
	global_load_b64 v[4:5], v[4:5], off
.LBB614_7:                              ;   in Loop: Header=BB614_5 Depth=1
	s_or_b32 exec_lo, exec_lo, s5
	v_add_nc_u32_e32 v19, s3, v6
	s_waitcnt vmcnt(0)
	ds_store_b64 v9, v[4:5]
	v_cmp_gt_i32_e64 s1, s6, v19
	s_delay_alu instid0(VALU_DEP_1) | instskip(NEXT) | instid1(SALU_CYCLE_1)
	s_and_b32 s1, s0, s1
	s_and_saveexec_b32 s5, s1
	s_cbranch_execz .LBB614_9
; %bb.8:                                ;   in Loop: Header=BB614_5 Depth=1
	v_mad_i64_i32 v[2:3], null, v19, s7, 0
	s_delay_alu instid0(VALU_DEP_1) | instskip(NEXT) | instid1(VALU_DEP_1)
	v_lshlrev_b64 v[2:3], 3, v[2:3]
	v_add_co_u32 v2, s1, v13, v2
	s_delay_alu instid0(VALU_DEP_1)
	v_add_co_ci_u32_e64 v3, s1, v14, v3, s1
	global_load_b64 v[2:3], v[2:3], off
.LBB614_9:                              ;   in Loop: Header=BB614_5 Depth=1
	s_or_b32 exec_lo, exec_lo, s5
	s_waitcnt vmcnt(0)
	ds_store_b64 v15, v[2:3]
	s_waitcnt lgkmcnt(0)
	s_barrier
	buffer_gl0_inv
	s_and_saveexec_b32 s1, s2
	s_cbranch_execz .LBB614_4
; %bb.10:                               ;   in Loop: Header=BB614_5 Depth=1
	ds_load_2addr_b64 v[2:5], v10 offset1:32
	ds_load_b128 v[19:22], v8
	ds_load_b128 v[23:26], v8 offset:16
	s_waitcnt lgkmcnt(1)
	v_fma_f64 v[2:3], v[19:20], v[2:3], 0
	s_delay_alu instid0(VALU_DEP_1) | instskip(SKIP_3) | instid1(VALU_DEP_1)
	v_fma_f64 v[19:20], v[21:22], v[4:5], v[2:3]
	ds_load_2addr_b64 v[2:5], v10 offset0:64 offset1:96
	s_waitcnt lgkmcnt(0)
	v_fma_f64 v[2:3], v[23:24], v[2:3], v[19:20]
	v_fma_f64 v[27:28], v[25:26], v[4:5], v[2:3]
	ds_load_2addr_b64 v[2:5], v10 offset0:128 offset1:160
	ds_load_b128 v[19:22], v8 offset:32
	ds_load_b128 v[23:26], v8 offset:48
	s_waitcnt lgkmcnt(1)
	v_fma_f64 v[2:3], v[19:20], v[2:3], v[27:28]
	s_delay_alu instid0(VALU_DEP_1) | instskip(SKIP_3) | instid1(VALU_DEP_1)
	v_fma_f64 v[19:20], v[21:22], v[4:5], v[2:3]
	ds_load_2addr_b64 v[2:5], v10 offset0:192 offset1:224
	s_waitcnt lgkmcnt(0)
	v_fma_f64 v[2:3], v[23:24], v[2:3], v[19:20]
	v_fma_f64 v[27:28], v[25:26], v[4:5], v[2:3]
	ds_load_2addr_b64 v[2:5], v16 offset1:32
	ds_load_b128 v[19:22], v8 offset:64
	ds_load_b128 v[23:26], v8 offset:80
	s_waitcnt lgkmcnt(1)
	v_fma_f64 v[2:3], v[19:20], v[2:3], v[27:28]
	s_delay_alu instid0(VALU_DEP_1) | instskip(SKIP_3) | instid1(VALU_DEP_1)
	v_fma_f64 v[19:20], v[21:22], v[4:5], v[2:3]
	ds_load_2addr_b64 v[2:5], v16 offset0:64 offset1:96
	s_waitcnt lgkmcnt(0)
	v_fma_f64 v[2:3], v[23:24], v[2:3], v[19:20]
	v_fma_f64 v[27:28], v[25:26], v[4:5], v[2:3]
	ds_load_2addr_b64 v[2:5], v16 offset0:128 offset1:160
	ds_load_b128 v[19:22], v8 offset:96
	ds_load_b128 v[23:26], v8 offset:112
	s_waitcnt lgkmcnt(1)
	v_fma_f64 v[2:3], v[19:20], v[2:3], v[27:28]
	s_delay_alu instid0(VALU_DEP_1) | instskip(SKIP_3) | instid1(VALU_DEP_1)
	v_fma_f64 v[19:20], v[21:22], v[4:5], v[2:3]
	ds_load_2addr_b64 v[2:5], v16 offset0:192 offset1:224
	s_waitcnt lgkmcnt(0)
	v_fma_f64 v[2:3], v[23:24], v[2:3], v[19:20]
	v_fma_f64 v[27:28], v[25:26], v[4:5], v[2:3]
	ds_load_2addr_b64 v[2:5], v17 offset1:32
	ds_load_b128 v[19:22], v8 offset:128
	;; [unrolled: 22-line block ×3, first 2 shown]
	global_load_b64 v[29:30], v[0:1], off
	ds_load_b128 v[23:26], v8 offset:208
	s_waitcnt lgkmcnt(1)
	v_fma_f64 v[2:3], v[19:20], v[2:3], v[27:28]
	s_delay_alu instid0(VALU_DEP_1) | instskip(SKIP_3) | instid1(VALU_DEP_1)
	v_fma_f64 v[19:20], v[21:22], v[4:5], v[2:3]
	ds_load_2addr_b64 v[2:5], v18 offset0:64 offset1:96
	s_waitcnt lgkmcnt(0)
	v_fma_f64 v[2:3], v[23:24], v[2:3], v[19:20]
	v_fma_f64 v[27:28], v[25:26], v[4:5], v[2:3]
	ds_load_2addr_b64 v[2:5], v18 offset0:128 offset1:160
	ds_load_b128 v[19:22], v8 offset:224
	ds_load_b128 v[23:26], v8 offset:240
	s_waitcnt lgkmcnt(1)
	v_fma_f64 v[2:3], v[19:20], v[2:3], v[27:28]
	s_delay_alu instid0(VALU_DEP_1) | instskip(SKIP_3) | instid1(VALU_DEP_1)
	v_fma_f64 v[19:20], v[21:22], v[4:5], v[2:3]
	ds_load_2addr_b64 v[2:5], v18 offset0:192 offset1:224
	s_waitcnt lgkmcnt(0)
	v_fma_f64 v[2:3], v[23:24], v[2:3], v[19:20]
	v_fma_f64 v[2:3], v[25:26], v[4:5], v[2:3]
	s_waitcnt vmcnt(0)
	s_delay_alu instid0(VALU_DEP_1)
	v_fma_f64 v[2:3], s[16:17], v[2:3], v[29:30]
	global_store_b64 v[0:1], v[2:3], off
	s_branch .LBB614_4
.LBB614_11:
	s_endpgm
	.section	.rodata,"a",@progbits
	.p2align	6, 0x0
	.amdhsa_kernel _ZL26rocblas_syr2k_her2k_kernelIiLb0ELb0ELb0ELi32EPKdPKS1_PKPdEvbiT_T4_T5_S7_lS9_S7_lT6_S7_li
		.amdhsa_group_segment_fixed_size 16384
		.amdhsa_private_segment_fixed_size 0
		.amdhsa_kernarg_size 100
		.amdhsa_user_sgpr_count 13
		.amdhsa_user_sgpr_dispatch_ptr 0
		.amdhsa_user_sgpr_queue_ptr 0
		.amdhsa_user_sgpr_kernarg_segment_ptr 1
		.amdhsa_user_sgpr_dispatch_id 0
		.amdhsa_user_sgpr_private_segment_size 0
		.amdhsa_wavefront_size32 1
		.amdhsa_uses_dynamic_stack 0
		.amdhsa_enable_private_segment 0
		.amdhsa_system_sgpr_workgroup_id_x 1
		.amdhsa_system_sgpr_workgroup_id_y 1
		.amdhsa_system_sgpr_workgroup_id_z 1
		.amdhsa_system_sgpr_workgroup_info 0
		.amdhsa_system_vgpr_workitem_id 1
		.amdhsa_next_free_vgpr 31
		.amdhsa_next_free_sgpr 27
		.amdhsa_reserve_vcc 1
		.amdhsa_float_round_mode_32 0
		.amdhsa_float_round_mode_16_64 0
		.amdhsa_float_denorm_mode_32 3
		.amdhsa_float_denorm_mode_16_64 3
		.amdhsa_dx10_clamp 1
		.amdhsa_ieee_mode 1
		.amdhsa_fp16_overflow 0
		.amdhsa_workgroup_processor_mode 1
		.amdhsa_memory_ordered 1
		.amdhsa_forward_progress 0
		.amdhsa_shared_vgpr_count 0
		.amdhsa_exception_fp_ieee_invalid_op 0
		.amdhsa_exception_fp_denorm_src 0
		.amdhsa_exception_fp_ieee_div_zero 0
		.amdhsa_exception_fp_ieee_overflow 0
		.amdhsa_exception_fp_ieee_underflow 0
		.amdhsa_exception_fp_ieee_inexact 0
		.amdhsa_exception_int_div_zero 0
	.end_amdhsa_kernel
	.section	.text._ZL26rocblas_syr2k_her2k_kernelIiLb0ELb0ELb0ELi32EPKdPKS1_PKPdEvbiT_T4_T5_S7_lS9_S7_lT6_S7_li,"axG",@progbits,_ZL26rocblas_syr2k_her2k_kernelIiLb0ELb0ELb0ELi32EPKdPKS1_PKPdEvbiT_T4_T5_S7_lS9_S7_lT6_S7_li,comdat
.Lfunc_end614:
	.size	_ZL26rocblas_syr2k_her2k_kernelIiLb0ELb0ELb0ELi32EPKdPKS1_PKPdEvbiT_T4_T5_S7_lS9_S7_lT6_S7_li, .Lfunc_end614-_ZL26rocblas_syr2k_her2k_kernelIiLb0ELb0ELb0ELi32EPKdPKS1_PKPdEvbiT_T4_T5_S7_lS9_S7_lT6_S7_li
                                        ; -- End function
	.section	.AMDGPU.csdata,"",@progbits
; Kernel info:
; codeLenInByte = 1404
; NumSgprs: 29
; NumVgprs: 31
; ScratchSize: 0
; MemoryBound: 0
; FloatMode: 240
; IeeeMode: 1
; LDSByteSize: 16384 bytes/workgroup (compile time only)
; SGPRBlocks: 3
; VGPRBlocks: 3
; NumSGPRsForWavesPerEU: 29
; NumVGPRsForWavesPerEU: 31
; Occupancy: 16
; WaveLimiterHint : 1
; COMPUTE_PGM_RSRC2:SCRATCH_EN: 0
; COMPUTE_PGM_RSRC2:USER_SGPR: 13
; COMPUTE_PGM_RSRC2:TRAP_HANDLER: 0
; COMPUTE_PGM_RSRC2:TGID_X_EN: 1
; COMPUTE_PGM_RSRC2:TGID_Y_EN: 1
; COMPUTE_PGM_RSRC2:TGID_Z_EN: 1
; COMPUTE_PGM_RSRC2:TIDIG_COMP_CNT: 1
	.section	.text._ZL26rocblas_syr2k_her2k_kernelIiLb0ELb0ELb1ELi32EPKdPKS1_PKPdEvbiT_T4_T5_S7_lS9_S7_lT6_S7_li,"axG",@progbits,_ZL26rocblas_syr2k_her2k_kernelIiLb0ELb0ELb1ELi32EPKdPKS1_PKPdEvbiT_T4_T5_S7_lS9_S7_lT6_S7_li,comdat
	.globl	_ZL26rocblas_syr2k_her2k_kernelIiLb0ELb0ELb1ELi32EPKdPKS1_PKPdEvbiT_T4_T5_S7_lS9_S7_lT6_S7_li ; -- Begin function _ZL26rocblas_syr2k_her2k_kernelIiLb0ELb0ELb1ELi32EPKdPKS1_PKPdEvbiT_T4_T5_S7_lS9_S7_lT6_S7_li
	.p2align	8
	.type	_ZL26rocblas_syr2k_her2k_kernelIiLb0ELb0ELb1ELi32EPKdPKS1_PKPdEvbiT_T4_T5_S7_lS9_S7_lT6_S7_li,@function
_ZL26rocblas_syr2k_her2k_kernelIiLb0ELb0ELb1ELi32EPKdPKS1_PKPdEvbiT_T4_T5_S7_lS9_S7_lT6_S7_li: ; @_ZL26rocblas_syr2k_her2k_kernelIiLb0ELb0ELb1ELi32EPKdPKS1_PKPdEvbiT_T4_T5_S7_lS9_S7_lT6_S7_li
; %bb.0:
	s_load_b128 s[16:19], s[0:1], 0x10
	s_waitcnt lgkmcnt(0)
	s_load_b64 s[16:17], s[16:17], 0x0
	s_waitcnt lgkmcnt(0)
	v_cmp_eq_f64_e64 s3, s[16:17], 0
	s_delay_alu instid0(VALU_DEP_1)
	s_and_b32 vcc_lo, exec_lo, s3
	s_cbranch_vccnz .LBB615_11
; %bb.1:
	s_load_b128 s[4:7], s[0:1], 0x0
	s_waitcnt lgkmcnt(0)
	s_lshl_b32 s7, s14, 5
	s_and_b32 s3, 1, s4
	s_lshl_b32 s4, s13, 5
	s_cmp_eq_u32 s3, 1
	s_cselect_b32 vcc_lo, -1, 0
	s_delay_alu instid0(SALU_CYCLE_1) | instskip(SKIP_2) | instid1(SALU_CYCLE_1)
	s_and_b32 s3, vcc_lo, exec_lo
	s_cselect_b32 s3, s4, s7
	s_cselect_b32 s8, s7, s4
	s_cmp_gt_i32 s3, s8
	s_cbranch_scc1 .LBB615_11
; %bb.2:
	s_cmp_lt_i32 s6, 1
	s_cbranch_scc1 .LBB615_11
; %bb.3:
	s_mov_b32 s2, s15
	s_clause 0x4
	s_load_b128 s[12:15], s[0:1], 0x28
	s_load_b32 s22, s[0:1], 0x20
	s_load_b32 s23, s[0:1], 0x38
	s_load_b128 s[8:11], s[0:1], 0x40
	s_load_b32 s24, s[0:1], 0x50
	s_mov_b32 s3, 0
	v_and_b32_e32 v7, 0x3ff, v0
	s_lshl_b64 s[20:21], s[2:3], 3
	s_load_b64 s[0:1], s[0:1], 0x58
	s_add_u32 s18, s18, s20
	s_addc_u32 s19, s19, s21
	v_bfe_u32 v8, v0, 10, 10
	s_load_b64 s[18:19], s[18:19], 0x0
	v_add_nc_u32_e32 v0, s4, v7
	s_delay_alu instid0(VALU_DEP_2) | instskip(SKIP_1) | instid1(VALU_DEP_3)
	v_add_nc_u32_e32 v6, s7, v8
	v_lshlrev_b32_e32 v13, 3, v8
	v_ashrrev_i32_e32 v1, 31, v0
	v_lshlrev_b32_e32 v9, 8, v7
	s_waitcnt lgkmcnt(0)
	s_add_u32 s14, s14, s20
	v_cndmask_b32_e32 v18, v6, v0, vcc_lo
	s_addc_u32 s15, s15, s21
	s_add_u32 s10, s10, s20
	s_load_b64 s[14:15], s[14:15], 0x0
	s_addc_u32 s11, s11, s21
	v_mad_i64_i32 v[2:3], null, s22, v0, 0
	s_load_b64 s[10:11], s[10:11], 0x0
	v_mad_i64_i32 v[4:5], null, s23, v6, 0
	s_lshl_b64 s[12:13], s[12:13], 3
	v_mad_i64_i32 v[14:15], null, s24, v6, 0
	s_delay_alu instid0(VALU_DEP_3) | instskip(SKIP_3) | instid1(VALU_DEP_3)
	v_lshlrev_b64 v[2:3], 3, v[2:3]
	s_add_u32 s2, s18, s12
	s_addc_u32 s4, s19, s13
	s_lshl_b64 s[8:9], s[8:9], 3
	v_lshlrev_b64 v[4:5], 3, v[4:5]
	v_dual_cndmask_b32 v17, v0, v6 :: v_dual_add_nc_u32 v12, v9, v13
	v_cmp_gt_i32_e32 vcc_lo, s5, v0
	v_lshlrev_b64 v[0:1], 3, v[0:1]
	v_or_b32_e32 v13, 0x2000, v13
	s_waitcnt lgkmcnt(0)
	s_add_u32 s7, s14, s8
	s_addc_u32 s12, s15, s9
	s_lshl_b64 s[8:9], s[0:1], 3
	v_add_co_u32 v10, s0, s2, v2
	s_delay_alu instid0(VALU_DEP_1)
	v_add_co_ci_u32_e64 v11, s0, s4, v3, s0
	v_lshlrev_b64 v[2:3], 3, v[14:15]
	v_add_co_u32 v14, s1, s7, v4
	s_add_u32 s2, s10, s8
	v_add_co_ci_u32_e64 v15, s1, s12, v5, s1
	s_addc_u32 s4, s11, s9
	s_delay_alu instid0(VALU_DEP_3) | instskip(NEXT) | instid1(VALU_DEP_1)
	v_add_co_u32 v2, s1, s2, v2
	v_add_co_ci_u32_e64 v3, s1, s4, v3, s1
	v_cmp_gt_i32_e64 s0, s5, v6
	v_cmp_le_i32_e64 s1, v18, v17
	s_delay_alu instid0(VALU_DEP_4)
	v_add_co_u32 v0, s2, v2, v0
	v_add_nc_u32_e32 v16, v13, v9
	v_add_co_ci_u32_e64 v1, s2, v3, v1, s2
	v_add_nc_u32_e32 v17, 0x800, v13
	v_add_nc_u32_e32 v18, 0x1000, v13
	;; [unrolled: 1-line block ×3, first 2 shown]
	s_and_b32 s2, s0, vcc_lo
	s_delay_alu instid0(SALU_CYCLE_1)
	s_and_b32 s2, s2, s1
	s_branch .LBB615_5
.LBB615_4:                              ;   in Loop: Header=BB615_5 Depth=1
	s_or_b32 exec_lo, exec_lo, s1
	s_add_i32 s3, s3, 32
	s_waitcnt_vscnt null, 0x0
	s_cmp_lt_i32 s3, s6
	s_barrier
	buffer_gl0_inv
	s_cbranch_scc0 .LBB615_11
.LBB615_5:                              ; =>This Inner Loop Header: Depth=1
	v_add_nc_u32_e32 v4, s3, v8
	v_mov_b32_e32 v2, 0
	v_mov_b32_e32 v3, 0
	s_delay_alu instid0(VALU_DEP_3) | instskip(NEXT) | instid1(VALU_DEP_2)
	v_cmp_gt_i32_e64 s1, s6, v4
	v_dual_mov_b32 v6, v3 :: v_dual_mov_b32 v5, v2
	s_delay_alu instid0(VALU_DEP_2) | instskip(NEXT) | instid1(SALU_CYCLE_1)
	s_and_b32 s1, vcc_lo, s1
	s_and_saveexec_b32 s4, s1
	s_cbranch_execz .LBB615_7
; %bb.6:                                ;   in Loop: Header=BB615_5 Depth=1
	v_ashrrev_i32_e32 v5, 31, v4
	s_delay_alu instid0(VALU_DEP_1) | instskip(NEXT) | instid1(VALU_DEP_1)
	v_lshlrev_b64 v[4:5], 3, v[4:5]
	v_add_co_u32 v4, s1, v10, v4
	s_delay_alu instid0(VALU_DEP_1)
	v_add_co_ci_u32_e64 v5, s1, v11, v5, s1
	global_load_b64 v[5:6], v[4:5], off
.LBB615_7:                              ;   in Loop: Header=BB615_5 Depth=1
	s_or_b32 exec_lo, exec_lo, s4
	v_add_nc_u32_e32 v4, s3, v7
	s_waitcnt vmcnt(0)
	ds_store_b64 v12, v[5:6]
	v_cmp_gt_i32_e64 s1, s6, v4
	s_delay_alu instid0(VALU_DEP_1) | instskip(NEXT) | instid1(SALU_CYCLE_1)
	s_and_b32 s1, s0, s1
	s_and_saveexec_b32 s4, s1
	s_cbranch_execz .LBB615_9
; %bb.8:                                ;   in Loop: Header=BB615_5 Depth=1
	v_ashrrev_i32_e32 v5, 31, v4
	s_delay_alu instid0(VALU_DEP_1) | instskip(NEXT) | instid1(VALU_DEP_1)
	v_lshlrev_b64 v[2:3], 3, v[4:5]
	v_add_co_u32 v2, s1, v14, v2
	s_delay_alu instid0(VALU_DEP_1)
	v_add_co_ci_u32_e64 v3, s1, v15, v3, s1
	global_load_b64 v[2:3], v[2:3], off
.LBB615_9:                              ;   in Loop: Header=BB615_5 Depth=1
	s_or_b32 exec_lo, exec_lo, s4
	s_waitcnt vmcnt(0)
	ds_store_b64 v16, v[2:3]
	s_waitcnt lgkmcnt(0)
	s_barrier
	buffer_gl0_inv
	s_and_saveexec_b32 s1, s2
	s_cbranch_execz .LBB615_4
; %bb.10:                               ;   in Loop: Header=BB615_5 Depth=1
	ds_load_2addr_b64 v[2:5], v13 offset1:32
	ds_load_b128 v[20:23], v9
	ds_load_b128 v[24:27], v9 offset:16
	s_waitcnt lgkmcnt(1)
	v_fma_f64 v[2:3], v[20:21], v[2:3], 0
	s_delay_alu instid0(VALU_DEP_1) | instskip(SKIP_3) | instid1(VALU_DEP_1)
	v_fma_f64 v[20:21], v[22:23], v[4:5], v[2:3]
	ds_load_2addr_b64 v[2:5], v13 offset0:64 offset1:96
	s_waitcnt lgkmcnt(0)
	v_fma_f64 v[2:3], v[24:25], v[2:3], v[20:21]
	v_fma_f64 v[28:29], v[26:27], v[4:5], v[2:3]
	ds_load_2addr_b64 v[2:5], v13 offset0:128 offset1:160
	ds_load_b128 v[20:23], v9 offset:32
	ds_load_b128 v[24:27], v9 offset:48
	s_waitcnt lgkmcnt(1)
	v_fma_f64 v[2:3], v[20:21], v[2:3], v[28:29]
	s_delay_alu instid0(VALU_DEP_1) | instskip(SKIP_3) | instid1(VALU_DEP_1)
	v_fma_f64 v[20:21], v[22:23], v[4:5], v[2:3]
	ds_load_2addr_b64 v[2:5], v13 offset0:192 offset1:224
	s_waitcnt lgkmcnt(0)
	v_fma_f64 v[2:3], v[24:25], v[2:3], v[20:21]
	v_fma_f64 v[28:29], v[26:27], v[4:5], v[2:3]
	ds_load_2addr_b64 v[2:5], v17 offset1:32
	ds_load_b128 v[20:23], v9 offset:64
	ds_load_b128 v[24:27], v9 offset:80
	s_waitcnt lgkmcnt(1)
	v_fma_f64 v[2:3], v[20:21], v[2:3], v[28:29]
	s_delay_alu instid0(VALU_DEP_1) | instskip(SKIP_3) | instid1(VALU_DEP_1)
	v_fma_f64 v[20:21], v[22:23], v[4:5], v[2:3]
	ds_load_2addr_b64 v[2:5], v17 offset0:64 offset1:96
	s_waitcnt lgkmcnt(0)
	v_fma_f64 v[2:3], v[24:25], v[2:3], v[20:21]
	v_fma_f64 v[28:29], v[26:27], v[4:5], v[2:3]
	ds_load_2addr_b64 v[2:5], v17 offset0:128 offset1:160
	ds_load_b128 v[20:23], v9 offset:96
	ds_load_b128 v[24:27], v9 offset:112
	s_waitcnt lgkmcnt(1)
	v_fma_f64 v[2:3], v[20:21], v[2:3], v[28:29]
	s_delay_alu instid0(VALU_DEP_1) | instskip(SKIP_3) | instid1(VALU_DEP_1)
	v_fma_f64 v[20:21], v[22:23], v[4:5], v[2:3]
	ds_load_2addr_b64 v[2:5], v17 offset0:192 offset1:224
	s_waitcnt lgkmcnt(0)
	v_fma_f64 v[2:3], v[24:25], v[2:3], v[20:21]
	v_fma_f64 v[28:29], v[26:27], v[4:5], v[2:3]
	ds_load_2addr_b64 v[2:5], v18 offset1:32
	ds_load_b128 v[20:23], v9 offset:128
	;; [unrolled: 22-line block ×3, first 2 shown]
	global_load_b64 v[30:31], v[0:1], off
	ds_load_b128 v[24:27], v9 offset:208
	s_waitcnt lgkmcnt(1)
	v_fma_f64 v[2:3], v[20:21], v[2:3], v[28:29]
	s_delay_alu instid0(VALU_DEP_1) | instskip(SKIP_3) | instid1(VALU_DEP_1)
	v_fma_f64 v[20:21], v[22:23], v[4:5], v[2:3]
	ds_load_2addr_b64 v[2:5], v19 offset0:64 offset1:96
	s_waitcnt lgkmcnt(0)
	v_fma_f64 v[2:3], v[24:25], v[2:3], v[20:21]
	v_fma_f64 v[28:29], v[26:27], v[4:5], v[2:3]
	ds_load_2addr_b64 v[2:5], v19 offset0:128 offset1:160
	ds_load_b128 v[20:23], v9 offset:224
	ds_load_b128 v[24:27], v9 offset:240
	s_waitcnt lgkmcnt(1)
	v_fma_f64 v[2:3], v[20:21], v[2:3], v[28:29]
	s_delay_alu instid0(VALU_DEP_1) | instskip(SKIP_3) | instid1(VALU_DEP_1)
	v_fma_f64 v[20:21], v[22:23], v[4:5], v[2:3]
	ds_load_2addr_b64 v[2:5], v19 offset0:192 offset1:224
	s_waitcnt lgkmcnt(0)
	v_fma_f64 v[2:3], v[24:25], v[2:3], v[20:21]
	v_fma_f64 v[2:3], v[26:27], v[4:5], v[2:3]
	s_waitcnt vmcnt(0)
	s_delay_alu instid0(VALU_DEP_1)
	v_fma_f64 v[2:3], s[16:17], v[2:3], v[30:31]
	global_store_b64 v[0:1], v[2:3], off
	s_branch .LBB615_4
.LBB615_11:
	s_endpgm
	.section	.rodata,"a",@progbits
	.p2align	6, 0x0
	.amdhsa_kernel _ZL26rocblas_syr2k_her2k_kernelIiLb0ELb0ELb1ELi32EPKdPKS1_PKPdEvbiT_T4_T5_S7_lS9_S7_lT6_S7_li
		.amdhsa_group_segment_fixed_size 16384
		.amdhsa_private_segment_fixed_size 0
		.amdhsa_kernarg_size 100
		.amdhsa_user_sgpr_count 13
		.amdhsa_user_sgpr_dispatch_ptr 0
		.amdhsa_user_sgpr_queue_ptr 0
		.amdhsa_user_sgpr_kernarg_segment_ptr 1
		.amdhsa_user_sgpr_dispatch_id 0
		.amdhsa_user_sgpr_private_segment_size 0
		.amdhsa_wavefront_size32 1
		.amdhsa_uses_dynamic_stack 0
		.amdhsa_enable_private_segment 0
		.amdhsa_system_sgpr_workgroup_id_x 1
		.amdhsa_system_sgpr_workgroup_id_y 1
		.amdhsa_system_sgpr_workgroup_id_z 1
		.amdhsa_system_sgpr_workgroup_info 0
		.amdhsa_system_vgpr_workitem_id 1
		.amdhsa_next_free_vgpr 32
		.amdhsa_next_free_sgpr 25
		.amdhsa_reserve_vcc 1
		.amdhsa_float_round_mode_32 0
		.amdhsa_float_round_mode_16_64 0
		.amdhsa_float_denorm_mode_32 3
		.amdhsa_float_denorm_mode_16_64 3
		.amdhsa_dx10_clamp 1
		.amdhsa_ieee_mode 1
		.amdhsa_fp16_overflow 0
		.amdhsa_workgroup_processor_mode 1
		.amdhsa_memory_ordered 1
		.amdhsa_forward_progress 0
		.amdhsa_shared_vgpr_count 0
		.amdhsa_exception_fp_ieee_invalid_op 0
		.amdhsa_exception_fp_denorm_src 0
		.amdhsa_exception_fp_ieee_div_zero 0
		.amdhsa_exception_fp_ieee_overflow 0
		.amdhsa_exception_fp_ieee_underflow 0
		.amdhsa_exception_fp_ieee_inexact 0
		.amdhsa_exception_int_div_zero 0
	.end_amdhsa_kernel
	.section	.text._ZL26rocblas_syr2k_her2k_kernelIiLb0ELb0ELb1ELi32EPKdPKS1_PKPdEvbiT_T4_T5_S7_lS9_S7_lT6_S7_li,"axG",@progbits,_ZL26rocblas_syr2k_her2k_kernelIiLb0ELb0ELb1ELi32EPKdPKS1_PKPdEvbiT_T4_T5_S7_lS9_S7_lT6_S7_li,comdat
.Lfunc_end615:
	.size	_ZL26rocblas_syr2k_her2k_kernelIiLb0ELb0ELb1ELi32EPKdPKS1_PKPdEvbiT_T4_T5_S7_lS9_S7_lT6_S7_li, .Lfunc_end615-_ZL26rocblas_syr2k_her2k_kernelIiLb0ELb0ELb1ELi32EPKdPKS1_PKPdEvbiT_T4_T5_S7_lS9_S7_lT6_S7_li
                                        ; -- End function
	.section	.AMDGPU.csdata,"",@progbits
; Kernel info:
; codeLenInByte = 1424
; NumSgprs: 27
; NumVgprs: 32
; ScratchSize: 0
; MemoryBound: 0
; FloatMode: 240
; IeeeMode: 1
; LDSByteSize: 16384 bytes/workgroup (compile time only)
; SGPRBlocks: 3
; VGPRBlocks: 3
; NumSGPRsForWavesPerEU: 27
; NumVGPRsForWavesPerEU: 32
; Occupancy: 16
; WaveLimiterHint : 1
; COMPUTE_PGM_RSRC2:SCRATCH_EN: 0
; COMPUTE_PGM_RSRC2:USER_SGPR: 13
; COMPUTE_PGM_RSRC2:TRAP_HANDLER: 0
; COMPUTE_PGM_RSRC2:TGID_X_EN: 1
; COMPUTE_PGM_RSRC2:TGID_Y_EN: 1
; COMPUTE_PGM_RSRC2:TGID_Z_EN: 1
; COMPUTE_PGM_RSRC2:TIDIG_COMP_CNT: 1
	.section	.text._ZL26rocblas_syr2k_her2k_kernelIiLb0ELb0ELb0ELi32E19rocblas_complex_numIfEPKPKS1_PKPS1_EvbiT_T4_T5_S9_lSB_S9_lT6_S9_li,"axG",@progbits,_ZL26rocblas_syr2k_her2k_kernelIiLb0ELb0ELb0ELi32E19rocblas_complex_numIfEPKPKS1_PKPS1_EvbiT_T4_T5_S9_lSB_S9_lT6_S9_li,comdat
	.globl	_ZL26rocblas_syr2k_her2k_kernelIiLb0ELb0ELb0ELi32E19rocblas_complex_numIfEPKPKS1_PKPS1_EvbiT_T4_T5_S9_lSB_S9_lT6_S9_li ; -- Begin function _ZL26rocblas_syr2k_her2k_kernelIiLb0ELb0ELb0ELi32E19rocblas_complex_numIfEPKPKS1_PKPS1_EvbiT_T4_T5_S9_lSB_S9_lT6_S9_li
	.p2align	8
	.type	_ZL26rocblas_syr2k_her2k_kernelIiLb0ELb0ELb0ELi32E19rocblas_complex_numIfEPKPKS1_PKPS1_EvbiT_T4_T5_S9_lSB_S9_lT6_S9_li,@function
_ZL26rocblas_syr2k_her2k_kernelIiLb0ELb0ELb0ELi32E19rocblas_complex_numIfEPKPKS1_PKPS1_EvbiT_T4_T5_S9_lSB_S9_lT6_S9_li: ; @_ZL26rocblas_syr2k_her2k_kernelIiLb0ELb0ELb0ELi32E19rocblas_complex_numIfEPKPKS1_PKPS1_EvbiT_T4_T5_S9_lSB_S9_lT6_S9_li
; %bb.0:
	s_clause 0x1
	s_load_b128 s[4:7], s[0:1], 0x0
	s_load_b32 s16, s[0:1], 0x10
	s_waitcnt lgkmcnt(0)
	v_cmp_eq_f32_e64 s3, s7, 0
	v_cmp_eq_f32_e64 s8, s16, 0
	s_delay_alu instid0(VALU_DEP_1) | instskip(NEXT) | instid1(SALU_CYCLE_1)
	s_and_b32 s3, s3, s8
	s_and_b32 vcc_lo, exec_lo, s3
	s_cbranch_vccnz .LBB616_11
; %bb.1:
	s_and_b32 s3, 1, s4
	s_lshl_b32 s18, s14, 5
	s_lshl_b32 s19, s13, 5
	s_cmp_eq_u32 s3, 1
	s_cselect_b32 vcc_lo, -1, 0
	s_delay_alu instid0(SALU_CYCLE_1) | instskip(SKIP_2) | instid1(SALU_CYCLE_1)
	s_and_b32 s3, vcc_lo, exec_lo
	s_cselect_b32 s3, s19, s18
	s_cselect_b32 s4, s18, s19
	s_cmp_gt_i32 s3, s4
	s_cbranch_scc1 .LBB616_11
; %bb.2:
	s_cmp_lt_i32 s6, 1
	s_cbranch_scc1 .LBB616_11
; %bb.3:
	s_mov_b32 s2, s15
	s_clause 0x5
	s_load_b64 s[20:21], s[0:1], 0x18
	s_load_b128 s[12:15], s[0:1], 0x28
	s_load_b32 s4, s[0:1], 0x20
	s_load_b32 s17, s[0:1], 0x38
	s_load_b128 s[8:11], s[0:1], 0x40
	s_load_b32 s24, s[0:1], 0x50
	v_bfe_u32 v6, v0, 10, 10
	v_and_b32_e32 v7, 0x3ff, v0
	s_mov_b32 s3, 0
	s_load_b64 s[22:23], s[0:1], 0x58
	s_lshl_b64 s[0:1], s[2:3], 3
	v_add_nc_u32_e32 v0, s18, v6
	v_add_nc_u32_e32 v2, s19, v7
	v_lshlrev_b32_e32 v10, 3, v6
	v_lshlrev_b32_e32 v8, 8, v7
	s_delay_alu instid0(VALU_DEP_4) | instskip(NEXT) | instid1(VALU_DEP_4)
	v_ashrrev_i32_e32 v1, 31, v0
	v_cndmask_b32_e32 v17, v0, v2, vcc_lo
	v_ashrrev_i32_e32 v3, 31, v2
	s_delay_alu instid0(VALU_DEP_4)
	v_dual_cndmask_b32 v16, v2, v0 :: v_dual_add_nc_u32 v9, v8, v10
	s_waitcnt lgkmcnt(0)
	s_add_u32 s18, s20, s0
	s_addc_u32 s19, s21, s1
	s_add_u32 s14, s14, s0
	s_load_b64 s[18:19], s[18:19], 0x0
	s_addc_u32 s15, s15, s1
	s_add_u32 s0, s10, s0
	s_load_b64 s[14:15], s[14:15], 0x0
	s_addc_u32 s1, s11, s1
	v_mad_i64_i32 v[4:5], null, s24, v0, 0
	s_load_b64 s[10:11], s[0:1], 0x0
	v_cmp_gt_i32_e32 vcc_lo, s5, v2
	v_lshlrev_b64 v[2:3], 3, v[2:3]
	s_lshl_b64 s[12:13], s[12:13], 3
	v_cmp_gt_i32_e64 s0, s5, v0
	v_lshlrev_b64 v[0:1], 3, v[0:1]
	v_lshlrev_b64 v[4:5], 3, v[4:5]
	v_or_b32_e32 v10, 0x2000, v10
	s_delay_alu instid0(VALU_DEP_1)
	v_add_nc_u32_e32 v15, v10, v8
	s_waitcnt lgkmcnt(0)
	s_add_u32 s1, s18, s12
	s_addc_u32 s2, s19, s13
	s_lshl_b64 s[8:9], s[8:9], 3
	v_add_co_u32 v11, s1, s1, v2
	s_add_u32 s5, s14, s8
	s_addc_u32 s12, s15, s9
	s_lshl_b64 s[8:9], s[22:23], 3
	v_add_co_ci_u32_e64 v12, s1, s2, v3, s1
	v_add_co_u32 v13, s1, s5, v0
	s_add_u32 s2, s10, s8
	v_add_co_ci_u32_e64 v14, s1, s12, v1, s1
	s_addc_u32 s8, s11, s9
	v_add_co_u32 v0, s1, s2, v4
	s_delay_alu instid0(VALU_DEP_1) | instskip(SKIP_1) | instid1(VALU_DEP_3)
	v_add_co_ci_u32_e64 v1, s1, s8, v5, s1
	v_cmp_le_i32_e64 s1, v17, v16
	v_add_co_u32 v0, s2, v0, v2
	s_delay_alu instid0(VALU_DEP_1) | instskip(SKIP_4) | instid1(SALU_CYCLE_1)
	v_add_co_ci_u32_e64 v1, s2, v1, v3, s2
	v_add_nc_u32_e32 v16, 0x800, v10
	v_add_nc_u32_e32 v17, 0x1000, v10
	;; [unrolled: 1-line block ×3, first 2 shown]
	s_and_b32 s2, s0, vcc_lo
	s_and_b32 s2, s2, s1
	s_branch .LBB616_5
.LBB616_4:                              ;   in Loop: Header=BB616_5 Depth=1
	s_or_b32 exec_lo, exec_lo, s1
	s_add_i32 s3, s3, 32
	s_waitcnt_vscnt null, 0x0
	s_cmp_lt_i32 s3, s6
	s_barrier
	buffer_gl0_inv
	s_cbranch_scc0 .LBB616_11
.LBB616_5:                              ; =>This Inner Loop Header: Depth=1
	v_dual_mov_b32 v2, 0 :: v_dual_add_nc_u32 v3, s3, v6
	v_dual_mov_b32 v4, 0 :: v_dual_mov_b32 v5, 0
	s_delay_alu instid0(VALU_DEP_2) | instskip(NEXT) | instid1(VALU_DEP_1)
	v_cmp_gt_i32_e64 s1, s6, v3
	s_and_b32 s1, vcc_lo, s1
	s_delay_alu instid0(SALU_CYCLE_1)
	s_and_saveexec_b32 s5, s1
	s_cbranch_execz .LBB616_7
; %bb.6:                                ;   in Loop: Header=BB616_5 Depth=1
	v_mad_i64_i32 v[4:5], null, v3, s4, 0
	s_delay_alu instid0(VALU_DEP_1) | instskip(NEXT) | instid1(VALU_DEP_1)
	v_lshlrev_b64 v[3:4], 3, v[4:5]
	v_add_co_u32 v3, s1, v11, v3
	s_delay_alu instid0(VALU_DEP_1)
	v_add_co_ci_u32_e64 v4, s1, v12, v4, s1
	global_load_b64 v[4:5], v[3:4], off
.LBB616_7:                              ;   in Loop: Header=BB616_5 Depth=1
	s_or_b32 exec_lo, exec_lo, s5
	v_add_nc_u32_e32 v19, s3, v7
	v_mov_b32_e32 v3, 0
	s_waitcnt vmcnt(0)
	ds_store_b64 v9, v[4:5]
	v_cmp_gt_i32_e64 s1, s6, v19
	s_delay_alu instid0(VALU_DEP_1) | instskip(NEXT) | instid1(SALU_CYCLE_1)
	s_and_b32 s1, s0, s1
	s_and_saveexec_b32 s5, s1
	s_cbranch_execz .LBB616_9
; %bb.8:                                ;   in Loop: Header=BB616_5 Depth=1
	v_mad_i64_i32 v[2:3], null, v19, s17, 0
	s_delay_alu instid0(VALU_DEP_1) | instskip(NEXT) | instid1(VALU_DEP_1)
	v_lshlrev_b64 v[2:3], 3, v[2:3]
	v_add_co_u32 v2, s1, v13, v2
	s_delay_alu instid0(VALU_DEP_1)
	v_add_co_ci_u32_e64 v3, s1, v14, v3, s1
	global_load_b64 v[2:3], v[2:3], off
.LBB616_9:                              ;   in Loop: Header=BB616_5 Depth=1
	s_or_b32 exec_lo, exec_lo, s5
	s_waitcnt vmcnt(0)
	ds_store_b64 v15, v[2:3]
	s_waitcnt lgkmcnt(0)
	s_barrier
	buffer_gl0_inv
	s_and_saveexec_b32 s1, s2
	s_cbranch_execz .LBB616_4
; %bb.10:                               ;   in Loop: Header=BB616_5 Depth=1
	global_load_b64 v[91:92], v[0:1], off
	ds_load_2addr_b64 v[2:5], v10 offset1:32
	ds_load_b128 v[19:22], v8
	ds_load_b128 v[23:26], v8 offset:16
	ds_load_b128 v[27:30], v8 offset:32
	;; [unrolled: 1-line block ×3, first 2 shown]
	ds_load_2addr_b64 v[35:38], v10 offset0:64 offset1:96
	ds_load_2addr_b64 v[39:42], v10 offset0:128 offset1:160
	;; [unrolled: 1-line block ×3, first 2 shown]
	ds_load_2addr_b64 v[47:50], v16 offset1:32
	ds_load_b128 v[51:54], v8 offset:64
	ds_load_b128 v[55:58], v8 offset:80
	ds_load_2addr_b64 v[59:62], v16 offset0:64 offset1:96
	ds_load_2addr_b64 v[63:66], v16 offset0:128 offset1:160
	ds_load_b128 v[67:70], v8 offset:96
	ds_load_b128 v[71:74], v8 offset:112
	ds_load_2addr_b64 v[75:78], v16 offset0:192 offset1:224
	ds_load_2addr_b64 v[79:82], v17 offset1:32
	ds_load_b128 v[83:86], v8 offset:128
	ds_load_b128 v[87:90], v8 offset:144
	s_waitcnt lgkmcnt(17)
	v_mul_f32_e32 v93, v3, v20
	v_dual_mul_f32 v94, v2, v20 :: v_dual_mul_f32 v95, v4, v22
	s_waitcnt lgkmcnt(13)
	v_dual_mul_f32 v20, v5, v22 :: v_dual_mul_f32 v97, v35, v24
	v_mul_f32_e32 v98, v37, v26
	v_fma_f32 v93, v2, v19, -v93
	v_dual_fmac_f32 v94, v3, v19 :: v_dual_fmac_f32 v95, v5, v21
	v_mul_f32_e32 v19, v36, v24
	v_fma_f32 v96, v4, v21, -v20
	v_mul_f32_e32 v20, v38, v26
	s_waitcnt lgkmcnt(12)
	v_mul_f32_e32 v24, v40, v28
	v_dual_mul_f32 v99, v39, v28 :: v_dual_mul_f32 v26, v42, v30
	v_fma_f32 v100, v35, v23, -v19
	v_mul_f32_e32 v102, v41, v30
	v_add_f32_e32 v35, 0, v94
	s_delay_alu instid0(VALU_DEP_4) | instskip(SKIP_1) | instid1(VALU_DEP_3)
	v_fmac_f32_e32 v99, v40, v27
	v_dual_fmac_f32 v97, v36, v23 :: v_dual_fmac_f32 v98, v38, v25
	v_dual_fmac_f32 v102, v42, v29 :: v_dual_add_f32 v35, v35, v95
	v_fma_f32 v103, v41, v29, -v26
	s_waitcnt lgkmcnt(11)
	v_dual_mul_f32 v36, v44, v32 :: v_dual_mul_f32 v95, v45, v34
	v_mul_f32_e32 v94, v43, v32
	v_dual_mul_f32 v32, v46, v34 :: v_dual_add_f32 v41, v35, v97
	v_add_f32_e32 v34, 0, v93
	v_fma_f32 v101, v37, v25, -v20
	s_waitcnt lgkmcnt(9)
	v_mul_f32_e32 v97, v49, v54
	v_fma_f32 v39, v39, v27, -v24
	v_dual_add_f32 v41, v41, v98 :: v_dual_add_f32 v40, v34, v96
	v_mul_f32_e32 v42, v48, v52
	s_delay_alu instid0(VALU_DEP_4) | instskip(SKIP_1) | instid1(VALU_DEP_4)
	v_dual_mul_f32 v96, v47, v52 :: v_dual_fmac_f32 v97, v50, v53
	v_fma_f32 v93, v43, v31, -v36
	v_dual_add_f32 v40, v40, v100 :: v_dual_fmac_f32 v95, v46, v33
	v_dual_fmac_f32 v94, v44, v31 :: v_dual_mul_f32 v43, v50, v54
	s_delay_alu instid0(VALU_DEP_2) | instskip(SKIP_4) | instid1(VALU_DEP_3)
	v_dual_add_f32 v41, v41, v99 :: v_dual_add_f32 v40, v40, v101
	s_waitcnt lgkmcnt(7)
	v_dual_mul_f32 v101, v61, v58 :: v_dual_mul_f32 v98, v59, v56
	v_fma_f32 v99, v47, v51, -v42
	v_dual_mul_f32 v47, v62, v58 :: v_dual_fmac_f32 v96, v48, v51
	v_fmac_f32_e32 v101, v62, v57
	v_add_f32_e32 v51, v40, v39
	v_mul_f32_e32 v52, v60, v56
	v_fma_f32 v100, v49, v53, -v43
	v_add_f32_e32 v53, v41, v102
	v_fma_f32 v104, v45, v33, -v32
	s_waitcnt lgkmcnt(5)
	v_dual_add_f32 v51, v51, v103 :: v_dual_mul_f32 v56, v66, v70
	v_fma_f32 v102, v59, v55, -v52
	v_fmac_f32_e32 v98, v60, v55
	v_fma_f32 v105, v61, v57, -v47
	s_delay_alu instid0(VALU_DEP_4)
	v_add_f32_e32 v57, v51, v93
	v_dual_mul_f32 v55, v64, v68 :: v_dual_add_f32 v52, v53, v94
	v_mul_f32_e32 v68, v63, v68
	v_mul_f32_e32 v70, v65, v70
	ds_load_2addr_b64 v[2:5], v17 offset0:64 offset1:96
	v_fma_f32 v94, v63, v67, -v55
	v_add_f32_e32 v93, v52, v95
	v_dual_fmac_f32 v68, v64, v67 :: v_dual_add_f32 v63, v57, v104
	v_fma_f32 v67, v65, v69, -v56
	s_waitcnt lgkmcnt(4)
	v_dual_mul_f32 v65, v76, v72 :: v_dual_fmac_f32 v70, v66, v69
	v_mul_f32_e32 v69, v75, v72
	v_dual_add_f32 v64, v93, v96 :: v_dual_add_f32 v63, v63, v99
	ds_load_2addr_b64 v[19:22], v17 offset0:128 offset1:160
	ds_load_b128 v[23:26], v8 offset:160
	ds_load_b128 v[27:30], v8 offset:176
	ds_load_2addr_b64 v[31:34], v17 offset0:192 offset1:224
	v_dual_mul_f32 v66, v78, v74 :: v_dual_fmac_f32 v69, v76, v71
	v_add_f32_e32 v76, v63, v100
	v_fma_f32 v75, v75, v71, -v65
	ds_load_2addr_b64 v[35:38], v18 offset1:32
	v_fma_f32 v71, v77, v73, -v66
	ds_load_b128 v[39:42], v8 offset:192
	ds_load_b128 v[43:46], v8 offset:208
	v_add_f32_e32 v76, v76, v102
	ds_load_2addr_b64 v[47:50], v18 offset0:64 offset1:96
	v_mul_f32_e32 v74, v77, v74
	s_waitcnt lgkmcnt(10)
	v_dual_add_f32 v72, v64, v97 :: v_dual_mul_f32 v77, v79, v84
	v_add_f32_e32 v76, v76, v105
	ds_load_2addr_b64 v[51:54], v18 offset0:128 offset1:160
	v_dual_fmac_f32 v74, v78, v73 :: v_dual_mul_f32 v73, v80, v84
	v_mul_f32_e32 v84, v81, v86
	v_add_f32_e32 v76, v76, v94
	v_mul_f32_e32 v78, v82, v86
	s_waitcnt lgkmcnt(9)
	v_dual_mul_f32 v86, v3, v88 :: v_dual_fmac_f32 v77, v80, v83
	v_fma_f32 v73, v79, v83, -v73
	v_add_f32_e32 v67, v76, v67
	v_add_f32_e32 v72, v72, v98
	s_waitcnt lgkmcnt(7)
	v_mul_f32_e32 v93, v20, v24
	v_mul_f32_e32 v24, v19, v24
	ds_load_b128 v[55:58], v8 offset:224
	ds_load_b128 v[59:62], v8 offset:240
	v_add_f32_e32 v67, v67, v75
	ds_load_2addr_b64 v[63:66], v18 offset0:192 offset1:224
	s_waitcnt lgkmcnt(8)
	v_dual_mul_f32 v75, v34, v30 :: v_dual_fmac_f32 v24, v20, v23
	v_fma_f32 v19, v19, v23, -v93
	v_dual_add_f32 v67, v67, v71 :: v_dual_mul_f32 v88, v2, v88
	s_waitcnt lgkmcnt(6)
	v_mul_f32_e32 v71, v36, v40
	v_mul_f32_e32 v40, v35, v40
	v_fma_f32 v2, v2, v87, -v86
	v_add_f32_e32 v67, v67, v73
	v_add_f32_e32 v72, v72, v101
	v_fmac_f32_e32 v88, v3, v87
	v_fmac_f32_e32 v40, v36, v39
	v_fma_f32 v23, v35, v39, -v71
	s_delay_alu instid0(VALU_DEP_4) | instskip(SKIP_2) | instid1(VALU_DEP_3)
	v_add_f32_e32 v68, v72, v68
	v_mul_f32_e32 v72, v5, v90
	v_mul_f32_e32 v90, v4, v90
	v_add_f32_e32 v68, v68, v70
	s_delay_alu instid0(VALU_DEP_3) | instskip(SKIP_1) | instid1(VALU_DEP_3)
	v_fma_f32 v4, v4, v89, -v72
	s_waitcnt lgkmcnt(4)
	v_dual_fmac_f32 v90, v5, v89 :: v_dual_mul_f32 v5, v47, v44
	v_mul_f32_e32 v30, v33, v30
	v_add_f32_e32 v68, v68, v69
	v_mul_f32_e32 v69, v32, v28
	s_delay_alu instid0(VALU_DEP_4) | instskip(SKIP_1) | instid1(VALU_DEP_4)
	v_dual_mul_f32 v28, v31, v28 :: v_dual_fmac_f32 v5, v48, v43
	v_mul_f32_e32 v76, v38, v42
	v_add_f32_e32 v68, v68, v74
	v_fma_f32 v74, v81, v85, -v78
	v_mul_f32_e32 v42, v37, v42
	v_fmac_f32_e32 v30, v34, v29
	s_delay_alu instid0(VALU_DEP_3) | instskip(NEXT) | instid1(VALU_DEP_3)
	v_dual_fmac_f32 v84, v82, v85 :: v_dual_add_f32 v67, v67, v74
	v_fmac_f32_e32 v42, v38, v41
	v_add_f32_e32 v68, v68, v77
	v_mul_f32_e32 v70, v22, v26
	v_mul_f32_e32 v26, v21, v26
	s_delay_alu instid0(VALU_DEP_3) | instskip(NEXT) | instid1(VALU_DEP_3)
	v_dual_add_f32 v2, v67, v2 :: v_dual_add_f32 v3, v68, v84
	v_fma_f32 v20, v21, v25, -v70
	v_fma_f32 v21, v31, v27, -v69
	s_delay_alu instid0(VALU_DEP_3) | instskip(NEXT) | instid1(VALU_DEP_1)
	v_add_f32_e32 v2, v2, v4
	v_dual_add_f32 v2, v2, v19 :: v_dual_mul_f32 v19, v49, v46
	s_delay_alu instid0(VALU_DEP_1) | instskip(SKIP_1) | instid1(VALU_DEP_2)
	v_add_f32_e32 v2, v2, v20
	s_waitcnt lgkmcnt(2)
	v_dual_fmac_f32 v19, v50, v45 :: v_dual_mul_f32 v20, v52, v56
	s_delay_alu instid0(VALU_DEP_2) | instskip(SKIP_2) | instid1(VALU_DEP_4)
	v_dual_add_f32 v2, v2, v21 :: v_dual_mul_f32 v21, v51, v56
	v_fmac_f32_e32 v26, v22, v25
	v_fma_f32 v22, v33, v29, -v75
	v_fma_f32 v20, v51, v55, -v20
	s_delay_alu instid0(VALU_DEP_2) | instskip(SKIP_1) | instid1(VALU_DEP_2)
	v_dual_fmac_f32 v21, v52, v55 :: v_dual_add_f32 v2, v2, v22
	v_mul_f32_e32 v22, v54, v58
	v_dual_add_f32 v2, v2, v23 :: v_dual_mul_f32 v23, v53, v58
	s_delay_alu instid0(VALU_DEP_1) | instskip(SKIP_1) | instid1(VALU_DEP_1)
	v_dual_fmac_f32 v28, v32, v27 :: v_dual_fmac_f32 v23, v54, v57
	v_add_f32_e32 v3, v3, v88
	v_add_f32_e32 v3, v3, v90
	s_delay_alu instid0(VALU_DEP_1) | instskip(NEXT) | instid1(VALU_DEP_1)
	v_add_f32_e32 v3, v3, v24
	v_add_f32_e32 v3, v3, v26
	s_delay_alu instid0(VALU_DEP_1) | instskip(NEXT) | instid1(VALU_DEP_1)
	;; [unrolled: 3-line block ×3, first 2 shown]
	v_add_f32_e32 v3, v3, v40
	v_add_f32_e32 v3, v3, v42
	s_delay_alu instid0(VALU_DEP_1) | instskip(SKIP_3) | instid1(VALU_DEP_3)
	v_dual_add_f32 v3, v3, v5 :: v_dual_mul_f32 v68, v48, v44
	v_fma_f32 v24, v37, v41, -v76
	s_waitcnt lgkmcnt(0)
	v_mul_f32_e32 v5, v63, v60
	v_add_f32_e32 v3, v3, v19
	v_fma_f32 v25, v47, v43, -v68
	s_delay_alu instid0(VALU_DEP_3) | instskip(NEXT) | instid1(VALU_DEP_3)
	v_dual_add_f32 v2, v2, v24 :: v_dual_fmac_f32 v5, v64, v59
	v_dual_mul_f32 v24, v64, v60 :: v_dual_add_f32 v3, v3, v21
	v_fma_f32 v19, v53, v57, -v22
	s_delay_alu instid0(VALU_DEP_3) | instskip(NEXT) | instid1(VALU_DEP_3)
	v_add_f32_e32 v2, v2, v25
	v_fma_f32 v21, v63, v59, -v24
	s_delay_alu instid0(VALU_DEP_4) | instskip(NEXT) | instid1(VALU_DEP_1)
	v_dual_add_f32 v3, v3, v23 :: v_dual_mul_f32 v4, v50, v46
	v_add_f32_e32 v3, v3, v5
	s_delay_alu instid0(VALU_DEP_2) | instskip(NEXT) | instid1(VALU_DEP_1)
	v_fma_f32 v4, v49, v45, -v4
	v_add_f32_e32 v2, v2, v4
	v_mul_f32_e32 v4, v66, v62
	s_delay_alu instid0(VALU_DEP_2) | instskip(SKIP_1) | instid1(VALU_DEP_3)
	v_add_f32_e32 v2, v2, v20
	v_mul_f32_e32 v20, v65, v62
	v_fma_f32 v4, v65, v61, -v4
	s_delay_alu instid0(VALU_DEP_3) | instskip(NEXT) | instid1(VALU_DEP_3)
	v_add_f32_e32 v2, v2, v19
	v_fmac_f32_e32 v20, v66, v61
	s_delay_alu instid0(VALU_DEP_1) | instskip(NEXT) | instid1(VALU_DEP_1)
	v_dual_add_f32 v2, v2, v21 :: v_dual_add_f32 v3, v3, v20
	v_add_f32_e32 v2, v2, v4
	s_delay_alu instid0(VALU_DEP_1) | instskip(NEXT) | instid1(VALU_DEP_1)
	v_dual_mul_f32 v4, s16, v3 :: v_dual_mul_f32 v5, s16, v2
	v_fma_f32 v2, s7, v2, -v4
	s_waitcnt vmcnt(0)
	s_delay_alu instid0(VALU_DEP_1) | instskip(NEXT) | instid1(VALU_DEP_1)
	v_dual_fmac_f32 v5, s7, v3 :: v_dual_add_f32 v2, v91, v2
	v_add_f32_e32 v3, v92, v5
	global_store_b64 v[0:1], v[2:3], off
	s_branch .LBB616_4
.LBB616_11:
	s_endpgm
	.section	.rodata,"a",@progbits
	.p2align	6, 0x0
	.amdhsa_kernel _ZL26rocblas_syr2k_her2k_kernelIiLb0ELb0ELb0ELi32E19rocblas_complex_numIfEPKPKS1_PKPS1_EvbiT_T4_T5_S9_lSB_S9_lT6_S9_li
		.amdhsa_group_segment_fixed_size 16384
		.amdhsa_private_segment_fixed_size 0
		.amdhsa_kernarg_size 100
		.amdhsa_user_sgpr_count 13
		.amdhsa_user_sgpr_dispatch_ptr 0
		.amdhsa_user_sgpr_queue_ptr 0
		.amdhsa_user_sgpr_kernarg_segment_ptr 1
		.amdhsa_user_sgpr_dispatch_id 0
		.amdhsa_user_sgpr_private_segment_size 0
		.amdhsa_wavefront_size32 1
		.amdhsa_uses_dynamic_stack 0
		.amdhsa_enable_private_segment 0
		.amdhsa_system_sgpr_workgroup_id_x 1
		.amdhsa_system_sgpr_workgroup_id_y 1
		.amdhsa_system_sgpr_workgroup_id_z 1
		.amdhsa_system_sgpr_workgroup_info 0
		.amdhsa_system_vgpr_workitem_id 1
		.amdhsa_next_free_vgpr 106
		.amdhsa_next_free_sgpr 25
		.amdhsa_reserve_vcc 1
		.amdhsa_float_round_mode_32 0
		.amdhsa_float_round_mode_16_64 0
		.amdhsa_float_denorm_mode_32 3
		.amdhsa_float_denorm_mode_16_64 3
		.amdhsa_dx10_clamp 1
		.amdhsa_ieee_mode 1
		.amdhsa_fp16_overflow 0
		.amdhsa_workgroup_processor_mode 1
		.amdhsa_memory_ordered 1
		.amdhsa_forward_progress 0
		.amdhsa_shared_vgpr_count 0
		.amdhsa_exception_fp_ieee_invalid_op 0
		.amdhsa_exception_fp_denorm_src 0
		.amdhsa_exception_fp_ieee_div_zero 0
		.amdhsa_exception_fp_ieee_overflow 0
		.amdhsa_exception_fp_ieee_underflow 0
		.amdhsa_exception_fp_ieee_inexact 0
		.amdhsa_exception_int_div_zero 0
	.end_amdhsa_kernel
	.section	.text._ZL26rocblas_syr2k_her2k_kernelIiLb0ELb0ELb0ELi32E19rocblas_complex_numIfEPKPKS1_PKPS1_EvbiT_T4_T5_S9_lSB_S9_lT6_S9_li,"axG",@progbits,_ZL26rocblas_syr2k_her2k_kernelIiLb0ELb0ELb0ELi32E19rocblas_complex_numIfEPKPKS1_PKPS1_EvbiT_T4_T5_S9_lSB_S9_lT6_S9_li,comdat
.Lfunc_end616:
	.size	_ZL26rocblas_syr2k_her2k_kernelIiLb0ELb0ELb0ELi32E19rocblas_complex_numIfEPKPKS1_PKPS1_EvbiT_T4_T5_S9_lSB_S9_lT6_S9_li, .Lfunc_end616-_ZL26rocblas_syr2k_her2k_kernelIiLb0ELb0ELb0ELi32E19rocblas_complex_numIfEPKPKS1_PKPS1_EvbiT_T4_T5_S9_lSB_S9_lT6_S9_li
                                        ; -- End function
	.section	.AMDGPU.csdata,"",@progbits
; Kernel info:
; codeLenInByte = 2148
; NumSgprs: 27
; NumVgprs: 106
; ScratchSize: 0
; MemoryBound: 0
; FloatMode: 240
; IeeeMode: 1
; LDSByteSize: 16384 bytes/workgroup (compile time only)
; SGPRBlocks: 3
; VGPRBlocks: 13
; NumSGPRsForWavesPerEU: 27
; NumVGPRsForWavesPerEU: 106
; Occupancy: 12
; WaveLimiterHint : 1
; COMPUTE_PGM_RSRC2:SCRATCH_EN: 0
; COMPUTE_PGM_RSRC2:USER_SGPR: 13
; COMPUTE_PGM_RSRC2:TRAP_HANDLER: 0
; COMPUTE_PGM_RSRC2:TGID_X_EN: 1
; COMPUTE_PGM_RSRC2:TGID_Y_EN: 1
; COMPUTE_PGM_RSRC2:TGID_Z_EN: 1
; COMPUTE_PGM_RSRC2:TIDIG_COMP_CNT: 1
	.section	.text._ZL26rocblas_syr2k_her2k_kernelIiLb0ELb0ELb1ELi32E19rocblas_complex_numIfEPKPKS1_PKPS1_EvbiT_T4_T5_S9_lSB_S9_lT6_S9_li,"axG",@progbits,_ZL26rocblas_syr2k_her2k_kernelIiLb0ELb0ELb1ELi32E19rocblas_complex_numIfEPKPKS1_PKPS1_EvbiT_T4_T5_S9_lSB_S9_lT6_S9_li,comdat
	.globl	_ZL26rocblas_syr2k_her2k_kernelIiLb0ELb0ELb1ELi32E19rocblas_complex_numIfEPKPKS1_PKPS1_EvbiT_T4_T5_S9_lSB_S9_lT6_S9_li ; -- Begin function _ZL26rocblas_syr2k_her2k_kernelIiLb0ELb0ELb1ELi32E19rocblas_complex_numIfEPKPKS1_PKPS1_EvbiT_T4_T5_S9_lSB_S9_lT6_S9_li
	.p2align	8
	.type	_ZL26rocblas_syr2k_her2k_kernelIiLb0ELb0ELb1ELi32E19rocblas_complex_numIfEPKPKS1_PKPS1_EvbiT_T4_T5_S9_lSB_S9_lT6_S9_li,@function
_ZL26rocblas_syr2k_her2k_kernelIiLb0ELb0ELb1ELi32E19rocblas_complex_numIfEPKPKS1_PKPS1_EvbiT_T4_T5_S9_lSB_S9_lT6_S9_li: ; @_ZL26rocblas_syr2k_her2k_kernelIiLb0ELb0ELb1ELi32E19rocblas_complex_numIfEPKPKS1_PKPS1_EvbiT_T4_T5_S9_lSB_S9_lT6_S9_li
; %bb.0:
	s_clause 0x1
	s_load_b128 s[4:7], s[0:1], 0x0
	s_load_b32 s16, s[0:1], 0x10
	s_waitcnt lgkmcnt(0)
	v_cmp_eq_f32_e64 s3, s7, 0
	v_cmp_eq_f32_e64 s8, s16, 0
	s_delay_alu instid0(VALU_DEP_1) | instskip(NEXT) | instid1(SALU_CYCLE_1)
	s_and_b32 s3, s3, s8
	s_and_b32 vcc_lo, exec_lo, s3
	s_cbranch_vccnz .LBB617_11
; %bb.1:
	s_and_b32 s3, 1, s4
	s_lshl_b32 s4, s14, 5
	s_lshl_b32 s17, s13, 5
	s_cmp_eq_u32 s3, 1
	s_cselect_b32 vcc_lo, -1, 0
	s_delay_alu instid0(SALU_CYCLE_1) | instskip(SKIP_2) | instid1(SALU_CYCLE_1)
	s_and_b32 s3, vcc_lo, exec_lo
	s_cselect_b32 s3, s17, s4
	s_cselect_b32 s8, s4, s17
	s_cmp_gt_i32 s3, s8
	s_cbranch_scc1 .LBB617_11
; %bb.2:
	s_cmp_lt_i32 s6, 1
	s_cbranch_scc1 .LBB617_11
; %bb.3:
	s_mov_b32 s2, s15
	s_clause 0x5
	s_load_b64 s[18:19], s[0:1], 0x18
	s_load_b128 s[12:15], s[0:1], 0x28
	s_load_b32 s22, s[0:1], 0x20
	s_load_b32 s23, s[0:1], 0x38
	s_load_b128 s[8:11], s[0:1], 0x40
	s_load_b32 s24, s[0:1], 0x50
	s_mov_b32 s3, 0
	s_load_b64 s[20:21], s[0:1], 0x58
	s_lshl_b64 s[0:1], s[2:3], 3
	v_and_b32_e32 v9, 0x3ff, v0
	v_bfe_u32 v8, v0, 10, 10
	s_delay_alu instid0(VALU_DEP_2) | instskip(NEXT) | instid1(VALU_DEP_2)
	v_add_nc_u32_e32 v0, s17, v9
	v_add_nc_u32_e32 v12, s4, v8
	v_lshlrev_b32_e32 v14, 3, v8
	v_lshlrev_b32_e32 v10, 8, v9
	s_delay_alu instid0(VALU_DEP_4) | instskip(NEXT) | instid1(VALU_DEP_4)
	v_ashrrev_i32_e32 v1, 31, v0
	v_cndmask_b32_e32 v19, v12, v0, vcc_lo
	s_waitcnt lgkmcnt(0)
	s_add_u32 s18, s18, s0
	s_addc_u32 s19, s19, s1
	s_add_u32 s14, s14, s0
	s_load_b64 s[18:19], s[18:19], 0x0
	s_addc_u32 s15, s15, s1
	s_add_u32 s0, s10, s0
	s_load_b64 s[14:15], s[14:15], 0x0
	s_addc_u32 s1, s11, s1
	v_mad_i64_i32 v[2:3], null, s22, v0, 0
	s_load_b64 s[10:11], s[0:1], 0x0
	v_mad_i64_i32 v[4:5], null, s23, v12, 0
	v_mad_i64_i32 v[6:7], null, s24, v12, 0
	v_dual_cndmask_b32 v18, v0, v12 :: v_dual_add_nc_u32 v11, v10, v14
	s_delay_alu instid0(VALU_DEP_4)
	v_lshlrev_b64 v[2:3], 3, v[2:3]
	v_cmp_gt_i32_e32 vcc_lo, s5, v0
	v_cmp_gt_i32_e64 s0, s5, v12
	s_lshl_b64 s[4:5], s[12:13], 3
	v_lshlrev_b64 v[4:5], 3, v[4:5]
	v_lshlrev_b64 v[0:1], 3, v[0:1]
	s_waitcnt lgkmcnt(0)
	s_add_u32 s1, s18, s4
	s_addc_u32 s2, s19, s5
	v_add_co_u32 v12, s1, s1, v2
	s_lshl_b64 s[4:5], s[8:9], 3
	v_add_co_ci_u32_e64 v13, s1, s2, v3, s1
	v_lshlrev_b64 v[2:3], 3, v[6:7]
	s_add_u32 s8, s14, s4
	s_addc_u32 s9, s15, s5
	s_lshl_b64 s[4:5], s[20:21], 3
	v_add_co_u32 v15, s1, s8, v4
	s_add_u32 s2, s10, s4
	v_add_co_ci_u32_e64 v16, s1, s9, v5, s1
	s_addc_u32 s4, s11, s5
	v_add_co_u32 v2, s1, s2, v2
	v_or_b32_e32 v14, 0x2000, v14
	v_add_co_ci_u32_e64 v3, s1, s4, v3, s1
	v_cmp_le_i32_e64 s1, v19, v18
	s_delay_alu instid0(VALU_DEP_4) | instskip(NEXT) | instid1(VALU_DEP_4)
	v_add_co_u32 v0, s2, v2, v0
	v_add_nc_u32_e32 v17, v14, v10
	s_delay_alu instid0(VALU_DEP_4) | instskip(SKIP_4) | instid1(SALU_CYCLE_1)
	v_add_co_ci_u32_e64 v1, s2, v3, v1, s2
	v_add_nc_u32_e32 v18, 0x800, v14
	v_add_nc_u32_e32 v19, 0x1000, v14
	;; [unrolled: 1-line block ×3, first 2 shown]
	s_and_b32 s2, s0, vcc_lo
	s_and_b32 s2, s2, s1
	s_branch .LBB617_5
.LBB617_4:                              ;   in Loop: Header=BB617_5 Depth=1
	s_or_b32 exec_lo, exec_lo, s1
	s_add_i32 s3, s3, 32
	s_waitcnt_vscnt null, 0x0
	s_cmp_lt_i32 s3, s6
	s_barrier
	buffer_gl0_inv
	s_cbranch_scc0 .LBB617_11
.LBB617_5:                              ; =>This Inner Loop Header: Depth=1
	v_dual_mov_b32 v2, 0 :: v_dual_add_nc_u32 v3, s3, v8
	v_dual_mov_b32 v4, 0 :: v_dual_mov_b32 v5, 0
	s_delay_alu instid0(VALU_DEP_2) | instskip(NEXT) | instid1(VALU_DEP_1)
	v_cmp_gt_i32_e64 s1, s6, v3
	s_and_b32 s1, vcc_lo, s1
	s_delay_alu instid0(SALU_CYCLE_1)
	s_and_saveexec_b32 s4, s1
	s_cbranch_execz .LBB617_7
; %bb.6:                                ;   in Loop: Header=BB617_5 Depth=1
	v_ashrrev_i32_e32 v4, 31, v3
	s_delay_alu instid0(VALU_DEP_1) | instskip(NEXT) | instid1(VALU_DEP_1)
	v_lshlrev_b64 v[3:4], 3, v[3:4]
	v_add_co_u32 v3, s1, v12, v3
	s_delay_alu instid0(VALU_DEP_1)
	v_add_co_ci_u32_e64 v4, s1, v13, v4, s1
	global_load_b64 v[4:5], v[3:4], off
.LBB617_7:                              ;   in Loop: Header=BB617_5 Depth=1
	s_or_b32 exec_lo, exec_lo, s4
	v_dual_mov_b32 v3, 0 :: v_dual_add_nc_u32 v6, s3, v9
	s_waitcnt vmcnt(0)
	ds_store_b64 v11, v[4:5]
	v_cmp_gt_i32_e64 s1, s6, v6
	s_delay_alu instid0(VALU_DEP_1) | instskip(NEXT) | instid1(SALU_CYCLE_1)
	s_and_b32 s1, s0, s1
	s_and_saveexec_b32 s4, s1
	s_cbranch_execz .LBB617_9
; %bb.8:                                ;   in Loop: Header=BB617_5 Depth=1
	v_ashrrev_i32_e32 v7, 31, v6
	s_delay_alu instid0(VALU_DEP_1) | instskip(NEXT) | instid1(VALU_DEP_1)
	v_lshlrev_b64 v[2:3], 3, v[6:7]
	v_add_co_u32 v2, s1, v15, v2
	s_delay_alu instid0(VALU_DEP_1)
	v_add_co_ci_u32_e64 v3, s1, v16, v3, s1
	global_load_b64 v[2:3], v[2:3], off
.LBB617_9:                              ;   in Loop: Header=BB617_5 Depth=1
	s_or_b32 exec_lo, exec_lo, s4
	s_waitcnt vmcnt(0)
	ds_store_b64 v17, v[2:3]
	s_waitcnt lgkmcnt(0)
	s_barrier
	buffer_gl0_inv
	s_and_saveexec_b32 s1, s2
	s_cbranch_execz .LBB617_4
; %bb.10:                               ;   in Loop: Header=BB617_5 Depth=1
	global_load_b64 v[6:7], v[0:1], off
	ds_load_2addr_b64 v[2:5], v14 offset1:32
	ds_load_b128 v[21:24], v10
	ds_load_b128 v[25:28], v10 offset:16
	ds_load_b128 v[29:32], v10 offset:32
	ds_load_b128 v[33:36], v10 offset:48
	ds_load_2addr_b64 v[37:40], v14 offset0:64 offset1:96
	ds_load_2addr_b64 v[41:44], v14 offset0:128 offset1:160
	;; [unrolled: 1-line block ×3, first 2 shown]
	ds_load_2addr_b64 v[49:52], v18 offset1:32
	ds_load_b128 v[53:56], v10 offset:64
	ds_load_b128 v[57:60], v10 offset:80
	ds_load_2addr_b64 v[61:64], v18 offset0:64 offset1:96
	ds_load_2addr_b64 v[65:68], v18 offset0:128 offset1:160
	ds_load_b128 v[69:72], v10 offset:96
	ds_load_b128 v[73:76], v10 offset:112
	ds_load_2addr_b64 v[77:80], v18 offset0:192 offset1:224
	ds_load_2addr_b64 v[81:84], v19 offset1:32
	ds_load_b128 v[85:88], v10 offset:128
	ds_load_b128 v[89:92], v10 offset:144
	s_waitcnt lgkmcnt(17)
	v_mul_f32_e32 v93, v3, v22
	v_dual_mul_f32 v94, v2, v22 :: v_dual_mul_f32 v95, v4, v24
	v_mul_f32_e32 v22, v5, v24
	s_waitcnt lgkmcnt(13)
	v_dual_mul_f32 v97, v37, v26 :: v_dual_mul_f32 v98, v39, v28
	v_fma_f32 v93, v2, v21, -v93
	v_dual_fmac_f32 v94, v3, v21 :: v_dual_fmac_f32 v95, v5, v23
	v_fma_f32 v96, v4, v23, -v22
	v_dual_mul_f32 v21, v38, v26 :: v_dual_mul_f32 v22, v40, v28
	s_waitcnt lgkmcnt(12)
	v_dual_mul_f32 v99, v41, v30 :: v_dual_mul_f32 v28, v44, v32
	v_mul_f32_e32 v102, v43, v32
	s_delay_alu instid0(VALU_DEP_3) | instskip(SKIP_1) | instid1(VALU_DEP_4)
	v_fma_f32 v100, v37, v25, -v21
	v_add_f32_e32 v37, 0, v94
	v_fmac_f32_e32 v99, v42, v29
	v_mul_f32_e32 v26, v42, v30
	v_dual_fmac_f32 v102, v44, v31 :: v_dual_fmac_f32 v97, v38, v25
	v_fmac_f32_e32 v98, v40, v27
	v_add_f32_e32 v37, v37, v95
	v_fma_f32 v103, v43, v31, -v28
	s_waitcnt lgkmcnt(11)
	v_dual_mul_f32 v38, v46, v34 :: v_dual_mul_f32 v95, v47, v36
	v_mul_f32_e32 v94, v45, v34
	v_dual_mul_f32 v34, v48, v36 :: v_dual_add_f32 v43, v37, v97
	v_add_f32_e32 v36, 0, v93
	v_fma_f32 v101, v39, v27, -v22
	s_waitcnt lgkmcnt(9)
	v_dual_mul_f32 v44, v50, v54 :: v_dual_mul_f32 v97, v51, v56
	s_delay_alu instid0(VALU_DEP_3) | instskip(SKIP_1) | instid1(VALU_DEP_3)
	v_dual_add_f32 v43, v43, v98 :: v_dual_add_f32 v42, v36, v96
	v_fma_f32 v41, v41, v29, -v26
	v_dual_mul_f32 v96, v49, v54 :: v_dual_fmac_f32 v97, v52, v55
	s_delay_alu instid0(VALU_DEP_3) | instskip(SKIP_2) | instid1(VALU_DEP_3)
	v_dual_add_f32 v43, v43, v99 :: v_dual_add_f32 v42, v42, v100
	v_fma_f32 v93, v45, v33, -v38
	v_dual_fmac_f32 v95, v48, v35 :: v_dual_fmac_f32 v94, v46, v33
	v_dual_mul_f32 v45, v52, v56 :: v_dual_add_f32 v42, v42, v101
	s_waitcnt lgkmcnt(7)
	v_dual_mul_f32 v101, v63, v60 :: v_dual_mul_f32 v98, v61, v58
	v_fma_f32 v99, v49, v53, -v44
	v_dual_mul_f32 v49, v64, v60 :: v_dual_fmac_f32 v96, v50, v53
	v_add_f32_e32 v53, v42, v41
	s_delay_alu instid0(VALU_DEP_4) | instskip(SKIP_2) | instid1(VALU_DEP_4)
	v_dual_mul_f32 v54, v62, v58 :: v_dual_fmac_f32 v101, v64, v59
	v_fma_f32 v100, v51, v55, -v45
	v_dual_add_f32 v55, v43, v102 :: v_dual_fmac_f32 v98, v62, v57
	v_add_f32_e32 v53, v53, v103
	ds_load_2addr_b64 v[21:24], v19 offset0:128 offset1:160
	v_fma_f32 v104, v47, v35, -v34
	v_fma_f32 v102, v61, v57, -v54
	;; [unrolled: 1-line block ×3, first 2 shown]
	s_waitcnt lgkmcnt(6)
	v_dual_mul_f32 v57, v66, v70 :: v_dual_mul_f32 v58, v68, v72
	v_dual_add_f32 v54, v55, v94 :: v_dual_add_f32 v59, v53, v93
	v_mul_f32_e32 v70, v65, v70
	ds_load_2addr_b64 v[2:5], v19 offset0:64 offset1:96
	ds_load_b128 v[25:28], v10 offset:160
	ds_load_b128 v[29:32], v10 offset:176
	v_dual_add_f32 v93, v54, v95 :: v_dual_mul_f32 v72, v67, v72
	v_fma_f32 v94, v65, v69, -v57
	v_dual_fmac_f32 v70, v66, v69 :: v_dual_add_f32 v65, v59, v104
	v_fma_f32 v69, v67, v71, -v58
	s_waitcnt lgkmcnt(7)
	v_dual_mul_f32 v67, v78, v74 :: v_dual_fmac_f32 v72, v68, v71
	v_mul_f32_e32 v71, v77, v74
	v_dual_add_f32 v65, v65, v99 :: v_dual_mul_f32 v68, v80, v76
	v_add_f32_e32 v66, v93, v96
	ds_load_2addr_b64 v[33:36], v19 offset0:192 offset1:224
	v_dual_fmac_f32 v71, v78, v73 :: v_dual_add_f32 v78, v65, v100
	v_mul_f32_e32 v76, v79, v76
	v_add_f32_e32 v74, v66, v97
	v_fma_f32 v77, v77, v73, -v67
	s_waitcnt lgkmcnt(2)
	v_mul_f32_e32 v93, v22, v26
	v_add_f32_e32 v78, v78, v102
	ds_load_2addr_b64 v[37:40], v20 offset1:32
	v_fma_f32 v73, v79, v75, -v68
	v_mul_f32_e32 v79, v81, v86
	ds_load_b128 v[41:44], v10 offset:192
	ds_load_b128 v[45:48], v10 offset:208
	v_add_f32_e32 v78, v78, v105
	ds_load_2addr_b64 v[49:52], v20 offset0:64 offset1:96
	ds_load_2addr_b64 v[53:56], v20 offset0:128 offset1:160
	v_fmac_f32_e32 v79, v82, v85
	ds_load_b128 v[57:60], v10 offset:224
	ds_load_b128 v[61:64], v10 offset:240
	v_add_f32_e32 v78, v78, v94
	v_dual_fmac_f32 v76, v80, v75 :: v_dual_mul_f32 v75, v82, v86
	v_mul_f32_e32 v80, v84, v88
	ds_load_2addr_b64 v[65:68], v20 offset0:192 offset1:224
	v_add_f32_e32 v69, v78, v69
	v_add_f32_e32 v74, v74, v98
	v_fma_f32 v75, v81, v85, -v75
	s_delay_alu instid0(VALU_DEP_3)
	v_dual_add_f32 v69, v69, v77 :: v_dual_mul_f32 v86, v83, v88
	s_waitcnt lgkmcnt(8)
	v_mul_f32_e32 v77, v36, v32
	v_mul_f32_e32 v32, v35, v32
	s_waitcnt lgkmcnt(6)
	v_dual_mul_f32 v78, v40, v44 :: v_dual_add_f32 v69, v69, v73
	v_add_f32_e32 v74, v74, v101
	v_mul_f32_e32 v44, v39, v44
	v_fmac_f32_e32 v32, v36, v31
	v_mul_f32_e32 v26, v21, v26
	s_delay_alu instid0(VALU_DEP_4) | instskip(SKIP_2) | instid1(VALU_DEP_4)
	v_dual_add_f32 v69, v69, v75 :: v_dual_add_f32 v70, v74, v70
	v_mul_f32_e32 v88, v3, v90
	v_dual_mul_f32 v74, v5, v92 :: v_dual_mul_f32 v73, v38, v42
	v_fmac_f32_e32 v26, v22, v25
	s_delay_alu instid0(VALU_DEP_4)
	v_add_f32_e32 v70, v70, v72
	v_fmac_f32_e32 v44, v40, v43
	v_mul_f32_e32 v42, v37, v42
	v_mul_f32_e32 v72, v24, v28
	v_fma_f32 v21, v21, v25, -v93
	v_add_f32_e32 v70, v70, v71
	v_mul_f32_e32 v71, v34, v30
	v_fmac_f32_e32 v42, v38, v41
	v_fmac_f32_e32 v86, v84, v87
	v_mul_f32_e32 v28, v23, v28
	v_add_f32_e32 v70, v70, v76
	v_fma_f32 v76, v83, v87, -v80
	v_fma_f32 v25, v37, v41, -v73
	v_mul_f32_e32 v30, v33, v30
	s_delay_alu instid0(VALU_DEP_4) | instskip(SKIP_3) | instid1(VALU_DEP_3)
	v_add_f32_e32 v70, v70, v79
	v_mul_f32_e32 v92, v4, v92
	v_add_f32_e32 v69, v69, v76
	v_fma_f32 v4, v4, v91, -v74
	v_fmac_f32_e32 v92, v5, v91
	v_mul_f32_e32 v90, v2, v90
	v_fma_f32 v2, v2, v89, -v88
	s_waitcnt lgkmcnt(4)
	v_mul_f32_e32 v5, v49, v46
	v_fma_f32 v22, v23, v27, -v72
	v_fma_f32 v23, v33, v29, -v71
	s_delay_alu instid0(VALU_DEP_3) | instskip(NEXT) | instid1(VALU_DEP_1)
	v_dual_add_f32 v2, v69, v2 :: v_dual_fmac_f32 v5, v50, v45
	v_add_f32_e32 v2, v2, v4
	s_delay_alu instid0(VALU_DEP_1) | instskip(NEXT) | instid1(VALU_DEP_1)
	v_dual_add_f32 v2, v2, v21 :: v_dual_mul_f32 v21, v51, v48
	v_dual_add_f32 v2, v2, v22 :: v_dual_fmac_f32 v21, v52, v47
	s_waitcnt lgkmcnt(2)
	v_mul_f32_e32 v22, v54, v58
	s_delay_alu instid0(VALU_DEP_2) | instskip(SKIP_2) | instid1(VALU_DEP_4)
	v_dual_add_f32 v2, v2, v23 :: v_dual_mul_f32 v23, v53, v58
	v_fmac_f32_e32 v28, v24, v27
	v_fma_f32 v24, v35, v31, -v77
	v_fma_f32 v22, v53, v57, -v22
	s_delay_alu instid0(VALU_DEP_4) | instskip(NEXT) | instid1(VALU_DEP_3)
	v_fmac_f32_e32 v23, v54, v57
	v_add_f32_e32 v2, v2, v24
	v_mul_f32_e32 v24, v56, v60
	s_delay_alu instid0(VALU_DEP_2) | instskip(SKIP_1) | instid1(VALU_DEP_2)
	v_dual_add_f32 v2, v2, v25 :: v_dual_mul_f32 v25, v55, v60
	v_dual_fmac_f32 v90, v3, v89 :: v_dual_add_f32 v3, v70, v86
	v_dual_fmac_f32 v30, v34, v29 :: v_dual_fmac_f32 v25, v56, v59
	s_delay_alu instid0(VALU_DEP_2) | instskip(NEXT) | instid1(VALU_DEP_1)
	v_add_f32_e32 v3, v3, v90
	v_add_f32_e32 v3, v3, v92
	s_delay_alu instid0(VALU_DEP_1) | instskip(NEXT) | instid1(VALU_DEP_1)
	v_add_f32_e32 v3, v3, v26
	v_add_f32_e32 v3, v3, v28
	s_delay_alu instid0(VALU_DEP_1) | instskip(NEXT) | instid1(VALU_DEP_1)
	;; [unrolled: 3-line block ×3, first 2 shown]
	v_add_f32_e32 v3, v3, v42
	v_add_f32_e32 v3, v3, v44
	s_delay_alu instid0(VALU_DEP_1) | instskip(SKIP_3) | instid1(VALU_DEP_3)
	v_dual_add_f32 v3, v3, v5 :: v_dual_mul_f32 v70, v50, v46
	v_fma_f32 v26, v39, v43, -v78
	s_waitcnt lgkmcnt(0)
	v_dual_mul_f32 v5, v65, v62 :: v_dual_mul_f32 v4, v52, v48
	v_add_f32_e32 v3, v3, v21
	v_fma_f32 v27, v49, v45, -v70
	v_add_f32_e32 v2, v2, v26
	s_delay_alu instid0(VALU_DEP_4)
	v_fmac_f32_e32 v5, v66, v61
	v_fma_f32 v4, v51, v47, -v4
	v_mul_f32_e32 v26, v66, v62
	v_fma_f32 v21, v55, v59, -v24
	v_add_f32_e32 v2, v2, v27
	v_add_f32_e32 v3, v3, v23
	s_delay_alu instid0(VALU_DEP_4) | instskip(NEXT) | instid1(VALU_DEP_3)
	v_fma_f32 v23, v65, v61, -v26
	v_add_f32_e32 v2, v2, v4
	s_delay_alu instid0(VALU_DEP_3) | instskip(NEXT) | instid1(VALU_DEP_2)
	v_dual_mul_f32 v4, v68, v64 :: v_dual_add_f32 v3, v3, v25
	v_add_f32_e32 v2, v2, v22
	v_mul_f32_e32 v22, v67, v64
	s_delay_alu instid0(VALU_DEP_3) | instskip(NEXT) | instid1(VALU_DEP_4)
	v_fma_f32 v4, v67, v63, -v4
	v_add_f32_e32 v3, v3, v5
	s_delay_alu instid0(VALU_DEP_4) | instskip(NEXT) | instid1(VALU_DEP_4)
	v_add_f32_e32 v2, v2, v21
	v_fmac_f32_e32 v22, v68, v63
	s_delay_alu instid0(VALU_DEP_1) | instskip(NEXT) | instid1(VALU_DEP_1)
	v_dual_add_f32 v2, v2, v23 :: v_dual_add_f32 v3, v3, v22
	v_add_f32_e32 v2, v2, v4
	s_delay_alu instid0(VALU_DEP_1) | instskip(NEXT) | instid1(VALU_DEP_1)
	v_dual_mul_f32 v4, s16, v3 :: v_dual_mul_f32 v5, s16, v2
	v_fma_f32 v2, s7, v2, -v4
	s_waitcnt vmcnt(0)
	s_delay_alu instid0(VALU_DEP_1) | instskip(NEXT) | instid1(VALU_DEP_1)
	v_dual_fmac_f32 v5, s7, v3 :: v_dual_add_f32 v2, v6, v2
	v_add_f32_e32 v3, v7, v5
	global_store_b64 v[0:1], v[2:3], off
	s_branch .LBB617_4
.LBB617_11:
	s_endpgm
	.section	.rodata,"a",@progbits
	.p2align	6, 0x0
	.amdhsa_kernel _ZL26rocblas_syr2k_her2k_kernelIiLb0ELb0ELb1ELi32E19rocblas_complex_numIfEPKPKS1_PKPS1_EvbiT_T4_T5_S9_lSB_S9_lT6_S9_li
		.amdhsa_group_segment_fixed_size 16384
		.amdhsa_private_segment_fixed_size 0
		.amdhsa_kernarg_size 100
		.amdhsa_user_sgpr_count 13
		.amdhsa_user_sgpr_dispatch_ptr 0
		.amdhsa_user_sgpr_queue_ptr 0
		.amdhsa_user_sgpr_kernarg_segment_ptr 1
		.amdhsa_user_sgpr_dispatch_id 0
		.amdhsa_user_sgpr_private_segment_size 0
		.amdhsa_wavefront_size32 1
		.amdhsa_uses_dynamic_stack 0
		.amdhsa_enable_private_segment 0
		.amdhsa_system_sgpr_workgroup_id_x 1
		.amdhsa_system_sgpr_workgroup_id_y 1
		.amdhsa_system_sgpr_workgroup_id_z 1
		.amdhsa_system_sgpr_workgroup_info 0
		.amdhsa_system_vgpr_workitem_id 1
		.amdhsa_next_free_vgpr 106
		.amdhsa_next_free_sgpr 25
		.amdhsa_reserve_vcc 1
		.amdhsa_float_round_mode_32 0
		.amdhsa_float_round_mode_16_64 0
		.amdhsa_float_denorm_mode_32 3
		.amdhsa_float_denorm_mode_16_64 3
		.amdhsa_dx10_clamp 1
		.amdhsa_ieee_mode 1
		.amdhsa_fp16_overflow 0
		.amdhsa_workgroup_processor_mode 1
		.amdhsa_memory_ordered 1
		.amdhsa_forward_progress 0
		.amdhsa_shared_vgpr_count 0
		.amdhsa_exception_fp_ieee_invalid_op 0
		.amdhsa_exception_fp_denorm_src 0
		.amdhsa_exception_fp_ieee_div_zero 0
		.amdhsa_exception_fp_ieee_overflow 0
		.amdhsa_exception_fp_ieee_underflow 0
		.amdhsa_exception_fp_ieee_inexact 0
		.amdhsa_exception_int_div_zero 0
	.end_amdhsa_kernel
	.section	.text._ZL26rocblas_syr2k_her2k_kernelIiLb0ELb0ELb1ELi32E19rocblas_complex_numIfEPKPKS1_PKPS1_EvbiT_T4_T5_S9_lSB_S9_lT6_S9_li,"axG",@progbits,_ZL26rocblas_syr2k_her2k_kernelIiLb0ELb0ELb1ELi32E19rocblas_complex_numIfEPKPKS1_PKPS1_EvbiT_T4_T5_S9_lSB_S9_lT6_S9_li,comdat
.Lfunc_end617:
	.size	_ZL26rocblas_syr2k_her2k_kernelIiLb0ELb0ELb1ELi32E19rocblas_complex_numIfEPKPKS1_PKPS1_EvbiT_T4_T5_S9_lSB_S9_lT6_S9_li, .Lfunc_end617-_ZL26rocblas_syr2k_her2k_kernelIiLb0ELb0ELb1ELi32E19rocblas_complex_numIfEPKPKS1_PKPS1_EvbiT_T4_T5_S9_lSB_S9_lT6_S9_li
                                        ; -- End function
	.section	.AMDGPU.csdata,"",@progbits
; Kernel info:
; codeLenInByte = 2148
; NumSgprs: 27
; NumVgprs: 106
; ScratchSize: 0
; MemoryBound: 0
; FloatMode: 240
; IeeeMode: 1
; LDSByteSize: 16384 bytes/workgroup (compile time only)
; SGPRBlocks: 3
; VGPRBlocks: 13
; NumSGPRsForWavesPerEU: 27
; NumVGPRsForWavesPerEU: 106
; Occupancy: 12
; WaveLimiterHint : 1
; COMPUTE_PGM_RSRC2:SCRATCH_EN: 0
; COMPUTE_PGM_RSRC2:USER_SGPR: 13
; COMPUTE_PGM_RSRC2:TRAP_HANDLER: 0
; COMPUTE_PGM_RSRC2:TGID_X_EN: 1
; COMPUTE_PGM_RSRC2:TGID_Y_EN: 1
; COMPUTE_PGM_RSRC2:TGID_Z_EN: 1
; COMPUTE_PGM_RSRC2:TIDIG_COMP_CNT: 1
	.section	.text._ZL37rocblas_syrkx_herkx_restricted_kernelIi19rocblas_complex_numIfELi16ELi32ELi8ELi1ELi1ELb0ELc84ELc76EKPKS1_KPS1_EviT_PT9_S7_lS9_S7_lPT10_S7_li,"axG",@progbits,_ZL37rocblas_syrkx_herkx_restricted_kernelIi19rocblas_complex_numIfELi16ELi32ELi8ELi1ELi1ELb0ELc84ELc76EKPKS1_KPS1_EviT_PT9_S7_lS9_S7_lPT10_S7_li,comdat
	.globl	_ZL37rocblas_syrkx_herkx_restricted_kernelIi19rocblas_complex_numIfELi16ELi32ELi8ELi1ELi1ELb0ELc84ELc76EKPKS1_KPS1_EviT_PT9_S7_lS9_S7_lPT10_S7_li ; -- Begin function _ZL37rocblas_syrkx_herkx_restricted_kernelIi19rocblas_complex_numIfELi16ELi32ELi8ELi1ELi1ELb0ELc84ELc76EKPKS1_KPS1_EviT_PT9_S7_lS9_S7_lPT10_S7_li
	.p2align	8
	.type	_ZL37rocblas_syrkx_herkx_restricted_kernelIi19rocblas_complex_numIfELi16ELi32ELi8ELi1ELi1ELb0ELc84ELc76EKPKS1_KPS1_EviT_PT9_S7_lS9_S7_lPT10_S7_li,@function
_ZL37rocblas_syrkx_herkx_restricted_kernelIi19rocblas_complex_numIfELi16ELi32ELi8ELi1ELi1ELb0ELc84ELc76EKPKS1_KPS1_EviT_PT9_S7_lS9_S7_lPT10_S7_li: ; @_ZL37rocblas_syrkx_herkx_restricted_kernelIi19rocblas_complex_numIfELi16ELi32ELi8ELi1ELi1ELb0ELc84ELc76EKPKS1_KPS1_EviT_PT9_S7_lS9_S7_lPT10_S7_li
; %bb.0:
	s_clause 0x1
	s_load_b64 s[2:3], s[0:1], 0x38
	s_load_b64 s[4:5], s[0:1], 0x0
	s_mov_b32 s6, s15
	s_mov_b32 s7, 0
	v_dual_mov_b32 v17, 0 :: v_dual_and_b32 v6, 0x3ff, v0
	s_lshl_b64 s[8:9], s[6:7], 3
	v_bfe_u32 v7, v0, 10, 10
	v_dual_mov_b32 v16, 0 :: v_dual_mov_b32 v13, 0
	v_dual_mov_b32 v12, 0 :: v_dual_mov_b32 v9, 0
	v_dual_mov_b32 v0, 0 :: v_dual_mov_b32 v1, 0
	v_mov_b32_e32 v8, 0
	s_waitcnt lgkmcnt(0)
	s_add_u32 s2, s2, s8
	s_addc_u32 s3, s3, s9
	s_lshl_b32 s6, s13, 5
	s_load_b64 s[2:3], s[2:3], 0x0
	s_lshl_b32 s10, s14, 5
	s_cmp_lt_i32 s5, 1
	s_cbranch_scc1 .LBB618_3
; %bb.1:
	s_clause 0x3
	s_load_b64 s[12:13], s[0:1], 0x8
	s_load_b64 s[14:15], s[0:1], 0x20
	s_load_b32 s11, s[0:1], 0x10
	s_load_b32 s16, s[0:1], 0x28
	v_lshl_add_u32 v2, v7, 4, v6
	v_dual_mov_b32 v1, 0 :: v_dual_and_b32 v0, 7, v6
	v_lshlrev_b32_e32 v10, 3, v6
	v_lshl_add_u32 v11, v7, 6, 0x800
	s_delay_alu instid0(VALU_DEP_4)
	v_and_b32_e32 v14, 31, v2
	v_lshrrev_b32_e32 v9, 3, v2
	v_lshrrev_b32_e32 v2, 5, v2
	v_mov_b32_e32 v3, v1
	v_mov_b32_e32 v16, v1
	v_add_nc_u32_e32 v8, s6, v14
	v_add_nc_u32_e32 v15, s10, v9
	v_mov_b32_e32 v17, v1
	s_waitcnt lgkmcnt(0)
	s_add_u32 s12, s12, s8
	s_addc_u32 s13, s13, s9
	s_add_u32 s8, s14, s8
	s_load_b64 s[12:13], s[12:13], 0x0
	s_addc_u32 s9, s15, s9
	v_mad_i64_i32 v[4:5], null, s11, v8, v[2:3]
	v_mov_b32_e32 v8, v1
	s_load_b64 s[8:9], s[8:9], 0x0
	v_lshlrev_b32_e32 v3, 3, v0
	v_mad_i64_i32 v[12:13], null, s16, v15, v[0:1]
	v_mov_b32_e32 v0, v1
	s_delay_alu instid0(VALU_DEP_3) | instskip(SKIP_3) | instid1(VALU_DEP_4)
	v_lshl_or_b32 v15, v9, 6, v3
	v_lshlrev_b64 v[3:4], 3, v[4:5]
	v_dual_mov_b32 v9, v1 :: v_dual_lshlrev_b32 v14, 3, v14
	v_lshlrev_b64 v[12:13], 3, v[12:13]
	v_add_nc_u32_e32 v15, 0x800, v15
	s_delay_alu instid0(VALU_DEP_3)
	v_lshl_or_b32 v14, v2, 8, v14
	s_waitcnt lgkmcnt(0)
	v_add_co_u32 v2, vcc_lo, v3, s12
	v_add_co_ci_u32_e32 v3, vcc_lo, s13, v4, vcc_lo
	v_add_co_u32 v4, vcc_lo, v12, s8
	v_mov_b32_e32 v12, v1
	v_add_co_ci_u32_e32 v5, vcc_lo, s9, v13, vcc_lo
	v_add_co_u32 v2, vcc_lo, v2, 4
	v_add_co_ci_u32_e32 v3, vcc_lo, 0, v3, vcc_lo
	v_add_co_u32 v4, vcc_lo, v4, 4
	s_delay_alu instid0(VALU_DEP_4)
	v_add_co_ci_u32_e32 v5, vcc_lo, 0, v5, vcc_lo
	v_mov_b32_e32 v13, v1
.LBB618_2:                              ; =>This Inner Loop Header: Depth=1
	global_load_b64 v[18:19], v[2:3], off offset:-4
	global_load_b64 v[20:21], v[4:5], off offset:-4
	v_add_co_u32 v2, vcc_lo, v2, 64
	v_add_co_ci_u32_e32 v3, vcc_lo, 0, v3, vcc_lo
	v_add_co_u32 v4, vcc_lo, v4, 64
	v_add_co_ci_u32_e32 v5, vcc_lo, 0, v5, vcc_lo
	s_add_i32 s7, s7, 8
	s_waitcnt vmcnt(1)
	ds_store_b64 v14, v[18:19]
	s_waitcnt vmcnt(0)
	ds_store_b64 v15, v[20:21]
	s_waitcnt lgkmcnt(0)
	s_barrier
	buffer_gl0_inv
	ds_load_2addr_b64 v[18:21], v10 offset1:16
	ds_load_b128 v[22:25], v11
	ds_load_b128 v[26:29], v11 offset:1024
	ds_load_b128 v[30:33], v11 offset:16
	ds_load_2addr_b64 v[34:37], v10 offset0:32 offset1:48
	ds_load_b128 v[38:41], v11 offset:32
	ds_load_b128 v[42:45], v11 offset:48
	ds_load_2addr_b64 v[46:49], v10 offset0:64 offset1:80
	ds_load_b128 v[50:53], v11 offset:1040
	ds_load_2addr_b64 v[54:57], v10 offset0:96 offset1:112
	ds_load_2addr_b64 v[58:61], v10 offset0:128 offset1:144
	;; [unrolled: 1-line block ×4, first 2 shown]
	ds_load_b128 v[70:73], v11 offset:1056
	ds_load_b128 v[74:77], v11 offset:1072
	ds_load_2addr_b64 v[78:81], v10 offset0:224 offset1:240
	s_cmp_ge_i32 s7, s5
	s_waitcnt lgkmcnt(0)
	s_barrier
	buffer_gl0_inv
	v_dual_mul_f32 v82, v23, v19 :: v_dual_mul_f32 v85, v22, v21
	v_dual_mul_f32 v83, v22, v19 :: v_dual_mul_f32 v84, v23, v21
	v_mul_f32_e32 v86, v27, v19
	v_dual_mul_f32 v19, v26, v19 :: v_dual_mul_f32 v90, v25, v37
	v_dual_mul_f32 v87, v27, v21 :: v_dual_mul_f32 v88, v25, v35
	v_mul_f32_e32 v21, v26, v21
	v_fma_f32 v82, v22, v18, -v82
	v_fmac_f32_e32 v83, v23, v18
	v_fma_f32 v22, v22, v20, -v84
	v_fmac_f32_e32 v85, v23, v20
	v_fma_f32 v23, v26, v18, -v86
	v_dual_fmac_f32 v19, v27, v18 :: v_dual_mul_f32 v86, v30, v47
	v_fma_f32 v18, v26, v20, -v87
	v_dual_fmac_f32 v21, v27, v20 :: v_dual_mul_f32 v20, v24, v37
	v_mul_f32_e32 v89, v24, v35
	v_mul_f32_e32 v26, v29, v35
	;; [unrolled: 1-line block ×4, first 2 shown]
	v_fmac_f32_e32 v20, v25, v36
	v_fmac_f32_e32 v89, v25, v34
	v_dual_mul_f32 v25, v28, v37 :: v_dual_fmac_f32 v86, v31, v46
	v_fma_f32 v84, v24, v34, -v88
	v_fma_f32 v24, v24, v36, -v90
	v_dual_mul_f32 v37, v31, v47 :: v_dual_mul_f32 v90, v33, v57
	v_fma_f32 v26, v28, v34, -v26
	v_fma_f32 v28, v28, v36, -v35
	v_fmac_f32_e32 v25, v29, v36
	v_dual_mul_f32 v35, v50, v47 :: v_dual_mul_f32 v36, v51, v49
	v_dual_fmac_f32 v27, v29, v34 :: v_dual_mul_f32 v34, v51, v47
	v_dual_mul_f32 v88, v32, v55 :: v_dual_mul_f32 v29, v30, v49
	v_mul_f32_e32 v87, v31, v49
	v_fma_f32 v37, v30, v46, -v37
	v_add_f32_e32 v16, v16, v82
	s_delay_alu instid0(VALU_DEP_4)
	v_dual_fmac_f32 v88, v33, v54 :: v_dual_fmac_f32 v29, v31, v48
	v_fma_f32 v31, v50, v46, -v34
	v_fma_f32 v34, v50, v48, -v36
	v_mul_f32_e32 v36, v32, v57
	v_mul_f32_e32 v47, v50, v49
	v_dual_mul_f32 v50, v53, v57 :: v_dual_fmac_f32 v35, v51, v46
	v_mul_f32_e32 v46, v53, v55
	v_mul_f32_e32 v49, v33, v55
	v_fma_f32 v30, v30, v48, -v87
	v_fmac_f32_e32 v36, v33, v56
	v_dual_fmac_f32 v47, v51, v48 :: v_dual_mul_f32 v48, v52, v55
	v_mul_f32_e32 v33, v52, v57
	v_fma_f32 v46, v52, v54, -v46
	v_fma_f32 v50, v52, v56, -v50
	v_mul_f32_e32 v52, v38, v61
	v_fma_f32 v49, v32, v54, -v49
	v_fma_f32 v32, v32, v56, -v90
	v_dual_mul_f32 v51, v39, v59 :: v_dual_fmac_f32 v48, v53, v54
	v_mul_f32_e32 v54, v70, v59
	v_dual_mul_f32 v55, v38, v59 :: v_dual_fmac_f32 v52, v39, v60
	v_fmac_f32_e32 v33, v53, v56
	v_mul_f32_e32 v53, v71, v59
	v_mul_f32_e32 v56, v71, v61
	v_mul_f32_e32 v57, v39, v61
	v_fmac_f32_e32 v54, v71, v58
	v_fmac_f32_e32 v55, v39, v58
	v_fma_f32 v39, v70, v58, -v53
	v_fma_f32 v53, v70, v60, -v56
	v_mul_f32_e32 v56, v40, v65
	v_mul_f32_e32 v59, v70, v61
	v_fma_f32 v51, v38, v58, -v51
	v_mul_f32_e32 v58, v72, v63
	v_mul_f32_e32 v87, v40, v63
	;; [unrolled: 1-line block ×4, first 2 shown]
	v_fma_f32 v38, v38, v60, -v57
	v_mul_f32_e32 v57, v73, v63
	v_fmac_f32_e32 v56, v41, v64
	v_dual_fmac_f32 v59, v71, v60 :: v_dual_mul_f32 v60, v73, v65
	v_mul_f32_e32 v63, v43, v67
	v_mul_f32_e32 v70, v43, v69
	v_fmac_f32_e32 v58, v73, v62
	v_fmac_f32_e32 v87, v41, v62
	v_mul_f32_e32 v41, v72, v65
	v_fma_f32 v61, v40, v62, -v61
	v_fma_f32 v40, v40, v64, -v90
	v_mul_f32_e32 v65, v42, v67
	v_fma_f32 v57, v72, v62, -v57
	v_fma_f32 v60, v72, v64, -v60
	v_dual_fmac_f32 v41, v73, v64 :: v_dual_mul_f32 v62, v42, v69
	v_mul_f32_e32 v64, v75, v67
	v_fma_f32 v63, v42, v66, -v63
	v_fma_f32 v42, v42, v68, -v70
	v_mul_f32_e32 v70, v76, v79
	v_mul_f32_e32 v67, v74, v67
	;; [unrolled: 1-line block ×3, first 2 shown]
	v_dual_mul_f32 v69, v74, v69 :: v_dual_add_f32 v0, v0, v19
	v_mul_f32_e32 v73, v44, v79
	v_dual_fmac_f32 v65, v43, v66 :: v_dual_add_f32 v12, v12, v85
	v_fmac_f32_e32 v62, v43, v68
	v_fma_f32 v43, v74, v66, -v64
	v_fmac_f32_e32 v70, v77, v78
	v_dual_fmac_f32 v67, v75, v66 :: v_dual_add_f32 v16, v16, v84
	v_mul_f32_e32 v66, v44, v81
	v_mul_f32_e32 v72, v45, v79
	v_dual_mul_f32 v90, v45, v81 :: v_dual_fmac_f32 v69, v75, v68
	v_add_f32_e32 v8, v8, v18
	v_dual_fmac_f32 v73, v45, v78 :: v_dual_add_f32 v0, v0, v27
	v_dual_fmac_f32 v66, v45, v80 :: v_dual_mul_f32 v45, v76, v81
	v_fma_f32 v64, v74, v68, -v71
	v_dual_mul_f32 v71, v77, v81 :: v_dual_add_f32 v12, v12, v20
	v_dual_add_f32 v17, v17, v83 :: v_dual_add_f32 v8, v8, v28
	s_delay_alu instid0(VALU_DEP_4) | instskip(NEXT) | instid1(VALU_DEP_3)
	v_dual_fmac_f32 v45, v77, v80 :: v_dual_add_f32 v16, v16, v37
	v_dual_add_f32 v13, v13, v22 :: v_dual_add_f32 v12, v12, v29
	s_delay_alu instid0(VALU_DEP_3) | instskip(SKIP_1) | instid1(VALU_DEP_3)
	v_dual_add_f32 v9, v9, v23 :: v_dual_add_f32 v8, v8, v34
	v_dual_add_f32 v1, v1, v21 :: v_dual_add_f32 v0, v0, v35
	;; [unrolled: 1-line block ×3, first 2 shown]
	s_delay_alu instid0(VALU_DEP_4) | instskip(NEXT) | instid1(VALU_DEP_3)
	v_dual_add_f32 v13, v13, v24 :: v_dual_add_f32 v16, v16, v49
	v_dual_add_f32 v9, v9, v26 :: v_dual_add_f32 v0, v0, v48
	s_delay_alu instid0(VALU_DEP_4) | instskip(NEXT) | instid1(VALU_DEP_3)
	v_dual_add_f32 v1, v1, v25 :: v_dual_add_f32 v8, v8, v50
	v_dual_add_f32 v17, v17, v86 :: v_dual_add_f32 v16, v16, v51
	s_delay_alu instid0(VALU_DEP_4) | instskip(NEXT) | instid1(VALU_DEP_4)
	v_dual_add_f32 v13, v13, v30 :: v_dual_add_f32 v12, v12, v52
	v_dual_add_f32 v9, v9, v31 :: v_dual_add_f32 v0, v0, v54
	s_delay_alu instid0(VALU_DEP_4) | instskip(NEXT) | instid1(VALU_DEP_4)
	v_dual_add_f32 v1, v1, v47 :: v_dual_add_f32 v8, v8, v53
	v_dual_add_f32 v17, v17, v88 :: v_dual_add_f32 v16, v16, v61
	s_delay_alu instid0(VALU_DEP_3) | instskip(NEXT) | instid1(VALU_DEP_4)
	v_dual_add_f32 v13, v13, v32 :: v_dual_add_f32 v0, v0, v58
	v_dual_add_f32 v9, v9, v46 :: v_dual_add_f32 v12, v12, v56
	s_delay_alu instid0(VALU_DEP_4) | instskip(SKIP_1) | instid1(VALU_DEP_3)
	v_dual_add_f32 v1, v1, v33 :: v_dual_add_f32 v8, v8, v60
	v_fma_f32 v72, v44, v78, -v72
	v_dual_add_f32 v17, v17, v55 :: v_dual_add_f32 v12, v12, v62
	v_dual_add_f32 v13, v13, v38 :: v_dual_add_f32 v16, v16, v63
	s_delay_alu instid0(VALU_DEP_4) | instskip(SKIP_2) | instid1(VALU_DEP_4)
	v_dual_add_f32 v9, v9, v39 :: v_dual_add_f32 v8, v8, v64
	v_add_f32_e32 v1, v1, v59
	v_mul_f32_e32 v68, v77, v79
	v_add_f32_e32 v16, v16, v72
	v_fma_f32 v71, v76, v80, -v71
	v_dual_add_f32 v17, v17, v87 :: v_dual_add_f32 v12, v12, v66
	v_dual_add_f32 v13, v13, v40 :: v_dual_add_f32 v0, v0, v67
	v_add_f32_e32 v9, v9, v57
	s_delay_alu instid0(VALU_DEP_4)
	v_dual_add_f32 v1, v1, v41 :: v_dual_add_f32 v8, v8, v71
	v_fma_f32 v44, v44, v80, -v90
	v_fma_f32 v68, v76, v78, -v68
	v_add_f32_e32 v17, v17, v65
	v_add_f32_e32 v13, v13, v42
	v_dual_add_f32 v1, v1, v69 :: v_dual_add_f32 v0, v0, v70
	v_add_f32_e32 v9, v9, v43
	s_delay_alu instid0(VALU_DEP_4) | instskip(NEXT) | instid1(VALU_DEP_4)
	v_add_f32_e32 v17, v17, v73
	v_add_f32_e32 v13, v13, v44
	s_delay_alu instid0(VALU_DEP_4) | instskip(NEXT) | instid1(VALU_DEP_4)
	v_add_f32_e32 v1, v1, v45
	v_add_f32_e32 v9, v9, v68
	s_cbranch_scc0 .LBB618_2
.LBB618_3:
	s_load_b32 s5, s[0:1], 0x40
	v_add_nc_u32_e32 v7, s10, v7
	v_add_nc_u32_e32 v2, s6, v6
	s_delay_alu instid0(VALU_DEP_1) | instskip(SKIP_1) | instid1(VALU_DEP_2)
	v_cmp_le_i32_e64 s0, v7, v2
	v_cmp_gt_i32_e32 vcc_lo, s4, v2
	s_and_b32 s0, s0, vcc_lo
	s_waitcnt lgkmcnt(0)
	v_mad_i64_i32 v[3:4], null, v7, s5, 0
	s_delay_alu instid0(VALU_DEP_1) | instskip(NEXT) | instid1(VALU_DEP_1)
	v_lshlrev_b64 v[3:4], 3, v[3:4]
	v_add_co_u32 v6, s1, s2, v3
	s_delay_alu instid0(VALU_DEP_1)
	v_add_co_ci_u32_e64 v10, s1, s3, v4, s1
	s_and_saveexec_b32 s1, s0
	s_cbranch_execz .LBB618_5
; %bb.4:
	v_ashrrev_i32_e32 v3, 31, v2
	s_delay_alu instid0(VALU_DEP_1) | instskip(NEXT) | instid1(VALU_DEP_1)
	v_lshlrev_b64 v[3:4], 3, v[2:3]
	v_add_co_u32 v3, s0, v6, v3
	s_delay_alu instid0(VALU_DEP_1)
	v_add_co_ci_u32_e64 v4, s0, v10, v4, s0
	global_load_b64 v[14:15], v[3:4], off
	s_waitcnt vmcnt(0)
	v_dual_add_f32 v14, v16, v14 :: v_dual_add_f32 v15, v17, v15
	global_store_b64 v[3:4], v[14:15], off
.LBB618_5:
	s_or_b32 exec_lo, exec_lo, s1
	v_add_nc_u32_e32 v4, 16, v2
	s_delay_alu instid0(VALU_DEP_1) | instskip(SKIP_1) | instid1(VALU_DEP_1)
	v_cmp_le_i32_e64 s1, v7, v4
	v_cmp_gt_i32_e64 s0, s4, v4
	s_and_b32 s1, s1, s0
	s_delay_alu instid0(SALU_CYCLE_1)
	s_and_saveexec_b32 s4, s1
	s_cbranch_execz .LBB618_7
; %bb.6:
	v_ashrrev_i32_e32 v5, 31, v4
	s_delay_alu instid0(VALU_DEP_1) | instskip(NEXT) | instid1(VALU_DEP_1)
	v_lshlrev_b64 v[14:15], 3, v[4:5]
	v_add_co_u32 v5, s1, v6, v14
	s_delay_alu instid0(VALU_DEP_1)
	v_add_co_ci_u32_e64 v6, s1, v10, v15, s1
	global_load_b64 v[10:11], v[5:6], off
	s_waitcnt vmcnt(0)
	v_dual_add_f32 v10, v13, v10 :: v_dual_add_f32 v11, v12, v11
	global_store_b64 v[5:6], v[10:11], off
.LBB618_7:
	s_or_b32 exec_lo, exec_lo, s4
	v_add_nc_u32_e32 v5, 16, v7
	s_delay_alu instid0(VALU_DEP_1) | instskip(SKIP_1) | instid1(VALU_DEP_2)
	v_mad_i64_i32 v[6:7], null, v5, s5, 0
	v_cmp_le_i32_e64 s1, v5, v2
	v_lshlrev_b64 v[6:7], 3, v[6:7]
	s_delay_alu instid0(VALU_DEP_1) | instskip(NEXT) | instid1(VALU_DEP_1)
	v_add_co_u32 v6, s2, s2, v6
	v_add_co_ci_u32_e64 v7, s2, s3, v7, s2
	s_delay_alu instid0(VALU_DEP_4) | instskip(NEXT) | instid1(SALU_CYCLE_1)
	s_and_b32 s2, s1, vcc_lo
	s_and_saveexec_b32 s1, s2
	s_cbranch_execz .LBB618_9
; %bb.8:
	v_ashrrev_i32_e32 v3, 31, v2
	s_delay_alu instid0(VALU_DEP_1) | instskip(NEXT) | instid1(VALU_DEP_1)
	v_lshlrev_b64 v[2:3], 3, v[2:3]
	v_add_co_u32 v2, vcc_lo, v6, v2
	s_delay_alu instid0(VALU_DEP_2)
	v_add_co_ci_u32_e32 v3, vcc_lo, v7, v3, vcc_lo
	global_load_b64 v[10:11], v[2:3], off
	s_waitcnt vmcnt(0)
	v_dual_add_f32 v9, v9, v10 :: v_dual_add_f32 v10, v0, v11
	global_store_b64 v[2:3], v[9:10], off
.LBB618_9:
	s_or_b32 exec_lo, exec_lo, s1
	v_cmp_le_i32_e32 vcc_lo, v5, v4
	s_and_b32 s0, vcc_lo, s0
	s_delay_alu instid0(SALU_CYCLE_1)
	s_and_saveexec_b32 s1, s0
	s_cbranch_execz .LBB618_11
; %bb.10:
	v_ashrrev_i32_e32 v5, 31, v4
	s_delay_alu instid0(VALU_DEP_1) | instskip(NEXT) | instid1(VALU_DEP_1)
	v_lshlrev_b64 v[2:3], 3, v[4:5]
	v_add_co_u32 v2, vcc_lo, v6, v2
	s_delay_alu instid0(VALU_DEP_2)
	v_add_co_ci_u32_e32 v3, vcc_lo, v7, v3, vcc_lo
	global_load_b64 v[4:5], v[2:3], off
	s_waitcnt vmcnt(0)
	v_dual_add_f32 v0, v8, v4 :: v_dual_add_f32 v1, v1, v5
	global_store_b64 v[2:3], v[0:1], off
.LBB618_11:
	s_nop 0
	s_sendmsg sendmsg(MSG_DEALLOC_VGPRS)
	s_endpgm
	.section	.rodata,"a",@progbits
	.p2align	6, 0x0
	.amdhsa_kernel _ZL37rocblas_syrkx_herkx_restricted_kernelIi19rocblas_complex_numIfELi16ELi32ELi8ELi1ELi1ELb0ELc84ELc76EKPKS1_KPS1_EviT_PT9_S7_lS9_S7_lPT10_S7_li
		.amdhsa_group_segment_fixed_size 4096
		.amdhsa_private_segment_fixed_size 0
		.amdhsa_kernarg_size 84
		.amdhsa_user_sgpr_count 13
		.amdhsa_user_sgpr_dispatch_ptr 0
		.amdhsa_user_sgpr_queue_ptr 0
		.amdhsa_user_sgpr_kernarg_segment_ptr 1
		.amdhsa_user_sgpr_dispatch_id 0
		.amdhsa_user_sgpr_private_segment_size 0
		.amdhsa_wavefront_size32 1
		.amdhsa_uses_dynamic_stack 0
		.amdhsa_enable_private_segment 0
		.amdhsa_system_sgpr_workgroup_id_x 1
		.amdhsa_system_sgpr_workgroup_id_y 1
		.amdhsa_system_sgpr_workgroup_id_z 1
		.amdhsa_system_sgpr_workgroup_info 0
		.amdhsa_system_vgpr_workitem_id 1
		.amdhsa_next_free_vgpr 91
		.amdhsa_next_free_sgpr 17
		.amdhsa_reserve_vcc 1
		.amdhsa_float_round_mode_32 0
		.amdhsa_float_round_mode_16_64 0
		.amdhsa_float_denorm_mode_32 3
		.amdhsa_float_denorm_mode_16_64 3
		.amdhsa_dx10_clamp 1
		.amdhsa_ieee_mode 1
		.amdhsa_fp16_overflow 0
		.amdhsa_workgroup_processor_mode 1
		.amdhsa_memory_ordered 1
		.amdhsa_forward_progress 0
		.amdhsa_shared_vgpr_count 0
		.amdhsa_exception_fp_ieee_invalid_op 0
		.amdhsa_exception_fp_denorm_src 0
		.amdhsa_exception_fp_ieee_div_zero 0
		.amdhsa_exception_fp_ieee_overflow 0
		.amdhsa_exception_fp_ieee_underflow 0
		.amdhsa_exception_fp_ieee_inexact 0
		.amdhsa_exception_int_div_zero 0
	.end_amdhsa_kernel
	.section	.text._ZL37rocblas_syrkx_herkx_restricted_kernelIi19rocblas_complex_numIfELi16ELi32ELi8ELi1ELi1ELb0ELc84ELc76EKPKS1_KPS1_EviT_PT9_S7_lS9_S7_lPT10_S7_li,"axG",@progbits,_ZL37rocblas_syrkx_herkx_restricted_kernelIi19rocblas_complex_numIfELi16ELi32ELi8ELi1ELi1ELb0ELc84ELc76EKPKS1_KPS1_EviT_PT9_S7_lS9_S7_lPT10_S7_li,comdat
.Lfunc_end618:
	.size	_ZL37rocblas_syrkx_herkx_restricted_kernelIi19rocblas_complex_numIfELi16ELi32ELi8ELi1ELi1ELb0ELc84ELc76EKPKS1_KPS1_EviT_PT9_S7_lS9_S7_lPT10_S7_li, .Lfunc_end618-_ZL37rocblas_syrkx_herkx_restricted_kernelIi19rocblas_complex_numIfELi16ELi32ELi8ELi1ELi1ELb0ELc84ELc76EKPKS1_KPS1_EviT_PT9_S7_lS9_S7_lPT10_S7_li
                                        ; -- End function
	.section	.AMDGPU.csdata,"",@progbits
; Kernel info:
; codeLenInByte = 2076
; NumSgprs: 19
; NumVgprs: 91
; ScratchSize: 0
; MemoryBound: 0
; FloatMode: 240
; IeeeMode: 1
; LDSByteSize: 4096 bytes/workgroup (compile time only)
; SGPRBlocks: 2
; VGPRBlocks: 11
; NumSGPRsForWavesPerEU: 19
; NumVGPRsForWavesPerEU: 91
; Occupancy: 16
; WaveLimiterHint : 1
; COMPUTE_PGM_RSRC2:SCRATCH_EN: 0
; COMPUTE_PGM_RSRC2:USER_SGPR: 13
; COMPUTE_PGM_RSRC2:TRAP_HANDLER: 0
; COMPUTE_PGM_RSRC2:TGID_X_EN: 1
; COMPUTE_PGM_RSRC2:TGID_Y_EN: 1
; COMPUTE_PGM_RSRC2:TGID_Z_EN: 1
; COMPUTE_PGM_RSRC2:TIDIG_COMP_CNT: 1
	.section	.text._ZL37rocblas_syrkx_herkx_restricted_kernelIi19rocblas_complex_numIfELi16ELi32ELi8ELi1ELi1ELb0ELc67ELc76EKPKS1_KPS1_EviT_PT9_S7_lS9_S7_lPT10_S7_li,"axG",@progbits,_ZL37rocblas_syrkx_herkx_restricted_kernelIi19rocblas_complex_numIfELi16ELi32ELi8ELi1ELi1ELb0ELc67ELc76EKPKS1_KPS1_EviT_PT9_S7_lS9_S7_lPT10_S7_li,comdat
	.globl	_ZL37rocblas_syrkx_herkx_restricted_kernelIi19rocblas_complex_numIfELi16ELi32ELi8ELi1ELi1ELb0ELc67ELc76EKPKS1_KPS1_EviT_PT9_S7_lS9_S7_lPT10_S7_li ; -- Begin function _ZL37rocblas_syrkx_herkx_restricted_kernelIi19rocblas_complex_numIfELi16ELi32ELi8ELi1ELi1ELb0ELc67ELc76EKPKS1_KPS1_EviT_PT9_S7_lS9_S7_lPT10_S7_li
	.p2align	8
	.type	_ZL37rocblas_syrkx_herkx_restricted_kernelIi19rocblas_complex_numIfELi16ELi32ELi8ELi1ELi1ELb0ELc67ELc76EKPKS1_KPS1_EviT_PT9_S7_lS9_S7_lPT10_S7_li,@function
_ZL37rocblas_syrkx_herkx_restricted_kernelIi19rocblas_complex_numIfELi16ELi32ELi8ELi1ELi1ELb0ELc67ELc76EKPKS1_KPS1_EviT_PT9_S7_lS9_S7_lPT10_S7_li: ; @_ZL37rocblas_syrkx_herkx_restricted_kernelIi19rocblas_complex_numIfELi16ELi32ELi8ELi1ELi1ELb0ELc67ELc76EKPKS1_KPS1_EviT_PT9_S7_lS9_S7_lPT10_S7_li
; %bb.0:
	s_clause 0x1
	s_load_b64 s[2:3], s[0:1], 0x38
	s_load_b64 s[4:5], s[0:1], 0x0
	s_mov_b32 s6, s15
	s_mov_b32 s7, 0
	v_dual_mov_b32 v17, 0 :: v_dual_and_b32 v6, 0x3ff, v0
	s_lshl_b64 s[8:9], s[6:7], 3
	v_bfe_u32 v7, v0, 10, 10
	v_dual_mov_b32 v16, 0 :: v_dual_mov_b32 v13, 0
	v_dual_mov_b32 v12, 0 :: v_dual_mov_b32 v9, 0
	;; [unrolled: 1-line block ×3, first 2 shown]
	v_mov_b32_e32 v8, 0
	s_waitcnt lgkmcnt(0)
	s_add_u32 s2, s2, s8
	s_addc_u32 s3, s3, s9
	s_lshl_b32 s6, s13, 5
	s_load_b64 s[2:3], s[2:3], 0x0
	s_lshl_b32 s10, s14, 5
	s_cmp_lt_i32 s5, 1
	s_cbranch_scc1 .LBB619_3
; %bb.1:
	s_clause 0x3
	s_load_b64 s[12:13], s[0:1], 0x8
	s_load_b64 s[14:15], s[0:1], 0x20
	s_load_b32 s11, s[0:1], 0x10
	s_load_b32 s16, s[0:1], 0x28
	v_lshl_add_u32 v2, v7, 4, v6
	v_dual_mov_b32 v1, 0 :: v_dual_and_b32 v0, 7, v6
	v_lshlrev_b32_e32 v10, 3, v6
	v_lshl_add_u32 v11, v7, 6, 0x800
	s_delay_alu instid0(VALU_DEP_4)
	v_and_b32_e32 v14, 31, v2
	v_lshrrev_b32_e32 v9, 3, v2
	v_lshrrev_b32_e32 v2, 5, v2
	v_mov_b32_e32 v3, v1
	v_mov_b32_e32 v16, v1
	v_add_nc_u32_e32 v8, s6, v14
	v_add_nc_u32_e32 v15, s10, v9
	v_mov_b32_e32 v17, v1
	s_waitcnt lgkmcnt(0)
	s_add_u32 s12, s12, s8
	s_addc_u32 s13, s13, s9
	s_add_u32 s8, s14, s8
	s_load_b64 s[12:13], s[12:13], 0x0
	s_addc_u32 s9, s15, s9
	v_mad_i64_i32 v[4:5], null, s11, v8, v[2:3]
	v_mov_b32_e32 v8, v1
	s_load_b64 s[8:9], s[8:9], 0x0
	v_lshlrev_b32_e32 v3, 3, v0
	v_mad_i64_i32 v[12:13], null, s16, v15, v[0:1]
	v_mov_b32_e32 v0, v1
	s_delay_alu instid0(VALU_DEP_3) | instskip(SKIP_3) | instid1(VALU_DEP_4)
	v_lshl_or_b32 v15, v9, 6, v3
	v_lshlrev_b64 v[3:4], 3, v[4:5]
	v_dual_mov_b32 v9, v1 :: v_dual_lshlrev_b32 v14, 3, v14
	v_lshlrev_b64 v[12:13], 3, v[12:13]
	v_add_nc_u32_e32 v15, 0x800, v15
	s_delay_alu instid0(VALU_DEP_3)
	v_lshl_or_b32 v14, v2, 8, v14
	s_waitcnt lgkmcnt(0)
	v_add_co_u32 v2, vcc_lo, v3, s12
	v_add_co_ci_u32_e32 v3, vcc_lo, s13, v4, vcc_lo
	v_add_co_u32 v4, vcc_lo, v12, s8
	v_mov_b32_e32 v12, v1
	v_add_co_ci_u32_e32 v5, vcc_lo, s9, v13, vcc_lo
	v_add_co_u32 v2, vcc_lo, v2, 4
	v_add_co_ci_u32_e32 v3, vcc_lo, 0, v3, vcc_lo
	v_add_co_u32 v4, vcc_lo, v4, 4
	s_delay_alu instid0(VALU_DEP_4)
	v_add_co_ci_u32_e32 v5, vcc_lo, 0, v5, vcc_lo
	v_mov_b32_e32 v13, v1
.LBB619_2:                              ; =>This Inner Loop Header: Depth=1
	global_load_b64 v[18:19], v[2:3], off offset:-4
	global_load_b64 v[20:21], v[4:5], off offset:-4
	v_add_co_u32 v2, vcc_lo, v2, 64
	v_add_co_ci_u32_e32 v3, vcc_lo, 0, v3, vcc_lo
	v_add_co_u32 v4, vcc_lo, v4, 64
	v_add_co_ci_u32_e32 v5, vcc_lo, 0, v5, vcc_lo
	s_add_i32 s7, s7, 8
	s_waitcnt vmcnt(1)
	ds_store_b64 v14, v[18:19]
	s_waitcnt vmcnt(0)
	ds_store_b64 v15, v[20:21]
	s_waitcnt lgkmcnt(0)
	s_barrier
	buffer_gl0_inv
	ds_load_2addr_b64 v[18:21], v10 offset1:16
	ds_load_b128 v[22:25], v11
	ds_load_b128 v[26:29], v11 offset:1024
	ds_load_b128 v[30:33], v11 offset:16
	ds_load_2addr_b64 v[34:37], v10 offset0:32 offset1:48
	ds_load_b128 v[38:41], v11 offset:32
	ds_load_b128 v[42:45], v11 offset:48
	ds_load_2addr_b64 v[46:49], v10 offset0:64 offset1:80
	ds_load_b128 v[50:53], v11 offset:1040
	ds_load_2addr_b64 v[54:57], v10 offset0:96 offset1:112
	ds_load_2addr_b64 v[58:61], v10 offset0:128 offset1:144
	;; [unrolled: 1-line block ×4, first 2 shown]
	ds_load_b128 v[70:73], v11 offset:1056
	ds_load_b128 v[74:77], v11 offset:1072
	ds_load_2addr_b64 v[78:81], v10 offset0:224 offset1:240
	s_cmp_ge_i32 s7, s5
	s_waitcnt lgkmcnt(0)
	s_barrier
	buffer_gl0_inv
	v_dual_mul_f32 v82, v23, v19 :: v_dual_mul_f32 v85, v22, v21
	v_dual_mul_f32 v83, v22, v19 :: v_dual_mul_f32 v84, v23, v21
	v_mul_f32_e32 v86, v27, v19
	v_dual_mul_f32 v19, v26, v19 :: v_dual_mul_f32 v90, v25, v37
	v_dual_mul_f32 v87, v27, v21 :: v_dual_mul_f32 v88, v25, v35
	v_mul_f32_e32 v21, v26, v21
	v_fma_f32 v82, v22, v18, -v82
	v_fmac_f32_e32 v83, v23, v18
	v_fma_f32 v22, v22, v20, -v84
	v_fmac_f32_e32 v85, v23, v20
	v_fma_f32 v23, v26, v18, -v86
	v_dual_fmac_f32 v19, v27, v18 :: v_dual_mul_f32 v86, v30, v47
	v_fma_f32 v18, v26, v20, -v87
	v_dual_fmac_f32 v21, v27, v20 :: v_dual_mul_f32 v20, v24, v37
	v_mul_f32_e32 v89, v24, v35
	v_mul_f32_e32 v26, v29, v35
	;; [unrolled: 1-line block ×4, first 2 shown]
	v_fmac_f32_e32 v20, v25, v36
	v_fmac_f32_e32 v89, v25, v34
	v_dual_mul_f32 v25, v28, v37 :: v_dual_fmac_f32 v86, v31, v46
	v_fma_f32 v84, v24, v34, -v88
	v_fma_f32 v24, v24, v36, -v90
	v_dual_mul_f32 v37, v31, v47 :: v_dual_mul_f32 v90, v33, v57
	v_fma_f32 v26, v28, v34, -v26
	v_fma_f32 v28, v28, v36, -v35
	v_fmac_f32_e32 v25, v29, v36
	v_dual_mul_f32 v35, v50, v47 :: v_dual_mul_f32 v36, v51, v49
	v_dual_fmac_f32 v27, v29, v34 :: v_dual_mul_f32 v34, v51, v47
	v_dual_mul_f32 v88, v32, v55 :: v_dual_mul_f32 v29, v30, v49
	v_mul_f32_e32 v87, v31, v49
	v_fma_f32 v37, v30, v46, -v37
	v_add_f32_e32 v16, v16, v82
	s_delay_alu instid0(VALU_DEP_4)
	v_dual_fmac_f32 v88, v33, v54 :: v_dual_fmac_f32 v29, v31, v48
	v_fma_f32 v31, v50, v46, -v34
	v_fma_f32 v34, v50, v48, -v36
	v_mul_f32_e32 v36, v32, v57
	v_mul_f32_e32 v47, v50, v49
	v_dual_mul_f32 v50, v53, v57 :: v_dual_fmac_f32 v35, v51, v46
	v_mul_f32_e32 v46, v53, v55
	v_mul_f32_e32 v49, v33, v55
	v_fma_f32 v30, v30, v48, -v87
	v_fmac_f32_e32 v36, v33, v56
	v_dual_fmac_f32 v47, v51, v48 :: v_dual_mul_f32 v48, v52, v55
	v_mul_f32_e32 v33, v52, v57
	v_fma_f32 v46, v52, v54, -v46
	v_fma_f32 v50, v52, v56, -v50
	v_mul_f32_e32 v52, v38, v61
	v_fma_f32 v49, v32, v54, -v49
	v_fma_f32 v32, v32, v56, -v90
	v_dual_mul_f32 v51, v39, v59 :: v_dual_fmac_f32 v48, v53, v54
	v_mul_f32_e32 v54, v70, v59
	v_dual_mul_f32 v55, v38, v59 :: v_dual_fmac_f32 v52, v39, v60
	v_fmac_f32_e32 v33, v53, v56
	v_mul_f32_e32 v53, v71, v59
	v_mul_f32_e32 v56, v71, v61
	;; [unrolled: 1-line block ×3, first 2 shown]
	v_fmac_f32_e32 v54, v71, v58
	v_fmac_f32_e32 v55, v39, v58
	v_fma_f32 v39, v70, v58, -v53
	v_fma_f32 v53, v70, v60, -v56
	v_mul_f32_e32 v56, v40, v65
	v_mul_f32_e32 v59, v70, v61
	v_fma_f32 v51, v38, v58, -v51
	v_mul_f32_e32 v58, v72, v63
	v_mul_f32_e32 v87, v40, v63
	;; [unrolled: 1-line block ×4, first 2 shown]
	v_fma_f32 v38, v38, v60, -v57
	v_mul_f32_e32 v57, v73, v63
	v_fmac_f32_e32 v56, v41, v64
	v_dual_fmac_f32 v59, v71, v60 :: v_dual_mul_f32 v60, v73, v65
	v_mul_f32_e32 v63, v43, v67
	v_mul_f32_e32 v70, v43, v69
	v_fmac_f32_e32 v58, v73, v62
	v_fmac_f32_e32 v87, v41, v62
	v_mul_f32_e32 v41, v72, v65
	v_fma_f32 v61, v40, v62, -v61
	v_fma_f32 v40, v40, v64, -v90
	v_mul_f32_e32 v65, v42, v67
	v_fma_f32 v57, v72, v62, -v57
	v_fma_f32 v60, v72, v64, -v60
	v_dual_fmac_f32 v41, v73, v64 :: v_dual_mul_f32 v62, v42, v69
	v_mul_f32_e32 v64, v75, v67
	v_fma_f32 v63, v42, v66, -v63
	v_fma_f32 v42, v42, v68, -v70
	v_mul_f32_e32 v70, v76, v79
	v_mul_f32_e32 v67, v74, v67
	;; [unrolled: 1-line block ×3, first 2 shown]
	v_dual_mul_f32 v69, v74, v69 :: v_dual_add_f32 v0, v0, v19
	v_mul_f32_e32 v73, v44, v79
	v_dual_fmac_f32 v65, v43, v66 :: v_dual_add_f32 v12, v12, v85
	v_fmac_f32_e32 v62, v43, v68
	v_fma_f32 v43, v74, v66, -v64
	v_fmac_f32_e32 v70, v77, v78
	v_dual_fmac_f32 v67, v75, v66 :: v_dual_add_f32 v16, v16, v84
	v_mul_f32_e32 v66, v44, v81
	v_mul_f32_e32 v72, v45, v79
	v_dual_mul_f32 v90, v45, v81 :: v_dual_fmac_f32 v69, v75, v68
	v_add_f32_e32 v8, v8, v18
	v_dual_fmac_f32 v73, v45, v78 :: v_dual_add_f32 v0, v0, v27
	v_dual_fmac_f32 v66, v45, v80 :: v_dual_mul_f32 v45, v76, v81
	v_fma_f32 v64, v74, v68, -v71
	v_dual_mul_f32 v71, v77, v81 :: v_dual_add_f32 v12, v12, v20
	v_dual_add_f32 v17, v17, v83 :: v_dual_add_f32 v8, v8, v28
	s_delay_alu instid0(VALU_DEP_4) | instskip(NEXT) | instid1(VALU_DEP_3)
	v_dual_fmac_f32 v45, v77, v80 :: v_dual_add_f32 v16, v16, v37
	v_dual_add_f32 v13, v13, v22 :: v_dual_add_f32 v12, v12, v29
	s_delay_alu instid0(VALU_DEP_3) | instskip(SKIP_1) | instid1(VALU_DEP_3)
	v_dual_add_f32 v9, v9, v23 :: v_dual_add_f32 v8, v8, v34
	v_dual_add_f32 v1, v1, v21 :: v_dual_add_f32 v0, v0, v35
	;; [unrolled: 1-line block ×3, first 2 shown]
	s_delay_alu instid0(VALU_DEP_4) | instskip(NEXT) | instid1(VALU_DEP_3)
	v_dual_add_f32 v13, v13, v24 :: v_dual_add_f32 v16, v16, v49
	v_dual_add_f32 v9, v9, v26 :: v_dual_add_f32 v0, v0, v48
	s_delay_alu instid0(VALU_DEP_4) | instskip(NEXT) | instid1(VALU_DEP_3)
	v_dual_add_f32 v1, v1, v25 :: v_dual_add_f32 v8, v8, v50
	v_dual_add_f32 v17, v17, v86 :: v_dual_add_f32 v16, v16, v51
	s_delay_alu instid0(VALU_DEP_4) | instskip(NEXT) | instid1(VALU_DEP_4)
	v_dual_add_f32 v13, v13, v30 :: v_dual_add_f32 v12, v12, v52
	v_dual_add_f32 v9, v9, v31 :: v_dual_add_f32 v0, v0, v54
	s_delay_alu instid0(VALU_DEP_4) | instskip(NEXT) | instid1(VALU_DEP_4)
	v_dual_add_f32 v1, v1, v47 :: v_dual_add_f32 v8, v8, v53
	v_dual_add_f32 v17, v17, v88 :: v_dual_add_f32 v16, v16, v61
	s_delay_alu instid0(VALU_DEP_3) | instskip(NEXT) | instid1(VALU_DEP_4)
	v_dual_add_f32 v13, v13, v32 :: v_dual_add_f32 v0, v0, v58
	v_dual_add_f32 v9, v9, v46 :: v_dual_add_f32 v12, v12, v56
	s_delay_alu instid0(VALU_DEP_4) | instskip(SKIP_1) | instid1(VALU_DEP_3)
	v_dual_add_f32 v1, v1, v33 :: v_dual_add_f32 v8, v8, v60
	v_fma_f32 v72, v44, v78, -v72
	v_dual_add_f32 v17, v17, v55 :: v_dual_add_f32 v12, v12, v62
	v_dual_add_f32 v13, v13, v38 :: v_dual_add_f32 v16, v16, v63
	s_delay_alu instid0(VALU_DEP_4) | instskip(SKIP_2) | instid1(VALU_DEP_4)
	v_dual_add_f32 v9, v9, v39 :: v_dual_add_f32 v8, v8, v64
	v_add_f32_e32 v1, v1, v59
	v_mul_f32_e32 v68, v77, v79
	v_add_f32_e32 v16, v16, v72
	v_fma_f32 v71, v76, v80, -v71
	v_dual_add_f32 v17, v17, v87 :: v_dual_add_f32 v12, v12, v66
	v_dual_add_f32 v13, v13, v40 :: v_dual_add_f32 v0, v0, v67
	v_add_f32_e32 v9, v9, v57
	s_delay_alu instid0(VALU_DEP_4)
	v_dual_add_f32 v1, v1, v41 :: v_dual_add_f32 v8, v8, v71
	v_fma_f32 v44, v44, v80, -v90
	v_fma_f32 v68, v76, v78, -v68
	v_add_f32_e32 v17, v17, v65
	v_add_f32_e32 v13, v13, v42
	v_dual_add_f32 v1, v1, v69 :: v_dual_add_f32 v0, v0, v70
	v_add_f32_e32 v9, v9, v43
	s_delay_alu instid0(VALU_DEP_4) | instskip(NEXT) | instid1(VALU_DEP_4)
	v_add_f32_e32 v17, v17, v73
	v_add_f32_e32 v13, v13, v44
	s_delay_alu instid0(VALU_DEP_4) | instskip(NEXT) | instid1(VALU_DEP_4)
	v_add_f32_e32 v1, v1, v45
	v_add_f32_e32 v9, v9, v68
	s_cbranch_scc0 .LBB619_2
.LBB619_3:
	s_load_b32 s5, s[0:1], 0x40
	v_add_nc_u32_e32 v7, s10, v7
	v_add_nc_u32_e32 v2, s6, v6
	s_delay_alu instid0(VALU_DEP_1) | instskip(SKIP_1) | instid1(VALU_DEP_2)
	v_cmp_le_i32_e64 s0, v7, v2
	v_cmp_gt_i32_e32 vcc_lo, s4, v2
	s_and_b32 s0, s0, vcc_lo
	s_waitcnt lgkmcnt(0)
	v_mad_i64_i32 v[3:4], null, v7, s5, 0
	s_delay_alu instid0(VALU_DEP_1) | instskip(NEXT) | instid1(VALU_DEP_1)
	v_lshlrev_b64 v[3:4], 3, v[3:4]
	v_add_co_u32 v6, s1, s2, v3
	s_delay_alu instid0(VALU_DEP_1)
	v_add_co_ci_u32_e64 v10, s1, s3, v4, s1
	s_and_saveexec_b32 s1, s0
	s_cbranch_execz .LBB619_5
; %bb.4:
	v_ashrrev_i32_e32 v3, 31, v2
	s_delay_alu instid0(VALU_DEP_1) | instskip(NEXT) | instid1(VALU_DEP_1)
	v_lshlrev_b64 v[3:4], 3, v[2:3]
	v_add_co_u32 v3, s0, v6, v3
	s_delay_alu instid0(VALU_DEP_1)
	v_add_co_ci_u32_e64 v4, s0, v10, v4, s0
	global_load_b64 v[14:15], v[3:4], off
	s_waitcnt vmcnt(0)
	v_dual_add_f32 v14, v16, v14 :: v_dual_add_f32 v15, v17, v15
	global_store_b64 v[3:4], v[14:15], off
.LBB619_5:
	s_or_b32 exec_lo, exec_lo, s1
	v_add_nc_u32_e32 v4, 16, v2
	s_delay_alu instid0(VALU_DEP_1) | instskip(SKIP_1) | instid1(VALU_DEP_1)
	v_cmp_le_i32_e64 s1, v7, v4
	v_cmp_gt_i32_e64 s0, s4, v4
	s_and_b32 s1, s1, s0
	s_delay_alu instid0(SALU_CYCLE_1)
	s_and_saveexec_b32 s4, s1
	s_cbranch_execz .LBB619_7
; %bb.6:
	v_ashrrev_i32_e32 v5, 31, v4
	s_delay_alu instid0(VALU_DEP_1) | instskip(NEXT) | instid1(VALU_DEP_1)
	v_lshlrev_b64 v[14:15], 3, v[4:5]
	v_add_co_u32 v5, s1, v6, v14
	s_delay_alu instid0(VALU_DEP_1)
	v_add_co_ci_u32_e64 v6, s1, v10, v15, s1
	global_load_b64 v[10:11], v[5:6], off
	s_waitcnt vmcnt(0)
	v_dual_add_f32 v10, v13, v10 :: v_dual_add_f32 v11, v12, v11
	global_store_b64 v[5:6], v[10:11], off
.LBB619_7:
	s_or_b32 exec_lo, exec_lo, s4
	v_add_nc_u32_e32 v5, 16, v7
	s_delay_alu instid0(VALU_DEP_1) | instskip(SKIP_1) | instid1(VALU_DEP_2)
	v_mad_i64_i32 v[6:7], null, v5, s5, 0
	v_cmp_le_i32_e64 s1, v5, v2
	v_lshlrev_b64 v[6:7], 3, v[6:7]
	s_delay_alu instid0(VALU_DEP_1) | instskip(NEXT) | instid1(VALU_DEP_1)
	v_add_co_u32 v6, s2, s2, v6
	v_add_co_ci_u32_e64 v7, s2, s3, v7, s2
	s_delay_alu instid0(VALU_DEP_4) | instskip(NEXT) | instid1(SALU_CYCLE_1)
	s_and_b32 s2, s1, vcc_lo
	s_and_saveexec_b32 s1, s2
	s_cbranch_execz .LBB619_9
; %bb.8:
	v_ashrrev_i32_e32 v3, 31, v2
	s_delay_alu instid0(VALU_DEP_1) | instskip(NEXT) | instid1(VALU_DEP_1)
	v_lshlrev_b64 v[2:3], 3, v[2:3]
	v_add_co_u32 v2, vcc_lo, v6, v2
	s_delay_alu instid0(VALU_DEP_2)
	v_add_co_ci_u32_e32 v3, vcc_lo, v7, v3, vcc_lo
	global_load_b64 v[10:11], v[2:3], off
	s_waitcnt vmcnt(0)
	v_dual_add_f32 v9, v9, v10 :: v_dual_add_f32 v10, v0, v11
	global_store_b64 v[2:3], v[9:10], off
.LBB619_9:
	s_or_b32 exec_lo, exec_lo, s1
	v_cmp_le_i32_e32 vcc_lo, v5, v4
	s_and_b32 s0, vcc_lo, s0
	s_delay_alu instid0(SALU_CYCLE_1)
	s_and_saveexec_b32 s1, s0
	s_cbranch_execz .LBB619_11
; %bb.10:
	v_ashrrev_i32_e32 v5, 31, v4
	s_delay_alu instid0(VALU_DEP_1) | instskip(NEXT) | instid1(VALU_DEP_1)
	v_lshlrev_b64 v[2:3], 3, v[4:5]
	v_add_co_u32 v2, vcc_lo, v6, v2
	s_delay_alu instid0(VALU_DEP_2)
	v_add_co_ci_u32_e32 v3, vcc_lo, v7, v3, vcc_lo
	global_load_b64 v[4:5], v[2:3], off
	s_waitcnt vmcnt(0)
	v_dual_add_f32 v0, v8, v4 :: v_dual_add_f32 v1, v1, v5
	global_store_b64 v[2:3], v[0:1], off
.LBB619_11:
	s_nop 0
	s_sendmsg sendmsg(MSG_DEALLOC_VGPRS)
	s_endpgm
	.section	.rodata,"a",@progbits
	.p2align	6, 0x0
	.amdhsa_kernel _ZL37rocblas_syrkx_herkx_restricted_kernelIi19rocblas_complex_numIfELi16ELi32ELi8ELi1ELi1ELb0ELc67ELc76EKPKS1_KPS1_EviT_PT9_S7_lS9_S7_lPT10_S7_li
		.amdhsa_group_segment_fixed_size 4096
		.amdhsa_private_segment_fixed_size 0
		.amdhsa_kernarg_size 84
		.amdhsa_user_sgpr_count 13
		.amdhsa_user_sgpr_dispatch_ptr 0
		.amdhsa_user_sgpr_queue_ptr 0
		.amdhsa_user_sgpr_kernarg_segment_ptr 1
		.amdhsa_user_sgpr_dispatch_id 0
		.amdhsa_user_sgpr_private_segment_size 0
		.amdhsa_wavefront_size32 1
		.amdhsa_uses_dynamic_stack 0
		.amdhsa_enable_private_segment 0
		.amdhsa_system_sgpr_workgroup_id_x 1
		.amdhsa_system_sgpr_workgroup_id_y 1
		.amdhsa_system_sgpr_workgroup_id_z 1
		.amdhsa_system_sgpr_workgroup_info 0
		.amdhsa_system_vgpr_workitem_id 1
		.amdhsa_next_free_vgpr 91
		.amdhsa_next_free_sgpr 17
		.amdhsa_reserve_vcc 1
		.amdhsa_float_round_mode_32 0
		.amdhsa_float_round_mode_16_64 0
		.amdhsa_float_denorm_mode_32 3
		.amdhsa_float_denorm_mode_16_64 3
		.amdhsa_dx10_clamp 1
		.amdhsa_ieee_mode 1
		.amdhsa_fp16_overflow 0
		.amdhsa_workgroup_processor_mode 1
		.amdhsa_memory_ordered 1
		.amdhsa_forward_progress 0
		.amdhsa_shared_vgpr_count 0
		.amdhsa_exception_fp_ieee_invalid_op 0
		.amdhsa_exception_fp_denorm_src 0
		.amdhsa_exception_fp_ieee_div_zero 0
		.amdhsa_exception_fp_ieee_overflow 0
		.amdhsa_exception_fp_ieee_underflow 0
		.amdhsa_exception_fp_ieee_inexact 0
		.amdhsa_exception_int_div_zero 0
	.end_amdhsa_kernel
	.section	.text._ZL37rocblas_syrkx_herkx_restricted_kernelIi19rocblas_complex_numIfELi16ELi32ELi8ELi1ELi1ELb0ELc67ELc76EKPKS1_KPS1_EviT_PT9_S7_lS9_S7_lPT10_S7_li,"axG",@progbits,_ZL37rocblas_syrkx_herkx_restricted_kernelIi19rocblas_complex_numIfELi16ELi32ELi8ELi1ELi1ELb0ELc67ELc76EKPKS1_KPS1_EviT_PT9_S7_lS9_S7_lPT10_S7_li,comdat
.Lfunc_end619:
	.size	_ZL37rocblas_syrkx_herkx_restricted_kernelIi19rocblas_complex_numIfELi16ELi32ELi8ELi1ELi1ELb0ELc67ELc76EKPKS1_KPS1_EviT_PT9_S7_lS9_S7_lPT10_S7_li, .Lfunc_end619-_ZL37rocblas_syrkx_herkx_restricted_kernelIi19rocblas_complex_numIfELi16ELi32ELi8ELi1ELi1ELb0ELc67ELc76EKPKS1_KPS1_EviT_PT9_S7_lS9_S7_lPT10_S7_li
                                        ; -- End function
	.section	.AMDGPU.csdata,"",@progbits
; Kernel info:
; codeLenInByte = 2076
; NumSgprs: 19
; NumVgprs: 91
; ScratchSize: 0
; MemoryBound: 0
; FloatMode: 240
; IeeeMode: 1
; LDSByteSize: 4096 bytes/workgroup (compile time only)
; SGPRBlocks: 2
; VGPRBlocks: 11
; NumSGPRsForWavesPerEU: 19
; NumVGPRsForWavesPerEU: 91
; Occupancy: 16
; WaveLimiterHint : 1
; COMPUTE_PGM_RSRC2:SCRATCH_EN: 0
; COMPUTE_PGM_RSRC2:USER_SGPR: 13
; COMPUTE_PGM_RSRC2:TRAP_HANDLER: 0
; COMPUTE_PGM_RSRC2:TGID_X_EN: 1
; COMPUTE_PGM_RSRC2:TGID_Y_EN: 1
; COMPUTE_PGM_RSRC2:TGID_Z_EN: 1
; COMPUTE_PGM_RSRC2:TIDIG_COMP_CNT: 1
	.section	.text._ZL37rocblas_syrkx_herkx_restricted_kernelIi19rocblas_complex_numIfELi16ELi32ELi8ELi1ELi1ELb0ELc78ELc76EKPKS1_KPS1_EviT_PT9_S7_lS9_S7_lPT10_S7_li,"axG",@progbits,_ZL37rocblas_syrkx_herkx_restricted_kernelIi19rocblas_complex_numIfELi16ELi32ELi8ELi1ELi1ELb0ELc78ELc76EKPKS1_KPS1_EviT_PT9_S7_lS9_S7_lPT10_S7_li,comdat
	.globl	_ZL37rocblas_syrkx_herkx_restricted_kernelIi19rocblas_complex_numIfELi16ELi32ELi8ELi1ELi1ELb0ELc78ELc76EKPKS1_KPS1_EviT_PT9_S7_lS9_S7_lPT10_S7_li ; -- Begin function _ZL37rocblas_syrkx_herkx_restricted_kernelIi19rocblas_complex_numIfELi16ELi32ELi8ELi1ELi1ELb0ELc78ELc76EKPKS1_KPS1_EviT_PT9_S7_lS9_S7_lPT10_S7_li
	.p2align	8
	.type	_ZL37rocblas_syrkx_herkx_restricted_kernelIi19rocblas_complex_numIfELi16ELi32ELi8ELi1ELi1ELb0ELc78ELc76EKPKS1_KPS1_EviT_PT9_S7_lS9_S7_lPT10_S7_li,@function
_ZL37rocblas_syrkx_herkx_restricted_kernelIi19rocblas_complex_numIfELi16ELi32ELi8ELi1ELi1ELb0ELc78ELc76EKPKS1_KPS1_EviT_PT9_S7_lS9_S7_lPT10_S7_li: ; @_ZL37rocblas_syrkx_herkx_restricted_kernelIi19rocblas_complex_numIfELi16ELi32ELi8ELi1ELi1ELb0ELc78ELc76EKPKS1_KPS1_EviT_PT9_S7_lS9_S7_lPT10_S7_li
; %bb.0:
	s_clause 0x1
	s_load_b64 s[2:3], s[0:1], 0x38
	s_load_b64 s[4:5], s[0:1], 0x0
	s_mov_b32 s6, s15
	s_mov_b32 s7, 0
	v_dual_mov_b32 v17, 0 :: v_dual_and_b32 v4, 0x3ff, v0
	s_lshl_b64 s[8:9], s[6:7], 3
	v_bfe_u32 v5, v0, 10, 10
	v_dual_mov_b32 v16, 0 :: v_dual_mov_b32 v13, 0
	v_dual_mov_b32 v12, 0 :: v_dual_mov_b32 v9, 0
	;; [unrolled: 1-line block ×3, first 2 shown]
	v_mov_b32_e32 v6, 0
	s_waitcnt lgkmcnt(0)
	s_add_u32 s2, s2, s8
	s_addc_u32 s3, s3, s9
	s_lshl_b32 s6, s13, 5
	s_load_b64 s[2:3], s[2:3], 0x0
	s_lshl_b32 s12, s14, 5
	s_cmp_lt_i32 s5, 1
	s_cbranch_scc1 .LBB620_3
; %bb.1:
	s_clause 0x3
	s_load_b32 s10, s[0:1], 0x10
	s_load_b32 s14, s[0:1], 0x28
	s_load_b64 s[16:17], s[0:1], 0x8
	s_load_b64 s[18:19], s[0:1], 0x20
	v_lshl_add_u32 v0, v5, 4, v4
	v_and_b32_e32 v12, 7, v4
	v_lshlrev_b32_e32 v10, 3, v4
	v_lshl_add_u32 v11, v5, 6, 0x800
	s_delay_alu instid0(VALU_DEP_4) | instskip(SKIP_2) | instid1(VALU_DEP_3)
	v_dual_mov_b32 v16, 0 :: v_dual_and_b32 v9, 31, v0
	v_lshrrev_b32_e32 v6, 3, v0
	v_lshrrev_b32_e32 v13, 5, v0
	v_dual_mov_b32 v17, 0 :: v_dual_add_nc_u32 v2, s6, v9
	s_delay_alu instid0(VALU_DEP_3) | instskip(NEXT) | instid1(VALU_DEP_2)
	v_add_nc_u32_e32 v0, s12, v6
	v_ashrrev_i32_e32 v3, 31, v2
	s_waitcnt lgkmcnt(0)
	s_ashr_i32 s11, s10, 31
	s_ashr_i32 s15, s14, 31
	s_add_u32 s16, s16, s8
	s_addc_u32 s17, s17, s9
	s_add_u32 s8, s18, s8
	s_load_b64 s[16:17], s[16:17], 0x0
	s_addc_u32 s9, s19, s9
	v_ashrrev_i32_e32 v1, 31, v0
	s_load_b64 s[8:9], s[8:9], 0x0
	v_mad_i64_i32 v[7:8], null, s10, v13, v[2:3]
	s_delay_alu instid0(VALU_DEP_2) | instskip(NEXT) | instid1(VALU_DEP_2)
	v_mad_i64_i32 v[2:3], null, s14, v12, v[0:1]
	v_lshlrev_b64 v[0:1], 3, v[7:8]
	v_dual_mov_b32 v7, 0 :: v_dual_lshlrev_b32 v14, 3, v12
	s_delay_alu instid0(VALU_DEP_3) | instskip(SKIP_1) | instid1(VALU_DEP_3)
	v_lshlrev_b64 v[2:3], 3, v[2:3]
	v_mov_b32_e32 v8, 0
	v_lshl_or_b32 v12, v6, 6, v14
	s_waitcnt lgkmcnt(0)
	v_add_co_u32 v0, vcc_lo, v0, s16
	v_add_co_ci_u32_e32 v1, vcc_lo, s17, v1, vcc_lo
	v_add_co_u32 v2, vcc_lo, v2, s8
	v_add_co_ci_u32_e32 v3, vcc_lo, s9, v3, vcc_lo
	v_dual_mov_b32 v6, 0 :: v_dual_lshlrev_b32 v9, 3, v9
	v_add_co_u32 v0, vcc_lo, v0, 4
	v_add_co_ci_u32_e32 v1, vcc_lo, 0, v1, vcc_lo
	v_add_co_u32 v2, vcc_lo, v2, 4
	s_delay_alu instid0(VALU_DEP_4)
	v_lshl_or_b32 v14, v13, 8, v9
	v_dual_mov_b32 v12, 0 :: v_dual_add_nc_u32 v15, 0x800, v12
	v_add_co_ci_u32_e32 v3, vcc_lo, 0, v3, vcc_lo
	v_mov_b32_e32 v9, 0
	v_mov_b32_e32 v13, 0
	s_lshl_b64 s[8:9], s[10:11], 6
	s_lshl_b64 s[10:11], s[14:15], 6
.LBB620_2:                              ; =>This Inner Loop Header: Depth=1
	global_load_b64 v[18:19], v[0:1], off offset:-4
	global_load_b64 v[20:21], v[2:3], off offset:-4
	v_add_co_u32 v0, vcc_lo, v0, s8
	v_add_co_ci_u32_e32 v1, vcc_lo, s9, v1, vcc_lo
	v_add_co_u32 v2, vcc_lo, v2, s10
	v_add_co_ci_u32_e32 v3, vcc_lo, s11, v3, vcc_lo
	s_add_i32 s7, s7, 8
	s_waitcnt vmcnt(1)
	ds_store_b64 v14, v[18:19]
	s_waitcnt vmcnt(0)
	ds_store_b64 v15, v[20:21]
	s_waitcnt lgkmcnt(0)
	s_barrier
	buffer_gl0_inv
	ds_load_2addr_b64 v[18:21], v10 offset1:16
	ds_load_b128 v[22:25], v11
	ds_load_b128 v[26:29], v11 offset:1024
	ds_load_b128 v[30:33], v11 offset:16
	ds_load_2addr_b64 v[34:37], v10 offset0:32 offset1:48
	ds_load_b128 v[38:41], v11 offset:32
	ds_load_b128 v[42:45], v11 offset:48
	ds_load_2addr_b64 v[46:49], v10 offset0:64 offset1:80
	ds_load_b128 v[50:53], v11 offset:1040
	ds_load_2addr_b64 v[54:57], v10 offset0:96 offset1:112
	ds_load_2addr_b64 v[58:61], v10 offset0:128 offset1:144
	;; [unrolled: 1-line block ×4, first 2 shown]
	ds_load_b128 v[70:73], v11 offset:1056
	ds_load_b128 v[74:77], v11 offset:1072
	ds_load_2addr_b64 v[78:81], v10 offset0:224 offset1:240
	s_cmp_ge_i32 s7, s5
	s_waitcnt lgkmcnt(0)
	s_barrier
	buffer_gl0_inv
	v_dual_mul_f32 v82, v23, v19 :: v_dual_mul_f32 v85, v22, v21
	v_dual_mul_f32 v83, v22, v19 :: v_dual_mul_f32 v84, v23, v21
	v_mul_f32_e32 v86, v27, v19
	v_dual_mul_f32 v19, v26, v19 :: v_dual_mul_f32 v90, v25, v37
	v_dual_mul_f32 v87, v27, v21 :: v_dual_mul_f32 v88, v25, v35
	v_mul_f32_e32 v21, v26, v21
	v_mul_f32_e32 v89, v24, v35
	;; [unrolled: 1-line block ×3, first 2 shown]
	v_fma_f32 v82, v22, v18, -v82
	v_fmac_f32_e32 v83, v23, v18
	v_fma_f32 v22, v22, v20, -v84
	v_dual_fmac_f32 v85, v23, v20 :: v_dual_mul_f32 v84, v30, v47
	v_fma_f32 v23, v26, v18, -v86
	v_fmac_f32_e32 v19, v27, v18
	v_fma_f32 v18, v26, v20, -v87
	v_dual_mul_f32 v26, v28, v35 :: v_dual_fmac_f32 v21, v27, v20
	v_mul_f32_e32 v20, v29, v35
	v_mul_f32_e32 v27, v29, v37
	v_dual_mul_f32 v35, v28, v37 :: v_dual_fmac_f32 v84, v31, v46
	v_fma_f32 v37, v24, v34, -v88
	v_fma_f32 v24, v24, v36, -v90
	v_dual_fmac_f32 v91, v25, v36 :: v_dual_mul_f32 v90, v32, v57
	v_dual_mul_f32 v86, v31, v49 :: v_dual_fmac_f32 v89, v25, v34
	v_dual_mul_f32 v25, v31, v47 :: v_dual_mul_f32 v88, v33, v57
	v_fma_f32 v20, v28, v34, -v20
	v_fmac_f32_e32 v26, v29, v34
	v_fma_f32 v27, v28, v36, -v27
	v_dual_fmac_f32 v35, v29, v36 :: v_dual_mul_f32 v28, v51, v47
	v_dual_mul_f32 v29, v50, v47 :: v_dual_mul_f32 v34, v51, v49
	v_mul_f32_e32 v36, v50, v49
	v_mul_f32_e32 v87, v30, v49
	;; [unrolled: 1-line block ×3, first 2 shown]
	v_dual_mul_f32 v49, v32, v55 :: v_dual_fmac_f32 v90, v33, v56
	v_fma_f32 v25, v30, v46, -v25
	v_fma_f32 v30, v30, v48, -v86
	;; [unrolled: 1-line block ×3, first 2 shown]
	v_fmac_f32_e32 v36, v51, v48
	v_fmac_f32_e32 v87, v31, v48
	v_fma_f32 v31, v50, v48, -v34
	v_mul_f32_e32 v34, v53, v55
	v_mul_f32_e32 v48, v53, v57
	v_dual_mul_f32 v50, v52, v57 :: v_dual_fmac_f32 v29, v51, v46
	v_mul_f32_e32 v46, v52, v55
	v_fma_f32 v47, v32, v54, -v47
	v_fmac_f32_e32 v49, v33, v54
	v_fma_f32 v32, v32, v56, -v88
	s_delay_alu instid0(VALU_DEP_4)
	v_dual_mul_f32 v33, v39, v59 :: v_dual_fmac_f32 v46, v53, v54
	v_mul_f32_e32 v51, v38, v59
	v_mul_f32_e32 v55, v39, v61
	v_fma_f32 v34, v52, v54, -v34
	v_fma_f32 v48, v52, v56, -v48
	v_fmac_f32_e32 v50, v53, v56
	v_mul_f32_e32 v52, v71, v59
	v_dual_mul_f32 v53, v70, v59 :: v_dual_mul_f32 v86, v41, v65
	v_mul_f32_e32 v54, v71, v61
	v_dual_mul_f32 v56, v70, v61 :: v_dual_mul_f32 v59, v41, v63
	v_mul_f32_e32 v57, v38, v61
	v_mul_f32_e32 v61, v40, v63
	v_dual_mul_f32 v88, v40, v65 :: v_dual_fmac_f32 v51, v39, v58
	v_fma_f32 v33, v38, v58, -v33
	v_fmac_f32_e32 v53, v71, v58
	v_fmac_f32_e32 v56, v71, v60
	s_delay_alu instid0(VALU_DEP_4)
	v_fmac_f32_e32 v88, v41, v64
	v_fmac_f32_e32 v57, v39, v60
	v_fma_f32 v39, v70, v58, -v52
	v_fma_f32 v52, v70, v60, -v54
	v_mul_f32_e32 v54, v73, v63
	v_fma_f32 v38, v38, v60, -v55
	v_mul_f32_e32 v60, v72, v65
	v_dual_mul_f32 v55, v72, v63 :: v_dual_mul_f32 v70, v42, v69
	v_mul_f32_e32 v58, v73, v65
	v_fma_f32 v59, v40, v62, -v59
	v_fmac_f32_e32 v61, v41, v62
	v_fma_f32 v40, v40, v64, -v86
	v_dual_mul_f32 v41, v43, v67 :: v_dual_fmac_f32 v60, v73, v64
	v_dual_mul_f32 v63, v42, v67 :: v_dual_mul_f32 v86, v44, v81
	v_mul_f32_e32 v65, v43, v69
	v_fma_f32 v54, v72, v62, -v54
	v_fmac_f32_e32 v55, v73, v62
	v_fma_f32 v58, v72, v64, -v58
	v_mul_f32_e32 v72, v44, v79
	v_mul_f32_e32 v62, v75, v67
	v_dual_mul_f32 v64, v74, v67 :: v_dual_mul_f32 v67, v75, v69
	v_dual_mul_f32 v69, v74, v69 :: v_dual_fmac_f32 v70, v43, v68
	s_delay_alu instid0(VALU_DEP_2)
	v_dual_mul_f32 v71, v45, v79 :: v_dual_fmac_f32 v64, v75, v66
	v_dual_mul_f32 v73, v45, v81 :: v_dual_add_f32 v16, v16, v82
	v_fma_f32 v41, v42, v66, -v41
	v_fmac_f32_e32 v63, v43, v66
	v_fma_f32 v42, v42, v68, -v65
	v_fma_f32 v43, v74, v66, -v62
	v_dual_mul_f32 v65, v77, v79 :: v_dual_add_f32 v12, v12, v85
	v_mul_f32_e32 v66, v76, v79
	v_fma_f32 v62, v74, v68, -v67
	v_dual_mul_f32 v67, v77, v81 :: v_dual_add_f32 v8, v8, v19
	v_dual_fmac_f32 v86, v45, v80 :: v_dual_add_f32 v7, v7, v18
	v_dual_add_f32 v17, v17, v83 :: v_dual_add_f32 v6, v6, v21
	v_dual_add_f32 v13, v13, v22 :: v_dual_add_f32 v16, v16, v37
	s_delay_alu instid0(VALU_DEP_4)
	v_dual_add_f32 v9, v9, v23 :: v_dual_add_f32 v8, v8, v26
	v_dual_fmac_f32 v69, v75, v68 :: v_dual_fmac_f32 v72, v45, v78
	v_mul_f32_e32 v68, v76, v81
	v_dual_fmac_f32 v66, v77, v78 :: v_dual_add_f32 v7, v7, v27
	v_dual_add_f32 v17, v17, v89 :: v_dual_add_f32 v12, v12, v91
	v_dual_add_f32 v13, v13, v24 :: v_dual_add_f32 v6, v6, v35
	;; [unrolled: 1-line block ×3, first 2 shown]
	s_delay_alu instid0(VALU_DEP_4) | instskip(NEXT) | instid1(VALU_DEP_4)
	v_dual_fmac_f32 v68, v77, v80 :: v_dual_add_f32 v7, v7, v31
	v_dual_add_f32 v17, v17, v84 :: v_dual_add_f32 v12, v12, v87
	s_delay_alu instid0(VALU_DEP_4) | instskip(NEXT) | instid1(VALU_DEP_4)
	v_dual_add_f32 v13, v13, v30 :: v_dual_add_f32 v8, v8, v29
	v_dual_add_f32 v9, v9, v28 :: v_dual_add_f32 v16, v16, v47
	s_delay_alu instid0(VALU_DEP_3) | instskip(NEXT) | instid1(VALU_DEP_3)
	v_dual_add_f32 v6, v6, v36 :: v_dual_add_f32 v17, v17, v49
	v_dual_add_f32 v13, v13, v32 :: v_dual_add_f32 v12, v12, v90
	s_delay_alu instid0(VALU_DEP_3) | instskip(SKIP_1) | instid1(VALU_DEP_4)
	v_dual_add_f32 v9, v9, v34 :: v_dual_add_f32 v16, v16, v33
	v_dual_add_f32 v8, v8, v46 :: v_dual_add_f32 v7, v7, v48
	;; [unrolled: 1-line block ×3, first 2 shown]
	s_delay_alu instid0(VALU_DEP_4) | instskip(NEXT) | instid1(VALU_DEP_3)
	v_dual_add_f32 v13, v13, v38 :: v_dual_add_f32 v12, v12, v57
	v_dual_add_f32 v9, v9, v39 :: v_dual_add_f32 v8, v8, v53
	s_delay_alu instid0(VALU_DEP_4) | instskip(NEXT) | instid1(VALU_DEP_4)
	v_dual_add_f32 v7, v7, v52 :: v_dual_add_f32 v16, v16, v59
	v_dual_add_f32 v6, v6, v56 :: v_dual_add_f32 v17, v17, v61
	s_delay_alu instid0(VALU_DEP_3) | instskip(NEXT) | instid1(VALU_DEP_4)
	v_dual_add_f32 v13, v13, v40 :: v_dual_add_f32 v8, v8, v55
	v_dual_add_f32 v12, v12, v88 :: v_dual_add_f32 v9, v9, v54
	s_delay_alu instid0(VALU_DEP_3)
	v_dual_add_f32 v7, v7, v58 :: v_dual_add_f32 v6, v6, v60
	v_fma_f32 v71, v44, v78, -v71
	v_fma_f32 v44, v44, v80, -v73
	;; [unrolled: 1-line block ×4, first 2 shown]
	v_dual_add_f32 v16, v16, v41 :: v_dual_add_f32 v17, v17, v63
	v_dual_add_f32 v13, v13, v42 :: v_dual_add_f32 v8, v8, v64
	v_dual_add_f32 v12, v12, v70 :: v_dual_add_f32 v9, v9, v43
	v_dual_add_f32 v7, v7, v62 :: v_dual_add_f32 v6, v6, v69
	s_delay_alu instid0(VALU_DEP_4) | instskip(NEXT) | instid1(VALU_DEP_3)
	v_dual_add_f32 v16, v16, v71 :: v_dual_add_f32 v17, v17, v72
	v_dual_add_f32 v13, v13, v44 :: v_dual_add_f32 v12, v12, v86
	s_delay_alu instid0(VALU_DEP_4) | instskip(NEXT) | instid1(VALU_DEP_4)
	v_dual_add_f32 v9, v9, v45 :: v_dual_add_f32 v8, v8, v66
	v_dual_add_f32 v7, v7, v65 :: v_dual_add_f32 v6, v6, v68
	s_cbranch_scc0 .LBB620_2
.LBB620_3:
	s_load_b32 s5, s[0:1], 0x40
	v_add_nc_u32_e32 v5, s12, v5
	v_add_nc_u32_e32 v0, s6, v4
	s_delay_alu instid0(VALU_DEP_1) | instskip(SKIP_1) | instid1(VALU_DEP_2)
	v_cmp_le_i32_e64 s0, v5, v0
	v_cmp_gt_i32_e32 vcc_lo, s4, v0
	s_and_b32 s0, s0, vcc_lo
	s_waitcnt lgkmcnt(0)
	v_mad_i64_i32 v[1:2], null, v5, s5, 0
	s_delay_alu instid0(VALU_DEP_1) | instskip(NEXT) | instid1(VALU_DEP_1)
	v_lshlrev_b64 v[1:2], 3, v[1:2]
	v_add_co_u32 v4, s1, s2, v1
	s_delay_alu instid0(VALU_DEP_1)
	v_add_co_ci_u32_e64 v10, s1, s3, v2, s1
	s_and_saveexec_b32 s1, s0
	s_cbranch_execz .LBB620_5
; %bb.4:
	v_ashrrev_i32_e32 v1, 31, v0
	s_delay_alu instid0(VALU_DEP_1) | instskip(NEXT) | instid1(VALU_DEP_1)
	v_lshlrev_b64 v[1:2], 3, v[0:1]
	v_add_co_u32 v1, s0, v4, v1
	s_delay_alu instid0(VALU_DEP_1)
	v_add_co_ci_u32_e64 v2, s0, v10, v2, s0
	global_load_b64 v[14:15], v[1:2], off
	s_waitcnt vmcnt(0)
	v_dual_add_f32 v14, v16, v14 :: v_dual_add_f32 v15, v17, v15
	global_store_b64 v[1:2], v[14:15], off
.LBB620_5:
	s_or_b32 exec_lo, exec_lo, s1
	v_add_nc_u32_e32 v2, 16, v0
	s_delay_alu instid0(VALU_DEP_1) | instskip(SKIP_1) | instid1(VALU_DEP_1)
	v_cmp_le_i32_e64 s1, v5, v2
	v_cmp_gt_i32_e64 s0, s4, v2
	s_and_b32 s1, s1, s0
	s_delay_alu instid0(SALU_CYCLE_1)
	s_and_saveexec_b32 s4, s1
	s_cbranch_execz .LBB620_7
; %bb.6:
	v_ashrrev_i32_e32 v3, 31, v2
	s_delay_alu instid0(VALU_DEP_1) | instskip(NEXT) | instid1(VALU_DEP_1)
	v_lshlrev_b64 v[14:15], 3, v[2:3]
	v_add_co_u32 v3, s1, v4, v14
	s_delay_alu instid0(VALU_DEP_1)
	v_add_co_ci_u32_e64 v4, s1, v10, v15, s1
	global_load_b64 v[10:11], v[3:4], off
	s_waitcnt vmcnt(0)
	v_dual_add_f32 v10, v13, v10 :: v_dual_add_f32 v11, v12, v11
	global_store_b64 v[3:4], v[10:11], off
.LBB620_7:
	s_or_b32 exec_lo, exec_lo, s4
	v_add_nc_u32_e32 v3, 16, v5
	s_delay_alu instid0(VALU_DEP_1) | instskip(SKIP_1) | instid1(VALU_DEP_2)
	v_mad_i64_i32 v[4:5], null, v3, s5, 0
	v_cmp_le_i32_e64 s1, v3, v0
	v_lshlrev_b64 v[4:5], 3, v[4:5]
	s_delay_alu instid0(VALU_DEP_1) | instskip(NEXT) | instid1(VALU_DEP_1)
	v_add_co_u32 v4, s2, s2, v4
	v_add_co_ci_u32_e64 v5, s2, s3, v5, s2
	s_delay_alu instid0(VALU_DEP_4) | instskip(NEXT) | instid1(SALU_CYCLE_1)
	s_and_b32 s2, s1, vcc_lo
	s_and_saveexec_b32 s1, s2
	s_cbranch_execz .LBB620_9
; %bb.8:
	v_ashrrev_i32_e32 v1, 31, v0
	s_delay_alu instid0(VALU_DEP_1) | instskip(NEXT) | instid1(VALU_DEP_1)
	v_lshlrev_b64 v[0:1], 3, v[0:1]
	v_add_co_u32 v0, vcc_lo, v4, v0
	s_delay_alu instid0(VALU_DEP_2)
	v_add_co_ci_u32_e32 v1, vcc_lo, v5, v1, vcc_lo
	global_load_b64 v[10:11], v[0:1], off
	s_waitcnt vmcnt(0)
	v_dual_add_f32 v9, v9, v10 :: v_dual_add_f32 v10, v8, v11
	global_store_b64 v[0:1], v[9:10], off
.LBB620_9:
	s_or_b32 exec_lo, exec_lo, s1
	v_cmp_le_i32_e32 vcc_lo, v3, v2
	s_and_b32 s0, vcc_lo, s0
	s_delay_alu instid0(SALU_CYCLE_1)
	s_and_saveexec_b32 s1, s0
	s_cbranch_execz .LBB620_11
; %bb.10:
	v_ashrrev_i32_e32 v3, 31, v2
	s_delay_alu instid0(VALU_DEP_1) | instskip(NEXT) | instid1(VALU_DEP_1)
	v_lshlrev_b64 v[0:1], 3, v[2:3]
	v_add_co_u32 v0, vcc_lo, v4, v0
	s_delay_alu instid0(VALU_DEP_2)
	v_add_co_ci_u32_e32 v1, vcc_lo, v5, v1, vcc_lo
	global_load_b64 v[2:3], v[0:1], off
	s_waitcnt vmcnt(0)
	v_dual_add_f32 v2, v7, v2 :: v_dual_add_f32 v3, v6, v3
	global_store_b64 v[0:1], v[2:3], off
.LBB620_11:
	s_nop 0
	s_sendmsg sendmsg(MSG_DEALLOC_VGPRS)
	s_endpgm
	.section	.rodata,"a",@progbits
	.p2align	6, 0x0
	.amdhsa_kernel _ZL37rocblas_syrkx_herkx_restricted_kernelIi19rocblas_complex_numIfELi16ELi32ELi8ELi1ELi1ELb0ELc78ELc76EKPKS1_KPS1_EviT_PT9_S7_lS9_S7_lPT10_S7_li
		.amdhsa_group_segment_fixed_size 4096
		.amdhsa_private_segment_fixed_size 0
		.amdhsa_kernarg_size 84
		.amdhsa_user_sgpr_count 13
		.amdhsa_user_sgpr_dispatch_ptr 0
		.amdhsa_user_sgpr_queue_ptr 0
		.amdhsa_user_sgpr_kernarg_segment_ptr 1
		.amdhsa_user_sgpr_dispatch_id 0
		.amdhsa_user_sgpr_private_segment_size 0
		.amdhsa_wavefront_size32 1
		.amdhsa_uses_dynamic_stack 0
		.amdhsa_enable_private_segment 0
		.amdhsa_system_sgpr_workgroup_id_x 1
		.amdhsa_system_sgpr_workgroup_id_y 1
		.amdhsa_system_sgpr_workgroup_id_z 1
		.amdhsa_system_sgpr_workgroup_info 0
		.amdhsa_system_vgpr_workitem_id 1
		.amdhsa_next_free_vgpr 92
		.amdhsa_next_free_sgpr 20
		.amdhsa_reserve_vcc 1
		.amdhsa_float_round_mode_32 0
		.amdhsa_float_round_mode_16_64 0
		.amdhsa_float_denorm_mode_32 3
		.amdhsa_float_denorm_mode_16_64 3
		.amdhsa_dx10_clamp 1
		.amdhsa_ieee_mode 1
		.amdhsa_fp16_overflow 0
		.amdhsa_workgroup_processor_mode 1
		.amdhsa_memory_ordered 1
		.amdhsa_forward_progress 0
		.amdhsa_shared_vgpr_count 0
		.amdhsa_exception_fp_ieee_invalid_op 0
		.amdhsa_exception_fp_denorm_src 0
		.amdhsa_exception_fp_ieee_div_zero 0
		.amdhsa_exception_fp_ieee_overflow 0
		.amdhsa_exception_fp_ieee_underflow 0
		.amdhsa_exception_fp_ieee_inexact 0
		.amdhsa_exception_int_div_zero 0
	.end_amdhsa_kernel
	.section	.text._ZL37rocblas_syrkx_herkx_restricted_kernelIi19rocblas_complex_numIfELi16ELi32ELi8ELi1ELi1ELb0ELc78ELc76EKPKS1_KPS1_EviT_PT9_S7_lS9_S7_lPT10_S7_li,"axG",@progbits,_ZL37rocblas_syrkx_herkx_restricted_kernelIi19rocblas_complex_numIfELi16ELi32ELi8ELi1ELi1ELb0ELc78ELc76EKPKS1_KPS1_EviT_PT9_S7_lS9_S7_lPT10_S7_li,comdat
.Lfunc_end620:
	.size	_ZL37rocblas_syrkx_herkx_restricted_kernelIi19rocblas_complex_numIfELi16ELi32ELi8ELi1ELi1ELb0ELc78ELc76EKPKS1_KPS1_EviT_PT9_S7_lS9_S7_lPT10_S7_li, .Lfunc_end620-_ZL37rocblas_syrkx_herkx_restricted_kernelIi19rocblas_complex_numIfELi16ELi32ELi8ELi1ELi1ELb0ELc78ELc76EKPKS1_KPS1_EviT_PT9_S7_lS9_S7_lPT10_S7_li
                                        ; -- End function
	.section	.AMDGPU.csdata,"",@progbits
; Kernel info:
; codeLenInByte = 2104
; NumSgprs: 22
; NumVgprs: 92
; ScratchSize: 0
; MemoryBound: 0
; FloatMode: 240
; IeeeMode: 1
; LDSByteSize: 4096 bytes/workgroup (compile time only)
; SGPRBlocks: 2
; VGPRBlocks: 11
; NumSGPRsForWavesPerEU: 22
; NumVGPRsForWavesPerEU: 92
; Occupancy: 16
; WaveLimiterHint : 1
; COMPUTE_PGM_RSRC2:SCRATCH_EN: 0
; COMPUTE_PGM_RSRC2:USER_SGPR: 13
; COMPUTE_PGM_RSRC2:TRAP_HANDLER: 0
; COMPUTE_PGM_RSRC2:TGID_X_EN: 1
; COMPUTE_PGM_RSRC2:TGID_Y_EN: 1
; COMPUTE_PGM_RSRC2:TGID_Z_EN: 1
; COMPUTE_PGM_RSRC2:TIDIG_COMP_CNT: 1
	.section	.text._ZL37rocblas_syrkx_herkx_restricted_kernelIi19rocblas_complex_numIfELi16ELi32ELi8ELi1ELi1ELb0ELc84ELc85EKPKS1_KPS1_EviT_PT9_S7_lS9_S7_lPT10_S7_li,"axG",@progbits,_ZL37rocblas_syrkx_herkx_restricted_kernelIi19rocblas_complex_numIfELi16ELi32ELi8ELi1ELi1ELb0ELc84ELc85EKPKS1_KPS1_EviT_PT9_S7_lS9_S7_lPT10_S7_li,comdat
	.globl	_ZL37rocblas_syrkx_herkx_restricted_kernelIi19rocblas_complex_numIfELi16ELi32ELi8ELi1ELi1ELb0ELc84ELc85EKPKS1_KPS1_EviT_PT9_S7_lS9_S7_lPT10_S7_li ; -- Begin function _ZL37rocblas_syrkx_herkx_restricted_kernelIi19rocblas_complex_numIfELi16ELi32ELi8ELi1ELi1ELb0ELc84ELc85EKPKS1_KPS1_EviT_PT9_S7_lS9_S7_lPT10_S7_li
	.p2align	8
	.type	_ZL37rocblas_syrkx_herkx_restricted_kernelIi19rocblas_complex_numIfELi16ELi32ELi8ELi1ELi1ELb0ELc84ELc85EKPKS1_KPS1_EviT_PT9_S7_lS9_S7_lPT10_S7_li,@function
_ZL37rocblas_syrkx_herkx_restricted_kernelIi19rocblas_complex_numIfELi16ELi32ELi8ELi1ELi1ELb0ELc84ELc85EKPKS1_KPS1_EviT_PT9_S7_lS9_S7_lPT10_S7_li: ; @_ZL37rocblas_syrkx_herkx_restricted_kernelIi19rocblas_complex_numIfELi16ELi32ELi8ELi1ELi1ELb0ELc84ELc85EKPKS1_KPS1_EviT_PT9_S7_lS9_S7_lPT10_S7_li
; %bb.0:
	s_clause 0x1
	s_load_b64 s[4:5], s[0:1], 0x38
	s_load_b64 s[2:3], s[0:1], 0x0
	s_mov_b32 s6, s15
	s_mov_b32 s7, 0
	v_dual_mov_b32 v17, 0 :: v_dual_and_b32 v6, 0x3ff, v0
	s_lshl_b64 s[8:9], s[6:7], 3
	v_bfe_u32 v7, v0, 10, 10
	v_dual_mov_b32 v16, 0 :: v_dual_mov_b32 v13, 0
	v_dual_mov_b32 v12, 0 :: v_dual_mov_b32 v9, 0
	;; [unrolled: 1-line block ×3, first 2 shown]
	v_mov_b32_e32 v8, 0
	s_waitcnt lgkmcnt(0)
	s_add_u32 s4, s4, s8
	s_addc_u32 s5, s5, s9
	s_lshl_b32 s6, s13, 5
	s_load_b64 s[4:5], s[4:5], 0x0
	s_lshl_b32 s10, s14, 5
	s_cmp_lt_i32 s3, 1
	s_cbranch_scc1 .LBB621_3
; %bb.1:
	s_clause 0x3
	s_load_b64 s[12:13], s[0:1], 0x8
	s_load_b64 s[14:15], s[0:1], 0x20
	s_load_b32 s11, s[0:1], 0x10
	s_load_b32 s16, s[0:1], 0x28
	v_lshl_add_u32 v2, v7, 4, v6
	v_dual_mov_b32 v1, 0 :: v_dual_and_b32 v0, 7, v6
	v_lshlrev_b32_e32 v10, 3, v6
	v_lshl_add_u32 v11, v7, 6, 0x800
	s_delay_alu instid0(VALU_DEP_4)
	v_and_b32_e32 v14, 31, v2
	v_lshrrev_b32_e32 v9, 3, v2
	v_lshrrev_b32_e32 v2, 5, v2
	v_mov_b32_e32 v3, v1
	v_mov_b32_e32 v16, v1
	v_add_nc_u32_e32 v8, s6, v14
	v_add_nc_u32_e32 v15, s10, v9
	v_mov_b32_e32 v17, v1
	s_waitcnt lgkmcnt(0)
	s_add_u32 s12, s12, s8
	s_addc_u32 s13, s13, s9
	s_add_u32 s8, s14, s8
	s_load_b64 s[12:13], s[12:13], 0x0
	s_addc_u32 s9, s15, s9
	v_mad_i64_i32 v[4:5], null, s11, v8, v[2:3]
	v_mov_b32_e32 v8, v1
	s_load_b64 s[8:9], s[8:9], 0x0
	v_lshlrev_b32_e32 v3, 3, v0
	v_mad_i64_i32 v[12:13], null, s16, v15, v[0:1]
	v_mov_b32_e32 v0, v1
	s_delay_alu instid0(VALU_DEP_3) | instskip(SKIP_3) | instid1(VALU_DEP_4)
	v_lshl_or_b32 v15, v9, 6, v3
	v_lshlrev_b64 v[3:4], 3, v[4:5]
	v_dual_mov_b32 v9, v1 :: v_dual_lshlrev_b32 v14, 3, v14
	v_lshlrev_b64 v[12:13], 3, v[12:13]
	v_add_nc_u32_e32 v15, 0x800, v15
	s_delay_alu instid0(VALU_DEP_3)
	v_lshl_or_b32 v14, v2, 8, v14
	s_waitcnt lgkmcnt(0)
	v_add_co_u32 v2, vcc_lo, v3, s12
	v_add_co_ci_u32_e32 v3, vcc_lo, s13, v4, vcc_lo
	v_add_co_u32 v4, vcc_lo, v12, s8
	v_mov_b32_e32 v12, v1
	v_add_co_ci_u32_e32 v5, vcc_lo, s9, v13, vcc_lo
	v_add_co_u32 v2, vcc_lo, v2, 4
	v_add_co_ci_u32_e32 v3, vcc_lo, 0, v3, vcc_lo
	v_add_co_u32 v4, vcc_lo, v4, 4
	s_delay_alu instid0(VALU_DEP_4)
	v_add_co_ci_u32_e32 v5, vcc_lo, 0, v5, vcc_lo
	v_mov_b32_e32 v13, v1
.LBB621_2:                              ; =>This Inner Loop Header: Depth=1
	global_load_b64 v[18:19], v[2:3], off offset:-4
	global_load_b64 v[20:21], v[4:5], off offset:-4
	v_add_co_u32 v2, vcc_lo, v2, 64
	v_add_co_ci_u32_e32 v3, vcc_lo, 0, v3, vcc_lo
	v_add_co_u32 v4, vcc_lo, v4, 64
	v_add_co_ci_u32_e32 v5, vcc_lo, 0, v5, vcc_lo
	s_add_i32 s7, s7, 8
	s_waitcnt vmcnt(1)
	ds_store_b64 v14, v[18:19]
	s_waitcnt vmcnt(0)
	ds_store_b64 v15, v[20:21]
	s_waitcnt lgkmcnt(0)
	s_barrier
	buffer_gl0_inv
	ds_load_2addr_b64 v[18:21], v10 offset1:16
	ds_load_b128 v[22:25], v11
	ds_load_b128 v[26:29], v11 offset:1024
	ds_load_b128 v[30:33], v11 offset:16
	ds_load_2addr_b64 v[34:37], v10 offset0:32 offset1:48
	ds_load_b128 v[38:41], v11 offset:32
	ds_load_b128 v[42:45], v11 offset:48
	ds_load_2addr_b64 v[46:49], v10 offset0:64 offset1:80
	ds_load_b128 v[50:53], v11 offset:1040
	ds_load_2addr_b64 v[54:57], v10 offset0:96 offset1:112
	ds_load_2addr_b64 v[58:61], v10 offset0:128 offset1:144
	;; [unrolled: 1-line block ×4, first 2 shown]
	ds_load_b128 v[70:73], v11 offset:1056
	ds_load_b128 v[74:77], v11 offset:1072
	ds_load_2addr_b64 v[78:81], v10 offset0:224 offset1:240
	s_cmp_ge_i32 s7, s3
	s_waitcnt lgkmcnt(0)
	s_barrier
	buffer_gl0_inv
	v_dual_mul_f32 v82, v23, v19 :: v_dual_mul_f32 v85, v22, v21
	v_dual_mul_f32 v83, v22, v19 :: v_dual_mul_f32 v84, v23, v21
	v_mul_f32_e32 v86, v27, v19
	v_dual_mul_f32 v19, v26, v19 :: v_dual_mul_f32 v90, v25, v37
	v_dual_mul_f32 v87, v27, v21 :: v_dual_mul_f32 v88, v25, v35
	v_mul_f32_e32 v21, v26, v21
	v_fma_f32 v82, v22, v18, -v82
	v_fmac_f32_e32 v83, v23, v18
	v_fma_f32 v22, v22, v20, -v84
	v_fmac_f32_e32 v85, v23, v20
	v_fma_f32 v23, v26, v18, -v86
	v_dual_fmac_f32 v19, v27, v18 :: v_dual_mul_f32 v86, v30, v47
	v_fma_f32 v18, v26, v20, -v87
	v_dual_fmac_f32 v21, v27, v20 :: v_dual_mul_f32 v20, v24, v37
	v_mul_f32_e32 v89, v24, v35
	v_mul_f32_e32 v26, v29, v35
	;; [unrolled: 1-line block ×4, first 2 shown]
	v_fmac_f32_e32 v20, v25, v36
	v_fmac_f32_e32 v89, v25, v34
	v_dual_mul_f32 v25, v28, v37 :: v_dual_fmac_f32 v86, v31, v46
	v_fma_f32 v84, v24, v34, -v88
	v_fma_f32 v24, v24, v36, -v90
	v_dual_mul_f32 v37, v31, v47 :: v_dual_mul_f32 v90, v33, v57
	v_fma_f32 v26, v28, v34, -v26
	v_fma_f32 v28, v28, v36, -v35
	v_fmac_f32_e32 v25, v29, v36
	v_dual_mul_f32 v35, v50, v47 :: v_dual_mul_f32 v36, v51, v49
	v_dual_fmac_f32 v27, v29, v34 :: v_dual_mul_f32 v34, v51, v47
	v_dual_mul_f32 v88, v32, v55 :: v_dual_mul_f32 v29, v30, v49
	v_mul_f32_e32 v87, v31, v49
	v_fma_f32 v37, v30, v46, -v37
	v_add_f32_e32 v16, v16, v82
	s_delay_alu instid0(VALU_DEP_4)
	v_dual_fmac_f32 v88, v33, v54 :: v_dual_fmac_f32 v29, v31, v48
	v_fma_f32 v31, v50, v46, -v34
	v_fma_f32 v34, v50, v48, -v36
	v_mul_f32_e32 v36, v32, v57
	v_mul_f32_e32 v47, v50, v49
	v_dual_mul_f32 v50, v53, v57 :: v_dual_fmac_f32 v35, v51, v46
	v_mul_f32_e32 v46, v53, v55
	v_mul_f32_e32 v49, v33, v55
	v_fma_f32 v30, v30, v48, -v87
	v_fmac_f32_e32 v36, v33, v56
	v_dual_fmac_f32 v47, v51, v48 :: v_dual_mul_f32 v48, v52, v55
	v_mul_f32_e32 v33, v52, v57
	v_fma_f32 v46, v52, v54, -v46
	v_fma_f32 v50, v52, v56, -v50
	v_mul_f32_e32 v52, v38, v61
	v_fma_f32 v49, v32, v54, -v49
	v_fma_f32 v32, v32, v56, -v90
	v_dual_mul_f32 v51, v39, v59 :: v_dual_fmac_f32 v48, v53, v54
	v_mul_f32_e32 v54, v70, v59
	v_dual_mul_f32 v55, v38, v59 :: v_dual_fmac_f32 v52, v39, v60
	v_fmac_f32_e32 v33, v53, v56
	v_mul_f32_e32 v53, v71, v59
	v_mul_f32_e32 v56, v71, v61
	;; [unrolled: 1-line block ×3, first 2 shown]
	v_fmac_f32_e32 v54, v71, v58
	v_fmac_f32_e32 v55, v39, v58
	v_fma_f32 v39, v70, v58, -v53
	v_fma_f32 v53, v70, v60, -v56
	v_mul_f32_e32 v56, v40, v65
	v_mul_f32_e32 v59, v70, v61
	v_fma_f32 v51, v38, v58, -v51
	v_mul_f32_e32 v58, v72, v63
	v_mul_f32_e32 v87, v40, v63
	;; [unrolled: 1-line block ×4, first 2 shown]
	v_fma_f32 v38, v38, v60, -v57
	v_mul_f32_e32 v57, v73, v63
	v_fmac_f32_e32 v56, v41, v64
	v_dual_fmac_f32 v59, v71, v60 :: v_dual_mul_f32 v60, v73, v65
	v_mul_f32_e32 v63, v43, v67
	v_mul_f32_e32 v70, v43, v69
	v_fmac_f32_e32 v58, v73, v62
	v_fmac_f32_e32 v87, v41, v62
	v_mul_f32_e32 v41, v72, v65
	v_fma_f32 v61, v40, v62, -v61
	v_fma_f32 v40, v40, v64, -v90
	v_mul_f32_e32 v65, v42, v67
	v_fma_f32 v57, v72, v62, -v57
	v_fma_f32 v60, v72, v64, -v60
	v_dual_fmac_f32 v41, v73, v64 :: v_dual_mul_f32 v62, v42, v69
	v_mul_f32_e32 v64, v75, v67
	v_fma_f32 v63, v42, v66, -v63
	v_fma_f32 v42, v42, v68, -v70
	v_mul_f32_e32 v70, v76, v79
	v_mul_f32_e32 v67, v74, v67
	;; [unrolled: 1-line block ×3, first 2 shown]
	v_dual_mul_f32 v69, v74, v69 :: v_dual_add_f32 v0, v0, v19
	v_mul_f32_e32 v73, v44, v79
	v_dual_fmac_f32 v65, v43, v66 :: v_dual_add_f32 v12, v12, v85
	v_fmac_f32_e32 v62, v43, v68
	v_fma_f32 v43, v74, v66, -v64
	v_fmac_f32_e32 v70, v77, v78
	v_dual_fmac_f32 v67, v75, v66 :: v_dual_add_f32 v16, v16, v84
	v_mul_f32_e32 v66, v44, v81
	v_mul_f32_e32 v72, v45, v79
	v_dual_mul_f32 v90, v45, v81 :: v_dual_fmac_f32 v69, v75, v68
	v_add_f32_e32 v8, v8, v18
	v_dual_fmac_f32 v73, v45, v78 :: v_dual_add_f32 v0, v0, v27
	v_dual_fmac_f32 v66, v45, v80 :: v_dual_mul_f32 v45, v76, v81
	v_fma_f32 v64, v74, v68, -v71
	v_dual_mul_f32 v71, v77, v81 :: v_dual_add_f32 v12, v12, v20
	v_dual_add_f32 v17, v17, v83 :: v_dual_add_f32 v8, v8, v28
	s_delay_alu instid0(VALU_DEP_4) | instskip(NEXT) | instid1(VALU_DEP_3)
	v_dual_fmac_f32 v45, v77, v80 :: v_dual_add_f32 v16, v16, v37
	v_dual_add_f32 v13, v13, v22 :: v_dual_add_f32 v12, v12, v29
	s_delay_alu instid0(VALU_DEP_3) | instskip(SKIP_1) | instid1(VALU_DEP_3)
	v_dual_add_f32 v9, v9, v23 :: v_dual_add_f32 v8, v8, v34
	v_dual_add_f32 v1, v1, v21 :: v_dual_add_f32 v0, v0, v35
	;; [unrolled: 1-line block ×3, first 2 shown]
	s_delay_alu instid0(VALU_DEP_4) | instskip(NEXT) | instid1(VALU_DEP_3)
	v_dual_add_f32 v13, v13, v24 :: v_dual_add_f32 v16, v16, v49
	v_dual_add_f32 v9, v9, v26 :: v_dual_add_f32 v0, v0, v48
	s_delay_alu instid0(VALU_DEP_4) | instskip(NEXT) | instid1(VALU_DEP_3)
	v_dual_add_f32 v1, v1, v25 :: v_dual_add_f32 v8, v8, v50
	v_dual_add_f32 v17, v17, v86 :: v_dual_add_f32 v16, v16, v51
	s_delay_alu instid0(VALU_DEP_4) | instskip(NEXT) | instid1(VALU_DEP_4)
	v_dual_add_f32 v13, v13, v30 :: v_dual_add_f32 v12, v12, v52
	v_dual_add_f32 v9, v9, v31 :: v_dual_add_f32 v0, v0, v54
	s_delay_alu instid0(VALU_DEP_4) | instskip(NEXT) | instid1(VALU_DEP_4)
	v_dual_add_f32 v1, v1, v47 :: v_dual_add_f32 v8, v8, v53
	v_dual_add_f32 v17, v17, v88 :: v_dual_add_f32 v16, v16, v61
	s_delay_alu instid0(VALU_DEP_3) | instskip(NEXT) | instid1(VALU_DEP_4)
	v_dual_add_f32 v13, v13, v32 :: v_dual_add_f32 v0, v0, v58
	v_dual_add_f32 v9, v9, v46 :: v_dual_add_f32 v12, v12, v56
	s_delay_alu instid0(VALU_DEP_4) | instskip(SKIP_1) | instid1(VALU_DEP_3)
	v_dual_add_f32 v1, v1, v33 :: v_dual_add_f32 v8, v8, v60
	v_fma_f32 v72, v44, v78, -v72
	v_dual_add_f32 v17, v17, v55 :: v_dual_add_f32 v12, v12, v62
	v_dual_add_f32 v13, v13, v38 :: v_dual_add_f32 v16, v16, v63
	s_delay_alu instid0(VALU_DEP_4) | instskip(SKIP_2) | instid1(VALU_DEP_4)
	v_dual_add_f32 v9, v9, v39 :: v_dual_add_f32 v8, v8, v64
	v_add_f32_e32 v1, v1, v59
	v_mul_f32_e32 v68, v77, v79
	v_add_f32_e32 v16, v16, v72
	v_fma_f32 v71, v76, v80, -v71
	v_dual_add_f32 v17, v17, v87 :: v_dual_add_f32 v12, v12, v66
	v_dual_add_f32 v13, v13, v40 :: v_dual_add_f32 v0, v0, v67
	v_add_f32_e32 v9, v9, v57
	s_delay_alu instid0(VALU_DEP_4)
	v_dual_add_f32 v1, v1, v41 :: v_dual_add_f32 v8, v8, v71
	v_fma_f32 v44, v44, v80, -v90
	v_fma_f32 v68, v76, v78, -v68
	v_add_f32_e32 v17, v17, v65
	v_add_f32_e32 v13, v13, v42
	v_dual_add_f32 v1, v1, v69 :: v_dual_add_f32 v0, v0, v70
	v_add_f32_e32 v9, v9, v43
	s_delay_alu instid0(VALU_DEP_4) | instskip(NEXT) | instid1(VALU_DEP_4)
	v_add_f32_e32 v17, v17, v73
	v_add_f32_e32 v13, v13, v44
	s_delay_alu instid0(VALU_DEP_4) | instskip(NEXT) | instid1(VALU_DEP_4)
	v_add_f32_e32 v1, v1, v45
	v_add_f32_e32 v9, v9, v68
	s_cbranch_scc0 .LBB621_2
.LBB621_3:
	s_load_b32 s3, s[0:1], 0x40
	v_add_nc_u32_e32 v7, s10, v7
	v_add_nc_u32_e32 v2, s6, v6
	s_delay_alu instid0(VALU_DEP_2) | instskip(NEXT) | instid1(VALU_DEP_2)
	v_cmp_gt_i32_e32 vcc_lo, s2, v7
	v_cmp_le_i32_e64 s0, v2, v7
	s_delay_alu instid0(VALU_DEP_1) | instskip(SKIP_2) | instid1(VALU_DEP_1)
	s_and_b32 s0, vcc_lo, s0
	s_waitcnt lgkmcnt(0)
	v_mad_i64_i32 v[3:4], null, v7, s3, 0
	v_lshlrev_b64 v[3:4], 3, v[3:4]
	s_delay_alu instid0(VALU_DEP_1) | instskip(NEXT) | instid1(VALU_DEP_1)
	v_add_co_u32 v6, s1, s4, v3
	v_add_co_ci_u32_e64 v10, s1, s5, v4, s1
	s_and_saveexec_b32 s1, s0
	s_cbranch_execz .LBB621_5
; %bb.4:
	v_ashrrev_i32_e32 v3, 31, v2
	s_delay_alu instid0(VALU_DEP_1) | instskip(NEXT) | instid1(VALU_DEP_1)
	v_lshlrev_b64 v[3:4], 3, v[2:3]
	v_add_co_u32 v3, s0, v6, v3
	s_delay_alu instid0(VALU_DEP_1)
	v_add_co_ci_u32_e64 v4, s0, v10, v4, s0
	global_load_b64 v[14:15], v[3:4], off
	s_waitcnt vmcnt(0)
	v_dual_add_f32 v14, v16, v14 :: v_dual_add_f32 v15, v17, v15
	global_store_b64 v[3:4], v[14:15], off
.LBB621_5:
	s_or_b32 exec_lo, exec_lo, s1
	v_add_nc_u32_e32 v4, 16, v2
	s_delay_alu instid0(VALU_DEP_1) | instskip(NEXT) | instid1(VALU_DEP_1)
	v_cmp_le_i32_e64 s0, v4, v7
	s_and_b32 s1, vcc_lo, s0
	s_delay_alu instid0(SALU_CYCLE_1)
	s_and_saveexec_b32 s0, s1
	s_cbranch_execz .LBB621_7
; %bb.6:
	v_ashrrev_i32_e32 v5, 31, v4
	s_delay_alu instid0(VALU_DEP_1) | instskip(NEXT) | instid1(VALU_DEP_1)
	v_lshlrev_b64 v[14:15], 3, v[4:5]
	v_add_co_u32 v5, vcc_lo, v6, v14
	s_delay_alu instid0(VALU_DEP_2)
	v_add_co_ci_u32_e32 v6, vcc_lo, v10, v15, vcc_lo
	global_load_b64 v[10:11], v[5:6], off
	s_waitcnt vmcnt(0)
	v_dual_add_f32 v10, v13, v10 :: v_dual_add_f32 v11, v12, v11
	global_store_b64 v[5:6], v[10:11], off
.LBB621_7:
	s_or_b32 exec_lo, exec_lo, s0
	v_add_nc_u32_e32 v5, 16, v7
	s_delay_alu instid0(VALU_DEP_1) | instskip(SKIP_2) | instid1(VALU_DEP_1)
	v_mad_i64_i32 v[6:7], null, v5, s3, 0
	v_cmp_gt_i32_e32 vcc_lo, s2, v5
	v_cmp_le_i32_e64 s0, v2, v5
	s_and_b32 s0, vcc_lo, s0
	s_delay_alu instid0(VALU_DEP_3) | instskip(NEXT) | instid1(VALU_DEP_1)
	v_lshlrev_b64 v[6:7], 3, v[6:7]
	v_add_co_u32 v6, s1, s4, v6
	s_delay_alu instid0(VALU_DEP_1)
	v_add_co_ci_u32_e64 v7, s1, s5, v7, s1
	s_and_saveexec_b32 s1, s0
	s_cbranch_execz .LBB621_9
; %bb.8:
	v_ashrrev_i32_e32 v3, 31, v2
	s_delay_alu instid0(VALU_DEP_1) | instskip(NEXT) | instid1(VALU_DEP_1)
	v_lshlrev_b64 v[2:3], 3, v[2:3]
	v_add_co_u32 v2, s0, v6, v2
	s_delay_alu instid0(VALU_DEP_1)
	v_add_co_ci_u32_e64 v3, s0, v7, v3, s0
	global_load_b64 v[10:11], v[2:3], off
	s_waitcnt vmcnt(0)
	v_dual_add_f32 v9, v9, v10 :: v_dual_add_f32 v10, v0, v11
	global_store_b64 v[2:3], v[9:10], off
.LBB621_9:
	s_or_b32 exec_lo, exec_lo, s1
	v_cmp_le_i32_e64 s0, v4, v5
	s_delay_alu instid0(VALU_DEP_1) | instskip(NEXT) | instid1(SALU_CYCLE_1)
	s_and_b32 s0, vcc_lo, s0
	s_and_saveexec_b32 s1, s0
	s_cbranch_execz .LBB621_11
; %bb.10:
	v_ashrrev_i32_e32 v5, 31, v4
	s_delay_alu instid0(VALU_DEP_1) | instskip(NEXT) | instid1(VALU_DEP_1)
	v_lshlrev_b64 v[2:3], 3, v[4:5]
	v_add_co_u32 v2, vcc_lo, v6, v2
	s_delay_alu instid0(VALU_DEP_2)
	v_add_co_ci_u32_e32 v3, vcc_lo, v7, v3, vcc_lo
	global_load_b64 v[4:5], v[2:3], off
	s_waitcnt vmcnt(0)
	v_dual_add_f32 v0, v8, v4 :: v_dual_add_f32 v1, v1, v5
	global_store_b64 v[2:3], v[0:1], off
.LBB621_11:
	s_nop 0
	s_sendmsg sendmsg(MSG_DEALLOC_VGPRS)
	s_endpgm
	.section	.rodata,"a",@progbits
	.p2align	6, 0x0
	.amdhsa_kernel _ZL37rocblas_syrkx_herkx_restricted_kernelIi19rocblas_complex_numIfELi16ELi32ELi8ELi1ELi1ELb0ELc84ELc85EKPKS1_KPS1_EviT_PT9_S7_lS9_S7_lPT10_S7_li
		.amdhsa_group_segment_fixed_size 4096
		.amdhsa_private_segment_fixed_size 0
		.amdhsa_kernarg_size 84
		.amdhsa_user_sgpr_count 13
		.amdhsa_user_sgpr_dispatch_ptr 0
		.amdhsa_user_sgpr_queue_ptr 0
		.amdhsa_user_sgpr_kernarg_segment_ptr 1
		.amdhsa_user_sgpr_dispatch_id 0
		.amdhsa_user_sgpr_private_segment_size 0
		.amdhsa_wavefront_size32 1
		.amdhsa_uses_dynamic_stack 0
		.amdhsa_enable_private_segment 0
		.amdhsa_system_sgpr_workgroup_id_x 1
		.amdhsa_system_sgpr_workgroup_id_y 1
		.amdhsa_system_sgpr_workgroup_id_z 1
		.amdhsa_system_sgpr_workgroup_info 0
		.amdhsa_system_vgpr_workitem_id 1
		.amdhsa_next_free_vgpr 91
		.amdhsa_next_free_sgpr 17
		.amdhsa_reserve_vcc 1
		.amdhsa_float_round_mode_32 0
		.amdhsa_float_round_mode_16_64 0
		.amdhsa_float_denorm_mode_32 3
		.amdhsa_float_denorm_mode_16_64 3
		.amdhsa_dx10_clamp 1
		.amdhsa_ieee_mode 1
		.amdhsa_fp16_overflow 0
		.amdhsa_workgroup_processor_mode 1
		.amdhsa_memory_ordered 1
		.amdhsa_forward_progress 0
		.amdhsa_shared_vgpr_count 0
		.amdhsa_exception_fp_ieee_invalid_op 0
		.amdhsa_exception_fp_denorm_src 0
		.amdhsa_exception_fp_ieee_div_zero 0
		.amdhsa_exception_fp_ieee_overflow 0
		.amdhsa_exception_fp_ieee_underflow 0
		.amdhsa_exception_fp_ieee_inexact 0
		.amdhsa_exception_int_div_zero 0
	.end_amdhsa_kernel
	.section	.text._ZL37rocblas_syrkx_herkx_restricted_kernelIi19rocblas_complex_numIfELi16ELi32ELi8ELi1ELi1ELb0ELc84ELc85EKPKS1_KPS1_EviT_PT9_S7_lS9_S7_lPT10_S7_li,"axG",@progbits,_ZL37rocblas_syrkx_herkx_restricted_kernelIi19rocblas_complex_numIfELi16ELi32ELi8ELi1ELi1ELb0ELc84ELc85EKPKS1_KPS1_EviT_PT9_S7_lS9_S7_lPT10_S7_li,comdat
.Lfunc_end621:
	.size	_ZL37rocblas_syrkx_herkx_restricted_kernelIi19rocblas_complex_numIfELi16ELi32ELi8ELi1ELi1ELb0ELc84ELc85EKPKS1_KPS1_EviT_PT9_S7_lS9_S7_lPT10_S7_li, .Lfunc_end621-_ZL37rocblas_syrkx_herkx_restricted_kernelIi19rocblas_complex_numIfELi16ELi32ELi8ELi1ELi1ELb0ELc84ELc85EKPKS1_KPS1_EviT_PT9_S7_lS9_S7_lPT10_S7_li
                                        ; -- End function
	.section	.AMDGPU.csdata,"",@progbits
; Kernel info:
; codeLenInByte = 2076
; NumSgprs: 19
; NumVgprs: 91
; ScratchSize: 0
; MemoryBound: 0
; FloatMode: 240
; IeeeMode: 1
; LDSByteSize: 4096 bytes/workgroup (compile time only)
; SGPRBlocks: 2
; VGPRBlocks: 11
; NumSGPRsForWavesPerEU: 19
; NumVGPRsForWavesPerEU: 91
; Occupancy: 16
; WaveLimiterHint : 1
; COMPUTE_PGM_RSRC2:SCRATCH_EN: 0
; COMPUTE_PGM_RSRC2:USER_SGPR: 13
; COMPUTE_PGM_RSRC2:TRAP_HANDLER: 0
; COMPUTE_PGM_RSRC2:TGID_X_EN: 1
; COMPUTE_PGM_RSRC2:TGID_Y_EN: 1
; COMPUTE_PGM_RSRC2:TGID_Z_EN: 1
; COMPUTE_PGM_RSRC2:TIDIG_COMP_CNT: 1
	.section	.text._ZL37rocblas_syrkx_herkx_restricted_kernelIi19rocblas_complex_numIfELi16ELi32ELi8ELi1ELi1ELb0ELc67ELc85EKPKS1_KPS1_EviT_PT9_S7_lS9_S7_lPT10_S7_li,"axG",@progbits,_ZL37rocblas_syrkx_herkx_restricted_kernelIi19rocblas_complex_numIfELi16ELi32ELi8ELi1ELi1ELb0ELc67ELc85EKPKS1_KPS1_EviT_PT9_S7_lS9_S7_lPT10_S7_li,comdat
	.globl	_ZL37rocblas_syrkx_herkx_restricted_kernelIi19rocblas_complex_numIfELi16ELi32ELi8ELi1ELi1ELb0ELc67ELc85EKPKS1_KPS1_EviT_PT9_S7_lS9_S7_lPT10_S7_li ; -- Begin function _ZL37rocblas_syrkx_herkx_restricted_kernelIi19rocblas_complex_numIfELi16ELi32ELi8ELi1ELi1ELb0ELc67ELc85EKPKS1_KPS1_EviT_PT9_S7_lS9_S7_lPT10_S7_li
	.p2align	8
	.type	_ZL37rocblas_syrkx_herkx_restricted_kernelIi19rocblas_complex_numIfELi16ELi32ELi8ELi1ELi1ELb0ELc67ELc85EKPKS1_KPS1_EviT_PT9_S7_lS9_S7_lPT10_S7_li,@function
_ZL37rocblas_syrkx_herkx_restricted_kernelIi19rocblas_complex_numIfELi16ELi32ELi8ELi1ELi1ELb0ELc67ELc85EKPKS1_KPS1_EviT_PT9_S7_lS9_S7_lPT10_S7_li: ; @_ZL37rocblas_syrkx_herkx_restricted_kernelIi19rocblas_complex_numIfELi16ELi32ELi8ELi1ELi1ELb0ELc67ELc85EKPKS1_KPS1_EviT_PT9_S7_lS9_S7_lPT10_S7_li
; %bb.0:
	s_clause 0x1
	s_load_b64 s[4:5], s[0:1], 0x38
	s_load_b64 s[2:3], s[0:1], 0x0
	s_mov_b32 s6, s15
	s_mov_b32 s7, 0
	v_dual_mov_b32 v17, 0 :: v_dual_and_b32 v6, 0x3ff, v0
	s_lshl_b64 s[8:9], s[6:7], 3
	v_bfe_u32 v7, v0, 10, 10
	v_dual_mov_b32 v16, 0 :: v_dual_mov_b32 v13, 0
	v_dual_mov_b32 v12, 0 :: v_dual_mov_b32 v9, 0
	;; [unrolled: 1-line block ×3, first 2 shown]
	v_mov_b32_e32 v8, 0
	s_waitcnt lgkmcnt(0)
	s_add_u32 s4, s4, s8
	s_addc_u32 s5, s5, s9
	s_lshl_b32 s6, s13, 5
	s_load_b64 s[4:5], s[4:5], 0x0
	s_lshl_b32 s10, s14, 5
	s_cmp_lt_i32 s3, 1
	s_cbranch_scc1 .LBB622_3
; %bb.1:
	s_clause 0x3
	s_load_b64 s[12:13], s[0:1], 0x8
	s_load_b64 s[14:15], s[0:1], 0x20
	s_load_b32 s11, s[0:1], 0x10
	s_load_b32 s16, s[0:1], 0x28
	v_lshl_add_u32 v2, v7, 4, v6
	v_dual_mov_b32 v1, 0 :: v_dual_and_b32 v0, 7, v6
	v_lshlrev_b32_e32 v10, 3, v6
	v_lshl_add_u32 v11, v7, 6, 0x800
	s_delay_alu instid0(VALU_DEP_4)
	v_and_b32_e32 v14, 31, v2
	v_lshrrev_b32_e32 v9, 3, v2
	v_lshrrev_b32_e32 v2, 5, v2
	v_mov_b32_e32 v3, v1
	v_mov_b32_e32 v16, v1
	v_add_nc_u32_e32 v8, s6, v14
	v_add_nc_u32_e32 v15, s10, v9
	v_mov_b32_e32 v17, v1
	s_waitcnt lgkmcnt(0)
	s_add_u32 s12, s12, s8
	s_addc_u32 s13, s13, s9
	s_add_u32 s8, s14, s8
	s_load_b64 s[12:13], s[12:13], 0x0
	s_addc_u32 s9, s15, s9
	v_mad_i64_i32 v[4:5], null, s11, v8, v[2:3]
	v_mov_b32_e32 v8, v1
	s_load_b64 s[8:9], s[8:9], 0x0
	v_lshlrev_b32_e32 v3, 3, v0
	v_mad_i64_i32 v[12:13], null, s16, v15, v[0:1]
	v_mov_b32_e32 v0, v1
	s_delay_alu instid0(VALU_DEP_3) | instskip(SKIP_3) | instid1(VALU_DEP_4)
	v_lshl_or_b32 v15, v9, 6, v3
	v_lshlrev_b64 v[3:4], 3, v[4:5]
	v_dual_mov_b32 v9, v1 :: v_dual_lshlrev_b32 v14, 3, v14
	v_lshlrev_b64 v[12:13], 3, v[12:13]
	v_add_nc_u32_e32 v15, 0x800, v15
	s_delay_alu instid0(VALU_DEP_3)
	v_lshl_or_b32 v14, v2, 8, v14
	s_waitcnt lgkmcnt(0)
	v_add_co_u32 v2, vcc_lo, v3, s12
	v_add_co_ci_u32_e32 v3, vcc_lo, s13, v4, vcc_lo
	v_add_co_u32 v4, vcc_lo, v12, s8
	v_mov_b32_e32 v12, v1
	v_add_co_ci_u32_e32 v5, vcc_lo, s9, v13, vcc_lo
	v_add_co_u32 v2, vcc_lo, v2, 4
	v_add_co_ci_u32_e32 v3, vcc_lo, 0, v3, vcc_lo
	v_add_co_u32 v4, vcc_lo, v4, 4
	s_delay_alu instid0(VALU_DEP_4)
	v_add_co_ci_u32_e32 v5, vcc_lo, 0, v5, vcc_lo
	v_mov_b32_e32 v13, v1
.LBB622_2:                              ; =>This Inner Loop Header: Depth=1
	global_load_b64 v[18:19], v[2:3], off offset:-4
	global_load_b64 v[20:21], v[4:5], off offset:-4
	v_add_co_u32 v2, vcc_lo, v2, 64
	v_add_co_ci_u32_e32 v3, vcc_lo, 0, v3, vcc_lo
	v_add_co_u32 v4, vcc_lo, v4, 64
	v_add_co_ci_u32_e32 v5, vcc_lo, 0, v5, vcc_lo
	s_add_i32 s7, s7, 8
	s_waitcnt vmcnt(1)
	ds_store_b64 v14, v[18:19]
	s_waitcnt vmcnt(0)
	ds_store_b64 v15, v[20:21]
	s_waitcnt lgkmcnt(0)
	s_barrier
	buffer_gl0_inv
	ds_load_2addr_b64 v[18:21], v10 offset1:16
	ds_load_b128 v[22:25], v11
	ds_load_b128 v[26:29], v11 offset:1024
	ds_load_b128 v[30:33], v11 offset:16
	ds_load_2addr_b64 v[34:37], v10 offset0:32 offset1:48
	ds_load_b128 v[38:41], v11 offset:32
	ds_load_b128 v[42:45], v11 offset:48
	ds_load_2addr_b64 v[46:49], v10 offset0:64 offset1:80
	ds_load_b128 v[50:53], v11 offset:1040
	ds_load_2addr_b64 v[54:57], v10 offset0:96 offset1:112
	ds_load_2addr_b64 v[58:61], v10 offset0:128 offset1:144
	;; [unrolled: 1-line block ×4, first 2 shown]
	ds_load_b128 v[70:73], v11 offset:1056
	ds_load_b128 v[74:77], v11 offset:1072
	ds_load_2addr_b64 v[78:81], v10 offset0:224 offset1:240
	s_cmp_ge_i32 s7, s3
	s_waitcnt lgkmcnt(0)
	s_barrier
	buffer_gl0_inv
	v_dual_mul_f32 v82, v23, v19 :: v_dual_mul_f32 v85, v22, v21
	v_dual_mul_f32 v83, v22, v19 :: v_dual_mul_f32 v84, v23, v21
	v_mul_f32_e32 v86, v27, v19
	v_dual_mul_f32 v19, v26, v19 :: v_dual_mul_f32 v90, v25, v37
	v_dual_mul_f32 v87, v27, v21 :: v_dual_mul_f32 v88, v25, v35
	v_mul_f32_e32 v21, v26, v21
	v_fma_f32 v82, v22, v18, -v82
	v_fmac_f32_e32 v83, v23, v18
	v_fma_f32 v22, v22, v20, -v84
	v_fmac_f32_e32 v85, v23, v20
	v_fma_f32 v23, v26, v18, -v86
	v_dual_fmac_f32 v19, v27, v18 :: v_dual_mul_f32 v86, v30, v47
	v_fma_f32 v18, v26, v20, -v87
	v_dual_fmac_f32 v21, v27, v20 :: v_dual_mul_f32 v20, v24, v37
	v_mul_f32_e32 v89, v24, v35
	v_mul_f32_e32 v26, v29, v35
	;; [unrolled: 1-line block ×4, first 2 shown]
	v_fmac_f32_e32 v20, v25, v36
	v_fmac_f32_e32 v89, v25, v34
	v_dual_mul_f32 v25, v28, v37 :: v_dual_fmac_f32 v86, v31, v46
	v_fma_f32 v84, v24, v34, -v88
	v_fma_f32 v24, v24, v36, -v90
	v_dual_mul_f32 v37, v31, v47 :: v_dual_mul_f32 v90, v33, v57
	v_fma_f32 v26, v28, v34, -v26
	v_fma_f32 v28, v28, v36, -v35
	v_fmac_f32_e32 v25, v29, v36
	v_dual_mul_f32 v35, v50, v47 :: v_dual_mul_f32 v36, v51, v49
	v_dual_fmac_f32 v27, v29, v34 :: v_dual_mul_f32 v34, v51, v47
	v_dual_mul_f32 v88, v32, v55 :: v_dual_mul_f32 v29, v30, v49
	v_mul_f32_e32 v87, v31, v49
	v_fma_f32 v37, v30, v46, -v37
	v_add_f32_e32 v16, v16, v82
	s_delay_alu instid0(VALU_DEP_4)
	v_dual_fmac_f32 v88, v33, v54 :: v_dual_fmac_f32 v29, v31, v48
	v_fma_f32 v31, v50, v46, -v34
	v_fma_f32 v34, v50, v48, -v36
	v_mul_f32_e32 v36, v32, v57
	v_mul_f32_e32 v47, v50, v49
	v_dual_mul_f32 v50, v53, v57 :: v_dual_fmac_f32 v35, v51, v46
	v_mul_f32_e32 v46, v53, v55
	v_mul_f32_e32 v49, v33, v55
	v_fma_f32 v30, v30, v48, -v87
	v_fmac_f32_e32 v36, v33, v56
	v_dual_fmac_f32 v47, v51, v48 :: v_dual_mul_f32 v48, v52, v55
	v_mul_f32_e32 v33, v52, v57
	v_fma_f32 v46, v52, v54, -v46
	v_fma_f32 v50, v52, v56, -v50
	v_mul_f32_e32 v52, v38, v61
	v_fma_f32 v49, v32, v54, -v49
	v_fma_f32 v32, v32, v56, -v90
	v_dual_mul_f32 v51, v39, v59 :: v_dual_fmac_f32 v48, v53, v54
	v_mul_f32_e32 v54, v70, v59
	v_dual_mul_f32 v55, v38, v59 :: v_dual_fmac_f32 v52, v39, v60
	v_fmac_f32_e32 v33, v53, v56
	v_mul_f32_e32 v53, v71, v59
	v_mul_f32_e32 v56, v71, v61
	;; [unrolled: 1-line block ×3, first 2 shown]
	v_fmac_f32_e32 v54, v71, v58
	v_fmac_f32_e32 v55, v39, v58
	v_fma_f32 v39, v70, v58, -v53
	v_fma_f32 v53, v70, v60, -v56
	v_mul_f32_e32 v56, v40, v65
	v_mul_f32_e32 v59, v70, v61
	v_fma_f32 v51, v38, v58, -v51
	v_mul_f32_e32 v58, v72, v63
	v_mul_f32_e32 v87, v40, v63
	;; [unrolled: 1-line block ×4, first 2 shown]
	v_fma_f32 v38, v38, v60, -v57
	v_mul_f32_e32 v57, v73, v63
	v_fmac_f32_e32 v56, v41, v64
	v_dual_fmac_f32 v59, v71, v60 :: v_dual_mul_f32 v60, v73, v65
	v_mul_f32_e32 v63, v43, v67
	v_mul_f32_e32 v70, v43, v69
	v_fmac_f32_e32 v58, v73, v62
	v_fmac_f32_e32 v87, v41, v62
	v_mul_f32_e32 v41, v72, v65
	v_fma_f32 v61, v40, v62, -v61
	v_fma_f32 v40, v40, v64, -v90
	v_mul_f32_e32 v65, v42, v67
	v_fma_f32 v57, v72, v62, -v57
	v_fma_f32 v60, v72, v64, -v60
	v_dual_fmac_f32 v41, v73, v64 :: v_dual_mul_f32 v62, v42, v69
	v_mul_f32_e32 v64, v75, v67
	v_fma_f32 v63, v42, v66, -v63
	v_fma_f32 v42, v42, v68, -v70
	v_mul_f32_e32 v70, v76, v79
	v_mul_f32_e32 v67, v74, v67
	;; [unrolled: 1-line block ×3, first 2 shown]
	v_dual_mul_f32 v69, v74, v69 :: v_dual_add_f32 v0, v0, v19
	v_mul_f32_e32 v73, v44, v79
	v_dual_fmac_f32 v65, v43, v66 :: v_dual_add_f32 v12, v12, v85
	v_fmac_f32_e32 v62, v43, v68
	v_fma_f32 v43, v74, v66, -v64
	v_fmac_f32_e32 v70, v77, v78
	v_dual_fmac_f32 v67, v75, v66 :: v_dual_add_f32 v16, v16, v84
	v_mul_f32_e32 v66, v44, v81
	v_mul_f32_e32 v72, v45, v79
	v_dual_mul_f32 v90, v45, v81 :: v_dual_fmac_f32 v69, v75, v68
	v_add_f32_e32 v8, v8, v18
	v_dual_fmac_f32 v73, v45, v78 :: v_dual_add_f32 v0, v0, v27
	v_dual_fmac_f32 v66, v45, v80 :: v_dual_mul_f32 v45, v76, v81
	v_fma_f32 v64, v74, v68, -v71
	v_dual_mul_f32 v71, v77, v81 :: v_dual_add_f32 v12, v12, v20
	v_dual_add_f32 v17, v17, v83 :: v_dual_add_f32 v8, v8, v28
	s_delay_alu instid0(VALU_DEP_4) | instskip(NEXT) | instid1(VALU_DEP_3)
	v_dual_fmac_f32 v45, v77, v80 :: v_dual_add_f32 v16, v16, v37
	v_dual_add_f32 v13, v13, v22 :: v_dual_add_f32 v12, v12, v29
	s_delay_alu instid0(VALU_DEP_3) | instskip(SKIP_1) | instid1(VALU_DEP_3)
	v_dual_add_f32 v9, v9, v23 :: v_dual_add_f32 v8, v8, v34
	v_dual_add_f32 v1, v1, v21 :: v_dual_add_f32 v0, v0, v35
	;; [unrolled: 1-line block ×3, first 2 shown]
	s_delay_alu instid0(VALU_DEP_4) | instskip(NEXT) | instid1(VALU_DEP_3)
	v_dual_add_f32 v13, v13, v24 :: v_dual_add_f32 v16, v16, v49
	v_dual_add_f32 v9, v9, v26 :: v_dual_add_f32 v0, v0, v48
	s_delay_alu instid0(VALU_DEP_4) | instskip(NEXT) | instid1(VALU_DEP_3)
	v_dual_add_f32 v1, v1, v25 :: v_dual_add_f32 v8, v8, v50
	v_dual_add_f32 v17, v17, v86 :: v_dual_add_f32 v16, v16, v51
	s_delay_alu instid0(VALU_DEP_4) | instskip(NEXT) | instid1(VALU_DEP_4)
	v_dual_add_f32 v13, v13, v30 :: v_dual_add_f32 v12, v12, v52
	v_dual_add_f32 v9, v9, v31 :: v_dual_add_f32 v0, v0, v54
	s_delay_alu instid0(VALU_DEP_4) | instskip(NEXT) | instid1(VALU_DEP_4)
	v_dual_add_f32 v1, v1, v47 :: v_dual_add_f32 v8, v8, v53
	v_dual_add_f32 v17, v17, v88 :: v_dual_add_f32 v16, v16, v61
	s_delay_alu instid0(VALU_DEP_3) | instskip(NEXT) | instid1(VALU_DEP_4)
	v_dual_add_f32 v13, v13, v32 :: v_dual_add_f32 v0, v0, v58
	v_dual_add_f32 v9, v9, v46 :: v_dual_add_f32 v12, v12, v56
	s_delay_alu instid0(VALU_DEP_4) | instskip(SKIP_1) | instid1(VALU_DEP_3)
	v_dual_add_f32 v1, v1, v33 :: v_dual_add_f32 v8, v8, v60
	v_fma_f32 v72, v44, v78, -v72
	v_dual_add_f32 v17, v17, v55 :: v_dual_add_f32 v12, v12, v62
	v_dual_add_f32 v13, v13, v38 :: v_dual_add_f32 v16, v16, v63
	s_delay_alu instid0(VALU_DEP_4) | instskip(SKIP_2) | instid1(VALU_DEP_4)
	v_dual_add_f32 v9, v9, v39 :: v_dual_add_f32 v8, v8, v64
	v_add_f32_e32 v1, v1, v59
	v_mul_f32_e32 v68, v77, v79
	v_add_f32_e32 v16, v16, v72
	v_fma_f32 v71, v76, v80, -v71
	v_dual_add_f32 v17, v17, v87 :: v_dual_add_f32 v12, v12, v66
	v_dual_add_f32 v13, v13, v40 :: v_dual_add_f32 v0, v0, v67
	v_add_f32_e32 v9, v9, v57
	s_delay_alu instid0(VALU_DEP_4)
	v_dual_add_f32 v1, v1, v41 :: v_dual_add_f32 v8, v8, v71
	v_fma_f32 v44, v44, v80, -v90
	v_fma_f32 v68, v76, v78, -v68
	v_add_f32_e32 v17, v17, v65
	v_add_f32_e32 v13, v13, v42
	v_dual_add_f32 v1, v1, v69 :: v_dual_add_f32 v0, v0, v70
	v_add_f32_e32 v9, v9, v43
	s_delay_alu instid0(VALU_DEP_4) | instskip(NEXT) | instid1(VALU_DEP_4)
	v_add_f32_e32 v17, v17, v73
	v_add_f32_e32 v13, v13, v44
	s_delay_alu instid0(VALU_DEP_4) | instskip(NEXT) | instid1(VALU_DEP_4)
	v_add_f32_e32 v1, v1, v45
	v_add_f32_e32 v9, v9, v68
	s_cbranch_scc0 .LBB622_2
.LBB622_3:
	s_load_b32 s3, s[0:1], 0x40
	v_add_nc_u32_e32 v7, s10, v7
	v_add_nc_u32_e32 v2, s6, v6
	s_delay_alu instid0(VALU_DEP_2) | instskip(NEXT) | instid1(VALU_DEP_2)
	v_cmp_gt_i32_e32 vcc_lo, s2, v7
	v_cmp_le_i32_e64 s0, v2, v7
	s_delay_alu instid0(VALU_DEP_1) | instskip(SKIP_2) | instid1(VALU_DEP_1)
	s_and_b32 s0, vcc_lo, s0
	s_waitcnt lgkmcnt(0)
	v_mad_i64_i32 v[3:4], null, v7, s3, 0
	v_lshlrev_b64 v[3:4], 3, v[3:4]
	s_delay_alu instid0(VALU_DEP_1) | instskip(NEXT) | instid1(VALU_DEP_1)
	v_add_co_u32 v6, s1, s4, v3
	v_add_co_ci_u32_e64 v10, s1, s5, v4, s1
	s_and_saveexec_b32 s1, s0
	s_cbranch_execz .LBB622_5
; %bb.4:
	v_ashrrev_i32_e32 v3, 31, v2
	s_delay_alu instid0(VALU_DEP_1) | instskip(NEXT) | instid1(VALU_DEP_1)
	v_lshlrev_b64 v[3:4], 3, v[2:3]
	v_add_co_u32 v3, s0, v6, v3
	s_delay_alu instid0(VALU_DEP_1)
	v_add_co_ci_u32_e64 v4, s0, v10, v4, s0
	global_load_b64 v[14:15], v[3:4], off
	s_waitcnt vmcnt(0)
	v_dual_add_f32 v14, v16, v14 :: v_dual_add_f32 v15, v17, v15
	global_store_b64 v[3:4], v[14:15], off
.LBB622_5:
	s_or_b32 exec_lo, exec_lo, s1
	v_add_nc_u32_e32 v4, 16, v2
	s_delay_alu instid0(VALU_DEP_1) | instskip(NEXT) | instid1(VALU_DEP_1)
	v_cmp_le_i32_e64 s0, v4, v7
	s_and_b32 s1, vcc_lo, s0
	s_delay_alu instid0(SALU_CYCLE_1)
	s_and_saveexec_b32 s0, s1
	s_cbranch_execz .LBB622_7
; %bb.6:
	v_ashrrev_i32_e32 v5, 31, v4
	s_delay_alu instid0(VALU_DEP_1) | instskip(NEXT) | instid1(VALU_DEP_1)
	v_lshlrev_b64 v[14:15], 3, v[4:5]
	v_add_co_u32 v5, vcc_lo, v6, v14
	s_delay_alu instid0(VALU_DEP_2)
	v_add_co_ci_u32_e32 v6, vcc_lo, v10, v15, vcc_lo
	global_load_b64 v[10:11], v[5:6], off
	s_waitcnt vmcnt(0)
	v_dual_add_f32 v10, v13, v10 :: v_dual_add_f32 v11, v12, v11
	global_store_b64 v[5:6], v[10:11], off
.LBB622_7:
	s_or_b32 exec_lo, exec_lo, s0
	v_add_nc_u32_e32 v5, 16, v7
	s_delay_alu instid0(VALU_DEP_1) | instskip(SKIP_2) | instid1(VALU_DEP_1)
	v_mad_i64_i32 v[6:7], null, v5, s3, 0
	v_cmp_gt_i32_e32 vcc_lo, s2, v5
	v_cmp_le_i32_e64 s0, v2, v5
	s_and_b32 s0, vcc_lo, s0
	s_delay_alu instid0(VALU_DEP_3) | instskip(NEXT) | instid1(VALU_DEP_1)
	v_lshlrev_b64 v[6:7], 3, v[6:7]
	v_add_co_u32 v6, s1, s4, v6
	s_delay_alu instid0(VALU_DEP_1)
	v_add_co_ci_u32_e64 v7, s1, s5, v7, s1
	s_and_saveexec_b32 s1, s0
	s_cbranch_execz .LBB622_9
; %bb.8:
	v_ashrrev_i32_e32 v3, 31, v2
	s_delay_alu instid0(VALU_DEP_1) | instskip(NEXT) | instid1(VALU_DEP_1)
	v_lshlrev_b64 v[2:3], 3, v[2:3]
	v_add_co_u32 v2, s0, v6, v2
	s_delay_alu instid0(VALU_DEP_1)
	v_add_co_ci_u32_e64 v3, s0, v7, v3, s0
	global_load_b64 v[10:11], v[2:3], off
	s_waitcnt vmcnt(0)
	v_dual_add_f32 v9, v9, v10 :: v_dual_add_f32 v10, v0, v11
	global_store_b64 v[2:3], v[9:10], off
.LBB622_9:
	s_or_b32 exec_lo, exec_lo, s1
	v_cmp_le_i32_e64 s0, v4, v5
	s_delay_alu instid0(VALU_DEP_1) | instskip(NEXT) | instid1(SALU_CYCLE_1)
	s_and_b32 s0, vcc_lo, s0
	s_and_saveexec_b32 s1, s0
	s_cbranch_execz .LBB622_11
; %bb.10:
	v_ashrrev_i32_e32 v5, 31, v4
	s_delay_alu instid0(VALU_DEP_1) | instskip(NEXT) | instid1(VALU_DEP_1)
	v_lshlrev_b64 v[2:3], 3, v[4:5]
	v_add_co_u32 v2, vcc_lo, v6, v2
	s_delay_alu instid0(VALU_DEP_2)
	v_add_co_ci_u32_e32 v3, vcc_lo, v7, v3, vcc_lo
	global_load_b64 v[4:5], v[2:3], off
	s_waitcnt vmcnt(0)
	v_dual_add_f32 v0, v8, v4 :: v_dual_add_f32 v1, v1, v5
	global_store_b64 v[2:3], v[0:1], off
.LBB622_11:
	s_nop 0
	s_sendmsg sendmsg(MSG_DEALLOC_VGPRS)
	s_endpgm
	.section	.rodata,"a",@progbits
	.p2align	6, 0x0
	.amdhsa_kernel _ZL37rocblas_syrkx_herkx_restricted_kernelIi19rocblas_complex_numIfELi16ELi32ELi8ELi1ELi1ELb0ELc67ELc85EKPKS1_KPS1_EviT_PT9_S7_lS9_S7_lPT10_S7_li
		.amdhsa_group_segment_fixed_size 4096
		.amdhsa_private_segment_fixed_size 0
		.amdhsa_kernarg_size 84
		.amdhsa_user_sgpr_count 13
		.amdhsa_user_sgpr_dispatch_ptr 0
		.amdhsa_user_sgpr_queue_ptr 0
		.amdhsa_user_sgpr_kernarg_segment_ptr 1
		.amdhsa_user_sgpr_dispatch_id 0
		.amdhsa_user_sgpr_private_segment_size 0
		.amdhsa_wavefront_size32 1
		.amdhsa_uses_dynamic_stack 0
		.amdhsa_enable_private_segment 0
		.amdhsa_system_sgpr_workgroup_id_x 1
		.amdhsa_system_sgpr_workgroup_id_y 1
		.amdhsa_system_sgpr_workgroup_id_z 1
		.amdhsa_system_sgpr_workgroup_info 0
		.amdhsa_system_vgpr_workitem_id 1
		.amdhsa_next_free_vgpr 91
		.amdhsa_next_free_sgpr 17
		.amdhsa_reserve_vcc 1
		.amdhsa_float_round_mode_32 0
		.amdhsa_float_round_mode_16_64 0
		.amdhsa_float_denorm_mode_32 3
		.amdhsa_float_denorm_mode_16_64 3
		.amdhsa_dx10_clamp 1
		.amdhsa_ieee_mode 1
		.amdhsa_fp16_overflow 0
		.amdhsa_workgroup_processor_mode 1
		.amdhsa_memory_ordered 1
		.amdhsa_forward_progress 0
		.amdhsa_shared_vgpr_count 0
		.amdhsa_exception_fp_ieee_invalid_op 0
		.amdhsa_exception_fp_denorm_src 0
		.amdhsa_exception_fp_ieee_div_zero 0
		.amdhsa_exception_fp_ieee_overflow 0
		.amdhsa_exception_fp_ieee_underflow 0
		.amdhsa_exception_fp_ieee_inexact 0
		.amdhsa_exception_int_div_zero 0
	.end_amdhsa_kernel
	.section	.text._ZL37rocblas_syrkx_herkx_restricted_kernelIi19rocblas_complex_numIfELi16ELi32ELi8ELi1ELi1ELb0ELc67ELc85EKPKS1_KPS1_EviT_PT9_S7_lS9_S7_lPT10_S7_li,"axG",@progbits,_ZL37rocblas_syrkx_herkx_restricted_kernelIi19rocblas_complex_numIfELi16ELi32ELi8ELi1ELi1ELb0ELc67ELc85EKPKS1_KPS1_EviT_PT9_S7_lS9_S7_lPT10_S7_li,comdat
.Lfunc_end622:
	.size	_ZL37rocblas_syrkx_herkx_restricted_kernelIi19rocblas_complex_numIfELi16ELi32ELi8ELi1ELi1ELb0ELc67ELc85EKPKS1_KPS1_EviT_PT9_S7_lS9_S7_lPT10_S7_li, .Lfunc_end622-_ZL37rocblas_syrkx_herkx_restricted_kernelIi19rocblas_complex_numIfELi16ELi32ELi8ELi1ELi1ELb0ELc67ELc85EKPKS1_KPS1_EviT_PT9_S7_lS9_S7_lPT10_S7_li
                                        ; -- End function
	.section	.AMDGPU.csdata,"",@progbits
; Kernel info:
; codeLenInByte = 2076
; NumSgprs: 19
; NumVgprs: 91
; ScratchSize: 0
; MemoryBound: 0
; FloatMode: 240
; IeeeMode: 1
; LDSByteSize: 4096 bytes/workgroup (compile time only)
; SGPRBlocks: 2
; VGPRBlocks: 11
; NumSGPRsForWavesPerEU: 19
; NumVGPRsForWavesPerEU: 91
; Occupancy: 16
; WaveLimiterHint : 1
; COMPUTE_PGM_RSRC2:SCRATCH_EN: 0
; COMPUTE_PGM_RSRC2:USER_SGPR: 13
; COMPUTE_PGM_RSRC2:TRAP_HANDLER: 0
; COMPUTE_PGM_RSRC2:TGID_X_EN: 1
; COMPUTE_PGM_RSRC2:TGID_Y_EN: 1
; COMPUTE_PGM_RSRC2:TGID_Z_EN: 1
; COMPUTE_PGM_RSRC2:TIDIG_COMP_CNT: 1
	.section	.text._ZL37rocblas_syrkx_herkx_restricted_kernelIi19rocblas_complex_numIfELi16ELi32ELi8ELi1ELi1ELb0ELc78ELc85EKPKS1_KPS1_EviT_PT9_S7_lS9_S7_lPT10_S7_li,"axG",@progbits,_ZL37rocblas_syrkx_herkx_restricted_kernelIi19rocblas_complex_numIfELi16ELi32ELi8ELi1ELi1ELb0ELc78ELc85EKPKS1_KPS1_EviT_PT9_S7_lS9_S7_lPT10_S7_li,comdat
	.globl	_ZL37rocblas_syrkx_herkx_restricted_kernelIi19rocblas_complex_numIfELi16ELi32ELi8ELi1ELi1ELb0ELc78ELc85EKPKS1_KPS1_EviT_PT9_S7_lS9_S7_lPT10_S7_li ; -- Begin function _ZL37rocblas_syrkx_herkx_restricted_kernelIi19rocblas_complex_numIfELi16ELi32ELi8ELi1ELi1ELb0ELc78ELc85EKPKS1_KPS1_EviT_PT9_S7_lS9_S7_lPT10_S7_li
	.p2align	8
	.type	_ZL37rocblas_syrkx_herkx_restricted_kernelIi19rocblas_complex_numIfELi16ELi32ELi8ELi1ELi1ELb0ELc78ELc85EKPKS1_KPS1_EviT_PT9_S7_lS9_S7_lPT10_S7_li,@function
_ZL37rocblas_syrkx_herkx_restricted_kernelIi19rocblas_complex_numIfELi16ELi32ELi8ELi1ELi1ELb0ELc78ELc85EKPKS1_KPS1_EviT_PT9_S7_lS9_S7_lPT10_S7_li: ; @_ZL37rocblas_syrkx_herkx_restricted_kernelIi19rocblas_complex_numIfELi16ELi32ELi8ELi1ELi1ELb0ELc78ELc85EKPKS1_KPS1_EviT_PT9_S7_lS9_S7_lPT10_S7_li
; %bb.0:
	s_clause 0x1
	s_load_b64 s[4:5], s[0:1], 0x38
	s_load_b64 s[2:3], s[0:1], 0x0
	s_mov_b32 s6, s15
	s_mov_b32 s7, 0
	v_dual_mov_b32 v17, 0 :: v_dual_and_b32 v4, 0x3ff, v0
	s_lshl_b64 s[8:9], s[6:7], 3
	v_bfe_u32 v5, v0, 10, 10
	v_dual_mov_b32 v16, 0 :: v_dual_mov_b32 v13, 0
	v_dual_mov_b32 v12, 0 :: v_dual_mov_b32 v9, 0
	;; [unrolled: 1-line block ×3, first 2 shown]
	v_mov_b32_e32 v6, 0
	s_waitcnt lgkmcnt(0)
	s_add_u32 s4, s4, s8
	s_addc_u32 s5, s5, s9
	s_lshl_b32 s6, s13, 5
	s_load_b64 s[4:5], s[4:5], 0x0
	s_lshl_b32 s12, s14, 5
	s_cmp_lt_i32 s3, 1
	s_cbranch_scc1 .LBB623_3
; %bb.1:
	s_clause 0x3
	s_load_b32 s10, s[0:1], 0x10
	s_load_b32 s14, s[0:1], 0x28
	s_load_b64 s[16:17], s[0:1], 0x8
	s_load_b64 s[18:19], s[0:1], 0x20
	v_lshl_add_u32 v0, v5, 4, v4
	v_and_b32_e32 v12, 7, v4
	v_lshlrev_b32_e32 v10, 3, v4
	v_lshl_add_u32 v11, v5, 6, 0x800
	s_delay_alu instid0(VALU_DEP_4) | instskip(SKIP_2) | instid1(VALU_DEP_3)
	v_dual_mov_b32 v16, 0 :: v_dual_and_b32 v9, 31, v0
	v_lshrrev_b32_e32 v6, 3, v0
	v_lshrrev_b32_e32 v13, 5, v0
	v_dual_mov_b32 v17, 0 :: v_dual_add_nc_u32 v2, s6, v9
	s_delay_alu instid0(VALU_DEP_3) | instskip(NEXT) | instid1(VALU_DEP_2)
	v_add_nc_u32_e32 v0, s12, v6
	v_ashrrev_i32_e32 v3, 31, v2
	s_waitcnt lgkmcnt(0)
	s_ashr_i32 s11, s10, 31
	s_ashr_i32 s15, s14, 31
	s_add_u32 s16, s16, s8
	s_addc_u32 s17, s17, s9
	s_add_u32 s8, s18, s8
	s_load_b64 s[16:17], s[16:17], 0x0
	s_addc_u32 s9, s19, s9
	v_ashrrev_i32_e32 v1, 31, v0
	s_load_b64 s[8:9], s[8:9], 0x0
	v_mad_i64_i32 v[7:8], null, s10, v13, v[2:3]
	s_delay_alu instid0(VALU_DEP_2) | instskip(NEXT) | instid1(VALU_DEP_2)
	v_mad_i64_i32 v[2:3], null, s14, v12, v[0:1]
	v_lshlrev_b64 v[0:1], 3, v[7:8]
	v_dual_mov_b32 v7, 0 :: v_dual_lshlrev_b32 v14, 3, v12
	s_delay_alu instid0(VALU_DEP_3) | instskip(SKIP_1) | instid1(VALU_DEP_3)
	v_lshlrev_b64 v[2:3], 3, v[2:3]
	v_mov_b32_e32 v8, 0
	v_lshl_or_b32 v12, v6, 6, v14
	s_waitcnt lgkmcnt(0)
	v_add_co_u32 v0, vcc_lo, v0, s16
	v_add_co_ci_u32_e32 v1, vcc_lo, s17, v1, vcc_lo
	v_add_co_u32 v2, vcc_lo, v2, s8
	v_add_co_ci_u32_e32 v3, vcc_lo, s9, v3, vcc_lo
	v_dual_mov_b32 v6, 0 :: v_dual_lshlrev_b32 v9, 3, v9
	v_add_co_u32 v0, vcc_lo, v0, 4
	v_add_co_ci_u32_e32 v1, vcc_lo, 0, v1, vcc_lo
	v_add_co_u32 v2, vcc_lo, v2, 4
	s_delay_alu instid0(VALU_DEP_4)
	v_lshl_or_b32 v14, v13, 8, v9
	v_dual_mov_b32 v12, 0 :: v_dual_add_nc_u32 v15, 0x800, v12
	v_add_co_ci_u32_e32 v3, vcc_lo, 0, v3, vcc_lo
	v_mov_b32_e32 v9, 0
	v_mov_b32_e32 v13, 0
	s_lshl_b64 s[8:9], s[10:11], 6
	s_lshl_b64 s[10:11], s[14:15], 6
.LBB623_2:                              ; =>This Inner Loop Header: Depth=1
	global_load_b64 v[18:19], v[0:1], off offset:-4
	global_load_b64 v[20:21], v[2:3], off offset:-4
	v_add_co_u32 v0, vcc_lo, v0, s8
	v_add_co_ci_u32_e32 v1, vcc_lo, s9, v1, vcc_lo
	v_add_co_u32 v2, vcc_lo, v2, s10
	v_add_co_ci_u32_e32 v3, vcc_lo, s11, v3, vcc_lo
	s_add_i32 s7, s7, 8
	s_waitcnt vmcnt(1)
	ds_store_b64 v14, v[18:19]
	s_waitcnt vmcnt(0)
	ds_store_b64 v15, v[20:21]
	s_waitcnt lgkmcnt(0)
	s_barrier
	buffer_gl0_inv
	ds_load_2addr_b64 v[18:21], v10 offset1:16
	ds_load_b128 v[22:25], v11
	ds_load_b128 v[26:29], v11 offset:1024
	ds_load_b128 v[30:33], v11 offset:16
	ds_load_2addr_b64 v[34:37], v10 offset0:32 offset1:48
	ds_load_b128 v[38:41], v11 offset:32
	ds_load_b128 v[42:45], v11 offset:48
	ds_load_2addr_b64 v[46:49], v10 offset0:64 offset1:80
	ds_load_b128 v[50:53], v11 offset:1040
	ds_load_2addr_b64 v[54:57], v10 offset0:96 offset1:112
	ds_load_2addr_b64 v[58:61], v10 offset0:128 offset1:144
	;; [unrolled: 1-line block ×4, first 2 shown]
	ds_load_b128 v[70:73], v11 offset:1056
	ds_load_b128 v[74:77], v11 offset:1072
	ds_load_2addr_b64 v[78:81], v10 offset0:224 offset1:240
	s_cmp_ge_i32 s7, s3
	s_waitcnt lgkmcnt(0)
	s_barrier
	buffer_gl0_inv
	v_dual_mul_f32 v82, v23, v19 :: v_dual_mul_f32 v85, v22, v21
	v_dual_mul_f32 v83, v22, v19 :: v_dual_mul_f32 v84, v23, v21
	v_mul_f32_e32 v86, v27, v19
	v_dual_mul_f32 v19, v26, v19 :: v_dual_mul_f32 v90, v25, v37
	v_dual_mul_f32 v87, v27, v21 :: v_dual_mul_f32 v88, v25, v35
	v_mul_f32_e32 v21, v26, v21
	v_mul_f32_e32 v89, v24, v35
	;; [unrolled: 1-line block ×3, first 2 shown]
	v_fma_f32 v82, v22, v18, -v82
	v_fmac_f32_e32 v83, v23, v18
	v_fma_f32 v22, v22, v20, -v84
	v_dual_fmac_f32 v85, v23, v20 :: v_dual_mul_f32 v84, v30, v47
	v_fma_f32 v23, v26, v18, -v86
	v_fmac_f32_e32 v19, v27, v18
	v_fma_f32 v18, v26, v20, -v87
	v_dual_mul_f32 v26, v28, v35 :: v_dual_fmac_f32 v21, v27, v20
	v_mul_f32_e32 v20, v29, v35
	v_mul_f32_e32 v27, v29, v37
	v_dual_mul_f32 v35, v28, v37 :: v_dual_fmac_f32 v84, v31, v46
	v_fma_f32 v37, v24, v34, -v88
	v_fma_f32 v24, v24, v36, -v90
	v_dual_fmac_f32 v91, v25, v36 :: v_dual_mul_f32 v90, v32, v57
	v_dual_mul_f32 v86, v31, v49 :: v_dual_fmac_f32 v89, v25, v34
	v_dual_mul_f32 v25, v31, v47 :: v_dual_mul_f32 v88, v33, v57
	v_fma_f32 v20, v28, v34, -v20
	v_fmac_f32_e32 v26, v29, v34
	v_fma_f32 v27, v28, v36, -v27
	v_dual_fmac_f32 v35, v29, v36 :: v_dual_mul_f32 v28, v51, v47
	v_dual_mul_f32 v29, v50, v47 :: v_dual_mul_f32 v34, v51, v49
	v_mul_f32_e32 v36, v50, v49
	v_mul_f32_e32 v87, v30, v49
	;; [unrolled: 1-line block ×3, first 2 shown]
	v_dual_mul_f32 v49, v32, v55 :: v_dual_fmac_f32 v90, v33, v56
	v_fma_f32 v25, v30, v46, -v25
	v_fma_f32 v30, v30, v48, -v86
	;; [unrolled: 1-line block ×3, first 2 shown]
	v_fmac_f32_e32 v36, v51, v48
	v_fmac_f32_e32 v87, v31, v48
	v_fma_f32 v31, v50, v48, -v34
	v_mul_f32_e32 v34, v53, v55
	v_mul_f32_e32 v48, v53, v57
	v_dual_mul_f32 v50, v52, v57 :: v_dual_fmac_f32 v29, v51, v46
	v_mul_f32_e32 v46, v52, v55
	v_fma_f32 v47, v32, v54, -v47
	v_fmac_f32_e32 v49, v33, v54
	v_fma_f32 v32, v32, v56, -v88
	s_delay_alu instid0(VALU_DEP_4)
	v_dual_mul_f32 v33, v39, v59 :: v_dual_fmac_f32 v46, v53, v54
	v_mul_f32_e32 v51, v38, v59
	v_mul_f32_e32 v55, v39, v61
	v_fma_f32 v34, v52, v54, -v34
	v_fma_f32 v48, v52, v56, -v48
	v_fmac_f32_e32 v50, v53, v56
	v_mul_f32_e32 v52, v71, v59
	v_dual_mul_f32 v53, v70, v59 :: v_dual_mul_f32 v86, v41, v65
	v_mul_f32_e32 v54, v71, v61
	v_dual_mul_f32 v56, v70, v61 :: v_dual_mul_f32 v59, v41, v63
	v_mul_f32_e32 v57, v38, v61
	v_mul_f32_e32 v61, v40, v63
	v_dual_mul_f32 v88, v40, v65 :: v_dual_fmac_f32 v51, v39, v58
	v_fma_f32 v33, v38, v58, -v33
	v_fmac_f32_e32 v53, v71, v58
	v_fmac_f32_e32 v56, v71, v60
	s_delay_alu instid0(VALU_DEP_4)
	v_fmac_f32_e32 v88, v41, v64
	v_fmac_f32_e32 v57, v39, v60
	v_fma_f32 v39, v70, v58, -v52
	v_fma_f32 v52, v70, v60, -v54
	v_mul_f32_e32 v54, v73, v63
	v_fma_f32 v38, v38, v60, -v55
	v_mul_f32_e32 v60, v72, v65
	v_dual_mul_f32 v55, v72, v63 :: v_dual_mul_f32 v70, v42, v69
	v_mul_f32_e32 v58, v73, v65
	v_fma_f32 v59, v40, v62, -v59
	v_fmac_f32_e32 v61, v41, v62
	v_fma_f32 v40, v40, v64, -v86
	v_dual_mul_f32 v41, v43, v67 :: v_dual_fmac_f32 v60, v73, v64
	v_dual_mul_f32 v63, v42, v67 :: v_dual_mul_f32 v86, v44, v81
	v_mul_f32_e32 v65, v43, v69
	v_fma_f32 v54, v72, v62, -v54
	v_fmac_f32_e32 v55, v73, v62
	v_fma_f32 v58, v72, v64, -v58
	v_mul_f32_e32 v72, v44, v79
	v_mul_f32_e32 v62, v75, v67
	v_dual_mul_f32 v64, v74, v67 :: v_dual_mul_f32 v67, v75, v69
	v_dual_mul_f32 v69, v74, v69 :: v_dual_fmac_f32 v70, v43, v68
	s_delay_alu instid0(VALU_DEP_2)
	v_dual_mul_f32 v71, v45, v79 :: v_dual_fmac_f32 v64, v75, v66
	v_dual_mul_f32 v73, v45, v81 :: v_dual_add_f32 v16, v16, v82
	v_fma_f32 v41, v42, v66, -v41
	v_fmac_f32_e32 v63, v43, v66
	v_fma_f32 v42, v42, v68, -v65
	v_fma_f32 v43, v74, v66, -v62
	v_dual_mul_f32 v65, v77, v79 :: v_dual_add_f32 v12, v12, v85
	v_mul_f32_e32 v66, v76, v79
	v_fma_f32 v62, v74, v68, -v67
	v_dual_mul_f32 v67, v77, v81 :: v_dual_add_f32 v8, v8, v19
	v_dual_fmac_f32 v86, v45, v80 :: v_dual_add_f32 v7, v7, v18
	v_dual_add_f32 v17, v17, v83 :: v_dual_add_f32 v6, v6, v21
	v_dual_add_f32 v13, v13, v22 :: v_dual_add_f32 v16, v16, v37
	s_delay_alu instid0(VALU_DEP_4)
	v_dual_add_f32 v9, v9, v23 :: v_dual_add_f32 v8, v8, v26
	v_dual_fmac_f32 v69, v75, v68 :: v_dual_fmac_f32 v72, v45, v78
	v_mul_f32_e32 v68, v76, v81
	v_dual_fmac_f32 v66, v77, v78 :: v_dual_add_f32 v7, v7, v27
	v_dual_add_f32 v17, v17, v89 :: v_dual_add_f32 v12, v12, v91
	v_dual_add_f32 v13, v13, v24 :: v_dual_add_f32 v6, v6, v35
	;; [unrolled: 1-line block ×3, first 2 shown]
	s_delay_alu instid0(VALU_DEP_4) | instskip(NEXT) | instid1(VALU_DEP_4)
	v_dual_fmac_f32 v68, v77, v80 :: v_dual_add_f32 v7, v7, v31
	v_dual_add_f32 v17, v17, v84 :: v_dual_add_f32 v12, v12, v87
	s_delay_alu instid0(VALU_DEP_4) | instskip(NEXT) | instid1(VALU_DEP_4)
	v_dual_add_f32 v13, v13, v30 :: v_dual_add_f32 v8, v8, v29
	v_dual_add_f32 v9, v9, v28 :: v_dual_add_f32 v16, v16, v47
	s_delay_alu instid0(VALU_DEP_3) | instskip(NEXT) | instid1(VALU_DEP_3)
	v_dual_add_f32 v6, v6, v36 :: v_dual_add_f32 v17, v17, v49
	v_dual_add_f32 v13, v13, v32 :: v_dual_add_f32 v12, v12, v90
	s_delay_alu instid0(VALU_DEP_3) | instskip(SKIP_1) | instid1(VALU_DEP_4)
	v_dual_add_f32 v9, v9, v34 :: v_dual_add_f32 v16, v16, v33
	v_dual_add_f32 v8, v8, v46 :: v_dual_add_f32 v7, v7, v48
	;; [unrolled: 1-line block ×3, first 2 shown]
	s_delay_alu instid0(VALU_DEP_4) | instskip(NEXT) | instid1(VALU_DEP_3)
	v_dual_add_f32 v13, v13, v38 :: v_dual_add_f32 v12, v12, v57
	v_dual_add_f32 v9, v9, v39 :: v_dual_add_f32 v8, v8, v53
	s_delay_alu instid0(VALU_DEP_4) | instskip(NEXT) | instid1(VALU_DEP_4)
	v_dual_add_f32 v7, v7, v52 :: v_dual_add_f32 v16, v16, v59
	v_dual_add_f32 v6, v6, v56 :: v_dual_add_f32 v17, v17, v61
	s_delay_alu instid0(VALU_DEP_3) | instskip(NEXT) | instid1(VALU_DEP_4)
	v_dual_add_f32 v13, v13, v40 :: v_dual_add_f32 v8, v8, v55
	v_dual_add_f32 v12, v12, v88 :: v_dual_add_f32 v9, v9, v54
	s_delay_alu instid0(VALU_DEP_3)
	v_dual_add_f32 v7, v7, v58 :: v_dual_add_f32 v6, v6, v60
	v_fma_f32 v71, v44, v78, -v71
	v_fma_f32 v44, v44, v80, -v73
	v_fma_f32 v45, v76, v78, -v65
	v_fma_f32 v65, v76, v80, -v67
	v_dual_add_f32 v16, v16, v41 :: v_dual_add_f32 v17, v17, v63
	v_dual_add_f32 v13, v13, v42 :: v_dual_add_f32 v8, v8, v64
	;; [unrolled: 1-line block ×4, first 2 shown]
	s_delay_alu instid0(VALU_DEP_4) | instskip(NEXT) | instid1(VALU_DEP_3)
	v_dual_add_f32 v16, v16, v71 :: v_dual_add_f32 v17, v17, v72
	v_dual_add_f32 v13, v13, v44 :: v_dual_add_f32 v12, v12, v86
	s_delay_alu instid0(VALU_DEP_4) | instskip(NEXT) | instid1(VALU_DEP_4)
	v_dual_add_f32 v9, v9, v45 :: v_dual_add_f32 v8, v8, v66
	v_dual_add_f32 v7, v7, v65 :: v_dual_add_f32 v6, v6, v68
	s_cbranch_scc0 .LBB623_2
.LBB623_3:
	s_load_b32 s3, s[0:1], 0x40
	v_add_nc_u32_e32 v5, s12, v5
	v_add_nc_u32_e32 v0, s6, v4
	s_delay_alu instid0(VALU_DEP_2) | instskip(NEXT) | instid1(VALU_DEP_2)
	v_cmp_gt_i32_e32 vcc_lo, s2, v5
	v_cmp_le_i32_e64 s0, v0, v5
	s_delay_alu instid0(VALU_DEP_1) | instskip(SKIP_2) | instid1(VALU_DEP_1)
	s_and_b32 s0, vcc_lo, s0
	s_waitcnt lgkmcnt(0)
	v_mad_i64_i32 v[1:2], null, v5, s3, 0
	v_lshlrev_b64 v[1:2], 3, v[1:2]
	s_delay_alu instid0(VALU_DEP_1) | instskip(NEXT) | instid1(VALU_DEP_1)
	v_add_co_u32 v4, s1, s4, v1
	v_add_co_ci_u32_e64 v10, s1, s5, v2, s1
	s_and_saveexec_b32 s1, s0
	s_cbranch_execz .LBB623_5
; %bb.4:
	v_ashrrev_i32_e32 v1, 31, v0
	s_delay_alu instid0(VALU_DEP_1) | instskip(NEXT) | instid1(VALU_DEP_1)
	v_lshlrev_b64 v[1:2], 3, v[0:1]
	v_add_co_u32 v1, s0, v4, v1
	s_delay_alu instid0(VALU_DEP_1)
	v_add_co_ci_u32_e64 v2, s0, v10, v2, s0
	global_load_b64 v[14:15], v[1:2], off
	s_waitcnt vmcnt(0)
	v_dual_add_f32 v14, v16, v14 :: v_dual_add_f32 v15, v17, v15
	global_store_b64 v[1:2], v[14:15], off
.LBB623_5:
	s_or_b32 exec_lo, exec_lo, s1
	v_add_nc_u32_e32 v2, 16, v0
	s_delay_alu instid0(VALU_DEP_1) | instskip(NEXT) | instid1(VALU_DEP_1)
	v_cmp_le_i32_e64 s0, v2, v5
	s_and_b32 s1, vcc_lo, s0
	s_delay_alu instid0(SALU_CYCLE_1)
	s_and_saveexec_b32 s0, s1
	s_cbranch_execz .LBB623_7
; %bb.6:
	v_ashrrev_i32_e32 v3, 31, v2
	s_delay_alu instid0(VALU_DEP_1) | instskip(NEXT) | instid1(VALU_DEP_1)
	v_lshlrev_b64 v[14:15], 3, v[2:3]
	v_add_co_u32 v3, vcc_lo, v4, v14
	s_delay_alu instid0(VALU_DEP_2)
	v_add_co_ci_u32_e32 v4, vcc_lo, v10, v15, vcc_lo
	global_load_b64 v[10:11], v[3:4], off
	s_waitcnt vmcnt(0)
	v_dual_add_f32 v10, v13, v10 :: v_dual_add_f32 v11, v12, v11
	global_store_b64 v[3:4], v[10:11], off
.LBB623_7:
	s_or_b32 exec_lo, exec_lo, s0
	v_add_nc_u32_e32 v3, 16, v5
	s_delay_alu instid0(VALU_DEP_1) | instskip(SKIP_2) | instid1(VALU_DEP_1)
	v_mad_i64_i32 v[4:5], null, v3, s3, 0
	v_cmp_gt_i32_e32 vcc_lo, s2, v3
	v_cmp_le_i32_e64 s0, v0, v3
	s_and_b32 s0, vcc_lo, s0
	s_delay_alu instid0(VALU_DEP_3) | instskip(NEXT) | instid1(VALU_DEP_1)
	v_lshlrev_b64 v[4:5], 3, v[4:5]
	v_add_co_u32 v4, s1, s4, v4
	s_delay_alu instid0(VALU_DEP_1)
	v_add_co_ci_u32_e64 v5, s1, s5, v5, s1
	s_and_saveexec_b32 s1, s0
	s_cbranch_execz .LBB623_9
; %bb.8:
	v_ashrrev_i32_e32 v1, 31, v0
	s_delay_alu instid0(VALU_DEP_1) | instskip(NEXT) | instid1(VALU_DEP_1)
	v_lshlrev_b64 v[0:1], 3, v[0:1]
	v_add_co_u32 v0, s0, v4, v0
	s_delay_alu instid0(VALU_DEP_1)
	v_add_co_ci_u32_e64 v1, s0, v5, v1, s0
	global_load_b64 v[10:11], v[0:1], off
	s_waitcnt vmcnt(0)
	v_dual_add_f32 v9, v9, v10 :: v_dual_add_f32 v10, v8, v11
	global_store_b64 v[0:1], v[9:10], off
.LBB623_9:
	s_or_b32 exec_lo, exec_lo, s1
	v_cmp_le_i32_e64 s0, v2, v3
	s_delay_alu instid0(VALU_DEP_1) | instskip(NEXT) | instid1(SALU_CYCLE_1)
	s_and_b32 s0, vcc_lo, s0
	s_and_saveexec_b32 s1, s0
	s_cbranch_execz .LBB623_11
; %bb.10:
	v_ashrrev_i32_e32 v3, 31, v2
	s_delay_alu instid0(VALU_DEP_1) | instskip(NEXT) | instid1(VALU_DEP_1)
	v_lshlrev_b64 v[0:1], 3, v[2:3]
	v_add_co_u32 v0, vcc_lo, v4, v0
	s_delay_alu instid0(VALU_DEP_2)
	v_add_co_ci_u32_e32 v1, vcc_lo, v5, v1, vcc_lo
	global_load_b64 v[2:3], v[0:1], off
	s_waitcnt vmcnt(0)
	v_dual_add_f32 v2, v7, v2 :: v_dual_add_f32 v3, v6, v3
	global_store_b64 v[0:1], v[2:3], off
.LBB623_11:
	s_nop 0
	s_sendmsg sendmsg(MSG_DEALLOC_VGPRS)
	s_endpgm
	.section	.rodata,"a",@progbits
	.p2align	6, 0x0
	.amdhsa_kernel _ZL37rocblas_syrkx_herkx_restricted_kernelIi19rocblas_complex_numIfELi16ELi32ELi8ELi1ELi1ELb0ELc78ELc85EKPKS1_KPS1_EviT_PT9_S7_lS9_S7_lPT10_S7_li
		.amdhsa_group_segment_fixed_size 4096
		.amdhsa_private_segment_fixed_size 0
		.amdhsa_kernarg_size 84
		.amdhsa_user_sgpr_count 13
		.amdhsa_user_sgpr_dispatch_ptr 0
		.amdhsa_user_sgpr_queue_ptr 0
		.amdhsa_user_sgpr_kernarg_segment_ptr 1
		.amdhsa_user_sgpr_dispatch_id 0
		.amdhsa_user_sgpr_private_segment_size 0
		.amdhsa_wavefront_size32 1
		.amdhsa_uses_dynamic_stack 0
		.amdhsa_enable_private_segment 0
		.amdhsa_system_sgpr_workgroup_id_x 1
		.amdhsa_system_sgpr_workgroup_id_y 1
		.amdhsa_system_sgpr_workgroup_id_z 1
		.amdhsa_system_sgpr_workgroup_info 0
		.amdhsa_system_vgpr_workitem_id 1
		.amdhsa_next_free_vgpr 92
		.amdhsa_next_free_sgpr 20
		.amdhsa_reserve_vcc 1
		.amdhsa_float_round_mode_32 0
		.amdhsa_float_round_mode_16_64 0
		.amdhsa_float_denorm_mode_32 3
		.amdhsa_float_denorm_mode_16_64 3
		.amdhsa_dx10_clamp 1
		.amdhsa_ieee_mode 1
		.amdhsa_fp16_overflow 0
		.amdhsa_workgroup_processor_mode 1
		.amdhsa_memory_ordered 1
		.amdhsa_forward_progress 0
		.amdhsa_shared_vgpr_count 0
		.amdhsa_exception_fp_ieee_invalid_op 0
		.amdhsa_exception_fp_denorm_src 0
		.amdhsa_exception_fp_ieee_div_zero 0
		.amdhsa_exception_fp_ieee_overflow 0
		.amdhsa_exception_fp_ieee_underflow 0
		.amdhsa_exception_fp_ieee_inexact 0
		.amdhsa_exception_int_div_zero 0
	.end_amdhsa_kernel
	.section	.text._ZL37rocblas_syrkx_herkx_restricted_kernelIi19rocblas_complex_numIfELi16ELi32ELi8ELi1ELi1ELb0ELc78ELc85EKPKS1_KPS1_EviT_PT9_S7_lS9_S7_lPT10_S7_li,"axG",@progbits,_ZL37rocblas_syrkx_herkx_restricted_kernelIi19rocblas_complex_numIfELi16ELi32ELi8ELi1ELi1ELb0ELc78ELc85EKPKS1_KPS1_EviT_PT9_S7_lS9_S7_lPT10_S7_li,comdat
.Lfunc_end623:
	.size	_ZL37rocblas_syrkx_herkx_restricted_kernelIi19rocblas_complex_numIfELi16ELi32ELi8ELi1ELi1ELb0ELc78ELc85EKPKS1_KPS1_EviT_PT9_S7_lS9_S7_lPT10_S7_li, .Lfunc_end623-_ZL37rocblas_syrkx_herkx_restricted_kernelIi19rocblas_complex_numIfELi16ELi32ELi8ELi1ELi1ELb0ELc78ELc85EKPKS1_KPS1_EviT_PT9_S7_lS9_S7_lPT10_S7_li
                                        ; -- End function
	.section	.AMDGPU.csdata,"",@progbits
; Kernel info:
; codeLenInByte = 2104
; NumSgprs: 22
; NumVgprs: 92
; ScratchSize: 0
; MemoryBound: 0
; FloatMode: 240
; IeeeMode: 1
; LDSByteSize: 4096 bytes/workgroup (compile time only)
; SGPRBlocks: 2
; VGPRBlocks: 11
; NumSGPRsForWavesPerEU: 22
; NumVGPRsForWavesPerEU: 92
; Occupancy: 16
; WaveLimiterHint : 1
; COMPUTE_PGM_RSRC2:SCRATCH_EN: 0
; COMPUTE_PGM_RSRC2:USER_SGPR: 13
; COMPUTE_PGM_RSRC2:TRAP_HANDLER: 0
; COMPUTE_PGM_RSRC2:TGID_X_EN: 1
; COMPUTE_PGM_RSRC2:TGID_Y_EN: 1
; COMPUTE_PGM_RSRC2:TGID_Z_EN: 1
; COMPUTE_PGM_RSRC2:TIDIG_COMP_CNT: 1
	.section	.text._ZL37rocblas_syrkx_herkx_restricted_kernelIi19rocblas_complex_numIfELi16ELi32ELi8ELi1ELin1ELb0ELc84ELc76EKPKS1_KPS1_EviT_PT9_S7_lS9_S7_lPT10_S7_li,"axG",@progbits,_ZL37rocblas_syrkx_herkx_restricted_kernelIi19rocblas_complex_numIfELi16ELi32ELi8ELi1ELin1ELb0ELc84ELc76EKPKS1_KPS1_EviT_PT9_S7_lS9_S7_lPT10_S7_li,comdat
	.globl	_ZL37rocblas_syrkx_herkx_restricted_kernelIi19rocblas_complex_numIfELi16ELi32ELi8ELi1ELin1ELb0ELc84ELc76EKPKS1_KPS1_EviT_PT9_S7_lS9_S7_lPT10_S7_li ; -- Begin function _ZL37rocblas_syrkx_herkx_restricted_kernelIi19rocblas_complex_numIfELi16ELi32ELi8ELi1ELin1ELb0ELc84ELc76EKPKS1_KPS1_EviT_PT9_S7_lS9_S7_lPT10_S7_li
	.p2align	8
	.type	_ZL37rocblas_syrkx_herkx_restricted_kernelIi19rocblas_complex_numIfELi16ELi32ELi8ELi1ELin1ELb0ELc84ELc76EKPKS1_KPS1_EviT_PT9_S7_lS9_S7_lPT10_S7_li,@function
_ZL37rocblas_syrkx_herkx_restricted_kernelIi19rocblas_complex_numIfELi16ELi32ELi8ELi1ELin1ELb0ELc84ELc76EKPKS1_KPS1_EviT_PT9_S7_lS9_S7_lPT10_S7_li: ; @_ZL37rocblas_syrkx_herkx_restricted_kernelIi19rocblas_complex_numIfELi16ELi32ELi8ELi1ELin1ELb0ELc84ELc76EKPKS1_KPS1_EviT_PT9_S7_lS9_S7_lPT10_S7_li
; %bb.0:
	s_clause 0x1
	s_load_b64 s[2:3], s[0:1], 0x38
	s_load_b64 s[4:5], s[0:1], 0x0
	s_mov_b32 s6, s15
	s_mov_b32 s7, 0
	v_dual_mov_b32 v17, 0 :: v_dual_and_b32 v6, 0x3ff, v0
	s_lshl_b64 s[8:9], s[6:7], 3
	v_bfe_u32 v7, v0, 10, 10
	v_dual_mov_b32 v16, 0 :: v_dual_mov_b32 v13, 0
	v_dual_mov_b32 v12, 0 :: v_dual_mov_b32 v9, 0
	;; [unrolled: 1-line block ×3, first 2 shown]
	v_mov_b32_e32 v8, 0
	s_waitcnt lgkmcnt(0)
	s_add_u32 s2, s2, s8
	s_addc_u32 s3, s3, s9
	s_lshl_b32 s6, s13, 5
	s_load_b64 s[2:3], s[2:3], 0x0
	s_lshl_b32 s10, s14, 5
	s_cmp_lt_i32 s5, 1
	s_cbranch_scc1 .LBB624_3
; %bb.1:
	s_clause 0x3
	s_load_b64 s[12:13], s[0:1], 0x8
	s_load_b64 s[14:15], s[0:1], 0x20
	s_load_b32 s11, s[0:1], 0x10
	s_load_b32 s16, s[0:1], 0x28
	v_lshl_add_u32 v2, v7, 4, v6
	v_dual_mov_b32 v1, 0 :: v_dual_and_b32 v0, 7, v6
	v_lshlrev_b32_e32 v10, 3, v6
	v_lshl_add_u32 v11, v7, 6, 0x800
	s_delay_alu instid0(VALU_DEP_4)
	v_and_b32_e32 v14, 31, v2
	v_lshrrev_b32_e32 v9, 3, v2
	v_lshrrev_b32_e32 v2, 5, v2
	v_mov_b32_e32 v3, v1
	v_mov_b32_e32 v16, v1
	v_add_nc_u32_e32 v8, s6, v14
	v_add_nc_u32_e32 v15, s10, v9
	v_mov_b32_e32 v17, v1
	s_waitcnt lgkmcnt(0)
	s_add_u32 s12, s12, s8
	s_addc_u32 s13, s13, s9
	s_add_u32 s8, s14, s8
	s_load_b64 s[12:13], s[12:13], 0x0
	s_addc_u32 s9, s15, s9
	v_mad_i64_i32 v[4:5], null, s11, v8, v[2:3]
	v_mov_b32_e32 v8, v1
	s_load_b64 s[8:9], s[8:9], 0x0
	v_lshlrev_b32_e32 v3, 3, v0
	v_mad_i64_i32 v[12:13], null, s16, v15, v[0:1]
	v_mov_b32_e32 v0, v1
	s_delay_alu instid0(VALU_DEP_3) | instskip(SKIP_3) | instid1(VALU_DEP_4)
	v_lshl_or_b32 v15, v9, 6, v3
	v_lshlrev_b64 v[3:4], 3, v[4:5]
	v_dual_mov_b32 v9, v1 :: v_dual_lshlrev_b32 v14, 3, v14
	v_lshlrev_b64 v[12:13], 3, v[12:13]
	v_add_nc_u32_e32 v15, 0x800, v15
	s_delay_alu instid0(VALU_DEP_3)
	v_lshl_or_b32 v14, v2, 8, v14
	s_waitcnt lgkmcnt(0)
	v_add_co_u32 v2, vcc_lo, v3, s12
	v_add_co_ci_u32_e32 v3, vcc_lo, s13, v4, vcc_lo
	v_add_co_u32 v4, vcc_lo, v12, s8
	v_mov_b32_e32 v12, v1
	v_add_co_ci_u32_e32 v5, vcc_lo, s9, v13, vcc_lo
	v_add_co_u32 v2, vcc_lo, v2, 4
	v_add_co_ci_u32_e32 v3, vcc_lo, 0, v3, vcc_lo
	v_add_co_u32 v4, vcc_lo, v4, 4
	s_delay_alu instid0(VALU_DEP_4)
	v_add_co_ci_u32_e32 v5, vcc_lo, 0, v5, vcc_lo
	v_mov_b32_e32 v13, v1
.LBB624_2:                              ; =>This Inner Loop Header: Depth=1
	global_load_b64 v[18:19], v[2:3], off offset:-4
	global_load_b64 v[20:21], v[4:5], off offset:-4
	v_add_co_u32 v2, vcc_lo, v2, 64
	v_add_co_ci_u32_e32 v3, vcc_lo, 0, v3, vcc_lo
	v_add_co_u32 v4, vcc_lo, v4, 64
	v_add_co_ci_u32_e32 v5, vcc_lo, 0, v5, vcc_lo
	s_add_i32 s7, s7, 8
	s_waitcnt vmcnt(1)
	ds_store_b64 v14, v[18:19]
	s_waitcnt vmcnt(0)
	ds_store_b64 v15, v[20:21]
	s_waitcnt lgkmcnt(0)
	s_barrier
	buffer_gl0_inv
	ds_load_2addr_b64 v[18:21], v10 offset1:16
	ds_load_b128 v[22:25], v11
	ds_load_b128 v[26:29], v11 offset:1024
	ds_load_b128 v[30:33], v11 offset:16
	ds_load_2addr_b64 v[34:37], v10 offset0:32 offset1:48
	ds_load_b128 v[38:41], v11 offset:32
	ds_load_b128 v[42:45], v11 offset:48
	ds_load_2addr_b64 v[46:49], v10 offset0:64 offset1:80
	ds_load_b128 v[50:53], v11 offset:1040
	ds_load_2addr_b64 v[54:57], v10 offset0:96 offset1:112
	ds_load_2addr_b64 v[58:61], v10 offset0:128 offset1:144
	;; [unrolled: 1-line block ×4, first 2 shown]
	ds_load_b128 v[70:73], v11 offset:1056
	ds_load_b128 v[74:77], v11 offset:1072
	ds_load_2addr_b64 v[78:81], v10 offset0:224 offset1:240
	s_cmp_ge_i32 s7, s5
	s_waitcnt lgkmcnt(0)
	s_barrier
	buffer_gl0_inv
	v_dual_mul_f32 v82, v23, v19 :: v_dual_mul_f32 v85, v22, v21
	v_dual_mul_f32 v83, v22, v19 :: v_dual_mul_f32 v84, v23, v21
	v_mul_f32_e32 v86, v27, v19
	v_dual_mul_f32 v19, v26, v19 :: v_dual_mul_f32 v90, v25, v37
	v_dual_mul_f32 v87, v27, v21 :: v_dual_mul_f32 v88, v25, v35
	v_mul_f32_e32 v21, v26, v21
	v_fma_f32 v82, v22, v18, -v82
	v_fmac_f32_e32 v83, v23, v18
	v_fma_f32 v22, v22, v20, -v84
	v_fmac_f32_e32 v85, v23, v20
	v_fma_f32 v23, v26, v18, -v86
	v_dual_fmac_f32 v19, v27, v18 :: v_dual_mul_f32 v86, v30, v47
	v_fma_f32 v18, v26, v20, -v87
	v_dual_fmac_f32 v21, v27, v20 :: v_dual_mul_f32 v20, v24, v37
	v_mul_f32_e32 v89, v24, v35
	v_mul_f32_e32 v26, v29, v35
	;; [unrolled: 1-line block ×4, first 2 shown]
	v_fmac_f32_e32 v20, v25, v36
	v_fmac_f32_e32 v89, v25, v34
	v_dual_mul_f32 v25, v28, v37 :: v_dual_fmac_f32 v86, v31, v46
	v_fma_f32 v84, v24, v34, -v88
	v_fma_f32 v24, v24, v36, -v90
	v_dual_mul_f32 v37, v31, v47 :: v_dual_mul_f32 v90, v33, v57
	v_fma_f32 v26, v28, v34, -v26
	v_fma_f32 v28, v28, v36, -v35
	v_fmac_f32_e32 v25, v29, v36
	v_dual_mul_f32 v35, v50, v47 :: v_dual_mul_f32 v36, v51, v49
	v_dual_fmac_f32 v27, v29, v34 :: v_dual_mul_f32 v34, v51, v47
	v_dual_mul_f32 v88, v32, v55 :: v_dual_mul_f32 v29, v30, v49
	v_mul_f32_e32 v87, v31, v49
	v_fma_f32 v37, v30, v46, -v37
	v_add_f32_e32 v16, v16, v82
	s_delay_alu instid0(VALU_DEP_4)
	v_dual_fmac_f32 v88, v33, v54 :: v_dual_fmac_f32 v29, v31, v48
	v_fma_f32 v31, v50, v46, -v34
	v_fma_f32 v34, v50, v48, -v36
	v_mul_f32_e32 v36, v32, v57
	v_mul_f32_e32 v47, v50, v49
	v_dual_mul_f32 v50, v53, v57 :: v_dual_fmac_f32 v35, v51, v46
	v_mul_f32_e32 v46, v53, v55
	v_mul_f32_e32 v49, v33, v55
	v_fma_f32 v30, v30, v48, -v87
	v_fmac_f32_e32 v36, v33, v56
	v_dual_fmac_f32 v47, v51, v48 :: v_dual_mul_f32 v48, v52, v55
	v_mul_f32_e32 v33, v52, v57
	v_fma_f32 v46, v52, v54, -v46
	v_fma_f32 v50, v52, v56, -v50
	v_mul_f32_e32 v52, v38, v61
	v_fma_f32 v49, v32, v54, -v49
	v_fma_f32 v32, v32, v56, -v90
	v_dual_mul_f32 v51, v39, v59 :: v_dual_fmac_f32 v48, v53, v54
	v_mul_f32_e32 v54, v70, v59
	v_dual_mul_f32 v55, v38, v59 :: v_dual_fmac_f32 v52, v39, v60
	v_fmac_f32_e32 v33, v53, v56
	v_mul_f32_e32 v53, v71, v59
	v_mul_f32_e32 v56, v71, v61
	;; [unrolled: 1-line block ×3, first 2 shown]
	v_fmac_f32_e32 v54, v71, v58
	v_fmac_f32_e32 v55, v39, v58
	v_fma_f32 v39, v70, v58, -v53
	v_fma_f32 v53, v70, v60, -v56
	v_mul_f32_e32 v56, v40, v65
	v_mul_f32_e32 v59, v70, v61
	v_fma_f32 v51, v38, v58, -v51
	v_mul_f32_e32 v58, v72, v63
	v_mul_f32_e32 v87, v40, v63
	;; [unrolled: 1-line block ×4, first 2 shown]
	v_fma_f32 v38, v38, v60, -v57
	v_mul_f32_e32 v57, v73, v63
	v_fmac_f32_e32 v56, v41, v64
	v_dual_fmac_f32 v59, v71, v60 :: v_dual_mul_f32 v60, v73, v65
	v_mul_f32_e32 v63, v43, v67
	v_mul_f32_e32 v70, v43, v69
	v_fmac_f32_e32 v58, v73, v62
	v_fmac_f32_e32 v87, v41, v62
	v_mul_f32_e32 v41, v72, v65
	v_fma_f32 v61, v40, v62, -v61
	v_fma_f32 v40, v40, v64, -v90
	v_mul_f32_e32 v65, v42, v67
	v_fma_f32 v57, v72, v62, -v57
	v_fma_f32 v60, v72, v64, -v60
	v_dual_fmac_f32 v41, v73, v64 :: v_dual_mul_f32 v62, v42, v69
	v_mul_f32_e32 v64, v75, v67
	v_fma_f32 v63, v42, v66, -v63
	v_fma_f32 v42, v42, v68, -v70
	v_mul_f32_e32 v70, v76, v79
	v_mul_f32_e32 v67, v74, v67
	;; [unrolled: 1-line block ×3, first 2 shown]
	v_dual_mul_f32 v69, v74, v69 :: v_dual_add_f32 v0, v0, v19
	v_mul_f32_e32 v73, v44, v79
	v_dual_fmac_f32 v65, v43, v66 :: v_dual_add_f32 v12, v12, v85
	v_fmac_f32_e32 v62, v43, v68
	v_fma_f32 v43, v74, v66, -v64
	v_fmac_f32_e32 v70, v77, v78
	v_dual_fmac_f32 v67, v75, v66 :: v_dual_add_f32 v16, v16, v84
	v_mul_f32_e32 v66, v44, v81
	v_mul_f32_e32 v72, v45, v79
	v_dual_mul_f32 v90, v45, v81 :: v_dual_fmac_f32 v69, v75, v68
	v_add_f32_e32 v8, v8, v18
	v_dual_fmac_f32 v73, v45, v78 :: v_dual_add_f32 v0, v0, v27
	v_dual_fmac_f32 v66, v45, v80 :: v_dual_mul_f32 v45, v76, v81
	v_fma_f32 v64, v74, v68, -v71
	v_dual_mul_f32 v71, v77, v81 :: v_dual_add_f32 v12, v12, v20
	v_dual_add_f32 v17, v17, v83 :: v_dual_add_f32 v8, v8, v28
	s_delay_alu instid0(VALU_DEP_4) | instskip(NEXT) | instid1(VALU_DEP_3)
	v_dual_fmac_f32 v45, v77, v80 :: v_dual_add_f32 v16, v16, v37
	v_dual_add_f32 v13, v13, v22 :: v_dual_add_f32 v12, v12, v29
	s_delay_alu instid0(VALU_DEP_3) | instskip(SKIP_1) | instid1(VALU_DEP_3)
	v_dual_add_f32 v9, v9, v23 :: v_dual_add_f32 v8, v8, v34
	v_dual_add_f32 v1, v1, v21 :: v_dual_add_f32 v0, v0, v35
	v_dual_add_f32 v17, v17, v89 :: v_dual_add_f32 v12, v12, v36
	s_delay_alu instid0(VALU_DEP_4) | instskip(NEXT) | instid1(VALU_DEP_3)
	v_dual_add_f32 v13, v13, v24 :: v_dual_add_f32 v16, v16, v49
	v_dual_add_f32 v9, v9, v26 :: v_dual_add_f32 v0, v0, v48
	s_delay_alu instid0(VALU_DEP_4) | instskip(NEXT) | instid1(VALU_DEP_3)
	v_dual_add_f32 v1, v1, v25 :: v_dual_add_f32 v8, v8, v50
	v_dual_add_f32 v17, v17, v86 :: v_dual_add_f32 v16, v16, v51
	s_delay_alu instid0(VALU_DEP_4) | instskip(NEXT) | instid1(VALU_DEP_4)
	v_dual_add_f32 v13, v13, v30 :: v_dual_add_f32 v12, v12, v52
	v_dual_add_f32 v9, v9, v31 :: v_dual_add_f32 v0, v0, v54
	s_delay_alu instid0(VALU_DEP_4) | instskip(NEXT) | instid1(VALU_DEP_4)
	v_dual_add_f32 v1, v1, v47 :: v_dual_add_f32 v8, v8, v53
	v_dual_add_f32 v17, v17, v88 :: v_dual_add_f32 v16, v16, v61
	s_delay_alu instid0(VALU_DEP_3) | instskip(NEXT) | instid1(VALU_DEP_4)
	v_dual_add_f32 v13, v13, v32 :: v_dual_add_f32 v0, v0, v58
	v_dual_add_f32 v9, v9, v46 :: v_dual_add_f32 v12, v12, v56
	s_delay_alu instid0(VALU_DEP_4) | instskip(SKIP_1) | instid1(VALU_DEP_3)
	v_dual_add_f32 v1, v1, v33 :: v_dual_add_f32 v8, v8, v60
	v_fma_f32 v72, v44, v78, -v72
	v_dual_add_f32 v17, v17, v55 :: v_dual_add_f32 v12, v12, v62
	v_dual_add_f32 v13, v13, v38 :: v_dual_add_f32 v16, v16, v63
	s_delay_alu instid0(VALU_DEP_4) | instskip(SKIP_2) | instid1(VALU_DEP_4)
	v_dual_add_f32 v9, v9, v39 :: v_dual_add_f32 v8, v8, v64
	v_add_f32_e32 v1, v1, v59
	v_mul_f32_e32 v68, v77, v79
	v_add_f32_e32 v16, v16, v72
	v_fma_f32 v71, v76, v80, -v71
	v_dual_add_f32 v17, v17, v87 :: v_dual_add_f32 v12, v12, v66
	v_dual_add_f32 v13, v13, v40 :: v_dual_add_f32 v0, v0, v67
	v_add_f32_e32 v9, v9, v57
	s_delay_alu instid0(VALU_DEP_4)
	v_dual_add_f32 v1, v1, v41 :: v_dual_add_f32 v8, v8, v71
	v_fma_f32 v44, v44, v80, -v90
	v_fma_f32 v68, v76, v78, -v68
	v_add_f32_e32 v17, v17, v65
	v_add_f32_e32 v13, v13, v42
	v_dual_add_f32 v1, v1, v69 :: v_dual_add_f32 v0, v0, v70
	v_add_f32_e32 v9, v9, v43
	s_delay_alu instid0(VALU_DEP_4) | instskip(NEXT) | instid1(VALU_DEP_4)
	v_add_f32_e32 v17, v17, v73
	v_add_f32_e32 v13, v13, v44
	s_delay_alu instid0(VALU_DEP_4) | instskip(NEXT) | instid1(VALU_DEP_4)
	v_add_f32_e32 v1, v1, v45
	v_add_f32_e32 v9, v9, v68
	s_cbranch_scc0 .LBB624_2
.LBB624_3:
	s_load_b32 s5, s[0:1], 0x40
	v_add_nc_u32_e32 v7, s10, v7
	v_add_nc_u32_e32 v2, s6, v6
	s_delay_alu instid0(VALU_DEP_1) | instskip(SKIP_1) | instid1(VALU_DEP_2)
	v_cmp_le_i32_e64 s0, v7, v2
	v_cmp_gt_i32_e32 vcc_lo, s4, v2
	s_and_b32 s0, s0, vcc_lo
	s_waitcnt lgkmcnt(0)
	v_mad_i64_i32 v[3:4], null, v7, s5, 0
	s_delay_alu instid0(VALU_DEP_1) | instskip(NEXT) | instid1(VALU_DEP_1)
	v_lshlrev_b64 v[3:4], 3, v[3:4]
	v_add_co_u32 v6, s1, s2, v3
	s_delay_alu instid0(VALU_DEP_1)
	v_add_co_ci_u32_e64 v10, s1, s3, v4, s1
	s_and_saveexec_b32 s1, s0
	s_cbranch_execz .LBB624_5
; %bb.4:
	v_ashrrev_i32_e32 v3, 31, v2
	s_delay_alu instid0(VALU_DEP_1) | instskip(NEXT) | instid1(VALU_DEP_1)
	v_lshlrev_b64 v[3:4], 3, v[2:3]
	v_add_co_u32 v3, s0, v6, v3
	s_delay_alu instid0(VALU_DEP_1)
	v_add_co_ci_u32_e64 v4, s0, v10, v4, s0
	global_load_b64 v[14:15], v[3:4], off
	s_waitcnt vmcnt(0)
	v_dual_sub_f32 v14, v16, v14 :: v_dual_sub_f32 v15, v17, v15
	global_store_b64 v[3:4], v[14:15], off
.LBB624_5:
	s_or_b32 exec_lo, exec_lo, s1
	v_add_nc_u32_e32 v4, 16, v2
	s_delay_alu instid0(VALU_DEP_1) | instskip(SKIP_1) | instid1(VALU_DEP_1)
	v_cmp_le_i32_e64 s1, v7, v4
	v_cmp_gt_i32_e64 s0, s4, v4
	s_and_b32 s1, s1, s0
	s_delay_alu instid0(SALU_CYCLE_1)
	s_and_saveexec_b32 s4, s1
	s_cbranch_execz .LBB624_7
; %bb.6:
	v_ashrrev_i32_e32 v5, 31, v4
	s_delay_alu instid0(VALU_DEP_1) | instskip(NEXT) | instid1(VALU_DEP_1)
	v_lshlrev_b64 v[14:15], 3, v[4:5]
	v_add_co_u32 v5, s1, v6, v14
	s_delay_alu instid0(VALU_DEP_1)
	v_add_co_ci_u32_e64 v6, s1, v10, v15, s1
	global_load_b64 v[10:11], v[5:6], off
	s_waitcnt vmcnt(0)
	v_dual_sub_f32 v10, v13, v10 :: v_dual_sub_f32 v11, v12, v11
	global_store_b64 v[5:6], v[10:11], off
.LBB624_7:
	s_or_b32 exec_lo, exec_lo, s4
	v_add_nc_u32_e32 v5, 16, v7
	s_delay_alu instid0(VALU_DEP_1) | instskip(SKIP_1) | instid1(VALU_DEP_2)
	v_mad_i64_i32 v[6:7], null, v5, s5, 0
	v_cmp_le_i32_e64 s1, v5, v2
	v_lshlrev_b64 v[6:7], 3, v[6:7]
	s_delay_alu instid0(VALU_DEP_1) | instskip(NEXT) | instid1(VALU_DEP_1)
	v_add_co_u32 v6, s2, s2, v6
	v_add_co_ci_u32_e64 v7, s2, s3, v7, s2
	s_delay_alu instid0(VALU_DEP_4) | instskip(NEXT) | instid1(SALU_CYCLE_1)
	s_and_b32 s2, s1, vcc_lo
	s_and_saveexec_b32 s1, s2
	s_cbranch_execz .LBB624_9
; %bb.8:
	v_ashrrev_i32_e32 v3, 31, v2
	s_delay_alu instid0(VALU_DEP_1) | instskip(NEXT) | instid1(VALU_DEP_1)
	v_lshlrev_b64 v[2:3], 3, v[2:3]
	v_add_co_u32 v2, vcc_lo, v6, v2
	s_delay_alu instid0(VALU_DEP_2)
	v_add_co_ci_u32_e32 v3, vcc_lo, v7, v3, vcc_lo
	global_load_b64 v[10:11], v[2:3], off
	s_waitcnt vmcnt(0)
	v_dual_sub_f32 v9, v9, v10 :: v_dual_sub_f32 v10, v0, v11
	global_store_b64 v[2:3], v[9:10], off
.LBB624_9:
	s_or_b32 exec_lo, exec_lo, s1
	v_cmp_le_i32_e32 vcc_lo, v5, v4
	s_and_b32 s0, vcc_lo, s0
	s_delay_alu instid0(SALU_CYCLE_1)
	s_and_saveexec_b32 s1, s0
	s_cbranch_execz .LBB624_11
; %bb.10:
	v_ashrrev_i32_e32 v5, 31, v4
	s_delay_alu instid0(VALU_DEP_1) | instskip(NEXT) | instid1(VALU_DEP_1)
	v_lshlrev_b64 v[2:3], 3, v[4:5]
	v_add_co_u32 v2, vcc_lo, v6, v2
	s_delay_alu instid0(VALU_DEP_2)
	v_add_co_ci_u32_e32 v3, vcc_lo, v7, v3, vcc_lo
	global_load_b64 v[4:5], v[2:3], off
	s_waitcnt vmcnt(0)
	v_dual_sub_f32 v0, v8, v4 :: v_dual_sub_f32 v1, v1, v5
	global_store_b64 v[2:3], v[0:1], off
.LBB624_11:
	s_nop 0
	s_sendmsg sendmsg(MSG_DEALLOC_VGPRS)
	s_endpgm
	.section	.rodata,"a",@progbits
	.p2align	6, 0x0
	.amdhsa_kernel _ZL37rocblas_syrkx_herkx_restricted_kernelIi19rocblas_complex_numIfELi16ELi32ELi8ELi1ELin1ELb0ELc84ELc76EKPKS1_KPS1_EviT_PT9_S7_lS9_S7_lPT10_S7_li
		.amdhsa_group_segment_fixed_size 4096
		.amdhsa_private_segment_fixed_size 0
		.amdhsa_kernarg_size 84
		.amdhsa_user_sgpr_count 13
		.amdhsa_user_sgpr_dispatch_ptr 0
		.amdhsa_user_sgpr_queue_ptr 0
		.amdhsa_user_sgpr_kernarg_segment_ptr 1
		.amdhsa_user_sgpr_dispatch_id 0
		.amdhsa_user_sgpr_private_segment_size 0
		.amdhsa_wavefront_size32 1
		.amdhsa_uses_dynamic_stack 0
		.amdhsa_enable_private_segment 0
		.amdhsa_system_sgpr_workgroup_id_x 1
		.amdhsa_system_sgpr_workgroup_id_y 1
		.amdhsa_system_sgpr_workgroup_id_z 1
		.amdhsa_system_sgpr_workgroup_info 0
		.amdhsa_system_vgpr_workitem_id 1
		.amdhsa_next_free_vgpr 91
		.amdhsa_next_free_sgpr 17
		.amdhsa_reserve_vcc 1
		.amdhsa_float_round_mode_32 0
		.amdhsa_float_round_mode_16_64 0
		.amdhsa_float_denorm_mode_32 3
		.amdhsa_float_denorm_mode_16_64 3
		.amdhsa_dx10_clamp 1
		.amdhsa_ieee_mode 1
		.amdhsa_fp16_overflow 0
		.amdhsa_workgroup_processor_mode 1
		.amdhsa_memory_ordered 1
		.amdhsa_forward_progress 0
		.amdhsa_shared_vgpr_count 0
		.amdhsa_exception_fp_ieee_invalid_op 0
		.amdhsa_exception_fp_denorm_src 0
		.amdhsa_exception_fp_ieee_div_zero 0
		.amdhsa_exception_fp_ieee_overflow 0
		.amdhsa_exception_fp_ieee_underflow 0
		.amdhsa_exception_fp_ieee_inexact 0
		.amdhsa_exception_int_div_zero 0
	.end_amdhsa_kernel
	.section	.text._ZL37rocblas_syrkx_herkx_restricted_kernelIi19rocblas_complex_numIfELi16ELi32ELi8ELi1ELin1ELb0ELc84ELc76EKPKS1_KPS1_EviT_PT9_S7_lS9_S7_lPT10_S7_li,"axG",@progbits,_ZL37rocblas_syrkx_herkx_restricted_kernelIi19rocblas_complex_numIfELi16ELi32ELi8ELi1ELin1ELb0ELc84ELc76EKPKS1_KPS1_EviT_PT9_S7_lS9_S7_lPT10_S7_li,comdat
.Lfunc_end624:
	.size	_ZL37rocblas_syrkx_herkx_restricted_kernelIi19rocblas_complex_numIfELi16ELi32ELi8ELi1ELin1ELb0ELc84ELc76EKPKS1_KPS1_EviT_PT9_S7_lS9_S7_lPT10_S7_li, .Lfunc_end624-_ZL37rocblas_syrkx_herkx_restricted_kernelIi19rocblas_complex_numIfELi16ELi32ELi8ELi1ELin1ELb0ELc84ELc76EKPKS1_KPS1_EviT_PT9_S7_lS9_S7_lPT10_S7_li
                                        ; -- End function
	.section	.AMDGPU.csdata,"",@progbits
; Kernel info:
; codeLenInByte = 2076
; NumSgprs: 19
; NumVgprs: 91
; ScratchSize: 0
; MemoryBound: 0
; FloatMode: 240
; IeeeMode: 1
; LDSByteSize: 4096 bytes/workgroup (compile time only)
; SGPRBlocks: 2
; VGPRBlocks: 11
; NumSGPRsForWavesPerEU: 19
; NumVGPRsForWavesPerEU: 91
; Occupancy: 16
; WaveLimiterHint : 1
; COMPUTE_PGM_RSRC2:SCRATCH_EN: 0
; COMPUTE_PGM_RSRC2:USER_SGPR: 13
; COMPUTE_PGM_RSRC2:TRAP_HANDLER: 0
; COMPUTE_PGM_RSRC2:TGID_X_EN: 1
; COMPUTE_PGM_RSRC2:TGID_Y_EN: 1
; COMPUTE_PGM_RSRC2:TGID_Z_EN: 1
; COMPUTE_PGM_RSRC2:TIDIG_COMP_CNT: 1
	.section	.text._ZL37rocblas_syrkx_herkx_restricted_kernelIi19rocblas_complex_numIfELi16ELi32ELi8ELi1ELin1ELb0ELc67ELc76EKPKS1_KPS1_EviT_PT9_S7_lS9_S7_lPT10_S7_li,"axG",@progbits,_ZL37rocblas_syrkx_herkx_restricted_kernelIi19rocblas_complex_numIfELi16ELi32ELi8ELi1ELin1ELb0ELc67ELc76EKPKS1_KPS1_EviT_PT9_S7_lS9_S7_lPT10_S7_li,comdat
	.globl	_ZL37rocblas_syrkx_herkx_restricted_kernelIi19rocblas_complex_numIfELi16ELi32ELi8ELi1ELin1ELb0ELc67ELc76EKPKS1_KPS1_EviT_PT9_S7_lS9_S7_lPT10_S7_li ; -- Begin function _ZL37rocblas_syrkx_herkx_restricted_kernelIi19rocblas_complex_numIfELi16ELi32ELi8ELi1ELin1ELb0ELc67ELc76EKPKS1_KPS1_EviT_PT9_S7_lS9_S7_lPT10_S7_li
	.p2align	8
	.type	_ZL37rocblas_syrkx_herkx_restricted_kernelIi19rocblas_complex_numIfELi16ELi32ELi8ELi1ELin1ELb0ELc67ELc76EKPKS1_KPS1_EviT_PT9_S7_lS9_S7_lPT10_S7_li,@function
_ZL37rocblas_syrkx_herkx_restricted_kernelIi19rocblas_complex_numIfELi16ELi32ELi8ELi1ELin1ELb0ELc67ELc76EKPKS1_KPS1_EviT_PT9_S7_lS9_S7_lPT10_S7_li: ; @_ZL37rocblas_syrkx_herkx_restricted_kernelIi19rocblas_complex_numIfELi16ELi32ELi8ELi1ELin1ELb0ELc67ELc76EKPKS1_KPS1_EviT_PT9_S7_lS9_S7_lPT10_S7_li
; %bb.0:
	s_clause 0x1
	s_load_b64 s[2:3], s[0:1], 0x38
	s_load_b64 s[4:5], s[0:1], 0x0
	s_mov_b32 s6, s15
	s_mov_b32 s7, 0
	v_dual_mov_b32 v17, 0 :: v_dual_and_b32 v6, 0x3ff, v0
	s_lshl_b64 s[8:9], s[6:7], 3
	v_bfe_u32 v7, v0, 10, 10
	v_dual_mov_b32 v16, 0 :: v_dual_mov_b32 v13, 0
	v_dual_mov_b32 v12, 0 :: v_dual_mov_b32 v9, 0
	;; [unrolled: 1-line block ×3, first 2 shown]
	v_mov_b32_e32 v8, 0
	s_waitcnt lgkmcnt(0)
	s_add_u32 s2, s2, s8
	s_addc_u32 s3, s3, s9
	s_lshl_b32 s6, s13, 5
	s_load_b64 s[2:3], s[2:3], 0x0
	s_lshl_b32 s10, s14, 5
	s_cmp_lt_i32 s5, 1
	s_cbranch_scc1 .LBB625_3
; %bb.1:
	s_clause 0x3
	s_load_b64 s[12:13], s[0:1], 0x8
	s_load_b64 s[14:15], s[0:1], 0x20
	s_load_b32 s11, s[0:1], 0x10
	s_load_b32 s16, s[0:1], 0x28
	v_lshl_add_u32 v2, v7, 4, v6
	v_dual_mov_b32 v1, 0 :: v_dual_and_b32 v0, 7, v6
	v_lshlrev_b32_e32 v10, 3, v6
	v_lshl_add_u32 v11, v7, 6, 0x800
	s_delay_alu instid0(VALU_DEP_4)
	v_and_b32_e32 v14, 31, v2
	v_lshrrev_b32_e32 v9, 3, v2
	v_lshrrev_b32_e32 v2, 5, v2
	v_mov_b32_e32 v3, v1
	v_mov_b32_e32 v16, v1
	v_add_nc_u32_e32 v8, s6, v14
	v_add_nc_u32_e32 v15, s10, v9
	v_mov_b32_e32 v17, v1
	s_waitcnt lgkmcnt(0)
	s_add_u32 s12, s12, s8
	s_addc_u32 s13, s13, s9
	s_add_u32 s8, s14, s8
	s_load_b64 s[12:13], s[12:13], 0x0
	s_addc_u32 s9, s15, s9
	v_mad_i64_i32 v[4:5], null, s11, v8, v[2:3]
	v_mov_b32_e32 v8, v1
	s_load_b64 s[8:9], s[8:9], 0x0
	v_lshlrev_b32_e32 v3, 3, v0
	v_mad_i64_i32 v[12:13], null, s16, v15, v[0:1]
	v_mov_b32_e32 v0, v1
	s_delay_alu instid0(VALU_DEP_3) | instskip(SKIP_3) | instid1(VALU_DEP_4)
	v_lshl_or_b32 v15, v9, 6, v3
	v_lshlrev_b64 v[3:4], 3, v[4:5]
	v_dual_mov_b32 v9, v1 :: v_dual_lshlrev_b32 v14, 3, v14
	v_lshlrev_b64 v[12:13], 3, v[12:13]
	v_add_nc_u32_e32 v15, 0x800, v15
	s_delay_alu instid0(VALU_DEP_3)
	v_lshl_or_b32 v14, v2, 8, v14
	s_waitcnt lgkmcnt(0)
	v_add_co_u32 v2, vcc_lo, v3, s12
	v_add_co_ci_u32_e32 v3, vcc_lo, s13, v4, vcc_lo
	v_add_co_u32 v4, vcc_lo, v12, s8
	v_mov_b32_e32 v12, v1
	v_add_co_ci_u32_e32 v5, vcc_lo, s9, v13, vcc_lo
	v_add_co_u32 v2, vcc_lo, v2, 4
	v_add_co_ci_u32_e32 v3, vcc_lo, 0, v3, vcc_lo
	v_add_co_u32 v4, vcc_lo, v4, 4
	s_delay_alu instid0(VALU_DEP_4)
	v_add_co_ci_u32_e32 v5, vcc_lo, 0, v5, vcc_lo
	v_mov_b32_e32 v13, v1
.LBB625_2:                              ; =>This Inner Loop Header: Depth=1
	global_load_b64 v[18:19], v[2:3], off offset:-4
	global_load_b64 v[20:21], v[4:5], off offset:-4
	v_add_co_u32 v2, vcc_lo, v2, 64
	v_add_co_ci_u32_e32 v3, vcc_lo, 0, v3, vcc_lo
	v_add_co_u32 v4, vcc_lo, v4, 64
	v_add_co_ci_u32_e32 v5, vcc_lo, 0, v5, vcc_lo
	s_add_i32 s7, s7, 8
	s_waitcnt vmcnt(1)
	ds_store_b64 v14, v[18:19]
	s_waitcnt vmcnt(0)
	ds_store_b64 v15, v[20:21]
	s_waitcnt lgkmcnt(0)
	s_barrier
	buffer_gl0_inv
	ds_load_2addr_b64 v[18:21], v10 offset1:16
	ds_load_b128 v[22:25], v11
	ds_load_b128 v[26:29], v11 offset:1024
	ds_load_b128 v[30:33], v11 offset:16
	ds_load_2addr_b64 v[34:37], v10 offset0:32 offset1:48
	ds_load_b128 v[38:41], v11 offset:32
	ds_load_b128 v[42:45], v11 offset:48
	ds_load_2addr_b64 v[46:49], v10 offset0:64 offset1:80
	ds_load_b128 v[50:53], v11 offset:1040
	ds_load_2addr_b64 v[54:57], v10 offset0:96 offset1:112
	ds_load_2addr_b64 v[58:61], v10 offset0:128 offset1:144
	;; [unrolled: 1-line block ×4, first 2 shown]
	ds_load_b128 v[70:73], v11 offset:1056
	ds_load_b128 v[74:77], v11 offset:1072
	ds_load_2addr_b64 v[78:81], v10 offset0:224 offset1:240
	s_cmp_ge_i32 s7, s5
	s_waitcnt lgkmcnt(0)
	s_barrier
	buffer_gl0_inv
	v_dual_mul_f32 v82, v23, v19 :: v_dual_mul_f32 v85, v22, v21
	v_dual_mul_f32 v83, v22, v19 :: v_dual_mul_f32 v84, v23, v21
	v_mul_f32_e32 v86, v27, v19
	v_dual_mul_f32 v19, v26, v19 :: v_dual_mul_f32 v90, v25, v37
	v_dual_mul_f32 v87, v27, v21 :: v_dual_mul_f32 v88, v25, v35
	v_mul_f32_e32 v21, v26, v21
	v_fma_f32 v82, v22, v18, -v82
	v_fmac_f32_e32 v83, v23, v18
	v_fma_f32 v22, v22, v20, -v84
	v_fmac_f32_e32 v85, v23, v20
	v_fma_f32 v23, v26, v18, -v86
	v_dual_fmac_f32 v19, v27, v18 :: v_dual_mul_f32 v86, v30, v47
	v_fma_f32 v18, v26, v20, -v87
	v_dual_fmac_f32 v21, v27, v20 :: v_dual_mul_f32 v20, v24, v37
	v_mul_f32_e32 v89, v24, v35
	v_mul_f32_e32 v26, v29, v35
	v_mul_f32_e32 v27, v28, v35
	v_mul_f32_e32 v35, v29, v37
	v_fmac_f32_e32 v20, v25, v36
	v_fmac_f32_e32 v89, v25, v34
	v_dual_mul_f32 v25, v28, v37 :: v_dual_fmac_f32 v86, v31, v46
	v_fma_f32 v84, v24, v34, -v88
	v_fma_f32 v24, v24, v36, -v90
	v_dual_mul_f32 v37, v31, v47 :: v_dual_mul_f32 v90, v33, v57
	v_fma_f32 v26, v28, v34, -v26
	v_fma_f32 v28, v28, v36, -v35
	v_fmac_f32_e32 v25, v29, v36
	v_dual_mul_f32 v35, v50, v47 :: v_dual_mul_f32 v36, v51, v49
	v_dual_fmac_f32 v27, v29, v34 :: v_dual_mul_f32 v34, v51, v47
	v_dual_mul_f32 v88, v32, v55 :: v_dual_mul_f32 v29, v30, v49
	v_mul_f32_e32 v87, v31, v49
	v_fma_f32 v37, v30, v46, -v37
	v_add_f32_e32 v16, v16, v82
	s_delay_alu instid0(VALU_DEP_4)
	v_dual_fmac_f32 v88, v33, v54 :: v_dual_fmac_f32 v29, v31, v48
	v_fma_f32 v31, v50, v46, -v34
	v_fma_f32 v34, v50, v48, -v36
	v_mul_f32_e32 v36, v32, v57
	v_mul_f32_e32 v47, v50, v49
	v_dual_mul_f32 v50, v53, v57 :: v_dual_fmac_f32 v35, v51, v46
	v_mul_f32_e32 v46, v53, v55
	v_mul_f32_e32 v49, v33, v55
	v_fma_f32 v30, v30, v48, -v87
	v_fmac_f32_e32 v36, v33, v56
	v_dual_fmac_f32 v47, v51, v48 :: v_dual_mul_f32 v48, v52, v55
	v_mul_f32_e32 v33, v52, v57
	v_fma_f32 v46, v52, v54, -v46
	v_fma_f32 v50, v52, v56, -v50
	v_mul_f32_e32 v52, v38, v61
	v_fma_f32 v49, v32, v54, -v49
	v_fma_f32 v32, v32, v56, -v90
	v_dual_mul_f32 v51, v39, v59 :: v_dual_fmac_f32 v48, v53, v54
	v_mul_f32_e32 v54, v70, v59
	v_dual_mul_f32 v55, v38, v59 :: v_dual_fmac_f32 v52, v39, v60
	v_fmac_f32_e32 v33, v53, v56
	v_mul_f32_e32 v53, v71, v59
	v_mul_f32_e32 v56, v71, v61
	;; [unrolled: 1-line block ×3, first 2 shown]
	v_fmac_f32_e32 v54, v71, v58
	v_fmac_f32_e32 v55, v39, v58
	v_fma_f32 v39, v70, v58, -v53
	v_fma_f32 v53, v70, v60, -v56
	v_mul_f32_e32 v56, v40, v65
	v_mul_f32_e32 v59, v70, v61
	v_fma_f32 v51, v38, v58, -v51
	v_mul_f32_e32 v58, v72, v63
	v_mul_f32_e32 v87, v40, v63
	;; [unrolled: 1-line block ×4, first 2 shown]
	v_fma_f32 v38, v38, v60, -v57
	v_mul_f32_e32 v57, v73, v63
	v_fmac_f32_e32 v56, v41, v64
	v_dual_fmac_f32 v59, v71, v60 :: v_dual_mul_f32 v60, v73, v65
	v_mul_f32_e32 v63, v43, v67
	v_mul_f32_e32 v70, v43, v69
	v_fmac_f32_e32 v58, v73, v62
	v_fmac_f32_e32 v87, v41, v62
	v_mul_f32_e32 v41, v72, v65
	v_fma_f32 v61, v40, v62, -v61
	v_fma_f32 v40, v40, v64, -v90
	v_mul_f32_e32 v65, v42, v67
	v_fma_f32 v57, v72, v62, -v57
	v_fma_f32 v60, v72, v64, -v60
	v_dual_fmac_f32 v41, v73, v64 :: v_dual_mul_f32 v62, v42, v69
	v_mul_f32_e32 v64, v75, v67
	v_fma_f32 v63, v42, v66, -v63
	v_fma_f32 v42, v42, v68, -v70
	v_mul_f32_e32 v70, v76, v79
	v_mul_f32_e32 v67, v74, v67
	;; [unrolled: 1-line block ×3, first 2 shown]
	v_dual_mul_f32 v69, v74, v69 :: v_dual_add_f32 v0, v0, v19
	v_mul_f32_e32 v73, v44, v79
	v_dual_fmac_f32 v65, v43, v66 :: v_dual_add_f32 v12, v12, v85
	v_fmac_f32_e32 v62, v43, v68
	v_fma_f32 v43, v74, v66, -v64
	v_fmac_f32_e32 v70, v77, v78
	v_dual_fmac_f32 v67, v75, v66 :: v_dual_add_f32 v16, v16, v84
	v_mul_f32_e32 v66, v44, v81
	v_mul_f32_e32 v72, v45, v79
	v_dual_mul_f32 v90, v45, v81 :: v_dual_fmac_f32 v69, v75, v68
	v_add_f32_e32 v8, v8, v18
	v_dual_fmac_f32 v73, v45, v78 :: v_dual_add_f32 v0, v0, v27
	v_dual_fmac_f32 v66, v45, v80 :: v_dual_mul_f32 v45, v76, v81
	v_fma_f32 v64, v74, v68, -v71
	v_dual_mul_f32 v71, v77, v81 :: v_dual_add_f32 v12, v12, v20
	v_dual_add_f32 v17, v17, v83 :: v_dual_add_f32 v8, v8, v28
	s_delay_alu instid0(VALU_DEP_4) | instskip(NEXT) | instid1(VALU_DEP_3)
	v_dual_fmac_f32 v45, v77, v80 :: v_dual_add_f32 v16, v16, v37
	v_dual_add_f32 v13, v13, v22 :: v_dual_add_f32 v12, v12, v29
	s_delay_alu instid0(VALU_DEP_3) | instskip(SKIP_1) | instid1(VALU_DEP_3)
	v_dual_add_f32 v9, v9, v23 :: v_dual_add_f32 v8, v8, v34
	v_dual_add_f32 v1, v1, v21 :: v_dual_add_f32 v0, v0, v35
	;; [unrolled: 1-line block ×3, first 2 shown]
	s_delay_alu instid0(VALU_DEP_4) | instskip(NEXT) | instid1(VALU_DEP_3)
	v_dual_add_f32 v13, v13, v24 :: v_dual_add_f32 v16, v16, v49
	v_dual_add_f32 v9, v9, v26 :: v_dual_add_f32 v0, v0, v48
	s_delay_alu instid0(VALU_DEP_4) | instskip(NEXT) | instid1(VALU_DEP_3)
	v_dual_add_f32 v1, v1, v25 :: v_dual_add_f32 v8, v8, v50
	v_dual_add_f32 v17, v17, v86 :: v_dual_add_f32 v16, v16, v51
	s_delay_alu instid0(VALU_DEP_4) | instskip(NEXT) | instid1(VALU_DEP_4)
	v_dual_add_f32 v13, v13, v30 :: v_dual_add_f32 v12, v12, v52
	v_dual_add_f32 v9, v9, v31 :: v_dual_add_f32 v0, v0, v54
	s_delay_alu instid0(VALU_DEP_4) | instskip(NEXT) | instid1(VALU_DEP_4)
	v_dual_add_f32 v1, v1, v47 :: v_dual_add_f32 v8, v8, v53
	v_dual_add_f32 v17, v17, v88 :: v_dual_add_f32 v16, v16, v61
	s_delay_alu instid0(VALU_DEP_3) | instskip(NEXT) | instid1(VALU_DEP_4)
	v_dual_add_f32 v13, v13, v32 :: v_dual_add_f32 v0, v0, v58
	v_dual_add_f32 v9, v9, v46 :: v_dual_add_f32 v12, v12, v56
	s_delay_alu instid0(VALU_DEP_4) | instskip(SKIP_1) | instid1(VALU_DEP_3)
	v_dual_add_f32 v1, v1, v33 :: v_dual_add_f32 v8, v8, v60
	v_fma_f32 v72, v44, v78, -v72
	v_dual_add_f32 v17, v17, v55 :: v_dual_add_f32 v12, v12, v62
	v_dual_add_f32 v13, v13, v38 :: v_dual_add_f32 v16, v16, v63
	s_delay_alu instid0(VALU_DEP_4) | instskip(SKIP_2) | instid1(VALU_DEP_4)
	v_dual_add_f32 v9, v9, v39 :: v_dual_add_f32 v8, v8, v64
	v_add_f32_e32 v1, v1, v59
	v_mul_f32_e32 v68, v77, v79
	v_add_f32_e32 v16, v16, v72
	v_fma_f32 v71, v76, v80, -v71
	v_dual_add_f32 v17, v17, v87 :: v_dual_add_f32 v12, v12, v66
	v_dual_add_f32 v13, v13, v40 :: v_dual_add_f32 v0, v0, v67
	v_add_f32_e32 v9, v9, v57
	s_delay_alu instid0(VALU_DEP_4)
	v_dual_add_f32 v1, v1, v41 :: v_dual_add_f32 v8, v8, v71
	v_fma_f32 v44, v44, v80, -v90
	v_fma_f32 v68, v76, v78, -v68
	v_add_f32_e32 v17, v17, v65
	v_add_f32_e32 v13, v13, v42
	v_dual_add_f32 v1, v1, v69 :: v_dual_add_f32 v0, v0, v70
	v_add_f32_e32 v9, v9, v43
	s_delay_alu instid0(VALU_DEP_4) | instskip(NEXT) | instid1(VALU_DEP_4)
	v_add_f32_e32 v17, v17, v73
	v_add_f32_e32 v13, v13, v44
	s_delay_alu instid0(VALU_DEP_4) | instskip(NEXT) | instid1(VALU_DEP_4)
	v_add_f32_e32 v1, v1, v45
	v_add_f32_e32 v9, v9, v68
	s_cbranch_scc0 .LBB625_2
.LBB625_3:
	s_load_b32 s5, s[0:1], 0x40
	v_add_nc_u32_e32 v7, s10, v7
	v_add_nc_u32_e32 v2, s6, v6
	s_delay_alu instid0(VALU_DEP_1) | instskip(SKIP_1) | instid1(VALU_DEP_2)
	v_cmp_le_i32_e64 s0, v7, v2
	v_cmp_gt_i32_e32 vcc_lo, s4, v2
	s_and_b32 s0, s0, vcc_lo
	s_waitcnt lgkmcnt(0)
	v_mad_i64_i32 v[3:4], null, v7, s5, 0
	s_delay_alu instid0(VALU_DEP_1) | instskip(NEXT) | instid1(VALU_DEP_1)
	v_lshlrev_b64 v[3:4], 3, v[3:4]
	v_add_co_u32 v6, s1, s2, v3
	s_delay_alu instid0(VALU_DEP_1)
	v_add_co_ci_u32_e64 v10, s1, s3, v4, s1
	s_and_saveexec_b32 s1, s0
	s_cbranch_execz .LBB625_5
; %bb.4:
	v_ashrrev_i32_e32 v3, 31, v2
	s_delay_alu instid0(VALU_DEP_1) | instskip(NEXT) | instid1(VALU_DEP_1)
	v_lshlrev_b64 v[3:4], 3, v[2:3]
	v_add_co_u32 v3, s0, v6, v3
	s_delay_alu instid0(VALU_DEP_1)
	v_add_co_ci_u32_e64 v4, s0, v10, v4, s0
	global_load_b64 v[14:15], v[3:4], off
	s_waitcnt vmcnt(0)
	v_dual_sub_f32 v14, v16, v14 :: v_dual_sub_f32 v15, v17, v15
	global_store_b64 v[3:4], v[14:15], off
.LBB625_5:
	s_or_b32 exec_lo, exec_lo, s1
	v_add_nc_u32_e32 v4, 16, v2
	s_delay_alu instid0(VALU_DEP_1) | instskip(SKIP_1) | instid1(VALU_DEP_1)
	v_cmp_le_i32_e64 s1, v7, v4
	v_cmp_gt_i32_e64 s0, s4, v4
	s_and_b32 s1, s1, s0
	s_delay_alu instid0(SALU_CYCLE_1)
	s_and_saveexec_b32 s4, s1
	s_cbranch_execz .LBB625_7
; %bb.6:
	v_ashrrev_i32_e32 v5, 31, v4
	s_delay_alu instid0(VALU_DEP_1) | instskip(NEXT) | instid1(VALU_DEP_1)
	v_lshlrev_b64 v[14:15], 3, v[4:5]
	v_add_co_u32 v5, s1, v6, v14
	s_delay_alu instid0(VALU_DEP_1)
	v_add_co_ci_u32_e64 v6, s1, v10, v15, s1
	global_load_b64 v[10:11], v[5:6], off
	s_waitcnt vmcnt(0)
	v_dual_sub_f32 v10, v13, v10 :: v_dual_sub_f32 v11, v12, v11
	global_store_b64 v[5:6], v[10:11], off
.LBB625_7:
	s_or_b32 exec_lo, exec_lo, s4
	v_add_nc_u32_e32 v5, 16, v7
	s_delay_alu instid0(VALU_DEP_1) | instskip(SKIP_1) | instid1(VALU_DEP_2)
	v_mad_i64_i32 v[6:7], null, v5, s5, 0
	v_cmp_le_i32_e64 s1, v5, v2
	v_lshlrev_b64 v[6:7], 3, v[6:7]
	s_delay_alu instid0(VALU_DEP_1) | instskip(NEXT) | instid1(VALU_DEP_1)
	v_add_co_u32 v6, s2, s2, v6
	v_add_co_ci_u32_e64 v7, s2, s3, v7, s2
	s_delay_alu instid0(VALU_DEP_4) | instskip(NEXT) | instid1(SALU_CYCLE_1)
	s_and_b32 s2, s1, vcc_lo
	s_and_saveexec_b32 s1, s2
	s_cbranch_execz .LBB625_9
; %bb.8:
	v_ashrrev_i32_e32 v3, 31, v2
	s_delay_alu instid0(VALU_DEP_1) | instskip(NEXT) | instid1(VALU_DEP_1)
	v_lshlrev_b64 v[2:3], 3, v[2:3]
	v_add_co_u32 v2, vcc_lo, v6, v2
	s_delay_alu instid0(VALU_DEP_2)
	v_add_co_ci_u32_e32 v3, vcc_lo, v7, v3, vcc_lo
	global_load_b64 v[10:11], v[2:3], off
	s_waitcnt vmcnt(0)
	v_dual_sub_f32 v9, v9, v10 :: v_dual_sub_f32 v10, v0, v11
	global_store_b64 v[2:3], v[9:10], off
.LBB625_9:
	s_or_b32 exec_lo, exec_lo, s1
	v_cmp_le_i32_e32 vcc_lo, v5, v4
	s_and_b32 s0, vcc_lo, s0
	s_delay_alu instid0(SALU_CYCLE_1)
	s_and_saveexec_b32 s1, s0
	s_cbranch_execz .LBB625_11
; %bb.10:
	v_ashrrev_i32_e32 v5, 31, v4
	s_delay_alu instid0(VALU_DEP_1) | instskip(NEXT) | instid1(VALU_DEP_1)
	v_lshlrev_b64 v[2:3], 3, v[4:5]
	v_add_co_u32 v2, vcc_lo, v6, v2
	s_delay_alu instid0(VALU_DEP_2)
	v_add_co_ci_u32_e32 v3, vcc_lo, v7, v3, vcc_lo
	global_load_b64 v[4:5], v[2:3], off
	s_waitcnt vmcnt(0)
	v_dual_sub_f32 v0, v8, v4 :: v_dual_sub_f32 v1, v1, v5
	global_store_b64 v[2:3], v[0:1], off
.LBB625_11:
	s_nop 0
	s_sendmsg sendmsg(MSG_DEALLOC_VGPRS)
	s_endpgm
	.section	.rodata,"a",@progbits
	.p2align	6, 0x0
	.amdhsa_kernel _ZL37rocblas_syrkx_herkx_restricted_kernelIi19rocblas_complex_numIfELi16ELi32ELi8ELi1ELin1ELb0ELc67ELc76EKPKS1_KPS1_EviT_PT9_S7_lS9_S7_lPT10_S7_li
		.amdhsa_group_segment_fixed_size 4096
		.amdhsa_private_segment_fixed_size 0
		.amdhsa_kernarg_size 84
		.amdhsa_user_sgpr_count 13
		.amdhsa_user_sgpr_dispatch_ptr 0
		.amdhsa_user_sgpr_queue_ptr 0
		.amdhsa_user_sgpr_kernarg_segment_ptr 1
		.amdhsa_user_sgpr_dispatch_id 0
		.amdhsa_user_sgpr_private_segment_size 0
		.amdhsa_wavefront_size32 1
		.amdhsa_uses_dynamic_stack 0
		.amdhsa_enable_private_segment 0
		.amdhsa_system_sgpr_workgroup_id_x 1
		.amdhsa_system_sgpr_workgroup_id_y 1
		.amdhsa_system_sgpr_workgroup_id_z 1
		.amdhsa_system_sgpr_workgroup_info 0
		.amdhsa_system_vgpr_workitem_id 1
		.amdhsa_next_free_vgpr 91
		.amdhsa_next_free_sgpr 17
		.amdhsa_reserve_vcc 1
		.amdhsa_float_round_mode_32 0
		.amdhsa_float_round_mode_16_64 0
		.amdhsa_float_denorm_mode_32 3
		.amdhsa_float_denorm_mode_16_64 3
		.amdhsa_dx10_clamp 1
		.amdhsa_ieee_mode 1
		.amdhsa_fp16_overflow 0
		.amdhsa_workgroup_processor_mode 1
		.amdhsa_memory_ordered 1
		.amdhsa_forward_progress 0
		.amdhsa_shared_vgpr_count 0
		.amdhsa_exception_fp_ieee_invalid_op 0
		.amdhsa_exception_fp_denorm_src 0
		.amdhsa_exception_fp_ieee_div_zero 0
		.amdhsa_exception_fp_ieee_overflow 0
		.amdhsa_exception_fp_ieee_underflow 0
		.amdhsa_exception_fp_ieee_inexact 0
		.amdhsa_exception_int_div_zero 0
	.end_amdhsa_kernel
	.section	.text._ZL37rocblas_syrkx_herkx_restricted_kernelIi19rocblas_complex_numIfELi16ELi32ELi8ELi1ELin1ELb0ELc67ELc76EKPKS1_KPS1_EviT_PT9_S7_lS9_S7_lPT10_S7_li,"axG",@progbits,_ZL37rocblas_syrkx_herkx_restricted_kernelIi19rocblas_complex_numIfELi16ELi32ELi8ELi1ELin1ELb0ELc67ELc76EKPKS1_KPS1_EviT_PT9_S7_lS9_S7_lPT10_S7_li,comdat
.Lfunc_end625:
	.size	_ZL37rocblas_syrkx_herkx_restricted_kernelIi19rocblas_complex_numIfELi16ELi32ELi8ELi1ELin1ELb0ELc67ELc76EKPKS1_KPS1_EviT_PT9_S7_lS9_S7_lPT10_S7_li, .Lfunc_end625-_ZL37rocblas_syrkx_herkx_restricted_kernelIi19rocblas_complex_numIfELi16ELi32ELi8ELi1ELin1ELb0ELc67ELc76EKPKS1_KPS1_EviT_PT9_S7_lS9_S7_lPT10_S7_li
                                        ; -- End function
	.section	.AMDGPU.csdata,"",@progbits
; Kernel info:
; codeLenInByte = 2076
; NumSgprs: 19
; NumVgprs: 91
; ScratchSize: 0
; MemoryBound: 0
; FloatMode: 240
; IeeeMode: 1
; LDSByteSize: 4096 bytes/workgroup (compile time only)
; SGPRBlocks: 2
; VGPRBlocks: 11
; NumSGPRsForWavesPerEU: 19
; NumVGPRsForWavesPerEU: 91
; Occupancy: 16
; WaveLimiterHint : 1
; COMPUTE_PGM_RSRC2:SCRATCH_EN: 0
; COMPUTE_PGM_RSRC2:USER_SGPR: 13
; COMPUTE_PGM_RSRC2:TRAP_HANDLER: 0
; COMPUTE_PGM_RSRC2:TGID_X_EN: 1
; COMPUTE_PGM_RSRC2:TGID_Y_EN: 1
; COMPUTE_PGM_RSRC2:TGID_Z_EN: 1
; COMPUTE_PGM_RSRC2:TIDIG_COMP_CNT: 1
	.section	.text._ZL37rocblas_syrkx_herkx_restricted_kernelIi19rocblas_complex_numIfELi16ELi32ELi8ELi1ELin1ELb0ELc78ELc76EKPKS1_KPS1_EviT_PT9_S7_lS9_S7_lPT10_S7_li,"axG",@progbits,_ZL37rocblas_syrkx_herkx_restricted_kernelIi19rocblas_complex_numIfELi16ELi32ELi8ELi1ELin1ELb0ELc78ELc76EKPKS1_KPS1_EviT_PT9_S7_lS9_S7_lPT10_S7_li,comdat
	.globl	_ZL37rocblas_syrkx_herkx_restricted_kernelIi19rocblas_complex_numIfELi16ELi32ELi8ELi1ELin1ELb0ELc78ELc76EKPKS1_KPS1_EviT_PT9_S7_lS9_S7_lPT10_S7_li ; -- Begin function _ZL37rocblas_syrkx_herkx_restricted_kernelIi19rocblas_complex_numIfELi16ELi32ELi8ELi1ELin1ELb0ELc78ELc76EKPKS1_KPS1_EviT_PT9_S7_lS9_S7_lPT10_S7_li
	.p2align	8
	.type	_ZL37rocblas_syrkx_herkx_restricted_kernelIi19rocblas_complex_numIfELi16ELi32ELi8ELi1ELin1ELb0ELc78ELc76EKPKS1_KPS1_EviT_PT9_S7_lS9_S7_lPT10_S7_li,@function
_ZL37rocblas_syrkx_herkx_restricted_kernelIi19rocblas_complex_numIfELi16ELi32ELi8ELi1ELin1ELb0ELc78ELc76EKPKS1_KPS1_EviT_PT9_S7_lS9_S7_lPT10_S7_li: ; @_ZL37rocblas_syrkx_herkx_restricted_kernelIi19rocblas_complex_numIfELi16ELi32ELi8ELi1ELin1ELb0ELc78ELc76EKPKS1_KPS1_EviT_PT9_S7_lS9_S7_lPT10_S7_li
; %bb.0:
	s_clause 0x1
	s_load_b64 s[2:3], s[0:1], 0x38
	s_load_b64 s[4:5], s[0:1], 0x0
	s_mov_b32 s6, s15
	s_mov_b32 s7, 0
	v_dual_mov_b32 v17, 0 :: v_dual_and_b32 v4, 0x3ff, v0
	s_lshl_b64 s[8:9], s[6:7], 3
	v_bfe_u32 v5, v0, 10, 10
	v_dual_mov_b32 v16, 0 :: v_dual_mov_b32 v13, 0
	v_dual_mov_b32 v12, 0 :: v_dual_mov_b32 v9, 0
	;; [unrolled: 1-line block ×3, first 2 shown]
	v_mov_b32_e32 v6, 0
	s_waitcnt lgkmcnt(0)
	s_add_u32 s2, s2, s8
	s_addc_u32 s3, s3, s9
	s_lshl_b32 s6, s13, 5
	s_load_b64 s[2:3], s[2:3], 0x0
	s_lshl_b32 s12, s14, 5
	s_cmp_lt_i32 s5, 1
	s_cbranch_scc1 .LBB626_3
; %bb.1:
	s_clause 0x3
	s_load_b32 s10, s[0:1], 0x10
	s_load_b32 s14, s[0:1], 0x28
	s_load_b64 s[16:17], s[0:1], 0x8
	s_load_b64 s[18:19], s[0:1], 0x20
	v_lshl_add_u32 v0, v5, 4, v4
	v_and_b32_e32 v12, 7, v4
	v_lshlrev_b32_e32 v10, 3, v4
	v_lshl_add_u32 v11, v5, 6, 0x800
	s_delay_alu instid0(VALU_DEP_4) | instskip(SKIP_2) | instid1(VALU_DEP_3)
	v_dual_mov_b32 v16, 0 :: v_dual_and_b32 v9, 31, v0
	v_lshrrev_b32_e32 v6, 3, v0
	v_lshrrev_b32_e32 v13, 5, v0
	v_dual_mov_b32 v17, 0 :: v_dual_add_nc_u32 v2, s6, v9
	s_delay_alu instid0(VALU_DEP_3) | instskip(NEXT) | instid1(VALU_DEP_2)
	v_add_nc_u32_e32 v0, s12, v6
	v_ashrrev_i32_e32 v3, 31, v2
	s_waitcnt lgkmcnt(0)
	s_ashr_i32 s11, s10, 31
	s_ashr_i32 s15, s14, 31
	s_add_u32 s16, s16, s8
	s_addc_u32 s17, s17, s9
	s_add_u32 s8, s18, s8
	s_load_b64 s[16:17], s[16:17], 0x0
	s_addc_u32 s9, s19, s9
	v_ashrrev_i32_e32 v1, 31, v0
	s_load_b64 s[8:9], s[8:9], 0x0
	v_mad_i64_i32 v[7:8], null, s10, v13, v[2:3]
	s_delay_alu instid0(VALU_DEP_2) | instskip(NEXT) | instid1(VALU_DEP_2)
	v_mad_i64_i32 v[2:3], null, s14, v12, v[0:1]
	v_lshlrev_b64 v[0:1], 3, v[7:8]
	v_dual_mov_b32 v7, 0 :: v_dual_lshlrev_b32 v14, 3, v12
	s_delay_alu instid0(VALU_DEP_3) | instskip(SKIP_1) | instid1(VALU_DEP_3)
	v_lshlrev_b64 v[2:3], 3, v[2:3]
	v_mov_b32_e32 v8, 0
	v_lshl_or_b32 v12, v6, 6, v14
	s_waitcnt lgkmcnt(0)
	v_add_co_u32 v0, vcc_lo, v0, s16
	v_add_co_ci_u32_e32 v1, vcc_lo, s17, v1, vcc_lo
	v_add_co_u32 v2, vcc_lo, v2, s8
	v_add_co_ci_u32_e32 v3, vcc_lo, s9, v3, vcc_lo
	v_dual_mov_b32 v6, 0 :: v_dual_lshlrev_b32 v9, 3, v9
	v_add_co_u32 v0, vcc_lo, v0, 4
	v_add_co_ci_u32_e32 v1, vcc_lo, 0, v1, vcc_lo
	v_add_co_u32 v2, vcc_lo, v2, 4
	s_delay_alu instid0(VALU_DEP_4)
	v_lshl_or_b32 v14, v13, 8, v9
	v_dual_mov_b32 v12, 0 :: v_dual_add_nc_u32 v15, 0x800, v12
	v_add_co_ci_u32_e32 v3, vcc_lo, 0, v3, vcc_lo
	v_mov_b32_e32 v9, 0
	v_mov_b32_e32 v13, 0
	s_lshl_b64 s[8:9], s[10:11], 6
	s_lshl_b64 s[10:11], s[14:15], 6
.LBB626_2:                              ; =>This Inner Loop Header: Depth=1
	global_load_b64 v[18:19], v[0:1], off offset:-4
	global_load_b64 v[20:21], v[2:3], off offset:-4
	v_add_co_u32 v0, vcc_lo, v0, s8
	v_add_co_ci_u32_e32 v1, vcc_lo, s9, v1, vcc_lo
	v_add_co_u32 v2, vcc_lo, v2, s10
	v_add_co_ci_u32_e32 v3, vcc_lo, s11, v3, vcc_lo
	s_add_i32 s7, s7, 8
	s_waitcnt vmcnt(1)
	ds_store_b64 v14, v[18:19]
	s_waitcnt vmcnt(0)
	ds_store_b64 v15, v[20:21]
	s_waitcnt lgkmcnt(0)
	s_barrier
	buffer_gl0_inv
	ds_load_2addr_b64 v[18:21], v10 offset1:16
	ds_load_b128 v[22:25], v11
	ds_load_b128 v[26:29], v11 offset:1024
	ds_load_b128 v[30:33], v11 offset:16
	ds_load_2addr_b64 v[34:37], v10 offset0:32 offset1:48
	ds_load_b128 v[38:41], v11 offset:32
	ds_load_b128 v[42:45], v11 offset:48
	ds_load_2addr_b64 v[46:49], v10 offset0:64 offset1:80
	ds_load_b128 v[50:53], v11 offset:1040
	ds_load_2addr_b64 v[54:57], v10 offset0:96 offset1:112
	ds_load_2addr_b64 v[58:61], v10 offset0:128 offset1:144
	;; [unrolled: 1-line block ×4, first 2 shown]
	ds_load_b128 v[70:73], v11 offset:1056
	ds_load_b128 v[74:77], v11 offset:1072
	ds_load_2addr_b64 v[78:81], v10 offset0:224 offset1:240
	s_cmp_ge_i32 s7, s5
	s_waitcnt lgkmcnt(0)
	s_barrier
	buffer_gl0_inv
	v_dual_mul_f32 v82, v23, v19 :: v_dual_mul_f32 v85, v22, v21
	v_dual_mul_f32 v83, v22, v19 :: v_dual_mul_f32 v84, v23, v21
	v_mul_f32_e32 v86, v27, v19
	v_dual_mul_f32 v19, v26, v19 :: v_dual_mul_f32 v90, v25, v37
	v_dual_mul_f32 v87, v27, v21 :: v_dual_mul_f32 v88, v25, v35
	v_mul_f32_e32 v21, v26, v21
	v_mul_f32_e32 v89, v24, v35
	v_mul_f32_e32 v91, v24, v37
	v_fma_f32 v82, v22, v18, -v82
	v_fmac_f32_e32 v83, v23, v18
	v_fma_f32 v22, v22, v20, -v84
	v_dual_fmac_f32 v85, v23, v20 :: v_dual_mul_f32 v84, v30, v47
	v_fma_f32 v23, v26, v18, -v86
	v_fmac_f32_e32 v19, v27, v18
	v_fma_f32 v18, v26, v20, -v87
	v_dual_mul_f32 v26, v28, v35 :: v_dual_fmac_f32 v21, v27, v20
	v_mul_f32_e32 v20, v29, v35
	v_mul_f32_e32 v27, v29, v37
	v_dual_mul_f32 v35, v28, v37 :: v_dual_fmac_f32 v84, v31, v46
	v_fma_f32 v37, v24, v34, -v88
	v_fma_f32 v24, v24, v36, -v90
	v_dual_fmac_f32 v91, v25, v36 :: v_dual_mul_f32 v90, v32, v57
	v_dual_mul_f32 v86, v31, v49 :: v_dual_fmac_f32 v89, v25, v34
	v_dual_mul_f32 v25, v31, v47 :: v_dual_mul_f32 v88, v33, v57
	v_fma_f32 v20, v28, v34, -v20
	v_fmac_f32_e32 v26, v29, v34
	v_fma_f32 v27, v28, v36, -v27
	v_dual_fmac_f32 v35, v29, v36 :: v_dual_mul_f32 v28, v51, v47
	v_dual_mul_f32 v29, v50, v47 :: v_dual_mul_f32 v34, v51, v49
	v_mul_f32_e32 v36, v50, v49
	v_mul_f32_e32 v87, v30, v49
	;; [unrolled: 1-line block ×3, first 2 shown]
	v_dual_mul_f32 v49, v32, v55 :: v_dual_fmac_f32 v90, v33, v56
	v_fma_f32 v25, v30, v46, -v25
	v_fma_f32 v30, v30, v48, -v86
	;; [unrolled: 1-line block ×3, first 2 shown]
	v_fmac_f32_e32 v36, v51, v48
	v_fmac_f32_e32 v87, v31, v48
	v_fma_f32 v31, v50, v48, -v34
	v_mul_f32_e32 v34, v53, v55
	v_mul_f32_e32 v48, v53, v57
	v_dual_mul_f32 v50, v52, v57 :: v_dual_fmac_f32 v29, v51, v46
	v_mul_f32_e32 v46, v52, v55
	v_fma_f32 v47, v32, v54, -v47
	v_fmac_f32_e32 v49, v33, v54
	v_fma_f32 v32, v32, v56, -v88
	s_delay_alu instid0(VALU_DEP_4)
	v_dual_mul_f32 v33, v39, v59 :: v_dual_fmac_f32 v46, v53, v54
	v_mul_f32_e32 v51, v38, v59
	v_mul_f32_e32 v55, v39, v61
	v_fma_f32 v34, v52, v54, -v34
	v_fma_f32 v48, v52, v56, -v48
	v_fmac_f32_e32 v50, v53, v56
	v_mul_f32_e32 v52, v71, v59
	v_dual_mul_f32 v53, v70, v59 :: v_dual_mul_f32 v86, v41, v65
	v_mul_f32_e32 v54, v71, v61
	v_dual_mul_f32 v56, v70, v61 :: v_dual_mul_f32 v59, v41, v63
	v_mul_f32_e32 v57, v38, v61
	v_mul_f32_e32 v61, v40, v63
	v_dual_mul_f32 v88, v40, v65 :: v_dual_fmac_f32 v51, v39, v58
	v_fma_f32 v33, v38, v58, -v33
	v_fmac_f32_e32 v53, v71, v58
	v_fmac_f32_e32 v56, v71, v60
	s_delay_alu instid0(VALU_DEP_4)
	v_fmac_f32_e32 v88, v41, v64
	v_fmac_f32_e32 v57, v39, v60
	v_fma_f32 v39, v70, v58, -v52
	v_fma_f32 v52, v70, v60, -v54
	v_mul_f32_e32 v54, v73, v63
	v_fma_f32 v38, v38, v60, -v55
	v_mul_f32_e32 v60, v72, v65
	v_dual_mul_f32 v55, v72, v63 :: v_dual_mul_f32 v70, v42, v69
	v_mul_f32_e32 v58, v73, v65
	v_fma_f32 v59, v40, v62, -v59
	v_fmac_f32_e32 v61, v41, v62
	v_fma_f32 v40, v40, v64, -v86
	v_dual_mul_f32 v41, v43, v67 :: v_dual_fmac_f32 v60, v73, v64
	v_dual_mul_f32 v63, v42, v67 :: v_dual_mul_f32 v86, v44, v81
	v_mul_f32_e32 v65, v43, v69
	v_fma_f32 v54, v72, v62, -v54
	v_fmac_f32_e32 v55, v73, v62
	v_fma_f32 v58, v72, v64, -v58
	v_mul_f32_e32 v72, v44, v79
	v_mul_f32_e32 v62, v75, v67
	v_dual_mul_f32 v64, v74, v67 :: v_dual_mul_f32 v67, v75, v69
	v_dual_mul_f32 v69, v74, v69 :: v_dual_fmac_f32 v70, v43, v68
	s_delay_alu instid0(VALU_DEP_2)
	v_dual_mul_f32 v71, v45, v79 :: v_dual_fmac_f32 v64, v75, v66
	v_dual_mul_f32 v73, v45, v81 :: v_dual_add_f32 v16, v16, v82
	v_fma_f32 v41, v42, v66, -v41
	v_fmac_f32_e32 v63, v43, v66
	v_fma_f32 v42, v42, v68, -v65
	v_fma_f32 v43, v74, v66, -v62
	v_dual_mul_f32 v65, v77, v79 :: v_dual_add_f32 v12, v12, v85
	v_mul_f32_e32 v66, v76, v79
	v_fma_f32 v62, v74, v68, -v67
	v_dual_mul_f32 v67, v77, v81 :: v_dual_add_f32 v8, v8, v19
	v_dual_fmac_f32 v86, v45, v80 :: v_dual_add_f32 v7, v7, v18
	v_dual_add_f32 v17, v17, v83 :: v_dual_add_f32 v6, v6, v21
	v_dual_add_f32 v13, v13, v22 :: v_dual_add_f32 v16, v16, v37
	s_delay_alu instid0(VALU_DEP_4)
	v_dual_add_f32 v9, v9, v23 :: v_dual_add_f32 v8, v8, v26
	v_dual_fmac_f32 v69, v75, v68 :: v_dual_fmac_f32 v72, v45, v78
	v_mul_f32_e32 v68, v76, v81
	v_dual_fmac_f32 v66, v77, v78 :: v_dual_add_f32 v7, v7, v27
	v_dual_add_f32 v17, v17, v89 :: v_dual_add_f32 v12, v12, v91
	v_dual_add_f32 v13, v13, v24 :: v_dual_add_f32 v6, v6, v35
	;; [unrolled: 1-line block ×3, first 2 shown]
	s_delay_alu instid0(VALU_DEP_4) | instskip(NEXT) | instid1(VALU_DEP_4)
	v_dual_fmac_f32 v68, v77, v80 :: v_dual_add_f32 v7, v7, v31
	v_dual_add_f32 v17, v17, v84 :: v_dual_add_f32 v12, v12, v87
	s_delay_alu instid0(VALU_DEP_4) | instskip(NEXT) | instid1(VALU_DEP_4)
	v_dual_add_f32 v13, v13, v30 :: v_dual_add_f32 v8, v8, v29
	v_dual_add_f32 v9, v9, v28 :: v_dual_add_f32 v16, v16, v47
	s_delay_alu instid0(VALU_DEP_3) | instskip(NEXT) | instid1(VALU_DEP_3)
	v_dual_add_f32 v6, v6, v36 :: v_dual_add_f32 v17, v17, v49
	v_dual_add_f32 v13, v13, v32 :: v_dual_add_f32 v12, v12, v90
	s_delay_alu instid0(VALU_DEP_3) | instskip(SKIP_1) | instid1(VALU_DEP_4)
	v_dual_add_f32 v9, v9, v34 :: v_dual_add_f32 v16, v16, v33
	v_dual_add_f32 v8, v8, v46 :: v_dual_add_f32 v7, v7, v48
	;; [unrolled: 1-line block ×3, first 2 shown]
	s_delay_alu instid0(VALU_DEP_4) | instskip(NEXT) | instid1(VALU_DEP_3)
	v_dual_add_f32 v13, v13, v38 :: v_dual_add_f32 v12, v12, v57
	v_dual_add_f32 v9, v9, v39 :: v_dual_add_f32 v8, v8, v53
	s_delay_alu instid0(VALU_DEP_4) | instskip(NEXT) | instid1(VALU_DEP_4)
	v_dual_add_f32 v7, v7, v52 :: v_dual_add_f32 v16, v16, v59
	v_dual_add_f32 v6, v6, v56 :: v_dual_add_f32 v17, v17, v61
	s_delay_alu instid0(VALU_DEP_3) | instskip(NEXT) | instid1(VALU_DEP_4)
	v_dual_add_f32 v13, v13, v40 :: v_dual_add_f32 v8, v8, v55
	v_dual_add_f32 v12, v12, v88 :: v_dual_add_f32 v9, v9, v54
	s_delay_alu instid0(VALU_DEP_3)
	v_dual_add_f32 v7, v7, v58 :: v_dual_add_f32 v6, v6, v60
	v_fma_f32 v71, v44, v78, -v71
	v_fma_f32 v44, v44, v80, -v73
	;; [unrolled: 1-line block ×4, first 2 shown]
	v_dual_add_f32 v16, v16, v41 :: v_dual_add_f32 v17, v17, v63
	v_dual_add_f32 v13, v13, v42 :: v_dual_add_f32 v8, v8, v64
	v_dual_add_f32 v12, v12, v70 :: v_dual_add_f32 v9, v9, v43
	v_dual_add_f32 v7, v7, v62 :: v_dual_add_f32 v6, v6, v69
	s_delay_alu instid0(VALU_DEP_4) | instskip(NEXT) | instid1(VALU_DEP_3)
	v_dual_add_f32 v16, v16, v71 :: v_dual_add_f32 v17, v17, v72
	v_dual_add_f32 v13, v13, v44 :: v_dual_add_f32 v12, v12, v86
	s_delay_alu instid0(VALU_DEP_4) | instskip(NEXT) | instid1(VALU_DEP_4)
	v_dual_add_f32 v9, v9, v45 :: v_dual_add_f32 v8, v8, v66
	v_dual_add_f32 v7, v7, v65 :: v_dual_add_f32 v6, v6, v68
	s_cbranch_scc0 .LBB626_2
.LBB626_3:
	s_load_b32 s5, s[0:1], 0x40
	v_add_nc_u32_e32 v5, s12, v5
	v_add_nc_u32_e32 v0, s6, v4
	s_delay_alu instid0(VALU_DEP_1) | instskip(SKIP_1) | instid1(VALU_DEP_2)
	v_cmp_le_i32_e64 s0, v5, v0
	v_cmp_gt_i32_e32 vcc_lo, s4, v0
	s_and_b32 s0, s0, vcc_lo
	s_waitcnt lgkmcnt(0)
	v_mad_i64_i32 v[1:2], null, v5, s5, 0
	s_delay_alu instid0(VALU_DEP_1) | instskip(NEXT) | instid1(VALU_DEP_1)
	v_lshlrev_b64 v[1:2], 3, v[1:2]
	v_add_co_u32 v4, s1, s2, v1
	s_delay_alu instid0(VALU_DEP_1)
	v_add_co_ci_u32_e64 v10, s1, s3, v2, s1
	s_and_saveexec_b32 s1, s0
	s_cbranch_execz .LBB626_5
; %bb.4:
	v_ashrrev_i32_e32 v1, 31, v0
	s_delay_alu instid0(VALU_DEP_1) | instskip(NEXT) | instid1(VALU_DEP_1)
	v_lshlrev_b64 v[1:2], 3, v[0:1]
	v_add_co_u32 v1, s0, v4, v1
	s_delay_alu instid0(VALU_DEP_1)
	v_add_co_ci_u32_e64 v2, s0, v10, v2, s0
	global_load_b64 v[14:15], v[1:2], off
	s_waitcnt vmcnt(0)
	v_dual_sub_f32 v14, v16, v14 :: v_dual_sub_f32 v15, v17, v15
	global_store_b64 v[1:2], v[14:15], off
.LBB626_5:
	s_or_b32 exec_lo, exec_lo, s1
	v_add_nc_u32_e32 v2, 16, v0
	s_delay_alu instid0(VALU_DEP_1) | instskip(SKIP_1) | instid1(VALU_DEP_1)
	v_cmp_le_i32_e64 s1, v5, v2
	v_cmp_gt_i32_e64 s0, s4, v2
	s_and_b32 s1, s1, s0
	s_delay_alu instid0(SALU_CYCLE_1)
	s_and_saveexec_b32 s4, s1
	s_cbranch_execz .LBB626_7
; %bb.6:
	v_ashrrev_i32_e32 v3, 31, v2
	s_delay_alu instid0(VALU_DEP_1) | instskip(NEXT) | instid1(VALU_DEP_1)
	v_lshlrev_b64 v[14:15], 3, v[2:3]
	v_add_co_u32 v3, s1, v4, v14
	s_delay_alu instid0(VALU_DEP_1)
	v_add_co_ci_u32_e64 v4, s1, v10, v15, s1
	global_load_b64 v[10:11], v[3:4], off
	s_waitcnt vmcnt(0)
	v_dual_sub_f32 v10, v13, v10 :: v_dual_sub_f32 v11, v12, v11
	global_store_b64 v[3:4], v[10:11], off
.LBB626_7:
	s_or_b32 exec_lo, exec_lo, s4
	v_add_nc_u32_e32 v3, 16, v5
	s_delay_alu instid0(VALU_DEP_1) | instskip(SKIP_1) | instid1(VALU_DEP_2)
	v_mad_i64_i32 v[4:5], null, v3, s5, 0
	v_cmp_le_i32_e64 s1, v3, v0
	v_lshlrev_b64 v[4:5], 3, v[4:5]
	s_delay_alu instid0(VALU_DEP_1) | instskip(NEXT) | instid1(VALU_DEP_1)
	v_add_co_u32 v4, s2, s2, v4
	v_add_co_ci_u32_e64 v5, s2, s3, v5, s2
	s_delay_alu instid0(VALU_DEP_4) | instskip(NEXT) | instid1(SALU_CYCLE_1)
	s_and_b32 s2, s1, vcc_lo
	s_and_saveexec_b32 s1, s2
	s_cbranch_execz .LBB626_9
; %bb.8:
	v_ashrrev_i32_e32 v1, 31, v0
	s_delay_alu instid0(VALU_DEP_1) | instskip(NEXT) | instid1(VALU_DEP_1)
	v_lshlrev_b64 v[0:1], 3, v[0:1]
	v_add_co_u32 v0, vcc_lo, v4, v0
	s_delay_alu instid0(VALU_DEP_2)
	v_add_co_ci_u32_e32 v1, vcc_lo, v5, v1, vcc_lo
	global_load_b64 v[10:11], v[0:1], off
	s_waitcnt vmcnt(0)
	v_dual_sub_f32 v9, v9, v10 :: v_dual_sub_f32 v10, v8, v11
	global_store_b64 v[0:1], v[9:10], off
.LBB626_9:
	s_or_b32 exec_lo, exec_lo, s1
	v_cmp_le_i32_e32 vcc_lo, v3, v2
	s_and_b32 s0, vcc_lo, s0
	s_delay_alu instid0(SALU_CYCLE_1)
	s_and_saveexec_b32 s1, s0
	s_cbranch_execz .LBB626_11
; %bb.10:
	v_ashrrev_i32_e32 v3, 31, v2
	s_delay_alu instid0(VALU_DEP_1) | instskip(NEXT) | instid1(VALU_DEP_1)
	v_lshlrev_b64 v[0:1], 3, v[2:3]
	v_add_co_u32 v0, vcc_lo, v4, v0
	s_delay_alu instid0(VALU_DEP_2)
	v_add_co_ci_u32_e32 v1, vcc_lo, v5, v1, vcc_lo
	global_load_b64 v[2:3], v[0:1], off
	s_waitcnt vmcnt(0)
	v_dual_sub_f32 v2, v7, v2 :: v_dual_sub_f32 v3, v6, v3
	global_store_b64 v[0:1], v[2:3], off
.LBB626_11:
	s_nop 0
	s_sendmsg sendmsg(MSG_DEALLOC_VGPRS)
	s_endpgm
	.section	.rodata,"a",@progbits
	.p2align	6, 0x0
	.amdhsa_kernel _ZL37rocblas_syrkx_herkx_restricted_kernelIi19rocblas_complex_numIfELi16ELi32ELi8ELi1ELin1ELb0ELc78ELc76EKPKS1_KPS1_EviT_PT9_S7_lS9_S7_lPT10_S7_li
		.amdhsa_group_segment_fixed_size 4096
		.amdhsa_private_segment_fixed_size 0
		.amdhsa_kernarg_size 84
		.amdhsa_user_sgpr_count 13
		.amdhsa_user_sgpr_dispatch_ptr 0
		.amdhsa_user_sgpr_queue_ptr 0
		.amdhsa_user_sgpr_kernarg_segment_ptr 1
		.amdhsa_user_sgpr_dispatch_id 0
		.amdhsa_user_sgpr_private_segment_size 0
		.amdhsa_wavefront_size32 1
		.amdhsa_uses_dynamic_stack 0
		.amdhsa_enable_private_segment 0
		.amdhsa_system_sgpr_workgroup_id_x 1
		.amdhsa_system_sgpr_workgroup_id_y 1
		.amdhsa_system_sgpr_workgroup_id_z 1
		.amdhsa_system_sgpr_workgroup_info 0
		.amdhsa_system_vgpr_workitem_id 1
		.amdhsa_next_free_vgpr 92
		.amdhsa_next_free_sgpr 20
		.amdhsa_reserve_vcc 1
		.amdhsa_float_round_mode_32 0
		.amdhsa_float_round_mode_16_64 0
		.amdhsa_float_denorm_mode_32 3
		.amdhsa_float_denorm_mode_16_64 3
		.amdhsa_dx10_clamp 1
		.amdhsa_ieee_mode 1
		.amdhsa_fp16_overflow 0
		.amdhsa_workgroup_processor_mode 1
		.amdhsa_memory_ordered 1
		.amdhsa_forward_progress 0
		.amdhsa_shared_vgpr_count 0
		.amdhsa_exception_fp_ieee_invalid_op 0
		.amdhsa_exception_fp_denorm_src 0
		.amdhsa_exception_fp_ieee_div_zero 0
		.amdhsa_exception_fp_ieee_overflow 0
		.amdhsa_exception_fp_ieee_underflow 0
		.amdhsa_exception_fp_ieee_inexact 0
		.amdhsa_exception_int_div_zero 0
	.end_amdhsa_kernel
	.section	.text._ZL37rocblas_syrkx_herkx_restricted_kernelIi19rocblas_complex_numIfELi16ELi32ELi8ELi1ELin1ELb0ELc78ELc76EKPKS1_KPS1_EviT_PT9_S7_lS9_S7_lPT10_S7_li,"axG",@progbits,_ZL37rocblas_syrkx_herkx_restricted_kernelIi19rocblas_complex_numIfELi16ELi32ELi8ELi1ELin1ELb0ELc78ELc76EKPKS1_KPS1_EviT_PT9_S7_lS9_S7_lPT10_S7_li,comdat
.Lfunc_end626:
	.size	_ZL37rocblas_syrkx_herkx_restricted_kernelIi19rocblas_complex_numIfELi16ELi32ELi8ELi1ELin1ELb0ELc78ELc76EKPKS1_KPS1_EviT_PT9_S7_lS9_S7_lPT10_S7_li, .Lfunc_end626-_ZL37rocblas_syrkx_herkx_restricted_kernelIi19rocblas_complex_numIfELi16ELi32ELi8ELi1ELin1ELb0ELc78ELc76EKPKS1_KPS1_EviT_PT9_S7_lS9_S7_lPT10_S7_li
                                        ; -- End function
	.section	.AMDGPU.csdata,"",@progbits
; Kernel info:
; codeLenInByte = 2104
; NumSgprs: 22
; NumVgprs: 92
; ScratchSize: 0
; MemoryBound: 0
; FloatMode: 240
; IeeeMode: 1
; LDSByteSize: 4096 bytes/workgroup (compile time only)
; SGPRBlocks: 2
; VGPRBlocks: 11
; NumSGPRsForWavesPerEU: 22
; NumVGPRsForWavesPerEU: 92
; Occupancy: 16
; WaveLimiterHint : 1
; COMPUTE_PGM_RSRC2:SCRATCH_EN: 0
; COMPUTE_PGM_RSRC2:USER_SGPR: 13
; COMPUTE_PGM_RSRC2:TRAP_HANDLER: 0
; COMPUTE_PGM_RSRC2:TGID_X_EN: 1
; COMPUTE_PGM_RSRC2:TGID_Y_EN: 1
; COMPUTE_PGM_RSRC2:TGID_Z_EN: 1
; COMPUTE_PGM_RSRC2:TIDIG_COMP_CNT: 1
	.section	.text._ZL37rocblas_syrkx_herkx_restricted_kernelIi19rocblas_complex_numIfELi16ELi32ELi8ELi1ELin1ELb0ELc84ELc85EKPKS1_KPS1_EviT_PT9_S7_lS9_S7_lPT10_S7_li,"axG",@progbits,_ZL37rocblas_syrkx_herkx_restricted_kernelIi19rocblas_complex_numIfELi16ELi32ELi8ELi1ELin1ELb0ELc84ELc85EKPKS1_KPS1_EviT_PT9_S7_lS9_S7_lPT10_S7_li,comdat
	.globl	_ZL37rocblas_syrkx_herkx_restricted_kernelIi19rocblas_complex_numIfELi16ELi32ELi8ELi1ELin1ELb0ELc84ELc85EKPKS1_KPS1_EviT_PT9_S7_lS9_S7_lPT10_S7_li ; -- Begin function _ZL37rocblas_syrkx_herkx_restricted_kernelIi19rocblas_complex_numIfELi16ELi32ELi8ELi1ELin1ELb0ELc84ELc85EKPKS1_KPS1_EviT_PT9_S7_lS9_S7_lPT10_S7_li
	.p2align	8
	.type	_ZL37rocblas_syrkx_herkx_restricted_kernelIi19rocblas_complex_numIfELi16ELi32ELi8ELi1ELin1ELb0ELc84ELc85EKPKS1_KPS1_EviT_PT9_S7_lS9_S7_lPT10_S7_li,@function
_ZL37rocblas_syrkx_herkx_restricted_kernelIi19rocblas_complex_numIfELi16ELi32ELi8ELi1ELin1ELb0ELc84ELc85EKPKS1_KPS1_EviT_PT9_S7_lS9_S7_lPT10_S7_li: ; @_ZL37rocblas_syrkx_herkx_restricted_kernelIi19rocblas_complex_numIfELi16ELi32ELi8ELi1ELin1ELb0ELc84ELc85EKPKS1_KPS1_EviT_PT9_S7_lS9_S7_lPT10_S7_li
; %bb.0:
	s_clause 0x1
	s_load_b64 s[4:5], s[0:1], 0x38
	s_load_b64 s[2:3], s[0:1], 0x0
	s_mov_b32 s6, s15
	s_mov_b32 s7, 0
	v_dual_mov_b32 v17, 0 :: v_dual_and_b32 v6, 0x3ff, v0
	s_lshl_b64 s[8:9], s[6:7], 3
	v_bfe_u32 v7, v0, 10, 10
	v_dual_mov_b32 v16, 0 :: v_dual_mov_b32 v13, 0
	v_dual_mov_b32 v12, 0 :: v_dual_mov_b32 v9, 0
	;; [unrolled: 1-line block ×3, first 2 shown]
	v_mov_b32_e32 v8, 0
	s_waitcnt lgkmcnt(0)
	s_add_u32 s4, s4, s8
	s_addc_u32 s5, s5, s9
	s_lshl_b32 s6, s13, 5
	s_load_b64 s[4:5], s[4:5], 0x0
	s_lshl_b32 s10, s14, 5
	s_cmp_lt_i32 s3, 1
	s_cbranch_scc1 .LBB627_3
; %bb.1:
	s_clause 0x3
	s_load_b64 s[12:13], s[0:1], 0x8
	s_load_b64 s[14:15], s[0:1], 0x20
	s_load_b32 s11, s[0:1], 0x10
	s_load_b32 s16, s[0:1], 0x28
	v_lshl_add_u32 v2, v7, 4, v6
	v_dual_mov_b32 v1, 0 :: v_dual_and_b32 v0, 7, v6
	v_lshlrev_b32_e32 v10, 3, v6
	v_lshl_add_u32 v11, v7, 6, 0x800
	s_delay_alu instid0(VALU_DEP_4)
	v_and_b32_e32 v14, 31, v2
	v_lshrrev_b32_e32 v9, 3, v2
	v_lshrrev_b32_e32 v2, 5, v2
	v_mov_b32_e32 v3, v1
	v_mov_b32_e32 v16, v1
	v_add_nc_u32_e32 v8, s6, v14
	v_add_nc_u32_e32 v15, s10, v9
	v_mov_b32_e32 v17, v1
	s_waitcnt lgkmcnt(0)
	s_add_u32 s12, s12, s8
	s_addc_u32 s13, s13, s9
	s_add_u32 s8, s14, s8
	s_load_b64 s[12:13], s[12:13], 0x0
	s_addc_u32 s9, s15, s9
	v_mad_i64_i32 v[4:5], null, s11, v8, v[2:3]
	v_mov_b32_e32 v8, v1
	s_load_b64 s[8:9], s[8:9], 0x0
	v_lshlrev_b32_e32 v3, 3, v0
	v_mad_i64_i32 v[12:13], null, s16, v15, v[0:1]
	v_mov_b32_e32 v0, v1
	s_delay_alu instid0(VALU_DEP_3) | instskip(SKIP_3) | instid1(VALU_DEP_4)
	v_lshl_or_b32 v15, v9, 6, v3
	v_lshlrev_b64 v[3:4], 3, v[4:5]
	v_dual_mov_b32 v9, v1 :: v_dual_lshlrev_b32 v14, 3, v14
	v_lshlrev_b64 v[12:13], 3, v[12:13]
	v_add_nc_u32_e32 v15, 0x800, v15
	s_delay_alu instid0(VALU_DEP_3)
	v_lshl_or_b32 v14, v2, 8, v14
	s_waitcnt lgkmcnt(0)
	v_add_co_u32 v2, vcc_lo, v3, s12
	v_add_co_ci_u32_e32 v3, vcc_lo, s13, v4, vcc_lo
	v_add_co_u32 v4, vcc_lo, v12, s8
	v_mov_b32_e32 v12, v1
	v_add_co_ci_u32_e32 v5, vcc_lo, s9, v13, vcc_lo
	v_add_co_u32 v2, vcc_lo, v2, 4
	v_add_co_ci_u32_e32 v3, vcc_lo, 0, v3, vcc_lo
	v_add_co_u32 v4, vcc_lo, v4, 4
	s_delay_alu instid0(VALU_DEP_4)
	v_add_co_ci_u32_e32 v5, vcc_lo, 0, v5, vcc_lo
	v_mov_b32_e32 v13, v1
.LBB627_2:                              ; =>This Inner Loop Header: Depth=1
	global_load_b64 v[18:19], v[2:3], off offset:-4
	global_load_b64 v[20:21], v[4:5], off offset:-4
	v_add_co_u32 v2, vcc_lo, v2, 64
	v_add_co_ci_u32_e32 v3, vcc_lo, 0, v3, vcc_lo
	v_add_co_u32 v4, vcc_lo, v4, 64
	v_add_co_ci_u32_e32 v5, vcc_lo, 0, v5, vcc_lo
	s_add_i32 s7, s7, 8
	s_waitcnt vmcnt(1)
	ds_store_b64 v14, v[18:19]
	s_waitcnt vmcnt(0)
	ds_store_b64 v15, v[20:21]
	s_waitcnt lgkmcnt(0)
	s_barrier
	buffer_gl0_inv
	ds_load_2addr_b64 v[18:21], v10 offset1:16
	ds_load_b128 v[22:25], v11
	ds_load_b128 v[26:29], v11 offset:1024
	ds_load_b128 v[30:33], v11 offset:16
	ds_load_2addr_b64 v[34:37], v10 offset0:32 offset1:48
	ds_load_b128 v[38:41], v11 offset:32
	ds_load_b128 v[42:45], v11 offset:48
	ds_load_2addr_b64 v[46:49], v10 offset0:64 offset1:80
	ds_load_b128 v[50:53], v11 offset:1040
	ds_load_2addr_b64 v[54:57], v10 offset0:96 offset1:112
	ds_load_2addr_b64 v[58:61], v10 offset0:128 offset1:144
	;; [unrolled: 1-line block ×4, first 2 shown]
	ds_load_b128 v[70:73], v11 offset:1056
	ds_load_b128 v[74:77], v11 offset:1072
	ds_load_2addr_b64 v[78:81], v10 offset0:224 offset1:240
	s_cmp_ge_i32 s7, s3
	s_waitcnt lgkmcnt(0)
	s_barrier
	buffer_gl0_inv
	v_dual_mul_f32 v82, v23, v19 :: v_dual_mul_f32 v85, v22, v21
	v_dual_mul_f32 v83, v22, v19 :: v_dual_mul_f32 v84, v23, v21
	v_mul_f32_e32 v86, v27, v19
	v_dual_mul_f32 v19, v26, v19 :: v_dual_mul_f32 v90, v25, v37
	v_dual_mul_f32 v87, v27, v21 :: v_dual_mul_f32 v88, v25, v35
	v_mul_f32_e32 v21, v26, v21
	v_fma_f32 v82, v22, v18, -v82
	v_fmac_f32_e32 v83, v23, v18
	v_fma_f32 v22, v22, v20, -v84
	v_fmac_f32_e32 v85, v23, v20
	v_fma_f32 v23, v26, v18, -v86
	v_dual_fmac_f32 v19, v27, v18 :: v_dual_mul_f32 v86, v30, v47
	v_fma_f32 v18, v26, v20, -v87
	v_dual_fmac_f32 v21, v27, v20 :: v_dual_mul_f32 v20, v24, v37
	v_mul_f32_e32 v89, v24, v35
	v_mul_f32_e32 v26, v29, v35
	;; [unrolled: 1-line block ×4, first 2 shown]
	v_fmac_f32_e32 v20, v25, v36
	v_fmac_f32_e32 v89, v25, v34
	v_dual_mul_f32 v25, v28, v37 :: v_dual_fmac_f32 v86, v31, v46
	v_fma_f32 v84, v24, v34, -v88
	v_fma_f32 v24, v24, v36, -v90
	v_dual_mul_f32 v37, v31, v47 :: v_dual_mul_f32 v90, v33, v57
	v_fma_f32 v26, v28, v34, -v26
	v_fma_f32 v28, v28, v36, -v35
	v_fmac_f32_e32 v25, v29, v36
	v_dual_mul_f32 v35, v50, v47 :: v_dual_mul_f32 v36, v51, v49
	v_dual_fmac_f32 v27, v29, v34 :: v_dual_mul_f32 v34, v51, v47
	v_dual_mul_f32 v88, v32, v55 :: v_dual_mul_f32 v29, v30, v49
	v_mul_f32_e32 v87, v31, v49
	v_fma_f32 v37, v30, v46, -v37
	v_add_f32_e32 v16, v16, v82
	s_delay_alu instid0(VALU_DEP_4)
	v_dual_fmac_f32 v88, v33, v54 :: v_dual_fmac_f32 v29, v31, v48
	v_fma_f32 v31, v50, v46, -v34
	v_fma_f32 v34, v50, v48, -v36
	v_mul_f32_e32 v36, v32, v57
	v_mul_f32_e32 v47, v50, v49
	v_dual_mul_f32 v50, v53, v57 :: v_dual_fmac_f32 v35, v51, v46
	v_mul_f32_e32 v46, v53, v55
	v_mul_f32_e32 v49, v33, v55
	v_fma_f32 v30, v30, v48, -v87
	v_fmac_f32_e32 v36, v33, v56
	v_dual_fmac_f32 v47, v51, v48 :: v_dual_mul_f32 v48, v52, v55
	v_mul_f32_e32 v33, v52, v57
	v_fma_f32 v46, v52, v54, -v46
	v_fma_f32 v50, v52, v56, -v50
	v_mul_f32_e32 v52, v38, v61
	v_fma_f32 v49, v32, v54, -v49
	v_fma_f32 v32, v32, v56, -v90
	v_dual_mul_f32 v51, v39, v59 :: v_dual_fmac_f32 v48, v53, v54
	v_mul_f32_e32 v54, v70, v59
	v_dual_mul_f32 v55, v38, v59 :: v_dual_fmac_f32 v52, v39, v60
	v_fmac_f32_e32 v33, v53, v56
	v_mul_f32_e32 v53, v71, v59
	v_mul_f32_e32 v56, v71, v61
	;; [unrolled: 1-line block ×3, first 2 shown]
	v_fmac_f32_e32 v54, v71, v58
	v_fmac_f32_e32 v55, v39, v58
	v_fma_f32 v39, v70, v58, -v53
	v_fma_f32 v53, v70, v60, -v56
	v_mul_f32_e32 v56, v40, v65
	v_mul_f32_e32 v59, v70, v61
	v_fma_f32 v51, v38, v58, -v51
	v_mul_f32_e32 v58, v72, v63
	v_mul_f32_e32 v87, v40, v63
	v_mul_f32_e32 v61, v41, v63
	v_mul_f32_e32 v90, v41, v65
	v_fma_f32 v38, v38, v60, -v57
	v_mul_f32_e32 v57, v73, v63
	v_fmac_f32_e32 v56, v41, v64
	v_dual_fmac_f32 v59, v71, v60 :: v_dual_mul_f32 v60, v73, v65
	v_mul_f32_e32 v63, v43, v67
	v_mul_f32_e32 v70, v43, v69
	v_fmac_f32_e32 v58, v73, v62
	v_fmac_f32_e32 v87, v41, v62
	v_mul_f32_e32 v41, v72, v65
	v_fma_f32 v61, v40, v62, -v61
	v_fma_f32 v40, v40, v64, -v90
	v_mul_f32_e32 v65, v42, v67
	v_fma_f32 v57, v72, v62, -v57
	v_fma_f32 v60, v72, v64, -v60
	v_dual_fmac_f32 v41, v73, v64 :: v_dual_mul_f32 v62, v42, v69
	v_mul_f32_e32 v64, v75, v67
	v_fma_f32 v63, v42, v66, -v63
	v_fma_f32 v42, v42, v68, -v70
	v_mul_f32_e32 v70, v76, v79
	v_mul_f32_e32 v67, v74, v67
	;; [unrolled: 1-line block ×3, first 2 shown]
	v_dual_mul_f32 v69, v74, v69 :: v_dual_add_f32 v0, v0, v19
	v_mul_f32_e32 v73, v44, v79
	v_dual_fmac_f32 v65, v43, v66 :: v_dual_add_f32 v12, v12, v85
	v_fmac_f32_e32 v62, v43, v68
	v_fma_f32 v43, v74, v66, -v64
	v_fmac_f32_e32 v70, v77, v78
	v_dual_fmac_f32 v67, v75, v66 :: v_dual_add_f32 v16, v16, v84
	v_mul_f32_e32 v66, v44, v81
	v_mul_f32_e32 v72, v45, v79
	v_dual_mul_f32 v90, v45, v81 :: v_dual_fmac_f32 v69, v75, v68
	v_add_f32_e32 v8, v8, v18
	v_dual_fmac_f32 v73, v45, v78 :: v_dual_add_f32 v0, v0, v27
	v_dual_fmac_f32 v66, v45, v80 :: v_dual_mul_f32 v45, v76, v81
	v_fma_f32 v64, v74, v68, -v71
	v_dual_mul_f32 v71, v77, v81 :: v_dual_add_f32 v12, v12, v20
	v_dual_add_f32 v17, v17, v83 :: v_dual_add_f32 v8, v8, v28
	s_delay_alu instid0(VALU_DEP_4) | instskip(NEXT) | instid1(VALU_DEP_3)
	v_dual_fmac_f32 v45, v77, v80 :: v_dual_add_f32 v16, v16, v37
	v_dual_add_f32 v13, v13, v22 :: v_dual_add_f32 v12, v12, v29
	s_delay_alu instid0(VALU_DEP_3) | instskip(SKIP_1) | instid1(VALU_DEP_3)
	v_dual_add_f32 v9, v9, v23 :: v_dual_add_f32 v8, v8, v34
	v_dual_add_f32 v1, v1, v21 :: v_dual_add_f32 v0, v0, v35
	;; [unrolled: 1-line block ×3, first 2 shown]
	s_delay_alu instid0(VALU_DEP_4) | instskip(NEXT) | instid1(VALU_DEP_3)
	v_dual_add_f32 v13, v13, v24 :: v_dual_add_f32 v16, v16, v49
	v_dual_add_f32 v9, v9, v26 :: v_dual_add_f32 v0, v0, v48
	s_delay_alu instid0(VALU_DEP_4) | instskip(NEXT) | instid1(VALU_DEP_3)
	v_dual_add_f32 v1, v1, v25 :: v_dual_add_f32 v8, v8, v50
	v_dual_add_f32 v17, v17, v86 :: v_dual_add_f32 v16, v16, v51
	s_delay_alu instid0(VALU_DEP_4) | instskip(NEXT) | instid1(VALU_DEP_4)
	v_dual_add_f32 v13, v13, v30 :: v_dual_add_f32 v12, v12, v52
	v_dual_add_f32 v9, v9, v31 :: v_dual_add_f32 v0, v0, v54
	s_delay_alu instid0(VALU_DEP_4) | instskip(NEXT) | instid1(VALU_DEP_4)
	v_dual_add_f32 v1, v1, v47 :: v_dual_add_f32 v8, v8, v53
	v_dual_add_f32 v17, v17, v88 :: v_dual_add_f32 v16, v16, v61
	s_delay_alu instid0(VALU_DEP_3) | instskip(NEXT) | instid1(VALU_DEP_4)
	v_dual_add_f32 v13, v13, v32 :: v_dual_add_f32 v0, v0, v58
	v_dual_add_f32 v9, v9, v46 :: v_dual_add_f32 v12, v12, v56
	s_delay_alu instid0(VALU_DEP_4) | instskip(SKIP_1) | instid1(VALU_DEP_3)
	v_dual_add_f32 v1, v1, v33 :: v_dual_add_f32 v8, v8, v60
	v_fma_f32 v72, v44, v78, -v72
	v_dual_add_f32 v17, v17, v55 :: v_dual_add_f32 v12, v12, v62
	v_dual_add_f32 v13, v13, v38 :: v_dual_add_f32 v16, v16, v63
	s_delay_alu instid0(VALU_DEP_4) | instskip(SKIP_2) | instid1(VALU_DEP_4)
	v_dual_add_f32 v9, v9, v39 :: v_dual_add_f32 v8, v8, v64
	v_add_f32_e32 v1, v1, v59
	v_mul_f32_e32 v68, v77, v79
	v_add_f32_e32 v16, v16, v72
	v_fma_f32 v71, v76, v80, -v71
	v_dual_add_f32 v17, v17, v87 :: v_dual_add_f32 v12, v12, v66
	v_dual_add_f32 v13, v13, v40 :: v_dual_add_f32 v0, v0, v67
	v_add_f32_e32 v9, v9, v57
	s_delay_alu instid0(VALU_DEP_4)
	v_dual_add_f32 v1, v1, v41 :: v_dual_add_f32 v8, v8, v71
	v_fma_f32 v44, v44, v80, -v90
	v_fma_f32 v68, v76, v78, -v68
	v_add_f32_e32 v17, v17, v65
	v_add_f32_e32 v13, v13, v42
	v_dual_add_f32 v1, v1, v69 :: v_dual_add_f32 v0, v0, v70
	v_add_f32_e32 v9, v9, v43
	s_delay_alu instid0(VALU_DEP_4) | instskip(NEXT) | instid1(VALU_DEP_4)
	v_add_f32_e32 v17, v17, v73
	v_add_f32_e32 v13, v13, v44
	s_delay_alu instid0(VALU_DEP_4) | instskip(NEXT) | instid1(VALU_DEP_4)
	v_add_f32_e32 v1, v1, v45
	v_add_f32_e32 v9, v9, v68
	s_cbranch_scc0 .LBB627_2
.LBB627_3:
	s_load_b32 s3, s[0:1], 0x40
	v_add_nc_u32_e32 v7, s10, v7
	v_add_nc_u32_e32 v2, s6, v6
	s_delay_alu instid0(VALU_DEP_2) | instskip(NEXT) | instid1(VALU_DEP_2)
	v_cmp_gt_i32_e32 vcc_lo, s2, v7
	v_cmp_le_i32_e64 s0, v2, v7
	s_delay_alu instid0(VALU_DEP_1) | instskip(SKIP_2) | instid1(VALU_DEP_1)
	s_and_b32 s0, vcc_lo, s0
	s_waitcnt lgkmcnt(0)
	v_mad_i64_i32 v[3:4], null, v7, s3, 0
	v_lshlrev_b64 v[3:4], 3, v[3:4]
	s_delay_alu instid0(VALU_DEP_1) | instskip(NEXT) | instid1(VALU_DEP_1)
	v_add_co_u32 v6, s1, s4, v3
	v_add_co_ci_u32_e64 v10, s1, s5, v4, s1
	s_and_saveexec_b32 s1, s0
	s_cbranch_execz .LBB627_5
; %bb.4:
	v_ashrrev_i32_e32 v3, 31, v2
	s_delay_alu instid0(VALU_DEP_1) | instskip(NEXT) | instid1(VALU_DEP_1)
	v_lshlrev_b64 v[3:4], 3, v[2:3]
	v_add_co_u32 v3, s0, v6, v3
	s_delay_alu instid0(VALU_DEP_1)
	v_add_co_ci_u32_e64 v4, s0, v10, v4, s0
	global_load_b64 v[14:15], v[3:4], off
	s_waitcnt vmcnt(0)
	v_dual_sub_f32 v14, v16, v14 :: v_dual_sub_f32 v15, v17, v15
	global_store_b64 v[3:4], v[14:15], off
.LBB627_5:
	s_or_b32 exec_lo, exec_lo, s1
	v_add_nc_u32_e32 v4, 16, v2
	s_delay_alu instid0(VALU_DEP_1) | instskip(NEXT) | instid1(VALU_DEP_1)
	v_cmp_le_i32_e64 s0, v4, v7
	s_and_b32 s1, vcc_lo, s0
	s_delay_alu instid0(SALU_CYCLE_1)
	s_and_saveexec_b32 s0, s1
	s_cbranch_execz .LBB627_7
; %bb.6:
	v_ashrrev_i32_e32 v5, 31, v4
	s_delay_alu instid0(VALU_DEP_1) | instskip(NEXT) | instid1(VALU_DEP_1)
	v_lshlrev_b64 v[14:15], 3, v[4:5]
	v_add_co_u32 v5, vcc_lo, v6, v14
	s_delay_alu instid0(VALU_DEP_2)
	v_add_co_ci_u32_e32 v6, vcc_lo, v10, v15, vcc_lo
	global_load_b64 v[10:11], v[5:6], off
	s_waitcnt vmcnt(0)
	v_dual_sub_f32 v10, v13, v10 :: v_dual_sub_f32 v11, v12, v11
	global_store_b64 v[5:6], v[10:11], off
.LBB627_7:
	s_or_b32 exec_lo, exec_lo, s0
	v_add_nc_u32_e32 v5, 16, v7
	s_delay_alu instid0(VALU_DEP_1) | instskip(SKIP_2) | instid1(VALU_DEP_1)
	v_mad_i64_i32 v[6:7], null, v5, s3, 0
	v_cmp_gt_i32_e32 vcc_lo, s2, v5
	v_cmp_le_i32_e64 s0, v2, v5
	s_and_b32 s0, vcc_lo, s0
	s_delay_alu instid0(VALU_DEP_3) | instskip(NEXT) | instid1(VALU_DEP_1)
	v_lshlrev_b64 v[6:7], 3, v[6:7]
	v_add_co_u32 v6, s1, s4, v6
	s_delay_alu instid0(VALU_DEP_1)
	v_add_co_ci_u32_e64 v7, s1, s5, v7, s1
	s_and_saveexec_b32 s1, s0
	s_cbranch_execz .LBB627_9
; %bb.8:
	v_ashrrev_i32_e32 v3, 31, v2
	s_delay_alu instid0(VALU_DEP_1) | instskip(NEXT) | instid1(VALU_DEP_1)
	v_lshlrev_b64 v[2:3], 3, v[2:3]
	v_add_co_u32 v2, s0, v6, v2
	s_delay_alu instid0(VALU_DEP_1)
	v_add_co_ci_u32_e64 v3, s0, v7, v3, s0
	global_load_b64 v[10:11], v[2:3], off
	s_waitcnt vmcnt(0)
	v_dual_sub_f32 v9, v9, v10 :: v_dual_sub_f32 v10, v0, v11
	global_store_b64 v[2:3], v[9:10], off
.LBB627_9:
	s_or_b32 exec_lo, exec_lo, s1
	v_cmp_le_i32_e64 s0, v4, v5
	s_delay_alu instid0(VALU_DEP_1) | instskip(NEXT) | instid1(SALU_CYCLE_1)
	s_and_b32 s0, vcc_lo, s0
	s_and_saveexec_b32 s1, s0
	s_cbranch_execz .LBB627_11
; %bb.10:
	v_ashrrev_i32_e32 v5, 31, v4
	s_delay_alu instid0(VALU_DEP_1) | instskip(NEXT) | instid1(VALU_DEP_1)
	v_lshlrev_b64 v[2:3], 3, v[4:5]
	v_add_co_u32 v2, vcc_lo, v6, v2
	s_delay_alu instid0(VALU_DEP_2)
	v_add_co_ci_u32_e32 v3, vcc_lo, v7, v3, vcc_lo
	global_load_b64 v[4:5], v[2:3], off
	s_waitcnt vmcnt(0)
	v_dual_sub_f32 v0, v8, v4 :: v_dual_sub_f32 v1, v1, v5
	global_store_b64 v[2:3], v[0:1], off
.LBB627_11:
	s_nop 0
	s_sendmsg sendmsg(MSG_DEALLOC_VGPRS)
	s_endpgm
	.section	.rodata,"a",@progbits
	.p2align	6, 0x0
	.amdhsa_kernel _ZL37rocblas_syrkx_herkx_restricted_kernelIi19rocblas_complex_numIfELi16ELi32ELi8ELi1ELin1ELb0ELc84ELc85EKPKS1_KPS1_EviT_PT9_S7_lS9_S7_lPT10_S7_li
		.amdhsa_group_segment_fixed_size 4096
		.amdhsa_private_segment_fixed_size 0
		.amdhsa_kernarg_size 84
		.amdhsa_user_sgpr_count 13
		.amdhsa_user_sgpr_dispatch_ptr 0
		.amdhsa_user_sgpr_queue_ptr 0
		.amdhsa_user_sgpr_kernarg_segment_ptr 1
		.amdhsa_user_sgpr_dispatch_id 0
		.amdhsa_user_sgpr_private_segment_size 0
		.amdhsa_wavefront_size32 1
		.amdhsa_uses_dynamic_stack 0
		.amdhsa_enable_private_segment 0
		.amdhsa_system_sgpr_workgroup_id_x 1
		.amdhsa_system_sgpr_workgroup_id_y 1
		.amdhsa_system_sgpr_workgroup_id_z 1
		.amdhsa_system_sgpr_workgroup_info 0
		.amdhsa_system_vgpr_workitem_id 1
		.amdhsa_next_free_vgpr 91
		.amdhsa_next_free_sgpr 17
		.amdhsa_reserve_vcc 1
		.amdhsa_float_round_mode_32 0
		.amdhsa_float_round_mode_16_64 0
		.amdhsa_float_denorm_mode_32 3
		.amdhsa_float_denorm_mode_16_64 3
		.amdhsa_dx10_clamp 1
		.amdhsa_ieee_mode 1
		.amdhsa_fp16_overflow 0
		.amdhsa_workgroup_processor_mode 1
		.amdhsa_memory_ordered 1
		.amdhsa_forward_progress 0
		.amdhsa_shared_vgpr_count 0
		.amdhsa_exception_fp_ieee_invalid_op 0
		.amdhsa_exception_fp_denorm_src 0
		.amdhsa_exception_fp_ieee_div_zero 0
		.amdhsa_exception_fp_ieee_overflow 0
		.amdhsa_exception_fp_ieee_underflow 0
		.amdhsa_exception_fp_ieee_inexact 0
		.amdhsa_exception_int_div_zero 0
	.end_amdhsa_kernel
	.section	.text._ZL37rocblas_syrkx_herkx_restricted_kernelIi19rocblas_complex_numIfELi16ELi32ELi8ELi1ELin1ELb0ELc84ELc85EKPKS1_KPS1_EviT_PT9_S7_lS9_S7_lPT10_S7_li,"axG",@progbits,_ZL37rocblas_syrkx_herkx_restricted_kernelIi19rocblas_complex_numIfELi16ELi32ELi8ELi1ELin1ELb0ELc84ELc85EKPKS1_KPS1_EviT_PT9_S7_lS9_S7_lPT10_S7_li,comdat
.Lfunc_end627:
	.size	_ZL37rocblas_syrkx_herkx_restricted_kernelIi19rocblas_complex_numIfELi16ELi32ELi8ELi1ELin1ELb0ELc84ELc85EKPKS1_KPS1_EviT_PT9_S7_lS9_S7_lPT10_S7_li, .Lfunc_end627-_ZL37rocblas_syrkx_herkx_restricted_kernelIi19rocblas_complex_numIfELi16ELi32ELi8ELi1ELin1ELb0ELc84ELc85EKPKS1_KPS1_EviT_PT9_S7_lS9_S7_lPT10_S7_li
                                        ; -- End function
	.section	.AMDGPU.csdata,"",@progbits
; Kernel info:
; codeLenInByte = 2076
; NumSgprs: 19
; NumVgprs: 91
; ScratchSize: 0
; MemoryBound: 0
; FloatMode: 240
; IeeeMode: 1
; LDSByteSize: 4096 bytes/workgroup (compile time only)
; SGPRBlocks: 2
; VGPRBlocks: 11
; NumSGPRsForWavesPerEU: 19
; NumVGPRsForWavesPerEU: 91
; Occupancy: 16
; WaveLimiterHint : 1
; COMPUTE_PGM_RSRC2:SCRATCH_EN: 0
; COMPUTE_PGM_RSRC2:USER_SGPR: 13
; COMPUTE_PGM_RSRC2:TRAP_HANDLER: 0
; COMPUTE_PGM_RSRC2:TGID_X_EN: 1
; COMPUTE_PGM_RSRC2:TGID_Y_EN: 1
; COMPUTE_PGM_RSRC2:TGID_Z_EN: 1
; COMPUTE_PGM_RSRC2:TIDIG_COMP_CNT: 1
	.section	.text._ZL37rocblas_syrkx_herkx_restricted_kernelIi19rocblas_complex_numIfELi16ELi32ELi8ELi1ELin1ELb0ELc67ELc85EKPKS1_KPS1_EviT_PT9_S7_lS9_S7_lPT10_S7_li,"axG",@progbits,_ZL37rocblas_syrkx_herkx_restricted_kernelIi19rocblas_complex_numIfELi16ELi32ELi8ELi1ELin1ELb0ELc67ELc85EKPKS1_KPS1_EviT_PT9_S7_lS9_S7_lPT10_S7_li,comdat
	.globl	_ZL37rocblas_syrkx_herkx_restricted_kernelIi19rocblas_complex_numIfELi16ELi32ELi8ELi1ELin1ELb0ELc67ELc85EKPKS1_KPS1_EviT_PT9_S7_lS9_S7_lPT10_S7_li ; -- Begin function _ZL37rocblas_syrkx_herkx_restricted_kernelIi19rocblas_complex_numIfELi16ELi32ELi8ELi1ELin1ELb0ELc67ELc85EKPKS1_KPS1_EviT_PT9_S7_lS9_S7_lPT10_S7_li
	.p2align	8
	.type	_ZL37rocblas_syrkx_herkx_restricted_kernelIi19rocblas_complex_numIfELi16ELi32ELi8ELi1ELin1ELb0ELc67ELc85EKPKS1_KPS1_EviT_PT9_S7_lS9_S7_lPT10_S7_li,@function
_ZL37rocblas_syrkx_herkx_restricted_kernelIi19rocblas_complex_numIfELi16ELi32ELi8ELi1ELin1ELb0ELc67ELc85EKPKS1_KPS1_EviT_PT9_S7_lS9_S7_lPT10_S7_li: ; @_ZL37rocblas_syrkx_herkx_restricted_kernelIi19rocblas_complex_numIfELi16ELi32ELi8ELi1ELin1ELb0ELc67ELc85EKPKS1_KPS1_EviT_PT9_S7_lS9_S7_lPT10_S7_li
; %bb.0:
	s_clause 0x1
	s_load_b64 s[4:5], s[0:1], 0x38
	s_load_b64 s[2:3], s[0:1], 0x0
	s_mov_b32 s6, s15
	s_mov_b32 s7, 0
	v_dual_mov_b32 v17, 0 :: v_dual_and_b32 v6, 0x3ff, v0
	s_lshl_b64 s[8:9], s[6:7], 3
	v_bfe_u32 v7, v0, 10, 10
	v_dual_mov_b32 v16, 0 :: v_dual_mov_b32 v13, 0
	v_dual_mov_b32 v12, 0 :: v_dual_mov_b32 v9, 0
	;; [unrolled: 1-line block ×3, first 2 shown]
	v_mov_b32_e32 v8, 0
	s_waitcnt lgkmcnt(0)
	s_add_u32 s4, s4, s8
	s_addc_u32 s5, s5, s9
	s_lshl_b32 s6, s13, 5
	s_load_b64 s[4:5], s[4:5], 0x0
	s_lshl_b32 s10, s14, 5
	s_cmp_lt_i32 s3, 1
	s_cbranch_scc1 .LBB628_3
; %bb.1:
	s_clause 0x3
	s_load_b64 s[12:13], s[0:1], 0x8
	s_load_b64 s[14:15], s[0:1], 0x20
	s_load_b32 s11, s[0:1], 0x10
	s_load_b32 s16, s[0:1], 0x28
	v_lshl_add_u32 v2, v7, 4, v6
	v_dual_mov_b32 v1, 0 :: v_dual_and_b32 v0, 7, v6
	v_lshlrev_b32_e32 v10, 3, v6
	v_lshl_add_u32 v11, v7, 6, 0x800
	s_delay_alu instid0(VALU_DEP_4)
	v_and_b32_e32 v14, 31, v2
	v_lshrrev_b32_e32 v9, 3, v2
	v_lshrrev_b32_e32 v2, 5, v2
	v_mov_b32_e32 v3, v1
	v_mov_b32_e32 v16, v1
	v_add_nc_u32_e32 v8, s6, v14
	v_add_nc_u32_e32 v15, s10, v9
	v_mov_b32_e32 v17, v1
	s_waitcnt lgkmcnt(0)
	s_add_u32 s12, s12, s8
	s_addc_u32 s13, s13, s9
	s_add_u32 s8, s14, s8
	s_load_b64 s[12:13], s[12:13], 0x0
	s_addc_u32 s9, s15, s9
	v_mad_i64_i32 v[4:5], null, s11, v8, v[2:3]
	v_mov_b32_e32 v8, v1
	s_load_b64 s[8:9], s[8:9], 0x0
	v_lshlrev_b32_e32 v3, 3, v0
	v_mad_i64_i32 v[12:13], null, s16, v15, v[0:1]
	v_mov_b32_e32 v0, v1
	s_delay_alu instid0(VALU_DEP_3) | instskip(SKIP_3) | instid1(VALU_DEP_4)
	v_lshl_or_b32 v15, v9, 6, v3
	v_lshlrev_b64 v[3:4], 3, v[4:5]
	v_dual_mov_b32 v9, v1 :: v_dual_lshlrev_b32 v14, 3, v14
	v_lshlrev_b64 v[12:13], 3, v[12:13]
	v_add_nc_u32_e32 v15, 0x800, v15
	s_delay_alu instid0(VALU_DEP_3)
	v_lshl_or_b32 v14, v2, 8, v14
	s_waitcnt lgkmcnt(0)
	v_add_co_u32 v2, vcc_lo, v3, s12
	v_add_co_ci_u32_e32 v3, vcc_lo, s13, v4, vcc_lo
	v_add_co_u32 v4, vcc_lo, v12, s8
	v_mov_b32_e32 v12, v1
	v_add_co_ci_u32_e32 v5, vcc_lo, s9, v13, vcc_lo
	v_add_co_u32 v2, vcc_lo, v2, 4
	v_add_co_ci_u32_e32 v3, vcc_lo, 0, v3, vcc_lo
	v_add_co_u32 v4, vcc_lo, v4, 4
	s_delay_alu instid0(VALU_DEP_4)
	v_add_co_ci_u32_e32 v5, vcc_lo, 0, v5, vcc_lo
	v_mov_b32_e32 v13, v1
.LBB628_2:                              ; =>This Inner Loop Header: Depth=1
	global_load_b64 v[18:19], v[2:3], off offset:-4
	global_load_b64 v[20:21], v[4:5], off offset:-4
	v_add_co_u32 v2, vcc_lo, v2, 64
	v_add_co_ci_u32_e32 v3, vcc_lo, 0, v3, vcc_lo
	v_add_co_u32 v4, vcc_lo, v4, 64
	v_add_co_ci_u32_e32 v5, vcc_lo, 0, v5, vcc_lo
	s_add_i32 s7, s7, 8
	s_waitcnt vmcnt(1)
	ds_store_b64 v14, v[18:19]
	s_waitcnt vmcnt(0)
	ds_store_b64 v15, v[20:21]
	s_waitcnt lgkmcnt(0)
	s_barrier
	buffer_gl0_inv
	ds_load_2addr_b64 v[18:21], v10 offset1:16
	ds_load_b128 v[22:25], v11
	ds_load_b128 v[26:29], v11 offset:1024
	ds_load_b128 v[30:33], v11 offset:16
	ds_load_2addr_b64 v[34:37], v10 offset0:32 offset1:48
	ds_load_b128 v[38:41], v11 offset:32
	ds_load_b128 v[42:45], v11 offset:48
	ds_load_2addr_b64 v[46:49], v10 offset0:64 offset1:80
	ds_load_b128 v[50:53], v11 offset:1040
	ds_load_2addr_b64 v[54:57], v10 offset0:96 offset1:112
	ds_load_2addr_b64 v[58:61], v10 offset0:128 offset1:144
	;; [unrolled: 1-line block ×4, first 2 shown]
	ds_load_b128 v[70:73], v11 offset:1056
	ds_load_b128 v[74:77], v11 offset:1072
	ds_load_2addr_b64 v[78:81], v10 offset0:224 offset1:240
	s_cmp_ge_i32 s7, s3
	s_waitcnt lgkmcnt(0)
	s_barrier
	buffer_gl0_inv
	v_dual_mul_f32 v82, v23, v19 :: v_dual_mul_f32 v85, v22, v21
	v_dual_mul_f32 v83, v22, v19 :: v_dual_mul_f32 v84, v23, v21
	v_mul_f32_e32 v86, v27, v19
	v_dual_mul_f32 v19, v26, v19 :: v_dual_mul_f32 v90, v25, v37
	v_dual_mul_f32 v87, v27, v21 :: v_dual_mul_f32 v88, v25, v35
	v_mul_f32_e32 v21, v26, v21
	v_fma_f32 v82, v22, v18, -v82
	v_fmac_f32_e32 v83, v23, v18
	v_fma_f32 v22, v22, v20, -v84
	v_fmac_f32_e32 v85, v23, v20
	v_fma_f32 v23, v26, v18, -v86
	v_dual_fmac_f32 v19, v27, v18 :: v_dual_mul_f32 v86, v30, v47
	v_fma_f32 v18, v26, v20, -v87
	v_dual_fmac_f32 v21, v27, v20 :: v_dual_mul_f32 v20, v24, v37
	v_mul_f32_e32 v89, v24, v35
	v_mul_f32_e32 v26, v29, v35
	;; [unrolled: 1-line block ×4, first 2 shown]
	v_fmac_f32_e32 v20, v25, v36
	v_fmac_f32_e32 v89, v25, v34
	v_dual_mul_f32 v25, v28, v37 :: v_dual_fmac_f32 v86, v31, v46
	v_fma_f32 v84, v24, v34, -v88
	v_fma_f32 v24, v24, v36, -v90
	v_dual_mul_f32 v37, v31, v47 :: v_dual_mul_f32 v90, v33, v57
	v_fma_f32 v26, v28, v34, -v26
	v_fma_f32 v28, v28, v36, -v35
	v_fmac_f32_e32 v25, v29, v36
	v_dual_mul_f32 v35, v50, v47 :: v_dual_mul_f32 v36, v51, v49
	v_dual_fmac_f32 v27, v29, v34 :: v_dual_mul_f32 v34, v51, v47
	v_dual_mul_f32 v88, v32, v55 :: v_dual_mul_f32 v29, v30, v49
	v_mul_f32_e32 v87, v31, v49
	v_fma_f32 v37, v30, v46, -v37
	v_add_f32_e32 v16, v16, v82
	s_delay_alu instid0(VALU_DEP_4)
	v_dual_fmac_f32 v88, v33, v54 :: v_dual_fmac_f32 v29, v31, v48
	v_fma_f32 v31, v50, v46, -v34
	v_fma_f32 v34, v50, v48, -v36
	v_mul_f32_e32 v36, v32, v57
	v_mul_f32_e32 v47, v50, v49
	v_dual_mul_f32 v50, v53, v57 :: v_dual_fmac_f32 v35, v51, v46
	v_mul_f32_e32 v46, v53, v55
	v_mul_f32_e32 v49, v33, v55
	v_fma_f32 v30, v30, v48, -v87
	v_fmac_f32_e32 v36, v33, v56
	v_dual_fmac_f32 v47, v51, v48 :: v_dual_mul_f32 v48, v52, v55
	v_mul_f32_e32 v33, v52, v57
	v_fma_f32 v46, v52, v54, -v46
	v_fma_f32 v50, v52, v56, -v50
	v_mul_f32_e32 v52, v38, v61
	v_fma_f32 v49, v32, v54, -v49
	v_fma_f32 v32, v32, v56, -v90
	v_dual_mul_f32 v51, v39, v59 :: v_dual_fmac_f32 v48, v53, v54
	v_mul_f32_e32 v54, v70, v59
	v_dual_mul_f32 v55, v38, v59 :: v_dual_fmac_f32 v52, v39, v60
	v_fmac_f32_e32 v33, v53, v56
	v_mul_f32_e32 v53, v71, v59
	v_mul_f32_e32 v56, v71, v61
	;; [unrolled: 1-line block ×3, first 2 shown]
	v_fmac_f32_e32 v54, v71, v58
	v_fmac_f32_e32 v55, v39, v58
	v_fma_f32 v39, v70, v58, -v53
	v_fma_f32 v53, v70, v60, -v56
	v_mul_f32_e32 v56, v40, v65
	v_mul_f32_e32 v59, v70, v61
	v_fma_f32 v51, v38, v58, -v51
	v_mul_f32_e32 v58, v72, v63
	v_mul_f32_e32 v87, v40, v63
	;; [unrolled: 1-line block ×4, first 2 shown]
	v_fma_f32 v38, v38, v60, -v57
	v_mul_f32_e32 v57, v73, v63
	v_fmac_f32_e32 v56, v41, v64
	v_dual_fmac_f32 v59, v71, v60 :: v_dual_mul_f32 v60, v73, v65
	v_mul_f32_e32 v63, v43, v67
	v_mul_f32_e32 v70, v43, v69
	v_fmac_f32_e32 v58, v73, v62
	v_fmac_f32_e32 v87, v41, v62
	v_mul_f32_e32 v41, v72, v65
	v_fma_f32 v61, v40, v62, -v61
	v_fma_f32 v40, v40, v64, -v90
	v_mul_f32_e32 v65, v42, v67
	v_fma_f32 v57, v72, v62, -v57
	v_fma_f32 v60, v72, v64, -v60
	v_dual_fmac_f32 v41, v73, v64 :: v_dual_mul_f32 v62, v42, v69
	v_mul_f32_e32 v64, v75, v67
	v_fma_f32 v63, v42, v66, -v63
	v_fma_f32 v42, v42, v68, -v70
	v_mul_f32_e32 v70, v76, v79
	v_mul_f32_e32 v67, v74, v67
	;; [unrolled: 1-line block ×3, first 2 shown]
	v_dual_mul_f32 v69, v74, v69 :: v_dual_add_f32 v0, v0, v19
	v_mul_f32_e32 v73, v44, v79
	v_dual_fmac_f32 v65, v43, v66 :: v_dual_add_f32 v12, v12, v85
	v_fmac_f32_e32 v62, v43, v68
	v_fma_f32 v43, v74, v66, -v64
	v_fmac_f32_e32 v70, v77, v78
	v_dual_fmac_f32 v67, v75, v66 :: v_dual_add_f32 v16, v16, v84
	v_mul_f32_e32 v66, v44, v81
	v_mul_f32_e32 v72, v45, v79
	v_dual_mul_f32 v90, v45, v81 :: v_dual_fmac_f32 v69, v75, v68
	v_add_f32_e32 v8, v8, v18
	v_dual_fmac_f32 v73, v45, v78 :: v_dual_add_f32 v0, v0, v27
	v_dual_fmac_f32 v66, v45, v80 :: v_dual_mul_f32 v45, v76, v81
	v_fma_f32 v64, v74, v68, -v71
	v_dual_mul_f32 v71, v77, v81 :: v_dual_add_f32 v12, v12, v20
	v_dual_add_f32 v17, v17, v83 :: v_dual_add_f32 v8, v8, v28
	s_delay_alu instid0(VALU_DEP_4) | instskip(NEXT) | instid1(VALU_DEP_3)
	v_dual_fmac_f32 v45, v77, v80 :: v_dual_add_f32 v16, v16, v37
	v_dual_add_f32 v13, v13, v22 :: v_dual_add_f32 v12, v12, v29
	s_delay_alu instid0(VALU_DEP_3) | instskip(SKIP_1) | instid1(VALU_DEP_3)
	v_dual_add_f32 v9, v9, v23 :: v_dual_add_f32 v8, v8, v34
	v_dual_add_f32 v1, v1, v21 :: v_dual_add_f32 v0, v0, v35
	;; [unrolled: 1-line block ×3, first 2 shown]
	s_delay_alu instid0(VALU_DEP_4) | instskip(NEXT) | instid1(VALU_DEP_3)
	v_dual_add_f32 v13, v13, v24 :: v_dual_add_f32 v16, v16, v49
	v_dual_add_f32 v9, v9, v26 :: v_dual_add_f32 v0, v0, v48
	s_delay_alu instid0(VALU_DEP_4) | instskip(NEXT) | instid1(VALU_DEP_3)
	v_dual_add_f32 v1, v1, v25 :: v_dual_add_f32 v8, v8, v50
	v_dual_add_f32 v17, v17, v86 :: v_dual_add_f32 v16, v16, v51
	s_delay_alu instid0(VALU_DEP_4) | instskip(NEXT) | instid1(VALU_DEP_4)
	v_dual_add_f32 v13, v13, v30 :: v_dual_add_f32 v12, v12, v52
	v_dual_add_f32 v9, v9, v31 :: v_dual_add_f32 v0, v0, v54
	s_delay_alu instid0(VALU_DEP_4) | instskip(NEXT) | instid1(VALU_DEP_4)
	v_dual_add_f32 v1, v1, v47 :: v_dual_add_f32 v8, v8, v53
	v_dual_add_f32 v17, v17, v88 :: v_dual_add_f32 v16, v16, v61
	s_delay_alu instid0(VALU_DEP_3) | instskip(NEXT) | instid1(VALU_DEP_4)
	v_dual_add_f32 v13, v13, v32 :: v_dual_add_f32 v0, v0, v58
	v_dual_add_f32 v9, v9, v46 :: v_dual_add_f32 v12, v12, v56
	s_delay_alu instid0(VALU_DEP_4) | instskip(SKIP_1) | instid1(VALU_DEP_3)
	v_dual_add_f32 v1, v1, v33 :: v_dual_add_f32 v8, v8, v60
	v_fma_f32 v72, v44, v78, -v72
	v_dual_add_f32 v17, v17, v55 :: v_dual_add_f32 v12, v12, v62
	v_dual_add_f32 v13, v13, v38 :: v_dual_add_f32 v16, v16, v63
	s_delay_alu instid0(VALU_DEP_4) | instskip(SKIP_2) | instid1(VALU_DEP_4)
	v_dual_add_f32 v9, v9, v39 :: v_dual_add_f32 v8, v8, v64
	v_add_f32_e32 v1, v1, v59
	v_mul_f32_e32 v68, v77, v79
	v_add_f32_e32 v16, v16, v72
	v_fma_f32 v71, v76, v80, -v71
	v_dual_add_f32 v17, v17, v87 :: v_dual_add_f32 v12, v12, v66
	v_dual_add_f32 v13, v13, v40 :: v_dual_add_f32 v0, v0, v67
	v_add_f32_e32 v9, v9, v57
	s_delay_alu instid0(VALU_DEP_4)
	v_dual_add_f32 v1, v1, v41 :: v_dual_add_f32 v8, v8, v71
	v_fma_f32 v44, v44, v80, -v90
	v_fma_f32 v68, v76, v78, -v68
	v_add_f32_e32 v17, v17, v65
	v_add_f32_e32 v13, v13, v42
	v_dual_add_f32 v1, v1, v69 :: v_dual_add_f32 v0, v0, v70
	v_add_f32_e32 v9, v9, v43
	s_delay_alu instid0(VALU_DEP_4) | instskip(NEXT) | instid1(VALU_DEP_4)
	v_add_f32_e32 v17, v17, v73
	v_add_f32_e32 v13, v13, v44
	s_delay_alu instid0(VALU_DEP_4) | instskip(NEXT) | instid1(VALU_DEP_4)
	v_add_f32_e32 v1, v1, v45
	v_add_f32_e32 v9, v9, v68
	s_cbranch_scc0 .LBB628_2
.LBB628_3:
	s_load_b32 s3, s[0:1], 0x40
	v_add_nc_u32_e32 v7, s10, v7
	v_add_nc_u32_e32 v2, s6, v6
	s_delay_alu instid0(VALU_DEP_2) | instskip(NEXT) | instid1(VALU_DEP_2)
	v_cmp_gt_i32_e32 vcc_lo, s2, v7
	v_cmp_le_i32_e64 s0, v2, v7
	s_delay_alu instid0(VALU_DEP_1) | instskip(SKIP_2) | instid1(VALU_DEP_1)
	s_and_b32 s0, vcc_lo, s0
	s_waitcnt lgkmcnt(0)
	v_mad_i64_i32 v[3:4], null, v7, s3, 0
	v_lshlrev_b64 v[3:4], 3, v[3:4]
	s_delay_alu instid0(VALU_DEP_1) | instskip(NEXT) | instid1(VALU_DEP_1)
	v_add_co_u32 v6, s1, s4, v3
	v_add_co_ci_u32_e64 v10, s1, s5, v4, s1
	s_and_saveexec_b32 s1, s0
	s_cbranch_execz .LBB628_5
; %bb.4:
	v_ashrrev_i32_e32 v3, 31, v2
	s_delay_alu instid0(VALU_DEP_1) | instskip(NEXT) | instid1(VALU_DEP_1)
	v_lshlrev_b64 v[3:4], 3, v[2:3]
	v_add_co_u32 v3, s0, v6, v3
	s_delay_alu instid0(VALU_DEP_1)
	v_add_co_ci_u32_e64 v4, s0, v10, v4, s0
	global_load_b64 v[14:15], v[3:4], off
	s_waitcnt vmcnt(0)
	v_dual_sub_f32 v14, v16, v14 :: v_dual_sub_f32 v15, v17, v15
	global_store_b64 v[3:4], v[14:15], off
.LBB628_5:
	s_or_b32 exec_lo, exec_lo, s1
	v_add_nc_u32_e32 v4, 16, v2
	s_delay_alu instid0(VALU_DEP_1) | instskip(NEXT) | instid1(VALU_DEP_1)
	v_cmp_le_i32_e64 s0, v4, v7
	s_and_b32 s1, vcc_lo, s0
	s_delay_alu instid0(SALU_CYCLE_1)
	s_and_saveexec_b32 s0, s1
	s_cbranch_execz .LBB628_7
; %bb.6:
	v_ashrrev_i32_e32 v5, 31, v4
	s_delay_alu instid0(VALU_DEP_1) | instskip(NEXT) | instid1(VALU_DEP_1)
	v_lshlrev_b64 v[14:15], 3, v[4:5]
	v_add_co_u32 v5, vcc_lo, v6, v14
	s_delay_alu instid0(VALU_DEP_2)
	v_add_co_ci_u32_e32 v6, vcc_lo, v10, v15, vcc_lo
	global_load_b64 v[10:11], v[5:6], off
	s_waitcnt vmcnt(0)
	v_dual_sub_f32 v10, v13, v10 :: v_dual_sub_f32 v11, v12, v11
	global_store_b64 v[5:6], v[10:11], off
.LBB628_7:
	s_or_b32 exec_lo, exec_lo, s0
	v_add_nc_u32_e32 v5, 16, v7
	s_delay_alu instid0(VALU_DEP_1) | instskip(SKIP_2) | instid1(VALU_DEP_1)
	v_mad_i64_i32 v[6:7], null, v5, s3, 0
	v_cmp_gt_i32_e32 vcc_lo, s2, v5
	v_cmp_le_i32_e64 s0, v2, v5
	s_and_b32 s0, vcc_lo, s0
	s_delay_alu instid0(VALU_DEP_3) | instskip(NEXT) | instid1(VALU_DEP_1)
	v_lshlrev_b64 v[6:7], 3, v[6:7]
	v_add_co_u32 v6, s1, s4, v6
	s_delay_alu instid0(VALU_DEP_1)
	v_add_co_ci_u32_e64 v7, s1, s5, v7, s1
	s_and_saveexec_b32 s1, s0
	s_cbranch_execz .LBB628_9
; %bb.8:
	v_ashrrev_i32_e32 v3, 31, v2
	s_delay_alu instid0(VALU_DEP_1) | instskip(NEXT) | instid1(VALU_DEP_1)
	v_lshlrev_b64 v[2:3], 3, v[2:3]
	v_add_co_u32 v2, s0, v6, v2
	s_delay_alu instid0(VALU_DEP_1)
	v_add_co_ci_u32_e64 v3, s0, v7, v3, s0
	global_load_b64 v[10:11], v[2:3], off
	s_waitcnt vmcnt(0)
	v_dual_sub_f32 v9, v9, v10 :: v_dual_sub_f32 v10, v0, v11
	global_store_b64 v[2:3], v[9:10], off
.LBB628_9:
	s_or_b32 exec_lo, exec_lo, s1
	v_cmp_le_i32_e64 s0, v4, v5
	s_delay_alu instid0(VALU_DEP_1) | instskip(NEXT) | instid1(SALU_CYCLE_1)
	s_and_b32 s0, vcc_lo, s0
	s_and_saveexec_b32 s1, s0
	s_cbranch_execz .LBB628_11
; %bb.10:
	v_ashrrev_i32_e32 v5, 31, v4
	s_delay_alu instid0(VALU_DEP_1) | instskip(NEXT) | instid1(VALU_DEP_1)
	v_lshlrev_b64 v[2:3], 3, v[4:5]
	v_add_co_u32 v2, vcc_lo, v6, v2
	s_delay_alu instid0(VALU_DEP_2)
	v_add_co_ci_u32_e32 v3, vcc_lo, v7, v3, vcc_lo
	global_load_b64 v[4:5], v[2:3], off
	s_waitcnt vmcnt(0)
	v_dual_sub_f32 v0, v8, v4 :: v_dual_sub_f32 v1, v1, v5
	global_store_b64 v[2:3], v[0:1], off
.LBB628_11:
	s_nop 0
	s_sendmsg sendmsg(MSG_DEALLOC_VGPRS)
	s_endpgm
	.section	.rodata,"a",@progbits
	.p2align	6, 0x0
	.amdhsa_kernel _ZL37rocblas_syrkx_herkx_restricted_kernelIi19rocblas_complex_numIfELi16ELi32ELi8ELi1ELin1ELb0ELc67ELc85EKPKS1_KPS1_EviT_PT9_S7_lS9_S7_lPT10_S7_li
		.amdhsa_group_segment_fixed_size 4096
		.amdhsa_private_segment_fixed_size 0
		.amdhsa_kernarg_size 84
		.amdhsa_user_sgpr_count 13
		.amdhsa_user_sgpr_dispatch_ptr 0
		.amdhsa_user_sgpr_queue_ptr 0
		.amdhsa_user_sgpr_kernarg_segment_ptr 1
		.amdhsa_user_sgpr_dispatch_id 0
		.amdhsa_user_sgpr_private_segment_size 0
		.amdhsa_wavefront_size32 1
		.amdhsa_uses_dynamic_stack 0
		.amdhsa_enable_private_segment 0
		.amdhsa_system_sgpr_workgroup_id_x 1
		.amdhsa_system_sgpr_workgroup_id_y 1
		.amdhsa_system_sgpr_workgroup_id_z 1
		.amdhsa_system_sgpr_workgroup_info 0
		.amdhsa_system_vgpr_workitem_id 1
		.amdhsa_next_free_vgpr 91
		.amdhsa_next_free_sgpr 17
		.amdhsa_reserve_vcc 1
		.amdhsa_float_round_mode_32 0
		.amdhsa_float_round_mode_16_64 0
		.amdhsa_float_denorm_mode_32 3
		.amdhsa_float_denorm_mode_16_64 3
		.amdhsa_dx10_clamp 1
		.amdhsa_ieee_mode 1
		.amdhsa_fp16_overflow 0
		.amdhsa_workgroup_processor_mode 1
		.amdhsa_memory_ordered 1
		.amdhsa_forward_progress 0
		.amdhsa_shared_vgpr_count 0
		.amdhsa_exception_fp_ieee_invalid_op 0
		.amdhsa_exception_fp_denorm_src 0
		.amdhsa_exception_fp_ieee_div_zero 0
		.amdhsa_exception_fp_ieee_overflow 0
		.amdhsa_exception_fp_ieee_underflow 0
		.amdhsa_exception_fp_ieee_inexact 0
		.amdhsa_exception_int_div_zero 0
	.end_amdhsa_kernel
	.section	.text._ZL37rocblas_syrkx_herkx_restricted_kernelIi19rocblas_complex_numIfELi16ELi32ELi8ELi1ELin1ELb0ELc67ELc85EKPKS1_KPS1_EviT_PT9_S7_lS9_S7_lPT10_S7_li,"axG",@progbits,_ZL37rocblas_syrkx_herkx_restricted_kernelIi19rocblas_complex_numIfELi16ELi32ELi8ELi1ELin1ELb0ELc67ELc85EKPKS1_KPS1_EviT_PT9_S7_lS9_S7_lPT10_S7_li,comdat
.Lfunc_end628:
	.size	_ZL37rocblas_syrkx_herkx_restricted_kernelIi19rocblas_complex_numIfELi16ELi32ELi8ELi1ELin1ELb0ELc67ELc85EKPKS1_KPS1_EviT_PT9_S7_lS9_S7_lPT10_S7_li, .Lfunc_end628-_ZL37rocblas_syrkx_herkx_restricted_kernelIi19rocblas_complex_numIfELi16ELi32ELi8ELi1ELin1ELb0ELc67ELc85EKPKS1_KPS1_EviT_PT9_S7_lS9_S7_lPT10_S7_li
                                        ; -- End function
	.section	.AMDGPU.csdata,"",@progbits
; Kernel info:
; codeLenInByte = 2076
; NumSgprs: 19
; NumVgprs: 91
; ScratchSize: 0
; MemoryBound: 0
; FloatMode: 240
; IeeeMode: 1
; LDSByteSize: 4096 bytes/workgroup (compile time only)
; SGPRBlocks: 2
; VGPRBlocks: 11
; NumSGPRsForWavesPerEU: 19
; NumVGPRsForWavesPerEU: 91
; Occupancy: 16
; WaveLimiterHint : 1
; COMPUTE_PGM_RSRC2:SCRATCH_EN: 0
; COMPUTE_PGM_RSRC2:USER_SGPR: 13
; COMPUTE_PGM_RSRC2:TRAP_HANDLER: 0
; COMPUTE_PGM_RSRC2:TGID_X_EN: 1
; COMPUTE_PGM_RSRC2:TGID_Y_EN: 1
; COMPUTE_PGM_RSRC2:TGID_Z_EN: 1
; COMPUTE_PGM_RSRC2:TIDIG_COMP_CNT: 1
	.section	.text._ZL37rocblas_syrkx_herkx_restricted_kernelIi19rocblas_complex_numIfELi16ELi32ELi8ELi1ELin1ELb0ELc78ELc85EKPKS1_KPS1_EviT_PT9_S7_lS9_S7_lPT10_S7_li,"axG",@progbits,_ZL37rocblas_syrkx_herkx_restricted_kernelIi19rocblas_complex_numIfELi16ELi32ELi8ELi1ELin1ELb0ELc78ELc85EKPKS1_KPS1_EviT_PT9_S7_lS9_S7_lPT10_S7_li,comdat
	.globl	_ZL37rocblas_syrkx_herkx_restricted_kernelIi19rocblas_complex_numIfELi16ELi32ELi8ELi1ELin1ELb0ELc78ELc85EKPKS1_KPS1_EviT_PT9_S7_lS9_S7_lPT10_S7_li ; -- Begin function _ZL37rocblas_syrkx_herkx_restricted_kernelIi19rocblas_complex_numIfELi16ELi32ELi8ELi1ELin1ELb0ELc78ELc85EKPKS1_KPS1_EviT_PT9_S7_lS9_S7_lPT10_S7_li
	.p2align	8
	.type	_ZL37rocblas_syrkx_herkx_restricted_kernelIi19rocblas_complex_numIfELi16ELi32ELi8ELi1ELin1ELb0ELc78ELc85EKPKS1_KPS1_EviT_PT9_S7_lS9_S7_lPT10_S7_li,@function
_ZL37rocblas_syrkx_herkx_restricted_kernelIi19rocblas_complex_numIfELi16ELi32ELi8ELi1ELin1ELb0ELc78ELc85EKPKS1_KPS1_EviT_PT9_S7_lS9_S7_lPT10_S7_li: ; @_ZL37rocblas_syrkx_herkx_restricted_kernelIi19rocblas_complex_numIfELi16ELi32ELi8ELi1ELin1ELb0ELc78ELc85EKPKS1_KPS1_EviT_PT9_S7_lS9_S7_lPT10_S7_li
; %bb.0:
	s_clause 0x1
	s_load_b64 s[4:5], s[0:1], 0x38
	s_load_b64 s[2:3], s[0:1], 0x0
	s_mov_b32 s6, s15
	s_mov_b32 s7, 0
	v_dual_mov_b32 v17, 0 :: v_dual_and_b32 v4, 0x3ff, v0
	s_lshl_b64 s[8:9], s[6:7], 3
	v_bfe_u32 v5, v0, 10, 10
	v_dual_mov_b32 v16, 0 :: v_dual_mov_b32 v13, 0
	v_dual_mov_b32 v12, 0 :: v_dual_mov_b32 v9, 0
	;; [unrolled: 1-line block ×3, first 2 shown]
	v_mov_b32_e32 v6, 0
	s_waitcnt lgkmcnt(0)
	s_add_u32 s4, s4, s8
	s_addc_u32 s5, s5, s9
	s_lshl_b32 s6, s13, 5
	s_load_b64 s[4:5], s[4:5], 0x0
	s_lshl_b32 s12, s14, 5
	s_cmp_lt_i32 s3, 1
	s_cbranch_scc1 .LBB629_3
; %bb.1:
	s_clause 0x3
	s_load_b32 s10, s[0:1], 0x10
	s_load_b32 s14, s[0:1], 0x28
	s_load_b64 s[16:17], s[0:1], 0x8
	s_load_b64 s[18:19], s[0:1], 0x20
	v_lshl_add_u32 v0, v5, 4, v4
	v_and_b32_e32 v12, 7, v4
	v_lshlrev_b32_e32 v10, 3, v4
	v_lshl_add_u32 v11, v5, 6, 0x800
	s_delay_alu instid0(VALU_DEP_4) | instskip(SKIP_2) | instid1(VALU_DEP_3)
	v_dual_mov_b32 v16, 0 :: v_dual_and_b32 v9, 31, v0
	v_lshrrev_b32_e32 v6, 3, v0
	v_lshrrev_b32_e32 v13, 5, v0
	v_dual_mov_b32 v17, 0 :: v_dual_add_nc_u32 v2, s6, v9
	s_delay_alu instid0(VALU_DEP_3) | instskip(NEXT) | instid1(VALU_DEP_2)
	v_add_nc_u32_e32 v0, s12, v6
	v_ashrrev_i32_e32 v3, 31, v2
	s_waitcnt lgkmcnt(0)
	s_ashr_i32 s11, s10, 31
	s_ashr_i32 s15, s14, 31
	s_add_u32 s16, s16, s8
	s_addc_u32 s17, s17, s9
	s_add_u32 s8, s18, s8
	s_load_b64 s[16:17], s[16:17], 0x0
	s_addc_u32 s9, s19, s9
	v_ashrrev_i32_e32 v1, 31, v0
	s_load_b64 s[8:9], s[8:9], 0x0
	v_mad_i64_i32 v[7:8], null, s10, v13, v[2:3]
	s_delay_alu instid0(VALU_DEP_2) | instskip(NEXT) | instid1(VALU_DEP_2)
	v_mad_i64_i32 v[2:3], null, s14, v12, v[0:1]
	v_lshlrev_b64 v[0:1], 3, v[7:8]
	v_dual_mov_b32 v7, 0 :: v_dual_lshlrev_b32 v14, 3, v12
	s_delay_alu instid0(VALU_DEP_3) | instskip(SKIP_1) | instid1(VALU_DEP_3)
	v_lshlrev_b64 v[2:3], 3, v[2:3]
	v_mov_b32_e32 v8, 0
	v_lshl_or_b32 v12, v6, 6, v14
	s_waitcnt lgkmcnt(0)
	v_add_co_u32 v0, vcc_lo, v0, s16
	v_add_co_ci_u32_e32 v1, vcc_lo, s17, v1, vcc_lo
	v_add_co_u32 v2, vcc_lo, v2, s8
	v_add_co_ci_u32_e32 v3, vcc_lo, s9, v3, vcc_lo
	v_dual_mov_b32 v6, 0 :: v_dual_lshlrev_b32 v9, 3, v9
	v_add_co_u32 v0, vcc_lo, v0, 4
	v_add_co_ci_u32_e32 v1, vcc_lo, 0, v1, vcc_lo
	v_add_co_u32 v2, vcc_lo, v2, 4
	s_delay_alu instid0(VALU_DEP_4)
	v_lshl_or_b32 v14, v13, 8, v9
	v_dual_mov_b32 v12, 0 :: v_dual_add_nc_u32 v15, 0x800, v12
	v_add_co_ci_u32_e32 v3, vcc_lo, 0, v3, vcc_lo
	v_mov_b32_e32 v9, 0
	v_mov_b32_e32 v13, 0
	s_lshl_b64 s[8:9], s[10:11], 6
	s_lshl_b64 s[10:11], s[14:15], 6
.LBB629_2:                              ; =>This Inner Loop Header: Depth=1
	global_load_b64 v[18:19], v[0:1], off offset:-4
	global_load_b64 v[20:21], v[2:3], off offset:-4
	v_add_co_u32 v0, vcc_lo, v0, s8
	v_add_co_ci_u32_e32 v1, vcc_lo, s9, v1, vcc_lo
	v_add_co_u32 v2, vcc_lo, v2, s10
	v_add_co_ci_u32_e32 v3, vcc_lo, s11, v3, vcc_lo
	s_add_i32 s7, s7, 8
	s_waitcnt vmcnt(1)
	ds_store_b64 v14, v[18:19]
	s_waitcnt vmcnt(0)
	ds_store_b64 v15, v[20:21]
	s_waitcnt lgkmcnt(0)
	s_barrier
	buffer_gl0_inv
	ds_load_2addr_b64 v[18:21], v10 offset1:16
	ds_load_b128 v[22:25], v11
	ds_load_b128 v[26:29], v11 offset:1024
	ds_load_b128 v[30:33], v11 offset:16
	ds_load_2addr_b64 v[34:37], v10 offset0:32 offset1:48
	ds_load_b128 v[38:41], v11 offset:32
	ds_load_b128 v[42:45], v11 offset:48
	ds_load_2addr_b64 v[46:49], v10 offset0:64 offset1:80
	ds_load_b128 v[50:53], v11 offset:1040
	ds_load_2addr_b64 v[54:57], v10 offset0:96 offset1:112
	ds_load_2addr_b64 v[58:61], v10 offset0:128 offset1:144
	;; [unrolled: 1-line block ×4, first 2 shown]
	ds_load_b128 v[70:73], v11 offset:1056
	ds_load_b128 v[74:77], v11 offset:1072
	ds_load_2addr_b64 v[78:81], v10 offset0:224 offset1:240
	s_cmp_ge_i32 s7, s3
	s_waitcnt lgkmcnt(0)
	s_barrier
	buffer_gl0_inv
	v_dual_mul_f32 v82, v23, v19 :: v_dual_mul_f32 v85, v22, v21
	v_dual_mul_f32 v83, v22, v19 :: v_dual_mul_f32 v84, v23, v21
	v_mul_f32_e32 v86, v27, v19
	v_dual_mul_f32 v19, v26, v19 :: v_dual_mul_f32 v90, v25, v37
	v_dual_mul_f32 v87, v27, v21 :: v_dual_mul_f32 v88, v25, v35
	v_mul_f32_e32 v21, v26, v21
	v_mul_f32_e32 v89, v24, v35
	v_mul_f32_e32 v91, v24, v37
	v_fma_f32 v82, v22, v18, -v82
	v_fmac_f32_e32 v83, v23, v18
	v_fma_f32 v22, v22, v20, -v84
	v_dual_fmac_f32 v85, v23, v20 :: v_dual_mul_f32 v84, v30, v47
	v_fma_f32 v23, v26, v18, -v86
	v_fmac_f32_e32 v19, v27, v18
	v_fma_f32 v18, v26, v20, -v87
	v_dual_mul_f32 v26, v28, v35 :: v_dual_fmac_f32 v21, v27, v20
	v_mul_f32_e32 v20, v29, v35
	v_mul_f32_e32 v27, v29, v37
	v_dual_mul_f32 v35, v28, v37 :: v_dual_fmac_f32 v84, v31, v46
	v_fma_f32 v37, v24, v34, -v88
	v_fma_f32 v24, v24, v36, -v90
	v_dual_fmac_f32 v91, v25, v36 :: v_dual_mul_f32 v90, v32, v57
	v_dual_mul_f32 v86, v31, v49 :: v_dual_fmac_f32 v89, v25, v34
	v_dual_mul_f32 v25, v31, v47 :: v_dual_mul_f32 v88, v33, v57
	v_fma_f32 v20, v28, v34, -v20
	v_fmac_f32_e32 v26, v29, v34
	v_fma_f32 v27, v28, v36, -v27
	v_dual_fmac_f32 v35, v29, v36 :: v_dual_mul_f32 v28, v51, v47
	v_dual_mul_f32 v29, v50, v47 :: v_dual_mul_f32 v34, v51, v49
	v_mul_f32_e32 v36, v50, v49
	v_mul_f32_e32 v87, v30, v49
	;; [unrolled: 1-line block ×3, first 2 shown]
	v_dual_mul_f32 v49, v32, v55 :: v_dual_fmac_f32 v90, v33, v56
	v_fma_f32 v25, v30, v46, -v25
	v_fma_f32 v30, v30, v48, -v86
	;; [unrolled: 1-line block ×3, first 2 shown]
	v_fmac_f32_e32 v36, v51, v48
	v_fmac_f32_e32 v87, v31, v48
	v_fma_f32 v31, v50, v48, -v34
	v_mul_f32_e32 v34, v53, v55
	v_mul_f32_e32 v48, v53, v57
	v_dual_mul_f32 v50, v52, v57 :: v_dual_fmac_f32 v29, v51, v46
	v_mul_f32_e32 v46, v52, v55
	v_fma_f32 v47, v32, v54, -v47
	v_fmac_f32_e32 v49, v33, v54
	v_fma_f32 v32, v32, v56, -v88
	s_delay_alu instid0(VALU_DEP_4)
	v_dual_mul_f32 v33, v39, v59 :: v_dual_fmac_f32 v46, v53, v54
	v_mul_f32_e32 v51, v38, v59
	v_mul_f32_e32 v55, v39, v61
	v_fma_f32 v34, v52, v54, -v34
	v_fma_f32 v48, v52, v56, -v48
	v_fmac_f32_e32 v50, v53, v56
	v_mul_f32_e32 v52, v71, v59
	v_dual_mul_f32 v53, v70, v59 :: v_dual_mul_f32 v86, v41, v65
	v_mul_f32_e32 v54, v71, v61
	v_dual_mul_f32 v56, v70, v61 :: v_dual_mul_f32 v59, v41, v63
	v_mul_f32_e32 v57, v38, v61
	v_mul_f32_e32 v61, v40, v63
	v_dual_mul_f32 v88, v40, v65 :: v_dual_fmac_f32 v51, v39, v58
	v_fma_f32 v33, v38, v58, -v33
	v_fmac_f32_e32 v53, v71, v58
	v_fmac_f32_e32 v56, v71, v60
	s_delay_alu instid0(VALU_DEP_4)
	v_fmac_f32_e32 v88, v41, v64
	v_fmac_f32_e32 v57, v39, v60
	v_fma_f32 v39, v70, v58, -v52
	v_fma_f32 v52, v70, v60, -v54
	v_mul_f32_e32 v54, v73, v63
	v_fma_f32 v38, v38, v60, -v55
	v_mul_f32_e32 v60, v72, v65
	v_dual_mul_f32 v55, v72, v63 :: v_dual_mul_f32 v70, v42, v69
	v_mul_f32_e32 v58, v73, v65
	v_fma_f32 v59, v40, v62, -v59
	v_fmac_f32_e32 v61, v41, v62
	v_fma_f32 v40, v40, v64, -v86
	v_dual_mul_f32 v41, v43, v67 :: v_dual_fmac_f32 v60, v73, v64
	v_dual_mul_f32 v63, v42, v67 :: v_dual_mul_f32 v86, v44, v81
	v_mul_f32_e32 v65, v43, v69
	v_fma_f32 v54, v72, v62, -v54
	v_fmac_f32_e32 v55, v73, v62
	v_fma_f32 v58, v72, v64, -v58
	v_mul_f32_e32 v72, v44, v79
	v_mul_f32_e32 v62, v75, v67
	v_dual_mul_f32 v64, v74, v67 :: v_dual_mul_f32 v67, v75, v69
	v_dual_mul_f32 v69, v74, v69 :: v_dual_fmac_f32 v70, v43, v68
	s_delay_alu instid0(VALU_DEP_2)
	v_dual_mul_f32 v71, v45, v79 :: v_dual_fmac_f32 v64, v75, v66
	v_dual_mul_f32 v73, v45, v81 :: v_dual_add_f32 v16, v16, v82
	v_fma_f32 v41, v42, v66, -v41
	v_fmac_f32_e32 v63, v43, v66
	v_fma_f32 v42, v42, v68, -v65
	v_fma_f32 v43, v74, v66, -v62
	v_dual_mul_f32 v65, v77, v79 :: v_dual_add_f32 v12, v12, v85
	v_mul_f32_e32 v66, v76, v79
	v_fma_f32 v62, v74, v68, -v67
	v_dual_mul_f32 v67, v77, v81 :: v_dual_add_f32 v8, v8, v19
	v_dual_fmac_f32 v86, v45, v80 :: v_dual_add_f32 v7, v7, v18
	v_dual_add_f32 v17, v17, v83 :: v_dual_add_f32 v6, v6, v21
	v_dual_add_f32 v13, v13, v22 :: v_dual_add_f32 v16, v16, v37
	s_delay_alu instid0(VALU_DEP_4)
	v_dual_add_f32 v9, v9, v23 :: v_dual_add_f32 v8, v8, v26
	v_dual_fmac_f32 v69, v75, v68 :: v_dual_fmac_f32 v72, v45, v78
	v_mul_f32_e32 v68, v76, v81
	v_dual_fmac_f32 v66, v77, v78 :: v_dual_add_f32 v7, v7, v27
	v_dual_add_f32 v17, v17, v89 :: v_dual_add_f32 v12, v12, v91
	v_dual_add_f32 v13, v13, v24 :: v_dual_add_f32 v6, v6, v35
	;; [unrolled: 1-line block ×3, first 2 shown]
	s_delay_alu instid0(VALU_DEP_4) | instskip(NEXT) | instid1(VALU_DEP_4)
	v_dual_fmac_f32 v68, v77, v80 :: v_dual_add_f32 v7, v7, v31
	v_dual_add_f32 v17, v17, v84 :: v_dual_add_f32 v12, v12, v87
	s_delay_alu instid0(VALU_DEP_4) | instskip(NEXT) | instid1(VALU_DEP_4)
	v_dual_add_f32 v13, v13, v30 :: v_dual_add_f32 v8, v8, v29
	v_dual_add_f32 v9, v9, v28 :: v_dual_add_f32 v16, v16, v47
	s_delay_alu instid0(VALU_DEP_3) | instskip(NEXT) | instid1(VALU_DEP_3)
	v_dual_add_f32 v6, v6, v36 :: v_dual_add_f32 v17, v17, v49
	v_dual_add_f32 v13, v13, v32 :: v_dual_add_f32 v12, v12, v90
	s_delay_alu instid0(VALU_DEP_3) | instskip(SKIP_1) | instid1(VALU_DEP_4)
	v_dual_add_f32 v9, v9, v34 :: v_dual_add_f32 v16, v16, v33
	v_dual_add_f32 v8, v8, v46 :: v_dual_add_f32 v7, v7, v48
	;; [unrolled: 1-line block ×3, first 2 shown]
	s_delay_alu instid0(VALU_DEP_4) | instskip(NEXT) | instid1(VALU_DEP_3)
	v_dual_add_f32 v13, v13, v38 :: v_dual_add_f32 v12, v12, v57
	v_dual_add_f32 v9, v9, v39 :: v_dual_add_f32 v8, v8, v53
	s_delay_alu instid0(VALU_DEP_4) | instskip(NEXT) | instid1(VALU_DEP_4)
	v_dual_add_f32 v7, v7, v52 :: v_dual_add_f32 v16, v16, v59
	v_dual_add_f32 v6, v6, v56 :: v_dual_add_f32 v17, v17, v61
	s_delay_alu instid0(VALU_DEP_3) | instskip(NEXT) | instid1(VALU_DEP_4)
	v_dual_add_f32 v13, v13, v40 :: v_dual_add_f32 v8, v8, v55
	v_dual_add_f32 v12, v12, v88 :: v_dual_add_f32 v9, v9, v54
	s_delay_alu instid0(VALU_DEP_3)
	v_dual_add_f32 v7, v7, v58 :: v_dual_add_f32 v6, v6, v60
	v_fma_f32 v71, v44, v78, -v71
	v_fma_f32 v44, v44, v80, -v73
	;; [unrolled: 1-line block ×4, first 2 shown]
	v_dual_add_f32 v16, v16, v41 :: v_dual_add_f32 v17, v17, v63
	v_dual_add_f32 v13, v13, v42 :: v_dual_add_f32 v8, v8, v64
	;; [unrolled: 1-line block ×4, first 2 shown]
	s_delay_alu instid0(VALU_DEP_4) | instskip(NEXT) | instid1(VALU_DEP_3)
	v_dual_add_f32 v16, v16, v71 :: v_dual_add_f32 v17, v17, v72
	v_dual_add_f32 v13, v13, v44 :: v_dual_add_f32 v12, v12, v86
	s_delay_alu instid0(VALU_DEP_4) | instskip(NEXT) | instid1(VALU_DEP_4)
	v_dual_add_f32 v9, v9, v45 :: v_dual_add_f32 v8, v8, v66
	v_dual_add_f32 v7, v7, v65 :: v_dual_add_f32 v6, v6, v68
	s_cbranch_scc0 .LBB629_2
.LBB629_3:
	s_load_b32 s3, s[0:1], 0x40
	v_add_nc_u32_e32 v5, s12, v5
	v_add_nc_u32_e32 v0, s6, v4
	s_delay_alu instid0(VALU_DEP_2) | instskip(NEXT) | instid1(VALU_DEP_2)
	v_cmp_gt_i32_e32 vcc_lo, s2, v5
	v_cmp_le_i32_e64 s0, v0, v5
	s_delay_alu instid0(VALU_DEP_1) | instskip(SKIP_2) | instid1(VALU_DEP_1)
	s_and_b32 s0, vcc_lo, s0
	s_waitcnt lgkmcnt(0)
	v_mad_i64_i32 v[1:2], null, v5, s3, 0
	v_lshlrev_b64 v[1:2], 3, v[1:2]
	s_delay_alu instid0(VALU_DEP_1) | instskip(NEXT) | instid1(VALU_DEP_1)
	v_add_co_u32 v4, s1, s4, v1
	v_add_co_ci_u32_e64 v10, s1, s5, v2, s1
	s_and_saveexec_b32 s1, s0
	s_cbranch_execz .LBB629_5
; %bb.4:
	v_ashrrev_i32_e32 v1, 31, v0
	s_delay_alu instid0(VALU_DEP_1) | instskip(NEXT) | instid1(VALU_DEP_1)
	v_lshlrev_b64 v[1:2], 3, v[0:1]
	v_add_co_u32 v1, s0, v4, v1
	s_delay_alu instid0(VALU_DEP_1)
	v_add_co_ci_u32_e64 v2, s0, v10, v2, s0
	global_load_b64 v[14:15], v[1:2], off
	s_waitcnt vmcnt(0)
	v_dual_sub_f32 v14, v16, v14 :: v_dual_sub_f32 v15, v17, v15
	global_store_b64 v[1:2], v[14:15], off
.LBB629_5:
	s_or_b32 exec_lo, exec_lo, s1
	v_add_nc_u32_e32 v2, 16, v0
	s_delay_alu instid0(VALU_DEP_1) | instskip(NEXT) | instid1(VALU_DEP_1)
	v_cmp_le_i32_e64 s0, v2, v5
	s_and_b32 s1, vcc_lo, s0
	s_delay_alu instid0(SALU_CYCLE_1)
	s_and_saveexec_b32 s0, s1
	s_cbranch_execz .LBB629_7
; %bb.6:
	v_ashrrev_i32_e32 v3, 31, v2
	s_delay_alu instid0(VALU_DEP_1) | instskip(NEXT) | instid1(VALU_DEP_1)
	v_lshlrev_b64 v[14:15], 3, v[2:3]
	v_add_co_u32 v3, vcc_lo, v4, v14
	s_delay_alu instid0(VALU_DEP_2)
	v_add_co_ci_u32_e32 v4, vcc_lo, v10, v15, vcc_lo
	global_load_b64 v[10:11], v[3:4], off
	s_waitcnt vmcnt(0)
	v_dual_sub_f32 v10, v13, v10 :: v_dual_sub_f32 v11, v12, v11
	global_store_b64 v[3:4], v[10:11], off
.LBB629_7:
	s_or_b32 exec_lo, exec_lo, s0
	v_add_nc_u32_e32 v3, 16, v5
	s_delay_alu instid0(VALU_DEP_1) | instskip(SKIP_2) | instid1(VALU_DEP_1)
	v_mad_i64_i32 v[4:5], null, v3, s3, 0
	v_cmp_gt_i32_e32 vcc_lo, s2, v3
	v_cmp_le_i32_e64 s0, v0, v3
	s_and_b32 s0, vcc_lo, s0
	s_delay_alu instid0(VALU_DEP_3) | instskip(NEXT) | instid1(VALU_DEP_1)
	v_lshlrev_b64 v[4:5], 3, v[4:5]
	v_add_co_u32 v4, s1, s4, v4
	s_delay_alu instid0(VALU_DEP_1)
	v_add_co_ci_u32_e64 v5, s1, s5, v5, s1
	s_and_saveexec_b32 s1, s0
	s_cbranch_execz .LBB629_9
; %bb.8:
	v_ashrrev_i32_e32 v1, 31, v0
	s_delay_alu instid0(VALU_DEP_1) | instskip(NEXT) | instid1(VALU_DEP_1)
	v_lshlrev_b64 v[0:1], 3, v[0:1]
	v_add_co_u32 v0, s0, v4, v0
	s_delay_alu instid0(VALU_DEP_1)
	v_add_co_ci_u32_e64 v1, s0, v5, v1, s0
	global_load_b64 v[10:11], v[0:1], off
	s_waitcnt vmcnt(0)
	v_dual_sub_f32 v9, v9, v10 :: v_dual_sub_f32 v10, v8, v11
	global_store_b64 v[0:1], v[9:10], off
.LBB629_9:
	s_or_b32 exec_lo, exec_lo, s1
	v_cmp_le_i32_e64 s0, v2, v3
	s_delay_alu instid0(VALU_DEP_1) | instskip(NEXT) | instid1(SALU_CYCLE_1)
	s_and_b32 s0, vcc_lo, s0
	s_and_saveexec_b32 s1, s0
	s_cbranch_execz .LBB629_11
; %bb.10:
	v_ashrrev_i32_e32 v3, 31, v2
	s_delay_alu instid0(VALU_DEP_1) | instskip(NEXT) | instid1(VALU_DEP_1)
	v_lshlrev_b64 v[0:1], 3, v[2:3]
	v_add_co_u32 v0, vcc_lo, v4, v0
	s_delay_alu instid0(VALU_DEP_2)
	v_add_co_ci_u32_e32 v1, vcc_lo, v5, v1, vcc_lo
	global_load_b64 v[2:3], v[0:1], off
	s_waitcnt vmcnt(0)
	v_dual_sub_f32 v2, v7, v2 :: v_dual_sub_f32 v3, v6, v3
	global_store_b64 v[0:1], v[2:3], off
.LBB629_11:
	s_nop 0
	s_sendmsg sendmsg(MSG_DEALLOC_VGPRS)
	s_endpgm
	.section	.rodata,"a",@progbits
	.p2align	6, 0x0
	.amdhsa_kernel _ZL37rocblas_syrkx_herkx_restricted_kernelIi19rocblas_complex_numIfELi16ELi32ELi8ELi1ELin1ELb0ELc78ELc85EKPKS1_KPS1_EviT_PT9_S7_lS9_S7_lPT10_S7_li
		.amdhsa_group_segment_fixed_size 4096
		.amdhsa_private_segment_fixed_size 0
		.amdhsa_kernarg_size 84
		.amdhsa_user_sgpr_count 13
		.amdhsa_user_sgpr_dispatch_ptr 0
		.amdhsa_user_sgpr_queue_ptr 0
		.amdhsa_user_sgpr_kernarg_segment_ptr 1
		.amdhsa_user_sgpr_dispatch_id 0
		.amdhsa_user_sgpr_private_segment_size 0
		.amdhsa_wavefront_size32 1
		.amdhsa_uses_dynamic_stack 0
		.amdhsa_enable_private_segment 0
		.amdhsa_system_sgpr_workgroup_id_x 1
		.amdhsa_system_sgpr_workgroup_id_y 1
		.amdhsa_system_sgpr_workgroup_id_z 1
		.amdhsa_system_sgpr_workgroup_info 0
		.amdhsa_system_vgpr_workitem_id 1
		.amdhsa_next_free_vgpr 92
		.amdhsa_next_free_sgpr 20
		.amdhsa_reserve_vcc 1
		.amdhsa_float_round_mode_32 0
		.amdhsa_float_round_mode_16_64 0
		.amdhsa_float_denorm_mode_32 3
		.amdhsa_float_denorm_mode_16_64 3
		.amdhsa_dx10_clamp 1
		.amdhsa_ieee_mode 1
		.amdhsa_fp16_overflow 0
		.amdhsa_workgroup_processor_mode 1
		.amdhsa_memory_ordered 1
		.amdhsa_forward_progress 0
		.amdhsa_shared_vgpr_count 0
		.amdhsa_exception_fp_ieee_invalid_op 0
		.amdhsa_exception_fp_denorm_src 0
		.amdhsa_exception_fp_ieee_div_zero 0
		.amdhsa_exception_fp_ieee_overflow 0
		.amdhsa_exception_fp_ieee_underflow 0
		.amdhsa_exception_fp_ieee_inexact 0
		.amdhsa_exception_int_div_zero 0
	.end_amdhsa_kernel
	.section	.text._ZL37rocblas_syrkx_herkx_restricted_kernelIi19rocblas_complex_numIfELi16ELi32ELi8ELi1ELin1ELb0ELc78ELc85EKPKS1_KPS1_EviT_PT9_S7_lS9_S7_lPT10_S7_li,"axG",@progbits,_ZL37rocblas_syrkx_herkx_restricted_kernelIi19rocblas_complex_numIfELi16ELi32ELi8ELi1ELin1ELb0ELc78ELc85EKPKS1_KPS1_EviT_PT9_S7_lS9_S7_lPT10_S7_li,comdat
.Lfunc_end629:
	.size	_ZL37rocblas_syrkx_herkx_restricted_kernelIi19rocblas_complex_numIfELi16ELi32ELi8ELi1ELin1ELb0ELc78ELc85EKPKS1_KPS1_EviT_PT9_S7_lS9_S7_lPT10_S7_li, .Lfunc_end629-_ZL37rocblas_syrkx_herkx_restricted_kernelIi19rocblas_complex_numIfELi16ELi32ELi8ELi1ELin1ELb0ELc78ELc85EKPKS1_KPS1_EviT_PT9_S7_lS9_S7_lPT10_S7_li
                                        ; -- End function
	.section	.AMDGPU.csdata,"",@progbits
; Kernel info:
; codeLenInByte = 2104
; NumSgprs: 22
; NumVgprs: 92
; ScratchSize: 0
; MemoryBound: 0
; FloatMode: 240
; IeeeMode: 1
; LDSByteSize: 4096 bytes/workgroup (compile time only)
; SGPRBlocks: 2
; VGPRBlocks: 11
; NumSGPRsForWavesPerEU: 22
; NumVGPRsForWavesPerEU: 92
; Occupancy: 16
; WaveLimiterHint : 1
; COMPUTE_PGM_RSRC2:SCRATCH_EN: 0
; COMPUTE_PGM_RSRC2:USER_SGPR: 13
; COMPUTE_PGM_RSRC2:TRAP_HANDLER: 0
; COMPUTE_PGM_RSRC2:TGID_X_EN: 1
; COMPUTE_PGM_RSRC2:TGID_Y_EN: 1
; COMPUTE_PGM_RSRC2:TGID_Z_EN: 1
; COMPUTE_PGM_RSRC2:TIDIG_COMP_CNT: 1
	.section	.text._ZL37rocblas_syrkx_herkx_restricted_kernelIi19rocblas_complex_numIfELi16ELi32ELi8ELi1ELi0ELb0ELc84ELc76EKPKS1_KPS1_EviT_PT9_S7_lS9_S7_lPT10_S7_li,"axG",@progbits,_ZL37rocblas_syrkx_herkx_restricted_kernelIi19rocblas_complex_numIfELi16ELi32ELi8ELi1ELi0ELb0ELc84ELc76EKPKS1_KPS1_EviT_PT9_S7_lS9_S7_lPT10_S7_li,comdat
	.globl	_ZL37rocblas_syrkx_herkx_restricted_kernelIi19rocblas_complex_numIfELi16ELi32ELi8ELi1ELi0ELb0ELc84ELc76EKPKS1_KPS1_EviT_PT9_S7_lS9_S7_lPT10_S7_li ; -- Begin function _ZL37rocblas_syrkx_herkx_restricted_kernelIi19rocblas_complex_numIfELi16ELi32ELi8ELi1ELi0ELb0ELc84ELc76EKPKS1_KPS1_EviT_PT9_S7_lS9_S7_lPT10_S7_li
	.p2align	8
	.type	_ZL37rocblas_syrkx_herkx_restricted_kernelIi19rocblas_complex_numIfELi16ELi32ELi8ELi1ELi0ELb0ELc84ELc76EKPKS1_KPS1_EviT_PT9_S7_lS9_S7_lPT10_S7_li,@function
_ZL37rocblas_syrkx_herkx_restricted_kernelIi19rocblas_complex_numIfELi16ELi32ELi8ELi1ELi0ELb0ELc84ELc76EKPKS1_KPS1_EviT_PT9_S7_lS9_S7_lPT10_S7_li: ; @_ZL37rocblas_syrkx_herkx_restricted_kernelIi19rocblas_complex_numIfELi16ELi32ELi8ELi1ELi0ELb0ELc84ELc76EKPKS1_KPS1_EviT_PT9_S7_lS9_S7_lPT10_S7_li
; %bb.0:
	s_clause 0x1
	s_load_b64 s[2:3], s[0:1], 0x38
	s_load_b64 s[4:5], s[0:1], 0x0
	s_mov_b32 s6, s15
	s_mov_b32 s7, 0
	v_dual_mov_b32 v7, 0 :: v_dual_and_b32 v12, 0x3ff, v0
	s_lshl_b64 s[8:9], s[6:7], 3
	v_bfe_u32 v13, v0, 10, 10
	v_dual_mov_b32 v6, 0 :: v_dual_mov_b32 v5, 0
	v_dual_mov_b32 v4, 0 :: v_dual_mov_b32 v3, 0
	;; [unrolled: 1-line block ×3, first 2 shown]
	v_mov_b32_e32 v0, 0
	s_waitcnt lgkmcnt(0)
	s_add_u32 s2, s2, s8
	s_addc_u32 s3, s3, s9
	s_lshl_b32 s6, s13, 5
	s_load_b64 s[2:3], s[2:3], 0x0
	s_lshl_b32 s10, s14, 5
	s_cmp_lt_i32 s5, 1
	s_cbranch_scc1 .LBB630_3
; %bb.1:
	s_clause 0x3
	s_load_b64 s[12:13], s[0:1], 0x8
	s_load_b64 s[14:15], s[0:1], 0x20
	s_load_b32 s11, s[0:1], 0x10
	s_load_b32 s16, s[0:1], 0x28
	v_lshl_add_u32 v2, v13, 4, v12
	v_dual_mov_b32 v1, 0 :: v_dual_and_b32 v0, 7, v12
	v_lshlrev_b32_e32 v14, 3, v12
	v_lshl_add_u32 v15, v13, 6, 0x800
	s_delay_alu instid0(VALU_DEP_4) | instskip(SKIP_3) | instid1(VALU_DEP_4)
	v_and_b32_e32 v8, 31, v2
	v_lshrrev_b32_e32 v3, 3, v2
	v_lshrrev_b32_e32 v4, 5, v2
	v_dual_mov_b32 v5, v1 :: v_dual_lshlrev_b32 v2, 3, v0
	v_add_nc_u32_e32 v9, s6, v8
	s_delay_alu instid0(VALU_DEP_4)
	v_add_nc_u32_e32 v10, s10, v3
	v_lshlrev_b32_e32 v11, 3, v8
	s_waitcnt lgkmcnt(0)
	s_add_u32 s12, s12, s8
	s_addc_u32 s13, s13, s9
	s_add_u32 s8, s14, s8
	s_load_b64 s[12:13], s[12:13], 0x0
	s_addc_u32 s9, s15, s9
	v_mad_i64_i32 v[6:7], null, s11, v9, v[4:5]
	s_load_b64 s[8:9], s[8:9], 0x0
	v_mad_i64_i32 v[8:9], null, s16, v10, v[0:1]
	v_lshl_or_b32 v16, v4, 8, v11
	s_delay_alu instid0(VALU_DEP_3) | instskip(NEXT) | instid1(VALU_DEP_3)
	v_lshlrev_b64 v[5:6], 3, v[6:7]
	v_lshlrev_b64 v[7:8], 3, v[8:9]
	s_waitcnt lgkmcnt(0)
	s_delay_alu instid0(VALU_DEP_2) | instskip(NEXT) | instid1(VALU_DEP_3)
	v_add_co_u32 v4, vcc_lo, v5, s12
	v_add_co_ci_u32_e32 v5, vcc_lo, s13, v6, vcc_lo
	s_delay_alu instid0(VALU_DEP_3) | instskip(NEXT) | instid1(VALU_DEP_4)
	v_add_co_u32 v6, vcc_lo, v7, s8
	v_add_co_ci_u32_e32 v7, vcc_lo, s9, v8, vcc_lo
	s_delay_alu instid0(VALU_DEP_4) | instskip(NEXT) | instid1(VALU_DEP_4)
	v_add_co_u32 v8, vcc_lo, v4, 4
	v_add_co_ci_u32_e32 v9, vcc_lo, 0, v5, vcc_lo
	v_mov_b32_e32 v5, v1
	v_lshl_or_b32 v0, v3, 6, v2
	v_add_co_u32 v10, vcc_lo, v6, 4
	v_mov_b32_e32 v3, v1
	s_delay_alu instid0(VALU_DEP_3)
	v_dual_mov_b32 v2, v1 :: v_dual_add_nc_u32 v17, 0x800, v0
	v_mov_b32_e32 v4, v1
	v_mov_b32_e32 v0, v1
	v_add_co_ci_u32_e32 v11, vcc_lo, 0, v7, vcc_lo
	v_mov_b32_e32 v7, v1
	v_mov_b32_e32 v6, v1
.LBB630_2:                              ; =>This Inner Loop Header: Depth=1
	global_load_b64 v[18:19], v[8:9], off offset:-4
	global_load_b64 v[20:21], v[10:11], off offset:-4
	v_add_co_u32 v8, vcc_lo, v8, 64
	v_add_co_ci_u32_e32 v9, vcc_lo, 0, v9, vcc_lo
	v_add_co_u32 v10, vcc_lo, v10, 64
	v_add_co_ci_u32_e32 v11, vcc_lo, 0, v11, vcc_lo
	s_add_i32 s7, s7, 8
	s_waitcnt vmcnt(1)
	ds_store_b64 v16, v[18:19]
	s_waitcnt vmcnt(0)
	ds_store_b64 v17, v[20:21]
	s_waitcnt lgkmcnt(0)
	s_barrier
	buffer_gl0_inv
	ds_load_2addr_b64 v[18:21], v14 offset1:16
	ds_load_b128 v[22:25], v15
	ds_load_b128 v[26:29], v15 offset:1024
	ds_load_b128 v[30:33], v15 offset:16
	ds_load_2addr_b64 v[34:37], v14 offset0:32 offset1:48
	ds_load_b128 v[38:41], v15 offset:32
	ds_load_b128 v[42:45], v15 offset:48
	ds_load_2addr_b64 v[46:49], v14 offset0:64 offset1:80
	ds_load_b128 v[50:53], v15 offset:1040
	ds_load_2addr_b64 v[54:57], v14 offset0:96 offset1:112
	ds_load_2addr_b64 v[58:61], v14 offset0:128 offset1:144
	;; [unrolled: 1-line block ×4, first 2 shown]
	ds_load_b128 v[70:73], v15 offset:1056
	ds_load_b128 v[74:77], v15 offset:1072
	ds_load_2addr_b64 v[78:81], v14 offset0:224 offset1:240
	s_cmp_ge_i32 s7, s5
	s_waitcnt lgkmcnt(0)
	s_barrier
	buffer_gl0_inv
	v_dual_mul_f32 v82, v23, v19 :: v_dual_mul_f32 v85, v22, v21
	v_dual_mul_f32 v83, v22, v19 :: v_dual_mul_f32 v84, v23, v21
	v_mul_f32_e32 v86, v27, v19
	v_dual_mul_f32 v19, v26, v19 :: v_dual_mul_f32 v90, v25, v37
	v_dual_mul_f32 v87, v27, v21 :: v_dual_mul_f32 v88, v25, v35
	v_mul_f32_e32 v21, v26, v21
	v_mul_f32_e32 v89, v24, v35
	;; [unrolled: 1-line block ×3, first 2 shown]
	v_fma_f32 v82, v22, v18, -v82
	v_fmac_f32_e32 v83, v23, v18
	v_fma_f32 v22, v22, v20, -v84
	v_dual_fmac_f32 v85, v23, v20 :: v_dual_mul_f32 v84, v30, v47
	v_fma_f32 v23, v26, v18, -v86
	v_fmac_f32_e32 v19, v27, v18
	v_fma_f32 v18, v26, v20, -v87
	v_dual_mul_f32 v26, v28, v35 :: v_dual_fmac_f32 v21, v27, v20
	v_mul_f32_e32 v20, v29, v35
	v_mul_f32_e32 v27, v29, v37
	v_dual_mul_f32 v35, v28, v37 :: v_dual_fmac_f32 v84, v31, v46
	v_fma_f32 v37, v24, v34, -v88
	v_fma_f32 v24, v24, v36, -v90
	v_dual_fmac_f32 v91, v25, v36 :: v_dual_mul_f32 v90, v32, v57
	v_dual_mul_f32 v86, v31, v49 :: v_dual_fmac_f32 v89, v25, v34
	v_dual_mul_f32 v25, v31, v47 :: v_dual_mul_f32 v88, v33, v57
	v_fma_f32 v20, v28, v34, -v20
	v_fmac_f32_e32 v26, v29, v34
	v_fma_f32 v27, v28, v36, -v27
	v_dual_fmac_f32 v35, v29, v36 :: v_dual_mul_f32 v28, v51, v47
	v_dual_mul_f32 v29, v50, v47 :: v_dual_mul_f32 v34, v51, v49
	v_mul_f32_e32 v36, v50, v49
	v_mul_f32_e32 v87, v30, v49
	;; [unrolled: 1-line block ×3, first 2 shown]
	v_dual_mul_f32 v49, v32, v55 :: v_dual_fmac_f32 v90, v33, v56
	v_fma_f32 v25, v30, v46, -v25
	v_fma_f32 v30, v30, v48, -v86
	v_fma_f32 v28, v50, v46, -v28
	v_fmac_f32_e32 v36, v51, v48
	v_fmac_f32_e32 v87, v31, v48
	v_fma_f32 v31, v50, v48, -v34
	v_mul_f32_e32 v34, v53, v55
	v_mul_f32_e32 v48, v53, v57
	v_dual_mul_f32 v50, v52, v57 :: v_dual_fmac_f32 v29, v51, v46
	v_mul_f32_e32 v46, v52, v55
	v_fma_f32 v47, v32, v54, -v47
	v_fmac_f32_e32 v49, v33, v54
	v_fma_f32 v32, v32, v56, -v88
	s_delay_alu instid0(VALU_DEP_4)
	v_dual_mul_f32 v33, v39, v59 :: v_dual_fmac_f32 v46, v53, v54
	v_mul_f32_e32 v51, v38, v59
	v_mul_f32_e32 v55, v39, v61
	v_fma_f32 v34, v52, v54, -v34
	v_fma_f32 v48, v52, v56, -v48
	v_fmac_f32_e32 v50, v53, v56
	v_mul_f32_e32 v52, v71, v59
	v_dual_mul_f32 v53, v70, v59 :: v_dual_mul_f32 v86, v41, v65
	v_mul_f32_e32 v54, v71, v61
	v_dual_mul_f32 v56, v70, v61 :: v_dual_mul_f32 v59, v41, v63
	v_mul_f32_e32 v57, v38, v61
	v_mul_f32_e32 v61, v40, v63
	v_dual_mul_f32 v88, v40, v65 :: v_dual_fmac_f32 v51, v39, v58
	v_fma_f32 v33, v38, v58, -v33
	v_fmac_f32_e32 v53, v71, v58
	v_fmac_f32_e32 v56, v71, v60
	s_delay_alu instid0(VALU_DEP_4)
	v_fmac_f32_e32 v88, v41, v64
	v_fmac_f32_e32 v57, v39, v60
	v_fma_f32 v39, v70, v58, -v52
	v_fma_f32 v52, v70, v60, -v54
	v_mul_f32_e32 v54, v73, v63
	v_fma_f32 v38, v38, v60, -v55
	v_mul_f32_e32 v60, v72, v65
	v_dual_mul_f32 v55, v72, v63 :: v_dual_mul_f32 v70, v42, v69
	v_mul_f32_e32 v58, v73, v65
	v_fma_f32 v59, v40, v62, -v59
	v_fmac_f32_e32 v61, v41, v62
	v_fma_f32 v40, v40, v64, -v86
	v_dual_mul_f32 v41, v43, v67 :: v_dual_fmac_f32 v60, v73, v64
	v_dual_mul_f32 v63, v42, v67 :: v_dual_mul_f32 v86, v44, v81
	v_mul_f32_e32 v65, v43, v69
	v_fma_f32 v54, v72, v62, -v54
	v_fmac_f32_e32 v55, v73, v62
	v_fma_f32 v58, v72, v64, -v58
	v_mul_f32_e32 v72, v44, v79
	v_mul_f32_e32 v62, v75, v67
	v_dual_mul_f32 v64, v74, v67 :: v_dual_mul_f32 v67, v75, v69
	v_dual_mul_f32 v69, v74, v69 :: v_dual_fmac_f32 v70, v43, v68
	s_delay_alu instid0(VALU_DEP_2)
	v_dual_mul_f32 v71, v45, v79 :: v_dual_fmac_f32 v64, v75, v66
	v_fma_f32 v41, v42, v66, -v41
	v_fmac_f32_e32 v63, v43, v66
	v_fma_f32 v43, v74, v66, -v62
	v_dual_mul_f32 v66, v76, v79 :: v_dual_mul_f32 v73, v45, v81
	v_add_f32_e32 v6, v6, v82
	v_fma_f32 v42, v42, v68, -v65
	v_fma_f32 v62, v74, v68, -v67
	v_dual_fmac_f32 v69, v75, v68 :: v_dual_fmac_f32 v72, v45, v78
	v_dual_mul_f32 v65, v77, v79 :: v_dual_add_f32 v4, v4, v22
	v_dual_mul_f32 v67, v77, v81 :: v_dual_add_f32 v2, v2, v23
	v_mul_f32_e32 v68, v76, v81
	v_dual_fmac_f32 v86, v45, v80 :: v_dual_add_f32 v7, v7, v83
	v_dual_fmac_f32 v66, v77, v78 :: v_dual_add_f32 v3, v3, v19
	v_dual_add_f32 v5, v5, v85 :: v_dual_add_f32 v0, v0, v18
	v_dual_add_f32 v1, v1, v21 :: v_dual_add_f32 v4, v4, v24
	s_delay_alu instid0(VALU_DEP_4) | instskip(NEXT) | instid1(VALU_DEP_3)
	v_dual_fmac_f32 v68, v77, v80 :: v_dual_add_f32 v7, v7, v89
	v_dual_add_f32 v6, v6, v37 :: v_dual_add_f32 v5, v5, v91
	v_dual_add_f32 v2, v2, v20 :: v_dual_add_f32 v3, v3, v26
	s_delay_alu instid0(VALU_DEP_3) | instskip(NEXT) | instid1(VALU_DEP_3)
	v_dual_add_f32 v0, v0, v27 :: v_dual_add_f32 v7, v7, v84
	v_dual_add_f32 v1, v1, v35 :: v_dual_add_f32 v6, v6, v25
	s_delay_alu instid0(VALU_DEP_4) | instskip(NEXT) | instid1(VALU_DEP_4)
	v_dual_add_f32 v4, v4, v30 :: v_dual_add_f32 v5, v5, v87
	v_dual_add_f32 v2, v2, v28 :: v_dual_add_f32 v3, v3, v29
	s_delay_alu instid0(VALU_DEP_3) | instskip(NEXT) | instid1(VALU_DEP_4)
	v_dual_add_f32 v0, v0, v31 :: v_dual_add_f32 v1, v1, v36
	v_dual_add_f32 v6, v6, v47 :: v_dual_add_f32 v7, v7, v49
	s_delay_alu instid0(VALU_DEP_4) | instskip(NEXT) | instid1(VALU_DEP_4)
	v_dual_add_f32 v4, v4, v32 :: v_dual_add_f32 v5, v5, v90
	v_add_f32_e32 v2, v2, v34
	s_delay_alu instid0(VALU_DEP_4) | instskip(NEXT) | instid1(VALU_DEP_4)
	v_dual_add_f32 v3, v3, v46 :: v_dual_add_f32 v0, v0, v48
	v_dual_add_f32 v1, v1, v50 :: v_dual_add_f32 v6, v6, v33
	s_delay_alu instid0(VALU_DEP_4) | instskip(NEXT) | instid1(VALU_DEP_4)
	v_dual_add_f32 v7, v7, v51 :: v_dual_add_f32 v4, v4, v38
	v_dual_add_f32 v5, v5, v57 :: v_dual_add_f32 v2, v2, v39
	s_delay_alu instid0(VALU_DEP_4) | instskip(NEXT) | instid1(VALU_DEP_3)
	v_dual_add_f32 v3, v3, v53 :: v_dual_add_f32 v0, v0, v52
	v_add_f32_e32 v7, v7, v61
	v_dual_add_f32 v1, v1, v56 :: v_dual_add_f32 v6, v6, v59
	s_delay_alu instid0(VALU_DEP_3) | instskip(SKIP_1) | instid1(VALU_DEP_3)
	v_dual_add_f32 v4, v4, v40 :: v_dual_add_f32 v3, v3, v55
	v_dual_add_f32 v5, v5, v88 :: v_dual_add_f32 v2, v2, v54
	;; [unrolled: 1-line block ×3, first 2 shown]
	v_fma_f32 v71, v44, v78, -v71
	v_fma_f32 v44, v44, v80, -v73
	;; [unrolled: 1-line block ×4, first 2 shown]
	v_dual_add_f32 v6, v6, v41 :: v_dual_add_f32 v7, v7, v63
	v_dual_add_f32 v4, v4, v42 :: v_dual_add_f32 v3, v3, v64
	;; [unrolled: 1-line block ×4, first 2 shown]
	s_delay_alu instid0(VALU_DEP_4) | instskip(NEXT) | instid1(VALU_DEP_3)
	v_dual_add_f32 v6, v6, v71 :: v_dual_add_f32 v7, v7, v72
	v_dual_add_f32 v4, v4, v44 :: v_dual_add_f32 v5, v5, v86
	s_delay_alu instid0(VALU_DEP_4) | instskip(NEXT) | instid1(VALU_DEP_4)
	v_dual_add_f32 v2, v2, v45 :: v_dual_add_f32 v3, v3, v66
	v_dual_add_f32 v0, v0, v65 :: v_dual_add_f32 v1, v1, v68
	s_cbranch_scc0 .LBB630_2
.LBB630_3:
	s_load_b32 s5, s[0:1], 0x40
	v_add_nc_u32_e32 v10, s10, v13
	v_add_nc_u32_e32 v8, s6, v12
	s_delay_alu instid0(VALU_DEP_1) | instskip(SKIP_1) | instid1(VALU_DEP_2)
	v_cmp_le_i32_e64 s0, v10, v8
	v_cmp_gt_i32_e32 vcc_lo, s4, v8
	s_and_b32 s0, s0, vcc_lo
	s_waitcnt lgkmcnt(0)
	v_mad_i64_i32 v[13:14], null, v10, s5, 0
	s_delay_alu instid0(VALU_DEP_1) | instskip(NEXT) | instid1(VALU_DEP_1)
	v_lshlrev_b64 v[11:12], 3, v[13:14]
	v_add_co_u32 v11, s1, s2, v11
	s_delay_alu instid0(VALU_DEP_1)
	v_add_co_ci_u32_e64 v12, s1, s3, v12, s1
	s_and_saveexec_b32 s1, s0
	s_cbranch_execz .LBB630_5
; %bb.4:
	v_ashrrev_i32_e32 v9, 31, v8
	s_delay_alu instid0(VALU_DEP_1) | instskip(NEXT) | instid1(VALU_DEP_1)
	v_lshlrev_b64 v[13:14], 3, v[8:9]
	v_add_co_u32 v13, s0, v11, v13
	s_delay_alu instid0(VALU_DEP_1)
	v_add_co_ci_u32_e64 v14, s0, v12, v14, s0
	global_store_b64 v[13:14], v[6:7], off
.LBB630_5:
	s_or_b32 exec_lo, exec_lo, s1
	v_add_nc_u32_e32 v6, 16, v8
	s_delay_alu instid0(VALU_DEP_1) | instskip(SKIP_1) | instid1(VALU_DEP_1)
	v_cmp_le_i32_e64 s1, v10, v6
	v_cmp_gt_i32_e64 s0, s4, v6
	s_and_b32 s1, s1, s0
	s_delay_alu instid0(SALU_CYCLE_1)
	s_and_saveexec_b32 s4, s1
	s_cbranch_execz .LBB630_7
; %bb.6:
	v_ashrrev_i32_e32 v7, 31, v6
	s_delay_alu instid0(VALU_DEP_1) | instskip(NEXT) | instid1(VALU_DEP_1)
	v_lshlrev_b64 v[13:14], 3, v[6:7]
	v_add_co_u32 v11, s1, v11, v13
	s_delay_alu instid0(VALU_DEP_1)
	v_add_co_ci_u32_e64 v12, s1, v12, v14, s1
	global_store_b64 v[11:12], v[4:5], off
.LBB630_7:
	s_or_b32 exec_lo, exec_lo, s4
	v_add_nc_u32_e32 v7, 16, v10
	s_delay_alu instid0(VALU_DEP_1) | instskip(SKIP_1) | instid1(VALU_DEP_2)
	v_mad_i64_i32 v[4:5], null, v7, s5, 0
	v_cmp_le_i32_e64 s1, v7, v8
	v_lshlrev_b64 v[4:5], 3, v[4:5]
	s_delay_alu instid0(VALU_DEP_1) | instskip(NEXT) | instid1(VALU_DEP_1)
	v_add_co_u32 v4, s2, s2, v4
	v_add_co_ci_u32_e64 v5, s2, s3, v5, s2
	s_delay_alu instid0(VALU_DEP_4) | instskip(NEXT) | instid1(SALU_CYCLE_1)
	s_and_b32 s2, s1, vcc_lo
	s_and_saveexec_b32 s1, s2
	s_cbranch_execz .LBB630_9
; %bb.8:
	v_ashrrev_i32_e32 v9, 31, v8
	s_delay_alu instid0(VALU_DEP_1) | instskip(NEXT) | instid1(VALU_DEP_1)
	v_lshlrev_b64 v[8:9], 3, v[8:9]
	v_add_co_u32 v8, vcc_lo, v4, v8
	s_delay_alu instid0(VALU_DEP_2)
	v_add_co_ci_u32_e32 v9, vcc_lo, v5, v9, vcc_lo
	global_store_b64 v[8:9], v[2:3], off
.LBB630_9:
	s_or_b32 exec_lo, exec_lo, s1
	v_cmp_le_i32_e32 vcc_lo, v7, v6
	s_and_b32 s0, vcc_lo, s0
	s_delay_alu instid0(SALU_CYCLE_1)
	s_and_saveexec_b32 s1, s0
	s_cbranch_execz .LBB630_11
; %bb.10:
	v_ashrrev_i32_e32 v7, 31, v6
	s_delay_alu instid0(VALU_DEP_1) | instskip(NEXT) | instid1(VALU_DEP_1)
	v_lshlrev_b64 v[2:3], 3, v[6:7]
	v_add_co_u32 v2, vcc_lo, v4, v2
	s_delay_alu instid0(VALU_DEP_2)
	v_add_co_ci_u32_e32 v3, vcc_lo, v5, v3, vcc_lo
	global_store_b64 v[2:3], v[0:1], off
.LBB630_11:
	s_nop 0
	s_sendmsg sendmsg(MSG_DEALLOC_VGPRS)
	s_endpgm
	.section	.rodata,"a",@progbits
	.p2align	6, 0x0
	.amdhsa_kernel _ZL37rocblas_syrkx_herkx_restricted_kernelIi19rocblas_complex_numIfELi16ELi32ELi8ELi1ELi0ELb0ELc84ELc76EKPKS1_KPS1_EviT_PT9_S7_lS9_S7_lPT10_S7_li
		.amdhsa_group_segment_fixed_size 4096
		.amdhsa_private_segment_fixed_size 0
		.amdhsa_kernarg_size 84
		.amdhsa_user_sgpr_count 13
		.amdhsa_user_sgpr_dispatch_ptr 0
		.amdhsa_user_sgpr_queue_ptr 0
		.amdhsa_user_sgpr_kernarg_segment_ptr 1
		.amdhsa_user_sgpr_dispatch_id 0
		.amdhsa_user_sgpr_private_segment_size 0
		.amdhsa_wavefront_size32 1
		.amdhsa_uses_dynamic_stack 0
		.amdhsa_enable_private_segment 0
		.amdhsa_system_sgpr_workgroup_id_x 1
		.amdhsa_system_sgpr_workgroup_id_y 1
		.amdhsa_system_sgpr_workgroup_id_z 1
		.amdhsa_system_sgpr_workgroup_info 0
		.amdhsa_system_vgpr_workitem_id 1
		.amdhsa_next_free_vgpr 92
		.amdhsa_next_free_sgpr 17
		.amdhsa_reserve_vcc 1
		.amdhsa_float_round_mode_32 0
		.amdhsa_float_round_mode_16_64 0
		.amdhsa_float_denorm_mode_32 3
		.amdhsa_float_denorm_mode_16_64 3
		.amdhsa_dx10_clamp 1
		.amdhsa_ieee_mode 1
		.amdhsa_fp16_overflow 0
		.amdhsa_workgroup_processor_mode 1
		.amdhsa_memory_ordered 1
		.amdhsa_forward_progress 0
		.amdhsa_shared_vgpr_count 0
		.amdhsa_exception_fp_ieee_invalid_op 0
		.amdhsa_exception_fp_denorm_src 0
		.amdhsa_exception_fp_ieee_div_zero 0
		.amdhsa_exception_fp_ieee_overflow 0
		.amdhsa_exception_fp_ieee_underflow 0
		.amdhsa_exception_fp_ieee_inexact 0
		.amdhsa_exception_int_div_zero 0
	.end_amdhsa_kernel
	.section	.text._ZL37rocblas_syrkx_herkx_restricted_kernelIi19rocblas_complex_numIfELi16ELi32ELi8ELi1ELi0ELb0ELc84ELc76EKPKS1_KPS1_EviT_PT9_S7_lS9_S7_lPT10_S7_li,"axG",@progbits,_ZL37rocblas_syrkx_herkx_restricted_kernelIi19rocblas_complex_numIfELi16ELi32ELi8ELi1ELi0ELb0ELc84ELc76EKPKS1_KPS1_EviT_PT9_S7_lS9_S7_lPT10_S7_li,comdat
.Lfunc_end630:
	.size	_ZL37rocblas_syrkx_herkx_restricted_kernelIi19rocblas_complex_numIfELi16ELi32ELi8ELi1ELi0ELb0ELc84ELc76EKPKS1_KPS1_EviT_PT9_S7_lS9_S7_lPT10_S7_li, .Lfunc_end630-_ZL37rocblas_syrkx_herkx_restricted_kernelIi19rocblas_complex_numIfELi16ELi32ELi8ELi1ELi0ELb0ELc84ELc76EKPKS1_KPS1_EviT_PT9_S7_lS9_S7_lPT10_S7_li
                                        ; -- End function
	.section	.AMDGPU.csdata,"",@progbits
; Kernel info:
; codeLenInByte = 2012
; NumSgprs: 19
; NumVgprs: 92
; ScratchSize: 0
; MemoryBound: 0
; FloatMode: 240
; IeeeMode: 1
; LDSByteSize: 4096 bytes/workgroup (compile time only)
; SGPRBlocks: 2
; VGPRBlocks: 11
; NumSGPRsForWavesPerEU: 19
; NumVGPRsForWavesPerEU: 92
; Occupancy: 16
; WaveLimiterHint : 1
; COMPUTE_PGM_RSRC2:SCRATCH_EN: 0
; COMPUTE_PGM_RSRC2:USER_SGPR: 13
; COMPUTE_PGM_RSRC2:TRAP_HANDLER: 0
; COMPUTE_PGM_RSRC2:TGID_X_EN: 1
; COMPUTE_PGM_RSRC2:TGID_Y_EN: 1
; COMPUTE_PGM_RSRC2:TGID_Z_EN: 1
; COMPUTE_PGM_RSRC2:TIDIG_COMP_CNT: 1
	.section	.text._ZL37rocblas_syrkx_herkx_restricted_kernelIi19rocblas_complex_numIfELi16ELi32ELi8ELi1ELi0ELb0ELc67ELc76EKPKS1_KPS1_EviT_PT9_S7_lS9_S7_lPT10_S7_li,"axG",@progbits,_ZL37rocblas_syrkx_herkx_restricted_kernelIi19rocblas_complex_numIfELi16ELi32ELi8ELi1ELi0ELb0ELc67ELc76EKPKS1_KPS1_EviT_PT9_S7_lS9_S7_lPT10_S7_li,comdat
	.globl	_ZL37rocblas_syrkx_herkx_restricted_kernelIi19rocblas_complex_numIfELi16ELi32ELi8ELi1ELi0ELb0ELc67ELc76EKPKS1_KPS1_EviT_PT9_S7_lS9_S7_lPT10_S7_li ; -- Begin function _ZL37rocblas_syrkx_herkx_restricted_kernelIi19rocblas_complex_numIfELi16ELi32ELi8ELi1ELi0ELb0ELc67ELc76EKPKS1_KPS1_EviT_PT9_S7_lS9_S7_lPT10_S7_li
	.p2align	8
	.type	_ZL37rocblas_syrkx_herkx_restricted_kernelIi19rocblas_complex_numIfELi16ELi32ELi8ELi1ELi0ELb0ELc67ELc76EKPKS1_KPS1_EviT_PT9_S7_lS9_S7_lPT10_S7_li,@function
_ZL37rocblas_syrkx_herkx_restricted_kernelIi19rocblas_complex_numIfELi16ELi32ELi8ELi1ELi0ELb0ELc67ELc76EKPKS1_KPS1_EviT_PT9_S7_lS9_S7_lPT10_S7_li: ; @_ZL37rocblas_syrkx_herkx_restricted_kernelIi19rocblas_complex_numIfELi16ELi32ELi8ELi1ELi0ELb0ELc67ELc76EKPKS1_KPS1_EviT_PT9_S7_lS9_S7_lPT10_S7_li
; %bb.0:
	s_clause 0x1
	s_load_b64 s[2:3], s[0:1], 0x38
	s_load_b64 s[4:5], s[0:1], 0x0
	s_mov_b32 s6, s15
	s_mov_b32 s7, 0
	v_dual_mov_b32 v7, 0 :: v_dual_and_b32 v12, 0x3ff, v0
	s_lshl_b64 s[8:9], s[6:7], 3
	v_bfe_u32 v13, v0, 10, 10
	v_dual_mov_b32 v6, 0 :: v_dual_mov_b32 v5, 0
	v_dual_mov_b32 v4, 0 :: v_dual_mov_b32 v3, 0
	;; [unrolled: 1-line block ×3, first 2 shown]
	v_mov_b32_e32 v0, 0
	s_waitcnt lgkmcnt(0)
	s_add_u32 s2, s2, s8
	s_addc_u32 s3, s3, s9
	s_lshl_b32 s6, s13, 5
	s_load_b64 s[2:3], s[2:3], 0x0
	s_lshl_b32 s10, s14, 5
	s_cmp_lt_i32 s5, 1
	s_cbranch_scc1 .LBB631_3
; %bb.1:
	s_clause 0x3
	s_load_b64 s[12:13], s[0:1], 0x8
	s_load_b64 s[14:15], s[0:1], 0x20
	s_load_b32 s11, s[0:1], 0x10
	s_load_b32 s16, s[0:1], 0x28
	v_lshl_add_u32 v2, v13, 4, v12
	v_dual_mov_b32 v1, 0 :: v_dual_and_b32 v0, 7, v12
	v_lshlrev_b32_e32 v14, 3, v12
	v_lshl_add_u32 v15, v13, 6, 0x800
	s_delay_alu instid0(VALU_DEP_4) | instskip(SKIP_3) | instid1(VALU_DEP_4)
	v_and_b32_e32 v8, 31, v2
	v_lshrrev_b32_e32 v3, 3, v2
	v_lshrrev_b32_e32 v4, 5, v2
	v_dual_mov_b32 v5, v1 :: v_dual_lshlrev_b32 v2, 3, v0
	v_add_nc_u32_e32 v9, s6, v8
	s_delay_alu instid0(VALU_DEP_4)
	v_add_nc_u32_e32 v10, s10, v3
	v_lshlrev_b32_e32 v11, 3, v8
	s_waitcnt lgkmcnt(0)
	s_add_u32 s12, s12, s8
	s_addc_u32 s13, s13, s9
	s_add_u32 s8, s14, s8
	s_load_b64 s[12:13], s[12:13], 0x0
	s_addc_u32 s9, s15, s9
	v_mad_i64_i32 v[6:7], null, s11, v9, v[4:5]
	s_load_b64 s[8:9], s[8:9], 0x0
	v_mad_i64_i32 v[8:9], null, s16, v10, v[0:1]
	v_lshl_or_b32 v16, v4, 8, v11
	s_delay_alu instid0(VALU_DEP_3) | instskip(NEXT) | instid1(VALU_DEP_3)
	v_lshlrev_b64 v[5:6], 3, v[6:7]
	v_lshlrev_b64 v[7:8], 3, v[8:9]
	s_waitcnt lgkmcnt(0)
	s_delay_alu instid0(VALU_DEP_2) | instskip(NEXT) | instid1(VALU_DEP_3)
	v_add_co_u32 v4, vcc_lo, v5, s12
	v_add_co_ci_u32_e32 v5, vcc_lo, s13, v6, vcc_lo
	s_delay_alu instid0(VALU_DEP_3) | instskip(NEXT) | instid1(VALU_DEP_4)
	v_add_co_u32 v6, vcc_lo, v7, s8
	v_add_co_ci_u32_e32 v7, vcc_lo, s9, v8, vcc_lo
	s_delay_alu instid0(VALU_DEP_4) | instskip(NEXT) | instid1(VALU_DEP_4)
	v_add_co_u32 v8, vcc_lo, v4, 4
	v_add_co_ci_u32_e32 v9, vcc_lo, 0, v5, vcc_lo
	v_mov_b32_e32 v5, v1
	v_lshl_or_b32 v0, v3, 6, v2
	v_add_co_u32 v10, vcc_lo, v6, 4
	v_mov_b32_e32 v3, v1
	s_delay_alu instid0(VALU_DEP_3)
	v_dual_mov_b32 v2, v1 :: v_dual_add_nc_u32 v17, 0x800, v0
	v_mov_b32_e32 v4, v1
	v_mov_b32_e32 v0, v1
	v_add_co_ci_u32_e32 v11, vcc_lo, 0, v7, vcc_lo
	v_mov_b32_e32 v7, v1
	v_mov_b32_e32 v6, v1
.LBB631_2:                              ; =>This Inner Loop Header: Depth=1
	global_load_b64 v[18:19], v[8:9], off offset:-4
	global_load_b64 v[20:21], v[10:11], off offset:-4
	v_add_co_u32 v8, vcc_lo, v8, 64
	v_add_co_ci_u32_e32 v9, vcc_lo, 0, v9, vcc_lo
	v_add_co_u32 v10, vcc_lo, v10, 64
	v_add_co_ci_u32_e32 v11, vcc_lo, 0, v11, vcc_lo
	s_add_i32 s7, s7, 8
	s_waitcnt vmcnt(1)
	ds_store_b64 v16, v[18:19]
	s_waitcnt vmcnt(0)
	ds_store_b64 v17, v[20:21]
	s_waitcnt lgkmcnt(0)
	s_barrier
	buffer_gl0_inv
	ds_load_2addr_b64 v[18:21], v14 offset1:16
	ds_load_b128 v[22:25], v15
	ds_load_b128 v[26:29], v15 offset:1024
	ds_load_b128 v[30:33], v15 offset:16
	ds_load_2addr_b64 v[34:37], v14 offset0:32 offset1:48
	ds_load_b128 v[38:41], v15 offset:32
	ds_load_b128 v[42:45], v15 offset:48
	ds_load_2addr_b64 v[46:49], v14 offset0:64 offset1:80
	ds_load_b128 v[50:53], v15 offset:1040
	ds_load_2addr_b64 v[54:57], v14 offset0:96 offset1:112
	ds_load_2addr_b64 v[58:61], v14 offset0:128 offset1:144
	;; [unrolled: 1-line block ×4, first 2 shown]
	ds_load_b128 v[70:73], v15 offset:1056
	ds_load_b128 v[74:77], v15 offset:1072
	ds_load_2addr_b64 v[78:81], v14 offset0:224 offset1:240
	s_cmp_ge_i32 s7, s5
	s_waitcnt lgkmcnt(0)
	s_barrier
	buffer_gl0_inv
	v_dual_mul_f32 v82, v23, v19 :: v_dual_mul_f32 v85, v22, v21
	v_dual_mul_f32 v83, v22, v19 :: v_dual_mul_f32 v84, v23, v21
	v_mul_f32_e32 v86, v27, v19
	v_dual_mul_f32 v19, v26, v19 :: v_dual_mul_f32 v90, v25, v37
	v_dual_mul_f32 v87, v27, v21 :: v_dual_mul_f32 v88, v25, v35
	v_mul_f32_e32 v21, v26, v21
	v_mul_f32_e32 v89, v24, v35
	;; [unrolled: 1-line block ×3, first 2 shown]
	v_fma_f32 v82, v22, v18, -v82
	v_fmac_f32_e32 v83, v23, v18
	v_fma_f32 v22, v22, v20, -v84
	v_dual_fmac_f32 v85, v23, v20 :: v_dual_mul_f32 v84, v30, v47
	v_fma_f32 v23, v26, v18, -v86
	v_fmac_f32_e32 v19, v27, v18
	v_fma_f32 v18, v26, v20, -v87
	v_dual_mul_f32 v26, v28, v35 :: v_dual_fmac_f32 v21, v27, v20
	v_mul_f32_e32 v20, v29, v35
	v_mul_f32_e32 v27, v29, v37
	v_dual_mul_f32 v35, v28, v37 :: v_dual_fmac_f32 v84, v31, v46
	v_fma_f32 v37, v24, v34, -v88
	v_fma_f32 v24, v24, v36, -v90
	v_dual_fmac_f32 v91, v25, v36 :: v_dual_mul_f32 v90, v32, v57
	v_dual_mul_f32 v86, v31, v49 :: v_dual_fmac_f32 v89, v25, v34
	v_dual_mul_f32 v25, v31, v47 :: v_dual_mul_f32 v88, v33, v57
	v_fma_f32 v20, v28, v34, -v20
	v_fmac_f32_e32 v26, v29, v34
	v_fma_f32 v27, v28, v36, -v27
	v_dual_fmac_f32 v35, v29, v36 :: v_dual_mul_f32 v28, v51, v47
	v_dual_mul_f32 v29, v50, v47 :: v_dual_mul_f32 v34, v51, v49
	v_mul_f32_e32 v36, v50, v49
	v_mul_f32_e32 v87, v30, v49
	;; [unrolled: 1-line block ×3, first 2 shown]
	v_dual_mul_f32 v49, v32, v55 :: v_dual_fmac_f32 v90, v33, v56
	v_fma_f32 v25, v30, v46, -v25
	v_fma_f32 v30, v30, v48, -v86
	;; [unrolled: 1-line block ×3, first 2 shown]
	v_fmac_f32_e32 v36, v51, v48
	v_fmac_f32_e32 v87, v31, v48
	v_fma_f32 v31, v50, v48, -v34
	v_mul_f32_e32 v34, v53, v55
	v_mul_f32_e32 v48, v53, v57
	v_dual_mul_f32 v50, v52, v57 :: v_dual_fmac_f32 v29, v51, v46
	v_mul_f32_e32 v46, v52, v55
	v_fma_f32 v47, v32, v54, -v47
	v_fmac_f32_e32 v49, v33, v54
	v_fma_f32 v32, v32, v56, -v88
	s_delay_alu instid0(VALU_DEP_4)
	v_dual_mul_f32 v33, v39, v59 :: v_dual_fmac_f32 v46, v53, v54
	v_mul_f32_e32 v51, v38, v59
	v_mul_f32_e32 v55, v39, v61
	v_fma_f32 v34, v52, v54, -v34
	v_fma_f32 v48, v52, v56, -v48
	v_fmac_f32_e32 v50, v53, v56
	v_mul_f32_e32 v52, v71, v59
	v_dual_mul_f32 v53, v70, v59 :: v_dual_mul_f32 v86, v41, v65
	v_mul_f32_e32 v54, v71, v61
	v_dual_mul_f32 v56, v70, v61 :: v_dual_mul_f32 v59, v41, v63
	v_mul_f32_e32 v57, v38, v61
	v_mul_f32_e32 v61, v40, v63
	v_dual_mul_f32 v88, v40, v65 :: v_dual_fmac_f32 v51, v39, v58
	v_fma_f32 v33, v38, v58, -v33
	v_fmac_f32_e32 v53, v71, v58
	v_fmac_f32_e32 v56, v71, v60
	s_delay_alu instid0(VALU_DEP_4)
	v_fmac_f32_e32 v88, v41, v64
	v_fmac_f32_e32 v57, v39, v60
	v_fma_f32 v39, v70, v58, -v52
	v_fma_f32 v52, v70, v60, -v54
	v_mul_f32_e32 v54, v73, v63
	v_fma_f32 v38, v38, v60, -v55
	v_mul_f32_e32 v60, v72, v65
	v_dual_mul_f32 v55, v72, v63 :: v_dual_mul_f32 v70, v42, v69
	v_mul_f32_e32 v58, v73, v65
	v_fma_f32 v59, v40, v62, -v59
	v_fmac_f32_e32 v61, v41, v62
	v_fma_f32 v40, v40, v64, -v86
	v_dual_mul_f32 v41, v43, v67 :: v_dual_fmac_f32 v60, v73, v64
	v_dual_mul_f32 v63, v42, v67 :: v_dual_mul_f32 v86, v44, v81
	v_mul_f32_e32 v65, v43, v69
	v_fma_f32 v54, v72, v62, -v54
	v_fmac_f32_e32 v55, v73, v62
	v_fma_f32 v58, v72, v64, -v58
	v_mul_f32_e32 v72, v44, v79
	v_mul_f32_e32 v62, v75, v67
	v_dual_mul_f32 v64, v74, v67 :: v_dual_mul_f32 v67, v75, v69
	v_dual_mul_f32 v69, v74, v69 :: v_dual_fmac_f32 v70, v43, v68
	s_delay_alu instid0(VALU_DEP_2)
	v_dual_mul_f32 v71, v45, v79 :: v_dual_fmac_f32 v64, v75, v66
	v_fma_f32 v41, v42, v66, -v41
	v_fmac_f32_e32 v63, v43, v66
	v_fma_f32 v43, v74, v66, -v62
	v_dual_mul_f32 v66, v76, v79 :: v_dual_mul_f32 v73, v45, v81
	v_add_f32_e32 v6, v6, v82
	v_fma_f32 v42, v42, v68, -v65
	v_fma_f32 v62, v74, v68, -v67
	v_dual_fmac_f32 v69, v75, v68 :: v_dual_fmac_f32 v72, v45, v78
	v_dual_mul_f32 v65, v77, v79 :: v_dual_add_f32 v4, v4, v22
	v_dual_mul_f32 v67, v77, v81 :: v_dual_add_f32 v2, v2, v23
	v_mul_f32_e32 v68, v76, v81
	v_dual_fmac_f32 v86, v45, v80 :: v_dual_add_f32 v7, v7, v83
	v_dual_fmac_f32 v66, v77, v78 :: v_dual_add_f32 v3, v3, v19
	v_dual_add_f32 v5, v5, v85 :: v_dual_add_f32 v0, v0, v18
	v_dual_add_f32 v1, v1, v21 :: v_dual_add_f32 v4, v4, v24
	s_delay_alu instid0(VALU_DEP_4) | instskip(NEXT) | instid1(VALU_DEP_3)
	v_dual_fmac_f32 v68, v77, v80 :: v_dual_add_f32 v7, v7, v89
	v_dual_add_f32 v6, v6, v37 :: v_dual_add_f32 v5, v5, v91
	v_dual_add_f32 v2, v2, v20 :: v_dual_add_f32 v3, v3, v26
	s_delay_alu instid0(VALU_DEP_3) | instskip(NEXT) | instid1(VALU_DEP_3)
	v_dual_add_f32 v0, v0, v27 :: v_dual_add_f32 v7, v7, v84
	v_dual_add_f32 v1, v1, v35 :: v_dual_add_f32 v6, v6, v25
	s_delay_alu instid0(VALU_DEP_4) | instskip(NEXT) | instid1(VALU_DEP_4)
	v_dual_add_f32 v4, v4, v30 :: v_dual_add_f32 v5, v5, v87
	v_dual_add_f32 v2, v2, v28 :: v_dual_add_f32 v3, v3, v29
	s_delay_alu instid0(VALU_DEP_3) | instskip(NEXT) | instid1(VALU_DEP_4)
	v_dual_add_f32 v0, v0, v31 :: v_dual_add_f32 v1, v1, v36
	v_dual_add_f32 v6, v6, v47 :: v_dual_add_f32 v7, v7, v49
	s_delay_alu instid0(VALU_DEP_4) | instskip(NEXT) | instid1(VALU_DEP_4)
	v_dual_add_f32 v4, v4, v32 :: v_dual_add_f32 v5, v5, v90
	v_add_f32_e32 v2, v2, v34
	s_delay_alu instid0(VALU_DEP_4) | instskip(NEXT) | instid1(VALU_DEP_4)
	v_dual_add_f32 v3, v3, v46 :: v_dual_add_f32 v0, v0, v48
	v_dual_add_f32 v1, v1, v50 :: v_dual_add_f32 v6, v6, v33
	s_delay_alu instid0(VALU_DEP_4) | instskip(NEXT) | instid1(VALU_DEP_4)
	v_dual_add_f32 v7, v7, v51 :: v_dual_add_f32 v4, v4, v38
	v_dual_add_f32 v5, v5, v57 :: v_dual_add_f32 v2, v2, v39
	s_delay_alu instid0(VALU_DEP_4) | instskip(NEXT) | instid1(VALU_DEP_3)
	v_dual_add_f32 v3, v3, v53 :: v_dual_add_f32 v0, v0, v52
	v_add_f32_e32 v7, v7, v61
	v_dual_add_f32 v1, v1, v56 :: v_dual_add_f32 v6, v6, v59
	s_delay_alu instid0(VALU_DEP_3) | instskip(SKIP_1) | instid1(VALU_DEP_3)
	v_dual_add_f32 v4, v4, v40 :: v_dual_add_f32 v3, v3, v55
	v_dual_add_f32 v5, v5, v88 :: v_dual_add_f32 v2, v2, v54
	;; [unrolled: 1-line block ×3, first 2 shown]
	v_fma_f32 v71, v44, v78, -v71
	v_fma_f32 v44, v44, v80, -v73
	;; [unrolled: 1-line block ×4, first 2 shown]
	v_dual_add_f32 v6, v6, v41 :: v_dual_add_f32 v7, v7, v63
	v_dual_add_f32 v4, v4, v42 :: v_dual_add_f32 v3, v3, v64
	;; [unrolled: 1-line block ×4, first 2 shown]
	s_delay_alu instid0(VALU_DEP_4) | instskip(NEXT) | instid1(VALU_DEP_3)
	v_dual_add_f32 v6, v6, v71 :: v_dual_add_f32 v7, v7, v72
	v_dual_add_f32 v4, v4, v44 :: v_dual_add_f32 v5, v5, v86
	s_delay_alu instid0(VALU_DEP_4) | instskip(NEXT) | instid1(VALU_DEP_4)
	v_dual_add_f32 v2, v2, v45 :: v_dual_add_f32 v3, v3, v66
	v_dual_add_f32 v0, v0, v65 :: v_dual_add_f32 v1, v1, v68
	s_cbranch_scc0 .LBB631_2
.LBB631_3:
	s_load_b32 s5, s[0:1], 0x40
	v_add_nc_u32_e32 v10, s10, v13
	v_add_nc_u32_e32 v8, s6, v12
	s_delay_alu instid0(VALU_DEP_1) | instskip(SKIP_1) | instid1(VALU_DEP_2)
	v_cmp_le_i32_e64 s0, v10, v8
	v_cmp_gt_i32_e32 vcc_lo, s4, v8
	s_and_b32 s0, s0, vcc_lo
	s_waitcnt lgkmcnt(0)
	v_mad_i64_i32 v[13:14], null, v10, s5, 0
	s_delay_alu instid0(VALU_DEP_1) | instskip(NEXT) | instid1(VALU_DEP_1)
	v_lshlrev_b64 v[11:12], 3, v[13:14]
	v_add_co_u32 v11, s1, s2, v11
	s_delay_alu instid0(VALU_DEP_1)
	v_add_co_ci_u32_e64 v12, s1, s3, v12, s1
	s_and_saveexec_b32 s1, s0
	s_cbranch_execz .LBB631_5
; %bb.4:
	v_ashrrev_i32_e32 v9, 31, v8
	s_delay_alu instid0(VALU_DEP_1) | instskip(NEXT) | instid1(VALU_DEP_1)
	v_lshlrev_b64 v[13:14], 3, v[8:9]
	v_add_co_u32 v13, s0, v11, v13
	s_delay_alu instid0(VALU_DEP_1)
	v_add_co_ci_u32_e64 v14, s0, v12, v14, s0
	global_store_b64 v[13:14], v[6:7], off
.LBB631_5:
	s_or_b32 exec_lo, exec_lo, s1
	v_add_nc_u32_e32 v6, 16, v8
	s_delay_alu instid0(VALU_DEP_1) | instskip(SKIP_1) | instid1(VALU_DEP_1)
	v_cmp_le_i32_e64 s1, v10, v6
	v_cmp_gt_i32_e64 s0, s4, v6
	s_and_b32 s1, s1, s0
	s_delay_alu instid0(SALU_CYCLE_1)
	s_and_saveexec_b32 s4, s1
	s_cbranch_execz .LBB631_7
; %bb.6:
	v_ashrrev_i32_e32 v7, 31, v6
	s_delay_alu instid0(VALU_DEP_1) | instskip(NEXT) | instid1(VALU_DEP_1)
	v_lshlrev_b64 v[13:14], 3, v[6:7]
	v_add_co_u32 v11, s1, v11, v13
	s_delay_alu instid0(VALU_DEP_1)
	v_add_co_ci_u32_e64 v12, s1, v12, v14, s1
	global_store_b64 v[11:12], v[4:5], off
.LBB631_7:
	s_or_b32 exec_lo, exec_lo, s4
	v_add_nc_u32_e32 v7, 16, v10
	s_delay_alu instid0(VALU_DEP_1) | instskip(SKIP_1) | instid1(VALU_DEP_2)
	v_mad_i64_i32 v[4:5], null, v7, s5, 0
	v_cmp_le_i32_e64 s1, v7, v8
	v_lshlrev_b64 v[4:5], 3, v[4:5]
	s_delay_alu instid0(VALU_DEP_1) | instskip(NEXT) | instid1(VALU_DEP_1)
	v_add_co_u32 v4, s2, s2, v4
	v_add_co_ci_u32_e64 v5, s2, s3, v5, s2
	s_delay_alu instid0(VALU_DEP_4) | instskip(NEXT) | instid1(SALU_CYCLE_1)
	s_and_b32 s2, s1, vcc_lo
	s_and_saveexec_b32 s1, s2
	s_cbranch_execz .LBB631_9
; %bb.8:
	v_ashrrev_i32_e32 v9, 31, v8
	s_delay_alu instid0(VALU_DEP_1) | instskip(NEXT) | instid1(VALU_DEP_1)
	v_lshlrev_b64 v[8:9], 3, v[8:9]
	v_add_co_u32 v8, vcc_lo, v4, v8
	s_delay_alu instid0(VALU_DEP_2)
	v_add_co_ci_u32_e32 v9, vcc_lo, v5, v9, vcc_lo
	global_store_b64 v[8:9], v[2:3], off
.LBB631_9:
	s_or_b32 exec_lo, exec_lo, s1
	v_cmp_le_i32_e32 vcc_lo, v7, v6
	s_and_b32 s0, vcc_lo, s0
	s_delay_alu instid0(SALU_CYCLE_1)
	s_and_saveexec_b32 s1, s0
	s_cbranch_execz .LBB631_11
; %bb.10:
	v_ashrrev_i32_e32 v7, 31, v6
	s_delay_alu instid0(VALU_DEP_1) | instskip(NEXT) | instid1(VALU_DEP_1)
	v_lshlrev_b64 v[2:3], 3, v[6:7]
	v_add_co_u32 v2, vcc_lo, v4, v2
	s_delay_alu instid0(VALU_DEP_2)
	v_add_co_ci_u32_e32 v3, vcc_lo, v5, v3, vcc_lo
	global_store_b64 v[2:3], v[0:1], off
.LBB631_11:
	s_nop 0
	s_sendmsg sendmsg(MSG_DEALLOC_VGPRS)
	s_endpgm
	.section	.rodata,"a",@progbits
	.p2align	6, 0x0
	.amdhsa_kernel _ZL37rocblas_syrkx_herkx_restricted_kernelIi19rocblas_complex_numIfELi16ELi32ELi8ELi1ELi0ELb0ELc67ELc76EKPKS1_KPS1_EviT_PT9_S7_lS9_S7_lPT10_S7_li
		.amdhsa_group_segment_fixed_size 4096
		.amdhsa_private_segment_fixed_size 0
		.amdhsa_kernarg_size 84
		.amdhsa_user_sgpr_count 13
		.amdhsa_user_sgpr_dispatch_ptr 0
		.amdhsa_user_sgpr_queue_ptr 0
		.amdhsa_user_sgpr_kernarg_segment_ptr 1
		.amdhsa_user_sgpr_dispatch_id 0
		.amdhsa_user_sgpr_private_segment_size 0
		.amdhsa_wavefront_size32 1
		.amdhsa_uses_dynamic_stack 0
		.amdhsa_enable_private_segment 0
		.amdhsa_system_sgpr_workgroup_id_x 1
		.amdhsa_system_sgpr_workgroup_id_y 1
		.amdhsa_system_sgpr_workgroup_id_z 1
		.amdhsa_system_sgpr_workgroup_info 0
		.amdhsa_system_vgpr_workitem_id 1
		.amdhsa_next_free_vgpr 92
		.amdhsa_next_free_sgpr 17
		.amdhsa_reserve_vcc 1
		.amdhsa_float_round_mode_32 0
		.amdhsa_float_round_mode_16_64 0
		.amdhsa_float_denorm_mode_32 3
		.amdhsa_float_denorm_mode_16_64 3
		.amdhsa_dx10_clamp 1
		.amdhsa_ieee_mode 1
		.amdhsa_fp16_overflow 0
		.amdhsa_workgroup_processor_mode 1
		.amdhsa_memory_ordered 1
		.amdhsa_forward_progress 0
		.amdhsa_shared_vgpr_count 0
		.amdhsa_exception_fp_ieee_invalid_op 0
		.amdhsa_exception_fp_denorm_src 0
		.amdhsa_exception_fp_ieee_div_zero 0
		.amdhsa_exception_fp_ieee_overflow 0
		.amdhsa_exception_fp_ieee_underflow 0
		.amdhsa_exception_fp_ieee_inexact 0
		.amdhsa_exception_int_div_zero 0
	.end_amdhsa_kernel
	.section	.text._ZL37rocblas_syrkx_herkx_restricted_kernelIi19rocblas_complex_numIfELi16ELi32ELi8ELi1ELi0ELb0ELc67ELc76EKPKS1_KPS1_EviT_PT9_S7_lS9_S7_lPT10_S7_li,"axG",@progbits,_ZL37rocblas_syrkx_herkx_restricted_kernelIi19rocblas_complex_numIfELi16ELi32ELi8ELi1ELi0ELb0ELc67ELc76EKPKS1_KPS1_EviT_PT9_S7_lS9_S7_lPT10_S7_li,comdat
.Lfunc_end631:
	.size	_ZL37rocblas_syrkx_herkx_restricted_kernelIi19rocblas_complex_numIfELi16ELi32ELi8ELi1ELi0ELb0ELc67ELc76EKPKS1_KPS1_EviT_PT9_S7_lS9_S7_lPT10_S7_li, .Lfunc_end631-_ZL37rocblas_syrkx_herkx_restricted_kernelIi19rocblas_complex_numIfELi16ELi32ELi8ELi1ELi0ELb0ELc67ELc76EKPKS1_KPS1_EviT_PT9_S7_lS9_S7_lPT10_S7_li
                                        ; -- End function
	.section	.AMDGPU.csdata,"",@progbits
; Kernel info:
; codeLenInByte = 2012
; NumSgprs: 19
; NumVgprs: 92
; ScratchSize: 0
; MemoryBound: 0
; FloatMode: 240
; IeeeMode: 1
; LDSByteSize: 4096 bytes/workgroup (compile time only)
; SGPRBlocks: 2
; VGPRBlocks: 11
; NumSGPRsForWavesPerEU: 19
; NumVGPRsForWavesPerEU: 92
; Occupancy: 16
; WaveLimiterHint : 1
; COMPUTE_PGM_RSRC2:SCRATCH_EN: 0
; COMPUTE_PGM_RSRC2:USER_SGPR: 13
; COMPUTE_PGM_RSRC2:TRAP_HANDLER: 0
; COMPUTE_PGM_RSRC2:TGID_X_EN: 1
; COMPUTE_PGM_RSRC2:TGID_Y_EN: 1
; COMPUTE_PGM_RSRC2:TGID_Z_EN: 1
; COMPUTE_PGM_RSRC2:TIDIG_COMP_CNT: 1
	.section	.text._ZL37rocblas_syrkx_herkx_restricted_kernelIi19rocblas_complex_numIfELi16ELi32ELi8ELi1ELi0ELb0ELc78ELc76EKPKS1_KPS1_EviT_PT9_S7_lS9_S7_lPT10_S7_li,"axG",@progbits,_ZL37rocblas_syrkx_herkx_restricted_kernelIi19rocblas_complex_numIfELi16ELi32ELi8ELi1ELi0ELb0ELc78ELc76EKPKS1_KPS1_EviT_PT9_S7_lS9_S7_lPT10_S7_li,comdat
	.globl	_ZL37rocblas_syrkx_herkx_restricted_kernelIi19rocblas_complex_numIfELi16ELi32ELi8ELi1ELi0ELb0ELc78ELc76EKPKS1_KPS1_EviT_PT9_S7_lS9_S7_lPT10_S7_li ; -- Begin function _ZL37rocblas_syrkx_herkx_restricted_kernelIi19rocblas_complex_numIfELi16ELi32ELi8ELi1ELi0ELb0ELc78ELc76EKPKS1_KPS1_EviT_PT9_S7_lS9_S7_lPT10_S7_li
	.p2align	8
	.type	_ZL37rocblas_syrkx_herkx_restricted_kernelIi19rocblas_complex_numIfELi16ELi32ELi8ELi1ELi0ELb0ELc78ELc76EKPKS1_KPS1_EviT_PT9_S7_lS9_S7_lPT10_S7_li,@function
_ZL37rocblas_syrkx_herkx_restricted_kernelIi19rocblas_complex_numIfELi16ELi32ELi8ELi1ELi0ELb0ELc78ELc76EKPKS1_KPS1_EviT_PT9_S7_lS9_S7_lPT10_S7_li: ; @_ZL37rocblas_syrkx_herkx_restricted_kernelIi19rocblas_complex_numIfELi16ELi32ELi8ELi1ELi0ELb0ELc78ELc76EKPKS1_KPS1_EviT_PT9_S7_lS9_S7_lPT10_S7_li
; %bb.0:
	s_clause 0x1
	s_load_b64 s[2:3], s[0:1], 0x38
	s_load_b64 s[4:5], s[0:1], 0x0
	s_mov_b32 s6, s15
	s_mov_b32 s7, 0
	v_dual_mov_b32 v7, 0 :: v_dual_and_b32 v12, 0x3ff, v0
	s_lshl_b64 s[8:9], s[6:7], 3
	v_bfe_u32 v13, v0, 10, 10
	v_dual_mov_b32 v6, 0 :: v_dual_mov_b32 v5, 0
	v_dual_mov_b32 v4, 0 :: v_dual_mov_b32 v3, 0
	v_dual_mov_b32 v2, 0 :: v_dual_mov_b32 v1, 0
	v_mov_b32_e32 v0, 0
	s_waitcnt lgkmcnt(0)
	s_add_u32 s2, s2, s8
	s_addc_u32 s3, s3, s9
	s_lshl_b32 s6, s13, 5
	s_load_b64 s[2:3], s[2:3], 0x0
	s_lshl_b32 s12, s14, 5
	s_cmp_lt_i32 s5, 1
	s_cbranch_scc1 .LBB632_3
; %bb.1:
	s_clause 0x3
	s_load_b32 s10, s[0:1], 0x10
	s_load_b32 s14, s[0:1], 0x28
	s_load_b64 s[16:17], s[0:1], 0x8
	s_load_b64 s[18:19], s[0:1], 0x20
	v_lshl_add_u32 v0, v13, 4, v12
	v_and_b32_e32 v8, 7, v12
	v_lshlrev_b32_e32 v14, 3, v12
	v_lshl_add_u32 v15, v13, 6, 0x800
	s_delay_alu instid0(VALU_DEP_4) | instskip(SKIP_2) | instid1(VALU_DEP_3)
	v_and_b32_e32 v7, 31, v0
	v_lshrrev_b32_e32 v6, 3, v0
	v_lshrrev_b32_e32 v9, 5, v0
	v_add_nc_u32_e32 v2, s6, v7
	s_delay_alu instid0(VALU_DEP_3) | instskip(NEXT) | instid1(VALU_DEP_2)
	v_add_nc_u32_e32 v0, s12, v6
	v_ashrrev_i32_e32 v3, 31, v2
	s_waitcnt lgkmcnt(0)
	s_ashr_i32 s11, s10, 31
	s_ashr_i32 s15, s14, 31
	s_add_u32 s16, s16, s8
	s_addc_u32 s17, s17, s9
	s_add_u32 s8, s18, s8
	s_load_b64 s[16:17], s[16:17], 0x0
	s_addc_u32 s9, s19, s9
	v_ashrrev_i32_e32 v1, 31, v0
	s_load_b64 s[8:9], s[8:9], 0x0
	v_mad_i64_i32 v[4:5], null, s10, v9, v[2:3]
	s_delay_alu instid0(VALU_DEP_2) | instskip(SKIP_2) | instid1(VALU_DEP_4)
	v_mad_i64_i32 v[2:3], null, s14, v8, v[0:1]
	v_dual_mov_b32 v1, 0 :: v_dual_lshlrev_b32 v10, 3, v8
	v_mov_b32_e32 v0, 0
	v_lshlrev_b64 v[4:5], 3, v[4:5]
	v_lshlrev_b32_e32 v7, 3, v7
	v_lshlrev_b64 v[2:3], 3, v[2:3]
	v_lshl_or_b32 v6, v6, 6, v10
	s_delay_alu instid0(VALU_DEP_3)
	v_lshl_or_b32 v16, v9, 8, v7
	v_mov_b32_e32 v7, 0
	s_waitcnt lgkmcnt(0)
	v_add_co_u32 v4, vcc_lo, v4, s16
	v_add_co_ci_u32_e32 v5, vcc_lo, s17, v5, vcc_lo
	v_add_co_u32 v2, vcc_lo, v2, s8
	v_add_co_ci_u32_e32 v3, vcc_lo, s9, v3, vcc_lo
	s_delay_alu instid0(VALU_DEP_4) | instskip(NEXT) | instid1(VALU_DEP_4)
	v_add_co_u32 v8, vcc_lo, v4, 4
	v_add_co_ci_u32_e32 v9, vcc_lo, 0, v5, vcc_lo
	s_delay_alu instid0(VALU_DEP_4)
	v_add_co_u32 v10, vcc_lo, v2, 4
	v_dual_mov_b32 v2, 0 :: v_dual_add_nc_u32 v17, 0x800, v6
	v_mov_b32_e32 v4, 0
	v_add_co_ci_u32_e32 v11, vcc_lo, 0, v3, vcc_lo
	v_mov_b32_e32 v3, 0
	v_dual_mov_b32 v5, 0 :: v_dual_mov_b32 v6, 0
	s_lshl_b64 s[8:9], s[10:11], 6
	s_lshl_b64 s[10:11], s[14:15], 6
.LBB632_2:                              ; =>This Inner Loop Header: Depth=1
	global_load_b64 v[18:19], v[8:9], off offset:-4
	global_load_b64 v[20:21], v[10:11], off offset:-4
	v_add_co_u32 v8, vcc_lo, v8, s8
	v_add_co_ci_u32_e32 v9, vcc_lo, s9, v9, vcc_lo
	v_add_co_u32 v10, vcc_lo, v10, s10
	v_add_co_ci_u32_e32 v11, vcc_lo, s11, v11, vcc_lo
	s_add_i32 s7, s7, 8
	s_waitcnt vmcnt(1)
	ds_store_b64 v16, v[18:19]
	s_waitcnt vmcnt(0)
	ds_store_b64 v17, v[20:21]
	s_waitcnt lgkmcnt(0)
	s_barrier
	buffer_gl0_inv
	ds_load_2addr_b64 v[18:21], v14 offset1:16
	ds_load_b128 v[22:25], v15
	ds_load_b128 v[26:29], v15 offset:1024
	ds_load_b128 v[30:33], v15 offset:16
	ds_load_2addr_b64 v[34:37], v14 offset0:32 offset1:48
	ds_load_b128 v[38:41], v15 offset:32
	ds_load_b128 v[42:45], v15 offset:48
	ds_load_2addr_b64 v[46:49], v14 offset0:64 offset1:80
	ds_load_b128 v[50:53], v15 offset:1040
	ds_load_2addr_b64 v[54:57], v14 offset0:96 offset1:112
	ds_load_2addr_b64 v[58:61], v14 offset0:128 offset1:144
	;; [unrolled: 1-line block ×4, first 2 shown]
	ds_load_b128 v[70:73], v15 offset:1056
	ds_load_b128 v[74:77], v15 offset:1072
	ds_load_2addr_b64 v[78:81], v14 offset0:224 offset1:240
	s_cmp_ge_i32 s7, s5
	s_waitcnt lgkmcnt(0)
	s_barrier
	buffer_gl0_inv
	v_dual_mul_f32 v82, v23, v19 :: v_dual_mul_f32 v85, v22, v21
	v_dual_mul_f32 v83, v22, v19 :: v_dual_mul_f32 v84, v23, v21
	v_mul_f32_e32 v86, v27, v19
	v_dual_mul_f32 v19, v26, v19 :: v_dual_mul_f32 v90, v25, v37
	v_dual_mul_f32 v87, v27, v21 :: v_dual_mul_f32 v88, v25, v35
	v_mul_f32_e32 v21, v26, v21
	v_mul_f32_e32 v89, v24, v35
	;; [unrolled: 1-line block ×3, first 2 shown]
	v_fma_f32 v82, v22, v18, -v82
	v_fmac_f32_e32 v83, v23, v18
	v_fma_f32 v22, v22, v20, -v84
	v_dual_fmac_f32 v85, v23, v20 :: v_dual_mul_f32 v84, v30, v47
	v_fma_f32 v23, v26, v18, -v86
	v_fmac_f32_e32 v19, v27, v18
	v_fma_f32 v18, v26, v20, -v87
	v_dual_mul_f32 v26, v28, v35 :: v_dual_fmac_f32 v21, v27, v20
	v_mul_f32_e32 v20, v29, v35
	v_mul_f32_e32 v27, v29, v37
	v_dual_mul_f32 v35, v28, v37 :: v_dual_fmac_f32 v84, v31, v46
	v_fma_f32 v37, v24, v34, -v88
	v_fma_f32 v24, v24, v36, -v90
	v_dual_fmac_f32 v91, v25, v36 :: v_dual_mul_f32 v90, v32, v57
	v_dual_mul_f32 v86, v31, v49 :: v_dual_fmac_f32 v89, v25, v34
	v_dual_mul_f32 v25, v31, v47 :: v_dual_mul_f32 v88, v33, v57
	v_fma_f32 v20, v28, v34, -v20
	v_fmac_f32_e32 v26, v29, v34
	v_fma_f32 v27, v28, v36, -v27
	v_dual_fmac_f32 v35, v29, v36 :: v_dual_mul_f32 v28, v51, v47
	v_dual_mul_f32 v29, v50, v47 :: v_dual_mul_f32 v34, v51, v49
	v_mul_f32_e32 v36, v50, v49
	v_mul_f32_e32 v87, v30, v49
	;; [unrolled: 1-line block ×3, first 2 shown]
	v_dual_mul_f32 v49, v32, v55 :: v_dual_fmac_f32 v90, v33, v56
	v_fma_f32 v25, v30, v46, -v25
	v_fma_f32 v30, v30, v48, -v86
	;; [unrolled: 1-line block ×3, first 2 shown]
	v_fmac_f32_e32 v36, v51, v48
	v_fmac_f32_e32 v87, v31, v48
	v_fma_f32 v31, v50, v48, -v34
	v_mul_f32_e32 v34, v53, v55
	v_mul_f32_e32 v48, v53, v57
	v_dual_mul_f32 v50, v52, v57 :: v_dual_fmac_f32 v29, v51, v46
	v_mul_f32_e32 v46, v52, v55
	v_fma_f32 v47, v32, v54, -v47
	v_fmac_f32_e32 v49, v33, v54
	v_fma_f32 v32, v32, v56, -v88
	s_delay_alu instid0(VALU_DEP_4)
	v_dual_mul_f32 v33, v39, v59 :: v_dual_fmac_f32 v46, v53, v54
	v_mul_f32_e32 v51, v38, v59
	v_mul_f32_e32 v55, v39, v61
	v_fma_f32 v34, v52, v54, -v34
	v_fma_f32 v48, v52, v56, -v48
	v_fmac_f32_e32 v50, v53, v56
	v_mul_f32_e32 v52, v71, v59
	v_dual_mul_f32 v53, v70, v59 :: v_dual_mul_f32 v86, v41, v65
	v_mul_f32_e32 v54, v71, v61
	v_dual_mul_f32 v56, v70, v61 :: v_dual_mul_f32 v59, v41, v63
	v_mul_f32_e32 v57, v38, v61
	v_mul_f32_e32 v61, v40, v63
	v_dual_mul_f32 v88, v40, v65 :: v_dual_fmac_f32 v51, v39, v58
	v_fma_f32 v33, v38, v58, -v33
	v_fmac_f32_e32 v53, v71, v58
	v_fmac_f32_e32 v56, v71, v60
	s_delay_alu instid0(VALU_DEP_4)
	v_fmac_f32_e32 v88, v41, v64
	v_fmac_f32_e32 v57, v39, v60
	v_fma_f32 v39, v70, v58, -v52
	v_fma_f32 v52, v70, v60, -v54
	v_mul_f32_e32 v54, v73, v63
	v_fma_f32 v38, v38, v60, -v55
	v_mul_f32_e32 v60, v72, v65
	v_dual_mul_f32 v55, v72, v63 :: v_dual_mul_f32 v70, v42, v69
	v_mul_f32_e32 v58, v73, v65
	v_fma_f32 v59, v40, v62, -v59
	v_fmac_f32_e32 v61, v41, v62
	v_fma_f32 v40, v40, v64, -v86
	v_dual_mul_f32 v41, v43, v67 :: v_dual_fmac_f32 v60, v73, v64
	v_dual_mul_f32 v63, v42, v67 :: v_dual_mul_f32 v86, v44, v81
	v_mul_f32_e32 v65, v43, v69
	v_fma_f32 v54, v72, v62, -v54
	v_fmac_f32_e32 v55, v73, v62
	v_fma_f32 v58, v72, v64, -v58
	v_mul_f32_e32 v72, v44, v79
	v_mul_f32_e32 v62, v75, v67
	v_dual_mul_f32 v64, v74, v67 :: v_dual_mul_f32 v67, v75, v69
	v_dual_mul_f32 v69, v74, v69 :: v_dual_fmac_f32 v70, v43, v68
	s_delay_alu instid0(VALU_DEP_2)
	v_dual_mul_f32 v71, v45, v79 :: v_dual_fmac_f32 v64, v75, v66
	v_fma_f32 v41, v42, v66, -v41
	v_fmac_f32_e32 v63, v43, v66
	v_fma_f32 v43, v74, v66, -v62
	v_dual_mul_f32 v66, v76, v79 :: v_dual_mul_f32 v73, v45, v81
	v_add_f32_e32 v6, v6, v82
	v_fma_f32 v42, v42, v68, -v65
	v_fma_f32 v62, v74, v68, -v67
	v_dual_fmac_f32 v69, v75, v68 :: v_dual_fmac_f32 v72, v45, v78
	v_dual_mul_f32 v65, v77, v79 :: v_dual_add_f32 v4, v4, v22
	v_dual_mul_f32 v67, v77, v81 :: v_dual_add_f32 v2, v2, v23
	v_mul_f32_e32 v68, v76, v81
	v_dual_fmac_f32 v86, v45, v80 :: v_dual_add_f32 v7, v7, v83
	v_dual_fmac_f32 v66, v77, v78 :: v_dual_add_f32 v3, v3, v19
	v_dual_add_f32 v5, v5, v85 :: v_dual_add_f32 v0, v0, v18
	v_dual_add_f32 v1, v1, v21 :: v_dual_add_f32 v4, v4, v24
	s_delay_alu instid0(VALU_DEP_4) | instskip(NEXT) | instid1(VALU_DEP_3)
	v_dual_fmac_f32 v68, v77, v80 :: v_dual_add_f32 v7, v7, v89
	v_dual_add_f32 v6, v6, v37 :: v_dual_add_f32 v5, v5, v91
	v_dual_add_f32 v2, v2, v20 :: v_dual_add_f32 v3, v3, v26
	s_delay_alu instid0(VALU_DEP_3) | instskip(NEXT) | instid1(VALU_DEP_3)
	v_dual_add_f32 v0, v0, v27 :: v_dual_add_f32 v7, v7, v84
	v_dual_add_f32 v1, v1, v35 :: v_dual_add_f32 v6, v6, v25
	s_delay_alu instid0(VALU_DEP_4) | instskip(NEXT) | instid1(VALU_DEP_4)
	v_dual_add_f32 v4, v4, v30 :: v_dual_add_f32 v5, v5, v87
	v_dual_add_f32 v2, v2, v28 :: v_dual_add_f32 v3, v3, v29
	s_delay_alu instid0(VALU_DEP_3) | instskip(NEXT) | instid1(VALU_DEP_4)
	v_dual_add_f32 v0, v0, v31 :: v_dual_add_f32 v1, v1, v36
	v_dual_add_f32 v6, v6, v47 :: v_dual_add_f32 v7, v7, v49
	s_delay_alu instid0(VALU_DEP_4) | instskip(NEXT) | instid1(VALU_DEP_4)
	v_dual_add_f32 v4, v4, v32 :: v_dual_add_f32 v5, v5, v90
	v_add_f32_e32 v2, v2, v34
	s_delay_alu instid0(VALU_DEP_4) | instskip(NEXT) | instid1(VALU_DEP_4)
	v_dual_add_f32 v3, v3, v46 :: v_dual_add_f32 v0, v0, v48
	v_dual_add_f32 v1, v1, v50 :: v_dual_add_f32 v6, v6, v33
	s_delay_alu instid0(VALU_DEP_4) | instskip(NEXT) | instid1(VALU_DEP_4)
	v_dual_add_f32 v7, v7, v51 :: v_dual_add_f32 v4, v4, v38
	v_dual_add_f32 v5, v5, v57 :: v_dual_add_f32 v2, v2, v39
	s_delay_alu instid0(VALU_DEP_4) | instskip(NEXT) | instid1(VALU_DEP_3)
	v_dual_add_f32 v3, v3, v53 :: v_dual_add_f32 v0, v0, v52
	v_add_f32_e32 v7, v7, v61
	v_dual_add_f32 v1, v1, v56 :: v_dual_add_f32 v6, v6, v59
	s_delay_alu instid0(VALU_DEP_3) | instskip(SKIP_1) | instid1(VALU_DEP_3)
	v_dual_add_f32 v4, v4, v40 :: v_dual_add_f32 v3, v3, v55
	v_dual_add_f32 v5, v5, v88 :: v_dual_add_f32 v2, v2, v54
	;; [unrolled: 1-line block ×3, first 2 shown]
	v_fma_f32 v71, v44, v78, -v71
	v_fma_f32 v44, v44, v80, -v73
	;; [unrolled: 1-line block ×4, first 2 shown]
	v_dual_add_f32 v6, v6, v41 :: v_dual_add_f32 v7, v7, v63
	v_dual_add_f32 v4, v4, v42 :: v_dual_add_f32 v3, v3, v64
	;; [unrolled: 1-line block ×4, first 2 shown]
	s_delay_alu instid0(VALU_DEP_4) | instskip(NEXT) | instid1(VALU_DEP_3)
	v_dual_add_f32 v6, v6, v71 :: v_dual_add_f32 v7, v7, v72
	v_dual_add_f32 v4, v4, v44 :: v_dual_add_f32 v5, v5, v86
	s_delay_alu instid0(VALU_DEP_4) | instskip(NEXT) | instid1(VALU_DEP_4)
	v_dual_add_f32 v2, v2, v45 :: v_dual_add_f32 v3, v3, v66
	v_dual_add_f32 v0, v0, v65 :: v_dual_add_f32 v1, v1, v68
	s_cbranch_scc0 .LBB632_2
.LBB632_3:
	s_load_b32 s5, s[0:1], 0x40
	v_add_nc_u32_e32 v10, s12, v13
	v_add_nc_u32_e32 v8, s6, v12
	s_delay_alu instid0(VALU_DEP_1) | instskip(SKIP_1) | instid1(VALU_DEP_2)
	v_cmp_le_i32_e64 s0, v10, v8
	v_cmp_gt_i32_e32 vcc_lo, s4, v8
	s_and_b32 s0, s0, vcc_lo
	s_waitcnt lgkmcnt(0)
	v_mad_i64_i32 v[13:14], null, v10, s5, 0
	s_delay_alu instid0(VALU_DEP_1) | instskip(NEXT) | instid1(VALU_DEP_1)
	v_lshlrev_b64 v[11:12], 3, v[13:14]
	v_add_co_u32 v11, s1, s2, v11
	s_delay_alu instid0(VALU_DEP_1)
	v_add_co_ci_u32_e64 v12, s1, s3, v12, s1
	s_and_saveexec_b32 s1, s0
	s_cbranch_execz .LBB632_5
; %bb.4:
	v_ashrrev_i32_e32 v9, 31, v8
	s_delay_alu instid0(VALU_DEP_1) | instskip(NEXT) | instid1(VALU_DEP_1)
	v_lshlrev_b64 v[13:14], 3, v[8:9]
	v_add_co_u32 v13, s0, v11, v13
	s_delay_alu instid0(VALU_DEP_1)
	v_add_co_ci_u32_e64 v14, s0, v12, v14, s0
	global_store_b64 v[13:14], v[6:7], off
.LBB632_5:
	s_or_b32 exec_lo, exec_lo, s1
	v_add_nc_u32_e32 v6, 16, v8
	s_delay_alu instid0(VALU_DEP_1) | instskip(SKIP_1) | instid1(VALU_DEP_1)
	v_cmp_le_i32_e64 s1, v10, v6
	v_cmp_gt_i32_e64 s0, s4, v6
	s_and_b32 s1, s1, s0
	s_delay_alu instid0(SALU_CYCLE_1)
	s_and_saveexec_b32 s4, s1
	s_cbranch_execz .LBB632_7
; %bb.6:
	v_ashrrev_i32_e32 v7, 31, v6
	s_delay_alu instid0(VALU_DEP_1) | instskip(NEXT) | instid1(VALU_DEP_1)
	v_lshlrev_b64 v[13:14], 3, v[6:7]
	v_add_co_u32 v11, s1, v11, v13
	s_delay_alu instid0(VALU_DEP_1)
	v_add_co_ci_u32_e64 v12, s1, v12, v14, s1
	global_store_b64 v[11:12], v[4:5], off
.LBB632_7:
	s_or_b32 exec_lo, exec_lo, s4
	v_add_nc_u32_e32 v7, 16, v10
	s_delay_alu instid0(VALU_DEP_1) | instskip(SKIP_1) | instid1(VALU_DEP_2)
	v_mad_i64_i32 v[4:5], null, v7, s5, 0
	v_cmp_le_i32_e64 s1, v7, v8
	v_lshlrev_b64 v[4:5], 3, v[4:5]
	s_delay_alu instid0(VALU_DEP_1) | instskip(NEXT) | instid1(VALU_DEP_1)
	v_add_co_u32 v4, s2, s2, v4
	v_add_co_ci_u32_e64 v5, s2, s3, v5, s2
	s_delay_alu instid0(VALU_DEP_4) | instskip(NEXT) | instid1(SALU_CYCLE_1)
	s_and_b32 s2, s1, vcc_lo
	s_and_saveexec_b32 s1, s2
	s_cbranch_execz .LBB632_9
; %bb.8:
	v_ashrrev_i32_e32 v9, 31, v8
	s_delay_alu instid0(VALU_DEP_1) | instskip(NEXT) | instid1(VALU_DEP_1)
	v_lshlrev_b64 v[8:9], 3, v[8:9]
	v_add_co_u32 v8, vcc_lo, v4, v8
	s_delay_alu instid0(VALU_DEP_2)
	v_add_co_ci_u32_e32 v9, vcc_lo, v5, v9, vcc_lo
	global_store_b64 v[8:9], v[2:3], off
.LBB632_9:
	s_or_b32 exec_lo, exec_lo, s1
	v_cmp_le_i32_e32 vcc_lo, v7, v6
	s_and_b32 s0, vcc_lo, s0
	s_delay_alu instid0(SALU_CYCLE_1)
	s_and_saveexec_b32 s1, s0
	s_cbranch_execz .LBB632_11
; %bb.10:
	v_ashrrev_i32_e32 v7, 31, v6
	s_delay_alu instid0(VALU_DEP_1) | instskip(NEXT) | instid1(VALU_DEP_1)
	v_lshlrev_b64 v[2:3], 3, v[6:7]
	v_add_co_u32 v2, vcc_lo, v4, v2
	s_delay_alu instid0(VALU_DEP_2)
	v_add_co_ci_u32_e32 v3, vcc_lo, v5, v3, vcc_lo
	global_store_b64 v[2:3], v[0:1], off
.LBB632_11:
	s_nop 0
	s_sendmsg sendmsg(MSG_DEALLOC_VGPRS)
	s_endpgm
	.section	.rodata,"a",@progbits
	.p2align	6, 0x0
	.amdhsa_kernel _ZL37rocblas_syrkx_herkx_restricted_kernelIi19rocblas_complex_numIfELi16ELi32ELi8ELi1ELi0ELb0ELc78ELc76EKPKS1_KPS1_EviT_PT9_S7_lS9_S7_lPT10_S7_li
		.amdhsa_group_segment_fixed_size 4096
		.amdhsa_private_segment_fixed_size 0
		.amdhsa_kernarg_size 84
		.amdhsa_user_sgpr_count 13
		.amdhsa_user_sgpr_dispatch_ptr 0
		.amdhsa_user_sgpr_queue_ptr 0
		.amdhsa_user_sgpr_kernarg_segment_ptr 1
		.amdhsa_user_sgpr_dispatch_id 0
		.amdhsa_user_sgpr_private_segment_size 0
		.amdhsa_wavefront_size32 1
		.amdhsa_uses_dynamic_stack 0
		.amdhsa_enable_private_segment 0
		.amdhsa_system_sgpr_workgroup_id_x 1
		.amdhsa_system_sgpr_workgroup_id_y 1
		.amdhsa_system_sgpr_workgroup_id_z 1
		.amdhsa_system_sgpr_workgroup_info 0
		.amdhsa_system_vgpr_workitem_id 1
		.amdhsa_next_free_vgpr 92
		.amdhsa_next_free_sgpr 20
		.amdhsa_reserve_vcc 1
		.amdhsa_float_round_mode_32 0
		.amdhsa_float_round_mode_16_64 0
		.amdhsa_float_denorm_mode_32 3
		.amdhsa_float_denorm_mode_16_64 3
		.amdhsa_dx10_clamp 1
		.amdhsa_ieee_mode 1
		.amdhsa_fp16_overflow 0
		.amdhsa_workgroup_processor_mode 1
		.amdhsa_memory_ordered 1
		.amdhsa_forward_progress 0
		.amdhsa_shared_vgpr_count 0
		.amdhsa_exception_fp_ieee_invalid_op 0
		.amdhsa_exception_fp_denorm_src 0
		.amdhsa_exception_fp_ieee_div_zero 0
		.amdhsa_exception_fp_ieee_overflow 0
		.amdhsa_exception_fp_ieee_underflow 0
		.amdhsa_exception_fp_ieee_inexact 0
		.amdhsa_exception_int_div_zero 0
	.end_amdhsa_kernel
	.section	.text._ZL37rocblas_syrkx_herkx_restricted_kernelIi19rocblas_complex_numIfELi16ELi32ELi8ELi1ELi0ELb0ELc78ELc76EKPKS1_KPS1_EviT_PT9_S7_lS9_S7_lPT10_S7_li,"axG",@progbits,_ZL37rocblas_syrkx_herkx_restricted_kernelIi19rocblas_complex_numIfELi16ELi32ELi8ELi1ELi0ELb0ELc78ELc76EKPKS1_KPS1_EviT_PT9_S7_lS9_S7_lPT10_S7_li,comdat
.Lfunc_end632:
	.size	_ZL37rocblas_syrkx_herkx_restricted_kernelIi19rocblas_complex_numIfELi16ELi32ELi8ELi1ELi0ELb0ELc78ELc76EKPKS1_KPS1_EviT_PT9_S7_lS9_S7_lPT10_S7_li, .Lfunc_end632-_ZL37rocblas_syrkx_herkx_restricted_kernelIi19rocblas_complex_numIfELi16ELi32ELi8ELi1ELi0ELb0ELc78ELc76EKPKS1_KPS1_EviT_PT9_S7_lS9_S7_lPT10_S7_li
                                        ; -- End function
	.section	.AMDGPU.csdata,"",@progbits
; Kernel info:
; codeLenInByte = 2028
; NumSgprs: 22
; NumVgprs: 92
; ScratchSize: 0
; MemoryBound: 0
; FloatMode: 240
; IeeeMode: 1
; LDSByteSize: 4096 bytes/workgroup (compile time only)
; SGPRBlocks: 2
; VGPRBlocks: 11
; NumSGPRsForWavesPerEU: 22
; NumVGPRsForWavesPerEU: 92
; Occupancy: 16
; WaveLimiterHint : 1
; COMPUTE_PGM_RSRC2:SCRATCH_EN: 0
; COMPUTE_PGM_RSRC2:USER_SGPR: 13
; COMPUTE_PGM_RSRC2:TRAP_HANDLER: 0
; COMPUTE_PGM_RSRC2:TGID_X_EN: 1
; COMPUTE_PGM_RSRC2:TGID_Y_EN: 1
; COMPUTE_PGM_RSRC2:TGID_Z_EN: 1
; COMPUTE_PGM_RSRC2:TIDIG_COMP_CNT: 1
	.section	.text._ZL37rocblas_syrkx_herkx_restricted_kernelIi19rocblas_complex_numIfELi16ELi32ELi8ELi1ELi0ELb0ELc84ELc85EKPKS1_KPS1_EviT_PT9_S7_lS9_S7_lPT10_S7_li,"axG",@progbits,_ZL37rocblas_syrkx_herkx_restricted_kernelIi19rocblas_complex_numIfELi16ELi32ELi8ELi1ELi0ELb0ELc84ELc85EKPKS1_KPS1_EviT_PT9_S7_lS9_S7_lPT10_S7_li,comdat
	.globl	_ZL37rocblas_syrkx_herkx_restricted_kernelIi19rocblas_complex_numIfELi16ELi32ELi8ELi1ELi0ELb0ELc84ELc85EKPKS1_KPS1_EviT_PT9_S7_lS9_S7_lPT10_S7_li ; -- Begin function _ZL37rocblas_syrkx_herkx_restricted_kernelIi19rocblas_complex_numIfELi16ELi32ELi8ELi1ELi0ELb0ELc84ELc85EKPKS1_KPS1_EviT_PT9_S7_lS9_S7_lPT10_S7_li
	.p2align	8
	.type	_ZL37rocblas_syrkx_herkx_restricted_kernelIi19rocblas_complex_numIfELi16ELi32ELi8ELi1ELi0ELb0ELc84ELc85EKPKS1_KPS1_EviT_PT9_S7_lS9_S7_lPT10_S7_li,@function
_ZL37rocblas_syrkx_herkx_restricted_kernelIi19rocblas_complex_numIfELi16ELi32ELi8ELi1ELi0ELb0ELc84ELc85EKPKS1_KPS1_EviT_PT9_S7_lS9_S7_lPT10_S7_li: ; @_ZL37rocblas_syrkx_herkx_restricted_kernelIi19rocblas_complex_numIfELi16ELi32ELi8ELi1ELi0ELb0ELc84ELc85EKPKS1_KPS1_EviT_PT9_S7_lS9_S7_lPT10_S7_li
; %bb.0:
	s_clause 0x1
	s_load_b64 s[4:5], s[0:1], 0x38
	s_load_b64 s[2:3], s[0:1], 0x0
	s_mov_b32 s6, s15
	s_mov_b32 s7, 0
	v_dual_mov_b32 v7, 0 :: v_dual_and_b32 v12, 0x3ff, v0
	s_lshl_b64 s[8:9], s[6:7], 3
	v_bfe_u32 v13, v0, 10, 10
	v_dual_mov_b32 v6, 0 :: v_dual_mov_b32 v5, 0
	v_dual_mov_b32 v4, 0 :: v_dual_mov_b32 v3, 0
	;; [unrolled: 1-line block ×3, first 2 shown]
	v_mov_b32_e32 v0, 0
	s_waitcnt lgkmcnt(0)
	s_add_u32 s4, s4, s8
	s_addc_u32 s5, s5, s9
	s_lshl_b32 s6, s13, 5
	s_load_b64 s[4:5], s[4:5], 0x0
	s_lshl_b32 s10, s14, 5
	s_cmp_lt_i32 s3, 1
	s_cbranch_scc1 .LBB633_3
; %bb.1:
	s_clause 0x3
	s_load_b64 s[12:13], s[0:1], 0x8
	s_load_b64 s[14:15], s[0:1], 0x20
	s_load_b32 s11, s[0:1], 0x10
	s_load_b32 s16, s[0:1], 0x28
	v_lshl_add_u32 v2, v13, 4, v12
	v_dual_mov_b32 v1, 0 :: v_dual_and_b32 v0, 7, v12
	v_lshlrev_b32_e32 v14, 3, v12
	v_lshl_add_u32 v15, v13, 6, 0x800
	s_delay_alu instid0(VALU_DEP_4) | instskip(SKIP_3) | instid1(VALU_DEP_4)
	v_and_b32_e32 v8, 31, v2
	v_lshrrev_b32_e32 v3, 3, v2
	v_lshrrev_b32_e32 v4, 5, v2
	v_dual_mov_b32 v5, v1 :: v_dual_lshlrev_b32 v2, 3, v0
	v_add_nc_u32_e32 v9, s6, v8
	s_delay_alu instid0(VALU_DEP_4)
	v_add_nc_u32_e32 v10, s10, v3
	v_lshlrev_b32_e32 v11, 3, v8
	s_waitcnt lgkmcnt(0)
	s_add_u32 s12, s12, s8
	s_addc_u32 s13, s13, s9
	s_add_u32 s8, s14, s8
	s_load_b64 s[12:13], s[12:13], 0x0
	s_addc_u32 s9, s15, s9
	v_mad_i64_i32 v[6:7], null, s11, v9, v[4:5]
	s_load_b64 s[8:9], s[8:9], 0x0
	v_mad_i64_i32 v[8:9], null, s16, v10, v[0:1]
	v_lshl_or_b32 v16, v4, 8, v11
	s_delay_alu instid0(VALU_DEP_3) | instskip(NEXT) | instid1(VALU_DEP_3)
	v_lshlrev_b64 v[5:6], 3, v[6:7]
	v_lshlrev_b64 v[7:8], 3, v[8:9]
	s_waitcnt lgkmcnt(0)
	s_delay_alu instid0(VALU_DEP_2) | instskip(NEXT) | instid1(VALU_DEP_3)
	v_add_co_u32 v4, vcc_lo, v5, s12
	v_add_co_ci_u32_e32 v5, vcc_lo, s13, v6, vcc_lo
	s_delay_alu instid0(VALU_DEP_3) | instskip(NEXT) | instid1(VALU_DEP_4)
	v_add_co_u32 v6, vcc_lo, v7, s8
	v_add_co_ci_u32_e32 v7, vcc_lo, s9, v8, vcc_lo
	s_delay_alu instid0(VALU_DEP_4) | instskip(NEXT) | instid1(VALU_DEP_4)
	v_add_co_u32 v8, vcc_lo, v4, 4
	v_add_co_ci_u32_e32 v9, vcc_lo, 0, v5, vcc_lo
	v_mov_b32_e32 v5, v1
	v_lshl_or_b32 v0, v3, 6, v2
	v_add_co_u32 v10, vcc_lo, v6, 4
	v_mov_b32_e32 v3, v1
	s_delay_alu instid0(VALU_DEP_3)
	v_dual_mov_b32 v2, v1 :: v_dual_add_nc_u32 v17, 0x800, v0
	v_mov_b32_e32 v4, v1
	v_mov_b32_e32 v0, v1
	v_add_co_ci_u32_e32 v11, vcc_lo, 0, v7, vcc_lo
	v_mov_b32_e32 v7, v1
	v_mov_b32_e32 v6, v1
.LBB633_2:                              ; =>This Inner Loop Header: Depth=1
	global_load_b64 v[18:19], v[8:9], off offset:-4
	global_load_b64 v[20:21], v[10:11], off offset:-4
	v_add_co_u32 v8, vcc_lo, v8, 64
	v_add_co_ci_u32_e32 v9, vcc_lo, 0, v9, vcc_lo
	v_add_co_u32 v10, vcc_lo, v10, 64
	v_add_co_ci_u32_e32 v11, vcc_lo, 0, v11, vcc_lo
	s_add_i32 s7, s7, 8
	s_waitcnt vmcnt(1)
	ds_store_b64 v16, v[18:19]
	s_waitcnt vmcnt(0)
	ds_store_b64 v17, v[20:21]
	s_waitcnt lgkmcnt(0)
	s_barrier
	buffer_gl0_inv
	ds_load_2addr_b64 v[18:21], v14 offset1:16
	ds_load_b128 v[22:25], v15
	ds_load_b128 v[26:29], v15 offset:1024
	ds_load_b128 v[30:33], v15 offset:16
	ds_load_2addr_b64 v[34:37], v14 offset0:32 offset1:48
	ds_load_b128 v[38:41], v15 offset:32
	ds_load_b128 v[42:45], v15 offset:48
	ds_load_2addr_b64 v[46:49], v14 offset0:64 offset1:80
	ds_load_b128 v[50:53], v15 offset:1040
	ds_load_2addr_b64 v[54:57], v14 offset0:96 offset1:112
	ds_load_2addr_b64 v[58:61], v14 offset0:128 offset1:144
	;; [unrolled: 1-line block ×4, first 2 shown]
	ds_load_b128 v[70:73], v15 offset:1056
	ds_load_b128 v[74:77], v15 offset:1072
	ds_load_2addr_b64 v[78:81], v14 offset0:224 offset1:240
	s_cmp_ge_i32 s7, s3
	s_waitcnt lgkmcnt(0)
	s_barrier
	buffer_gl0_inv
	v_dual_mul_f32 v82, v23, v19 :: v_dual_mul_f32 v85, v22, v21
	v_dual_mul_f32 v83, v22, v19 :: v_dual_mul_f32 v84, v23, v21
	v_mul_f32_e32 v86, v27, v19
	v_dual_mul_f32 v19, v26, v19 :: v_dual_mul_f32 v90, v25, v37
	v_dual_mul_f32 v87, v27, v21 :: v_dual_mul_f32 v88, v25, v35
	v_mul_f32_e32 v21, v26, v21
	v_mul_f32_e32 v89, v24, v35
	v_mul_f32_e32 v91, v24, v37
	v_fma_f32 v82, v22, v18, -v82
	v_fmac_f32_e32 v83, v23, v18
	v_fma_f32 v22, v22, v20, -v84
	v_dual_fmac_f32 v85, v23, v20 :: v_dual_mul_f32 v84, v30, v47
	v_fma_f32 v23, v26, v18, -v86
	v_fmac_f32_e32 v19, v27, v18
	v_fma_f32 v18, v26, v20, -v87
	v_dual_mul_f32 v26, v28, v35 :: v_dual_fmac_f32 v21, v27, v20
	v_mul_f32_e32 v20, v29, v35
	v_mul_f32_e32 v27, v29, v37
	v_dual_mul_f32 v35, v28, v37 :: v_dual_fmac_f32 v84, v31, v46
	v_fma_f32 v37, v24, v34, -v88
	v_fma_f32 v24, v24, v36, -v90
	v_dual_fmac_f32 v91, v25, v36 :: v_dual_mul_f32 v90, v32, v57
	v_dual_mul_f32 v86, v31, v49 :: v_dual_fmac_f32 v89, v25, v34
	v_dual_mul_f32 v25, v31, v47 :: v_dual_mul_f32 v88, v33, v57
	v_fma_f32 v20, v28, v34, -v20
	v_fmac_f32_e32 v26, v29, v34
	v_fma_f32 v27, v28, v36, -v27
	v_dual_fmac_f32 v35, v29, v36 :: v_dual_mul_f32 v28, v51, v47
	v_dual_mul_f32 v29, v50, v47 :: v_dual_mul_f32 v34, v51, v49
	v_mul_f32_e32 v36, v50, v49
	v_mul_f32_e32 v87, v30, v49
	;; [unrolled: 1-line block ×3, first 2 shown]
	v_dual_mul_f32 v49, v32, v55 :: v_dual_fmac_f32 v90, v33, v56
	v_fma_f32 v25, v30, v46, -v25
	v_fma_f32 v30, v30, v48, -v86
	;; [unrolled: 1-line block ×3, first 2 shown]
	v_fmac_f32_e32 v36, v51, v48
	v_fmac_f32_e32 v87, v31, v48
	v_fma_f32 v31, v50, v48, -v34
	v_mul_f32_e32 v34, v53, v55
	v_mul_f32_e32 v48, v53, v57
	v_dual_mul_f32 v50, v52, v57 :: v_dual_fmac_f32 v29, v51, v46
	v_mul_f32_e32 v46, v52, v55
	v_fma_f32 v47, v32, v54, -v47
	v_fmac_f32_e32 v49, v33, v54
	v_fma_f32 v32, v32, v56, -v88
	s_delay_alu instid0(VALU_DEP_4)
	v_dual_mul_f32 v33, v39, v59 :: v_dual_fmac_f32 v46, v53, v54
	v_mul_f32_e32 v51, v38, v59
	v_mul_f32_e32 v55, v39, v61
	v_fma_f32 v34, v52, v54, -v34
	v_fma_f32 v48, v52, v56, -v48
	v_fmac_f32_e32 v50, v53, v56
	v_mul_f32_e32 v52, v71, v59
	v_dual_mul_f32 v53, v70, v59 :: v_dual_mul_f32 v86, v41, v65
	v_mul_f32_e32 v54, v71, v61
	v_dual_mul_f32 v56, v70, v61 :: v_dual_mul_f32 v59, v41, v63
	v_mul_f32_e32 v57, v38, v61
	v_mul_f32_e32 v61, v40, v63
	v_dual_mul_f32 v88, v40, v65 :: v_dual_fmac_f32 v51, v39, v58
	v_fma_f32 v33, v38, v58, -v33
	v_fmac_f32_e32 v53, v71, v58
	v_fmac_f32_e32 v56, v71, v60
	s_delay_alu instid0(VALU_DEP_4)
	v_fmac_f32_e32 v88, v41, v64
	v_fmac_f32_e32 v57, v39, v60
	v_fma_f32 v39, v70, v58, -v52
	v_fma_f32 v52, v70, v60, -v54
	v_mul_f32_e32 v54, v73, v63
	v_fma_f32 v38, v38, v60, -v55
	v_mul_f32_e32 v60, v72, v65
	v_dual_mul_f32 v55, v72, v63 :: v_dual_mul_f32 v70, v42, v69
	v_mul_f32_e32 v58, v73, v65
	v_fma_f32 v59, v40, v62, -v59
	v_fmac_f32_e32 v61, v41, v62
	v_fma_f32 v40, v40, v64, -v86
	v_dual_mul_f32 v41, v43, v67 :: v_dual_fmac_f32 v60, v73, v64
	v_dual_mul_f32 v63, v42, v67 :: v_dual_mul_f32 v86, v44, v81
	v_mul_f32_e32 v65, v43, v69
	v_fma_f32 v54, v72, v62, -v54
	v_fmac_f32_e32 v55, v73, v62
	v_fma_f32 v58, v72, v64, -v58
	v_mul_f32_e32 v72, v44, v79
	v_mul_f32_e32 v62, v75, v67
	v_dual_mul_f32 v64, v74, v67 :: v_dual_mul_f32 v67, v75, v69
	v_dual_mul_f32 v69, v74, v69 :: v_dual_fmac_f32 v70, v43, v68
	s_delay_alu instid0(VALU_DEP_2)
	v_dual_mul_f32 v71, v45, v79 :: v_dual_fmac_f32 v64, v75, v66
	v_fma_f32 v41, v42, v66, -v41
	v_fmac_f32_e32 v63, v43, v66
	v_fma_f32 v43, v74, v66, -v62
	v_dual_mul_f32 v66, v76, v79 :: v_dual_mul_f32 v73, v45, v81
	v_add_f32_e32 v6, v6, v82
	v_fma_f32 v42, v42, v68, -v65
	v_fma_f32 v62, v74, v68, -v67
	v_dual_fmac_f32 v69, v75, v68 :: v_dual_fmac_f32 v72, v45, v78
	v_dual_mul_f32 v65, v77, v79 :: v_dual_add_f32 v4, v4, v22
	v_dual_mul_f32 v67, v77, v81 :: v_dual_add_f32 v2, v2, v23
	v_mul_f32_e32 v68, v76, v81
	v_dual_fmac_f32 v86, v45, v80 :: v_dual_add_f32 v7, v7, v83
	v_dual_fmac_f32 v66, v77, v78 :: v_dual_add_f32 v3, v3, v19
	v_dual_add_f32 v5, v5, v85 :: v_dual_add_f32 v0, v0, v18
	v_dual_add_f32 v1, v1, v21 :: v_dual_add_f32 v4, v4, v24
	s_delay_alu instid0(VALU_DEP_4) | instskip(NEXT) | instid1(VALU_DEP_3)
	v_dual_fmac_f32 v68, v77, v80 :: v_dual_add_f32 v7, v7, v89
	v_dual_add_f32 v6, v6, v37 :: v_dual_add_f32 v5, v5, v91
	v_dual_add_f32 v2, v2, v20 :: v_dual_add_f32 v3, v3, v26
	s_delay_alu instid0(VALU_DEP_3) | instskip(NEXT) | instid1(VALU_DEP_3)
	v_dual_add_f32 v0, v0, v27 :: v_dual_add_f32 v7, v7, v84
	v_dual_add_f32 v1, v1, v35 :: v_dual_add_f32 v6, v6, v25
	s_delay_alu instid0(VALU_DEP_4) | instskip(NEXT) | instid1(VALU_DEP_4)
	v_dual_add_f32 v4, v4, v30 :: v_dual_add_f32 v5, v5, v87
	v_dual_add_f32 v2, v2, v28 :: v_dual_add_f32 v3, v3, v29
	s_delay_alu instid0(VALU_DEP_3) | instskip(NEXT) | instid1(VALU_DEP_4)
	v_dual_add_f32 v0, v0, v31 :: v_dual_add_f32 v1, v1, v36
	v_dual_add_f32 v6, v6, v47 :: v_dual_add_f32 v7, v7, v49
	s_delay_alu instid0(VALU_DEP_4) | instskip(NEXT) | instid1(VALU_DEP_4)
	v_dual_add_f32 v4, v4, v32 :: v_dual_add_f32 v5, v5, v90
	v_add_f32_e32 v2, v2, v34
	s_delay_alu instid0(VALU_DEP_4) | instskip(NEXT) | instid1(VALU_DEP_4)
	v_dual_add_f32 v3, v3, v46 :: v_dual_add_f32 v0, v0, v48
	v_dual_add_f32 v1, v1, v50 :: v_dual_add_f32 v6, v6, v33
	s_delay_alu instid0(VALU_DEP_4) | instskip(NEXT) | instid1(VALU_DEP_4)
	v_dual_add_f32 v7, v7, v51 :: v_dual_add_f32 v4, v4, v38
	v_dual_add_f32 v5, v5, v57 :: v_dual_add_f32 v2, v2, v39
	s_delay_alu instid0(VALU_DEP_4) | instskip(NEXT) | instid1(VALU_DEP_3)
	v_dual_add_f32 v3, v3, v53 :: v_dual_add_f32 v0, v0, v52
	v_add_f32_e32 v7, v7, v61
	v_dual_add_f32 v1, v1, v56 :: v_dual_add_f32 v6, v6, v59
	s_delay_alu instid0(VALU_DEP_3) | instskip(SKIP_1) | instid1(VALU_DEP_3)
	v_dual_add_f32 v4, v4, v40 :: v_dual_add_f32 v3, v3, v55
	v_dual_add_f32 v5, v5, v88 :: v_dual_add_f32 v2, v2, v54
	;; [unrolled: 1-line block ×3, first 2 shown]
	v_fma_f32 v71, v44, v78, -v71
	v_fma_f32 v44, v44, v80, -v73
	v_fma_f32 v45, v76, v78, -v65
	v_fma_f32 v65, v76, v80, -v67
	v_dual_add_f32 v6, v6, v41 :: v_dual_add_f32 v7, v7, v63
	v_dual_add_f32 v4, v4, v42 :: v_dual_add_f32 v3, v3, v64
	v_dual_add_f32 v5, v5, v70 :: v_dual_add_f32 v2, v2, v43
	v_dual_add_f32 v0, v0, v62 :: v_dual_add_f32 v1, v1, v69
	s_delay_alu instid0(VALU_DEP_4) | instskip(NEXT) | instid1(VALU_DEP_3)
	v_dual_add_f32 v6, v6, v71 :: v_dual_add_f32 v7, v7, v72
	v_dual_add_f32 v4, v4, v44 :: v_dual_add_f32 v5, v5, v86
	s_delay_alu instid0(VALU_DEP_4) | instskip(NEXT) | instid1(VALU_DEP_4)
	v_dual_add_f32 v2, v2, v45 :: v_dual_add_f32 v3, v3, v66
	v_dual_add_f32 v0, v0, v65 :: v_dual_add_f32 v1, v1, v68
	s_cbranch_scc0 .LBB633_2
.LBB633_3:
	s_load_b32 s3, s[0:1], 0x40
	v_add_nc_u32_e32 v10, s10, v13
	v_add_nc_u32_e32 v8, s6, v12
	s_delay_alu instid0(VALU_DEP_2) | instskip(NEXT) | instid1(VALU_DEP_2)
	v_cmp_gt_i32_e32 vcc_lo, s2, v10
	v_cmp_le_i32_e64 s0, v8, v10
	s_delay_alu instid0(VALU_DEP_1) | instskip(SKIP_2) | instid1(VALU_DEP_1)
	s_and_b32 s0, vcc_lo, s0
	s_waitcnt lgkmcnt(0)
	v_mad_i64_i32 v[13:14], null, v10, s3, 0
	v_lshlrev_b64 v[11:12], 3, v[13:14]
	s_delay_alu instid0(VALU_DEP_1) | instskip(NEXT) | instid1(VALU_DEP_1)
	v_add_co_u32 v11, s1, s4, v11
	v_add_co_ci_u32_e64 v12, s1, s5, v12, s1
	s_and_saveexec_b32 s1, s0
	s_cbranch_execz .LBB633_5
; %bb.4:
	v_ashrrev_i32_e32 v9, 31, v8
	s_delay_alu instid0(VALU_DEP_1) | instskip(NEXT) | instid1(VALU_DEP_1)
	v_lshlrev_b64 v[13:14], 3, v[8:9]
	v_add_co_u32 v13, s0, v11, v13
	s_delay_alu instid0(VALU_DEP_1)
	v_add_co_ci_u32_e64 v14, s0, v12, v14, s0
	global_store_b64 v[13:14], v[6:7], off
.LBB633_5:
	s_or_b32 exec_lo, exec_lo, s1
	v_add_nc_u32_e32 v6, 16, v8
	s_delay_alu instid0(VALU_DEP_1) | instskip(NEXT) | instid1(VALU_DEP_1)
	v_cmp_le_i32_e64 s0, v6, v10
	s_and_b32 s1, vcc_lo, s0
	s_delay_alu instid0(SALU_CYCLE_1)
	s_and_saveexec_b32 s0, s1
	s_cbranch_execz .LBB633_7
; %bb.6:
	v_ashrrev_i32_e32 v7, 31, v6
	s_delay_alu instid0(VALU_DEP_1) | instskip(NEXT) | instid1(VALU_DEP_1)
	v_lshlrev_b64 v[13:14], 3, v[6:7]
	v_add_co_u32 v11, vcc_lo, v11, v13
	s_delay_alu instid0(VALU_DEP_2)
	v_add_co_ci_u32_e32 v12, vcc_lo, v12, v14, vcc_lo
	global_store_b64 v[11:12], v[4:5], off
.LBB633_7:
	s_or_b32 exec_lo, exec_lo, s0
	v_add_nc_u32_e32 v7, 16, v10
	s_delay_alu instid0(VALU_DEP_1) | instskip(SKIP_2) | instid1(VALU_DEP_1)
	v_mad_i64_i32 v[4:5], null, v7, s3, 0
	v_cmp_gt_i32_e32 vcc_lo, s2, v7
	v_cmp_le_i32_e64 s0, v8, v7
	s_and_b32 s0, vcc_lo, s0
	s_delay_alu instid0(VALU_DEP_3) | instskip(NEXT) | instid1(VALU_DEP_1)
	v_lshlrev_b64 v[4:5], 3, v[4:5]
	v_add_co_u32 v4, s1, s4, v4
	s_delay_alu instid0(VALU_DEP_1)
	v_add_co_ci_u32_e64 v5, s1, s5, v5, s1
	s_and_saveexec_b32 s1, s0
	s_cbranch_execz .LBB633_9
; %bb.8:
	v_ashrrev_i32_e32 v9, 31, v8
	s_delay_alu instid0(VALU_DEP_1) | instskip(NEXT) | instid1(VALU_DEP_1)
	v_lshlrev_b64 v[8:9], 3, v[8:9]
	v_add_co_u32 v8, s0, v4, v8
	s_delay_alu instid0(VALU_DEP_1)
	v_add_co_ci_u32_e64 v9, s0, v5, v9, s0
	global_store_b64 v[8:9], v[2:3], off
.LBB633_9:
	s_or_b32 exec_lo, exec_lo, s1
	v_cmp_le_i32_e64 s0, v6, v7
	s_delay_alu instid0(VALU_DEP_1) | instskip(NEXT) | instid1(SALU_CYCLE_1)
	s_and_b32 s0, vcc_lo, s0
	s_and_saveexec_b32 s1, s0
	s_cbranch_execz .LBB633_11
; %bb.10:
	v_ashrrev_i32_e32 v7, 31, v6
	s_delay_alu instid0(VALU_DEP_1) | instskip(NEXT) | instid1(VALU_DEP_1)
	v_lshlrev_b64 v[2:3], 3, v[6:7]
	v_add_co_u32 v2, vcc_lo, v4, v2
	s_delay_alu instid0(VALU_DEP_2)
	v_add_co_ci_u32_e32 v3, vcc_lo, v5, v3, vcc_lo
	global_store_b64 v[2:3], v[0:1], off
.LBB633_11:
	s_nop 0
	s_sendmsg sendmsg(MSG_DEALLOC_VGPRS)
	s_endpgm
	.section	.rodata,"a",@progbits
	.p2align	6, 0x0
	.amdhsa_kernel _ZL37rocblas_syrkx_herkx_restricted_kernelIi19rocblas_complex_numIfELi16ELi32ELi8ELi1ELi0ELb0ELc84ELc85EKPKS1_KPS1_EviT_PT9_S7_lS9_S7_lPT10_S7_li
		.amdhsa_group_segment_fixed_size 4096
		.amdhsa_private_segment_fixed_size 0
		.amdhsa_kernarg_size 84
		.amdhsa_user_sgpr_count 13
		.amdhsa_user_sgpr_dispatch_ptr 0
		.amdhsa_user_sgpr_queue_ptr 0
		.amdhsa_user_sgpr_kernarg_segment_ptr 1
		.amdhsa_user_sgpr_dispatch_id 0
		.amdhsa_user_sgpr_private_segment_size 0
		.amdhsa_wavefront_size32 1
		.amdhsa_uses_dynamic_stack 0
		.amdhsa_enable_private_segment 0
		.amdhsa_system_sgpr_workgroup_id_x 1
		.amdhsa_system_sgpr_workgroup_id_y 1
		.amdhsa_system_sgpr_workgroup_id_z 1
		.amdhsa_system_sgpr_workgroup_info 0
		.amdhsa_system_vgpr_workitem_id 1
		.amdhsa_next_free_vgpr 92
		.amdhsa_next_free_sgpr 17
		.amdhsa_reserve_vcc 1
		.amdhsa_float_round_mode_32 0
		.amdhsa_float_round_mode_16_64 0
		.amdhsa_float_denorm_mode_32 3
		.amdhsa_float_denorm_mode_16_64 3
		.amdhsa_dx10_clamp 1
		.amdhsa_ieee_mode 1
		.amdhsa_fp16_overflow 0
		.amdhsa_workgroup_processor_mode 1
		.amdhsa_memory_ordered 1
		.amdhsa_forward_progress 0
		.amdhsa_shared_vgpr_count 0
		.amdhsa_exception_fp_ieee_invalid_op 0
		.amdhsa_exception_fp_denorm_src 0
		.amdhsa_exception_fp_ieee_div_zero 0
		.amdhsa_exception_fp_ieee_overflow 0
		.amdhsa_exception_fp_ieee_underflow 0
		.amdhsa_exception_fp_ieee_inexact 0
		.amdhsa_exception_int_div_zero 0
	.end_amdhsa_kernel
	.section	.text._ZL37rocblas_syrkx_herkx_restricted_kernelIi19rocblas_complex_numIfELi16ELi32ELi8ELi1ELi0ELb0ELc84ELc85EKPKS1_KPS1_EviT_PT9_S7_lS9_S7_lPT10_S7_li,"axG",@progbits,_ZL37rocblas_syrkx_herkx_restricted_kernelIi19rocblas_complex_numIfELi16ELi32ELi8ELi1ELi0ELb0ELc84ELc85EKPKS1_KPS1_EviT_PT9_S7_lS9_S7_lPT10_S7_li,comdat
.Lfunc_end633:
	.size	_ZL37rocblas_syrkx_herkx_restricted_kernelIi19rocblas_complex_numIfELi16ELi32ELi8ELi1ELi0ELb0ELc84ELc85EKPKS1_KPS1_EviT_PT9_S7_lS9_S7_lPT10_S7_li, .Lfunc_end633-_ZL37rocblas_syrkx_herkx_restricted_kernelIi19rocblas_complex_numIfELi16ELi32ELi8ELi1ELi0ELb0ELc84ELc85EKPKS1_KPS1_EviT_PT9_S7_lS9_S7_lPT10_S7_li
                                        ; -- End function
	.section	.AMDGPU.csdata,"",@progbits
; Kernel info:
; codeLenInByte = 2012
; NumSgprs: 19
; NumVgprs: 92
; ScratchSize: 0
; MemoryBound: 0
; FloatMode: 240
; IeeeMode: 1
; LDSByteSize: 4096 bytes/workgroup (compile time only)
; SGPRBlocks: 2
; VGPRBlocks: 11
; NumSGPRsForWavesPerEU: 19
; NumVGPRsForWavesPerEU: 92
; Occupancy: 16
; WaveLimiterHint : 1
; COMPUTE_PGM_RSRC2:SCRATCH_EN: 0
; COMPUTE_PGM_RSRC2:USER_SGPR: 13
; COMPUTE_PGM_RSRC2:TRAP_HANDLER: 0
; COMPUTE_PGM_RSRC2:TGID_X_EN: 1
; COMPUTE_PGM_RSRC2:TGID_Y_EN: 1
; COMPUTE_PGM_RSRC2:TGID_Z_EN: 1
; COMPUTE_PGM_RSRC2:TIDIG_COMP_CNT: 1
	.section	.text._ZL37rocblas_syrkx_herkx_restricted_kernelIi19rocblas_complex_numIfELi16ELi32ELi8ELi1ELi0ELb0ELc67ELc85EKPKS1_KPS1_EviT_PT9_S7_lS9_S7_lPT10_S7_li,"axG",@progbits,_ZL37rocblas_syrkx_herkx_restricted_kernelIi19rocblas_complex_numIfELi16ELi32ELi8ELi1ELi0ELb0ELc67ELc85EKPKS1_KPS1_EviT_PT9_S7_lS9_S7_lPT10_S7_li,comdat
	.globl	_ZL37rocblas_syrkx_herkx_restricted_kernelIi19rocblas_complex_numIfELi16ELi32ELi8ELi1ELi0ELb0ELc67ELc85EKPKS1_KPS1_EviT_PT9_S7_lS9_S7_lPT10_S7_li ; -- Begin function _ZL37rocblas_syrkx_herkx_restricted_kernelIi19rocblas_complex_numIfELi16ELi32ELi8ELi1ELi0ELb0ELc67ELc85EKPKS1_KPS1_EviT_PT9_S7_lS9_S7_lPT10_S7_li
	.p2align	8
	.type	_ZL37rocblas_syrkx_herkx_restricted_kernelIi19rocblas_complex_numIfELi16ELi32ELi8ELi1ELi0ELb0ELc67ELc85EKPKS1_KPS1_EviT_PT9_S7_lS9_S7_lPT10_S7_li,@function
_ZL37rocblas_syrkx_herkx_restricted_kernelIi19rocblas_complex_numIfELi16ELi32ELi8ELi1ELi0ELb0ELc67ELc85EKPKS1_KPS1_EviT_PT9_S7_lS9_S7_lPT10_S7_li: ; @_ZL37rocblas_syrkx_herkx_restricted_kernelIi19rocblas_complex_numIfELi16ELi32ELi8ELi1ELi0ELb0ELc67ELc85EKPKS1_KPS1_EviT_PT9_S7_lS9_S7_lPT10_S7_li
; %bb.0:
	s_clause 0x1
	s_load_b64 s[4:5], s[0:1], 0x38
	s_load_b64 s[2:3], s[0:1], 0x0
	s_mov_b32 s6, s15
	s_mov_b32 s7, 0
	v_dual_mov_b32 v7, 0 :: v_dual_and_b32 v12, 0x3ff, v0
	s_lshl_b64 s[8:9], s[6:7], 3
	v_bfe_u32 v13, v0, 10, 10
	v_dual_mov_b32 v6, 0 :: v_dual_mov_b32 v5, 0
	v_dual_mov_b32 v4, 0 :: v_dual_mov_b32 v3, 0
	;; [unrolled: 1-line block ×3, first 2 shown]
	v_mov_b32_e32 v0, 0
	s_waitcnt lgkmcnt(0)
	s_add_u32 s4, s4, s8
	s_addc_u32 s5, s5, s9
	s_lshl_b32 s6, s13, 5
	s_load_b64 s[4:5], s[4:5], 0x0
	s_lshl_b32 s10, s14, 5
	s_cmp_lt_i32 s3, 1
	s_cbranch_scc1 .LBB634_3
; %bb.1:
	s_clause 0x3
	s_load_b64 s[12:13], s[0:1], 0x8
	s_load_b64 s[14:15], s[0:1], 0x20
	s_load_b32 s11, s[0:1], 0x10
	s_load_b32 s16, s[0:1], 0x28
	v_lshl_add_u32 v2, v13, 4, v12
	v_dual_mov_b32 v1, 0 :: v_dual_and_b32 v0, 7, v12
	v_lshlrev_b32_e32 v14, 3, v12
	v_lshl_add_u32 v15, v13, 6, 0x800
	s_delay_alu instid0(VALU_DEP_4) | instskip(SKIP_3) | instid1(VALU_DEP_4)
	v_and_b32_e32 v8, 31, v2
	v_lshrrev_b32_e32 v3, 3, v2
	v_lshrrev_b32_e32 v4, 5, v2
	v_dual_mov_b32 v5, v1 :: v_dual_lshlrev_b32 v2, 3, v0
	v_add_nc_u32_e32 v9, s6, v8
	s_delay_alu instid0(VALU_DEP_4)
	v_add_nc_u32_e32 v10, s10, v3
	v_lshlrev_b32_e32 v11, 3, v8
	s_waitcnt lgkmcnt(0)
	s_add_u32 s12, s12, s8
	s_addc_u32 s13, s13, s9
	s_add_u32 s8, s14, s8
	s_load_b64 s[12:13], s[12:13], 0x0
	s_addc_u32 s9, s15, s9
	v_mad_i64_i32 v[6:7], null, s11, v9, v[4:5]
	s_load_b64 s[8:9], s[8:9], 0x0
	v_mad_i64_i32 v[8:9], null, s16, v10, v[0:1]
	v_lshl_or_b32 v16, v4, 8, v11
	s_delay_alu instid0(VALU_DEP_3) | instskip(NEXT) | instid1(VALU_DEP_3)
	v_lshlrev_b64 v[5:6], 3, v[6:7]
	v_lshlrev_b64 v[7:8], 3, v[8:9]
	s_waitcnt lgkmcnt(0)
	s_delay_alu instid0(VALU_DEP_2) | instskip(NEXT) | instid1(VALU_DEP_3)
	v_add_co_u32 v4, vcc_lo, v5, s12
	v_add_co_ci_u32_e32 v5, vcc_lo, s13, v6, vcc_lo
	s_delay_alu instid0(VALU_DEP_3) | instskip(NEXT) | instid1(VALU_DEP_4)
	v_add_co_u32 v6, vcc_lo, v7, s8
	v_add_co_ci_u32_e32 v7, vcc_lo, s9, v8, vcc_lo
	s_delay_alu instid0(VALU_DEP_4) | instskip(NEXT) | instid1(VALU_DEP_4)
	v_add_co_u32 v8, vcc_lo, v4, 4
	v_add_co_ci_u32_e32 v9, vcc_lo, 0, v5, vcc_lo
	v_mov_b32_e32 v5, v1
	v_lshl_or_b32 v0, v3, 6, v2
	v_add_co_u32 v10, vcc_lo, v6, 4
	v_mov_b32_e32 v3, v1
	s_delay_alu instid0(VALU_DEP_3)
	v_dual_mov_b32 v2, v1 :: v_dual_add_nc_u32 v17, 0x800, v0
	v_mov_b32_e32 v4, v1
	v_mov_b32_e32 v0, v1
	v_add_co_ci_u32_e32 v11, vcc_lo, 0, v7, vcc_lo
	v_mov_b32_e32 v7, v1
	v_mov_b32_e32 v6, v1
.LBB634_2:                              ; =>This Inner Loop Header: Depth=1
	global_load_b64 v[18:19], v[8:9], off offset:-4
	global_load_b64 v[20:21], v[10:11], off offset:-4
	v_add_co_u32 v8, vcc_lo, v8, 64
	v_add_co_ci_u32_e32 v9, vcc_lo, 0, v9, vcc_lo
	v_add_co_u32 v10, vcc_lo, v10, 64
	v_add_co_ci_u32_e32 v11, vcc_lo, 0, v11, vcc_lo
	s_add_i32 s7, s7, 8
	s_waitcnt vmcnt(1)
	ds_store_b64 v16, v[18:19]
	s_waitcnt vmcnt(0)
	ds_store_b64 v17, v[20:21]
	s_waitcnt lgkmcnt(0)
	s_barrier
	buffer_gl0_inv
	ds_load_2addr_b64 v[18:21], v14 offset1:16
	ds_load_b128 v[22:25], v15
	ds_load_b128 v[26:29], v15 offset:1024
	ds_load_b128 v[30:33], v15 offset:16
	ds_load_2addr_b64 v[34:37], v14 offset0:32 offset1:48
	ds_load_b128 v[38:41], v15 offset:32
	ds_load_b128 v[42:45], v15 offset:48
	ds_load_2addr_b64 v[46:49], v14 offset0:64 offset1:80
	ds_load_b128 v[50:53], v15 offset:1040
	ds_load_2addr_b64 v[54:57], v14 offset0:96 offset1:112
	ds_load_2addr_b64 v[58:61], v14 offset0:128 offset1:144
	;; [unrolled: 1-line block ×4, first 2 shown]
	ds_load_b128 v[70:73], v15 offset:1056
	ds_load_b128 v[74:77], v15 offset:1072
	ds_load_2addr_b64 v[78:81], v14 offset0:224 offset1:240
	s_cmp_ge_i32 s7, s3
	s_waitcnt lgkmcnt(0)
	s_barrier
	buffer_gl0_inv
	v_dual_mul_f32 v82, v23, v19 :: v_dual_mul_f32 v85, v22, v21
	v_dual_mul_f32 v83, v22, v19 :: v_dual_mul_f32 v84, v23, v21
	v_mul_f32_e32 v86, v27, v19
	v_dual_mul_f32 v19, v26, v19 :: v_dual_mul_f32 v90, v25, v37
	v_dual_mul_f32 v87, v27, v21 :: v_dual_mul_f32 v88, v25, v35
	v_mul_f32_e32 v21, v26, v21
	v_mul_f32_e32 v89, v24, v35
	v_mul_f32_e32 v91, v24, v37
	v_fma_f32 v82, v22, v18, -v82
	v_fmac_f32_e32 v83, v23, v18
	v_fma_f32 v22, v22, v20, -v84
	v_dual_fmac_f32 v85, v23, v20 :: v_dual_mul_f32 v84, v30, v47
	v_fma_f32 v23, v26, v18, -v86
	v_fmac_f32_e32 v19, v27, v18
	v_fma_f32 v18, v26, v20, -v87
	v_dual_mul_f32 v26, v28, v35 :: v_dual_fmac_f32 v21, v27, v20
	v_mul_f32_e32 v20, v29, v35
	v_mul_f32_e32 v27, v29, v37
	v_dual_mul_f32 v35, v28, v37 :: v_dual_fmac_f32 v84, v31, v46
	v_fma_f32 v37, v24, v34, -v88
	v_fma_f32 v24, v24, v36, -v90
	v_dual_fmac_f32 v91, v25, v36 :: v_dual_mul_f32 v90, v32, v57
	v_dual_mul_f32 v86, v31, v49 :: v_dual_fmac_f32 v89, v25, v34
	v_dual_mul_f32 v25, v31, v47 :: v_dual_mul_f32 v88, v33, v57
	v_fma_f32 v20, v28, v34, -v20
	v_fmac_f32_e32 v26, v29, v34
	v_fma_f32 v27, v28, v36, -v27
	v_dual_fmac_f32 v35, v29, v36 :: v_dual_mul_f32 v28, v51, v47
	v_dual_mul_f32 v29, v50, v47 :: v_dual_mul_f32 v34, v51, v49
	v_mul_f32_e32 v36, v50, v49
	v_mul_f32_e32 v87, v30, v49
	v_mul_f32_e32 v47, v33, v55
	v_dual_mul_f32 v49, v32, v55 :: v_dual_fmac_f32 v90, v33, v56
	v_fma_f32 v25, v30, v46, -v25
	v_fma_f32 v30, v30, v48, -v86
	;; [unrolled: 1-line block ×3, first 2 shown]
	v_fmac_f32_e32 v36, v51, v48
	v_fmac_f32_e32 v87, v31, v48
	v_fma_f32 v31, v50, v48, -v34
	v_mul_f32_e32 v34, v53, v55
	v_mul_f32_e32 v48, v53, v57
	v_dual_mul_f32 v50, v52, v57 :: v_dual_fmac_f32 v29, v51, v46
	v_mul_f32_e32 v46, v52, v55
	v_fma_f32 v47, v32, v54, -v47
	v_fmac_f32_e32 v49, v33, v54
	v_fma_f32 v32, v32, v56, -v88
	s_delay_alu instid0(VALU_DEP_4)
	v_dual_mul_f32 v33, v39, v59 :: v_dual_fmac_f32 v46, v53, v54
	v_mul_f32_e32 v51, v38, v59
	v_mul_f32_e32 v55, v39, v61
	v_fma_f32 v34, v52, v54, -v34
	v_fma_f32 v48, v52, v56, -v48
	v_fmac_f32_e32 v50, v53, v56
	v_mul_f32_e32 v52, v71, v59
	v_dual_mul_f32 v53, v70, v59 :: v_dual_mul_f32 v86, v41, v65
	v_mul_f32_e32 v54, v71, v61
	v_dual_mul_f32 v56, v70, v61 :: v_dual_mul_f32 v59, v41, v63
	v_mul_f32_e32 v57, v38, v61
	v_mul_f32_e32 v61, v40, v63
	v_dual_mul_f32 v88, v40, v65 :: v_dual_fmac_f32 v51, v39, v58
	v_fma_f32 v33, v38, v58, -v33
	v_fmac_f32_e32 v53, v71, v58
	v_fmac_f32_e32 v56, v71, v60
	s_delay_alu instid0(VALU_DEP_4)
	v_fmac_f32_e32 v88, v41, v64
	v_fmac_f32_e32 v57, v39, v60
	v_fma_f32 v39, v70, v58, -v52
	v_fma_f32 v52, v70, v60, -v54
	v_mul_f32_e32 v54, v73, v63
	v_fma_f32 v38, v38, v60, -v55
	v_mul_f32_e32 v60, v72, v65
	v_dual_mul_f32 v55, v72, v63 :: v_dual_mul_f32 v70, v42, v69
	v_mul_f32_e32 v58, v73, v65
	v_fma_f32 v59, v40, v62, -v59
	v_fmac_f32_e32 v61, v41, v62
	v_fma_f32 v40, v40, v64, -v86
	v_dual_mul_f32 v41, v43, v67 :: v_dual_fmac_f32 v60, v73, v64
	v_dual_mul_f32 v63, v42, v67 :: v_dual_mul_f32 v86, v44, v81
	v_mul_f32_e32 v65, v43, v69
	v_fma_f32 v54, v72, v62, -v54
	v_fmac_f32_e32 v55, v73, v62
	v_fma_f32 v58, v72, v64, -v58
	v_mul_f32_e32 v72, v44, v79
	v_mul_f32_e32 v62, v75, v67
	v_dual_mul_f32 v64, v74, v67 :: v_dual_mul_f32 v67, v75, v69
	v_dual_mul_f32 v69, v74, v69 :: v_dual_fmac_f32 v70, v43, v68
	s_delay_alu instid0(VALU_DEP_2)
	v_dual_mul_f32 v71, v45, v79 :: v_dual_fmac_f32 v64, v75, v66
	v_fma_f32 v41, v42, v66, -v41
	v_fmac_f32_e32 v63, v43, v66
	v_fma_f32 v43, v74, v66, -v62
	v_dual_mul_f32 v66, v76, v79 :: v_dual_mul_f32 v73, v45, v81
	v_add_f32_e32 v6, v6, v82
	v_fma_f32 v42, v42, v68, -v65
	v_fma_f32 v62, v74, v68, -v67
	v_dual_fmac_f32 v69, v75, v68 :: v_dual_fmac_f32 v72, v45, v78
	v_dual_mul_f32 v65, v77, v79 :: v_dual_add_f32 v4, v4, v22
	v_dual_mul_f32 v67, v77, v81 :: v_dual_add_f32 v2, v2, v23
	v_mul_f32_e32 v68, v76, v81
	v_dual_fmac_f32 v86, v45, v80 :: v_dual_add_f32 v7, v7, v83
	v_dual_fmac_f32 v66, v77, v78 :: v_dual_add_f32 v3, v3, v19
	v_dual_add_f32 v5, v5, v85 :: v_dual_add_f32 v0, v0, v18
	v_dual_add_f32 v1, v1, v21 :: v_dual_add_f32 v4, v4, v24
	s_delay_alu instid0(VALU_DEP_4) | instskip(NEXT) | instid1(VALU_DEP_3)
	v_dual_fmac_f32 v68, v77, v80 :: v_dual_add_f32 v7, v7, v89
	v_dual_add_f32 v6, v6, v37 :: v_dual_add_f32 v5, v5, v91
	v_dual_add_f32 v2, v2, v20 :: v_dual_add_f32 v3, v3, v26
	s_delay_alu instid0(VALU_DEP_3) | instskip(NEXT) | instid1(VALU_DEP_3)
	v_dual_add_f32 v0, v0, v27 :: v_dual_add_f32 v7, v7, v84
	v_dual_add_f32 v1, v1, v35 :: v_dual_add_f32 v6, v6, v25
	s_delay_alu instid0(VALU_DEP_4) | instskip(NEXT) | instid1(VALU_DEP_4)
	v_dual_add_f32 v4, v4, v30 :: v_dual_add_f32 v5, v5, v87
	v_dual_add_f32 v2, v2, v28 :: v_dual_add_f32 v3, v3, v29
	s_delay_alu instid0(VALU_DEP_3) | instskip(NEXT) | instid1(VALU_DEP_4)
	v_dual_add_f32 v0, v0, v31 :: v_dual_add_f32 v1, v1, v36
	v_dual_add_f32 v6, v6, v47 :: v_dual_add_f32 v7, v7, v49
	s_delay_alu instid0(VALU_DEP_4) | instskip(NEXT) | instid1(VALU_DEP_4)
	v_dual_add_f32 v4, v4, v32 :: v_dual_add_f32 v5, v5, v90
	v_add_f32_e32 v2, v2, v34
	s_delay_alu instid0(VALU_DEP_4) | instskip(NEXT) | instid1(VALU_DEP_4)
	v_dual_add_f32 v3, v3, v46 :: v_dual_add_f32 v0, v0, v48
	v_dual_add_f32 v1, v1, v50 :: v_dual_add_f32 v6, v6, v33
	s_delay_alu instid0(VALU_DEP_4) | instskip(NEXT) | instid1(VALU_DEP_4)
	v_dual_add_f32 v7, v7, v51 :: v_dual_add_f32 v4, v4, v38
	v_dual_add_f32 v5, v5, v57 :: v_dual_add_f32 v2, v2, v39
	s_delay_alu instid0(VALU_DEP_4) | instskip(NEXT) | instid1(VALU_DEP_3)
	v_dual_add_f32 v3, v3, v53 :: v_dual_add_f32 v0, v0, v52
	v_add_f32_e32 v7, v7, v61
	v_dual_add_f32 v1, v1, v56 :: v_dual_add_f32 v6, v6, v59
	s_delay_alu instid0(VALU_DEP_3) | instskip(SKIP_1) | instid1(VALU_DEP_3)
	v_dual_add_f32 v4, v4, v40 :: v_dual_add_f32 v3, v3, v55
	v_dual_add_f32 v5, v5, v88 :: v_dual_add_f32 v2, v2, v54
	v_dual_add_f32 v0, v0, v58 :: v_dual_add_f32 v1, v1, v60
	v_fma_f32 v71, v44, v78, -v71
	v_fma_f32 v44, v44, v80, -v73
	;; [unrolled: 1-line block ×4, first 2 shown]
	v_dual_add_f32 v6, v6, v41 :: v_dual_add_f32 v7, v7, v63
	v_dual_add_f32 v4, v4, v42 :: v_dual_add_f32 v3, v3, v64
	;; [unrolled: 1-line block ×4, first 2 shown]
	s_delay_alu instid0(VALU_DEP_4) | instskip(NEXT) | instid1(VALU_DEP_3)
	v_dual_add_f32 v6, v6, v71 :: v_dual_add_f32 v7, v7, v72
	v_dual_add_f32 v4, v4, v44 :: v_dual_add_f32 v5, v5, v86
	s_delay_alu instid0(VALU_DEP_4) | instskip(NEXT) | instid1(VALU_DEP_4)
	v_dual_add_f32 v2, v2, v45 :: v_dual_add_f32 v3, v3, v66
	v_dual_add_f32 v0, v0, v65 :: v_dual_add_f32 v1, v1, v68
	s_cbranch_scc0 .LBB634_2
.LBB634_3:
	s_load_b32 s3, s[0:1], 0x40
	v_add_nc_u32_e32 v10, s10, v13
	v_add_nc_u32_e32 v8, s6, v12
	s_delay_alu instid0(VALU_DEP_2) | instskip(NEXT) | instid1(VALU_DEP_2)
	v_cmp_gt_i32_e32 vcc_lo, s2, v10
	v_cmp_le_i32_e64 s0, v8, v10
	s_delay_alu instid0(VALU_DEP_1) | instskip(SKIP_2) | instid1(VALU_DEP_1)
	s_and_b32 s0, vcc_lo, s0
	s_waitcnt lgkmcnt(0)
	v_mad_i64_i32 v[13:14], null, v10, s3, 0
	v_lshlrev_b64 v[11:12], 3, v[13:14]
	s_delay_alu instid0(VALU_DEP_1) | instskip(NEXT) | instid1(VALU_DEP_1)
	v_add_co_u32 v11, s1, s4, v11
	v_add_co_ci_u32_e64 v12, s1, s5, v12, s1
	s_and_saveexec_b32 s1, s0
	s_cbranch_execz .LBB634_5
; %bb.4:
	v_ashrrev_i32_e32 v9, 31, v8
	s_delay_alu instid0(VALU_DEP_1) | instskip(NEXT) | instid1(VALU_DEP_1)
	v_lshlrev_b64 v[13:14], 3, v[8:9]
	v_add_co_u32 v13, s0, v11, v13
	s_delay_alu instid0(VALU_DEP_1)
	v_add_co_ci_u32_e64 v14, s0, v12, v14, s0
	global_store_b64 v[13:14], v[6:7], off
.LBB634_5:
	s_or_b32 exec_lo, exec_lo, s1
	v_add_nc_u32_e32 v6, 16, v8
	s_delay_alu instid0(VALU_DEP_1) | instskip(NEXT) | instid1(VALU_DEP_1)
	v_cmp_le_i32_e64 s0, v6, v10
	s_and_b32 s1, vcc_lo, s0
	s_delay_alu instid0(SALU_CYCLE_1)
	s_and_saveexec_b32 s0, s1
	s_cbranch_execz .LBB634_7
; %bb.6:
	v_ashrrev_i32_e32 v7, 31, v6
	s_delay_alu instid0(VALU_DEP_1) | instskip(NEXT) | instid1(VALU_DEP_1)
	v_lshlrev_b64 v[13:14], 3, v[6:7]
	v_add_co_u32 v11, vcc_lo, v11, v13
	s_delay_alu instid0(VALU_DEP_2)
	v_add_co_ci_u32_e32 v12, vcc_lo, v12, v14, vcc_lo
	global_store_b64 v[11:12], v[4:5], off
.LBB634_7:
	s_or_b32 exec_lo, exec_lo, s0
	v_add_nc_u32_e32 v7, 16, v10
	s_delay_alu instid0(VALU_DEP_1) | instskip(SKIP_2) | instid1(VALU_DEP_1)
	v_mad_i64_i32 v[4:5], null, v7, s3, 0
	v_cmp_gt_i32_e32 vcc_lo, s2, v7
	v_cmp_le_i32_e64 s0, v8, v7
	s_and_b32 s0, vcc_lo, s0
	s_delay_alu instid0(VALU_DEP_3) | instskip(NEXT) | instid1(VALU_DEP_1)
	v_lshlrev_b64 v[4:5], 3, v[4:5]
	v_add_co_u32 v4, s1, s4, v4
	s_delay_alu instid0(VALU_DEP_1)
	v_add_co_ci_u32_e64 v5, s1, s5, v5, s1
	s_and_saveexec_b32 s1, s0
	s_cbranch_execz .LBB634_9
; %bb.8:
	v_ashrrev_i32_e32 v9, 31, v8
	s_delay_alu instid0(VALU_DEP_1) | instskip(NEXT) | instid1(VALU_DEP_1)
	v_lshlrev_b64 v[8:9], 3, v[8:9]
	v_add_co_u32 v8, s0, v4, v8
	s_delay_alu instid0(VALU_DEP_1)
	v_add_co_ci_u32_e64 v9, s0, v5, v9, s0
	global_store_b64 v[8:9], v[2:3], off
.LBB634_9:
	s_or_b32 exec_lo, exec_lo, s1
	v_cmp_le_i32_e64 s0, v6, v7
	s_delay_alu instid0(VALU_DEP_1) | instskip(NEXT) | instid1(SALU_CYCLE_1)
	s_and_b32 s0, vcc_lo, s0
	s_and_saveexec_b32 s1, s0
	s_cbranch_execz .LBB634_11
; %bb.10:
	v_ashrrev_i32_e32 v7, 31, v6
	s_delay_alu instid0(VALU_DEP_1) | instskip(NEXT) | instid1(VALU_DEP_1)
	v_lshlrev_b64 v[2:3], 3, v[6:7]
	v_add_co_u32 v2, vcc_lo, v4, v2
	s_delay_alu instid0(VALU_DEP_2)
	v_add_co_ci_u32_e32 v3, vcc_lo, v5, v3, vcc_lo
	global_store_b64 v[2:3], v[0:1], off
.LBB634_11:
	s_nop 0
	s_sendmsg sendmsg(MSG_DEALLOC_VGPRS)
	s_endpgm
	.section	.rodata,"a",@progbits
	.p2align	6, 0x0
	.amdhsa_kernel _ZL37rocblas_syrkx_herkx_restricted_kernelIi19rocblas_complex_numIfELi16ELi32ELi8ELi1ELi0ELb0ELc67ELc85EKPKS1_KPS1_EviT_PT9_S7_lS9_S7_lPT10_S7_li
		.amdhsa_group_segment_fixed_size 4096
		.amdhsa_private_segment_fixed_size 0
		.amdhsa_kernarg_size 84
		.amdhsa_user_sgpr_count 13
		.amdhsa_user_sgpr_dispatch_ptr 0
		.amdhsa_user_sgpr_queue_ptr 0
		.amdhsa_user_sgpr_kernarg_segment_ptr 1
		.amdhsa_user_sgpr_dispatch_id 0
		.amdhsa_user_sgpr_private_segment_size 0
		.amdhsa_wavefront_size32 1
		.amdhsa_uses_dynamic_stack 0
		.amdhsa_enable_private_segment 0
		.amdhsa_system_sgpr_workgroup_id_x 1
		.amdhsa_system_sgpr_workgroup_id_y 1
		.amdhsa_system_sgpr_workgroup_id_z 1
		.amdhsa_system_sgpr_workgroup_info 0
		.amdhsa_system_vgpr_workitem_id 1
		.amdhsa_next_free_vgpr 92
		.amdhsa_next_free_sgpr 17
		.amdhsa_reserve_vcc 1
		.amdhsa_float_round_mode_32 0
		.amdhsa_float_round_mode_16_64 0
		.amdhsa_float_denorm_mode_32 3
		.amdhsa_float_denorm_mode_16_64 3
		.amdhsa_dx10_clamp 1
		.amdhsa_ieee_mode 1
		.amdhsa_fp16_overflow 0
		.amdhsa_workgroup_processor_mode 1
		.amdhsa_memory_ordered 1
		.amdhsa_forward_progress 0
		.amdhsa_shared_vgpr_count 0
		.amdhsa_exception_fp_ieee_invalid_op 0
		.amdhsa_exception_fp_denorm_src 0
		.amdhsa_exception_fp_ieee_div_zero 0
		.amdhsa_exception_fp_ieee_overflow 0
		.amdhsa_exception_fp_ieee_underflow 0
		.amdhsa_exception_fp_ieee_inexact 0
		.amdhsa_exception_int_div_zero 0
	.end_amdhsa_kernel
	.section	.text._ZL37rocblas_syrkx_herkx_restricted_kernelIi19rocblas_complex_numIfELi16ELi32ELi8ELi1ELi0ELb0ELc67ELc85EKPKS1_KPS1_EviT_PT9_S7_lS9_S7_lPT10_S7_li,"axG",@progbits,_ZL37rocblas_syrkx_herkx_restricted_kernelIi19rocblas_complex_numIfELi16ELi32ELi8ELi1ELi0ELb0ELc67ELc85EKPKS1_KPS1_EviT_PT9_S7_lS9_S7_lPT10_S7_li,comdat
.Lfunc_end634:
	.size	_ZL37rocblas_syrkx_herkx_restricted_kernelIi19rocblas_complex_numIfELi16ELi32ELi8ELi1ELi0ELb0ELc67ELc85EKPKS1_KPS1_EviT_PT9_S7_lS9_S7_lPT10_S7_li, .Lfunc_end634-_ZL37rocblas_syrkx_herkx_restricted_kernelIi19rocblas_complex_numIfELi16ELi32ELi8ELi1ELi0ELb0ELc67ELc85EKPKS1_KPS1_EviT_PT9_S7_lS9_S7_lPT10_S7_li
                                        ; -- End function
	.section	.AMDGPU.csdata,"",@progbits
; Kernel info:
; codeLenInByte = 2012
; NumSgprs: 19
; NumVgprs: 92
; ScratchSize: 0
; MemoryBound: 0
; FloatMode: 240
; IeeeMode: 1
; LDSByteSize: 4096 bytes/workgroup (compile time only)
; SGPRBlocks: 2
; VGPRBlocks: 11
; NumSGPRsForWavesPerEU: 19
; NumVGPRsForWavesPerEU: 92
; Occupancy: 16
; WaveLimiterHint : 1
; COMPUTE_PGM_RSRC2:SCRATCH_EN: 0
; COMPUTE_PGM_RSRC2:USER_SGPR: 13
; COMPUTE_PGM_RSRC2:TRAP_HANDLER: 0
; COMPUTE_PGM_RSRC2:TGID_X_EN: 1
; COMPUTE_PGM_RSRC2:TGID_Y_EN: 1
; COMPUTE_PGM_RSRC2:TGID_Z_EN: 1
; COMPUTE_PGM_RSRC2:TIDIG_COMP_CNT: 1
	.section	.text._ZL37rocblas_syrkx_herkx_restricted_kernelIi19rocblas_complex_numIfELi16ELi32ELi8ELi1ELi0ELb0ELc78ELc85EKPKS1_KPS1_EviT_PT9_S7_lS9_S7_lPT10_S7_li,"axG",@progbits,_ZL37rocblas_syrkx_herkx_restricted_kernelIi19rocblas_complex_numIfELi16ELi32ELi8ELi1ELi0ELb0ELc78ELc85EKPKS1_KPS1_EviT_PT9_S7_lS9_S7_lPT10_S7_li,comdat
	.globl	_ZL37rocblas_syrkx_herkx_restricted_kernelIi19rocblas_complex_numIfELi16ELi32ELi8ELi1ELi0ELb0ELc78ELc85EKPKS1_KPS1_EviT_PT9_S7_lS9_S7_lPT10_S7_li ; -- Begin function _ZL37rocblas_syrkx_herkx_restricted_kernelIi19rocblas_complex_numIfELi16ELi32ELi8ELi1ELi0ELb0ELc78ELc85EKPKS1_KPS1_EviT_PT9_S7_lS9_S7_lPT10_S7_li
	.p2align	8
	.type	_ZL37rocblas_syrkx_herkx_restricted_kernelIi19rocblas_complex_numIfELi16ELi32ELi8ELi1ELi0ELb0ELc78ELc85EKPKS1_KPS1_EviT_PT9_S7_lS9_S7_lPT10_S7_li,@function
_ZL37rocblas_syrkx_herkx_restricted_kernelIi19rocblas_complex_numIfELi16ELi32ELi8ELi1ELi0ELb0ELc78ELc85EKPKS1_KPS1_EviT_PT9_S7_lS9_S7_lPT10_S7_li: ; @_ZL37rocblas_syrkx_herkx_restricted_kernelIi19rocblas_complex_numIfELi16ELi32ELi8ELi1ELi0ELb0ELc78ELc85EKPKS1_KPS1_EviT_PT9_S7_lS9_S7_lPT10_S7_li
; %bb.0:
	s_clause 0x1
	s_load_b64 s[4:5], s[0:1], 0x38
	s_load_b64 s[2:3], s[0:1], 0x0
	s_mov_b32 s6, s15
	s_mov_b32 s7, 0
	v_dual_mov_b32 v7, 0 :: v_dual_and_b32 v12, 0x3ff, v0
	s_lshl_b64 s[8:9], s[6:7], 3
	v_bfe_u32 v13, v0, 10, 10
	v_dual_mov_b32 v6, 0 :: v_dual_mov_b32 v5, 0
	v_dual_mov_b32 v4, 0 :: v_dual_mov_b32 v3, 0
	;; [unrolled: 1-line block ×3, first 2 shown]
	v_mov_b32_e32 v0, 0
	s_waitcnt lgkmcnt(0)
	s_add_u32 s4, s4, s8
	s_addc_u32 s5, s5, s9
	s_lshl_b32 s6, s13, 5
	s_load_b64 s[4:5], s[4:5], 0x0
	s_lshl_b32 s12, s14, 5
	s_cmp_lt_i32 s3, 1
	s_cbranch_scc1 .LBB635_3
; %bb.1:
	s_clause 0x3
	s_load_b32 s10, s[0:1], 0x10
	s_load_b32 s14, s[0:1], 0x28
	s_load_b64 s[16:17], s[0:1], 0x8
	s_load_b64 s[18:19], s[0:1], 0x20
	v_lshl_add_u32 v0, v13, 4, v12
	v_and_b32_e32 v8, 7, v12
	v_lshlrev_b32_e32 v14, 3, v12
	v_lshl_add_u32 v15, v13, 6, 0x800
	s_delay_alu instid0(VALU_DEP_4) | instskip(SKIP_2) | instid1(VALU_DEP_3)
	v_and_b32_e32 v7, 31, v0
	v_lshrrev_b32_e32 v6, 3, v0
	v_lshrrev_b32_e32 v9, 5, v0
	v_add_nc_u32_e32 v2, s6, v7
	s_delay_alu instid0(VALU_DEP_3) | instskip(NEXT) | instid1(VALU_DEP_2)
	v_add_nc_u32_e32 v0, s12, v6
	v_ashrrev_i32_e32 v3, 31, v2
	s_waitcnt lgkmcnt(0)
	s_ashr_i32 s11, s10, 31
	s_ashr_i32 s15, s14, 31
	s_add_u32 s16, s16, s8
	s_addc_u32 s17, s17, s9
	s_add_u32 s8, s18, s8
	s_load_b64 s[16:17], s[16:17], 0x0
	s_addc_u32 s9, s19, s9
	v_ashrrev_i32_e32 v1, 31, v0
	s_load_b64 s[8:9], s[8:9], 0x0
	v_mad_i64_i32 v[4:5], null, s10, v9, v[2:3]
	s_delay_alu instid0(VALU_DEP_2) | instskip(SKIP_2) | instid1(VALU_DEP_4)
	v_mad_i64_i32 v[2:3], null, s14, v8, v[0:1]
	v_dual_mov_b32 v1, 0 :: v_dual_lshlrev_b32 v10, 3, v8
	v_mov_b32_e32 v0, 0
	v_lshlrev_b64 v[4:5], 3, v[4:5]
	v_lshlrev_b32_e32 v7, 3, v7
	v_lshlrev_b64 v[2:3], 3, v[2:3]
	v_lshl_or_b32 v6, v6, 6, v10
	s_delay_alu instid0(VALU_DEP_3)
	v_lshl_or_b32 v16, v9, 8, v7
	v_mov_b32_e32 v7, 0
	s_waitcnt lgkmcnt(0)
	v_add_co_u32 v4, vcc_lo, v4, s16
	v_add_co_ci_u32_e32 v5, vcc_lo, s17, v5, vcc_lo
	v_add_co_u32 v2, vcc_lo, v2, s8
	v_add_co_ci_u32_e32 v3, vcc_lo, s9, v3, vcc_lo
	s_delay_alu instid0(VALU_DEP_4) | instskip(NEXT) | instid1(VALU_DEP_4)
	v_add_co_u32 v8, vcc_lo, v4, 4
	v_add_co_ci_u32_e32 v9, vcc_lo, 0, v5, vcc_lo
	s_delay_alu instid0(VALU_DEP_4)
	v_add_co_u32 v10, vcc_lo, v2, 4
	v_dual_mov_b32 v2, 0 :: v_dual_add_nc_u32 v17, 0x800, v6
	v_mov_b32_e32 v4, 0
	v_add_co_ci_u32_e32 v11, vcc_lo, 0, v3, vcc_lo
	v_mov_b32_e32 v3, 0
	v_dual_mov_b32 v5, 0 :: v_dual_mov_b32 v6, 0
	s_lshl_b64 s[8:9], s[10:11], 6
	s_lshl_b64 s[10:11], s[14:15], 6
.LBB635_2:                              ; =>This Inner Loop Header: Depth=1
	global_load_b64 v[18:19], v[8:9], off offset:-4
	global_load_b64 v[20:21], v[10:11], off offset:-4
	v_add_co_u32 v8, vcc_lo, v8, s8
	v_add_co_ci_u32_e32 v9, vcc_lo, s9, v9, vcc_lo
	v_add_co_u32 v10, vcc_lo, v10, s10
	v_add_co_ci_u32_e32 v11, vcc_lo, s11, v11, vcc_lo
	s_add_i32 s7, s7, 8
	s_waitcnt vmcnt(1)
	ds_store_b64 v16, v[18:19]
	s_waitcnt vmcnt(0)
	ds_store_b64 v17, v[20:21]
	s_waitcnt lgkmcnt(0)
	s_barrier
	buffer_gl0_inv
	ds_load_2addr_b64 v[18:21], v14 offset1:16
	ds_load_b128 v[22:25], v15
	ds_load_b128 v[26:29], v15 offset:1024
	ds_load_b128 v[30:33], v15 offset:16
	ds_load_2addr_b64 v[34:37], v14 offset0:32 offset1:48
	ds_load_b128 v[38:41], v15 offset:32
	ds_load_b128 v[42:45], v15 offset:48
	ds_load_2addr_b64 v[46:49], v14 offset0:64 offset1:80
	ds_load_b128 v[50:53], v15 offset:1040
	ds_load_2addr_b64 v[54:57], v14 offset0:96 offset1:112
	ds_load_2addr_b64 v[58:61], v14 offset0:128 offset1:144
	;; [unrolled: 1-line block ×4, first 2 shown]
	ds_load_b128 v[70:73], v15 offset:1056
	ds_load_b128 v[74:77], v15 offset:1072
	ds_load_2addr_b64 v[78:81], v14 offset0:224 offset1:240
	s_cmp_ge_i32 s7, s3
	s_waitcnt lgkmcnt(0)
	s_barrier
	buffer_gl0_inv
	v_dual_mul_f32 v82, v23, v19 :: v_dual_mul_f32 v85, v22, v21
	v_dual_mul_f32 v83, v22, v19 :: v_dual_mul_f32 v84, v23, v21
	v_mul_f32_e32 v86, v27, v19
	v_dual_mul_f32 v19, v26, v19 :: v_dual_mul_f32 v90, v25, v37
	v_dual_mul_f32 v87, v27, v21 :: v_dual_mul_f32 v88, v25, v35
	v_mul_f32_e32 v21, v26, v21
	v_mul_f32_e32 v89, v24, v35
	;; [unrolled: 1-line block ×3, first 2 shown]
	v_fma_f32 v82, v22, v18, -v82
	v_fmac_f32_e32 v83, v23, v18
	v_fma_f32 v22, v22, v20, -v84
	v_dual_fmac_f32 v85, v23, v20 :: v_dual_mul_f32 v84, v30, v47
	v_fma_f32 v23, v26, v18, -v86
	v_fmac_f32_e32 v19, v27, v18
	v_fma_f32 v18, v26, v20, -v87
	v_dual_mul_f32 v26, v28, v35 :: v_dual_fmac_f32 v21, v27, v20
	v_mul_f32_e32 v20, v29, v35
	v_mul_f32_e32 v27, v29, v37
	v_dual_mul_f32 v35, v28, v37 :: v_dual_fmac_f32 v84, v31, v46
	v_fma_f32 v37, v24, v34, -v88
	v_fma_f32 v24, v24, v36, -v90
	v_dual_fmac_f32 v91, v25, v36 :: v_dual_mul_f32 v90, v32, v57
	v_dual_mul_f32 v86, v31, v49 :: v_dual_fmac_f32 v89, v25, v34
	v_dual_mul_f32 v25, v31, v47 :: v_dual_mul_f32 v88, v33, v57
	v_fma_f32 v20, v28, v34, -v20
	v_fmac_f32_e32 v26, v29, v34
	v_fma_f32 v27, v28, v36, -v27
	v_dual_fmac_f32 v35, v29, v36 :: v_dual_mul_f32 v28, v51, v47
	v_dual_mul_f32 v29, v50, v47 :: v_dual_mul_f32 v34, v51, v49
	v_mul_f32_e32 v36, v50, v49
	v_mul_f32_e32 v87, v30, v49
	;; [unrolled: 1-line block ×3, first 2 shown]
	v_dual_mul_f32 v49, v32, v55 :: v_dual_fmac_f32 v90, v33, v56
	v_fma_f32 v25, v30, v46, -v25
	v_fma_f32 v30, v30, v48, -v86
	;; [unrolled: 1-line block ×3, first 2 shown]
	v_fmac_f32_e32 v36, v51, v48
	v_fmac_f32_e32 v87, v31, v48
	v_fma_f32 v31, v50, v48, -v34
	v_mul_f32_e32 v34, v53, v55
	v_mul_f32_e32 v48, v53, v57
	v_dual_mul_f32 v50, v52, v57 :: v_dual_fmac_f32 v29, v51, v46
	v_mul_f32_e32 v46, v52, v55
	v_fma_f32 v47, v32, v54, -v47
	v_fmac_f32_e32 v49, v33, v54
	v_fma_f32 v32, v32, v56, -v88
	s_delay_alu instid0(VALU_DEP_4)
	v_dual_mul_f32 v33, v39, v59 :: v_dual_fmac_f32 v46, v53, v54
	v_mul_f32_e32 v51, v38, v59
	v_mul_f32_e32 v55, v39, v61
	v_fma_f32 v34, v52, v54, -v34
	v_fma_f32 v48, v52, v56, -v48
	v_fmac_f32_e32 v50, v53, v56
	v_mul_f32_e32 v52, v71, v59
	v_dual_mul_f32 v53, v70, v59 :: v_dual_mul_f32 v86, v41, v65
	v_mul_f32_e32 v54, v71, v61
	v_dual_mul_f32 v56, v70, v61 :: v_dual_mul_f32 v59, v41, v63
	v_mul_f32_e32 v57, v38, v61
	v_mul_f32_e32 v61, v40, v63
	v_dual_mul_f32 v88, v40, v65 :: v_dual_fmac_f32 v51, v39, v58
	v_fma_f32 v33, v38, v58, -v33
	v_fmac_f32_e32 v53, v71, v58
	v_fmac_f32_e32 v56, v71, v60
	s_delay_alu instid0(VALU_DEP_4)
	v_fmac_f32_e32 v88, v41, v64
	v_fmac_f32_e32 v57, v39, v60
	v_fma_f32 v39, v70, v58, -v52
	v_fma_f32 v52, v70, v60, -v54
	v_mul_f32_e32 v54, v73, v63
	v_fma_f32 v38, v38, v60, -v55
	v_mul_f32_e32 v60, v72, v65
	v_dual_mul_f32 v55, v72, v63 :: v_dual_mul_f32 v70, v42, v69
	v_mul_f32_e32 v58, v73, v65
	v_fma_f32 v59, v40, v62, -v59
	v_fmac_f32_e32 v61, v41, v62
	v_fma_f32 v40, v40, v64, -v86
	v_dual_mul_f32 v41, v43, v67 :: v_dual_fmac_f32 v60, v73, v64
	v_dual_mul_f32 v63, v42, v67 :: v_dual_mul_f32 v86, v44, v81
	v_mul_f32_e32 v65, v43, v69
	v_fma_f32 v54, v72, v62, -v54
	v_fmac_f32_e32 v55, v73, v62
	v_fma_f32 v58, v72, v64, -v58
	v_mul_f32_e32 v72, v44, v79
	v_mul_f32_e32 v62, v75, v67
	v_dual_mul_f32 v64, v74, v67 :: v_dual_mul_f32 v67, v75, v69
	v_dual_mul_f32 v69, v74, v69 :: v_dual_fmac_f32 v70, v43, v68
	s_delay_alu instid0(VALU_DEP_2)
	v_dual_mul_f32 v71, v45, v79 :: v_dual_fmac_f32 v64, v75, v66
	v_fma_f32 v41, v42, v66, -v41
	v_fmac_f32_e32 v63, v43, v66
	v_fma_f32 v43, v74, v66, -v62
	v_dual_mul_f32 v66, v76, v79 :: v_dual_mul_f32 v73, v45, v81
	v_add_f32_e32 v6, v6, v82
	v_fma_f32 v42, v42, v68, -v65
	v_fma_f32 v62, v74, v68, -v67
	v_dual_fmac_f32 v69, v75, v68 :: v_dual_fmac_f32 v72, v45, v78
	v_dual_mul_f32 v65, v77, v79 :: v_dual_add_f32 v4, v4, v22
	v_dual_mul_f32 v67, v77, v81 :: v_dual_add_f32 v2, v2, v23
	v_mul_f32_e32 v68, v76, v81
	v_dual_fmac_f32 v86, v45, v80 :: v_dual_add_f32 v7, v7, v83
	v_dual_fmac_f32 v66, v77, v78 :: v_dual_add_f32 v3, v3, v19
	v_dual_add_f32 v5, v5, v85 :: v_dual_add_f32 v0, v0, v18
	v_dual_add_f32 v1, v1, v21 :: v_dual_add_f32 v4, v4, v24
	s_delay_alu instid0(VALU_DEP_4) | instskip(NEXT) | instid1(VALU_DEP_3)
	v_dual_fmac_f32 v68, v77, v80 :: v_dual_add_f32 v7, v7, v89
	v_dual_add_f32 v6, v6, v37 :: v_dual_add_f32 v5, v5, v91
	v_dual_add_f32 v2, v2, v20 :: v_dual_add_f32 v3, v3, v26
	s_delay_alu instid0(VALU_DEP_3) | instskip(NEXT) | instid1(VALU_DEP_3)
	v_dual_add_f32 v0, v0, v27 :: v_dual_add_f32 v7, v7, v84
	v_dual_add_f32 v1, v1, v35 :: v_dual_add_f32 v6, v6, v25
	s_delay_alu instid0(VALU_DEP_4) | instskip(NEXT) | instid1(VALU_DEP_4)
	v_dual_add_f32 v4, v4, v30 :: v_dual_add_f32 v5, v5, v87
	v_dual_add_f32 v2, v2, v28 :: v_dual_add_f32 v3, v3, v29
	s_delay_alu instid0(VALU_DEP_3) | instskip(NEXT) | instid1(VALU_DEP_4)
	v_dual_add_f32 v0, v0, v31 :: v_dual_add_f32 v1, v1, v36
	v_dual_add_f32 v6, v6, v47 :: v_dual_add_f32 v7, v7, v49
	s_delay_alu instid0(VALU_DEP_4) | instskip(NEXT) | instid1(VALU_DEP_4)
	v_dual_add_f32 v4, v4, v32 :: v_dual_add_f32 v5, v5, v90
	v_add_f32_e32 v2, v2, v34
	s_delay_alu instid0(VALU_DEP_4) | instskip(NEXT) | instid1(VALU_DEP_4)
	v_dual_add_f32 v3, v3, v46 :: v_dual_add_f32 v0, v0, v48
	v_dual_add_f32 v1, v1, v50 :: v_dual_add_f32 v6, v6, v33
	s_delay_alu instid0(VALU_DEP_4) | instskip(NEXT) | instid1(VALU_DEP_4)
	v_dual_add_f32 v7, v7, v51 :: v_dual_add_f32 v4, v4, v38
	v_dual_add_f32 v5, v5, v57 :: v_dual_add_f32 v2, v2, v39
	s_delay_alu instid0(VALU_DEP_4) | instskip(NEXT) | instid1(VALU_DEP_3)
	v_dual_add_f32 v3, v3, v53 :: v_dual_add_f32 v0, v0, v52
	v_add_f32_e32 v7, v7, v61
	v_dual_add_f32 v1, v1, v56 :: v_dual_add_f32 v6, v6, v59
	s_delay_alu instid0(VALU_DEP_3) | instskip(SKIP_1) | instid1(VALU_DEP_3)
	v_dual_add_f32 v4, v4, v40 :: v_dual_add_f32 v3, v3, v55
	v_dual_add_f32 v5, v5, v88 :: v_dual_add_f32 v2, v2, v54
	;; [unrolled: 1-line block ×3, first 2 shown]
	v_fma_f32 v71, v44, v78, -v71
	v_fma_f32 v44, v44, v80, -v73
	;; [unrolled: 1-line block ×4, first 2 shown]
	v_dual_add_f32 v6, v6, v41 :: v_dual_add_f32 v7, v7, v63
	v_dual_add_f32 v4, v4, v42 :: v_dual_add_f32 v3, v3, v64
	;; [unrolled: 1-line block ×4, first 2 shown]
	s_delay_alu instid0(VALU_DEP_4) | instskip(NEXT) | instid1(VALU_DEP_3)
	v_dual_add_f32 v6, v6, v71 :: v_dual_add_f32 v7, v7, v72
	v_dual_add_f32 v4, v4, v44 :: v_dual_add_f32 v5, v5, v86
	s_delay_alu instid0(VALU_DEP_4) | instskip(NEXT) | instid1(VALU_DEP_4)
	v_dual_add_f32 v2, v2, v45 :: v_dual_add_f32 v3, v3, v66
	v_dual_add_f32 v0, v0, v65 :: v_dual_add_f32 v1, v1, v68
	s_cbranch_scc0 .LBB635_2
.LBB635_3:
	s_load_b32 s3, s[0:1], 0x40
	v_add_nc_u32_e32 v10, s12, v13
	v_add_nc_u32_e32 v8, s6, v12
	s_delay_alu instid0(VALU_DEP_2) | instskip(NEXT) | instid1(VALU_DEP_2)
	v_cmp_gt_i32_e32 vcc_lo, s2, v10
	v_cmp_le_i32_e64 s0, v8, v10
	s_delay_alu instid0(VALU_DEP_1) | instskip(SKIP_2) | instid1(VALU_DEP_1)
	s_and_b32 s0, vcc_lo, s0
	s_waitcnt lgkmcnt(0)
	v_mad_i64_i32 v[13:14], null, v10, s3, 0
	v_lshlrev_b64 v[11:12], 3, v[13:14]
	s_delay_alu instid0(VALU_DEP_1) | instskip(NEXT) | instid1(VALU_DEP_1)
	v_add_co_u32 v11, s1, s4, v11
	v_add_co_ci_u32_e64 v12, s1, s5, v12, s1
	s_and_saveexec_b32 s1, s0
	s_cbranch_execz .LBB635_5
; %bb.4:
	v_ashrrev_i32_e32 v9, 31, v8
	s_delay_alu instid0(VALU_DEP_1) | instskip(NEXT) | instid1(VALU_DEP_1)
	v_lshlrev_b64 v[13:14], 3, v[8:9]
	v_add_co_u32 v13, s0, v11, v13
	s_delay_alu instid0(VALU_DEP_1)
	v_add_co_ci_u32_e64 v14, s0, v12, v14, s0
	global_store_b64 v[13:14], v[6:7], off
.LBB635_5:
	s_or_b32 exec_lo, exec_lo, s1
	v_add_nc_u32_e32 v6, 16, v8
	s_delay_alu instid0(VALU_DEP_1) | instskip(NEXT) | instid1(VALU_DEP_1)
	v_cmp_le_i32_e64 s0, v6, v10
	s_and_b32 s1, vcc_lo, s0
	s_delay_alu instid0(SALU_CYCLE_1)
	s_and_saveexec_b32 s0, s1
	s_cbranch_execz .LBB635_7
; %bb.6:
	v_ashrrev_i32_e32 v7, 31, v6
	s_delay_alu instid0(VALU_DEP_1) | instskip(NEXT) | instid1(VALU_DEP_1)
	v_lshlrev_b64 v[13:14], 3, v[6:7]
	v_add_co_u32 v11, vcc_lo, v11, v13
	s_delay_alu instid0(VALU_DEP_2)
	v_add_co_ci_u32_e32 v12, vcc_lo, v12, v14, vcc_lo
	global_store_b64 v[11:12], v[4:5], off
.LBB635_7:
	s_or_b32 exec_lo, exec_lo, s0
	v_add_nc_u32_e32 v7, 16, v10
	s_delay_alu instid0(VALU_DEP_1) | instskip(SKIP_2) | instid1(VALU_DEP_1)
	v_mad_i64_i32 v[4:5], null, v7, s3, 0
	v_cmp_gt_i32_e32 vcc_lo, s2, v7
	v_cmp_le_i32_e64 s0, v8, v7
	s_and_b32 s0, vcc_lo, s0
	s_delay_alu instid0(VALU_DEP_3) | instskip(NEXT) | instid1(VALU_DEP_1)
	v_lshlrev_b64 v[4:5], 3, v[4:5]
	v_add_co_u32 v4, s1, s4, v4
	s_delay_alu instid0(VALU_DEP_1)
	v_add_co_ci_u32_e64 v5, s1, s5, v5, s1
	s_and_saveexec_b32 s1, s0
	s_cbranch_execz .LBB635_9
; %bb.8:
	v_ashrrev_i32_e32 v9, 31, v8
	s_delay_alu instid0(VALU_DEP_1) | instskip(NEXT) | instid1(VALU_DEP_1)
	v_lshlrev_b64 v[8:9], 3, v[8:9]
	v_add_co_u32 v8, s0, v4, v8
	s_delay_alu instid0(VALU_DEP_1)
	v_add_co_ci_u32_e64 v9, s0, v5, v9, s0
	global_store_b64 v[8:9], v[2:3], off
.LBB635_9:
	s_or_b32 exec_lo, exec_lo, s1
	v_cmp_le_i32_e64 s0, v6, v7
	s_delay_alu instid0(VALU_DEP_1) | instskip(NEXT) | instid1(SALU_CYCLE_1)
	s_and_b32 s0, vcc_lo, s0
	s_and_saveexec_b32 s1, s0
	s_cbranch_execz .LBB635_11
; %bb.10:
	v_ashrrev_i32_e32 v7, 31, v6
	s_delay_alu instid0(VALU_DEP_1) | instskip(NEXT) | instid1(VALU_DEP_1)
	v_lshlrev_b64 v[2:3], 3, v[6:7]
	v_add_co_u32 v2, vcc_lo, v4, v2
	s_delay_alu instid0(VALU_DEP_2)
	v_add_co_ci_u32_e32 v3, vcc_lo, v5, v3, vcc_lo
	global_store_b64 v[2:3], v[0:1], off
.LBB635_11:
	s_nop 0
	s_sendmsg sendmsg(MSG_DEALLOC_VGPRS)
	s_endpgm
	.section	.rodata,"a",@progbits
	.p2align	6, 0x0
	.amdhsa_kernel _ZL37rocblas_syrkx_herkx_restricted_kernelIi19rocblas_complex_numIfELi16ELi32ELi8ELi1ELi0ELb0ELc78ELc85EKPKS1_KPS1_EviT_PT9_S7_lS9_S7_lPT10_S7_li
		.amdhsa_group_segment_fixed_size 4096
		.amdhsa_private_segment_fixed_size 0
		.amdhsa_kernarg_size 84
		.amdhsa_user_sgpr_count 13
		.amdhsa_user_sgpr_dispatch_ptr 0
		.amdhsa_user_sgpr_queue_ptr 0
		.amdhsa_user_sgpr_kernarg_segment_ptr 1
		.amdhsa_user_sgpr_dispatch_id 0
		.amdhsa_user_sgpr_private_segment_size 0
		.amdhsa_wavefront_size32 1
		.amdhsa_uses_dynamic_stack 0
		.amdhsa_enable_private_segment 0
		.amdhsa_system_sgpr_workgroup_id_x 1
		.amdhsa_system_sgpr_workgroup_id_y 1
		.amdhsa_system_sgpr_workgroup_id_z 1
		.amdhsa_system_sgpr_workgroup_info 0
		.amdhsa_system_vgpr_workitem_id 1
		.amdhsa_next_free_vgpr 92
		.amdhsa_next_free_sgpr 20
		.amdhsa_reserve_vcc 1
		.amdhsa_float_round_mode_32 0
		.amdhsa_float_round_mode_16_64 0
		.amdhsa_float_denorm_mode_32 3
		.amdhsa_float_denorm_mode_16_64 3
		.amdhsa_dx10_clamp 1
		.amdhsa_ieee_mode 1
		.amdhsa_fp16_overflow 0
		.amdhsa_workgroup_processor_mode 1
		.amdhsa_memory_ordered 1
		.amdhsa_forward_progress 0
		.amdhsa_shared_vgpr_count 0
		.amdhsa_exception_fp_ieee_invalid_op 0
		.amdhsa_exception_fp_denorm_src 0
		.amdhsa_exception_fp_ieee_div_zero 0
		.amdhsa_exception_fp_ieee_overflow 0
		.amdhsa_exception_fp_ieee_underflow 0
		.amdhsa_exception_fp_ieee_inexact 0
		.amdhsa_exception_int_div_zero 0
	.end_amdhsa_kernel
	.section	.text._ZL37rocblas_syrkx_herkx_restricted_kernelIi19rocblas_complex_numIfELi16ELi32ELi8ELi1ELi0ELb0ELc78ELc85EKPKS1_KPS1_EviT_PT9_S7_lS9_S7_lPT10_S7_li,"axG",@progbits,_ZL37rocblas_syrkx_herkx_restricted_kernelIi19rocblas_complex_numIfELi16ELi32ELi8ELi1ELi0ELb0ELc78ELc85EKPKS1_KPS1_EviT_PT9_S7_lS9_S7_lPT10_S7_li,comdat
.Lfunc_end635:
	.size	_ZL37rocblas_syrkx_herkx_restricted_kernelIi19rocblas_complex_numIfELi16ELi32ELi8ELi1ELi0ELb0ELc78ELc85EKPKS1_KPS1_EviT_PT9_S7_lS9_S7_lPT10_S7_li, .Lfunc_end635-_ZL37rocblas_syrkx_herkx_restricted_kernelIi19rocblas_complex_numIfELi16ELi32ELi8ELi1ELi0ELb0ELc78ELc85EKPKS1_KPS1_EviT_PT9_S7_lS9_S7_lPT10_S7_li
                                        ; -- End function
	.section	.AMDGPU.csdata,"",@progbits
; Kernel info:
; codeLenInByte = 2028
; NumSgprs: 22
; NumVgprs: 92
; ScratchSize: 0
; MemoryBound: 0
; FloatMode: 240
; IeeeMode: 1
; LDSByteSize: 4096 bytes/workgroup (compile time only)
; SGPRBlocks: 2
; VGPRBlocks: 11
; NumSGPRsForWavesPerEU: 22
; NumVGPRsForWavesPerEU: 92
; Occupancy: 16
; WaveLimiterHint : 1
; COMPUTE_PGM_RSRC2:SCRATCH_EN: 0
; COMPUTE_PGM_RSRC2:USER_SGPR: 13
; COMPUTE_PGM_RSRC2:TRAP_HANDLER: 0
; COMPUTE_PGM_RSRC2:TGID_X_EN: 1
; COMPUTE_PGM_RSRC2:TGID_Y_EN: 1
; COMPUTE_PGM_RSRC2:TGID_Z_EN: 1
; COMPUTE_PGM_RSRC2:TIDIG_COMP_CNT: 1
	.section	.text._ZL37rocblas_syrkx_herkx_restricted_kernelIi19rocblas_complex_numIfELi16ELi32ELi8ELin1ELi0ELb0ELc84ELc76EKPKS1_KPS1_EviT_PT9_S7_lS9_S7_lPT10_S7_li,"axG",@progbits,_ZL37rocblas_syrkx_herkx_restricted_kernelIi19rocblas_complex_numIfELi16ELi32ELi8ELin1ELi0ELb0ELc84ELc76EKPKS1_KPS1_EviT_PT9_S7_lS9_S7_lPT10_S7_li,comdat
	.globl	_ZL37rocblas_syrkx_herkx_restricted_kernelIi19rocblas_complex_numIfELi16ELi32ELi8ELin1ELi0ELb0ELc84ELc76EKPKS1_KPS1_EviT_PT9_S7_lS9_S7_lPT10_S7_li ; -- Begin function _ZL37rocblas_syrkx_herkx_restricted_kernelIi19rocblas_complex_numIfELi16ELi32ELi8ELin1ELi0ELb0ELc84ELc76EKPKS1_KPS1_EviT_PT9_S7_lS9_S7_lPT10_S7_li
	.p2align	8
	.type	_ZL37rocblas_syrkx_herkx_restricted_kernelIi19rocblas_complex_numIfELi16ELi32ELi8ELin1ELi0ELb0ELc84ELc76EKPKS1_KPS1_EviT_PT9_S7_lS9_S7_lPT10_S7_li,@function
_ZL37rocblas_syrkx_herkx_restricted_kernelIi19rocblas_complex_numIfELi16ELi32ELi8ELin1ELi0ELb0ELc84ELc76EKPKS1_KPS1_EviT_PT9_S7_lS9_S7_lPT10_S7_li: ; @_ZL37rocblas_syrkx_herkx_restricted_kernelIi19rocblas_complex_numIfELi16ELi32ELi8ELin1ELi0ELb0ELc84ELc76EKPKS1_KPS1_EviT_PT9_S7_lS9_S7_lPT10_S7_li
; %bb.0:
	s_clause 0x1
	s_load_b64 s[2:3], s[0:1], 0x38
	s_load_b64 s[4:5], s[0:1], 0x0
	s_mov_b32 s6, s15
	s_mov_b32 s7, 0
	v_dual_mov_b32 v17, 0 :: v_dual_and_b32 v6, 0x3ff, v0
	s_lshl_b64 s[8:9], s[6:7], 3
	v_bfe_u32 v7, v0, 10, 10
	v_dual_mov_b32 v16, 0 :: v_dual_mov_b32 v13, 0
	v_dual_mov_b32 v12, 0 :: v_dual_mov_b32 v9, 0
	;; [unrolled: 1-line block ×3, first 2 shown]
	v_mov_b32_e32 v8, 0
	s_waitcnt lgkmcnt(0)
	s_add_u32 s2, s2, s8
	s_addc_u32 s3, s3, s9
	s_lshl_b32 s6, s13, 5
	s_load_b64 s[2:3], s[2:3], 0x0
	s_lshl_b32 s10, s14, 5
	s_cmp_lt_i32 s5, 1
	s_cbranch_scc1 .LBB636_3
; %bb.1:
	s_clause 0x3
	s_load_b64 s[12:13], s[0:1], 0x8
	s_load_b64 s[14:15], s[0:1], 0x20
	s_load_b32 s11, s[0:1], 0x10
	s_load_b32 s16, s[0:1], 0x28
	v_lshl_add_u32 v2, v7, 4, v6
	v_dual_mov_b32 v1, 0 :: v_dual_and_b32 v0, 7, v6
	v_lshlrev_b32_e32 v10, 3, v6
	v_lshl_add_u32 v11, v7, 6, 0x800
	s_delay_alu instid0(VALU_DEP_4)
	v_and_b32_e32 v14, 31, v2
	v_lshrrev_b32_e32 v9, 3, v2
	v_lshrrev_b32_e32 v2, 5, v2
	v_mov_b32_e32 v3, v1
	v_mov_b32_e32 v16, v1
	v_add_nc_u32_e32 v8, s6, v14
	v_add_nc_u32_e32 v15, s10, v9
	v_mov_b32_e32 v17, v1
	s_waitcnt lgkmcnt(0)
	s_add_u32 s12, s12, s8
	s_addc_u32 s13, s13, s9
	s_add_u32 s8, s14, s8
	s_load_b64 s[12:13], s[12:13], 0x0
	s_addc_u32 s9, s15, s9
	v_mad_i64_i32 v[4:5], null, s11, v8, v[2:3]
	v_mov_b32_e32 v8, v1
	s_load_b64 s[8:9], s[8:9], 0x0
	v_lshlrev_b32_e32 v3, 3, v0
	v_mad_i64_i32 v[12:13], null, s16, v15, v[0:1]
	v_mov_b32_e32 v0, v1
	s_delay_alu instid0(VALU_DEP_3) | instskip(SKIP_3) | instid1(VALU_DEP_4)
	v_lshl_or_b32 v15, v9, 6, v3
	v_lshlrev_b64 v[3:4], 3, v[4:5]
	v_dual_mov_b32 v9, v1 :: v_dual_lshlrev_b32 v14, 3, v14
	v_lshlrev_b64 v[12:13], 3, v[12:13]
	v_add_nc_u32_e32 v15, 0x800, v15
	s_delay_alu instid0(VALU_DEP_3)
	v_lshl_or_b32 v14, v2, 8, v14
	s_waitcnt lgkmcnt(0)
	v_add_co_u32 v2, vcc_lo, v3, s12
	v_add_co_ci_u32_e32 v3, vcc_lo, s13, v4, vcc_lo
	v_add_co_u32 v4, vcc_lo, v12, s8
	v_mov_b32_e32 v12, v1
	v_add_co_ci_u32_e32 v5, vcc_lo, s9, v13, vcc_lo
	v_add_co_u32 v2, vcc_lo, v2, 4
	v_add_co_ci_u32_e32 v3, vcc_lo, 0, v3, vcc_lo
	v_add_co_u32 v4, vcc_lo, v4, 4
	s_delay_alu instid0(VALU_DEP_4)
	v_add_co_ci_u32_e32 v5, vcc_lo, 0, v5, vcc_lo
	v_mov_b32_e32 v13, v1
.LBB636_2:                              ; =>This Inner Loop Header: Depth=1
	global_load_b64 v[18:19], v[2:3], off offset:-4
	global_load_b64 v[20:21], v[4:5], off offset:-4
	v_add_co_u32 v2, vcc_lo, v2, 64
	v_add_co_ci_u32_e32 v3, vcc_lo, 0, v3, vcc_lo
	v_add_co_u32 v4, vcc_lo, v4, 64
	v_add_co_ci_u32_e32 v5, vcc_lo, 0, v5, vcc_lo
	s_add_i32 s7, s7, 8
	s_waitcnt vmcnt(1)
	ds_store_b64 v14, v[18:19]
	s_waitcnt vmcnt(0)
	ds_store_b64 v15, v[20:21]
	s_waitcnt lgkmcnt(0)
	s_barrier
	buffer_gl0_inv
	ds_load_2addr_b64 v[18:21], v10 offset1:16
	ds_load_b128 v[22:25], v11
	ds_load_b128 v[26:29], v11 offset:1024
	ds_load_b128 v[30:33], v11 offset:16
	ds_load_2addr_b64 v[34:37], v10 offset0:32 offset1:48
	ds_load_b128 v[38:41], v11 offset:32
	ds_load_b128 v[42:45], v11 offset:48
	ds_load_2addr_b64 v[46:49], v10 offset0:64 offset1:80
	ds_load_b128 v[50:53], v11 offset:1040
	ds_load_2addr_b64 v[54:57], v10 offset0:96 offset1:112
	ds_load_2addr_b64 v[58:61], v10 offset0:128 offset1:144
	;; [unrolled: 1-line block ×4, first 2 shown]
	ds_load_b128 v[70:73], v11 offset:1056
	ds_load_b128 v[74:77], v11 offset:1072
	ds_load_2addr_b64 v[78:81], v10 offset0:224 offset1:240
	s_cmp_ge_i32 s7, s5
	s_waitcnt lgkmcnt(0)
	s_barrier
	buffer_gl0_inv
	v_dual_mul_f32 v82, v23, v19 :: v_dual_mul_f32 v85, v22, v21
	v_dual_mul_f32 v83, v22, v19 :: v_dual_mul_f32 v84, v23, v21
	v_mul_f32_e32 v86, v27, v19
	v_dual_mul_f32 v19, v26, v19 :: v_dual_mul_f32 v90, v25, v37
	v_dual_mul_f32 v87, v27, v21 :: v_dual_mul_f32 v88, v25, v35
	v_mul_f32_e32 v21, v26, v21
	v_fma_f32 v82, v22, v18, -v82
	v_fmac_f32_e32 v83, v23, v18
	v_fma_f32 v22, v22, v20, -v84
	v_fmac_f32_e32 v85, v23, v20
	v_fma_f32 v23, v26, v18, -v86
	v_dual_fmac_f32 v19, v27, v18 :: v_dual_mul_f32 v86, v30, v47
	v_fma_f32 v18, v26, v20, -v87
	v_dual_fmac_f32 v21, v27, v20 :: v_dual_mul_f32 v20, v24, v37
	v_mul_f32_e32 v89, v24, v35
	v_mul_f32_e32 v26, v29, v35
	;; [unrolled: 1-line block ×4, first 2 shown]
	v_fmac_f32_e32 v20, v25, v36
	v_fmac_f32_e32 v89, v25, v34
	v_dual_mul_f32 v25, v28, v37 :: v_dual_fmac_f32 v86, v31, v46
	v_fma_f32 v84, v24, v34, -v88
	v_fma_f32 v24, v24, v36, -v90
	v_dual_mul_f32 v37, v31, v47 :: v_dual_mul_f32 v90, v33, v57
	v_fma_f32 v26, v28, v34, -v26
	v_fma_f32 v28, v28, v36, -v35
	v_fmac_f32_e32 v25, v29, v36
	v_dual_mul_f32 v35, v50, v47 :: v_dual_mul_f32 v36, v51, v49
	v_dual_fmac_f32 v27, v29, v34 :: v_dual_mul_f32 v34, v51, v47
	v_dual_mul_f32 v88, v32, v55 :: v_dual_mul_f32 v29, v30, v49
	v_mul_f32_e32 v87, v31, v49
	v_fma_f32 v37, v30, v46, -v37
	v_add_f32_e32 v16, v16, v82
	s_delay_alu instid0(VALU_DEP_4)
	v_dual_fmac_f32 v88, v33, v54 :: v_dual_fmac_f32 v29, v31, v48
	v_fma_f32 v31, v50, v46, -v34
	v_fma_f32 v34, v50, v48, -v36
	v_mul_f32_e32 v36, v32, v57
	v_mul_f32_e32 v47, v50, v49
	v_dual_mul_f32 v50, v53, v57 :: v_dual_fmac_f32 v35, v51, v46
	v_mul_f32_e32 v46, v53, v55
	v_mul_f32_e32 v49, v33, v55
	v_fma_f32 v30, v30, v48, -v87
	v_fmac_f32_e32 v36, v33, v56
	v_dual_fmac_f32 v47, v51, v48 :: v_dual_mul_f32 v48, v52, v55
	v_mul_f32_e32 v33, v52, v57
	v_fma_f32 v46, v52, v54, -v46
	v_fma_f32 v50, v52, v56, -v50
	v_mul_f32_e32 v52, v38, v61
	v_fma_f32 v49, v32, v54, -v49
	v_fma_f32 v32, v32, v56, -v90
	v_dual_mul_f32 v51, v39, v59 :: v_dual_fmac_f32 v48, v53, v54
	v_mul_f32_e32 v54, v70, v59
	v_dual_mul_f32 v55, v38, v59 :: v_dual_fmac_f32 v52, v39, v60
	v_fmac_f32_e32 v33, v53, v56
	v_mul_f32_e32 v53, v71, v59
	v_mul_f32_e32 v56, v71, v61
	;; [unrolled: 1-line block ×3, first 2 shown]
	v_fmac_f32_e32 v54, v71, v58
	v_fmac_f32_e32 v55, v39, v58
	v_fma_f32 v39, v70, v58, -v53
	v_fma_f32 v53, v70, v60, -v56
	v_mul_f32_e32 v56, v40, v65
	v_mul_f32_e32 v59, v70, v61
	v_fma_f32 v51, v38, v58, -v51
	v_mul_f32_e32 v58, v72, v63
	v_mul_f32_e32 v87, v40, v63
	;; [unrolled: 1-line block ×4, first 2 shown]
	v_fma_f32 v38, v38, v60, -v57
	v_mul_f32_e32 v57, v73, v63
	v_fmac_f32_e32 v56, v41, v64
	v_dual_fmac_f32 v59, v71, v60 :: v_dual_mul_f32 v60, v73, v65
	v_mul_f32_e32 v63, v43, v67
	v_mul_f32_e32 v70, v43, v69
	v_fmac_f32_e32 v58, v73, v62
	v_fmac_f32_e32 v87, v41, v62
	v_mul_f32_e32 v41, v72, v65
	v_fma_f32 v61, v40, v62, -v61
	v_fma_f32 v40, v40, v64, -v90
	v_mul_f32_e32 v65, v42, v67
	v_fma_f32 v57, v72, v62, -v57
	v_fma_f32 v60, v72, v64, -v60
	v_dual_fmac_f32 v41, v73, v64 :: v_dual_mul_f32 v62, v42, v69
	v_mul_f32_e32 v64, v75, v67
	v_fma_f32 v63, v42, v66, -v63
	v_fma_f32 v42, v42, v68, -v70
	v_mul_f32_e32 v70, v76, v79
	v_mul_f32_e32 v67, v74, v67
	;; [unrolled: 1-line block ×3, first 2 shown]
	v_dual_mul_f32 v69, v74, v69 :: v_dual_add_f32 v0, v0, v19
	v_mul_f32_e32 v73, v44, v79
	v_dual_fmac_f32 v65, v43, v66 :: v_dual_add_f32 v12, v12, v85
	v_fmac_f32_e32 v62, v43, v68
	v_fma_f32 v43, v74, v66, -v64
	v_fmac_f32_e32 v70, v77, v78
	v_dual_fmac_f32 v67, v75, v66 :: v_dual_add_f32 v16, v16, v84
	v_mul_f32_e32 v66, v44, v81
	v_mul_f32_e32 v72, v45, v79
	v_dual_mul_f32 v90, v45, v81 :: v_dual_fmac_f32 v69, v75, v68
	v_add_f32_e32 v8, v8, v18
	v_dual_fmac_f32 v73, v45, v78 :: v_dual_add_f32 v0, v0, v27
	v_dual_fmac_f32 v66, v45, v80 :: v_dual_mul_f32 v45, v76, v81
	v_fma_f32 v64, v74, v68, -v71
	v_dual_mul_f32 v71, v77, v81 :: v_dual_add_f32 v12, v12, v20
	v_dual_add_f32 v17, v17, v83 :: v_dual_add_f32 v8, v8, v28
	s_delay_alu instid0(VALU_DEP_4) | instskip(NEXT) | instid1(VALU_DEP_3)
	v_dual_fmac_f32 v45, v77, v80 :: v_dual_add_f32 v16, v16, v37
	v_dual_add_f32 v13, v13, v22 :: v_dual_add_f32 v12, v12, v29
	s_delay_alu instid0(VALU_DEP_3) | instskip(SKIP_1) | instid1(VALU_DEP_3)
	v_dual_add_f32 v9, v9, v23 :: v_dual_add_f32 v8, v8, v34
	v_dual_add_f32 v1, v1, v21 :: v_dual_add_f32 v0, v0, v35
	;; [unrolled: 1-line block ×3, first 2 shown]
	s_delay_alu instid0(VALU_DEP_4) | instskip(NEXT) | instid1(VALU_DEP_3)
	v_dual_add_f32 v13, v13, v24 :: v_dual_add_f32 v16, v16, v49
	v_dual_add_f32 v9, v9, v26 :: v_dual_add_f32 v0, v0, v48
	s_delay_alu instid0(VALU_DEP_4) | instskip(NEXT) | instid1(VALU_DEP_3)
	v_dual_add_f32 v1, v1, v25 :: v_dual_add_f32 v8, v8, v50
	v_dual_add_f32 v17, v17, v86 :: v_dual_add_f32 v16, v16, v51
	s_delay_alu instid0(VALU_DEP_4) | instskip(NEXT) | instid1(VALU_DEP_4)
	v_dual_add_f32 v13, v13, v30 :: v_dual_add_f32 v12, v12, v52
	v_dual_add_f32 v9, v9, v31 :: v_dual_add_f32 v0, v0, v54
	s_delay_alu instid0(VALU_DEP_4) | instskip(NEXT) | instid1(VALU_DEP_4)
	v_dual_add_f32 v1, v1, v47 :: v_dual_add_f32 v8, v8, v53
	v_dual_add_f32 v17, v17, v88 :: v_dual_add_f32 v16, v16, v61
	s_delay_alu instid0(VALU_DEP_3) | instskip(NEXT) | instid1(VALU_DEP_4)
	v_dual_add_f32 v13, v13, v32 :: v_dual_add_f32 v0, v0, v58
	v_dual_add_f32 v9, v9, v46 :: v_dual_add_f32 v12, v12, v56
	s_delay_alu instid0(VALU_DEP_4) | instskip(SKIP_1) | instid1(VALU_DEP_3)
	v_dual_add_f32 v1, v1, v33 :: v_dual_add_f32 v8, v8, v60
	v_fma_f32 v72, v44, v78, -v72
	v_dual_add_f32 v17, v17, v55 :: v_dual_add_f32 v12, v12, v62
	v_dual_add_f32 v13, v13, v38 :: v_dual_add_f32 v16, v16, v63
	s_delay_alu instid0(VALU_DEP_4) | instskip(SKIP_2) | instid1(VALU_DEP_4)
	v_dual_add_f32 v9, v9, v39 :: v_dual_add_f32 v8, v8, v64
	v_add_f32_e32 v1, v1, v59
	v_mul_f32_e32 v68, v77, v79
	v_add_f32_e32 v16, v16, v72
	v_fma_f32 v71, v76, v80, -v71
	v_dual_add_f32 v17, v17, v87 :: v_dual_add_f32 v12, v12, v66
	v_dual_add_f32 v13, v13, v40 :: v_dual_add_f32 v0, v0, v67
	v_add_f32_e32 v9, v9, v57
	s_delay_alu instid0(VALU_DEP_4)
	v_dual_add_f32 v1, v1, v41 :: v_dual_add_f32 v8, v8, v71
	v_fma_f32 v44, v44, v80, -v90
	v_fma_f32 v68, v76, v78, -v68
	v_add_f32_e32 v17, v17, v65
	v_add_f32_e32 v13, v13, v42
	v_dual_add_f32 v1, v1, v69 :: v_dual_add_f32 v0, v0, v70
	v_add_f32_e32 v9, v9, v43
	s_delay_alu instid0(VALU_DEP_4) | instskip(NEXT) | instid1(VALU_DEP_4)
	v_add_f32_e32 v17, v17, v73
	v_add_f32_e32 v13, v13, v44
	s_delay_alu instid0(VALU_DEP_4) | instskip(NEXT) | instid1(VALU_DEP_4)
	v_add_f32_e32 v1, v1, v45
	v_add_f32_e32 v9, v9, v68
	s_cbranch_scc0 .LBB636_2
.LBB636_3:
	s_load_b32 s5, s[0:1], 0x40
	v_add_nc_u32_e32 v7, s10, v7
	v_add_nc_u32_e32 v2, s6, v6
	s_delay_alu instid0(VALU_DEP_1) | instskip(SKIP_1) | instid1(VALU_DEP_2)
	v_cmp_le_i32_e64 s0, v7, v2
	v_cmp_gt_i32_e32 vcc_lo, s4, v2
	s_and_b32 s0, s0, vcc_lo
	s_waitcnt lgkmcnt(0)
	v_mad_i64_i32 v[3:4], null, v7, s5, 0
	s_delay_alu instid0(VALU_DEP_1) | instskip(NEXT) | instid1(VALU_DEP_1)
	v_lshlrev_b64 v[3:4], 3, v[3:4]
	v_add_co_u32 v6, s1, s2, v3
	s_delay_alu instid0(VALU_DEP_1)
	v_add_co_ci_u32_e64 v10, s1, s3, v4, s1
	s_and_saveexec_b32 s1, s0
	s_cbranch_execz .LBB636_5
; %bb.4:
	v_ashrrev_i32_e32 v3, 31, v2
	v_xor_b32_e32 v14, 0x80000000, v16
	v_xor_b32_e32 v15, 0x80000000, v17
	s_delay_alu instid0(VALU_DEP_3) | instskip(NEXT) | instid1(VALU_DEP_1)
	v_lshlrev_b64 v[3:4], 3, v[2:3]
	v_add_co_u32 v3, s0, v6, v3
	s_delay_alu instid0(VALU_DEP_1)
	v_add_co_ci_u32_e64 v4, s0, v10, v4, s0
	global_store_b64 v[3:4], v[14:15], off
.LBB636_5:
	s_or_b32 exec_lo, exec_lo, s1
	v_add_nc_u32_e32 v4, 16, v2
	s_delay_alu instid0(VALU_DEP_1) | instskip(SKIP_1) | instid1(VALU_DEP_1)
	v_cmp_le_i32_e64 s1, v7, v4
	v_cmp_gt_i32_e64 s0, s4, v4
	s_and_b32 s1, s1, s0
	s_delay_alu instid0(SALU_CYCLE_1)
	s_and_saveexec_b32 s4, s1
	s_cbranch_execz .LBB636_7
; %bb.6:
	v_ashrrev_i32_e32 v5, 31, v4
	v_xor_b32_e32 v11, 0x80000000, v13
	v_xor_b32_e32 v12, 0x80000000, v12
	s_delay_alu instid0(VALU_DEP_3) | instskip(NEXT) | instid1(VALU_DEP_1)
	v_lshlrev_b64 v[14:15], 3, v[4:5]
	v_add_co_u32 v5, s1, v6, v14
	s_delay_alu instid0(VALU_DEP_1)
	v_add_co_ci_u32_e64 v6, s1, v10, v15, s1
	global_store_b64 v[5:6], v[11:12], off
.LBB636_7:
	s_or_b32 exec_lo, exec_lo, s4
	v_add_nc_u32_e32 v5, 16, v7
	s_delay_alu instid0(VALU_DEP_1) | instskip(SKIP_1) | instid1(VALU_DEP_2)
	v_mad_i64_i32 v[6:7], null, v5, s5, 0
	v_cmp_le_i32_e64 s1, v5, v2
	v_lshlrev_b64 v[6:7], 3, v[6:7]
	s_delay_alu instid0(VALU_DEP_1) | instskip(NEXT) | instid1(VALU_DEP_1)
	v_add_co_u32 v6, s2, s2, v6
	v_add_co_ci_u32_e64 v7, s2, s3, v7, s2
	s_delay_alu instid0(VALU_DEP_4) | instskip(NEXT) | instid1(SALU_CYCLE_1)
	s_and_b32 s2, s1, vcc_lo
	s_and_saveexec_b32 s1, s2
	s_cbranch_execz .LBB636_9
; %bb.8:
	v_ashrrev_i32_e32 v3, 31, v2
	v_xor_b32_e32 v9, 0x80000000, v9
	v_xor_b32_e32 v10, 0x80000000, v0
	s_delay_alu instid0(VALU_DEP_3) | instskip(NEXT) | instid1(VALU_DEP_1)
	v_lshlrev_b64 v[2:3], 3, v[2:3]
	v_add_co_u32 v2, vcc_lo, v6, v2
	s_delay_alu instid0(VALU_DEP_2)
	v_add_co_ci_u32_e32 v3, vcc_lo, v7, v3, vcc_lo
	global_store_b64 v[2:3], v[9:10], off
.LBB636_9:
	s_or_b32 exec_lo, exec_lo, s1
	v_cmp_le_i32_e32 vcc_lo, v5, v4
	s_and_b32 s0, vcc_lo, s0
	s_delay_alu instid0(SALU_CYCLE_1)
	s_and_saveexec_b32 s1, s0
	s_cbranch_execz .LBB636_11
; %bb.10:
	v_ashrrev_i32_e32 v5, 31, v4
	v_xor_b32_e32 v0, 0x80000000, v8
	v_xor_b32_e32 v1, 0x80000000, v1
	s_delay_alu instid0(VALU_DEP_3) | instskip(NEXT) | instid1(VALU_DEP_1)
	v_lshlrev_b64 v[2:3], 3, v[4:5]
	v_add_co_u32 v2, vcc_lo, v6, v2
	s_delay_alu instid0(VALU_DEP_2)
	v_add_co_ci_u32_e32 v3, vcc_lo, v7, v3, vcc_lo
	global_store_b64 v[2:3], v[0:1], off
.LBB636_11:
	s_nop 0
	s_sendmsg sendmsg(MSG_DEALLOC_VGPRS)
	s_endpgm
	.section	.rodata,"a",@progbits
	.p2align	6, 0x0
	.amdhsa_kernel _ZL37rocblas_syrkx_herkx_restricted_kernelIi19rocblas_complex_numIfELi16ELi32ELi8ELin1ELi0ELb0ELc84ELc76EKPKS1_KPS1_EviT_PT9_S7_lS9_S7_lPT10_S7_li
		.amdhsa_group_segment_fixed_size 4096
		.amdhsa_private_segment_fixed_size 0
		.amdhsa_kernarg_size 84
		.amdhsa_user_sgpr_count 13
		.amdhsa_user_sgpr_dispatch_ptr 0
		.amdhsa_user_sgpr_queue_ptr 0
		.amdhsa_user_sgpr_kernarg_segment_ptr 1
		.amdhsa_user_sgpr_dispatch_id 0
		.amdhsa_user_sgpr_private_segment_size 0
		.amdhsa_wavefront_size32 1
		.amdhsa_uses_dynamic_stack 0
		.amdhsa_enable_private_segment 0
		.amdhsa_system_sgpr_workgroup_id_x 1
		.amdhsa_system_sgpr_workgroup_id_y 1
		.amdhsa_system_sgpr_workgroup_id_z 1
		.amdhsa_system_sgpr_workgroup_info 0
		.amdhsa_system_vgpr_workitem_id 1
		.amdhsa_next_free_vgpr 91
		.amdhsa_next_free_sgpr 17
		.amdhsa_reserve_vcc 1
		.amdhsa_float_round_mode_32 0
		.amdhsa_float_round_mode_16_64 0
		.amdhsa_float_denorm_mode_32 3
		.amdhsa_float_denorm_mode_16_64 3
		.amdhsa_dx10_clamp 1
		.amdhsa_ieee_mode 1
		.amdhsa_fp16_overflow 0
		.amdhsa_workgroup_processor_mode 1
		.amdhsa_memory_ordered 1
		.amdhsa_forward_progress 0
		.amdhsa_shared_vgpr_count 0
		.amdhsa_exception_fp_ieee_invalid_op 0
		.amdhsa_exception_fp_denorm_src 0
		.amdhsa_exception_fp_ieee_div_zero 0
		.amdhsa_exception_fp_ieee_overflow 0
		.amdhsa_exception_fp_ieee_underflow 0
		.amdhsa_exception_fp_ieee_inexact 0
		.amdhsa_exception_int_div_zero 0
	.end_amdhsa_kernel
	.section	.text._ZL37rocblas_syrkx_herkx_restricted_kernelIi19rocblas_complex_numIfELi16ELi32ELi8ELin1ELi0ELb0ELc84ELc76EKPKS1_KPS1_EviT_PT9_S7_lS9_S7_lPT10_S7_li,"axG",@progbits,_ZL37rocblas_syrkx_herkx_restricted_kernelIi19rocblas_complex_numIfELi16ELi32ELi8ELin1ELi0ELb0ELc84ELc76EKPKS1_KPS1_EviT_PT9_S7_lS9_S7_lPT10_S7_li,comdat
.Lfunc_end636:
	.size	_ZL37rocblas_syrkx_herkx_restricted_kernelIi19rocblas_complex_numIfELi16ELi32ELi8ELin1ELi0ELb0ELc84ELc76EKPKS1_KPS1_EviT_PT9_S7_lS9_S7_lPT10_S7_li, .Lfunc_end636-_ZL37rocblas_syrkx_herkx_restricted_kernelIi19rocblas_complex_numIfELi16ELi32ELi8ELin1ELi0ELb0ELc84ELc76EKPKS1_KPS1_EviT_PT9_S7_lS9_S7_lPT10_S7_li
                                        ; -- End function
	.section	.AMDGPU.csdata,"",@progbits
; Kernel info:
; codeLenInByte = 2060
; NumSgprs: 19
; NumVgprs: 91
; ScratchSize: 0
; MemoryBound: 0
; FloatMode: 240
; IeeeMode: 1
; LDSByteSize: 4096 bytes/workgroup (compile time only)
; SGPRBlocks: 2
; VGPRBlocks: 11
; NumSGPRsForWavesPerEU: 19
; NumVGPRsForWavesPerEU: 91
; Occupancy: 16
; WaveLimiterHint : 1
; COMPUTE_PGM_RSRC2:SCRATCH_EN: 0
; COMPUTE_PGM_RSRC2:USER_SGPR: 13
; COMPUTE_PGM_RSRC2:TRAP_HANDLER: 0
; COMPUTE_PGM_RSRC2:TGID_X_EN: 1
; COMPUTE_PGM_RSRC2:TGID_Y_EN: 1
; COMPUTE_PGM_RSRC2:TGID_Z_EN: 1
; COMPUTE_PGM_RSRC2:TIDIG_COMP_CNT: 1
	.section	.text._ZL37rocblas_syrkx_herkx_restricted_kernelIi19rocblas_complex_numIfELi16ELi32ELi8ELin1ELi0ELb0ELc67ELc76EKPKS1_KPS1_EviT_PT9_S7_lS9_S7_lPT10_S7_li,"axG",@progbits,_ZL37rocblas_syrkx_herkx_restricted_kernelIi19rocblas_complex_numIfELi16ELi32ELi8ELin1ELi0ELb0ELc67ELc76EKPKS1_KPS1_EviT_PT9_S7_lS9_S7_lPT10_S7_li,comdat
	.globl	_ZL37rocblas_syrkx_herkx_restricted_kernelIi19rocblas_complex_numIfELi16ELi32ELi8ELin1ELi0ELb0ELc67ELc76EKPKS1_KPS1_EviT_PT9_S7_lS9_S7_lPT10_S7_li ; -- Begin function _ZL37rocblas_syrkx_herkx_restricted_kernelIi19rocblas_complex_numIfELi16ELi32ELi8ELin1ELi0ELb0ELc67ELc76EKPKS1_KPS1_EviT_PT9_S7_lS9_S7_lPT10_S7_li
	.p2align	8
	.type	_ZL37rocblas_syrkx_herkx_restricted_kernelIi19rocblas_complex_numIfELi16ELi32ELi8ELin1ELi0ELb0ELc67ELc76EKPKS1_KPS1_EviT_PT9_S7_lS9_S7_lPT10_S7_li,@function
_ZL37rocblas_syrkx_herkx_restricted_kernelIi19rocblas_complex_numIfELi16ELi32ELi8ELin1ELi0ELb0ELc67ELc76EKPKS1_KPS1_EviT_PT9_S7_lS9_S7_lPT10_S7_li: ; @_ZL37rocblas_syrkx_herkx_restricted_kernelIi19rocblas_complex_numIfELi16ELi32ELi8ELin1ELi0ELb0ELc67ELc76EKPKS1_KPS1_EviT_PT9_S7_lS9_S7_lPT10_S7_li
; %bb.0:
	s_clause 0x1
	s_load_b64 s[2:3], s[0:1], 0x38
	s_load_b64 s[4:5], s[0:1], 0x0
	s_mov_b32 s6, s15
	s_mov_b32 s7, 0
	v_dual_mov_b32 v17, 0 :: v_dual_and_b32 v6, 0x3ff, v0
	s_lshl_b64 s[8:9], s[6:7], 3
	v_bfe_u32 v7, v0, 10, 10
	v_dual_mov_b32 v16, 0 :: v_dual_mov_b32 v13, 0
	v_dual_mov_b32 v12, 0 :: v_dual_mov_b32 v9, 0
	;; [unrolled: 1-line block ×3, first 2 shown]
	v_mov_b32_e32 v8, 0
	s_waitcnt lgkmcnt(0)
	s_add_u32 s2, s2, s8
	s_addc_u32 s3, s3, s9
	s_lshl_b32 s6, s13, 5
	s_load_b64 s[2:3], s[2:3], 0x0
	s_lshl_b32 s10, s14, 5
	s_cmp_lt_i32 s5, 1
	s_cbranch_scc1 .LBB637_3
; %bb.1:
	s_clause 0x3
	s_load_b64 s[12:13], s[0:1], 0x8
	s_load_b64 s[14:15], s[0:1], 0x20
	s_load_b32 s11, s[0:1], 0x10
	s_load_b32 s16, s[0:1], 0x28
	v_lshl_add_u32 v2, v7, 4, v6
	v_dual_mov_b32 v1, 0 :: v_dual_and_b32 v0, 7, v6
	v_lshlrev_b32_e32 v10, 3, v6
	v_lshl_add_u32 v11, v7, 6, 0x800
	s_delay_alu instid0(VALU_DEP_4)
	v_and_b32_e32 v14, 31, v2
	v_lshrrev_b32_e32 v9, 3, v2
	v_lshrrev_b32_e32 v2, 5, v2
	v_mov_b32_e32 v3, v1
	v_mov_b32_e32 v16, v1
	v_add_nc_u32_e32 v8, s6, v14
	v_add_nc_u32_e32 v15, s10, v9
	v_mov_b32_e32 v17, v1
	s_waitcnt lgkmcnt(0)
	s_add_u32 s12, s12, s8
	s_addc_u32 s13, s13, s9
	s_add_u32 s8, s14, s8
	s_load_b64 s[12:13], s[12:13], 0x0
	s_addc_u32 s9, s15, s9
	v_mad_i64_i32 v[4:5], null, s11, v8, v[2:3]
	v_mov_b32_e32 v8, v1
	s_load_b64 s[8:9], s[8:9], 0x0
	v_lshlrev_b32_e32 v3, 3, v0
	v_mad_i64_i32 v[12:13], null, s16, v15, v[0:1]
	v_mov_b32_e32 v0, v1
	s_delay_alu instid0(VALU_DEP_3) | instskip(SKIP_3) | instid1(VALU_DEP_4)
	v_lshl_or_b32 v15, v9, 6, v3
	v_lshlrev_b64 v[3:4], 3, v[4:5]
	v_dual_mov_b32 v9, v1 :: v_dual_lshlrev_b32 v14, 3, v14
	v_lshlrev_b64 v[12:13], 3, v[12:13]
	v_add_nc_u32_e32 v15, 0x800, v15
	s_delay_alu instid0(VALU_DEP_3)
	v_lshl_or_b32 v14, v2, 8, v14
	s_waitcnt lgkmcnt(0)
	v_add_co_u32 v2, vcc_lo, v3, s12
	v_add_co_ci_u32_e32 v3, vcc_lo, s13, v4, vcc_lo
	v_add_co_u32 v4, vcc_lo, v12, s8
	v_mov_b32_e32 v12, v1
	v_add_co_ci_u32_e32 v5, vcc_lo, s9, v13, vcc_lo
	v_add_co_u32 v2, vcc_lo, v2, 4
	v_add_co_ci_u32_e32 v3, vcc_lo, 0, v3, vcc_lo
	v_add_co_u32 v4, vcc_lo, v4, 4
	s_delay_alu instid0(VALU_DEP_4)
	v_add_co_ci_u32_e32 v5, vcc_lo, 0, v5, vcc_lo
	v_mov_b32_e32 v13, v1
.LBB637_2:                              ; =>This Inner Loop Header: Depth=1
	global_load_b64 v[18:19], v[2:3], off offset:-4
	global_load_b64 v[20:21], v[4:5], off offset:-4
	v_add_co_u32 v2, vcc_lo, v2, 64
	v_add_co_ci_u32_e32 v3, vcc_lo, 0, v3, vcc_lo
	v_add_co_u32 v4, vcc_lo, v4, 64
	v_add_co_ci_u32_e32 v5, vcc_lo, 0, v5, vcc_lo
	s_add_i32 s7, s7, 8
	s_waitcnt vmcnt(1)
	ds_store_b64 v14, v[18:19]
	s_waitcnt vmcnt(0)
	ds_store_b64 v15, v[20:21]
	s_waitcnt lgkmcnt(0)
	s_barrier
	buffer_gl0_inv
	ds_load_2addr_b64 v[18:21], v10 offset1:16
	ds_load_b128 v[22:25], v11
	ds_load_b128 v[26:29], v11 offset:1024
	ds_load_b128 v[30:33], v11 offset:16
	ds_load_2addr_b64 v[34:37], v10 offset0:32 offset1:48
	ds_load_b128 v[38:41], v11 offset:32
	ds_load_b128 v[42:45], v11 offset:48
	ds_load_2addr_b64 v[46:49], v10 offset0:64 offset1:80
	ds_load_b128 v[50:53], v11 offset:1040
	ds_load_2addr_b64 v[54:57], v10 offset0:96 offset1:112
	ds_load_2addr_b64 v[58:61], v10 offset0:128 offset1:144
	;; [unrolled: 1-line block ×4, first 2 shown]
	ds_load_b128 v[70:73], v11 offset:1056
	ds_load_b128 v[74:77], v11 offset:1072
	ds_load_2addr_b64 v[78:81], v10 offset0:224 offset1:240
	s_cmp_ge_i32 s7, s5
	s_waitcnt lgkmcnt(0)
	s_barrier
	buffer_gl0_inv
	v_dual_mul_f32 v82, v23, v19 :: v_dual_mul_f32 v85, v22, v21
	v_dual_mul_f32 v83, v22, v19 :: v_dual_mul_f32 v84, v23, v21
	v_mul_f32_e32 v86, v27, v19
	v_dual_mul_f32 v19, v26, v19 :: v_dual_mul_f32 v90, v25, v37
	v_dual_mul_f32 v87, v27, v21 :: v_dual_mul_f32 v88, v25, v35
	v_mul_f32_e32 v21, v26, v21
	v_fma_f32 v82, v22, v18, -v82
	v_fmac_f32_e32 v83, v23, v18
	v_fma_f32 v22, v22, v20, -v84
	v_fmac_f32_e32 v85, v23, v20
	v_fma_f32 v23, v26, v18, -v86
	v_dual_fmac_f32 v19, v27, v18 :: v_dual_mul_f32 v86, v30, v47
	v_fma_f32 v18, v26, v20, -v87
	v_dual_fmac_f32 v21, v27, v20 :: v_dual_mul_f32 v20, v24, v37
	v_mul_f32_e32 v89, v24, v35
	v_mul_f32_e32 v26, v29, v35
	;; [unrolled: 1-line block ×4, first 2 shown]
	v_fmac_f32_e32 v20, v25, v36
	v_fmac_f32_e32 v89, v25, v34
	v_dual_mul_f32 v25, v28, v37 :: v_dual_fmac_f32 v86, v31, v46
	v_fma_f32 v84, v24, v34, -v88
	v_fma_f32 v24, v24, v36, -v90
	v_dual_mul_f32 v37, v31, v47 :: v_dual_mul_f32 v90, v33, v57
	v_fma_f32 v26, v28, v34, -v26
	v_fma_f32 v28, v28, v36, -v35
	v_fmac_f32_e32 v25, v29, v36
	v_dual_mul_f32 v35, v50, v47 :: v_dual_mul_f32 v36, v51, v49
	v_dual_fmac_f32 v27, v29, v34 :: v_dual_mul_f32 v34, v51, v47
	v_dual_mul_f32 v88, v32, v55 :: v_dual_mul_f32 v29, v30, v49
	v_mul_f32_e32 v87, v31, v49
	v_fma_f32 v37, v30, v46, -v37
	v_add_f32_e32 v16, v16, v82
	s_delay_alu instid0(VALU_DEP_4)
	v_dual_fmac_f32 v88, v33, v54 :: v_dual_fmac_f32 v29, v31, v48
	v_fma_f32 v31, v50, v46, -v34
	v_fma_f32 v34, v50, v48, -v36
	v_mul_f32_e32 v36, v32, v57
	v_mul_f32_e32 v47, v50, v49
	v_dual_mul_f32 v50, v53, v57 :: v_dual_fmac_f32 v35, v51, v46
	v_mul_f32_e32 v46, v53, v55
	v_mul_f32_e32 v49, v33, v55
	v_fma_f32 v30, v30, v48, -v87
	v_fmac_f32_e32 v36, v33, v56
	v_dual_fmac_f32 v47, v51, v48 :: v_dual_mul_f32 v48, v52, v55
	v_mul_f32_e32 v33, v52, v57
	v_fma_f32 v46, v52, v54, -v46
	v_fma_f32 v50, v52, v56, -v50
	v_mul_f32_e32 v52, v38, v61
	v_fma_f32 v49, v32, v54, -v49
	v_fma_f32 v32, v32, v56, -v90
	v_dual_mul_f32 v51, v39, v59 :: v_dual_fmac_f32 v48, v53, v54
	v_mul_f32_e32 v54, v70, v59
	v_dual_mul_f32 v55, v38, v59 :: v_dual_fmac_f32 v52, v39, v60
	v_fmac_f32_e32 v33, v53, v56
	v_mul_f32_e32 v53, v71, v59
	v_mul_f32_e32 v56, v71, v61
	;; [unrolled: 1-line block ×3, first 2 shown]
	v_fmac_f32_e32 v54, v71, v58
	v_fmac_f32_e32 v55, v39, v58
	v_fma_f32 v39, v70, v58, -v53
	v_fma_f32 v53, v70, v60, -v56
	v_mul_f32_e32 v56, v40, v65
	v_mul_f32_e32 v59, v70, v61
	v_fma_f32 v51, v38, v58, -v51
	v_mul_f32_e32 v58, v72, v63
	v_mul_f32_e32 v87, v40, v63
	;; [unrolled: 1-line block ×4, first 2 shown]
	v_fma_f32 v38, v38, v60, -v57
	v_mul_f32_e32 v57, v73, v63
	v_fmac_f32_e32 v56, v41, v64
	v_dual_fmac_f32 v59, v71, v60 :: v_dual_mul_f32 v60, v73, v65
	v_mul_f32_e32 v63, v43, v67
	v_mul_f32_e32 v70, v43, v69
	v_fmac_f32_e32 v58, v73, v62
	v_fmac_f32_e32 v87, v41, v62
	v_mul_f32_e32 v41, v72, v65
	v_fma_f32 v61, v40, v62, -v61
	v_fma_f32 v40, v40, v64, -v90
	v_mul_f32_e32 v65, v42, v67
	v_fma_f32 v57, v72, v62, -v57
	v_fma_f32 v60, v72, v64, -v60
	v_dual_fmac_f32 v41, v73, v64 :: v_dual_mul_f32 v62, v42, v69
	v_mul_f32_e32 v64, v75, v67
	v_fma_f32 v63, v42, v66, -v63
	v_fma_f32 v42, v42, v68, -v70
	v_mul_f32_e32 v70, v76, v79
	v_mul_f32_e32 v67, v74, v67
	;; [unrolled: 1-line block ×3, first 2 shown]
	v_dual_mul_f32 v69, v74, v69 :: v_dual_add_f32 v0, v0, v19
	v_mul_f32_e32 v73, v44, v79
	v_dual_fmac_f32 v65, v43, v66 :: v_dual_add_f32 v12, v12, v85
	v_fmac_f32_e32 v62, v43, v68
	v_fma_f32 v43, v74, v66, -v64
	v_fmac_f32_e32 v70, v77, v78
	v_dual_fmac_f32 v67, v75, v66 :: v_dual_add_f32 v16, v16, v84
	v_mul_f32_e32 v66, v44, v81
	v_mul_f32_e32 v72, v45, v79
	v_dual_mul_f32 v90, v45, v81 :: v_dual_fmac_f32 v69, v75, v68
	v_add_f32_e32 v8, v8, v18
	v_dual_fmac_f32 v73, v45, v78 :: v_dual_add_f32 v0, v0, v27
	v_dual_fmac_f32 v66, v45, v80 :: v_dual_mul_f32 v45, v76, v81
	v_fma_f32 v64, v74, v68, -v71
	v_dual_mul_f32 v71, v77, v81 :: v_dual_add_f32 v12, v12, v20
	v_dual_add_f32 v17, v17, v83 :: v_dual_add_f32 v8, v8, v28
	s_delay_alu instid0(VALU_DEP_4) | instskip(NEXT) | instid1(VALU_DEP_3)
	v_dual_fmac_f32 v45, v77, v80 :: v_dual_add_f32 v16, v16, v37
	v_dual_add_f32 v13, v13, v22 :: v_dual_add_f32 v12, v12, v29
	s_delay_alu instid0(VALU_DEP_3) | instskip(SKIP_1) | instid1(VALU_DEP_3)
	v_dual_add_f32 v9, v9, v23 :: v_dual_add_f32 v8, v8, v34
	v_dual_add_f32 v1, v1, v21 :: v_dual_add_f32 v0, v0, v35
	v_dual_add_f32 v17, v17, v89 :: v_dual_add_f32 v12, v12, v36
	s_delay_alu instid0(VALU_DEP_4) | instskip(NEXT) | instid1(VALU_DEP_3)
	v_dual_add_f32 v13, v13, v24 :: v_dual_add_f32 v16, v16, v49
	v_dual_add_f32 v9, v9, v26 :: v_dual_add_f32 v0, v0, v48
	s_delay_alu instid0(VALU_DEP_4) | instskip(NEXT) | instid1(VALU_DEP_3)
	v_dual_add_f32 v1, v1, v25 :: v_dual_add_f32 v8, v8, v50
	v_dual_add_f32 v17, v17, v86 :: v_dual_add_f32 v16, v16, v51
	s_delay_alu instid0(VALU_DEP_4) | instskip(NEXT) | instid1(VALU_DEP_4)
	v_dual_add_f32 v13, v13, v30 :: v_dual_add_f32 v12, v12, v52
	v_dual_add_f32 v9, v9, v31 :: v_dual_add_f32 v0, v0, v54
	s_delay_alu instid0(VALU_DEP_4) | instskip(NEXT) | instid1(VALU_DEP_4)
	v_dual_add_f32 v1, v1, v47 :: v_dual_add_f32 v8, v8, v53
	v_dual_add_f32 v17, v17, v88 :: v_dual_add_f32 v16, v16, v61
	s_delay_alu instid0(VALU_DEP_3) | instskip(NEXT) | instid1(VALU_DEP_4)
	v_dual_add_f32 v13, v13, v32 :: v_dual_add_f32 v0, v0, v58
	v_dual_add_f32 v9, v9, v46 :: v_dual_add_f32 v12, v12, v56
	s_delay_alu instid0(VALU_DEP_4) | instskip(SKIP_1) | instid1(VALU_DEP_3)
	v_dual_add_f32 v1, v1, v33 :: v_dual_add_f32 v8, v8, v60
	v_fma_f32 v72, v44, v78, -v72
	v_dual_add_f32 v17, v17, v55 :: v_dual_add_f32 v12, v12, v62
	v_dual_add_f32 v13, v13, v38 :: v_dual_add_f32 v16, v16, v63
	s_delay_alu instid0(VALU_DEP_4) | instskip(SKIP_2) | instid1(VALU_DEP_4)
	v_dual_add_f32 v9, v9, v39 :: v_dual_add_f32 v8, v8, v64
	v_add_f32_e32 v1, v1, v59
	v_mul_f32_e32 v68, v77, v79
	v_add_f32_e32 v16, v16, v72
	v_fma_f32 v71, v76, v80, -v71
	v_dual_add_f32 v17, v17, v87 :: v_dual_add_f32 v12, v12, v66
	v_dual_add_f32 v13, v13, v40 :: v_dual_add_f32 v0, v0, v67
	v_add_f32_e32 v9, v9, v57
	s_delay_alu instid0(VALU_DEP_4)
	v_dual_add_f32 v1, v1, v41 :: v_dual_add_f32 v8, v8, v71
	v_fma_f32 v44, v44, v80, -v90
	v_fma_f32 v68, v76, v78, -v68
	v_add_f32_e32 v17, v17, v65
	v_add_f32_e32 v13, v13, v42
	v_dual_add_f32 v1, v1, v69 :: v_dual_add_f32 v0, v0, v70
	v_add_f32_e32 v9, v9, v43
	s_delay_alu instid0(VALU_DEP_4) | instskip(NEXT) | instid1(VALU_DEP_4)
	v_add_f32_e32 v17, v17, v73
	v_add_f32_e32 v13, v13, v44
	s_delay_alu instid0(VALU_DEP_4) | instskip(NEXT) | instid1(VALU_DEP_4)
	v_add_f32_e32 v1, v1, v45
	v_add_f32_e32 v9, v9, v68
	s_cbranch_scc0 .LBB637_2
.LBB637_3:
	s_load_b32 s5, s[0:1], 0x40
	v_add_nc_u32_e32 v7, s10, v7
	v_add_nc_u32_e32 v2, s6, v6
	s_delay_alu instid0(VALU_DEP_1) | instskip(SKIP_1) | instid1(VALU_DEP_2)
	v_cmp_le_i32_e64 s0, v7, v2
	v_cmp_gt_i32_e32 vcc_lo, s4, v2
	s_and_b32 s0, s0, vcc_lo
	s_waitcnt lgkmcnt(0)
	v_mad_i64_i32 v[3:4], null, v7, s5, 0
	s_delay_alu instid0(VALU_DEP_1) | instskip(NEXT) | instid1(VALU_DEP_1)
	v_lshlrev_b64 v[3:4], 3, v[3:4]
	v_add_co_u32 v6, s1, s2, v3
	s_delay_alu instid0(VALU_DEP_1)
	v_add_co_ci_u32_e64 v10, s1, s3, v4, s1
	s_and_saveexec_b32 s1, s0
	s_cbranch_execz .LBB637_5
; %bb.4:
	v_ashrrev_i32_e32 v3, 31, v2
	v_xor_b32_e32 v14, 0x80000000, v16
	v_xor_b32_e32 v15, 0x80000000, v17
	s_delay_alu instid0(VALU_DEP_3) | instskip(NEXT) | instid1(VALU_DEP_1)
	v_lshlrev_b64 v[3:4], 3, v[2:3]
	v_add_co_u32 v3, s0, v6, v3
	s_delay_alu instid0(VALU_DEP_1)
	v_add_co_ci_u32_e64 v4, s0, v10, v4, s0
	global_store_b64 v[3:4], v[14:15], off
.LBB637_5:
	s_or_b32 exec_lo, exec_lo, s1
	v_add_nc_u32_e32 v4, 16, v2
	s_delay_alu instid0(VALU_DEP_1) | instskip(SKIP_1) | instid1(VALU_DEP_1)
	v_cmp_le_i32_e64 s1, v7, v4
	v_cmp_gt_i32_e64 s0, s4, v4
	s_and_b32 s1, s1, s0
	s_delay_alu instid0(SALU_CYCLE_1)
	s_and_saveexec_b32 s4, s1
	s_cbranch_execz .LBB637_7
; %bb.6:
	v_ashrrev_i32_e32 v5, 31, v4
	v_xor_b32_e32 v11, 0x80000000, v13
	v_xor_b32_e32 v12, 0x80000000, v12
	s_delay_alu instid0(VALU_DEP_3) | instskip(NEXT) | instid1(VALU_DEP_1)
	v_lshlrev_b64 v[14:15], 3, v[4:5]
	v_add_co_u32 v5, s1, v6, v14
	s_delay_alu instid0(VALU_DEP_1)
	v_add_co_ci_u32_e64 v6, s1, v10, v15, s1
	global_store_b64 v[5:6], v[11:12], off
.LBB637_7:
	s_or_b32 exec_lo, exec_lo, s4
	v_add_nc_u32_e32 v5, 16, v7
	s_delay_alu instid0(VALU_DEP_1) | instskip(SKIP_1) | instid1(VALU_DEP_2)
	v_mad_i64_i32 v[6:7], null, v5, s5, 0
	v_cmp_le_i32_e64 s1, v5, v2
	v_lshlrev_b64 v[6:7], 3, v[6:7]
	s_delay_alu instid0(VALU_DEP_1) | instskip(NEXT) | instid1(VALU_DEP_1)
	v_add_co_u32 v6, s2, s2, v6
	v_add_co_ci_u32_e64 v7, s2, s3, v7, s2
	s_delay_alu instid0(VALU_DEP_4) | instskip(NEXT) | instid1(SALU_CYCLE_1)
	s_and_b32 s2, s1, vcc_lo
	s_and_saveexec_b32 s1, s2
	s_cbranch_execz .LBB637_9
; %bb.8:
	v_ashrrev_i32_e32 v3, 31, v2
	v_xor_b32_e32 v9, 0x80000000, v9
	v_xor_b32_e32 v10, 0x80000000, v0
	s_delay_alu instid0(VALU_DEP_3) | instskip(NEXT) | instid1(VALU_DEP_1)
	v_lshlrev_b64 v[2:3], 3, v[2:3]
	v_add_co_u32 v2, vcc_lo, v6, v2
	s_delay_alu instid0(VALU_DEP_2)
	v_add_co_ci_u32_e32 v3, vcc_lo, v7, v3, vcc_lo
	global_store_b64 v[2:3], v[9:10], off
.LBB637_9:
	s_or_b32 exec_lo, exec_lo, s1
	v_cmp_le_i32_e32 vcc_lo, v5, v4
	s_and_b32 s0, vcc_lo, s0
	s_delay_alu instid0(SALU_CYCLE_1)
	s_and_saveexec_b32 s1, s0
	s_cbranch_execz .LBB637_11
; %bb.10:
	v_ashrrev_i32_e32 v5, 31, v4
	v_xor_b32_e32 v0, 0x80000000, v8
	v_xor_b32_e32 v1, 0x80000000, v1
	s_delay_alu instid0(VALU_DEP_3) | instskip(NEXT) | instid1(VALU_DEP_1)
	v_lshlrev_b64 v[2:3], 3, v[4:5]
	v_add_co_u32 v2, vcc_lo, v6, v2
	s_delay_alu instid0(VALU_DEP_2)
	v_add_co_ci_u32_e32 v3, vcc_lo, v7, v3, vcc_lo
	global_store_b64 v[2:3], v[0:1], off
.LBB637_11:
	s_nop 0
	s_sendmsg sendmsg(MSG_DEALLOC_VGPRS)
	s_endpgm
	.section	.rodata,"a",@progbits
	.p2align	6, 0x0
	.amdhsa_kernel _ZL37rocblas_syrkx_herkx_restricted_kernelIi19rocblas_complex_numIfELi16ELi32ELi8ELin1ELi0ELb0ELc67ELc76EKPKS1_KPS1_EviT_PT9_S7_lS9_S7_lPT10_S7_li
		.amdhsa_group_segment_fixed_size 4096
		.amdhsa_private_segment_fixed_size 0
		.amdhsa_kernarg_size 84
		.amdhsa_user_sgpr_count 13
		.amdhsa_user_sgpr_dispatch_ptr 0
		.amdhsa_user_sgpr_queue_ptr 0
		.amdhsa_user_sgpr_kernarg_segment_ptr 1
		.amdhsa_user_sgpr_dispatch_id 0
		.amdhsa_user_sgpr_private_segment_size 0
		.amdhsa_wavefront_size32 1
		.amdhsa_uses_dynamic_stack 0
		.amdhsa_enable_private_segment 0
		.amdhsa_system_sgpr_workgroup_id_x 1
		.amdhsa_system_sgpr_workgroup_id_y 1
		.amdhsa_system_sgpr_workgroup_id_z 1
		.amdhsa_system_sgpr_workgroup_info 0
		.amdhsa_system_vgpr_workitem_id 1
		.amdhsa_next_free_vgpr 91
		.amdhsa_next_free_sgpr 17
		.amdhsa_reserve_vcc 1
		.amdhsa_float_round_mode_32 0
		.amdhsa_float_round_mode_16_64 0
		.amdhsa_float_denorm_mode_32 3
		.amdhsa_float_denorm_mode_16_64 3
		.amdhsa_dx10_clamp 1
		.amdhsa_ieee_mode 1
		.amdhsa_fp16_overflow 0
		.amdhsa_workgroup_processor_mode 1
		.amdhsa_memory_ordered 1
		.amdhsa_forward_progress 0
		.amdhsa_shared_vgpr_count 0
		.amdhsa_exception_fp_ieee_invalid_op 0
		.amdhsa_exception_fp_denorm_src 0
		.amdhsa_exception_fp_ieee_div_zero 0
		.amdhsa_exception_fp_ieee_overflow 0
		.amdhsa_exception_fp_ieee_underflow 0
		.amdhsa_exception_fp_ieee_inexact 0
		.amdhsa_exception_int_div_zero 0
	.end_amdhsa_kernel
	.section	.text._ZL37rocblas_syrkx_herkx_restricted_kernelIi19rocblas_complex_numIfELi16ELi32ELi8ELin1ELi0ELb0ELc67ELc76EKPKS1_KPS1_EviT_PT9_S7_lS9_S7_lPT10_S7_li,"axG",@progbits,_ZL37rocblas_syrkx_herkx_restricted_kernelIi19rocblas_complex_numIfELi16ELi32ELi8ELin1ELi0ELb0ELc67ELc76EKPKS1_KPS1_EviT_PT9_S7_lS9_S7_lPT10_S7_li,comdat
.Lfunc_end637:
	.size	_ZL37rocblas_syrkx_herkx_restricted_kernelIi19rocblas_complex_numIfELi16ELi32ELi8ELin1ELi0ELb0ELc67ELc76EKPKS1_KPS1_EviT_PT9_S7_lS9_S7_lPT10_S7_li, .Lfunc_end637-_ZL37rocblas_syrkx_herkx_restricted_kernelIi19rocblas_complex_numIfELi16ELi32ELi8ELin1ELi0ELb0ELc67ELc76EKPKS1_KPS1_EviT_PT9_S7_lS9_S7_lPT10_S7_li
                                        ; -- End function
	.section	.AMDGPU.csdata,"",@progbits
; Kernel info:
; codeLenInByte = 2060
; NumSgprs: 19
; NumVgprs: 91
; ScratchSize: 0
; MemoryBound: 0
; FloatMode: 240
; IeeeMode: 1
; LDSByteSize: 4096 bytes/workgroup (compile time only)
; SGPRBlocks: 2
; VGPRBlocks: 11
; NumSGPRsForWavesPerEU: 19
; NumVGPRsForWavesPerEU: 91
; Occupancy: 16
; WaveLimiterHint : 1
; COMPUTE_PGM_RSRC2:SCRATCH_EN: 0
; COMPUTE_PGM_RSRC2:USER_SGPR: 13
; COMPUTE_PGM_RSRC2:TRAP_HANDLER: 0
; COMPUTE_PGM_RSRC2:TGID_X_EN: 1
; COMPUTE_PGM_RSRC2:TGID_Y_EN: 1
; COMPUTE_PGM_RSRC2:TGID_Z_EN: 1
; COMPUTE_PGM_RSRC2:TIDIG_COMP_CNT: 1
	.section	.text._ZL37rocblas_syrkx_herkx_restricted_kernelIi19rocblas_complex_numIfELi16ELi32ELi8ELin1ELi0ELb0ELc78ELc76EKPKS1_KPS1_EviT_PT9_S7_lS9_S7_lPT10_S7_li,"axG",@progbits,_ZL37rocblas_syrkx_herkx_restricted_kernelIi19rocblas_complex_numIfELi16ELi32ELi8ELin1ELi0ELb0ELc78ELc76EKPKS1_KPS1_EviT_PT9_S7_lS9_S7_lPT10_S7_li,comdat
	.globl	_ZL37rocblas_syrkx_herkx_restricted_kernelIi19rocblas_complex_numIfELi16ELi32ELi8ELin1ELi0ELb0ELc78ELc76EKPKS1_KPS1_EviT_PT9_S7_lS9_S7_lPT10_S7_li ; -- Begin function _ZL37rocblas_syrkx_herkx_restricted_kernelIi19rocblas_complex_numIfELi16ELi32ELi8ELin1ELi0ELb0ELc78ELc76EKPKS1_KPS1_EviT_PT9_S7_lS9_S7_lPT10_S7_li
	.p2align	8
	.type	_ZL37rocblas_syrkx_herkx_restricted_kernelIi19rocblas_complex_numIfELi16ELi32ELi8ELin1ELi0ELb0ELc78ELc76EKPKS1_KPS1_EviT_PT9_S7_lS9_S7_lPT10_S7_li,@function
_ZL37rocblas_syrkx_herkx_restricted_kernelIi19rocblas_complex_numIfELi16ELi32ELi8ELin1ELi0ELb0ELc78ELc76EKPKS1_KPS1_EviT_PT9_S7_lS9_S7_lPT10_S7_li: ; @_ZL37rocblas_syrkx_herkx_restricted_kernelIi19rocblas_complex_numIfELi16ELi32ELi8ELin1ELi0ELb0ELc78ELc76EKPKS1_KPS1_EviT_PT9_S7_lS9_S7_lPT10_S7_li
; %bb.0:
	s_clause 0x1
	s_load_b64 s[2:3], s[0:1], 0x38
	s_load_b64 s[4:5], s[0:1], 0x0
	s_mov_b32 s6, s15
	s_mov_b32 s7, 0
	v_dual_mov_b32 v17, 0 :: v_dual_and_b32 v4, 0x3ff, v0
	s_lshl_b64 s[8:9], s[6:7], 3
	v_bfe_u32 v5, v0, 10, 10
	v_dual_mov_b32 v16, 0 :: v_dual_mov_b32 v13, 0
	v_dual_mov_b32 v12, 0 :: v_dual_mov_b32 v9, 0
	;; [unrolled: 1-line block ×3, first 2 shown]
	v_mov_b32_e32 v6, 0
	s_waitcnt lgkmcnt(0)
	s_add_u32 s2, s2, s8
	s_addc_u32 s3, s3, s9
	s_lshl_b32 s6, s13, 5
	s_load_b64 s[2:3], s[2:3], 0x0
	s_lshl_b32 s12, s14, 5
	s_cmp_lt_i32 s5, 1
	s_cbranch_scc1 .LBB638_3
; %bb.1:
	s_clause 0x3
	s_load_b32 s10, s[0:1], 0x10
	s_load_b32 s14, s[0:1], 0x28
	s_load_b64 s[16:17], s[0:1], 0x8
	s_load_b64 s[18:19], s[0:1], 0x20
	v_lshl_add_u32 v0, v5, 4, v4
	v_and_b32_e32 v12, 7, v4
	v_lshlrev_b32_e32 v10, 3, v4
	v_lshl_add_u32 v11, v5, 6, 0x800
	s_delay_alu instid0(VALU_DEP_4) | instskip(SKIP_2) | instid1(VALU_DEP_3)
	v_dual_mov_b32 v16, 0 :: v_dual_and_b32 v9, 31, v0
	v_lshrrev_b32_e32 v6, 3, v0
	v_lshrrev_b32_e32 v13, 5, v0
	v_dual_mov_b32 v17, 0 :: v_dual_add_nc_u32 v2, s6, v9
	s_delay_alu instid0(VALU_DEP_3) | instskip(NEXT) | instid1(VALU_DEP_2)
	v_add_nc_u32_e32 v0, s12, v6
	v_ashrrev_i32_e32 v3, 31, v2
	s_waitcnt lgkmcnt(0)
	s_ashr_i32 s11, s10, 31
	s_ashr_i32 s15, s14, 31
	s_add_u32 s16, s16, s8
	s_addc_u32 s17, s17, s9
	s_add_u32 s8, s18, s8
	s_load_b64 s[16:17], s[16:17], 0x0
	s_addc_u32 s9, s19, s9
	v_ashrrev_i32_e32 v1, 31, v0
	s_load_b64 s[8:9], s[8:9], 0x0
	v_mad_i64_i32 v[7:8], null, s10, v13, v[2:3]
	s_delay_alu instid0(VALU_DEP_2) | instskip(NEXT) | instid1(VALU_DEP_2)
	v_mad_i64_i32 v[2:3], null, s14, v12, v[0:1]
	v_lshlrev_b64 v[0:1], 3, v[7:8]
	v_dual_mov_b32 v7, 0 :: v_dual_lshlrev_b32 v14, 3, v12
	s_delay_alu instid0(VALU_DEP_3) | instskip(SKIP_1) | instid1(VALU_DEP_3)
	v_lshlrev_b64 v[2:3], 3, v[2:3]
	v_mov_b32_e32 v8, 0
	v_lshl_or_b32 v12, v6, 6, v14
	s_waitcnt lgkmcnt(0)
	v_add_co_u32 v0, vcc_lo, v0, s16
	v_add_co_ci_u32_e32 v1, vcc_lo, s17, v1, vcc_lo
	v_add_co_u32 v2, vcc_lo, v2, s8
	v_add_co_ci_u32_e32 v3, vcc_lo, s9, v3, vcc_lo
	v_dual_mov_b32 v6, 0 :: v_dual_lshlrev_b32 v9, 3, v9
	v_add_co_u32 v0, vcc_lo, v0, 4
	v_add_co_ci_u32_e32 v1, vcc_lo, 0, v1, vcc_lo
	v_add_co_u32 v2, vcc_lo, v2, 4
	s_delay_alu instid0(VALU_DEP_4)
	v_lshl_or_b32 v14, v13, 8, v9
	v_dual_mov_b32 v12, 0 :: v_dual_add_nc_u32 v15, 0x800, v12
	v_add_co_ci_u32_e32 v3, vcc_lo, 0, v3, vcc_lo
	v_mov_b32_e32 v9, 0
	v_mov_b32_e32 v13, 0
	s_lshl_b64 s[8:9], s[10:11], 6
	s_lshl_b64 s[10:11], s[14:15], 6
.LBB638_2:                              ; =>This Inner Loop Header: Depth=1
	global_load_b64 v[18:19], v[0:1], off offset:-4
	global_load_b64 v[20:21], v[2:3], off offset:-4
	v_add_co_u32 v0, vcc_lo, v0, s8
	v_add_co_ci_u32_e32 v1, vcc_lo, s9, v1, vcc_lo
	v_add_co_u32 v2, vcc_lo, v2, s10
	v_add_co_ci_u32_e32 v3, vcc_lo, s11, v3, vcc_lo
	s_add_i32 s7, s7, 8
	s_waitcnt vmcnt(1)
	ds_store_b64 v14, v[18:19]
	s_waitcnt vmcnt(0)
	ds_store_b64 v15, v[20:21]
	s_waitcnt lgkmcnt(0)
	s_barrier
	buffer_gl0_inv
	ds_load_2addr_b64 v[18:21], v10 offset1:16
	ds_load_b128 v[22:25], v11
	ds_load_b128 v[26:29], v11 offset:1024
	ds_load_b128 v[30:33], v11 offset:16
	ds_load_2addr_b64 v[34:37], v10 offset0:32 offset1:48
	ds_load_b128 v[38:41], v11 offset:32
	ds_load_b128 v[42:45], v11 offset:48
	ds_load_2addr_b64 v[46:49], v10 offset0:64 offset1:80
	ds_load_b128 v[50:53], v11 offset:1040
	ds_load_2addr_b64 v[54:57], v10 offset0:96 offset1:112
	ds_load_2addr_b64 v[58:61], v10 offset0:128 offset1:144
	;; [unrolled: 1-line block ×4, first 2 shown]
	ds_load_b128 v[70:73], v11 offset:1056
	ds_load_b128 v[74:77], v11 offset:1072
	ds_load_2addr_b64 v[78:81], v10 offset0:224 offset1:240
	s_cmp_ge_i32 s7, s5
	s_waitcnt lgkmcnt(0)
	s_barrier
	buffer_gl0_inv
	v_dual_mul_f32 v82, v23, v19 :: v_dual_mul_f32 v85, v22, v21
	v_dual_mul_f32 v83, v22, v19 :: v_dual_mul_f32 v84, v23, v21
	v_mul_f32_e32 v86, v27, v19
	v_dual_mul_f32 v19, v26, v19 :: v_dual_mul_f32 v90, v25, v37
	v_dual_mul_f32 v87, v27, v21 :: v_dual_mul_f32 v88, v25, v35
	v_mul_f32_e32 v21, v26, v21
	v_mul_f32_e32 v89, v24, v35
	;; [unrolled: 1-line block ×3, first 2 shown]
	v_fma_f32 v82, v22, v18, -v82
	v_fmac_f32_e32 v83, v23, v18
	v_fma_f32 v22, v22, v20, -v84
	v_dual_fmac_f32 v85, v23, v20 :: v_dual_mul_f32 v84, v30, v47
	v_fma_f32 v23, v26, v18, -v86
	v_fmac_f32_e32 v19, v27, v18
	v_fma_f32 v18, v26, v20, -v87
	v_dual_mul_f32 v26, v28, v35 :: v_dual_fmac_f32 v21, v27, v20
	v_mul_f32_e32 v20, v29, v35
	v_mul_f32_e32 v27, v29, v37
	v_dual_mul_f32 v35, v28, v37 :: v_dual_fmac_f32 v84, v31, v46
	v_fma_f32 v37, v24, v34, -v88
	v_fma_f32 v24, v24, v36, -v90
	v_dual_fmac_f32 v91, v25, v36 :: v_dual_mul_f32 v90, v32, v57
	v_dual_mul_f32 v86, v31, v49 :: v_dual_fmac_f32 v89, v25, v34
	v_dual_mul_f32 v25, v31, v47 :: v_dual_mul_f32 v88, v33, v57
	v_fma_f32 v20, v28, v34, -v20
	v_fmac_f32_e32 v26, v29, v34
	v_fma_f32 v27, v28, v36, -v27
	v_dual_fmac_f32 v35, v29, v36 :: v_dual_mul_f32 v28, v51, v47
	v_dual_mul_f32 v29, v50, v47 :: v_dual_mul_f32 v34, v51, v49
	v_mul_f32_e32 v36, v50, v49
	v_mul_f32_e32 v87, v30, v49
	;; [unrolled: 1-line block ×3, first 2 shown]
	v_dual_mul_f32 v49, v32, v55 :: v_dual_fmac_f32 v90, v33, v56
	v_fma_f32 v25, v30, v46, -v25
	v_fma_f32 v30, v30, v48, -v86
	;; [unrolled: 1-line block ×3, first 2 shown]
	v_fmac_f32_e32 v36, v51, v48
	v_fmac_f32_e32 v87, v31, v48
	v_fma_f32 v31, v50, v48, -v34
	v_mul_f32_e32 v34, v53, v55
	v_mul_f32_e32 v48, v53, v57
	v_dual_mul_f32 v50, v52, v57 :: v_dual_fmac_f32 v29, v51, v46
	v_mul_f32_e32 v46, v52, v55
	v_fma_f32 v47, v32, v54, -v47
	v_fmac_f32_e32 v49, v33, v54
	v_fma_f32 v32, v32, v56, -v88
	s_delay_alu instid0(VALU_DEP_4)
	v_dual_mul_f32 v33, v39, v59 :: v_dual_fmac_f32 v46, v53, v54
	v_mul_f32_e32 v51, v38, v59
	v_mul_f32_e32 v55, v39, v61
	v_fma_f32 v34, v52, v54, -v34
	v_fma_f32 v48, v52, v56, -v48
	v_fmac_f32_e32 v50, v53, v56
	v_mul_f32_e32 v52, v71, v59
	v_dual_mul_f32 v53, v70, v59 :: v_dual_mul_f32 v86, v41, v65
	v_mul_f32_e32 v54, v71, v61
	v_dual_mul_f32 v56, v70, v61 :: v_dual_mul_f32 v59, v41, v63
	v_mul_f32_e32 v57, v38, v61
	v_mul_f32_e32 v61, v40, v63
	v_dual_mul_f32 v88, v40, v65 :: v_dual_fmac_f32 v51, v39, v58
	v_fma_f32 v33, v38, v58, -v33
	v_fmac_f32_e32 v53, v71, v58
	v_fmac_f32_e32 v56, v71, v60
	s_delay_alu instid0(VALU_DEP_4)
	v_fmac_f32_e32 v88, v41, v64
	v_fmac_f32_e32 v57, v39, v60
	v_fma_f32 v39, v70, v58, -v52
	v_fma_f32 v52, v70, v60, -v54
	v_mul_f32_e32 v54, v73, v63
	v_fma_f32 v38, v38, v60, -v55
	v_mul_f32_e32 v60, v72, v65
	v_dual_mul_f32 v55, v72, v63 :: v_dual_mul_f32 v70, v42, v69
	v_mul_f32_e32 v58, v73, v65
	v_fma_f32 v59, v40, v62, -v59
	v_fmac_f32_e32 v61, v41, v62
	v_fma_f32 v40, v40, v64, -v86
	v_dual_mul_f32 v41, v43, v67 :: v_dual_fmac_f32 v60, v73, v64
	v_dual_mul_f32 v63, v42, v67 :: v_dual_mul_f32 v86, v44, v81
	v_mul_f32_e32 v65, v43, v69
	v_fma_f32 v54, v72, v62, -v54
	v_fmac_f32_e32 v55, v73, v62
	v_fma_f32 v58, v72, v64, -v58
	v_mul_f32_e32 v72, v44, v79
	v_mul_f32_e32 v62, v75, v67
	v_dual_mul_f32 v64, v74, v67 :: v_dual_mul_f32 v67, v75, v69
	v_dual_mul_f32 v69, v74, v69 :: v_dual_fmac_f32 v70, v43, v68
	s_delay_alu instid0(VALU_DEP_2)
	v_dual_mul_f32 v71, v45, v79 :: v_dual_fmac_f32 v64, v75, v66
	v_dual_mul_f32 v73, v45, v81 :: v_dual_add_f32 v16, v16, v82
	v_fma_f32 v41, v42, v66, -v41
	v_fmac_f32_e32 v63, v43, v66
	v_fma_f32 v42, v42, v68, -v65
	v_fma_f32 v43, v74, v66, -v62
	v_dual_mul_f32 v65, v77, v79 :: v_dual_add_f32 v12, v12, v85
	v_mul_f32_e32 v66, v76, v79
	v_fma_f32 v62, v74, v68, -v67
	v_dual_mul_f32 v67, v77, v81 :: v_dual_add_f32 v8, v8, v19
	v_dual_fmac_f32 v86, v45, v80 :: v_dual_add_f32 v7, v7, v18
	v_dual_add_f32 v17, v17, v83 :: v_dual_add_f32 v6, v6, v21
	v_dual_add_f32 v13, v13, v22 :: v_dual_add_f32 v16, v16, v37
	s_delay_alu instid0(VALU_DEP_4)
	v_dual_add_f32 v9, v9, v23 :: v_dual_add_f32 v8, v8, v26
	v_dual_fmac_f32 v69, v75, v68 :: v_dual_fmac_f32 v72, v45, v78
	v_mul_f32_e32 v68, v76, v81
	v_dual_fmac_f32 v66, v77, v78 :: v_dual_add_f32 v7, v7, v27
	v_dual_add_f32 v17, v17, v89 :: v_dual_add_f32 v12, v12, v91
	v_dual_add_f32 v13, v13, v24 :: v_dual_add_f32 v6, v6, v35
	;; [unrolled: 1-line block ×3, first 2 shown]
	s_delay_alu instid0(VALU_DEP_4) | instskip(NEXT) | instid1(VALU_DEP_4)
	v_dual_fmac_f32 v68, v77, v80 :: v_dual_add_f32 v7, v7, v31
	v_dual_add_f32 v17, v17, v84 :: v_dual_add_f32 v12, v12, v87
	s_delay_alu instid0(VALU_DEP_4) | instskip(NEXT) | instid1(VALU_DEP_4)
	v_dual_add_f32 v13, v13, v30 :: v_dual_add_f32 v8, v8, v29
	v_dual_add_f32 v9, v9, v28 :: v_dual_add_f32 v16, v16, v47
	s_delay_alu instid0(VALU_DEP_3) | instskip(NEXT) | instid1(VALU_DEP_3)
	v_dual_add_f32 v6, v6, v36 :: v_dual_add_f32 v17, v17, v49
	v_dual_add_f32 v13, v13, v32 :: v_dual_add_f32 v12, v12, v90
	s_delay_alu instid0(VALU_DEP_3) | instskip(SKIP_1) | instid1(VALU_DEP_4)
	v_dual_add_f32 v9, v9, v34 :: v_dual_add_f32 v16, v16, v33
	v_dual_add_f32 v8, v8, v46 :: v_dual_add_f32 v7, v7, v48
	;; [unrolled: 1-line block ×3, first 2 shown]
	s_delay_alu instid0(VALU_DEP_4) | instskip(NEXT) | instid1(VALU_DEP_3)
	v_dual_add_f32 v13, v13, v38 :: v_dual_add_f32 v12, v12, v57
	v_dual_add_f32 v9, v9, v39 :: v_dual_add_f32 v8, v8, v53
	s_delay_alu instid0(VALU_DEP_4) | instskip(NEXT) | instid1(VALU_DEP_4)
	v_dual_add_f32 v7, v7, v52 :: v_dual_add_f32 v16, v16, v59
	v_dual_add_f32 v6, v6, v56 :: v_dual_add_f32 v17, v17, v61
	s_delay_alu instid0(VALU_DEP_3) | instskip(NEXT) | instid1(VALU_DEP_4)
	v_dual_add_f32 v13, v13, v40 :: v_dual_add_f32 v8, v8, v55
	v_dual_add_f32 v12, v12, v88 :: v_dual_add_f32 v9, v9, v54
	s_delay_alu instid0(VALU_DEP_3)
	v_dual_add_f32 v7, v7, v58 :: v_dual_add_f32 v6, v6, v60
	v_fma_f32 v71, v44, v78, -v71
	v_fma_f32 v44, v44, v80, -v73
	;; [unrolled: 1-line block ×4, first 2 shown]
	v_dual_add_f32 v16, v16, v41 :: v_dual_add_f32 v17, v17, v63
	v_dual_add_f32 v13, v13, v42 :: v_dual_add_f32 v8, v8, v64
	;; [unrolled: 1-line block ×4, first 2 shown]
	s_delay_alu instid0(VALU_DEP_4) | instskip(NEXT) | instid1(VALU_DEP_3)
	v_dual_add_f32 v16, v16, v71 :: v_dual_add_f32 v17, v17, v72
	v_dual_add_f32 v13, v13, v44 :: v_dual_add_f32 v12, v12, v86
	s_delay_alu instid0(VALU_DEP_4) | instskip(NEXT) | instid1(VALU_DEP_4)
	v_dual_add_f32 v9, v9, v45 :: v_dual_add_f32 v8, v8, v66
	v_dual_add_f32 v7, v7, v65 :: v_dual_add_f32 v6, v6, v68
	s_cbranch_scc0 .LBB638_2
.LBB638_3:
	s_load_b32 s5, s[0:1], 0x40
	v_add_nc_u32_e32 v5, s12, v5
	v_add_nc_u32_e32 v0, s6, v4
	s_delay_alu instid0(VALU_DEP_1) | instskip(SKIP_1) | instid1(VALU_DEP_2)
	v_cmp_le_i32_e64 s0, v5, v0
	v_cmp_gt_i32_e32 vcc_lo, s4, v0
	s_and_b32 s0, s0, vcc_lo
	s_waitcnt lgkmcnt(0)
	v_mad_i64_i32 v[1:2], null, v5, s5, 0
	s_delay_alu instid0(VALU_DEP_1) | instskip(NEXT) | instid1(VALU_DEP_1)
	v_lshlrev_b64 v[1:2], 3, v[1:2]
	v_add_co_u32 v4, s1, s2, v1
	s_delay_alu instid0(VALU_DEP_1)
	v_add_co_ci_u32_e64 v10, s1, s3, v2, s1
	s_and_saveexec_b32 s1, s0
	s_cbranch_execz .LBB638_5
; %bb.4:
	v_ashrrev_i32_e32 v1, 31, v0
	v_xor_b32_e32 v14, 0x80000000, v16
	v_xor_b32_e32 v15, 0x80000000, v17
	s_delay_alu instid0(VALU_DEP_3) | instskip(NEXT) | instid1(VALU_DEP_1)
	v_lshlrev_b64 v[1:2], 3, v[0:1]
	v_add_co_u32 v1, s0, v4, v1
	s_delay_alu instid0(VALU_DEP_1)
	v_add_co_ci_u32_e64 v2, s0, v10, v2, s0
	global_store_b64 v[1:2], v[14:15], off
.LBB638_5:
	s_or_b32 exec_lo, exec_lo, s1
	v_add_nc_u32_e32 v2, 16, v0
	s_delay_alu instid0(VALU_DEP_1) | instskip(SKIP_1) | instid1(VALU_DEP_1)
	v_cmp_le_i32_e64 s1, v5, v2
	v_cmp_gt_i32_e64 s0, s4, v2
	s_and_b32 s1, s1, s0
	s_delay_alu instid0(SALU_CYCLE_1)
	s_and_saveexec_b32 s4, s1
	s_cbranch_execz .LBB638_7
; %bb.6:
	v_ashrrev_i32_e32 v3, 31, v2
	v_xor_b32_e32 v11, 0x80000000, v13
	v_xor_b32_e32 v12, 0x80000000, v12
	s_delay_alu instid0(VALU_DEP_3) | instskip(NEXT) | instid1(VALU_DEP_1)
	v_lshlrev_b64 v[14:15], 3, v[2:3]
	v_add_co_u32 v3, s1, v4, v14
	s_delay_alu instid0(VALU_DEP_1)
	v_add_co_ci_u32_e64 v4, s1, v10, v15, s1
	global_store_b64 v[3:4], v[11:12], off
.LBB638_7:
	s_or_b32 exec_lo, exec_lo, s4
	v_add_nc_u32_e32 v3, 16, v5
	s_delay_alu instid0(VALU_DEP_1) | instskip(SKIP_1) | instid1(VALU_DEP_2)
	v_mad_i64_i32 v[4:5], null, v3, s5, 0
	v_cmp_le_i32_e64 s1, v3, v0
	v_lshlrev_b64 v[4:5], 3, v[4:5]
	s_delay_alu instid0(VALU_DEP_1) | instskip(NEXT) | instid1(VALU_DEP_1)
	v_add_co_u32 v4, s2, s2, v4
	v_add_co_ci_u32_e64 v5, s2, s3, v5, s2
	s_delay_alu instid0(VALU_DEP_4) | instskip(NEXT) | instid1(SALU_CYCLE_1)
	s_and_b32 s2, s1, vcc_lo
	s_and_saveexec_b32 s1, s2
	s_cbranch_execz .LBB638_9
; %bb.8:
	v_ashrrev_i32_e32 v1, 31, v0
	v_xor_b32_e32 v9, 0x80000000, v9
	v_xor_b32_e32 v10, 0x80000000, v8
	s_delay_alu instid0(VALU_DEP_3) | instskip(NEXT) | instid1(VALU_DEP_1)
	v_lshlrev_b64 v[0:1], 3, v[0:1]
	v_add_co_u32 v0, vcc_lo, v4, v0
	s_delay_alu instid0(VALU_DEP_2)
	v_add_co_ci_u32_e32 v1, vcc_lo, v5, v1, vcc_lo
	global_store_b64 v[0:1], v[9:10], off
.LBB638_9:
	s_or_b32 exec_lo, exec_lo, s1
	v_cmp_le_i32_e32 vcc_lo, v3, v2
	s_and_b32 s0, vcc_lo, s0
	s_delay_alu instid0(SALU_CYCLE_1)
	s_and_saveexec_b32 s1, s0
	s_cbranch_execz .LBB638_11
; %bb.10:
	v_ashrrev_i32_e32 v3, 31, v2
	s_delay_alu instid0(VALU_DEP_1) | instskip(SKIP_2) | instid1(VALU_DEP_3)
	v_lshlrev_b64 v[0:1], 3, v[2:3]
	v_xor_b32_e32 v2, 0x80000000, v7
	v_xor_b32_e32 v3, 0x80000000, v6
	v_add_co_u32 v0, vcc_lo, v4, v0
	s_delay_alu instid0(VALU_DEP_4)
	v_add_co_ci_u32_e32 v1, vcc_lo, v5, v1, vcc_lo
	global_store_b64 v[0:1], v[2:3], off
.LBB638_11:
	s_nop 0
	s_sendmsg sendmsg(MSG_DEALLOC_VGPRS)
	s_endpgm
	.section	.rodata,"a",@progbits
	.p2align	6, 0x0
	.amdhsa_kernel _ZL37rocblas_syrkx_herkx_restricted_kernelIi19rocblas_complex_numIfELi16ELi32ELi8ELin1ELi0ELb0ELc78ELc76EKPKS1_KPS1_EviT_PT9_S7_lS9_S7_lPT10_S7_li
		.amdhsa_group_segment_fixed_size 4096
		.amdhsa_private_segment_fixed_size 0
		.amdhsa_kernarg_size 84
		.amdhsa_user_sgpr_count 13
		.amdhsa_user_sgpr_dispatch_ptr 0
		.amdhsa_user_sgpr_queue_ptr 0
		.amdhsa_user_sgpr_kernarg_segment_ptr 1
		.amdhsa_user_sgpr_dispatch_id 0
		.amdhsa_user_sgpr_private_segment_size 0
		.amdhsa_wavefront_size32 1
		.amdhsa_uses_dynamic_stack 0
		.amdhsa_enable_private_segment 0
		.amdhsa_system_sgpr_workgroup_id_x 1
		.amdhsa_system_sgpr_workgroup_id_y 1
		.amdhsa_system_sgpr_workgroup_id_z 1
		.amdhsa_system_sgpr_workgroup_info 0
		.amdhsa_system_vgpr_workitem_id 1
		.amdhsa_next_free_vgpr 92
		.amdhsa_next_free_sgpr 20
		.amdhsa_reserve_vcc 1
		.amdhsa_float_round_mode_32 0
		.amdhsa_float_round_mode_16_64 0
		.amdhsa_float_denorm_mode_32 3
		.amdhsa_float_denorm_mode_16_64 3
		.amdhsa_dx10_clamp 1
		.amdhsa_ieee_mode 1
		.amdhsa_fp16_overflow 0
		.amdhsa_workgroup_processor_mode 1
		.amdhsa_memory_ordered 1
		.amdhsa_forward_progress 0
		.amdhsa_shared_vgpr_count 0
		.amdhsa_exception_fp_ieee_invalid_op 0
		.amdhsa_exception_fp_denorm_src 0
		.amdhsa_exception_fp_ieee_div_zero 0
		.amdhsa_exception_fp_ieee_overflow 0
		.amdhsa_exception_fp_ieee_underflow 0
		.amdhsa_exception_fp_ieee_inexact 0
		.amdhsa_exception_int_div_zero 0
	.end_amdhsa_kernel
	.section	.text._ZL37rocblas_syrkx_herkx_restricted_kernelIi19rocblas_complex_numIfELi16ELi32ELi8ELin1ELi0ELb0ELc78ELc76EKPKS1_KPS1_EviT_PT9_S7_lS9_S7_lPT10_S7_li,"axG",@progbits,_ZL37rocblas_syrkx_herkx_restricted_kernelIi19rocblas_complex_numIfELi16ELi32ELi8ELin1ELi0ELb0ELc78ELc76EKPKS1_KPS1_EviT_PT9_S7_lS9_S7_lPT10_S7_li,comdat
.Lfunc_end638:
	.size	_ZL37rocblas_syrkx_herkx_restricted_kernelIi19rocblas_complex_numIfELi16ELi32ELi8ELin1ELi0ELb0ELc78ELc76EKPKS1_KPS1_EviT_PT9_S7_lS9_S7_lPT10_S7_li, .Lfunc_end638-_ZL37rocblas_syrkx_herkx_restricted_kernelIi19rocblas_complex_numIfELi16ELi32ELi8ELin1ELi0ELb0ELc78ELc76EKPKS1_KPS1_EviT_PT9_S7_lS9_S7_lPT10_S7_li
                                        ; -- End function
	.section	.AMDGPU.csdata,"",@progbits
; Kernel info:
; codeLenInByte = 2088
; NumSgprs: 22
; NumVgprs: 92
; ScratchSize: 0
; MemoryBound: 0
; FloatMode: 240
; IeeeMode: 1
; LDSByteSize: 4096 bytes/workgroup (compile time only)
; SGPRBlocks: 2
; VGPRBlocks: 11
; NumSGPRsForWavesPerEU: 22
; NumVGPRsForWavesPerEU: 92
; Occupancy: 16
; WaveLimiterHint : 1
; COMPUTE_PGM_RSRC2:SCRATCH_EN: 0
; COMPUTE_PGM_RSRC2:USER_SGPR: 13
; COMPUTE_PGM_RSRC2:TRAP_HANDLER: 0
; COMPUTE_PGM_RSRC2:TGID_X_EN: 1
; COMPUTE_PGM_RSRC2:TGID_Y_EN: 1
; COMPUTE_PGM_RSRC2:TGID_Z_EN: 1
; COMPUTE_PGM_RSRC2:TIDIG_COMP_CNT: 1
	.section	.text._ZL37rocblas_syrkx_herkx_restricted_kernelIi19rocblas_complex_numIfELi16ELi32ELi8ELin1ELi0ELb0ELc84ELc85EKPKS1_KPS1_EviT_PT9_S7_lS9_S7_lPT10_S7_li,"axG",@progbits,_ZL37rocblas_syrkx_herkx_restricted_kernelIi19rocblas_complex_numIfELi16ELi32ELi8ELin1ELi0ELb0ELc84ELc85EKPKS1_KPS1_EviT_PT9_S7_lS9_S7_lPT10_S7_li,comdat
	.globl	_ZL37rocblas_syrkx_herkx_restricted_kernelIi19rocblas_complex_numIfELi16ELi32ELi8ELin1ELi0ELb0ELc84ELc85EKPKS1_KPS1_EviT_PT9_S7_lS9_S7_lPT10_S7_li ; -- Begin function _ZL37rocblas_syrkx_herkx_restricted_kernelIi19rocblas_complex_numIfELi16ELi32ELi8ELin1ELi0ELb0ELc84ELc85EKPKS1_KPS1_EviT_PT9_S7_lS9_S7_lPT10_S7_li
	.p2align	8
	.type	_ZL37rocblas_syrkx_herkx_restricted_kernelIi19rocblas_complex_numIfELi16ELi32ELi8ELin1ELi0ELb0ELc84ELc85EKPKS1_KPS1_EviT_PT9_S7_lS9_S7_lPT10_S7_li,@function
_ZL37rocblas_syrkx_herkx_restricted_kernelIi19rocblas_complex_numIfELi16ELi32ELi8ELin1ELi0ELb0ELc84ELc85EKPKS1_KPS1_EviT_PT9_S7_lS9_S7_lPT10_S7_li: ; @_ZL37rocblas_syrkx_herkx_restricted_kernelIi19rocblas_complex_numIfELi16ELi32ELi8ELin1ELi0ELb0ELc84ELc85EKPKS1_KPS1_EviT_PT9_S7_lS9_S7_lPT10_S7_li
; %bb.0:
	s_clause 0x1
	s_load_b64 s[4:5], s[0:1], 0x38
	s_load_b64 s[2:3], s[0:1], 0x0
	s_mov_b32 s6, s15
	s_mov_b32 s7, 0
	v_dual_mov_b32 v17, 0 :: v_dual_and_b32 v6, 0x3ff, v0
	s_lshl_b64 s[8:9], s[6:7], 3
	v_bfe_u32 v7, v0, 10, 10
	v_dual_mov_b32 v16, 0 :: v_dual_mov_b32 v13, 0
	v_dual_mov_b32 v12, 0 :: v_dual_mov_b32 v9, 0
	;; [unrolled: 1-line block ×3, first 2 shown]
	v_mov_b32_e32 v8, 0
	s_waitcnt lgkmcnt(0)
	s_add_u32 s4, s4, s8
	s_addc_u32 s5, s5, s9
	s_lshl_b32 s6, s13, 5
	s_load_b64 s[4:5], s[4:5], 0x0
	s_lshl_b32 s10, s14, 5
	s_cmp_lt_i32 s3, 1
	s_cbranch_scc1 .LBB639_3
; %bb.1:
	s_clause 0x3
	s_load_b64 s[12:13], s[0:1], 0x8
	s_load_b64 s[14:15], s[0:1], 0x20
	s_load_b32 s11, s[0:1], 0x10
	s_load_b32 s16, s[0:1], 0x28
	v_lshl_add_u32 v2, v7, 4, v6
	v_dual_mov_b32 v1, 0 :: v_dual_and_b32 v0, 7, v6
	v_lshlrev_b32_e32 v10, 3, v6
	v_lshl_add_u32 v11, v7, 6, 0x800
	s_delay_alu instid0(VALU_DEP_4)
	v_and_b32_e32 v14, 31, v2
	v_lshrrev_b32_e32 v9, 3, v2
	v_lshrrev_b32_e32 v2, 5, v2
	v_mov_b32_e32 v3, v1
	v_mov_b32_e32 v16, v1
	v_add_nc_u32_e32 v8, s6, v14
	v_add_nc_u32_e32 v15, s10, v9
	v_mov_b32_e32 v17, v1
	s_waitcnt lgkmcnt(0)
	s_add_u32 s12, s12, s8
	s_addc_u32 s13, s13, s9
	s_add_u32 s8, s14, s8
	s_load_b64 s[12:13], s[12:13], 0x0
	s_addc_u32 s9, s15, s9
	v_mad_i64_i32 v[4:5], null, s11, v8, v[2:3]
	v_mov_b32_e32 v8, v1
	s_load_b64 s[8:9], s[8:9], 0x0
	v_lshlrev_b32_e32 v3, 3, v0
	v_mad_i64_i32 v[12:13], null, s16, v15, v[0:1]
	v_mov_b32_e32 v0, v1
	s_delay_alu instid0(VALU_DEP_3) | instskip(SKIP_3) | instid1(VALU_DEP_4)
	v_lshl_or_b32 v15, v9, 6, v3
	v_lshlrev_b64 v[3:4], 3, v[4:5]
	v_dual_mov_b32 v9, v1 :: v_dual_lshlrev_b32 v14, 3, v14
	v_lshlrev_b64 v[12:13], 3, v[12:13]
	v_add_nc_u32_e32 v15, 0x800, v15
	s_delay_alu instid0(VALU_DEP_3)
	v_lshl_or_b32 v14, v2, 8, v14
	s_waitcnt lgkmcnt(0)
	v_add_co_u32 v2, vcc_lo, v3, s12
	v_add_co_ci_u32_e32 v3, vcc_lo, s13, v4, vcc_lo
	v_add_co_u32 v4, vcc_lo, v12, s8
	v_mov_b32_e32 v12, v1
	v_add_co_ci_u32_e32 v5, vcc_lo, s9, v13, vcc_lo
	v_add_co_u32 v2, vcc_lo, v2, 4
	v_add_co_ci_u32_e32 v3, vcc_lo, 0, v3, vcc_lo
	v_add_co_u32 v4, vcc_lo, v4, 4
	s_delay_alu instid0(VALU_DEP_4)
	v_add_co_ci_u32_e32 v5, vcc_lo, 0, v5, vcc_lo
	v_mov_b32_e32 v13, v1
.LBB639_2:                              ; =>This Inner Loop Header: Depth=1
	global_load_b64 v[18:19], v[2:3], off offset:-4
	global_load_b64 v[20:21], v[4:5], off offset:-4
	v_add_co_u32 v2, vcc_lo, v2, 64
	v_add_co_ci_u32_e32 v3, vcc_lo, 0, v3, vcc_lo
	v_add_co_u32 v4, vcc_lo, v4, 64
	v_add_co_ci_u32_e32 v5, vcc_lo, 0, v5, vcc_lo
	s_add_i32 s7, s7, 8
	s_waitcnt vmcnt(1)
	ds_store_b64 v14, v[18:19]
	s_waitcnt vmcnt(0)
	ds_store_b64 v15, v[20:21]
	s_waitcnt lgkmcnt(0)
	s_barrier
	buffer_gl0_inv
	ds_load_2addr_b64 v[18:21], v10 offset1:16
	ds_load_b128 v[22:25], v11
	ds_load_b128 v[26:29], v11 offset:1024
	ds_load_b128 v[30:33], v11 offset:16
	ds_load_2addr_b64 v[34:37], v10 offset0:32 offset1:48
	ds_load_b128 v[38:41], v11 offset:32
	ds_load_b128 v[42:45], v11 offset:48
	ds_load_2addr_b64 v[46:49], v10 offset0:64 offset1:80
	ds_load_b128 v[50:53], v11 offset:1040
	ds_load_2addr_b64 v[54:57], v10 offset0:96 offset1:112
	ds_load_2addr_b64 v[58:61], v10 offset0:128 offset1:144
	;; [unrolled: 1-line block ×4, first 2 shown]
	ds_load_b128 v[70:73], v11 offset:1056
	ds_load_b128 v[74:77], v11 offset:1072
	ds_load_2addr_b64 v[78:81], v10 offset0:224 offset1:240
	s_cmp_ge_i32 s7, s3
	s_waitcnt lgkmcnt(0)
	s_barrier
	buffer_gl0_inv
	v_dual_mul_f32 v82, v23, v19 :: v_dual_mul_f32 v85, v22, v21
	v_dual_mul_f32 v83, v22, v19 :: v_dual_mul_f32 v84, v23, v21
	v_mul_f32_e32 v86, v27, v19
	v_dual_mul_f32 v19, v26, v19 :: v_dual_mul_f32 v90, v25, v37
	v_dual_mul_f32 v87, v27, v21 :: v_dual_mul_f32 v88, v25, v35
	v_mul_f32_e32 v21, v26, v21
	v_fma_f32 v82, v22, v18, -v82
	v_fmac_f32_e32 v83, v23, v18
	v_fma_f32 v22, v22, v20, -v84
	v_fmac_f32_e32 v85, v23, v20
	v_fma_f32 v23, v26, v18, -v86
	v_dual_fmac_f32 v19, v27, v18 :: v_dual_mul_f32 v86, v30, v47
	v_fma_f32 v18, v26, v20, -v87
	v_dual_fmac_f32 v21, v27, v20 :: v_dual_mul_f32 v20, v24, v37
	v_mul_f32_e32 v89, v24, v35
	v_mul_f32_e32 v26, v29, v35
	;; [unrolled: 1-line block ×4, first 2 shown]
	v_fmac_f32_e32 v20, v25, v36
	v_fmac_f32_e32 v89, v25, v34
	v_dual_mul_f32 v25, v28, v37 :: v_dual_fmac_f32 v86, v31, v46
	v_fma_f32 v84, v24, v34, -v88
	v_fma_f32 v24, v24, v36, -v90
	v_dual_mul_f32 v37, v31, v47 :: v_dual_mul_f32 v90, v33, v57
	v_fma_f32 v26, v28, v34, -v26
	v_fma_f32 v28, v28, v36, -v35
	v_fmac_f32_e32 v25, v29, v36
	v_dual_mul_f32 v35, v50, v47 :: v_dual_mul_f32 v36, v51, v49
	v_dual_fmac_f32 v27, v29, v34 :: v_dual_mul_f32 v34, v51, v47
	v_dual_mul_f32 v88, v32, v55 :: v_dual_mul_f32 v29, v30, v49
	v_mul_f32_e32 v87, v31, v49
	v_fma_f32 v37, v30, v46, -v37
	v_add_f32_e32 v16, v16, v82
	s_delay_alu instid0(VALU_DEP_4)
	v_dual_fmac_f32 v88, v33, v54 :: v_dual_fmac_f32 v29, v31, v48
	v_fma_f32 v31, v50, v46, -v34
	v_fma_f32 v34, v50, v48, -v36
	v_mul_f32_e32 v36, v32, v57
	v_mul_f32_e32 v47, v50, v49
	v_dual_mul_f32 v50, v53, v57 :: v_dual_fmac_f32 v35, v51, v46
	v_mul_f32_e32 v46, v53, v55
	v_mul_f32_e32 v49, v33, v55
	v_fma_f32 v30, v30, v48, -v87
	v_fmac_f32_e32 v36, v33, v56
	v_dual_fmac_f32 v47, v51, v48 :: v_dual_mul_f32 v48, v52, v55
	v_mul_f32_e32 v33, v52, v57
	v_fma_f32 v46, v52, v54, -v46
	v_fma_f32 v50, v52, v56, -v50
	v_mul_f32_e32 v52, v38, v61
	v_fma_f32 v49, v32, v54, -v49
	v_fma_f32 v32, v32, v56, -v90
	v_dual_mul_f32 v51, v39, v59 :: v_dual_fmac_f32 v48, v53, v54
	v_mul_f32_e32 v54, v70, v59
	v_dual_mul_f32 v55, v38, v59 :: v_dual_fmac_f32 v52, v39, v60
	v_fmac_f32_e32 v33, v53, v56
	v_mul_f32_e32 v53, v71, v59
	v_mul_f32_e32 v56, v71, v61
	;; [unrolled: 1-line block ×3, first 2 shown]
	v_fmac_f32_e32 v54, v71, v58
	v_fmac_f32_e32 v55, v39, v58
	v_fma_f32 v39, v70, v58, -v53
	v_fma_f32 v53, v70, v60, -v56
	v_mul_f32_e32 v56, v40, v65
	v_mul_f32_e32 v59, v70, v61
	v_fma_f32 v51, v38, v58, -v51
	v_mul_f32_e32 v58, v72, v63
	v_mul_f32_e32 v87, v40, v63
	;; [unrolled: 1-line block ×4, first 2 shown]
	v_fma_f32 v38, v38, v60, -v57
	v_mul_f32_e32 v57, v73, v63
	v_fmac_f32_e32 v56, v41, v64
	v_dual_fmac_f32 v59, v71, v60 :: v_dual_mul_f32 v60, v73, v65
	v_mul_f32_e32 v63, v43, v67
	v_mul_f32_e32 v70, v43, v69
	v_fmac_f32_e32 v58, v73, v62
	v_fmac_f32_e32 v87, v41, v62
	v_mul_f32_e32 v41, v72, v65
	v_fma_f32 v61, v40, v62, -v61
	v_fma_f32 v40, v40, v64, -v90
	v_mul_f32_e32 v65, v42, v67
	v_fma_f32 v57, v72, v62, -v57
	v_fma_f32 v60, v72, v64, -v60
	v_dual_fmac_f32 v41, v73, v64 :: v_dual_mul_f32 v62, v42, v69
	v_mul_f32_e32 v64, v75, v67
	v_fma_f32 v63, v42, v66, -v63
	v_fma_f32 v42, v42, v68, -v70
	v_mul_f32_e32 v70, v76, v79
	v_mul_f32_e32 v67, v74, v67
	;; [unrolled: 1-line block ×3, first 2 shown]
	v_dual_mul_f32 v69, v74, v69 :: v_dual_add_f32 v0, v0, v19
	v_mul_f32_e32 v73, v44, v79
	v_dual_fmac_f32 v65, v43, v66 :: v_dual_add_f32 v12, v12, v85
	v_fmac_f32_e32 v62, v43, v68
	v_fma_f32 v43, v74, v66, -v64
	v_fmac_f32_e32 v70, v77, v78
	v_dual_fmac_f32 v67, v75, v66 :: v_dual_add_f32 v16, v16, v84
	v_mul_f32_e32 v66, v44, v81
	v_mul_f32_e32 v72, v45, v79
	v_dual_mul_f32 v90, v45, v81 :: v_dual_fmac_f32 v69, v75, v68
	v_add_f32_e32 v8, v8, v18
	v_dual_fmac_f32 v73, v45, v78 :: v_dual_add_f32 v0, v0, v27
	v_dual_fmac_f32 v66, v45, v80 :: v_dual_mul_f32 v45, v76, v81
	v_fma_f32 v64, v74, v68, -v71
	v_dual_mul_f32 v71, v77, v81 :: v_dual_add_f32 v12, v12, v20
	v_dual_add_f32 v17, v17, v83 :: v_dual_add_f32 v8, v8, v28
	s_delay_alu instid0(VALU_DEP_4) | instskip(NEXT) | instid1(VALU_DEP_3)
	v_dual_fmac_f32 v45, v77, v80 :: v_dual_add_f32 v16, v16, v37
	v_dual_add_f32 v13, v13, v22 :: v_dual_add_f32 v12, v12, v29
	s_delay_alu instid0(VALU_DEP_3) | instskip(SKIP_1) | instid1(VALU_DEP_3)
	v_dual_add_f32 v9, v9, v23 :: v_dual_add_f32 v8, v8, v34
	v_dual_add_f32 v1, v1, v21 :: v_dual_add_f32 v0, v0, v35
	;; [unrolled: 1-line block ×3, first 2 shown]
	s_delay_alu instid0(VALU_DEP_4) | instskip(NEXT) | instid1(VALU_DEP_3)
	v_dual_add_f32 v13, v13, v24 :: v_dual_add_f32 v16, v16, v49
	v_dual_add_f32 v9, v9, v26 :: v_dual_add_f32 v0, v0, v48
	s_delay_alu instid0(VALU_DEP_4) | instskip(NEXT) | instid1(VALU_DEP_3)
	v_dual_add_f32 v1, v1, v25 :: v_dual_add_f32 v8, v8, v50
	v_dual_add_f32 v17, v17, v86 :: v_dual_add_f32 v16, v16, v51
	s_delay_alu instid0(VALU_DEP_4) | instskip(NEXT) | instid1(VALU_DEP_4)
	v_dual_add_f32 v13, v13, v30 :: v_dual_add_f32 v12, v12, v52
	v_dual_add_f32 v9, v9, v31 :: v_dual_add_f32 v0, v0, v54
	s_delay_alu instid0(VALU_DEP_4) | instskip(NEXT) | instid1(VALU_DEP_4)
	v_dual_add_f32 v1, v1, v47 :: v_dual_add_f32 v8, v8, v53
	v_dual_add_f32 v17, v17, v88 :: v_dual_add_f32 v16, v16, v61
	s_delay_alu instid0(VALU_DEP_3) | instskip(NEXT) | instid1(VALU_DEP_4)
	v_dual_add_f32 v13, v13, v32 :: v_dual_add_f32 v0, v0, v58
	v_dual_add_f32 v9, v9, v46 :: v_dual_add_f32 v12, v12, v56
	s_delay_alu instid0(VALU_DEP_4) | instskip(SKIP_1) | instid1(VALU_DEP_3)
	v_dual_add_f32 v1, v1, v33 :: v_dual_add_f32 v8, v8, v60
	v_fma_f32 v72, v44, v78, -v72
	v_dual_add_f32 v17, v17, v55 :: v_dual_add_f32 v12, v12, v62
	v_dual_add_f32 v13, v13, v38 :: v_dual_add_f32 v16, v16, v63
	s_delay_alu instid0(VALU_DEP_4) | instskip(SKIP_2) | instid1(VALU_DEP_4)
	v_dual_add_f32 v9, v9, v39 :: v_dual_add_f32 v8, v8, v64
	v_add_f32_e32 v1, v1, v59
	v_mul_f32_e32 v68, v77, v79
	v_add_f32_e32 v16, v16, v72
	v_fma_f32 v71, v76, v80, -v71
	v_dual_add_f32 v17, v17, v87 :: v_dual_add_f32 v12, v12, v66
	v_dual_add_f32 v13, v13, v40 :: v_dual_add_f32 v0, v0, v67
	v_add_f32_e32 v9, v9, v57
	s_delay_alu instid0(VALU_DEP_4)
	v_dual_add_f32 v1, v1, v41 :: v_dual_add_f32 v8, v8, v71
	v_fma_f32 v44, v44, v80, -v90
	v_fma_f32 v68, v76, v78, -v68
	v_add_f32_e32 v17, v17, v65
	v_add_f32_e32 v13, v13, v42
	v_dual_add_f32 v1, v1, v69 :: v_dual_add_f32 v0, v0, v70
	v_add_f32_e32 v9, v9, v43
	s_delay_alu instid0(VALU_DEP_4) | instskip(NEXT) | instid1(VALU_DEP_4)
	v_add_f32_e32 v17, v17, v73
	v_add_f32_e32 v13, v13, v44
	s_delay_alu instid0(VALU_DEP_4) | instskip(NEXT) | instid1(VALU_DEP_4)
	v_add_f32_e32 v1, v1, v45
	v_add_f32_e32 v9, v9, v68
	s_cbranch_scc0 .LBB639_2
.LBB639_3:
	s_load_b32 s3, s[0:1], 0x40
	v_add_nc_u32_e32 v7, s10, v7
	v_add_nc_u32_e32 v2, s6, v6
	s_delay_alu instid0(VALU_DEP_2) | instskip(NEXT) | instid1(VALU_DEP_2)
	v_cmp_gt_i32_e32 vcc_lo, s2, v7
	v_cmp_le_i32_e64 s0, v2, v7
	s_delay_alu instid0(VALU_DEP_1) | instskip(SKIP_2) | instid1(VALU_DEP_1)
	s_and_b32 s0, vcc_lo, s0
	s_waitcnt lgkmcnt(0)
	v_mad_i64_i32 v[3:4], null, v7, s3, 0
	v_lshlrev_b64 v[3:4], 3, v[3:4]
	s_delay_alu instid0(VALU_DEP_1) | instskip(NEXT) | instid1(VALU_DEP_1)
	v_add_co_u32 v6, s1, s4, v3
	v_add_co_ci_u32_e64 v10, s1, s5, v4, s1
	s_and_saveexec_b32 s1, s0
	s_cbranch_execz .LBB639_5
; %bb.4:
	v_ashrrev_i32_e32 v3, 31, v2
	v_xor_b32_e32 v14, 0x80000000, v16
	v_xor_b32_e32 v15, 0x80000000, v17
	s_delay_alu instid0(VALU_DEP_3) | instskip(NEXT) | instid1(VALU_DEP_1)
	v_lshlrev_b64 v[3:4], 3, v[2:3]
	v_add_co_u32 v3, s0, v6, v3
	s_delay_alu instid0(VALU_DEP_1)
	v_add_co_ci_u32_e64 v4, s0, v10, v4, s0
	global_store_b64 v[3:4], v[14:15], off
.LBB639_5:
	s_or_b32 exec_lo, exec_lo, s1
	v_add_nc_u32_e32 v4, 16, v2
	s_delay_alu instid0(VALU_DEP_1) | instskip(NEXT) | instid1(VALU_DEP_1)
	v_cmp_le_i32_e64 s0, v4, v7
	s_and_b32 s1, vcc_lo, s0
	s_delay_alu instid0(SALU_CYCLE_1)
	s_and_saveexec_b32 s0, s1
	s_cbranch_execz .LBB639_7
; %bb.6:
	v_ashrrev_i32_e32 v5, 31, v4
	v_xor_b32_e32 v11, 0x80000000, v13
	v_xor_b32_e32 v12, 0x80000000, v12
	s_delay_alu instid0(VALU_DEP_3) | instskip(NEXT) | instid1(VALU_DEP_1)
	v_lshlrev_b64 v[14:15], 3, v[4:5]
	v_add_co_u32 v5, vcc_lo, v6, v14
	s_delay_alu instid0(VALU_DEP_2)
	v_add_co_ci_u32_e32 v6, vcc_lo, v10, v15, vcc_lo
	global_store_b64 v[5:6], v[11:12], off
.LBB639_7:
	s_or_b32 exec_lo, exec_lo, s0
	v_add_nc_u32_e32 v5, 16, v7
	s_delay_alu instid0(VALU_DEP_1) | instskip(SKIP_2) | instid1(VALU_DEP_1)
	v_mad_i64_i32 v[6:7], null, v5, s3, 0
	v_cmp_gt_i32_e32 vcc_lo, s2, v5
	v_cmp_le_i32_e64 s0, v2, v5
	s_and_b32 s0, vcc_lo, s0
	s_delay_alu instid0(VALU_DEP_3) | instskip(NEXT) | instid1(VALU_DEP_1)
	v_lshlrev_b64 v[6:7], 3, v[6:7]
	v_add_co_u32 v6, s1, s4, v6
	s_delay_alu instid0(VALU_DEP_1)
	v_add_co_ci_u32_e64 v7, s1, s5, v7, s1
	s_and_saveexec_b32 s1, s0
	s_cbranch_execz .LBB639_9
; %bb.8:
	v_ashrrev_i32_e32 v3, 31, v2
	v_xor_b32_e32 v9, 0x80000000, v9
	v_xor_b32_e32 v10, 0x80000000, v0
	s_delay_alu instid0(VALU_DEP_3) | instskip(NEXT) | instid1(VALU_DEP_1)
	v_lshlrev_b64 v[2:3], 3, v[2:3]
	v_add_co_u32 v2, s0, v6, v2
	s_delay_alu instid0(VALU_DEP_1)
	v_add_co_ci_u32_e64 v3, s0, v7, v3, s0
	global_store_b64 v[2:3], v[9:10], off
.LBB639_9:
	s_or_b32 exec_lo, exec_lo, s1
	v_cmp_le_i32_e64 s0, v4, v5
	s_delay_alu instid0(VALU_DEP_1) | instskip(NEXT) | instid1(SALU_CYCLE_1)
	s_and_b32 s0, vcc_lo, s0
	s_and_saveexec_b32 s1, s0
	s_cbranch_execz .LBB639_11
; %bb.10:
	v_ashrrev_i32_e32 v5, 31, v4
	v_xor_b32_e32 v0, 0x80000000, v8
	v_xor_b32_e32 v1, 0x80000000, v1
	s_delay_alu instid0(VALU_DEP_3) | instskip(NEXT) | instid1(VALU_DEP_1)
	v_lshlrev_b64 v[2:3], 3, v[4:5]
	v_add_co_u32 v2, vcc_lo, v6, v2
	s_delay_alu instid0(VALU_DEP_2)
	v_add_co_ci_u32_e32 v3, vcc_lo, v7, v3, vcc_lo
	global_store_b64 v[2:3], v[0:1], off
.LBB639_11:
	s_nop 0
	s_sendmsg sendmsg(MSG_DEALLOC_VGPRS)
	s_endpgm
	.section	.rodata,"a",@progbits
	.p2align	6, 0x0
	.amdhsa_kernel _ZL37rocblas_syrkx_herkx_restricted_kernelIi19rocblas_complex_numIfELi16ELi32ELi8ELin1ELi0ELb0ELc84ELc85EKPKS1_KPS1_EviT_PT9_S7_lS9_S7_lPT10_S7_li
		.amdhsa_group_segment_fixed_size 4096
		.amdhsa_private_segment_fixed_size 0
		.amdhsa_kernarg_size 84
		.amdhsa_user_sgpr_count 13
		.amdhsa_user_sgpr_dispatch_ptr 0
		.amdhsa_user_sgpr_queue_ptr 0
		.amdhsa_user_sgpr_kernarg_segment_ptr 1
		.amdhsa_user_sgpr_dispatch_id 0
		.amdhsa_user_sgpr_private_segment_size 0
		.amdhsa_wavefront_size32 1
		.amdhsa_uses_dynamic_stack 0
		.amdhsa_enable_private_segment 0
		.amdhsa_system_sgpr_workgroup_id_x 1
		.amdhsa_system_sgpr_workgroup_id_y 1
		.amdhsa_system_sgpr_workgroup_id_z 1
		.amdhsa_system_sgpr_workgroup_info 0
		.amdhsa_system_vgpr_workitem_id 1
		.amdhsa_next_free_vgpr 91
		.amdhsa_next_free_sgpr 17
		.amdhsa_reserve_vcc 1
		.amdhsa_float_round_mode_32 0
		.amdhsa_float_round_mode_16_64 0
		.amdhsa_float_denorm_mode_32 3
		.amdhsa_float_denorm_mode_16_64 3
		.amdhsa_dx10_clamp 1
		.amdhsa_ieee_mode 1
		.amdhsa_fp16_overflow 0
		.amdhsa_workgroup_processor_mode 1
		.amdhsa_memory_ordered 1
		.amdhsa_forward_progress 0
		.amdhsa_shared_vgpr_count 0
		.amdhsa_exception_fp_ieee_invalid_op 0
		.amdhsa_exception_fp_denorm_src 0
		.amdhsa_exception_fp_ieee_div_zero 0
		.amdhsa_exception_fp_ieee_overflow 0
		.amdhsa_exception_fp_ieee_underflow 0
		.amdhsa_exception_fp_ieee_inexact 0
		.amdhsa_exception_int_div_zero 0
	.end_amdhsa_kernel
	.section	.text._ZL37rocblas_syrkx_herkx_restricted_kernelIi19rocblas_complex_numIfELi16ELi32ELi8ELin1ELi0ELb0ELc84ELc85EKPKS1_KPS1_EviT_PT9_S7_lS9_S7_lPT10_S7_li,"axG",@progbits,_ZL37rocblas_syrkx_herkx_restricted_kernelIi19rocblas_complex_numIfELi16ELi32ELi8ELin1ELi0ELb0ELc84ELc85EKPKS1_KPS1_EviT_PT9_S7_lS9_S7_lPT10_S7_li,comdat
.Lfunc_end639:
	.size	_ZL37rocblas_syrkx_herkx_restricted_kernelIi19rocblas_complex_numIfELi16ELi32ELi8ELin1ELi0ELb0ELc84ELc85EKPKS1_KPS1_EviT_PT9_S7_lS9_S7_lPT10_S7_li, .Lfunc_end639-_ZL37rocblas_syrkx_herkx_restricted_kernelIi19rocblas_complex_numIfELi16ELi32ELi8ELin1ELi0ELb0ELc84ELc85EKPKS1_KPS1_EviT_PT9_S7_lS9_S7_lPT10_S7_li
                                        ; -- End function
	.section	.AMDGPU.csdata,"",@progbits
; Kernel info:
; codeLenInByte = 2060
; NumSgprs: 19
; NumVgprs: 91
; ScratchSize: 0
; MemoryBound: 0
; FloatMode: 240
; IeeeMode: 1
; LDSByteSize: 4096 bytes/workgroup (compile time only)
; SGPRBlocks: 2
; VGPRBlocks: 11
; NumSGPRsForWavesPerEU: 19
; NumVGPRsForWavesPerEU: 91
; Occupancy: 16
; WaveLimiterHint : 1
; COMPUTE_PGM_RSRC2:SCRATCH_EN: 0
; COMPUTE_PGM_RSRC2:USER_SGPR: 13
; COMPUTE_PGM_RSRC2:TRAP_HANDLER: 0
; COMPUTE_PGM_RSRC2:TGID_X_EN: 1
; COMPUTE_PGM_RSRC2:TGID_Y_EN: 1
; COMPUTE_PGM_RSRC2:TGID_Z_EN: 1
; COMPUTE_PGM_RSRC2:TIDIG_COMP_CNT: 1
	.section	.text._ZL37rocblas_syrkx_herkx_restricted_kernelIi19rocblas_complex_numIfELi16ELi32ELi8ELin1ELi0ELb0ELc67ELc85EKPKS1_KPS1_EviT_PT9_S7_lS9_S7_lPT10_S7_li,"axG",@progbits,_ZL37rocblas_syrkx_herkx_restricted_kernelIi19rocblas_complex_numIfELi16ELi32ELi8ELin1ELi0ELb0ELc67ELc85EKPKS1_KPS1_EviT_PT9_S7_lS9_S7_lPT10_S7_li,comdat
	.globl	_ZL37rocblas_syrkx_herkx_restricted_kernelIi19rocblas_complex_numIfELi16ELi32ELi8ELin1ELi0ELb0ELc67ELc85EKPKS1_KPS1_EviT_PT9_S7_lS9_S7_lPT10_S7_li ; -- Begin function _ZL37rocblas_syrkx_herkx_restricted_kernelIi19rocblas_complex_numIfELi16ELi32ELi8ELin1ELi0ELb0ELc67ELc85EKPKS1_KPS1_EviT_PT9_S7_lS9_S7_lPT10_S7_li
	.p2align	8
	.type	_ZL37rocblas_syrkx_herkx_restricted_kernelIi19rocblas_complex_numIfELi16ELi32ELi8ELin1ELi0ELb0ELc67ELc85EKPKS1_KPS1_EviT_PT9_S7_lS9_S7_lPT10_S7_li,@function
_ZL37rocblas_syrkx_herkx_restricted_kernelIi19rocblas_complex_numIfELi16ELi32ELi8ELin1ELi0ELb0ELc67ELc85EKPKS1_KPS1_EviT_PT9_S7_lS9_S7_lPT10_S7_li: ; @_ZL37rocblas_syrkx_herkx_restricted_kernelIi19rocblas_complex_numIfELi16ELi32ELi8ELin1ELi0ELb0ELc67ELc85EKPKS1_KPS1_EviT_PT9_S7_lS9_S7_lPT10_S7_li
; %bb.0:
	s_clause 0x1
	s_load_b64 s[4:5], s[0:1], 0x38
	s_load_b64 s[2:3], s[0:1], 0x0
	s_mov_b32 s6, s15
	s_mov_b32 s7, 0
	v_dual_mov_b32 v17, 0 :: v_dual_and_b32 v6, 0x3ff, v0
	s_lshl_b64 s[8:9], s[6:7], 3
	v_bfe_u32 v7, v0, 10, 10
	v_dual_mov_b32 v16, 0 :: v_dual_mov_b32 v13, 0
	v_dual_mov_b32 v12, 0 :: v_dual_mov_b32 v9, 0
	;; [unrolled: 1-line block ×3, first 2 shown]
	v_mov_b32_e32 v8, 0
	s_waitcnt lgkmcnt(0)
	s_add_u32 s4, s4, s8
	s_addc_u32 s5, s5, s9
	s_lshl_b32 s6, s13, 5
	s_load_b64 s[4:5], s[4:5], 0x0
	s_lshl_b32 s10, s14, 5
	s_cmp_lt_i32 s3, 1
	s_cbranch_scc1 .LBB640_3
; %bb.1:
	s_clause 0x3
	s_load_b64 s[12:13], s[0:1], 0x8
	s_load_b64 s[14:15], s[0:1], 0x20
	s_load_b32 s11, s[0:1], 0x10
	s_load_b32 s16, s[0:1], 0x28
	v_lshl_add_u32 v2, v7, 4, v6
	v_dual_mov_b32 v1, 0 :: v_dual_and_b32 v0, 7, v6
	v_lshlrev_b32_e32 v10, 3, v6
	v_lshl_add_u32 v11, v7, 6, 0x800
	s_delay_alu instid0(VALU_DEP_4)
	v_and_b32_e32 v14, 31, v2
	v_lshrrev_b32_e32 v9, 3, v2
	v_lshrrev_b32_e32 v2, 5, v2
	v_mov_b32_e32 v3, v1
	v_mov_b32_e32 v16, v1
	v_add_nc_u32_e32 v8, s6, v14
	v_add_nc_u32_e32 v15, s10, v9
	v_mov_b32_e32 v17, v1
	s_waitcnt lgkmcnt(0)
	s_add_u32 s12, s12, s8
	s_addc_u32 s13, s13, s9
	s_add_u32 s8, s14, s8
	s_load_b64 s[12:13], s[12:13], 0x0
	s_addc_u32 s9, s15, s9
	v_mad_i64_i32 v[4:5], null, s11, v8, v[2:3]
	v_mov_b32_e32 v8, v1
	s_load_b64 s[8:9], s[8:9], 0x0
	v_lshlrev_b32_e32 v3, 3, v0
	v_mad_i64_i32 v[12:13], null, s16, v15, v[0:1]
	v_mov_b32_e32 v0, v1
	s_delay_alu instid0(VALU_DEP_3) | instskip(SKIP_3) | instid1(VALU_DEP_4)
	v_lshl_or_b32 v15, v9, 6, v3
	v_lshlrev_b64 v[3:4], 3, v[4:5]
	v_dual_mov_b32 v9, v1 :: v_dual_lshlrev_b32 v14, 3, v14
	v_lshlrev_b64 v[12:13], 3, v[12:13]
	v_add_nc_u32_e32 v15, 0x800, v15
	s_delay_alu instid0(VALU_DEP_3)
	v_lshl_or_b32 v14, v2, 8, v14
	s_waitcnt lgkmcnt(0)
	v_add_co_u32 v2, vcc_lo, v3, s12
	v_add_co_ci_u32_e32 v3, vcc_lo, s13, v4, vcc_lo
	v_add_co_u32 v4, vcc_lo, v12, s8
	v_mov_b32_e32 v12, v1
	v_add_co_ci_u32_e32 v5, vcc_lo, s9, v13, vcc_lo
	v_add_co_u32 v2, vcc_lo, v2, 4
	v_add_co_ci_u32_e32 v3, vcc_lo, 0, v3, vcc_lo
	v_add_co_u32 v4, vcc_lo, v4, 4
	s_delay_alu instid0(VALU_DEP_4)
	v_add_co_ci_u32_e32 v5, vcc_lo, 0, v5, vcc_lo
	v_mov_b32_e32 v13, v1
.LBB640_2:                              ; =>This Inner Loop Header: Depth=1
	global_load_b64 v[18:19], v[2:3], off offset:-4
	global_load_b64 v[20:21], v[4:5], off offset:-4
	v_add_co_u32 v2, vcc_lo, v2, 64
	v_add_co_ci_u32_e32 v3, vcc_lo, 0, v3, vcc_lo
	v_add_co_u32 v4, vcc_lo, v4, 64
	v_add_co_ci_u32_e32 v5, vcc_lo, 0, v5, vcc_lo
	s_add_i32 s7, s7, 8
	s_waitcnt vmcnt(1)
	ds_store_b64 v14, v[18:19]
	s_waitcnt vmcnt(0)
	ds_store_b64 v15, v[20:21]
	s_waitcnt lgkmcnt(0)
	s_barrier
	buffer_gl0_inv
	ds_load_2addr_b64 v[18:21], v10 offset1:16
	ds_load_b128 v[22:25], v11
	ds_load_b128 v[26:29], v11 offset:1024
	ds_load_b128 v[30:33], v11 offset:16
	ds_load_2addr_b64 v[34:37], v10 offset0:32 offset1:48
	ds_load_b128 v[38:41], v11 offset:32
	ds_load_b128 v[42:45], v11 offset:48
	ds_load_2addr_b64 v[46:49], v10 offset0:64 offset1:80
	ds_load_b128 v[50:53], v11 offset:1040
	ds_load_2addr_b64 v[54:57], v10 offset0:96 offset1:112
	ds_load_2addr_b64 v[58:61], v10 offset0:128 offset1:144
	;; [unrolled: 1-line block ×4, first 2 shown]
	ds_load_b128 v[70:73], v11 offset:1056
	ds_load_b128 v[74:77], v11 offset:1072
	ds_load_2addr_b64 v[78:81], v10 offset0:224 offset1:240
	s_cmp_ge_i32 s7, s3
	s_waitcnt lgkmcnt(0)
	s_barrier
	buffer_gl0_inv
	v_dual_mul_f32 v82, v23, v19 :: v_dual_mul_f32 v85, v22, v21
	v_dual_mul_f32 v83, v22, v19 :: v_dual_mul_f32 v84, v23, v21
	v_mul_f32_e32 v86, v27, v19
	v_dual_mul_f32 v19, v26, v19 :: v_dual_mul_f32 v90, v25, v37
	v_dual_mul_f32 v87, v27, v21 :: v_dual_mul_f32 v88, v25, v35
	v_mul_f32_e32 v21, v26, v21
	v_fma_f32 v82, v22, v18, -v82
	v_fmac_f32_e32 v83, v23, v18
	v_fma_f32 v22, v22, v20, -v84
	v_fmac_f32_e32 v85, v23, v20
	v_fma_f32 v23, v26, v18, -v86
	v_dual_fmac_f32 v19, v27, v18 :: v_dual_mul_f32 v86, v30, v47
	v_fma_f32 v18, v26, v20, -v87
	v_dual_fmac_f32 v21, v27, v20 :: v_dual_mul_f32 v20, v24, v37
	v_mul_f32_e32 v89, v24, v35
	v_mul_f32_e32 v26, v29, v35
	;; [unrolled: 1-line block ×4, first 2 shown]
	v_fmac_f32_e32 v20, v25, v36
	v_fmac_f32_e32 v89, v25, v34
	v_dual_mul_f32 v25, v28, v37 :: v_dual_fmac_f32 v86, v31, v46
	v_fma_f32 v84, v24, v34, -v88
	v_fma_f32 v24, v24, v36, -v90
	v_dual_mul_f32 v37, v31, v47 :: v_dual_mul_f32 v90, v33, v57
	v_fma_f32 v26, v28, v34, -v26
	v_fma_f32 v28, v28, v36, -v35
	v_fmac_f32_e32 v25, v29, v36
	v_dual_mul_f32 v35, v50, v47 :: v_dual_mul_f32 v36, v51, v49
	v_dual_fmac_f32 v27, v29, v34 :: v_dual_mul_f32 v34, v51, v47
	v_dual_mul_f32 v88, v32, v55 :: v_dual_mul_f32 v29, v30, v49
	v_mul_f32_e32 v87, v31, v49
	v_fma_f32 v37, v30, v46, -v37
	v_add_f32_e32 v16, v16, v82
	s_delay_alu instid0(VALU_DEP_4)
	v_dual_fmac_f32 v88, v33, v54 :: v_dual_fmac_f32 v29, v31, v48
	v_fma_f32 v31, v50, v46, -v34
	v_fma_f32 v34, v50, v48, -v36
	v_mul_f32_e32 v36, v32, v57
	v_mul_f32_e32 v47, v50, v49
	v_dual_mul_f32 v50, v53, v57 :: v_dual_fmac_f32 v35, v51, v46
	v_mul_f32_e32 v46, v53, v55
	v_mul_f32_e32 v49, v33, v55
	v_fma_f32 v30, v30, v48, -v87
	v_fmac_f32_e32 v36, v33, v56
	v_dual_fmac_f32 v47, v51, v48 :: v_dual_mul_f32 v48, v52, v55
	v_mul_f32_e32 v33, v52, v57
	v_fma_f32 v46, v52, v54, -v46
	v_fma_f32 v50, v52, v56, -v50
	v_mul_f32_e32 v52, v38, v61
	v_fma_f32 v49, v32, v54, -v49
	v_fma_f32 v32, v32, v56, -v90
	v_dual_mul_f32 v51, v39, v59 :: v_dual_fmac_f32 v48, v53, v54
	v_mul_f32_e32 v54, v70, v59
	v_dual_mul_f32 v55, v38, v59 :: v_dual_fmac_f32 v52, v39, v60
	v_fmac_f32_e32 v33, v53, v56
	v_mul_f32_e32 v53, v71, v59
	v_mul_f32_e32 v56, v71, v61
	;; [unrolled: 1-line block ×3, first 2 shown]
	v_fmac_f32_e32 v54, v71, v58
	v_fmac_f32_e32 v55, v39, v58
	v_fma_f32 v39, v70, v58, -v53
	v_fma_f32 v53, v70, v60, -v56
	v_mul_f32_e32 v56, v40, v65
	v_mul_f32_e32 v59, v70, v61
	v_fma_f32 v51, v38, v58, -v51
	v_mul_f32_e32 v58, v72, v63
	v_mul_f32_e32 v87, v40, v63
	;; [unrolled: 1-line block ×4, first 2 shown]
	v_fma_f32 v38, v38, v60, -v57
	v_mul_f32_e32 v57, v73, v63
	v_fmac_f32_e32 v56, v41, v64
	v_dual_fmac_f32 v59, v71, v60 :: v_dual_mul_f32 v60, v73, v65
	v_mul_f32_e32 v63, v43, v67
	v_mul_f32_e32 v70, v43, v69
	v_fmac_f32_e32 v58, v73, v62
	v_fmac_f32_e32 v87, v41, v62
	v_mul_f32_e32 v41, v72, v65
	v_fma_f32 v61, v40, v62, -v61
	v_fma_f32 v40, v40, v64, -v90
	v_mul_f32_e32 v65, v42, v67
	v_fma_f32 v57, v72, v62, -v57
	v_fma_f32 v60, v72, v64, -v60
	v_dual_fmac_f32 v41, v73, v64 :: v_dual_mul_f32 v62, v42, v69
	v_mul_f32_e32 v64, v75, v67
	v_fma_f32 v63, v42, v66, -v63
	v_fma_f32 v42, v42, v68, -v70
	v_mul_f32_e32 v70, v76, v79
	v_mul_f32_e32 v67, v74, v67
	;; [unrolled: 1-line block ×3, first 2 shown]
	v_dual_mul_f32 v69, v74, v69 :: v_dual_add_f32 v0, v0, v19
	v_mul_f32_e32 v73, v44, v79
	v_dual_fmac_f32 v65, v43, v66 :: v_dual_add_f32 v12, v12, v85
	v_fmac_f32_e32 v62, v43, v68
	v_fma_f32 v43, v74, v66, -v64
	v_fmac_f32_e32 v70, v77, v78
	v_dual_fmac_f32 v67, v75, v66 :: v_dual_add_f32 v16, v16, v84
	v_mul_f32_e32 v66, v44, v81
	v_mul_f32_e32 v72, v45, v79
	v_dual_mul_f32 v90, v45, v81 :: v_dual_fmac_f32 v69, v75, v68
	v_add_f32_e32 v8, v8, v18
	v_dual_fmac_f32 v73, v45, v78 :: v_dual_add_f32 v0, v0, v27
	v_dual_fmac_f32 v66, v45, v80 :: v_dual_mul_f32 v45, v76, v81
	v_fma_f32 v64, v74, v68, -v71
	v_dual_mul_f32 v71, v77, v81 :: v_dual_add_f32 v12, v12, v20
	v_dual_add_f32 v17, v17, v83 :: v_dual_add_f32 v8, v8, v28
	s_delay_alu instid0(VALU_DEP_4) | instskip(NEXT) | instid1(VALU_DEP_3)
	v_dual_fmac_f32 v45, v77, v80 :: v_dual_add_f32 v16, v16, v37
	v_dual_add_f32 v13, v13, v22 :: v_dual_add_f32 v12, v12, v29
	s_delay_alu instid0(VALU_DEP_3) | instskip(SKIP_1) | instid1(VALU_DEP_3)
	v_dual_add_f32 v9, v9, v23 :: v_dual_add_f32 v8, v8, v34
	v_dual_add_f32 v1, v1, v21 :: v_dual_add_f32 v0, v0, v35
	;; [unrolled: 1-line block ×3, first 2 shown]
	s_delay_alu instid0(VALU_DEP_4) | instskip(NEXT) | instid1(VALU_DEP_3)
	v_dual_add_f32 v13, v13, v24 :: v_dual_add_f32 v16, v16, v49
	v_dual_add_f32 v9, v9, v26 :: v_dual_add_f32 v0, v0, v48
	s_delay_alu instid0(VALU_DEP_4) | instskip(NEXT) | instid1(VALU_DEP_3)
	v_dual_add_f32 v1, v1, v25 :: v_dual_add_f32 v8, v8, v50
	v_dual_add_f32 v17, v17, v86 :: v_dual_add_f32 v16, v16, v51
	s_delay_alu instid0(VALU_DEP_4) | instskip(NEXT) | instid1(VALU_DEP_4)
	v_dual_add_f32 v13, v13, v30 :: v_dual_add_f32 v12, v12, v52
	v_dual_add_f32 v9, v9, v31 :: v_dual_add_f32 v0, v0, v54
	s_delay_alu instid0(VALU_DEP_4) | instskip(NEXT) | instid1(VALU_DEP_4)
	v_dual_add_f32 v1, v1, v47 :: v_dual_add_f32 v8, v8, v53
	v_dual_add_f32 v17, v17, v88 :: v_dual_add_f32 v16, v16, v61
	s_delay_alu instid0(VALU_DEP_3) | instskip(NEXT) | instid1(VALU_DEP_4)
	v_dual_add_f32 v13, v13, v32 :: v_dual_add_f32 v0, v0, v58
	v_dual_add_f32 v9, v9, v46 :: v_dual_add_f32 v12, v12, v56
	s_delay_alu instid0(VALU_DEP_4) | instskip(SKIP_1) | instid1(VALU_DEP_3)
	v_dual_add_f32 v1, v1, v33 :: v_dual_add_f32 v8, v8, v60
	v_fma_f32 v72, v44, v78, -v72
	v_dual_add_f32 v17, v17, v55 :: v_dual_add_f32 v12, v12, v62
	v_dual_add_f32 v13, v13, v38 :: v_dual_add_f32 v16, v16, v63
	s_delay_alu instid0(VALU_DEP_4) | instskip(SKIP_2) | instid1(VALU_DEP_4)
	v_dual_add_f32 v9, v9, v39 :: v_dual_add_f32 v8, v8, v64
	v_add_f32_e32 v1, v1, v59
	v_mul_f32_e32 v68, v77, v79
	v_add_f32_e32 v16, v16, v72
	v_fma_f32 v71, v76, v80, -v71
	v_dual_add_f32 v17, v17, v87 :: v_dual_add_f32 v12, v12, v66
	v_dual_add_f32 v13, v13, v40 :: v_dual_add_f32 v0, v0, v67
	v_add_f32_e32 v9, v9, v57
	s_delay_alu instid0(VALU_DEP_4)
	v_dual_add_f32 v1, v1, v41 :: v_dual_add_f32 v8, v8, v71
	v_fma_f32 v44, v44, v80, -v90
	v_fma_f32 v68, v76, v78, -v68
	v_add_f32_e32 v17, v17, v65
	v_add_f32_e32 v13, v13, v42
	v_dual_add_f32 v1, v1, v69 :: v_dual_add_f32 v0, v0, v70
	v_add_f32_e32 v9, v9, v43
	s_delay_alu instid0(VALU_DEP_4) | instskip(NEXT) | instid1(VALU_DEP_4)
	v_add_f32_e32 v17, v17, v73
	v_add_f32_e32 v13, v13, v44
	s_delay_alu instid0(VALU_DEP_4) | instskip(NEXT) | instid1(VALU_DEP_4)
	v_add_f32_e32 v1, v1, v45
	v_add_f32_e32 v9, v9, v68
	s_cbranch_scc0 .LBB640_2
.LBB640_3:
	s_load_b32 s3, s[0:1], 0x40
	v_add_nc_u32_e32 v7, s10, v7
	v_add_nc_u32_e32 v2, s6, v6
	s_delay_alu instid0(VALU_DEP_2) | instskip(NEXT) | instid1(VALU_DEP_2)
	v_cmp_gt_i32_e32 vcc_lo, s2, v7
	v_cmp_le_i32_e64 s0, v2, v7
	s_delay_alu instid0(VALU_DEP_1) | instskip(SKIP_2) | instid1(VALU_DEP_1)
	s_and_b32 s0, vcc_lo, s0
	s_waitcnt lgkmcnt(0)
	v_mad_i64_i32 v[3:4], null, v7, s3, 0
	v_lshlrev_b64 v[3:4], 3, v[3:4]
	s_delay_alu instid0(VALU_DEP_1) | instskip(NEXT) | instid1(VALU_DEP_1)
	v_add_co_u32 v6, s1, s4, v3
	v_add_co_ci_u32_e64 v10, s1, s5, v4, s1
	s_and_saveexec_b32 s1, s0
	s_cbranch_execz .LBB640_5
; %bb.4:
	v_ashrrev_i32_e32 v3, 31, v2
	v_xor_b32_e32 v14, 0x80000000, v16
	v_xor_b32_e32 v15, 0x80000000, v17
	s_delay_alu instid0(VALU_DEP_3) | instskip(NEXT) | instid1(VALU_DEP_1)
	v_lshlrev_b64 v[3:4], 3, v[2:3]
	v_add_co_u32 v3, s0, v6, v3
	s_delay_alu instid0(VALU_DEP_1)
	v_add_co_ci_u32_e64 v4, s0, v10, v4, s0
	global_store_b64 v[3:4], v[14:15], off
.LBB640_5:
	s_or_b32 exec_lo, exec_lo, s1
	v_add_nc_u32_e32 v4, 16, v2
	s_delay_alu instid0(VALU_DEP_1) | instskip(NEXT) | instid1(VALU_DEP_1)
	v_cmp_le_i32_e64 s0, v4, v7
	s_and_b32 s1, vcc_lo, s0
	s_delay_alu instid0(SALU_CYCLE_1)
	s_and_saveexec_b32 s0, s1
	s_cbranch_execz .LBB640_7
; %bb.6:
	v_ashrrev_i32_e32 v5, 31, v4
	v_xor_b32_e32 v11, 0x80000000, v13
	v_xor_b32_e32 v12, 0x80000000, v12
	s_delay_alu instid0(VALU_DEP_3) | instskip(NEXT) | instid1(VALU_DEP_1)
	v_lshlrev_b64 v[14:15], 3, v[4:5]
	v_add_co_u32 v5, vcc_lo, v6, v14
	s_delay_alu instid0(VALU_DEP_2)
	v_add_co_ci_u32_e32 v6, vcc_lo, v10, v15, vcc_lo
	global_store_b64 v[5:6], v[11:12], off
.LBB640_7:
	s_or_b32 exec_lo, exec_lo, s0
	v_add_nc_u32_e32 v5, 16, v7
	s_delay_alu instid0(VALU_DEP_1) | instskip(SKIP_2) | instid1(VALU_DEP_1)
	v_mad_i64_i32 v[6:7], null, v5, s3, 0
	v_cmp_gt_i32_e32 vcc_lo, s2, v5
	v_cmp_le_i32_e64 s0, v2, v5
	s_and_b32 s0, vcc_lo, s0
	s_delay_alu instid0(VALU_DEP_3) | instskip(NEXT) | instid1(VALU_DEP_1)
	v_lshlrev_b64 v[6:7], 3, v[6:7]
	v_add_co_u32 v6, s1, s4, v6
	s_delay_alu instid0(VALU_DEP_1)
	v_add_co_ci_u32_e64 v7, s1, s5, v7, s1
	s_and_saveexec_b32 s1, s0
	s_cbranch_execz .LBB640_9
; %bb.8:
	v_ashrrev_i32_e32 v3, 31, v2
	v_xor_b32_e32 v9, 0x80000000, v9
	v_xor_b32_e32 v10, 0x80000000, v0
	s_delay_alu instid0(VALU_DEP_3) | instskip(NEXT) | instid1(VALU_DEP_1)
	v_lshlrev_b64 v[2:3], 3, v[2:3]
	v_add_co_u32 v2, s0, v6, v2
	s_delay_alu instid0(VALU_DEP_1)
	v_add_co_ci_u32_e64 v3, s0, v7, v3, s0
	global_store_b64 v[2:3], v[9:10], off
.LBB640_9:
	s_or_b32 exec_lo, exec_lo, s1
	v_cmp_le_i32_e64 s0, v4, v5
	s_delay_alu instid0(VALU_DEP_1) | instskip(NEXT) | instid1(SALU_CYCLE_1)
	s_and_b32 s0, vcc_lo, s0
	s_and_saveexec_b32 s1, s0
	s_cbranch_execz .LBB640_11
; %bb.10:
	v_ashrrev_i32_e32 v5, 31, v4
	v_xor_b32_e32 v0, 0x80000000, v8
	v_xor_b32_e32 v1, 0x80000000, v1
	s_delay_alu instid0(VALU_DEP_3) | instskip(NEXT) | instid1(VALU_DEP_1)
	v_lshlrev_b64 v[2:3], 3, v[4:5]
	v_add_co_u32 v2, vcc_lo, v6, v2
	s_delay_alu instid0(VALU_DEP_2)
	v_add_co_ci_u32_e32 v3, vcc_lo, v7, v3, vcc_lo
	global_store_b64 v[2:3], v[0:1], off
.LBB640_11:
	s_nop 0
	s_sendmsg sendmsg(MSG_DEALLOC_VGPRS)
	s_endpgm
	.section	.rodata,"a",@progbits
	.p2align	6, 0x0
	.amdhsa_kernel _ZL37rocblas_syrkx_herkx_restricted_kernelIi19rocblas_complex_numIfELi16ELi32ELi8ELin1ELi0ELb0ELc67ELc85EKPKS1_KPS1_EviT_PT9_S7_lS9_S7_lPT10_S7_li
		.amdhsa_group_segment_fixed_size 4096
		.amdhsa_private_segment_fixed_size 0
		.amdhsa_kernarg_size 84
		.amdhsa_user_sgpr_count 13
		.amdhsa_user_sgpr_dispatch_ptr 0
		.amdhsa_user_sgpr_queue_ptr 0
		.amdhsa_user_sgpr_kernarg_segment_ptr 1
		.amdhsa_user_sgpr_dispatch_id 0
		.amdhsa_user_sgpr_private_segment_size 0
		.amdhsa_wavefront_size32 1
		.amdhsa_uses_dynamic_stack 0
		.amdhsa_enable_private_segment 0
		.amdhsa_system_sgpr_workgroup_id_x 1
		.amdhsa_system_sgpr_workgroup_id_y 1
		.amdhsa_system_sgpr_workgroup_id_z 1
		.amdhsa_system_sgpr_workgroup_info 0
		.amdhsa_system_vgpr_workitem_id 1
		.amdhsa_next_free_vgpr 91
		.amdhsa_next_free_sgpr 17
		.amdhsa_reserve_vcc 1
		.amdhsa_float_round_mode_32 0
		.amdhsa_float_round_mode_16_64 0
		.amdhsa_float_denorm_mode_32 3
		.amdhsa_float_denorm_mode_16_64 3
		.amdhsa_dx10_clamp 1
		.amdhsa_ieee_mode 1
		.amdhsa_fp16_overflow 0
		.amdhsa_workgroup_processor_mode 1
		.amdhsa_memory_ordered 1
		.amdhsa_forward_progress 0
		.amdhsa_shared_vgpr_count 0
		.amdhsa_exception_fp_ieee_invalid_op 0
		.amdhsa_exception_fp_denorm_src 0
		.amdhsa_exception_fp_ieee_div_zero 0
		.amdhsa_exception_fp_ieee_overflow 0
		.amdhsa_exception_fp_ieee_underflow 0
		.amdhsa_exception_fp_ieee_inexact 0
		.amdhsa_exception_int_div_zero 0
	.end_amdhsa_kernel
	.section	.text._ZL37rocblas_syrkx_herkx_restricted_kernelIi19rocblas_complex_numIfELi16ELi32ELi8ELin1ELi0ELb0ELc67ELc85EKPKS1_KPS1_EviT_PT9_S7_lS9_S7_lPT10_S7_li,"axG",@progbits,_ZL37rocblas_syrkx_herkx_restricted_kernelIi19rocblas_complex_numIfELi16ELi32ELi8ELin1ELi0ELb0ELc67ELc85EKPKS1_KPS1_EviT_PT9_S7_lS9_S7_lPT10_S7_li,comdat
.Lfunc_end640:
	.size	_ZL37rocblas_syrkx_herkx_restricted_kernelIi19rocblas_complex_numIfELi16ELi32ELi8ELin1ELi0ELb0ELc67ELc85EKPKS1_KPS1_EviT_PT9_S7_lS9_S7_lPT10_S7_li, .Lfunc_end640-_ZL37rocblas_syrkx_herkx_restricted_kernelIi19rocblas_complex_numIfELi16ELi32ELi8ELin1ELi0ELb0ELc67ELc85EKPKS1_KPS1_EviT_PT9_S7_lS9_S7_lPT10_S7_li
                                        ; -- End function
	.section	.AMDGPU.csdata,"",@progbits
; Kernel info:
; codeLenInByte = 2060
; NumSgprs: 19
; NumVgprs: 91
; ScratchSize: 0
; MemoryBound: 0
; FloatMode: 240
; IeeeMode: 1
; LDSByteSize: 4096 bytes/workgroup (compile time only)
; SGPRBlocks: 2
; VGPRBlocks: 11
; NumSGPRsForWavesPerEU: 19
; NumVGPRsForWavesPerEU: 91
; Occupancy: 16
; WaveLimiterHint : 1
; COMPUTE_PGM_RSRC2:SCRATCH_EN: 0
; COMPUTE_PGM_RSRC2:USER_SGPR: 13
; COMPUTE_PGM_RSRC2:TRAP_HANDLER: 0
; COMPUTE_PGM_RSRC2:TGID_X_EN: 1
; COMPUTE_PGM_RSRC2:TGID_Y_EN: 1
; COMPUTE_PGM_RSRC2:TGID_Z_EN: 1
; COMPUTE_PGM_RSRC2:TIDIG_COMP_CNT: 1
	.section	.text._ZL37rocblas_syrkx_herkx_restricted_kernelIi19rocblas_complex_numIfELi16ELi32ELi8ELin1ELi0ELb0ELc78ELc85EKPKS1_KPS1_EviT_PT9_S7_lS9_S7_lPT10_S7_li,"axG",@progbits,_ZL37rocblas_syrkx_herkx_restricted_kernelIi19rocblas_complex_numIfELi16ELi32ELi8ELin1ELi0ELb0ELc78ELc85EKPKS1_KPS1_EviT_PT9_S7_lS9_S7_lPT10_S7_li,comdat
	.globl	_ZL37rocblas_syrkx_herkx_restricted_kernelIi19rocblas_complex_numIfELi16ELi32ELi8ELin1ELi0ELb0ELc78ELc85EKPKS1_KPS1_EviT_PT9_S7_lS9_S7_lPT10_S7_li ; -- Begin function _ZL37rocblas_syrkx_herkx_restricted_kernelIi19rocblas_complex_numIfELi16ELi32ELi8ELin1ELi0ELb0ELc78ELc85EKPKS1_KPS1_EviT_PT9_S7_lS9_S7_lPT10_S7_li
	.p2align	8
	.type	_ZL37rocblas_syrkx_herkx_restricted_kernelIi19rocblas_complex_numIfELi16ELi32ELi8ELin1ELi0ELb0ELc78ELc85EKPKS1_KPS1_EviT_PT9_S7_lS9_S7_lPT10_S7_li,@function
_ZL37rocblas_syrkx_herkx_restricted_kernelIi19rocblas_complex_numIfELi16ELi32ELi8ELin1ELi0ELb0ELc78ELc85EKPKS1_KPS1_EviT_PT9_S7_lS9_S7_lPT10_S7_li: ; @_ZL37rocblas_syrkx_herkx_restricted_kernelIi19rocblas_complex_numIfELi16ELi32ELi8ELin1ELi0ELb0ELc78ELc85EKPKS1_KPS1_EviT_PT9_S7_lS9_S7_lPT10_S7_li
; %bb.0:
	s_clause 0x1
	s_load_b64 s[4:5], s[0:1], 0x38
	s_load_b64 s[2:3], s[0:1], 0x0
	s_mov_b32 s6, s15
	s_mov_b32 s7, 0
	v_dual_mov_b32 v17, 0 :: v_dual_and_b32 v4, 0x3ff, v0
	s_lshl_b64 s[8:9], s[6:7], 3
	v_bfe_u32 v5, v0, 10, 10
	v_dual_mov_b32 v16, 0 :: v_dual_mov_b32 v13, 0
	v_dual_mov_b32 v12, 0 :: v_dual_mov_b32 v9, 0
	v_dual_mov_b32 v8, 0 :: v_dual_mov_b32 v7, 0
	v_mov_b32_e32 v6, 0
	s_waitcnt lgkmcnt(0)
	s_add_u32 s4, s4, s8
	s_addc_u32 s5, s5, s9
	s_lshl_b32 s6, s13, 5
	s_load_b64 s[4:5], s[4:5], 0x0
	s_lshl_b32 s12, s14, 5
	s_cmp_lt_i32 s3, 1
	s_cbranch_scc1 .LBB641_3
; %bb.1:
	s_clause 0x3
	s_load_b32 s10, s[0:1], 0x10
	s_load_b32 s14, s[0:1], 0x28
	s_load_b64 s[16:17], s[0:1], 0x8
	s_load_b64 s[18:19], s[0:1], 0x20
	v_lshl_add_u32 v0, v5, 4, v4
	v_and_b32_e32 v12, 7, v4
	v_lshlrev_b32_e32 v10, 3, v4
	v_lshl_add_u32 v11, v5, 6, 0x800
	s_delay_alu instid0(VALU_DEP_4) | instskip(SKIP_2) | instid1(VALU_DEP_3)
	v_dual_mov_b32 v16, 0 :: v_dual_and_b32 v9, 31, v0
	v_lshrrev_b32_e32 v6, 3, v0
	v_lshrrev_b32_e32 v13, 5, v0
	v_dual_mov_b32 v17, 0 :: v_dual_add_nc_u32 v2, s6, v9
	s_delay_alu instid0(VALU_DEP_3) | instskip(NEXT) | instid1(VALU_DEP_2)
	v_add_nc_u32_e32 v0, s12, v6
	v_ashrrev_i32_e32 v3, 31, v2
	s_waitcnt lgkmcnt(0)
	s_ashr_i32 s11, s10, 31
	s_ashr_i32 s15, s14, 31
	s_add_u32 s16, s16, s8
	s_addc_u32 s17, s17, s9
	s_add_u32 s8, s18, s8
	s_load_b64 s[16:17], s[16:17], 0x0
	s_addc_u32 s9, s19, s9
	v_ashrrev_i32_e32 v1, 31, v0
	s_load_b64 s[8:9], s[8:9], 0x0
	v_mad_i64_i32 v[7:8], null, s10, v13, v[2:3]
	s_delay_alu instid0(VALU_DEP_2) | instskip(NEXT) | instid1(VALU_DEP_2)
	v_mad_i64_i32 v[2:3], null, s14, v12, v[0:1]
	v_lshlrev_b64 v[0:1], 3, v[7:8]
	v_dual_mov_b32 v7, 0 :: v_dual_lshlrev_b32 v14, 3, v12
	s_delay_alu instid0(VALU_DEP_3) | instskip(SKIP_1) | instid1(VALU_DEP_3)
	v_lshlrev_b64 v[2:3], 3, v[2:3]
	v_mov_b32_e32 v8, 0
	v_lshl_or_b32 v12, v6, 6, v14
	s_waitcnt lgkmcnt(0)
	v_add_co_u32 v0, vcc_lo, v0, s16
	v_add_co_ci_u32_e32 v1, vcc_lo, s17, v1, vcc_lo
	v_add_co_u32 v2, vcc_lo, v2, s8
	v_add_co_ci_u32_e32 v3, vcc_lo, s9, v3, vcc_lo
	v_dual_mov_b32 v6, 0 :: v_dual_lshlrev_b32 v9, 3, v9
	v_add_co_u32 v0, vcc_lo, v0, 4
	v_add_co_ci_u32_e32 v1, vcc_lo, 0, v1, vcc_lo
	v_add_co_u32 v2, vcc_lo, v2, 4
	s_delay_alu instid0(VALU_DEP_4)
	v_lshl_or_b32 v14, v13, 8, v9
	v_dual_mov_b32 v12, 0 :: v_dual_add_nc_u32 v15, 0x800, v12
	v_add_co_ci_u32_e32 v3, vcc_lo, 0, v3, vcc_lo
	v_mov_b32_e32 v9, 0
	v_mov_b32_e32 v13, 0
	s_lshl_b64 s[8:9], s[10:11], 6
	s_lshl_b64 s[10:11], s[14:15], 6
.LBB641_2:                              ; =>This Inner Loop Header: Depth=1
	global_load_b64 v[18:19], v[0:1], off offset:-4
	global_load_b64 v[20:21], v[2:3], off offset:-4
	v_add_co_u32 v0, vcc_lo, v0, s8
	v_add_co_ci_u32_e32 v1, vcc_lo, s9, v1, vcc_lo
	v_add_co_u32 v2, vcc_lo, v2, s10
	v_add_co_ci_u32_e32 v3, vcc_lo, s11, v3, vcc_lo
	s_add_i32 s7, s7, 8
	s_waitcnt vmcnt(1)
	ds_store_b64 v14, v[18:19]
	s_waitcnt vmcnt(0)
	ds_store_b64 v15, v[20:21]
	s_waitcnt lgkmcnt(0)
	s_barrier
	buffer_gl0_inv
	ds_load_2addr_b64 v[18:21], v10 offset1:16
	ds_load_b128 v[22:25], v11
	ds_load_b128 v[26:29], v11 offset:1024
	ds_load_b128 v[30:33], v11 offset:16
	ds_load_2addr_b64 v[34:37], v10 offset0:32 offset1:48
	ds_load_b128 v[38:41], v11 offset:32
	ds_load_b128 v[42:45], v11 offset:48
	ds_load_2addr_b64 v[46:49], v10 offset0:64 offset1:80
	ds_load_b128 v[50:53], v11 offset:1040
	ds_load_2addr_b64 v[54:57], v10 offset0:96 offset1:112
	ds_load_2addr_b64 v[58:61], v10 offset0:128 offset1:144
	ds_load_2addr_b64 v[62:65], v10 offset0:160 offset1:176
	ds_load_2addr_b64 v[66:69], v10 offset0:192 offset1:208
	ds_load_b128 v[70:73], v11 offset:1056
	ds_load_b128 v[74:77], v11 offset:1072
	ds_load_2addr_b64 v[78:81], v10 offset0:224 offset1:240
	s_cmp_ge_i32 s7, s3
	s_waitcnt lgkmcnt(0)
	s_barrier
	buffer_gl0_inv
	v_dual_mul_f32 v82, v23, v19 :: v_dual_mul_f32 v85, v22, v21
	v_dual_mul_f32 v83, v22, v19 :: v_dual_mul_f32 v84, v23, v21
	v_mul_f32_e32 v86, v27, v19
	v_dual_mul_f32 v19, v26, v19 :: v_dual_mul_f32 v90, v25, v37
	v_dual_mul_f32 v87, v27, v21 :: v_dual_mul_f32 v88, v25, v35
	v_mul_f32_e32 v21, v26, v21
	v_mul_f32_e32 v89, v24, v35
	;; [unrolled: 1-line block ×3, first 2 shown]
	v_fma_f32 v82, v22, v18, -v82
	v_fmac_f32_e32 v83, v23, v18
	v_fma_f32 v22, v22, v20, -v84
	v_dual_fmac_f32 v85, v23, v20 :: v_dual_mul_f32 v84, v30, v47
	v_fma_f32 v23, v26, v18, -v86
	v_fmac_f32_e32 v19, v27, v18
	v_fma_f32 v18, v26, v20, -v87
	v_dual_mul_f32 v26, v28, v35 :: v_dual_fmac_f32 v21, v27, v20
	v_mul_f32_e32 v20, v29, v35
	v_mul_f32_e32 v27, v29, v37
	v_dual_mul_f32 v35, v28, v37 :: v_dual_fmac_f32 v84, v31, v46
	v_fma_f32 v37, v24, v34, -v88
	v_fma_f32 v24, v24, v36, -v90
	v_dual_fmac_f32 v91, v25, v36 :: v_dual_mul_f32 v90, v32, v57
	v_dual_mul_f32 v86, v31, v49 :: v_dual_fmac_f32 v89, v25, v34
	v_dual_mul_f32 v25, v31, v47 :: v_dual_mul_f32 v88, v33, v57
	v_fma_f32 v20, v28, v34, -v20
	v_fmac_f32_e32 v26, v29, v34
	v_fma_f32 v27, v28, v36, -v27
	v_dual_fmac_f32 v35, v29, v36 :: v_dual_mul_f32 v28, v51, v47
	v_dual_mul_f32 v29, v50, v47 :: v_dual_mul_f32 v34, v51, v49
	v_mul_f32_e32 v36, v50, v49
	v_mul_f32_e32 v87, v30, v49
	;; [unrolled: 1-line block ×3, first 2 shown]
	v_dual_mul_f32 v49, v32, v55 :: v_dual_fmac_f32 v90, v33, v56
	v_fma_f32 v25, v30, v46, -v25
	v_fma_f32 v30, v30, v48, -v86
	;; [unrolled: 1-line block ×3, first 2 shown]
	v_fmac_f32_e32 v36, v51, v48
	v_fmac_f32_e32 v87, v31, v48
	v_fma_f32 v31, v50, v48, -v34
	v_mul_f32_e32 v34, v53, v55
	v_mul_f32_e32 v48, v53, v57
	v_dual_mul_f32 v50, v52, v57 :: v_dual_fmac_f32 v29, v51, v46
	v_mul_f32_e32 v46, v52, v55
	v_fma_f32 v47, v32, v54, -v47
	v_fmac_f32_e32 v49, v33, v54
	v_fma_f32 v32, v32, v56, -v88
	s_delay_alu instid0(VALU_DEP_4)
	v_dual_mul_f32 v33, v39, v59 :: v_dual_fmac_f32 v46, v53, v54
	v_mul_f32_e32 v51, v38, v59
	v_mul_f32_e32 v55, v39, v61
	v_fma_f32 v34, v52, v54, -v34
	v_fma_f32 v48, v52, v56, -v48
	v_fmac_f32_e32 v50, v53, v56
	v_mul_f32_e32 v52, v71, v59
	v_dual_mul_f32 v53, v70, v59 :: v_dual_mul_f32 v86, v41, v65
	v_mul_f32_e32 v54, v71, v61
	v_dual_mul_f32 v56, v70, v61 :: v_dual_mul_f32 v59, v41, v63
	v_mul_f32_e32 v57, v38, v61
	v_mul_f32_e32 v61, v40, v63
	v_dual_mul_f32 v88, v40, v65 :: v_dual_fmac_f32 v51, v39, v58
	v_fma_f32 v33, v38, v58, -v33
	v_fmac_f32_e32 v53, v71, v58
	v_fmac_f32_e32 v56, v71, v60
	s_delay_alu instid0(VALU_DEP_4)
	v_fmac_f32_e32 v88, v41, v64
	v_fmac_f32_e32 v57, v39, v60
	v_fma_f32 v39, v70, v58, -v52
	v_fma_f32 v52, v70, v60, -v54
	v_mul_f32_e32 v54, v73, v63
	v_fma_f32 v38, v38, v60, -v55
	v_mul_f32_e32 v60, v72, v65
	v_dual_mul_f32 v55, v72, v63 :: v_dual_mul_f32 v70, v42, v69
	v_mul_f32_e32 v58, v73, v65
	v_fma_f32 v59, v40, v62, -v59
	v_fmac_f32_e32 v61, v41, v62
	v_fma_f32 v40, v40, v64, -v86
	v_dual_mul_f32 v41, v43, v67 :: v_dual_fmac_f32 v60, v73, v64
	v_dual_mul_f32 v63, v42, v67 :: v_dual_mul_f32 v86, v44, v81
	v_mul_f32_e32 v65, v43, v69
	v_fma_f32 v54, v72, v62, -v54
	v_fmac_f32_e32 v55, v73, v62
	v_fma_f32 v58, v72, v64, -v58
	v_mul_f32_e32 v72, v44, v79
	v_mul_f32_e32 v62, v75, v67
	v_dual_mul_f32 v64, v74, v67 :: v_dual_mul_f32 v67, v75, v69
	v_dual_mul_f32 v69, v74, v69 :: v_dual_fmac_f32 v70, v43, v68
	s_delay_alu instid0(VALU_DEP_2)
	v_dual_mul_f32 v71, v45, v79 :: v_dual_fmac_f32 v64, v75, v66
	v_dual_mul_f32 v73, v45, v81 :: v_dual_add_f32 v16, v16, v82
	v_fma_f32 v41, v42, v66, -v41
	v_fmac_f32_e32 v63, v43, v66
	v_fma_f32 v42, v42, v68, -v65
	v_fma_f32 v43, v74, v66, -v62
	v_dual_mul_f32 v65, v77, v79 :: v_dual_add_f32 v12, v12, v85
	v_mul_f32_e32 v66, v76, v79
	v_fma_f32 v62, v74, v68, -v67
	v_dual_mul_f32 v67, v77, v81 :: v_dual_add_f32 v8, v8, v19
	v_dual_fmac_f32 v86, v45, v80 :: v_dual_add_f32 v7, v7, v18
	v_dual_add_f32 v17, v17, v83 :: v_dual_add_f32 v6, v6, v21
	v_dual_add_f32 v13, v13, v22 :: v_dual_add_f32 v16, v16, v37
	s_delay_alu instid0(VALU_DEP_4)
	v_dual_add_f32 v9, v9, v23 :: v_dual_add_f32 v8, v8, v26
	v_dual_fmac_f32 v69, v75, v68 :: v_dual_fmac_f32 v72, v45, v78
	v_mul_f32_e32 v68, v76, v81
	v_dual_fmac_f32 v66, v77, v78 :: v_dual_add_f32 v7, v7, v27
	v_dual_add_f32 v17, v17, v89 :: v_dual_add_f32 v12, v12, v91
	v_dual_add_f32 v13, v13, v24 :: v_dual_add_f32 v6, v6, v35
	;; [unrolled: 1-line block ×3, first 2 shown]
	s_delay_alu instid0(VALU_DEP_4) | instskip(NEXT) | instid1(VALU_DEP_4)
	v_dual_fmac_f32 v68, v77, v80 :: v_dual_add_f32 v7, v7, v31
	v_dual_add_f32 v17, v17, v84 :: v_dual_add_f32 v12, v12, v87
	s_delay_alu instid0(VALU_DEP_4) | instskip(NEXT) | instid1(VALU_DEP_4)
	v_dual_add_f32 v13, v13, v30 :: v_dual_add_f32 v8, v8, v29
	v_dual_add_f32 v9, v9, v28 :: v_dual_add_f32 v16, v16, v47
	s_delay_alu instid0(VALU_DEP_3) | instskip(NEXT) | instid1(VALU_DEP_3)
	v_dual_add_f32 v6, v6, v36 :: v_dual_add_f32 v17, v17, v49
	v_dual_add_f32 v13, v13, v32 :: v_dual_add_f32 v12, v12, v90
	s_delay_alu instid0(VALU_DEP_3) | instskip(SKIP_1) | instid1(VALU_DEP_4)
	v_dual_add_f32 v9, v9, v34 :: v_dual_add_f32 v16, v16, v33
	v_dual_add_f32 v8, v8, v46 :: v_dual_add_f32 v7, v7, v48
	;; [unrolled: 1-line block ×3, first 2 shown]
	s_delay_alu instid0(VALU_DEP_4) | instskip(NEXT) | instid1(VALU_DEP_3)
	v_dual_add_f32 v13, v13, v38 :: v_dual_add_f32 v12, v12, v57
	v_dual_add_f32 v9, v9, v39 :: v_dual_add_f32 v8, v8, v53
	s_delay_alu instid0(VALU_DEP_4) | instskip(NEXT) | instid1(VALU_DEP_4)
	v_dual_add_f32 v7, v7, v52 :: v_dual_add_f32 v16, v16, v59
	v_dual_add_f32 v6, v6, v56 :: v_dual_add_f32 v17, v17, v61
	s_delay_alu instid0(VALU_DEP_3) | instskip(NEXT) | instid1(VALU_DEP_4)
	v_dual_add_f32 v13, v13, v40 :: v_dual_add_f32 v8, v8, v55
	v_dual_add_f32 v12, v12, v88 :: v_dual_add_f32 v9, v9, v54
	s_delay_alu instid0(VALU_DEP_3)
	v_dual_add_f32 v7, v7, v58 :: v_dual_add_f32 v6, v6, v60
	v_fma_f32 v71, v44, v78, -v71
	v_fma_f32 v44, v44, v80, -v73
	;; [unrolled: 1-line block ×4, first 2 shown]
	v_dual_add_f32 v16, v16, v41 :: v_dual_add_f32 v17, v17, v63
	v_dual_add_f32 v13, v13, v42 :: v_dual_add_f32 v8, v8, v64
	;; [unrolled: 1-line block ×4, first 2 shown]
	s_delay_alu instid0(VALU_DEP_4) | instskip(NEXT) | instid1(VALU_DEP_3)
	v_dual_add_f32 v16, v16, v71 :: v_dual_add_f32 v17, v17, v72
	v_dual_add_f32 v13, v13, v44 :: v_dual_add_f32 v12, v12, v86
	s_delay_alu instid0(VALU_DEP_4) | instskip(NEXT) | instid1(VALU_DEP_4)
	v_dual_add_f32 v9, v9, v45 :: v_dual_add_f32 v8, v8, v66
	v_dual_add_f32 v7, v7, v65 :: v_dual_add_f32 v6, v6, v68
	s_cbranch_scc0 .LBB641_2
.LBB641_3:
	s_load_b32 s3, s[0:1], 0x40
	v_add_nc_u32_e32 v5, s12, v5
	v_add_nc_u32_e32 v0, s6, v4
	s_delay_alu instid0(VALU_DEP_2) | instskip(NEXT) | instid1(VALU_DEP_2)
	v_cmp_gt_i32_e32 vcc_lo, s2, v5
	v_cmp_le_i32_e64 s0, v0, v5
	s_delay_alu instid0(VALU_DEP_1) | instskip(SKIP_2) | instid1(VALU_DEP_1)
	s_and_b32 s0, vcc_lo, s0
	s_waitcnt lgkmcnt(0)
	v_mad_i64_i32 v[1:2], null, v5, s3, 0
	v_lshlrev_b64 v[1:2], 3, v[1:2]
	s_delay_alu instid0(VALU_DEP_1) | instskip(NEXT) | instid1(VALU_DEP_1)
	v_add_co_u32 v4, s1, s4, v1
	v_add_co_ci_u32_e64 v10, s1, s5, v2, s1
	s_and_saveexec_b32 s1, s0
	s_cbranch_execz .LBB641_5
; %bb.4:
	v_ashrrev_i32_e32 v1, 31, v0
	v_xor_b32_e32 v14, 0x80000000, v16
	v_xor_b32_e32 v15, 0x80000000, v17
	s_delay_alu instid0(VALU_DEP_3) | instskip(NEXT) | instid1(VALU_DEP_1)
	v_lshlrev_b64 v[1:2], 3, v[0:1]
	v_add_co_u32 v1, s0, v4, v1
	s_delay_alu instid0(VALU_DEP_1)
	v_add_co_ci_u32_e64 v2, s0, v10, v2, s0
	global_store_b64 v[1:2], v[14:15], off
.LBB641_5:
	s_or_b32 exec_lo, exec_lo, s1
	v_add_nc_u32_e32 v2, 16, v0
	s_delay_alu instid0(VALU_DEP_1) | instskip(NEXT) | instid1(VALU_DEP_1)
	v_cmp_le_i32_e64 s0, v2, v5
	s_and_b32 s1, vcc_lo, s0
	s_delay_alu instid0(SALU_CYCLE_1)
	s_and_saveexec_b32 s0, s1
	s_cbranch_execz .LBB641_7
; %bb.6:
	v_ashrrev_i32_e32 v3, 31, v2
	v_xor_b32_e32 v11, 0x80000000, v13
	v_xor_b32_e32 v12, 0x80000000, v12
	s_delay_alu instid0(VALU_DEP_3) | instskip(NEXT) | instid1(VALU_DEP_1)
	v_lshlrev_b64 v[14:15], 3, v[2:3]
	v_add_co_u32 v3, vcc_lo, v4, v14
	s_delay_alu instid0(VALU_DEP_2)
	v_add_co_ci_u32_e32 v4, vcc_lo, v10, v15, vcc_lo
	global_store_b64 v[3:4], v[11:12], off
.LBB641_7:
	s_or_b32 exec_lo, exec_lo, s0
	v_add_nc_u32_e32 v3, 16, v5
	s_delay_alu instid0(VALU_DEP_1) | instskip(SKIP_2) | instid1(VALU_DEP_1)
	v_mad_i64_i32 v[4:5], null, v3, s3, 0
	v_cmp_gt_i32_e32 vcc_lo, s2, v3
	v_cmp_le_i32_e64 s0, v0, v3
	s_and_b32 s0, vcc_lo, s0
	s_delay_alu instid0(VALU_DEP_3) | instskip(NEXT) | instid1(VALU_DEP_1)
	v_lshlrev_b64 v[4:5], 3, v[4:5]
	v_add_co_u32 v4, s1, s4, v4
	s_delay_alu instid0(VALU_DEP_1)
	v_add_co_ci_u32_e64 v5, s1, s5, v5, s1
	s_and_saveexec_b32 s1, s0
	s_cbranch_execz .LBB641_9
; %bb.8:
	v_ashrrev_i32_e32 v1, 31, v0
	v_xor_b32_e32 v9, 0x80000000, v9
	v_xor_b32_e32 v10, 0x80000000, v8
	s_delay_alu instid0(VALU_DEP_3) | instskip(NEXT) | instid1(VALU_DEP_1)
	v_lshlrev_b64 v[0:1], 3, v[0:1]
	v_add_co_u32 v0, s0, v4, v0
	s_delay_alu instid0(VALU_DEP_1)
	v_add_co_ci_u32_e64 v1, s0, v5, v1, s0
	global_store_b64 v[0:1], v[9:10], off
.LBB641_9:
	s_or_b32 exec_lo, exec_lo, s1
	v_cmp_le_i32_e64 s0, v2, v3
	s_delay_alu instid0(VALU_DEP_1) | instskip(NEXT) | instid1(SALU_CYCLE_1)
	s_and_b32 s0, vcc_lo, s0
	s_and_saveexec_b32 s1, s0
	s_cbranch_execz .LBB641_11
; %bb.10:
	v_ashrrev_i32_e32 v3, 31, v2
	s_delay_alu instid0(VALU_DEP_1) | instskip(SKIP_2) | instid1(VALU_DEP_3)
	v_lshlrev_b64 v[0:1], 3, v[2:3]
	v_xor_b32_e32 v2, 0x80000000, v7
	v_xor_b32_e32 v3, 0x80000000, v6
	v_add_co_u32 v0, vcc_lo, v4, v0
	s_delay_alu instid0(VALU_DEP_4)
	v_add_co_ci_u32_e32 v1, vcc_lo, v5, v1, vcc_lo
	global_store_b64 v[0:1], v[2:3], off
.LBB641_11:
	s_nop 0
	s_sendmsg sendmsg(MSG_DEALLOC_VGPRS)
	s_endpgm
	.section	.rodata,"a",@progbits
	.p2align	6, 0x0
	.amdhsa_kernel _ZL37rocblas_syrkx_herkx_restricted_kernelIi19rocblas_complex_numIfELi16ELi32ELi8ELin1ELi0ELb0ELc78ELc85EKPKS1_KPS1_EviT_PT9_S7_lS9_S7_lPT10_S7_li
		.amdhsa_group_segment_fixed_size 4096
		.amdhsa_private_segment_fixed_size 0
		.amdhsa_kernarg_size 84
		.amdhsa_user_sgpr_count 13
		.amdhsa_user_sgpr_dispatch_ptr 0
		.amdhsa_user_sgpr_queue_ptr 0
		.amdhsa_user_sgpr_kernarg_segment_ptr 1
		.amdhsa_user_sgpr_dispatch_id 0
		.amdhsa_user_sgpr_private_segment_size 0
		.amdhsa_wavefront_size32 1
		.amdhsa_uses_dynamic_stack 0
		.amdhsa_enable_private_segment 0
		.amdhsa_system_sgpr_workgroup_id_x 1
		.amdhsa_system_sgpr_workgroup_id_y 1
		.amdhsa_system_sgpr_workgroup_id_z 1
		.amdhsa_system_sgpr_workgroup_info 0
		.amdhsa_system_vgpr_workitem_id 1
		.amdhsa_next_free_vgpr 92
		.amdhsa_next_free_sgpr 20
		.amdhsa_reserve_vcc 1
		.amdhsa_float_round_mode_32 0
		.amdhsa_float_round_mode_16_64 0
		.amdhsa_float_denorm_mode_32 3
		.amdhsa_float_denorm_mode_16_64 3
		.amdhsa_dx10_clamp 1
		.amdhsa_ieee_mode 1
		.amdhsa_fp16_overflow 0
		.amdhsa_workgroup_processor_mode 1
		.amdhsa_memory_ordered 1
		.amdhsa_forward_progress 0
		.amdhsa_shared_vgpr_count 0
		.amdhsa_exception_fp_ieee_invalid_op 0
		.amdhsa_exception_fp_denorm_src 0
		.amdhsa_exception_fp_ieee_div_zero 0
		.amdhsa_exception_fp_ieee_overflow 0
		.amdhsa_exception_fp_ieee_underflow 0
		.amdhsa_exception_fp_ieee_inexact 0
		.amdhsa_exception_int_div_zero 0
	.end_amdhsa_kernel
	.section	.text._ZL37rocblas_syrkx_herkx_restricted_kernelIi19rocblas_complex_numIfELi16ELi32ELi8ELin1ELi0ELb0ELc78ELc85EKPKS1_KPS1_EviT_PT9_S7_lS9_S7_lPT10_S7_li,"axG",@progbits,_ZL37rocblas_syrkx_herkx_restricted_kernelIi19rocblas_complex_numIfELi16ELi32ELi8ELin1ELi0ELb0ELc78ELc85EKPKS1_KPS1_EviT_PT9_S7_lS9_S7_lPT10_S7_li,comdat
.Lfunc_end641:
	.size	_ZL37rocblas_syrkx_herkx_restricted_kernelIi19rocblas_complex_numIfELi16ELi32ELi8ELin1ELi0ELb0ELc78ELc85EKPKS1_KPS1_EviT_PT9_S7_lS9_S7_lPT10_S7_li, .Lfunc_end641-_ZL37rocblas_syrkx_herkx_restricted_kernelIi19rocblas_complex_numIfELi16ELi32ELi8ELin1ELi0ELb0ELc78ELc85EKPKS1_KPS1_EviT_PT9_S7_lS9_S7_lPT10_S7_li
                                        ; -- End function
	.section	.AMDGPU.csdata,"",@progbits
; Kernel info:
; codeLenInByte = 2088
; NumSgprs: 22
; NumVgprs: 92
; ScratchSize: 0
; MemoryBound: 0
; FloatMode: 240
; IeeeMode: 1
; LDSByteSize: 4096 bytes/workgroup (compile time only)
; SGPRBlocks: 2
; VGPRBlocks: 11
; NumSGPRsForWavesPerEU: 22
; NumVGPRsForWavesPerEU: 92
; Occupancy: 16
; WaveLimiterHint : 1
; COMPUTE_PGM_RSRC2:SCRATCH_EN: 0
; COMPUTE_PGM_RSRC2:USER_SGPR: 13
; COMPUTE_PGM_RSRC2:TRAP_HANDLER: 0
; COMPUTE_PGM_RSRC2:TGID_X_EN: 1
; COMPUTE_PGM_RSRC2:TGID_Y_EN: 1
; COMPUTE_PGM_RSRC2:TGID_Z_EN: 1
; COMPUTE_PGM_RSRC2:TIDIG_COMP_CNT: 1
	.section	.text._ZL37rocblas_syrkx_herkx_restricted_kernelIi19rocblas_complex_numIfELi16ELi32ELi8ELb1ELb0ELc84ELc76EKPKS1_KPS1_EviT_T0_PT8_S7_lSA_S7_lS8_PT9_S7_li,"axG",@progbits,_ZL37rocblas_syrkx_herkx_restricted_kernelIi19rocblas_complex_numIfELi16ELi32ELi8ELb1ELb0ELc84ELc76EKPKS1_KPS1_EviT_T0_PT8_S7_lSA_S7_lS8_PT9_S7_li,comdat
	.globl	_ZL37rocblas_syrkx_herkx_restricted_kernelIi19rocblas_complex_numIfELi16ELi32ELi8ELb1ELb0ELc84ELc76EKPKS1_KPS1_EviT_T0_PT8_S7_lSA_S7_lS8_PT9_S7_li ; -- Begin function _ZL37rocblas_syrkx_herkx_restricted_kernelIi19rocblas_complex_numIfELi16ELi32ELi8ELb1ELb0ELc84ELc76EKPKS1_KPS1_EviT_T0_PT8_S7_lSA_S7_lS8_PT9_S7_li
	.p2align	8
	.type	_ZL37rocblas_syrkx_herkx_restricted_kernelIi19rocblas_complex_numIfELi16ELi32ELi8ELb1ELb0ELc84ELc76EKPKS1_KPS1_EviT_T0_PT8_S7_lSA_S7_lS8_PT9_S7_li,@function
_ZL37rocblas_syrkx_herkx_restricted_kernelIi19rocblas_complex_numIfELi16ELi32ELi8ELb1ELb0ELc84ELc76EKPKS1_KPS1_EviT_T0_PT8_S7_lSA_S7_lS8_PT9_S7_li: ; @_ZL37rocblas_syrkx_herkx_restricted_kernelIi19rocblas_complex_numIfELi16ELi32ELi8ELb1ELb0ELc84ELc76EKPKS1_KPS1_EviT_T0_PT8_S7_lSA_S7_lS8_PT9_S7_li
; %bb.0:
	s_clause 0x1
	s_load_b64 s[2:3], s[0:1], 0x48
	s_load_b64 s[8:9], s[0:1], 0x0
	s_mov_b32 s10, s15
	s_mov_b32 s11, 0
	v_dual_mov_b32 v17, 0 :: v_dual_and_b32 v6, 0x3ff, v0
	s_lshl_b64 s[16:17], s[10:11], 3
	v_bfe_u32 v7, v0, 10, 10
	v_dual_mov_b32 v16, 0 :: v_dual_mov_b32 v11, 0
	v_dual_mov_b32 v13, 0 :: v_dual_mov_b32 v8, 0
	;; [unrolled: 1-line block ×3, first 2 shown]
	v_mov_b32_e32 v1, 0
	s_waitcnt lgkmcnt(0)
	s_add_u32 s2, s2, s16
	s_addc_u32 s3, s3, s17
	s_load_b128 s[4:7], s[0:1], 0x8
	s_load_b64 s[2:3], s[2:3], 0x0
	s_lshl_b32 s10, s13, 5
	s_lshl_b32 s12, s14, 5
	s_cmp_lt_i32 s9, 1
	s_cbranch_scc1 .LBB642_3
; %bb.1:
	s_clause 0x2
	s_load_b64 s[14:15], s[0:1], 0x28
	s_load_b32 s13, s[0:1], 0x18
	s_load_b32 s18, s[0:1], 0x30
	v_lshl_add_u32 v2, v7, 4, v6
	v_dual_mov_b32 v1, 0 :: v_dual_and_b32 v0, 7, v6
	v_lshlrev_b32_e32 v10, 3, v6
	s_waitcnt lgkmcnt(0)
	s_add_u32 s6, s6, s16
	v_and_b32_e32 v8, 31, v2
	v_lshrrev_b32_e32 v9, 3, v2
	v_lshrrev_b32_e32 v2, 5, v2
	v_mov_b32_e32 v3, v1
	s_addc_u32 s7, s7, s17
	v_add_nc_u32_e32 v11, s10, v8
	s_load_b64 s[6:7], s[6:7], 0x0
	v_add_nc_u32_e32 v13, s12, v9
	v_lshl_add_u32 v12, v7, 6, 0x800
	s_add_u32 s14, s14, s16
	v_mad_i64_i32 v[4:5], null, s13, v11, v[2:3]
	v_lshlrev_b32_e32 v3, 3, v0
	s_addc_u32 s15, s15, s17
	s_load_b64 s[14:15], s[14:15], 0x0
	s_delay_alu instid0(VALU_DEP_1) | instskip(NEXT) | instid1(VALU_DEP_3)
	v_lshl_or_b32 v9, v9, 6, v3
	v_lshlrev_b64 v[3:4], 3, v[4:5]
	s_delay_alu instid0(VALU_DEP_2) | instskip(SKIP_4) | instid1(VALU_DEP_3)
	v_add_nc_u32_e32 v15, 0x800, v9
	v_mov_b32_e32 v9, v1
	v_dual_mov_b32 v8, v1 :: v_dual_lshlrev_b32 v11, 3, v8
	v_mad_i64_i32 v[16:17], null, s18, v13, v[0:1]
	v_mov_b32_e32 v0, v1
	v_lshl_or_b32 v14, v2, 8, v11
	s_waitcnt lgkmcnt(0)
	v_add_co_u32 v2, vcc_lo, v3, s6
	v_add_co_ci_u32_e32 v3, vcc_lo, s7, v4, vcc_lo
	v_lshlrev_b64 v[16:17], 3, v[16:17]
	v_mov_b32_e32 v13, v1
	v_mov_b32_e32 v11, v1
	s_delay_alu instid0(VALU_DEP_3)
	v_add_co_u32 v4, vcc_lo, v16, s14
	v_mov_b32_e32 v16, v1
	v_add_co_ci_u32_e32 v5, vcc_lo, s15, v17, vcc_lo
	v_add_co_u32 v2, vcc_lo, v2, 4
	v_add_co_ci_u32_e32 v3, vcc_lo, 0, v3, vcc_lo
	v_add_co_u32 v4, vcc_lo, v4, 4
	s_delay_alu instid0(VALU_DEP_4)
	v_add_co_ci_u32_e32 v5, vcc_lo, 0, v5, vcc_lo
	v_mov_b32_e32 v17, v1
.LBB642_2:                              ; =>This Inner Loop Header: Depth=1
	global_load_b64 v[18:19], v[2:3], off offset:-4
	global_load_b64 v[20:21], v[4:5], off offset:-4
	v_add_co_u32 v2, vcc_lo, v2, 64
	v_add_co_ci_u32_e32 v3, vcc_lo, 0, v3, vcc_lo
	v_add_co_u32 v4, vcc_lo, v4, 64
	v_add_co_ci_u32_e32 v5, vcc_lo, 0, v5, vcc_lo
	s_add_i32 s11, s11, 8
	s_waitcnt vmcnt(1)
	ds_store_b64 v14, v[18:19]
	s_waitcnt vmcnt(0)
	ds_store_b64 v15, v[20:21]
	s_waitcnt lgkmcnt(0)
	s_barrier
	buffer_gl0_inv
	ds_load_2addr_b64 v[18:21], v10 offset1:16
	ds_load_b128 v[22:25], v12
	ds_load_b128 v[26:29], v12 offset:1024
	ds_load_b128 v[30:33], v12 offset:16
	ds_load_2addr_b64 v[34:37], v10 offset0:32 offset1:48
	ds_load_b128 v[38:41], v12 offset:32
	ds_load_b128 v[42:45], v12 offset:48
	ds_load_2addr_b64 v[46:49], v10 offset0:64 offset1:80
	ds_load_b128 v[50:53], v12 offset:1040
	ds_load_2addr_b64 v[54:57], v10 offset0:96 offset1:112
	ds_load_2addr_b64 v[58:61], v10 offset0:128 offset1:144
	;; [unrolled: 1-line block ×4, first 2 shown]
	ds_load_b128 v[70:73], v12 offset:1056
	ds_load_b128 v[74:77], v12 offset:1072
	ds_load_2addr_b64 v[78:81], v10 offset0:224 offset1:240
	s_cmp_ge_i32 s11, s9
	s_waitcnt lgkmcnt(0)
	s_barrier
	buffer_gl0_inv
	v_dual_mul_f32 v82, v23, v19 :: v_dual_mul_f32 v85, v22, v21
	v_dual_mul_f32 v83, v22, v19 :: v_dual_mul_f32 v84, v23, v21
	v_mul_f32_e32 v86, v27, v19
	v_dual_mul_f32 v19, v26, v19 :: v_dual_mul_f32 v90, v25, v37
	v_dual_mul_f32 v87, v27, v21 :: v_dual_mul_f32 v88, v25, v35
	v_mul_f32_e32 v21, v26, v21
	v_fma_f32 v82, v22, v18, -v82
	v_fmac_f32_e32 v83, v23, v18
	v_fma_f32 v22, v22, v20, -v84
	v_fmac_f32_e32 v85, v23, v20
	v_fma_f32 v23, v26, v18, -v86
	v_dual_fmac_f32 v19, v27, v18 :: v_dual_mul_f32 v86, v30, v47
	v_fma_f32 v18, v26, v20, -v87
	v_dual_fmac_f32 v21, v27, v20 :: v_dual_mul_f32 v20, v24, v37
	v_mul_f32_e32 v89, v24, v35
	v_mul_f32_e32 v26, v29, v35
	;; [unrolled: 1-line block ×4, first 2 shown]
	v_fmac_f32_e32 v20, v25, v36
	v_fmac_f32_e32 v89, v25, v34
	v_dual_mul_f32 v25, v28, v37 :: v_dual_fmac_f32 v86, v31, v46
	v_fma_f32 v84, v24, v34, -v88
	v_fma_f32 v24, v24, v36, -v90
	v_dual_mul_f32 v37, v31, v47 :: v_dual_mul_f32 v90, v33, v57
	v_fma_f32 v26, v28, v34, -v26
	v_fma_f32 v28, v28, v36, -v35
	v_fmac_f32_e32 v25, v29, v36
	v_dual_mul_f32 v35, v50, v47 :: v_dual_mul_f32 v36, v51, v49
	v_dual_fmac_f32 v27, v29, v34 :: v_dual_mul_f32 v34, v51, v47
	v_dual_mul_f32 v88, v32, v55 :: v_dual_mul_f32 v29, v30, v49
	v_mul_f32_e32 v87, v31, v49
	v_fma_f32 v37, v30, v46, -v37
	v_add_f32_e32 v16, v16, v82
	s_delay_alu instid0(VALU_DEP_4)
	v_dual_fmac_f32 v88, v33, v54 :: v_dual_fmac_f32 v29, v31, v48
	v_fma_f32 v31, v50, v46, -v34
	v_fma_f32 v34, v50, v48, -v36
	v_mul_f32_e32 v36, v32, v57
	v_mul_f32_e32 v47, v50, v49
	v_dual_mul_f32 v50, v53, v57 :: v_dual_fmac_f32 v35, v51, v46
	v_mul_f32_e32 v46, v53, v55
	v_mul_f32_e32 v49, v33, v55
	v_fma_f32 v30, v30, v48, -v87
	v_fmac_f32_e32 v36, v33, v56
	v_dual_fmac_f32 v47, v51, v48 :: v_dual_mul_f32 v48, v52, v55
	v_mul_f32_e32 v33, v52, v57
	v_fma_f32 v46, v52, v54, -v46
	v_fma_f32 v50, v52, v56, -v50
	v_mul_f32_e32 v52, v38, v61
	v_fma_f32 v49, v32, v54, -v49
	v_fma_f32 v32, v32, v56, -v90
	v_dual_mul_f32 v51, v39, v59 :: v_dual_fmac_f32 v48, v53, v54
	v_mul_f32_e32 v54, v70, v59
	v_dual_mul_f32 v55, v38, v59 :: v_dual_fmac_f32 v52, v39, v60
	v_fmac_f32_e32 v33, v53, v56
	v_mul_f32_e32 v53, v71, v59
	v_mul_f32_e32 v56, v71, v61
	;; [unrolled: 1-line block ×3, first 2 shown]
	v_fmac_f32_e32 v54, v71, v58
	v_fmac_f32_e32 v55, v39, v58
	v_fma_f32 v39, v70, v58, -v53
	v_fma_f32 v53, v70, v60, -v56
	v_mul_f32_e32 v56, v40, v65
	v_mul_f32_e32 v59, v70, v61
	v_fma_f32 v51, v38, v58, -v51
	v_mul_f32_e32 v58, v72, v63
	v_mul_f32_e32 v87, v40, v63
	;; [unrolled: 1-line block ×4, first 2 shown]
	v_fma_f32 v38, v38, v60, -v57
	v_mul_f32_e32 v57, v73, v63
	v_fmac_f32_e32 v56, v41, v64
	v_dual_fmac_f32 v59, v71, v60 :: v_dual_mul_f32 v60, v73, v65
	v_mul_f32_e32 v63, v43, v67
	v_mul_f32_e32 v70, v43, v69
	v_fmac_f32_e32 v58, v73, v62
	v_fmac_f32_e32 v87, v41, v62
	v_mul_f32_e32 v41, v72, v65
	v_fma_f32 v61, v40, v62, -v61
	v_fma_f32 v40, v40, v64, -v90
	v_mul_f32_e32 v65, v42, v67
	v_fma_f32 v57, v72, v62, -v57
	v_fma_f32 v60, v72, v64, -v60
	v_dual_fmac_f32 v41, v73, v64 :: v_dual_mul_f32 v62, v42, v69
	v_mul_f32_e32 v64, v75, v67
	v_fma_f32 v63, v42, v66, -v63
	v_fma_f32 v42, v42, v68, -v70
	v_mul_f32_e32 v70, v76, v79
	v_mul_f32_e32 v67, v74, v67
	;; [unrolled: 1-line block ×3, first 2 shown]
	v_dual_mul_f32 v69, v74, v69 :: v_dual_add_f32 v8, v8, v19
	v_mul_f32_e32 v73, v44, v79
	v_dual_fmac_f32 v65, v43, v66 :: v_dual_add_f32 v16, v16, v84
	v_fmac_f32_e32 v62, v43, v68
	v_fma_f32 v43, v74, v66, -v64
	v_fmac_f32_e32 v70, v77, v78
	v_dual_fmac_f32 v67, v75, v66 :: v_dual_add_f32 v8, v8, v27
	v_mul_f32_e32 v66, v44, v81
	v_mul_f32_e32 v72, v45, v79
	v_dual_mul_f32 v90, v45, v81 :: v_dual_fmac_f32 v69, v75, v68
	v_add_f32_e32 v0, v0, v18
	v_dual_fmac_f32 v73, v45, v78 :: v_dual_add_f32 v16, v16, v37
	v_dual_fmac_f32 v66, v45, v80 :: v_dual_mul_f32 v45, v76, v81
	v_fma_f32 v64, v74, v68, -v71
	s_delay_alu instid0(VALU_DEP_4) | instskip(NEXT) | instid1(VALU_DEP_3)
	v_dual_mul_f32 v71, v77, v81 :: v_dual_add_f32 v0, v0, v28
	v_dual_add_f32 v8, v8, v35 :: v_dual_fmac_f32 v45, v77, v80
	v_add_f32_e32 v17, v17, v83
	v_dual_add_f32 v11, v11, v22 :: v_dual_add_f32 v16, v16, v49
	s_delay_alu instid0(VALU_DEP_3) | instskip(SKIP_1) | instid1(VALU_DEP_3)
	v_dual_add_f32 v13, v13, v85 :: v_dual_add_f32 v8, v8, v48
	v_dual_add_f32 v0, v0, v34 :: v_dual_add_f32 v9, v9, v23
	;; [unrolled: 1-line block ×3, first 2 shown]
	s_delay_alu instid0(VALU_DEP_3) | instskip(NEXT) | instid1(VALU_DEP_3)
	v_dual_add_f32 v17, v17, v89 :: v_dual_add_f32 v8, v8, v54
	v_dual_add_f32 v0, v0, v50 :: v_dual_add_f32 v11, v11, v24
	s_delay_alu instid0(VALU_DEP_3) | instskip(NEXT) | instid1(VALU_DEP_3)
	v_dual_add_f32 v13, v13, v20 :: v_dual_add_f32 v16, v16, v61
	v_dual_add_f32 v1, v1, v25 :: v_dual_add_f32 v8, v8, v58
	s_delay_alu instid0(VALU_DEP_3) | instskip(SKIP_1) | instid1(VALU_DEP_4)
	v_dual_add_f32 v0, v0, v53 :: v_dual_add_f32 v9, v9, v26
	v_fma_f32 v72, v44, v78, -v72
	v_dual_add_f32 v17, v17, v86 :: v_dual_add_f32 v16, v16, v63
	s_delay_alu instid0(VALU_DEP_4) | instskip(NEXT) | instid1(VALU_DEP_4)
	v_dual_add_f32 v11, v11, v30 :: v_dual_add_f32 v8, v8, v67
	v_dual_add_f32 v1, v1, v47 :: v_dual_add_f32 v0, v0, v60
	v_add_f32_e32 v13, v13, v29
	s_delay_alu instid0(VALU_DEP_4)
	v_dual_add_f32 v9, v9, v31 :: v_dual_add_f32 v16, v16, v72
	v_fma_f32 v71, v76, v80, -v71
	v_add_f32_e32 v11, v11, v32
	v_add_f32_e32 v0, v0, v64
	;; [unrolled: 1-line block ×6, first 2 shown]
	v_dual_add_f32 v0, v0, v71 :: v_dual_add_f32 v1, v1, v33
	v_add_f32_e32 v17, v17, v55
	v_add_f32_e32 v11, v11, v38
	;; [unrolled: 1-line block ×5, first 2 shown]
	v_mul_f32_e32 v68, v77, v79
	v_add_f32_e32 v17, v17, v87
	v_add_f32_e32 v11, v11, v40
	;; [unrolled: 1-line block ×5, first 2 shown]
	v_fma_f32 v44, v44, v80, -v90
	v_fma_f32 v68, v76, v78, -v68
	v_add_f32_e32 v17, v17, v65
	v_add_f32_e32 v11, v11, v42
	;; [unrolled: 1-line block ×10, first 2 shown]
	s_cbranch_scc0 .LBB642_2
.LBB642_3:
	s_waitcnt lgkmcnt(0)
	s_load_b32 s6, s[0:1], 0x50
	v_add_nc_u32_e32 v7, s12, v7
	v_add_nc_u32_e32 v2, s10, v6
	s_delay_alu instid0(VALU_DEP_1) | instskip(SKIP_1) | instid1(VALU_DEP_2)
	v_cmp_le_i32_e64 s0, v7, v2
	v_cmp_gt_i32_e32 vcc_lo, s8, v2
	s_and_b32 s0, s0, vcc_lo
	s_waitcnt lgkmcnt(0)
	v_mad_i64_i32 v[3:4], null, v7, s6, 0
	s_delay_alu instid0(VALU_DEP_1) | instskip(NEXT) | instid1(VALU_DEP_1)
	v_lshlrev_b64 v[3:4], 3, v[3:4]
	v_add_co_u32 v6, s1, s2, v3
	s_delay_alu instid0(VALU_DEP_1)
	v_add_co_ci_u32_e64 v10, s1, s3, v4, s1
	s_and_saveexec_b32 s1, s0
	s_cbranch_execz .LBB642_5
; %bb.4:
	v_ashrrev_i32_e32 v3, 31, v2
	v_mul_f32_e32 v4, s4, v17
	v_mul_f32_e32 v5, s5, v17
	s_delay_alu instid0(VALU_DEP_3) | instskip(NEXT) | instid1(VALU_DEP_3)
	v_lshlrev_b64 v[14:15], 3, v[2:3]
	v_fmac_f32_e32 v4, s5, v16
	s_delay_alu instid0(VALU_DEP_3) | instskip(NEXT) | instid1(VALU_DEP_3)
	v_fma_f32 v3, v16, s4, -v5
	v_add_co_u32 v14, s0, v6, v14
	s_delay_alu instid0(VALU_DEP_1)
	v_add_co_ci_u32_e64 v15, s0, v10, v15, s0
	global_store_b64 v[14:15], v[3:4], off
.LBB642_5:
	s_or_b32 exec_lo, exec_lo, s1
	v_add_nc_u32_e32 v4, 16, v2
	s_delay_alu instid0(VALU_DEP_1) | instskip(SKIP_1) | instid1(VALU_DEP_1)
	v_cmp_le_i32_e64 s1, v7, v4
	v_cmp_gt_i32_e64 s0, s8, v4
	s_and_b32 s1, s1, s0
	s_delay_alu instid0(SALU_CYCLE_1)
	s_and_saveexec_b32 s7, s1
	s_cbranch_execz .LBB642_7
; %bb.6:
	v_ashrrev_i32_e32 v5, 31, v4
	v_mul_f32_e32 v3, s5, v13
	v_mul_f32_e32 v13, s4, v13
	s_delay_alu instid0(VALU_DEP_3) | instskip(NEXT) | instid1(VALU_DEP_3)
	v_lshlrev_b64 v[14:15], 3, v[4:5]
	v_fma_f32 v12, v11, s4, -v3
	s_delay_alu instid0(VALU_DEP_3) | instskip(NEXT) | instid1(VALU_DEP_3)
	v_fmac_f32_e32 v13, s5, v11
	v_add_co_u32 v5, s1, v6, v14
	s_delay_alu instid0(VALU_DEP_1)
	v_add_co_ci_u32_e64 v6, s1, v10, v15, s1
	global_store_b64 v[5:6], v[12:13], off
.LBB642_7:
	s_or_b32 exec_lo, exec_lo, s7
	v_add_nc_u32_e32 v5, 16, v7
	s_delay_alu instid0(VALU_DEP_1) | instskip(SKIP_1) | instid1(VALU_DEP_2)
	v_mad_i64_i32 v[6:7], null, v5, s6, 0
	v_cmp_le_i32_e64 s1, v5, v2
	v_lshlrev_b64 v[6:7], 3, v[6:7]
	s_delay_alu instid0(VALU_DEP_1) | instskip(NEXT) | instid1(VALU_DEP_1)
	v_add_co_u32 v6, s2, s2, v6
	v_add_co_ci_u32_e64 v7, s2, s3, v7, s2
	s_delay_alu instid0(VALU_DEP_4) | instskip(NEXT) | instid1(SALU_CYCLE_1)
	s_and_b32 s2, s1, vcc_lo
	s_and_saveexec_b32 s1, s2
	s_cbranch_execz .LBB642_9
; %bb.8:
	v_ashrrev_i32_e32 v3, 31, v2
	v_mul_f32_e32 v11, s4, v8
	v_mul_f32_e32 v10, s5, v8
	s_delay_alu instid0(VALU_DEP_3) | instskip(NEXT) | instid1(VALU_DEP_3)
	v_lshlrev_b64 v[2:3], 3, v[2:3]
	v_fmac_f32_e32 v11, s5, v9
	s_delay_alu instid0(VALU_DEP_3) | instskip(NEXT) | instid1(VALU_DEP_3)
	v_fma_f32 v10, v9, s4, -v10
	v_add_co_u32 v2, vcc_lo, v6, v2
	s_delay_alu instid0(VALU_DEP_4)
	v_add_co_ci_u32_e32 v3, vcc_lo, v7, v3, vcc_lo
	global_store_b64 v[2:3], v[10:11], off
.LBB642_9:
	s_or_b32 exec_lo, exec_lo, s1
	v_cmp_le_i32_e32 vcc_lo, v5, v4
	s_and_b32 s0, vcc_lo, s0
	s_delay_alu instid0(SALU_CYCLE_1)
	s_and_saveexec_b32 s1, s0
	s_cbranch_execz .LBB642_11
; %bb.10:
	v_ashrrev_i32_e32 v5, 31, v4
	v_mul_f32_e32 v8, s5, v1
	v_mul_f32_e32 v2, s4, v1
	s_delay_alu instid0(VALU_DEP_3) | instskip(NEXT) | instid1(VALU_DEP_3)
	v_lshlrev_b64 v[3:4], 3, v[4:5]
	v_fma_f32 v1, v0, s4, -v8
	s_delay_alu instid0(VALU_DEP_3) | instskip(NEXT) | instid1(VALU_DEP_3)
	v_fmac_f32_e32 v2, s5, v0
	v_add_co_u32 v3, vcc_lo, v6, v3
	s_delay_alu instid0(VALU_DEP_4)
	v_add_co_ci_u32_e32 v4, vcc_lo, v7, v4, vcc_lo
	global_store_b64 v[3:4], v[1:2], off
.LBB642_11:
	s_nop 0
	s_sendmsg sendmsg(MSG_DEALLOC_VGPRS)
	s_endpgm
	.section	.rodata,"a",@progbits
	.p2align	6, 0x0
	.amdhsa_kernel _ZL37rocblas_syrkx_herkx_restricted_kernelIi19rocblas_complex_numIfELi16ELi32ELi8ELb1ELb0ELc84ELc76EKPKS1_KPS1_EviT_T0_PT8_S7_lSA_S7_lS8_PT9_S7_li
		.amdhsa_group_segment_fixed_size 4096
		.amdhsa_private_segment_fixed_size 0
		.amdhsa_kernarg_size 100
		.amdhsa_user_sgpr_count 13
		.amdhsa_user_sgpr_dispatch_ptr 0
		.amdhsa_user_sgpr_queue_ptr 0
		.amdhsa_user_sgpr_kernarg_segment_ptr 1
		.amdhsa_user_sgpr_dispatch_id 0
		.amdhsa_user_sgpr_private_segment_size 0
		.amdhsa_wavefront_size32 1
		.amdhsa_uses_dynamic_stack 0
		.amdhsa_enable_private_segment 0
		.amdhsa_system_sgpr_workgroup_id_x 1
		.amdhsa_system_sgpr_workgroup_id_y 1
		.amdhsa_system_sgpr_workgroup_id_z 1
		.amdhsa_system_sgpr_workgroup_info 0
		.amdhsa_system_vgpr_workitem_id 1
		.amdhsa_next_free_vgpr 91
		.amdhsa_next_free_sgpr 19
		.amdhsa_reserve_vcc 1
		.amdhsa_float_round_mode_32 0
		.amdhsa_float_round_mode_16_64 0
		.amdhsa_float_denorm_mode_32 3
		.amdhsa_float_denorm_mode_16_64 3
		.amdhsa_dx10_clamp 1
		.amdhsa_ieee_mode 1
		.amdhsa_fp16_overflow 0
		.amdhsa_workgroup_processor_mode 1
		.amdhsa_memory_ordered 1
		.amdhsa_forward_progress 0
		.amdhsa_shared_vgpr_count 0
		.amdhsa_exception_fp_ieee_invalid_op 0
		.amdhsa_exception_fp_denorm_src 0
		.amdhsa_exception_fp_ieee_div_zero 0
		.amdhsa_exception_fp_ieee_overflow 0
		.amdhsa_exception_fp_ieee_underflow 0
		.amdhsa_exception_fp_ieee_inexact 0
		.amdhsa_exception_int_div_zero 0
	.end_amdhsa_kernel
	.section	.text._ZL37rocblas_syrkx_herkx_restricted_kernelIi19rocblas_complex_numIfELi16ELi32ELi8ELb1ELb0ELc84ELc76EKPKS1_KPS1_EviT_T0_PT8_S7_lSA_S7_lS8_PT9_S7_li,"axG",@progbits,_ZL37rocblas_syrkx_herkx_restricted_kernelIi19rocblas_complex_numIfELi16ELi32ELi8ELb1ELb0ELc84ELc76EKPKS1_KPS1_EviT_T0_PT8_S7_lSA_S7_lS8_PT9_S7_li,comdat
.Lfunc_end642:
	.size	_ZL37rocblas_syrkx_herkx_restricted_kernelIi19rocblas_complex_numIfELi16ELi32ELi8ELb1ELb0ELc84ELc76EKPKS1_KPS1_EviT_T0_PT8_S7_lSA_S7_lS8_PT9_S7_li, .Lfunc_end642-_ZL37rocblas_syrkx_herkx_restricted_kernelIi19rocblas_complex_numIfELi16ELi32ELi8ELb1ELb0ELc84ELc76EKPKS1_KPS1_EviT_T0_PT8_S7_lSA_S7_lS8_PT9_S7_li
                                        ; -- End function
	.section	.AMDGPU.csdata,"",@progbits
; Kernel info:
; codeLenInByte = 2076
; NumSgprs: 21
; NumVgprs: 91
; ScratchSize: 0
; MemoryBound: 0
; FloatMode: 240
; IeeeMode: 1
; LDSByteSize: 4096 bytes/workgroup (compile time only)
; SGPRBlocks: 2
; VGPRBlocks: 11
; NumSGPRsForWavesPerEU: 21
; NumVGPRsForWavesPerEU: 91
; Occupancy: 16
; WaveLimiterHint : 1
; COMPUTE_PGM_RSRC2:SCRATCH_EN: 0
; COMPUTE_PGM_RSRC2:USER_SGPR: 13
; COMPUTE_PGM_RSRC2:TRAP_HANDLER: 0
; COMPUTE_PGM_RSRC2:TGID_X_EN: 1
; COMPUTE_PGM_RSRC2:TGID_Y_EN: 1
; COMPUTE_PGM_RSRC2:TGID_Z_EN: 1
; COMPUTE_PGM_RSRC2:TIDIG_COMP_CNT: 1
	.section	.text._ZL37rocblas_syrkx_herkx_restricted_kernelIi19rocblas_complex_numIfELi16ELi32ELi8ELb1ELb0ELc67ELc76EKPKS1_KPS1_EviT_T0_PT8_S7_lSA_S7_lS8_PT9_S7_li,"axG",@progbits,_ZL37rocblas_syrkx_herkx_restricted_kernelIi19rocblas_complex_numIfELi16ELi32ELi8ELb1ELb0ELc67ELc76EKPKS1_KPS1_EviT_T0_PT8_S7_lSA_S7_lS8_PT9_S7_li,comdat
	.globl	_ZL37rocblas_syrkx_herkx_restricted_kernelIi19rocblas_complex_numIfELi16ELi32ELi8ELb1ELb0ELc67ELc76EKPKS1_KPS1_EviT_T0_PT8_S7_lSA_S7_lS8_PT9_S7_li ; -- Begin function _ZL37rocblas_syrkx_herkx_restricted_kernelIi19rocblas_complex_numIfELi16ELi32ELi8ELb1ELb0ELc67ELc76EKPKS1_KPS1_EviT_T0_PT8_S7_lSA_S7_lS8_PT9_S7_li
	.p2align	8
	.type	_ZL37rocblas_syrkx_herkx_restricted_kernelIi19rocblas_complex_numIfELi16ELi32ELi8ELb1ELb0ELc67ELc76EKPKS1_KPS1_EviT_T0_PT8_S7_lSA_S7_lS8_PT9_S7_li,@function
_ZL37rocblas_syrkx_herkx_restricted_kernelIi19rocblas_complex_numIfELi16ELi32ELi8ELb1ELb0ELc67ELc76EKPKS1_KPS1_EviT_T0_PT8_S7_lSA_S7_lS8_PT9_S7_li: ; @_ZL37rocblas_syrkx_herkx_restricted_kernelIi19rocblas_complex_numIfELi16ELi32ELi8ELb1ELb0ELc67ELc76EKPKS1_KPS1_EviT_T0_PT8_S7_lSA_S7_lS8_PT9_S7_li
; %bb.0:
	s_clause 0x1
	s_load_b64 s[2:3], s[0:1], 0x48
	s_load_b64 s[8:9], s[0:1], 0x0
	s_mov_b32 s10, s15
	s_mov_b32 s11, 0
	v_dual_mov_b32 v17, 0 :: v_dual_and_b32 v6, 0x3ff, v0
	s_lshl_b64 s[16:17], s[10:11], 3
	v_bfe_u32 v7, v0, 10, 10
	v_dual_mov_b32 v16, 0 :: v_dual_mov_b32 v11, 0
	v_dual_mov_b32 v13, 0 :: v_dual_mov_b32 v8, 0
	;; [unrolled: 1-line block ×3, first 2 shown]
	v_mov_b32_e32 v1, 0
	s_waitcnt lgkmcnt(0)
	s_add_u32 s2, s2, s16
	s_addc_u32 s3, s3, s17
	s_load_b128 s[4:7], s[0:1], 0x8
	s_load_b64 s[2:3], s[2:3], 0x0
	s_lshl_b32 s10, s13, 5
	s_lshl_b32 s12, s14, 5
	s_cmp_lt_i32 s9, 1
	s_cbranch_scc1 .LBB643_3
; %bb.1:
	s_clause 0x2
	s_load_b64 s[14:15], s[0:1], 0x28
	s_load_b32 s13, s[0:1], 0x18
	s_load_b32 s18, s[0:1], 0x30
	v_lshl_add_u32 v2, v7, 4, v6
	v_dual_mov_b32 v1, 0 :: v_dual_and_b32 v0, 7, v6
	v_lshlrev_b32_e32 v10, 3, v6
	s_waitcnt lgkmcnt(0)
	s_add_u32 s6, s6, s16
	v_and_b32_e32 v8, 31, v2
	v_lshrrev_b32_e32 v9, 3, v2
	v_lshrrev_b32_e32 v2, 5, v2
	v_mov_b32_e32 v3, v1
	s_addc_u32 s7, s7, s17
	v_add_nc_u32_e32 v11, s10, v8
	s_load_b64 s[6:7], s[6:7], 0x0
	v_add_nc_u32_e32 v13, s12, v9
	v_lshl_add_u32 v12, v7, 6, 0x800
	s_add_u32 s14, s14, s16
	v_mad_i64_i32 v[4:5], null, s13, v11, v[2:3]
	v_lshlrev_b32_e32 v3, 3, v0
	s_addc_u32 s15, s15, s17
	s_load_b64 s[14:15], s[14:15], 0x0
	s_delay_alu instid0(VALU_DEP_1) | instskip(NEXT) | instid1(VALU_DEP_3)
	v_lshl_or_b32 v9, v9, 6, v3
	v_lshlrev_b64 v[3:4], 3, v[4:5]
	s_delay_alu instid0(VALU_DEP_2) | instskip(SKIP_4) | instid1(VALU_DEP_3)
	v_add_nc_u32_e32 v15, 0x800, v9
	v_mov_b32_e32 v9, v1
	v_dual_mov_b32 v8, v1 :: v_dual_lshlrev_b32 v11, 3, v8
	v_mad_i64_i32 v[16:17], null, s18, v13, v[0:1]
	v_mov_b32_e32 v0, v1
	v_lshl_or_b32 v14, v2, 8, v11
	s_waitcnt lgkmcnt(0)
	v_add_co_u32 v2, vcc_lo, v3, s6
	v_add_co_ci_u32_e32 v3, vcc_lo, s7, v4, vcc_lo
	v_lshlrev_b64 v[16:17], 3, v[16:17]
	v_mov_b32_e32 v13, v1
	v_mov_b32_e32 v11, v1
	s_delay_alu instid0(VALU_DEP_3)
	v_add_co_u32 v4, vcc_lo, v16, s14
	v_mov_b32_e32 v16, v1
	v_add_co_ci_u32_e32 v5, vcc_lo, s15, v17, vcc_lo
	v_add_co_u32 v2, vcc_lo, v2, 4
	v_add_co_ci_u32_e32 v3, vcc_lo, 0, v3, vcc_lo
	v_add_co_u32 v4, vcc_lo, v4, 4
	s_delay_alu instid0(VALU_DEP_4)
	v_add_co_ci_u32_e32 v5, vcc_lo, 0, v5, vcc_lo
	v_mov_b32_e32 v17, v1
.LBB643_2:                              ; =>This Inner Loop Header: Depth=1
	global_load_b64 v[18:19], v[2:3], off offset:-4
	global_load_b64 v[20:21], v[4:5], off offset:-4
	v_add_co_u32 v2, vcc_lo, v2, 64
	v_add_co_ci_u32_e32 v3, vcc_lo, 0, v3, vcc_lo
	v_add_co_u32 v4, vcc_lo, v4, 64
	v_add_co_ci_u32_e32 v5, vcc_lo, 0, v5, vcc_lo
	s_add_i32 s11, s11, 8
	s_waitcnt vmcnt(1)
	ds_store_b64 v14, v[18:19]
	s_waitcnt vmcnt(0)
	ds_store_b64 v15, v[20:21]
	s_waitcnt lgkmcnt(0)
	s_barrier
	buffer_gl0_inv
	ds_load_2addr_b64 v[18:21], v10 offset1:16
	ds_load_b128 v[22:25], v12
	ds_load_b128 v[26:29], v12 offset:1024
	ds_load_b128 v[30:33], v12 offset:16
	ds_load_2addr_b64 v[34:37], v10 offset0:32 offset1:48
	ds_load_b128 v[38:41], v12 offset:32
	ds_load_b128 v[42:45], v12 offset:48
	ds_load_2addr_b64 v[46:49], v10 offset0:64 offset1:80
	ds_load_b128 v[50:53], v12 offset:1040
	ds_load_2addr_b64 v[54:57], v10 offset0:96 offset1:112
	ds_load_2addr_b64 v[58:61], v10 offset0:128 offset1:144
	;; [unrolled: 1-line block ×4, first 2 shown]
	ds_load_b128 v[70:73], v12 offset:1056
	ds_load_b128 v[74:77], v12 offset:1072
	ds_load_2addr_b64 v[78:81], v10 offset0:224 offset1:240
	s_cmp_ge_i32 s11, s9
	s_waitcnt lgkmcnt(0)
	s_barrier
	buffer_gl0_inv
	v_dual_mul_f32 v82, v23, v19 :: v_dual_mul_f32 v85, v22, v21
	v_dual_mul_f32 v83, v22, v19 :: v_dual_mul_f32 v84, v23, v21
	v_mul_f32_e32 v86, v27, v19
	v_dual_mul_f32 v19, v26, v19 :: v_dual_mul_f32 v90, v25, v37
	v_dual_mul_f32 v87, v27, v21 :: v_dual_mul_f32 v88, v25, v35
	v_mul_f32_e32 v21, v26, v21
	v_fma_f32 v82, v22, v18, -v82
	v_fmac_f32_e32 v83, v23, v18
	v_fma_f32 v22, v22, v20, -v84
	v_fmac_f32_e32 v85, v23, v20
	v_fma_f32 v23, v26, v18, -v86
	v_dual_fmac_f32 v19, v27, v18 :: v_dual_mul_f32 v86, v30, v47
	v_fma_f32 v18, v26, v20, -v87
	v_dual_fmac_f32 v21, v27, v20 :: v_dual_mul_f32 v20, v24, v37
	v_mul_f32_e32 v89, v24, v35
	v_mul_f32_e32 v26, v29, v35
	;; [unrolled: 1-line block ×4, first 2 shown]
	v_fmac_f32_e32 v20, v25, v36
	v_fmac_f32_e32 v89, v25, v34
	v_dual_mul_f32 v25, v28, v37 :: v_dual_fmac_f32 v86, v31, v46
	v_fma_f32 v84, v24, v34, -v88
	v_fma_f32 v24, v24, v36, -v90
	v_dual_mul_f32 v37, v31, v47 :: v_dual_mul_f32 v90, v33, v57
	v_fma_f32 v26, v28, v34, -v26
	v_fma_f32 v28, v28, v36, -v35
	v_fmac_f32_e32 v25, v29, v36
	v_dual_mul_f32 v35, v50, v47 :: v_dual_mul_f32 v36, v51, v49
	v_dual_fmac_f32 v27, v29, v34 :: v_dual_mul_f32 v34, v51, v47
	v_dual_mul_f32 v88, v32, v55 :: v_dual_mul_f32 v29, v30, v49
	v_mul_f32_e32 v87, v31, v49
	v_fma_f32 v37, v30, v46, -v37
	v_add_f32_e32 v16, v16, v82
	s_delay_alu instid0(VALU_DEP_4)
	v_dual_fmac_f32 v88, v33, v54 :: v_dual_fmac_f32 v29, v31, v48
	v_fma_f32 v31, v50, v46, -v34
	v_fma_f32 v34, v50, v48, -v36
	v_mul_f32_e32 v36, v32, v57
	v_mul_f32_e32 v47, v50, v49
	v_dual_mul_f32 v50, v53, v57 :: v_dual_fmac_f32 v35, v51, v46
	v_mul_f32_e32 v46, v53, v55
	v_mul_f32_e32 v49, v33, v55
	v_fma_f32 v30, v30, v48, -v87
	v_fmac_f32_e32 v36, v33, v56
	v_dual_fmac_f32 v47, v51, v48 :: v_dual_mul_f32 v48, v52, v55
	v_mul_f32_e32 v33, v52, v57
	v_fma_f32 v46, v52, v54, -v46
	v_fma_f32 v50, v52, v56, -v50
	v_mul_f32_e32 v52, v38, v61
	v_fma_f32 v49, v32, v54, -v49
	v_fma_f32 v32, v32, v56, -v90
	v_dual_mul_f32 v51, v39, v59 :: v_dual_fmac_f32 v48, v53, v54
	v_mul_f32_e32 v54, v70, v59
	v_dual_mul_f32 v55, v38, v59 :: v_dual_fmac_f32 v52, v39, v60
	v_fmac_f32_e32 v33, v53, v56
	v_mul_f32_e32 v53, v71, v59
	v_mul_f32_e32 v56, v71, v61
	;; [unrolled: 1-line block ×3, first 2 shown]
	v_fmac_f32_e32 v54, v71, v58
	v_fmac_f32_e32 v55, v39, v58
	v_fma_f32 v39, v70, v58, -v53
	v_fma_f32 v53, v70, v60, -v56
	v_mul_f32_e32 v56, v40, v65
	v_mul_f32_e32 v59, v70, v61
	v_fma_f32 v51, v38, v58, -v51
	v_mul_f32_e32 v58, v72, v63
	v_mul_f32_e32 v87, v40, v63
	;; [unrolled: 1-line block ×4, first 2 shown]
	v_fma_f32 v38, v38, v60, -v57
	v_mul_f32_e32 v57, v73, v63
	v_fmac_f32_e32 v56, v41, v64
	v_dual_fmac_f32 v59, v71, v60 :: v_dual_mul_f32 v60, v73, v65
	v_mul_f32_e32 v63, v43, v67
	v_mul_f32_e32 v70, v43, v69
	v_fmac_f32_e32 v58, v73, v62
	v_fmac_f32_e32 v87, v41, v62
	v_mul_f32_e32 v41, v72, v65
	v_fma_f32 v61, v40, v62, -v61
	v_fma_f32 v40, v40, v64, -v90
	v_mul_f32_e32 v65, v42, v67
	v_fma_f32 v57, v72, v62, -v57
	v_fma_f32 v60, v72, v64, -v60
	v_dual_fmac_f32 v41, v73, v64 :: v_dual_mul_f32 v62, v42, v69
	v_mul_f32_e32 v64, v75, v67
	v_fma_f32 v63, v42, v66, -v63
	v_fma_f32 v42, v42, v68, -v70
	v_mul_f32_e32 v70, v76, v79
	v_mul_f32_e32 v67, v74, v67
	;; [unrolled: 1-line block ×3, first 2 shown]
	v_dual_mul_f32 v69, v74, v69 :: v_dual_add_f32 v8, v8, v19
	v_mul_f32_e32 v73, v44, v79
	v_dual_fmac_f32 v65, v43, v66 :: v_dual_add_f32 v16, v16, v84
	v_fmac_f32_e32 v62, v43, v68
	v_fma_f32 v43, v74, v66, -v64
	v_fmac_f32_e32 v70, v77, v78
	v_dual_fmac_f32 v67, v75, v66 :: v_dual_add_f32 v8, v8, v27
	v_mul_f32_e32 v66, v44, v81
	v_mul_f32_e32 v72, v45, v79
	v_dual_mul_f32 v90, v45, v81 :: v_dual_fmac_f32 v69, v75, v68
	v_add_f32_e32 v0, v0, v18
	v_dual_fmac_f32 v73, v45, v78 :: v_dual_add_f32 v16, v16, v37
	v_dual_fmac_f32 v66, v45, v80 :: v_dual_mul_f32 v45, v76, v81
	v_fma_f32 v64, v74, v68, -v71
	s_delay_alu instid0(VALU_DEP_4) | instskip(NEXT) | instid1(VALU_DEP_3)
	v_dual_mul_f32 v71, v77, v81 :: v_dual_add_f32 v0, v0, v28
	v_dual_add_f32 v8, v8, v35 :: v_dual_fmac_f32 v45, v77, v80
	v_add_f32_e32 v17, v17, v83
	v_dual_add_f32 v11, v11, v22 :: v_dual_add_f32 v16, v16, v49
	s_delay_alu instid0(VALU_DEP_3) | instskip(SKIP_1) | instid1(VALU_DEP_3)
	v_dual_add_f32 v13, v13, v85 :: v_dual_add_f32 v8, v8, v48
	v_dual_add_f32 v0, v0, v34 :: v_dual_add_f32 v9, v9, v23
	;; [unrolled: 1-line block ×3, first 2 shown]
	s_delay_alu instid0(VALU_DEP_3) | instskip(NEXT) | instid1(VALU_DEP_3)
	v_dual_add_f32 v17, v17, v89 :: v_dual_add_f32 v8, v8, v54
	v_dual_add_f32 v0, v0, v50 :: v_dual_add_f32 v11, v11, v24
	s_delay_alu instid0(VALU_DEP_3) | instskip(NEXT) | instid1(VALU_DEP_3)
	v_dual_add_f32 v13, v13, v20 :: v_dual_add_f32 v16, v16, v61
	v_dual_add_f32 v1, v1, v25 :: v_dual_add_f32 v8, v8, v58
	s_delay_alu instid0(VALU_DEP_3) | instskip(SKIP_1) | instid1(VALU_DEP_4)
	v_dual_add_f32 v0, v0, v53 :: v_dual_add_f32 v9, v9, v26
	v_fma_f32 v72, v44, v78, -v72
	v_dual_add_f32 v17, v17, v86 :: v_dual_add_f32 v16, v16, v63
	s_delay_alu instid0(VALU_DEP_4) | instskip(NEXT) | instid1(VALU_DEP_4)
	v_dual_add_f32 v11, v11, v30 :: v_dual_add_f32 v8, v8, v67
	v_dual_add_f32 v1, v1, v47 :: v_dual_add_f32 v0, v0, v60
	v_add_f32_e32 v13, v13, v29
	s_delay_alu instid0(VALU_DEP_4)
	v_dual_add_f32 v9, v9, v31 :: v_dual_add_f32 v16, v16, v72
	v_fma_f32 v71, v76, v80, -v71
	v_add_f32_e32 v11, v11, v32
	v_add_f32_e32 v0, v0, v64
	;; [unrolled: 1-line block ×6, first 2 shown]
	v_dual_add_f32 v0, v0, v71 :: v_dual_add_f32 v1, v1, v33
	v_add_f32_e32 v17, v17, v55
	v_add_f32_e32 v11, v11, v38
	;; [unrolled: 1-line block ×5, first 2 shown]
	v_mul_f32_e32 v68, v77, v79
	v_add_f32_e32 v17, v17, v87
	v_add_f32_e32 v11, v11, v40
	;; [unrolled: 1-line block ×5, first 2 shown]
	v_fma_f32 v44, v44, v80, -v90
	v_fma_f32 v68, v76, v78, -v68
	v_add_f32_e32 v17, v17, v65
	v_add_f32_e32 v11, v11, v42
	;; [unrolled: 1-line block ×10, first 2 shown]
	s_cbranch_scc0 .LBB643_2
.LBB643_3:
	s_waitcnt lgkmcnt(0)
	s_load_b32 s6, s[0:1], 0x50
	v_add_nc_u32_e32 v7, s12, v7
	v_add_nc_u32_e32 v2, s10, v6
	s_delay_alu instid0(VALU_DEP_1) | instskip(SKIP_1) | instid1(VALU_DEP_2)
	v_cmp_le_i32_e64 s0, v7, v2
	v_cmp_gt_i32_e32 vcc_lo, s8, v2
	s_and_b32 s0, s0, vcc_lo
	s_waitcnt lgkmcnt(0)
	v_mad_i64_i32 v[3:4], null, v7, s6, 0
	s_delay_alu instid0(VALU_DEP_1) | instskip(NEXT) | instid1(VALU_DEP_1)
	v_lshlrev_b64 v[3:4], 3, v[3:4]
	v_add_co_u32 v6, s1, s2, v3
	s_delay_alu instid0(VALU_DEP_1)
	v_add_co_ci_u32_e64 v10, s1, s3, v4, s1
	s_and_saveexec_b32 s1, s0
	s_cbranch_execz .LBB643_5
; %bb.4:
	v_ashrrev_i32_e32 v3, 31, v2
	v_mul_f32_e32 v4, s4, v17
	v_mul_f32_e32 v5, s5, v17
	s_delay_alu instid0(VALU_DEP_3) | instskip(NEXT) | instid1(VALU_DEP_3)
	v_lshlrev_b64 v[14:15], 3, v[2:3]
	v_fmac_f32_e32 v4, s5, v16
	s_delay_alu instid0(VALU_DEP_3) | instskip(NEXT) | instid1(VALU_DEP_3)
	v_fma_f32 v3, v16, s4, -v5
	v_add_co_u32 v14, s0, v6, v14
	s_delay_alu instid0(VALU_DEP_1)
	v_add_co_ci_u32_e64 v15, s0, v10, v15, s0
	global_store_b64 v[14:15], v[3:4], off
.LBB643_5:
	s_or_b32 exec_lo, exec_lo, s1
	v_add_nc_u32_e32 v4, 16, v2
	s_delay_alu instid0(VALU_DEP_1) | instskip(SKIP_1) | instid1(VALU_DEP_1)
	v_cmp_le_i32_e64 s1, v7, v4
	v_cmp_gt_i32_e64 s0, s8, v4
	s_and_b32 s1, s1, s0
	s_delay_alu instid0(SALU_CYCLE_1)
	s_and_saveexec_b32 s7, s1
	s_cbranch_execz .LBB643_7
; %bb.6:
	v_ashrrev_i32_e32 v5, 31, v4
	v_mul_f32_e32 v3, s5, v13
	v_mul_f32_e32 v13, s4, v13
	s_delay_alu instid0(VALU_DEP_3) | instskip(NEXT) | instid1(VALU_DEP_3)
	v_lshlrev_b64 v[14:15], 3, v[4:5]
	v_fma_f32 v12, v11, s4, -v3
	s_delay_alu instid0(VALU_DEP_3) | instskip(NEXT) | instid1(VALU_DEP_3)
	v_fmac_f32_e32 v13, s5, v11
	v_add_co_u32 v5, s1, v6, v14
	s_delay_alu instid0(VALU_DEP_1)
	v_add_co_ci_u32_e64 v6, s1, v10, v15, s1
	global_store_b64 v[5:6], v[12:13], off
.LBB643_7:
	s_or_b32 exec_lo, exec_lo, s7
	v_add_nc_u32_e32 v5, 16, v7
	s_delay_alu instid0(VALU_DEP_1) | instskip(SKIP_1) | instid1(VALU_DEP_2)
	v_mad_i64_i32 v[6:7], null, v5, s6, 0
	v_cmp_le_i32_e64 s1, v5, v2
	v_lshlrev_b64 v[6:7], 3, v[6:7]
	s_delay_alu instid0(VALU_DEP_1) | instskip(NEXT) | instid1(VALU_DEP_1)
	v_add_co_u32 v6, s2, s2, v6
	v_add_co_ci_u32_e64 v7, s2, s3, v7, s2
	s_delay_alu instid0(VALU_DEP_4) | instskip(NEXT) | instid1(SALU_CYCLE_1)
	s_and_b32 s2, s1, vcc_lo
	s_and_saveexec_b32 s1, s2
	s_cbranch_execz .LBB643_9
; %bb.8:
	v_ashrrev_i32_e32 v3, 31, v2
	v_mul_f32_e32 v11, s4, v8
	v_mul_f32_e32 v10, s5, v8
	s_delay_alu instid0(VALU_DEP_3) | instskip(NEXT) | instid1(VALU_DEP_3)
	v_lshlrev_b64 v[2:3], 3, v[2:3]
	v_fmac_f32_e32 v11, s5, v9
	s_delay_alu instid0(VALU_DEP_3) | instskip(NEXT) | instid1(VALU_DEP_3)
	v_fma_f32 v10, v9, s4, -v10
	v_add_co_u32 v2, vcc_lo, v6, v2
	s_delay_alu instid0(VALU_DEP_4)
	v_add_co_ci_u32_e32 v3, vcc_lo, v7, v3, vcc_lo
	global_store_b64 v[2:3], v[10:11], off
.LBB643_9:
	s_or_b32 exec_lo, exec_lo, s1
	v_cmp_le_i32_e32 vcc_lo, v5, v4
	s_and_b32 s0, vcc_lo, s0
	s_delay_alu instid0(SALU_CYCLE_1)
	s_and_saveexec_b32 s1, s0
	s_cbranch_execz .LBB643_11
; %bb.10:
	v_ashrrev_i32_e32 v5, 31, v4
	v_mul_f32_e32 v8, s5, v1
	v_mul_f32_e32 v2, s4, v1
	s_delay_alu instid0(VALU_DEP_3) | instskip(NEXT) | instid1(VALU_DEP_3)
	v_lshlrev_b64 v[3:4], 3, v[4:5]
	v_fma_f32 v1, v0, s4, -v8
	s_delay_alu instid0(VALU_DEP_3) | instskip(NEXT) | instid1(VALU_DEP_3)
	v_fmac_f32_e32 v2, s5, v0
	v_add_co_u32 v3, vcc_lo, v6, v3
	s_delay_alu instid0(VALU_DEP_4)
	v_add_co_ci_u32_e32 v4, vcc_lo, v7, v4, vcc_lo
	global_store_b64 v[3:4], v[1:2], off
.LBB643_11:
	s_nop 0
	s_sendmsg sendmsg(MSG_DEALLOC_VGPRS)
	s_endpgm
	.section	.rodata,"a",@progbits
	.p2align	6, 0x0
	.amdhsa_kernel _ZL37rocblas_syrkx_herkx_restricted_kernelIi19rocblas_complex_numIfELi16ELi32ELi8ELb1ELb0ELc67ELc76EKPKS1_KPS1_EviT_T0_PT8_S7_lSA_S7_lS8_PT9_S7_li
		.amdhsa_group_segment_fixed_size 4096
		.amdhsa_private_segment_fixed_size 0
		.amdhsa_kernarg_size 100
		.amdhsa_user_sgpr_count 13
		.amdhsa_user_sgpr_dispatch_ptr 0
		.amdhsa_user_sgpr_queue_ptr 0
		.amdhsa_user_sgpr_kernarg_segment_ptr 1
		.amdhsa_user_sgpr_dispatch_id 0
		.amdhsa_user_sgpr_private_segment_size 0
		.amdhsa_wavefront_size32 1
		.amdhsa_uses_dynamic_stack 0
		.amdhsa_enable_private_segment 0
		.amdhsa_system_sgpr_workgroup_id_x 1
		.amdhsa_system_sgpr_workgroup_id_y 1
		.amdhsa_system_sgpr_workgroup_id_z 1
		.amdhsa_system_sgpr_workgroup_info 0
		.amdhsa_system_vgpr_workitem_id 1
		.amdhsa_next_free_vgpr 91
		.amdhsa_next_free_sgpr 19
		.amdhsa_reserve_vcc 1
		.amdhsa_float_round_mode_32 0
		.amdhsa_float_round_mode_16_64 0
		.amdhsa_float_denorm_mode_32 3
		.amdhsa_float_denorm_mode_16_64 3
		.amdhsa_dx10_clamp 1
		.amdhsa_ieee_mode 1
		.amdhsa_fp16_overflow 0
		.amdhsa_workgroup_processor_mode 1
		.amdhsa_memory_ordered 1
		.amdhsa_forward_progress 0
		.amdhsa_shared_vgpr_count 0
		.amdhsa_exception_fp_ieee_invalid_op 0
		.amdhsa_exception_fp_denorm_src 0
		.amdhsa_exception_fp_ieee_div_zero 0
		.amdhsa_exception_fp_ieee_overflow 0
		.amdhsa_exception_fp_ieee_underflow 0
		.amdhsa_exception_fp_ieee_inexact 0
		.amdhsa_exception_int_div_zero 0
	.end_amdhsa_kernel
	.section	.text._ZL37rocblas_syrkx_herkx_restricted_kernelIi19rocblas_complex_numIfELi16ELi32ELi8ELb1ELb0ELc67ELc76EKPKS1_KPS1_EviT_T0_PT8_S7_lSA_S7_lS8_PT9_S7_li,"axG",@progbits,_ZL37rocblas_syrkx_herkx_restricted_kernelIi19rocblas_complex_numIfELi16ELi32ELi8ELb1ELb0ELc67ELc76EKPKS1_KPS1_EviT_T0_PT8_S7_lSA_S7_lS8_PT9_S7_li,comdat
.Lfunc_end643:
	.size	_ZL37rocblas_syrkx_herkx_restricted_kernelIi19rocblas_complex_numIfELi16ELi32ELi8ELb1ELb0ELc67ELc76EKPKS1_KPS1_EviT_T0_PT8_S7_lSA_S7_lS8_PT9_S7_li, .Lfunc_end643-_ZL37rocblas_syrkx_herkx_restricted_kernelIi19rocblas_complex_numIfELi16ELi32ELi8ELb1ELb0ELc67ELc76EKPKS1_KPS1_EviT_T0_PT8_S7_lSA_S7_lS8_PT9_S7_li
                                        ; -- End function
	.section	.AMDGPU.csdata,"",@progbits
; Kernel info:
; codeLenInByte = 2076
; NumSgprs: 21
; NumVgprs: 91
; ScratchSize: 0
; MemoryBound: 0
; FloatMode: 240
; IeeeMode: 1
; LDSByteSize: 4096 bytes/workgroup (compile time only)
; SGPRBlocks: 2
; VGPRBlocks: 11
; NumSGPRsForWavesPerEU: 21
; NumVGPRsForWavesPerEU: 91
; Occupancy: 16
; WaveLimiterHint : 1
; COMPUTE_PGM_RSRC2:SCRATCH_EN: 0
; COMPUTE_PGM_RSRC2:USER_SGPR: 13
; COMPUTE_PGM_RSRC2:TRAP_HANDLER: 0
; COMPUTE_PGM_RSRC2:TGID_X_EN: 1
; COMPUTE_PGM_RSRC2:TGID_Y_EN: 1
; COMPUTE_PGM_RSRC2:TGID_Z_EN: 1
; COMPUTE_PGM_RSRC2:TIDIG_COMP_CNT: 1
	.section	.text._ZL37rocblas_syrkx_herkx_restricted_kernelIi19rocblas_complex_numIfELi16ELi32ELi8ELb1ELb0ELc78ELc76EKPKS1_KPS1_EviT_T0_PT8_S7_lSA_S7_lS8_PT9_S7_li,"axG",@progbits,_ZL37rocblas_syrkx_herkx_restricted_kernelIi19rocblas_complex_numIfELi16ELi32ELi8ELb1ELb0ELc78ELc76EKPKS1_KPS1_EviT_T0_PT8_S7_lSA_S7_lS8_PT9_S7_li,comdat
	.globl	_ZL37rocblas_syrkx_herkx_restricted_kernelIi19rocblas_complex_numIfELi16ELi32ELi8ELb1ELb0ELc78ELc76EKPKS1_KPS1_EviT_T0_PT8_S7_lSA_S7_lS8_PT9_S7_li ; -- Begin function _ZL37rocblas_syrkx_herkx_restricted_kernelIi19rocblas_complex_numIfELi16ELi32ELi8ELb1ELb0ELc78ELc76EKPKS1_KPS1_EviT_T0_PT8_S7_lSA_S7_lS8_PT9_S7_li
	.p2align	8
	.type	_ZL37rocblas_syrkx_herkx_restricted_kernelIi19rocblas_complex_numIfELi16ELi32ELi8ELb1ELb0ELc78ELc76EKPKS1_KPS1_EviT_T0_PT8_S7_lSA_S7_lS8_PT9_S7_li,@function
_ZL37rocblas_syrkx_herkx_restricted_kernelIi19rocblas_complex_numIfELi16ELi32ELi8ELb1ELb0ELc78ELc76EKPKS1_KPS1_EviT_T0_PT8_S7_lSA_S7_lS8_PT9_S7_li: ; @_ZL37rocblas_syrkx_herkx_restricted_kernelIi19rocblas_complex_numIfELi16ELi32ELi8ELb1ELb0ELc78ELc76EKPKS1_KPS1_EviT_T0_PT8_S7_lSA_S7_lS8_PT9_S7_li
; %bb.0:
	s_clause 0x1
	s_load_b64 s[2:3], s[0:1], 0x48
	s_load_b64 s[8:9], s[0:1], 0x0
	s_mov_b32 s10, s15
	s_mov_b32 s11, 0
	v_dual_mov_b32 v17, 0 :: v_dual_and_b32 v4, 0x3ff, v0
	s_lshl_b64 s[16:17], s[10:11], 3
	v_bfe_u32 v5, v0, 10, 10
	v_dual_mov_b32 v16, 0 :: v_dual_mov_b32 v13, 0
	v_dual_mov_b32 v12, 0 :: v_dual_mov_b32 v9, 0
	;; [unrolled: 1-line block ×3, first 2 shown]
	v_mov_b32_e32 v6, 0
	s_waitcnt lgkmcnt(0)
	s_add_u32 s2, s2, s16
	s_addc_u32 s3, s3, s17
	s_load_b128 s[4:7], s[0:1], 0x8
	s_load_b64 s[2:3], s[2:3], 0x0
	s_lshl_b32 s10, s13, 5
	s_lshl_b32 s14, s14, 5
	s_cmp_lt_i32 s9, 1
	s_cbranch_scc1 .LBB644_3
; %bb.1:
	s_clause 0x2
	s_load_b32 s12, s[0:1], 0x18
	s_load_b32 s18, s[0:1], 0x30
	s_load_b64 s[20:21], s[0:1], 0x28
	v_lshl_add_u32 v0, v5, 4, v4
	v_dual_mov_b32 v6, 0 :: v_dual_and_b32 v7, 7, v4
	v_lshlrev_b32_e32 v10, 3, v4
	v_lshl_add_u32 v11, v5, 6, 0x800
	s_delay_alu instid0(VALU_DEP_4) | instskip(SKIP_3) | instid1(VALU_DEP_4)
	v_and_b32_e32 v13, 31, v0
	v_lshrrev_b32_e32 v12, 3, v0
	v_lshrrev_b32_e32 v14, 5, v0
	v_lshlrev_b32_e32 v15, 3, v7
	v_dual_mov_b32 v17, 0 :: v_dual_add_nc_u32 v2, s10, v13
	s_delay_alu instid0(VALU_DEP_4) | instskip(SKIP_1) | instid1(VALU_DEP_4)
	v_add_nc_u32_e32 v0, s14, v12
	v_mov_b32_e32 v16, 0
	v_lshl_or_b32 v12, v12, 6, v15
	s_delay_alu instid0(VALU_DEP_4) | instskip(NEXT) | instid1(VALU_DEP_4)
	v_ashrrev_i32_e32 v3, 31, v2
	v_ashrrev_i32_e32 v1, 31, v0
	s_waitcnt lgkmcnt(0)
	s_ashr_i32 s13, s12, 31
	s_ashr_i32 s19, s18, 31
	s_add_u32 s6, s6, s16
	s_addc_u32 s7, s7, s17
	s_add_u32 s16, s20, s16
	s_load_b64 s[6:7], s[6:7], 0x0
	s_addc_u32 s17, s21, s17
	v_mad_i64_i32 v[8:9], null, s12, v14, v[2:3]
	s_load_b64 s[16:17], s[16:17], 0x0
	v_mad_i64_i32 v[2:3], null, s18, v7, v[0:1]
	v_mov_b32_e32 v7, 0
	v_dual_mov_b32 v12, 0 :: v_dual_add_nc_u32 v15, 0x800, v12
	s_delay_alu instid0(VALU_DEP_4) | instskip(SKIP_3) | instid1(VALU_DEP_1)
	v_lshlrev_b64 v[0:1], 3, v[8:9]
	v_dual_mov_b32 v9, 0 :: v_dual_mov_b32 v8, 0
	v_lshlrev_b64 v[2:3], 3, v[2:3]
	v_lshlrev_b32_e32 v13, 3, v13
	v_lshl_or_b32 v14, v14, 8, v13
	s_waitcnt lgkmcnt(0)
	v_add_co_u32 v0, vcc_lo, v0, s6
	v_add_co_ci_u32_e32 v1, vcc_lo, s7, v1, vcc_lo
	v_add_co_u32 v2, vcc_lo, v2, s16
	v_add_co_ci_u32_e32 v3, vcc_lo, s17, v3, vcc_lo
	s_delay_alu instid0(VALU_DEP_4) | instskip(NEXT) | instid1(VALU_DEP_4)
	v_add_co_u32 v0, vcc_lo, v0, 4
	v_add_co_ci_u32_e32 v1, vcc_lo, 0, v1, vcc_lo
	s_delay_alu instid0(VALU_DEP_4) | instskip(NEXT) | instid1(VALU_DEP_4)
	v_add_co_u32 v2, vcc_lo, v2, 4
	v_add_co_ci_u32_e32 v3, vcc_lo, 0, v3, vcc_lo
	v_mov_b32_e32 v13, 0
	s_lshl_b64 s[6:7], s[12:13], 6
	s_lshl_b64 s[12:13], s[18:19], 6
.LBB644_2:                              ; =>This Inner Loop Header: Depth=1
	global_load_b64 v[18:19], v[0:1], off offset:-4
	global_load_b64 v[20:21], v[2:3], off offset:-4
	v_add_co_u32 v0, vcc_lo, v0, s6
	v_add_co_ci_u32_e32 v1, vcc_lo, s7, v1, vcc_lo
	v_add_co_u32 v2, vcc_lo, v2, s12
	v_add_co_ci_u32_e32 v3, vcc_lo, s13, v3, vcc_lo
	s_add_i32 s11, s11, 8
	s_waitcnt vmcnt(1)
	ds_store_b64 v14, v[18:19]
	s_waitcnt vmcnt(0)
	ds_store_b64 v15, v[20:21]
	s_waitcnt lgkmcnt(0)
	s_barrier
	buffer_gl0_inv
	ds_load_2addr_b64 v[18:21], v10 offset1:16
	ds_load_b128 v[22:25], v11
	ds_load_b128 v[26:29], v11 offset:1024
	ds_load_b128 v[30:33], v11 offset:16
	ds_load_2addr_b64 v[34:37], v10 offset0:32 offset1:48
	ds_load_b128 v[38:41], v11 offset:32
	ds_load_b128 v[42:45], v11 offset:48
	ds_load_2addr_b64 v[46:49], v10 offset0:64 offset1:80
	ds_load_b128 v[50:53], v11 offset:1040
	ds_load_2addr_b64 v[54:57], v10 offset0:96 offset1:112
	ds_load_2addr_b64 v[58:61], v10 offset0:128 offset1:144
	;; [unrolled: 1-line block ×4, first 2 shown]
	ds_load_b128 v[70:73], v11 offset:1056
	ds_load_b128 v[74:77], v11 offset:1072
	ds_load_2addr_b64 v[78:81], v10 offset0:224 offset1:240
	s_cmp_ge_i32 s11, s9
	s_waitcnt lgkmcnt(0)
	s_barrier
	buffer_gl0_inv
	v_dual_mul_f32 v82, v23, v19 :: v_dual_mul_f32 v85, v22, v21
	v_dual_mul_f32 v83, v22, v19 :: v_dual_mul_f32 v84, v23, v21
	v_mul_f32_e32 v86, v27, v19
	v_dual_mul_f32 v19, v26, v19 :: v_dual_mul_f32 v90, v25, v37
	v_dual_mul_f32 v87, v27, v21 :: v_dual_mul_f32 v88, v25, v35
	v_mul_f32_e32 v21, v26, v21
	v_mul_f32_e32 v89, v24, v35
	;; [unrolled: 1-line block ×3, first 2 shown]
	v_fma_f32 v82, v22, v18, -v82
	v_fmac_f32_e32 v83, v23, v18
	v_fma_f32 v22, v22, v20, -v84
	v_dual_fmac_f32 v85, v23, v20 :: v_dual_mul_f32 v84, v30, v47
	v_fma_f32 v23, v26, v18, -v86
	v_fmac_f32_e32 v19, v27, v18
	v_fma_f32 v18, v26, v20, -v87
	v_dual_mul_f32 v26, v28, v35 :: v_dual_fmac_f32 v21, v27, v20
	v_mul_f32_e32 v20, v29, v35
	v_mul_f32_e32 v27, v29, v37
	v_dual_mul_f32 v35, v28, v37 :: v_dual_fmac_f32 v84, v31, v46
	v_fma_f32 v37, v24, v34, -v88
	v_fma_f32 v24, v24, v36, -v90
	v_dual_fmac_f32 v91, v25, v36 :: v_dual_mul_f32 v90, v32, v57
	v_dual_mul_f32 v86, v31, v49 :: v_dual_fmac_f32 v89, v25, v34
	v_dual_mul_f32 v25, v31, v47 :: v_dual_mul_f32 v88, v33, v57
	v_fma_f32 v20, v28, v34, -v20
	v_fmac_f32_e32 v26, v29, v34
	v_fma_f32 v27, v28, v36, -v27
	v_dual_fmac_f32 v35, v29, v36 :: v_dual_mul_f32 v28, v51, v47
	v_dual_mul_f32 v29, v50, v47 :: v_dual_mul_f32 v34, v51, v49
	v_mul_f32_e32 v36, v50, v49
	v_mul_f32_e32 v87, v30, v49
	;; [unrolled: 1-line block ×3, first 2 shown]
	v_dual_mul_f32 v49, v32, v55 :: v_dual_fmac_f32 v90, v33, v56
	v_fma_f32 v25, v30, v46, -v25
	v_fma_f32 v30, v30, v48, -v86
	;; [unrolled: 1-line block ×3, first 2 shown]
	v_fmac_f32_e32 v36, v51, v48
	v_fmac_f32_e32 v87, v31, v48
	v_fma_f32 v31, v50, v48, -v34
	v_mul_f32_e32 v34, v53, v55
	v_mul_f32_e32 v48, v53, v57
	v_dual_mul_f32 v50, v52, v57 :: v_dual_fmac_f32 v29, v51, v46
	v_mul_f32_e32 v46, v52, v55
	v_fma_f32 v47, v32, v54, -v47
	v_fmac_f32_e32 v49, v33, v54
	v_fma_f32 v32, v32, v56, -v88
	s_delay_alu instid0(VALU_DEP_4)
	v_dual_mul_f32 v33, v39, v59 :: v_dual_fmac_f32 v46, v53, v54
	v_mul_f32_e32 v51, v38, v59
	v_mul_f32_e32 v55, v39, v61
	v_fma_f32 v34, v52, v54, -v34
	v_fma_f32 v48, v52, v56, -v48
	v_fmac_f32_e32 v50, v53, v56
	v_mul_f32_e32 v52, v71, v59
	v_dual_mul_f32 v53, v70, v59 :: v_dual_mul_f32 v86, v41, v65
	v_mul_f32_e32 v54, v71, v61
	v_dual_mul_f32 v56, v70, v61 :: v_dual_mul_f32 v59, v41, v63
	v_mul_f32_e32 v57, v38, v61
	v_mul_f32_e32 v61, v40, v63
	v_dual_mul_f32 v88, v40, v65 :: v_dual_fmac_f32 v51, v39, v58
	v_fma_f32 v33, v38, v58, -v33
	v_fmac_f32_e32 v53, v71, v58
	v_fmac_f32_e32 v56, v71, v60
	s_delay_alu instid0(VALU_DEP_4)
	v_fmac_f32_e32 v88, v41, v64
	v_fmac_f32_e32 v57, v39, v60
	v_fma_f32 v39, v70, v58, -v52
	v_fma_f32 v52, v70, v60, -v54
	v_mul_f32_e32 v54, v73, v63
	v_fma_f32 v38, v38, v60, -v55
	v_mul_f32_e32 v60, v72, v65
	v_dual_mul_f32 v55, v72, v63 :: v_dual_mul_f32 v70, v42, v69
	v_mul_f32_e32 v58, v73, v65
	v_fma_f32 v59, v40, v62, -v59
	v_fmac_f32_e32 v61, v41, v62
	v_fma_f32 v40, v40, v64, -v86
	v_dual_mul_f32 v41, v43, v67 :: v_dual_fmac_f32 v60, v73, v64
	v_dual_mul_f32 v63, v42, v67 :: v_dual_mul_f32 v86, v44, v81
	v_mul_f32_e32 v65, v43, v69
	v_fma_f32 v54, v72, v62, -v54
	v_fmac_f32_e32 v55, v73, v62
	v_fma_f32 v58, v72, v64, -v58
	v_mul_f32_e32 v72, v44, v79
	v_mul_f32_e32 v62, v75, v67
	v_dual_mul_f32 v64, v74, v67 :: v_dual_mul_f32 v67, v75, v69
	v_dual_mul_f32 v69, v74, v69 :: v_dual_fmac_f32 v70, v43, v68
	s_delay_alu instid0(VALU_DEP_2)
	v_dual_mul_f32 v71, v45, v79 :: v_dual_fmac_f32 v64, v75, v66
	v_dual_mul_f32 v73, v45, v81 :: v_dual_add_f32 v16, v16, v82
	v_fma_f32 v41, v42, v66, -v41
	v_fmac_f32_e32 v63, v43, v66
	v_fma_f32 v42, v42, v68, -v65
	v_fma_f32 v43, v74, v66, -v62
	v_dual_mul_f32 v65, v77, v79 :: v_dual_add_f32 v12, v12, v22
	v_mul_f32_e32 v66, v76, v79
	v_fma_f32 v62, v74, v68, -v67
	v_dual_mul_f32 v67, v77, v81 :: v_dual_add_f32 v8, v8, v19
	v_dual_fmac_f32 v86, v45, v80 :: v_dual_add_f32 v7, v7, v18
	v_dual_add_f32 v17, v17, v83 :: v_dual_add_f32 v6, v6, v21
	v_dual_add_f32 v13, v13, v85 :: v_dual_add_f32 v12, v12, v24
	;; [unrolled: 1-line block ×3, first 2 shown]
	v_dual_fmac_f32 v69, v75, v68 :: v_dual_fmac_f32 v72, v45, v78
	v_mul_f32_e32 v68, v76, v81
	v_dual_fmac_f32 v66, v77, v78 :: v_dual_add_f32 v7, v7, v27
	v_dual_add_f32 v17, v17, v89 :: v_dual_add_f32 v8, v8, v26
	v_dual_add_f32 v13, v13, v91 :: v_dual_add_f32 v16, v16, v25
	;; [unrolled: 1-line block ×3, first 2 shown]
	s_delay_alu instid0(VALU_DEP_4) | instskip(NEXT) | instid1(VALU_DEP_4)
	v_dual_fmac_f32 v68, v77, v80 :: v_dual_add_f32 v7, v7, v31
	v_dual_add_f32 v17, v17, v84 :: v_dual_add_f32 v12, v12, v30
	s_delay_alu instid0(VALU_DEP_4) | instskip(NEXT) | instid1(VALU_DEP_4)
	v_dual_add_f32 v13, v13, v87 :: v_dual_add_f32 v8, v8, v29
	v_dual_add_f32 v9, v9, v28 :: v_dual_add_f32 v16, v16, v47
	s_delay_alu instid0(VALU_DEP_3) | instskip(NEXT) | instid1(VALU_DEP_3)
	v_dual_add_f32 v6, v6, v36 :: v_dual_add_f32 v17, v17, v49
	v_dual_add_f32 v12, v12, v32 :: v_dual_add_f32 v13, v13, v90
	s_delay_alu instid0(VALU_DEP_3) | instskip(SKIP_1) | instid1(VALU_DEP_4)
	v_dual_add_f32 v9, v9, v34 :: v_dual_add_f32 v16, v16, v33
	v_dual_add_f32 v8, v8, v46 :: v_dual_add_f32 v7, v7, v48
	;; [unrolled: 1-line block ×3, first 2 shown]
	s_delay_alu instid0(VALU_DEP_4) | instskip(NEXT) | instid1(VALU_DEP_3)
	v_dual_add_f32 v12, v12, v38 :: v_dual_add_f32 v13, v13, v57
	v_dual_add_f32 v9, v9, v39 :: v_dual_add_f32 v8, v8, v53
	s_delay_alu instid0(VALU_DEP_4) | instskip(NEXT) | instid1(VALU_DEP_4)
	v_dual_add_f32 v7, v7, v52 :: v_dual_add_f32 v16, v16, v59
	v_dual_add_f32 v6, v6, v56 :: v_dual_add_f32 v17, v17, v61
	s_delay_alu instid0(VALU_DEP_3) | instskip(NEXT) | instid1(VALU_DEP_4)
	v_dual_add_f32 v12, v12, v40 :: v_dual_add_f32 v9, v9, v54
	v_dual_add_f32 v13, v13, v88 :: v_dual_add_f32 v8, v8, v55
	s_delay_alu instid0(VALU_DEP_3)
	v_dual_add_f32 v7, v7, v58 :: v_dual_add_f32 v6, v6, v60
	v_fma_f32 v71, v44, v78, -v71
	v_fma_f32 v44, v44, v80, -v73
	;; [unrolled: 1-line block ×4, first 2 shown]
	v_dual_add_f32 v16, v16, v41 :: v_dual_add_f32 v17, v17, v63
	v_dual_add_f32 v12, v12, v42 :: v_dual_add_f32 v9, v9, v43
	;; [unrolled: 1-line block ×4, first 2 shown]
	s_delay_alu instid0(VALU_DEP_4) | instskip(NEXT) | instid1(VALU_DEP_3)
	v_dual_add_f32 v16, v16, v71 :: v_dual_add_f32 v17, v17, v72
	v_dual_add_f32 v12, v12, v44 :: v_dual_add_f32 v13, v13, v86
	s_delay_alu instid0(VALU_DEP_4) | instskip(NEXT) | instid1(VALU_DEP_4)
	v_dual_add_f32 v9, v9, v45 :: v_dual_add_f32 v8, v8, v66
	v_dual_add_f32 v7, v7, v65 :: v_dual_add_f32 v6, v6, v68
	s_cbranch_scc0 .LBB644_2
.LBB644_3:
	s_waitcnt lgkmcnt(0)
	s_load_b32 s6, s[0:1], 0x50
	v_add_nc_u32_e32 v5, s14, v5
	v_add_nc_u32_e32 v0, s10, v4
	s_delay_alu instid0(VALU_DEP_1) | instskip(SKIP_1) | instid1(VALU_DEP_2)
	v_cmp_le_i32_e64 s0, v5, v0
	v_cmp_gt_i32_e32 vcc_lo, s8, v0
	s_and_b32 s0, s0, vcc_lo
	s_waitcnt lgkmcnt(0)
	v_mad_i64_i32 v[1:2], null, v5, s6, 0
	s_delay_alu instid0(VALU_DEP_1) | instskip(NEXT) | instid1(VALU_DEP_1)
	v_lshlrev_b64 v[1:2], 3, v[1:2]
	v_add_co_u32 v4, s1, s2, v1
	s_delay_alu instid0(VALU_DEP_1)
	v_add_co_ci_u32_e64 v10, s1, s3, v2, s1
	s_and_saveexec_b32 s1, s0
	s_cbranch_execz .LBB644_5
; %bb.4:
	v_ashrrev_i32_e32 v1, 31, v0
	v_mul_f32_e32 v2, s4, v17
	v_mul_f32_e32 v3, s5, v17
	s_delay_alu instid0(VALU_DEP_3) | instskip(NEXT) | instid1(VALU_DEP_3)
	v_lshlrev_b64 v[14:15], 3, v[0:1]
	v_fmac_f32_e32 v2, s5, v16
	s_delay_alu instid0(VALU_DEP_3) | instskip(NEXT) | instid1(VALU_DEP_3)
	v_fma_f32 v1, v16, s4, -v3
	v_add_co_u32 v14, s0, v4, v14
	s_delay_alu instid0(VALU_DEP_1)
	v_add_co_ci_u32_e64 v15, s0, v10, v15, s0
	global_store_b64 v[14:15], v[1:2], off
.LBB644_5:
	s_or_b32 exec_lo, exec_lo, s1
	v_add_nc_u32_e32 v2, 16, v0
	s_delay_alu instid0(VALU_DEP_1) | instskip(SKIP_1) | instid1(VALU_DEP_1)
	v_cmp_le_i32_e64 s1, v5, v2
	v_cmp_gt_i32_e64 s0, s8, v2
	s_and_b32 s1, s1, s0
	s_delay_alu instid0(SALU_CYCLE_1)
	s_and_saveexec_b32 s7, s1
	s_cbranch_execz .LBB644_7
; %bb.6:
	v_ashrrev_i32_e32 v3, 31, v2
	v_mul_f32_e32 v14, s4, v13
	v_mul_f32_e32 v1, s5, v13
	s_delay_alu instid0(VALU_DEP_3) | instskip(NEXT) | instid1(VALU_DEP_3)
	v_lshlrev_b64 v[15:16], 3, v[2:3]
	v_fmac_f32_e32 v14, s5, v12
	s_delay_alu instid0(VALU_DEP_3) | instskip(NEXT) | instid1(VALU_DEP_3)
	v_fma_f32 v13, v12, s4, -v1
	v_add_co_u32 v3, s1, v4, v15
	s_delay_alu instid0(VALU_DEP_1)
	v_add_co_ci_u32_e64 v4, s1, v10, v16, s1
	global_store_b64 v[3:4], v[13:14], off
.LBB644_7:
	s_or_b32 exec_lo, exec_lo, s7
	v_add_nc_u32_e32 v3, 16, v5
	s_delay_alu instid0(VALU_DEP_1) | instskip(SKIP_1) | instid1(VALU_DEP_2)
	v_mad_i64_i32 v[4:5], null, v3, s6, 0
	v_cmp_le_i32_e64 s1, v3, v0
	v_lshlrev_b64 v[4:5], 3, v[4:5]
	s_delay_alu instid0(VALU_DEP_1) | instskip(NEXT) | instid1(VALU_DEP_1)
	v_add_co_u32 v4, s2, s2, v4
	v_add_co_ci_u32_e64 v5, s2, s3, v5, s2
	s_delay_alu instid0(VALU_DEP_4) | instskip(NEXT) | instid1(SALU_CYCLE_1)
	s_and_b32 s2, s1, vcc_lo
	s_and_saveexec_b32 s1, s2
	s_cbranch_execz .LBB644_9
; %bb.8:
	v_ashrrev_i32_e32 v1, 31, v0
	v_mul_f32_e32 v11, s4, v8
	v_mul_f32_e32 v10, s5, v8
	s_delay_alu instid0(VALU_DEP_3) | instskip(NEXT) | instid1(VALU_DEP_3)
	v_lshlrev_b64 v[0:1], 3, v[0:1]
	v_fmac_f32_e32 v11, s5, v9
	s_delay_alu instid0(VALU_DEP_3) | instskip(NEXT) | instid1(VALU_DEP_3)
	v_fma_f32 v10, v9, s4, -v10
	v_add_co_u32 v0, vcc_lo, v4, v0
	s_delay_alu instid0(VALU_DEP_4)
	v_add_co_ci_u32_e32 v1, vcc_lo, v5, v1, vcc_lo
	global_store_b64 v[0:1], v[10:11], off
.LBB644_9:
	s_or_b32 exec_lo, exec_lo, s1
	v_cmp_le_i32_e32 vcc_lo, v3, v2
	s_and_b32 s0, vcc_lo, s0
	s_delay_alu instid0(SALU_CYCLE_1)
	s_and_saveexec_b32 s1, s0
	s_cbranch_execz .LBB644_11
; %bb.10:
	v_ashrrev_i32_e32 v3, 31, v2
	v_mul_f32_e32 v1, s4, v6
	v_mul_f32_e32 v0, s5, v6
	s_delay_alu instid0(VALU_DEP_3) | instskip(NEXT) | instid1(VALU_DEP_3)
	v_lshlrev_b64 v[2:3], 3, v[2:3]
	v_fmac_f32_e32 v1, s5, v7
	s_delay_alu instid0(VALU_DEP_3) | instskip(NEXT) | instid1(VALU_DEP_3)
	v_fma_f32 v0, v7, s4, -v0
	v_add_co_u32 v2, vcc_lo, v4, v2
	s_delay_alu instid0(VALU_DEP_4)
	v_add_co_ci_u32_e32 v3, vcc_lo, v5, v3, vcc_lo
	global_store_b64 v[2:3], v[0:1], off
.LBB644_11:
	s_nop 0
	s_sendmsg sendmsg(MSG_DEALLOC_VGPRS)
	s_endpgm
	.section	.rodata,"a",@progbits
	.p2align	6, 0x0
	.amdhsa_kernel _ZL37rocblas_syrkx_herkx_restricted_kernelIi19rocblas_complex_numIfELi16ELi32ELi8ELb1ELb0ELc78ELc76EKPKS1_KPS1_EviT_T0_PT8_S7_lSA_S7_lS8_PT9_S7_li
		.amdhsa_group_segment_fixed_size 4096
		.amdhsa_private_segment_fixed_size 0
		.amdhsa_kernarg_size 100
		.amdhsa_user_sgpr_count 13
		.amdhsa_user_sgpr_dispatch_ptr 0
		.amdhsa_user_sgpr_queue_ptr 0
		.amdhsa_user_sgpr_kernarg_segment_ptr 1
		.amdhsa_user_sgpr_dispatch_id 0
		.amdhsa_user_sgpr_private_segment_size 0
		.amdhsa_wavefront_size32 1
		.amdhsa_uses_dynamic_stack 0
		.amdhsa_enable_private_segment 0
		.amdhsa_system_sgpr_workgroup_id_x 1
		.amdhsa_system_sgpr_workgroup_id_y 1
		.amdhsa_system_sgpr_workgroup_id_z 1
		.amdhsa_system_sgpr_workgroup_info 0
		.amdhsa_system_vgpr_workitem_id 1
		.amdhsa_next_free_vgpr 92
		.amdhsa_next_free_sgpr 22
		.amdhsa_reserve_vcc 1
		.amdhsa_float_round_mode_32 0
		.amdhsa_float_round_mode_16_64 0
		.amdhsa_float_denorm_mode_32 3
		.amdhsa_float_denorm_mode_16_64 3
		.amdhsa_dx10_clamp 1
		.amdhsa_ieee_mode 1
		.amdhsa_fp16_overflow 0
		.amdhsa_workgroup_processor_mode 1
		.amdhsa_memory_ordered 1
		.amdhsa_forward_progress 0
		.amdhsa_shared_vgpr_count 0
		.amdhsa_exception_fp_ieee_invalid_op 0
		.amdhsa_exception_fp_denorm_src 0
		.amdhsa_exception_fp_ieee_div_zero 0
		.amdhsa_exception_fp_ieee_overflow 0
		.amdhsa_exception_fp_ieee_underflow 0
		.amdhsa_exception_fp_ieee_inexact 0
		.amdhsa_exception_int_div_zero 0
	.end_amdhsa_kernel
	.section	.text._ZL37rocblas_syrkx_herkx_restricted_kernelIi19rocblas_complex_numIfELi16ELi32ELi8ELb1ELb0ELc78ELc76EKPKS1_KPS1_EviT_T0_PT8_S7_lSA_S7_lS8_PT9_S7_li,"axG",@progbits,_ZL37rocblas_syrkx_herkx_restricted_kernelIi19rocblas_complex_numIfELi16ELi32ELi8ELb1ELb0ELc78ELc76EKPKS1_KPS1_EviT_T0_PT8_S7_lSA_S7_lS8_PT9_S7_li,comdat
.Lfunc_end644:
	.size	_ZL37rocblas_syrkx_herkx_restricted_kernelIi19rocblas_complex_numIfELi16ELi32ELi8ELb1ELb0ELc78ELc76EKPKS1_KPS1_EviT_T0_PT8_S7_lSA_S7_lS8_PT9_S7_li, .Lfunc_end644-_ZL37rocblas_syrkx_herkx_restricted_kernelIi19rocblas_complex_numIfELi16ELi32ELi8ELb1ELb0ELc78ELc76EKPKS1_KPS1_EviT_T0_PT8_S7_lSA_S7_lS8_PT9_S7_li
                                        ; -- End function
	.section	.AMDGPU.csdata,"",@progbits
; Kernel info:
; codeLenInByte = 2124
; NumSgprs: 24
; NumVgprs: 92
; ScratchSize: 0
; MemoryBound: 0
; FloatMode: 240
; IeeeMode: 1
; LDSByteSize: 4096 bytes/workgroup (compile time only)
; SGPRBlocks: 2
; VGPRBlocks: 11
; NumSGPRsForWavesPerEU: 24
; NumVGPRsForWavesPerEU: 92
; Occupancy: 16
; WaveLimiterHint : 1
; COMPUTE_PGM_RSRC2:SCRATCH_EN: 0
; COMPUTE_PGM_RSRC2:USER_SGPR: 13
; COMPUTE_PGM_RSRC2:TRAP_HANDLER: 0
; COMPUTE_PGM_RSRC2:TGID_X_EN: 1
; COMPUTE_PGM_RSRC2:TGID_Y_EN: 1
; COMPUTE_PGM_RSRC2:TGID_Z_EN: 1
; COMPUTE_PGM_RSRC2:TIDIG_COMP_CNT: 1
	.section	.text._ZL37rocblas_syrkx_herkx_restricted_kernelIi19rocblas_complex_numIfELi16ELi32ELi8ELb1ELb0ELc84ELc85EKPKS1_KPS1_EviT_T0_PT8_S7_lSA_S7_lS8_PT9_S7_li,"axG",@progbits,_ZL37rocblas_syrkx_herkx_restricted_kernelIi19rocblas_complex_numIfELi16ELi32ELi8ELb1ELb0ELc84ELc85EKPKS1_KPS1_EviT_T0_PT8_S7_lSA_S7_lS8_PT9_S7_li,comdat
	.globl	_ZL37rocblas_syrkx_herkx_restricted_kernelIi19rocblas_complex_numIfELi16ELi32ELi8ELb1ELb0ELc84ELc85EKPKS1_KPS1_EviT_T0_PT8_S7_lSA_S7_lS8_PT9_S7_li ; -- Begin function _ZL37rocblas_syrkx_herkx_restricted_kernelIi19rocblas_complex_numIfELi16ELi32ELi8ELb1ELb0ELc84ELc85EKPKS1_KPS1_EviT_T0_PT8_S7_lSA_S7_lS8_PT9_S7_li
	.p2align	8
	.type	_ZL37rocblas_syrkx_herkx_restricted_kernelIi19rocblas_complex_numIfELi16ELi32ELi8ELb1ELb0ELc84ELc85EKPKS1_KPS1_EviT_T0_PT8_S7_lSA_S7_lS8_PT9_S7_li,@function
_ZL37rocblas_syrkx_herkx_restricted_kernelIi19rocblas_complex_numIfELi16ELi32ELi8ELb1ELb0ELc84ELc85EKPKS1_KPS1_EviT_T0_PT8_S7_lSA_S7_lS8_PT9_S7_li: ; @_ZL37rocblas_syrkx_herkx_restricted_kernelIi19rocblas_complex_numIfELi16ELi32ELi8ELb1ELb0ELc84ELc85EKPKS1_KPS1_EviT_T0_PT8_S7_lSA_S7_lS8_PT9_S7_li
; %bb.0:
	s_clause 0x1
	s_load_b64 s[4:5], s[0:1], 0x48
	s_load_b64 s[2:3], s[0:1], 0x0
	s_mov_b32 s10, s15
	s_mov_b32 s11, 0
	v_dual_mov_b32 v17, 0 :: v_dual_and_b32 v6, 0x3ff, v0
	s_lshl_b64 s[16:17], s[10:11], 3
	v_bfe_u32 v7, v0, 10, 10
	v_dual_mov_b32 v16, 0 :: v_dual_mov_b32 v11, 0
	v_dual_mov_b32 v13, 0 :: v_dual_mov_b32 v8, 0
	;; [unrolled: 1-line block ×3, first 2 shown]
	v_mov_b32_e32 v1, 0
	s_waitcnt lgkmcnt(0)
	s_add_u32 s8, s4, s16
	s_addc_u32 s9, s5, s17
	s_load_b128 s[4:7], s[0:1], 0x8
	s_load_b64 s[8:9], s[8:9], 0x0
	s_lshl_b32 s10, s13, 5
	s_lshl_b32 s12, s14, 5
	s_cmp_lt_i32 s3, 1
	s_cbranch_scc1 .LBB645_3
; %bb.1:
	s_clause 0x2
	s_load_b64 s[14:15], s[0:1], 0x28
	s_load_b32 s13, s[0:1], 0x18
	s_load_b32 s18, s[0:1], 0x30
	v_lshl_add_u32 v2, v7, 4, v6
	v_dual_mov_b32 v1, 0 :: v_dual_and_b32 v0, 7, v6
	v_lshlrev_b32_e32 v10, 3, v6
	s_waitcnt lgkmcnt(0)
	s_add_u32 s6, s6, s16
	v_and_b32_e32 v8, 31, v2
	v_lshrrev_b32_e32 v9, 3, v2
	v_lshrrev_b32_e32 v2, 5, v2
	v_mov_b32_e32 v3, v1
	s_addc_u32 s7, s7, s17
	v_add_nc_u32_e32 v11, s10, v8
	s_load_b64 s[6:7], s[6:7], 0x0
	v_add_nc_u32_e32 v13, s12, v9
	v_lshl_add_u32 v12, v7, 6, 0x800
	s_add_u32 s14, s14, s16
	v_mad_i64_i32 v[4:5], null, s13, v11, v[2:3]
	v_lshlrev_b32_e32 v3, 3, v0
	s_addc_u32 s15, s15, s17
	s_load_b64 s[14:15], s[14:15], 0x0
	s_delay_alu instid0(VALU_DEP_1) | instskip(NEXT) | instid1(VALU_DEP_3)
	v_lshl_or_b32 v9, v9, 6, v3
	v_lshlrev_b64 v[3:4], 3, v[4:5]
	s_delay_alu instid0(VALU_DEP_2) | instskip(SKIP_4) | instid1(VALU_DEP_3)
	v_add_nc_u32_e32 v15, 0x800, v9
	v_mov_b32_e32 v9, v1
	v_dual_mov_b32 v8, v1 :: v_dual_lshlrev_b32 v11, 3, v8
	v_mad_i64_i32 v[16:17], null, s18, v13, v[0:1]
	v_mov_b32_e32 v0, v1
	v_lshl_or_b32 v14, v2, 8, v11
	s_waitcnt lgkmcnt(0)
	v_add_co_u32 v2, vcc_lo, v3, s6
	v_add_co_ci_u32_e32 v3, vcc_lo, s7, v4, vcc_lo
	v_lshlrev_b64 v[16:17], 3, v[16:17]
	v_mov_b32_e32 v13, v1
	v_mov_b32_e32 v11, v1
	s_delay_alu instid0(VALU_DEP_3)
	v_add_co_u32 v4, vcc_lo, v16, s14
	v_mov_b32_e32 v16, v1
	v_add_co_ci_u32_e32 v5, vcc_lo, s15, v17, vcc_lo
	v_add_co_u32 v2, vcc_lo, v2, 4
	v_add_co_ci_u32_e32 v3, vcc_lo, 0, v3, vcc_lo
	v_add_co_u32 v4, vcc_lo, v4, 4
	s_delay_alu instid0(VALU_DEP_4)
	v_add_co_ci_u32_e32 v5, vcc_lo, 0, v5, vcc_lo
	v_mov_b32_e32 v17, v1
.LBB645_2:                              ; =>This Inner Loop Header: Depth=1
	global_load_b64 v[18:19], v[2:3], off offset:-4
	global_load_b64 v[20:21], v[4:5], off offset:-4
	v_add_co_u32 v2, vcc_lo, v2, 64
	v_add_co_ci_u32_e32 v3, vcc_lo, 0, v3, vcc_lo
	v_add_co_u32 v4, vcc_lo, v4, 64
	v_add_co_ci_u32_e32 v5, vcc_lo, 0, v5, vcc_lo
	s_add_i32 s11, s11, 8
	s_waitcnt vmcnt(1)
	ds_store_b64 v14, v[18:19]
	s_waitcnt vmcnt(0)
	ds_store_b64 v15, v[20:21]
	s_waitcnt lgkmcnt(0)
	s_barrier
	buffer_gl0_inv
	ds_load_2addr_b64 v[18:21], v10 offset1:16
	ds_load_b128 v[22:25], v12
	ds_load_b128 v[26:29], v12 offset:1024
	ds_load_b128 v[30:33], v12 offset:16
	ds_load_2addr_b64 v[34:37], v10 offset0:32 offset1:48
	ds_load_b128 v[38:41], v12 offset:32
	ds_load_b128 v[42:45], v12 offset:48
	ds_load_2addr_b64 v[46:49], v10 offset0:64 offset1:80
	ds_load_b128 v[50:53], v12 offset:1040
	ds_load_2addr_b64 v[54:57], v10 offset0:96 offset1:112
	ds_load_2addr_b64 v[58:61], v10 offset0:128 offset1:144
	;; [unrolled: 1-line block ×4, first 2 shown]
	ds_load_b128 v[70:73], v12 offset:1056
	ds_load_b128 v[74:77], v12 offset:1072
	ds_load_2addr_b64 v[78:81], v10 offset0:224 offset1:240
	s_cmp_ge_i32 s11, s3
	s_waitcnt lgkmcnt(0)
	s_barrier
	buffer_gl0_inv
	v_dual_mul_f32 v82, v23, v19 :: v_dual_mul_f32 v85, v22, v21
	v_dual_mul_f32 v83, v22, v19 :: v_dual_mul_f32 v84, v23, v21
	v_mul_f32_e32 v86, v27, v19
	v_dual_mul_f32 v19, v26, v19 :: v_dual_mul_f32 v90, v25, v37
	v_dual_mul_f32 v87, v27, v21 :: v_dual_mul_f32 v88, v25, v35
	v_mul_f32_e32 v21, v26, v21
	v_fma_f32 v82, v22, v18, -v82
	v_fmac_f32_e32 v83, v23, v18
	v_fma_f32 v22, v22, v20, -v84
	v_fmac_f32_e32 v85, v23, v20
	v_fma_f32 v23, v26, v18, -v86
	v_dual_fmac_f32 v19, v27, v18 :: v_dual_mul_f32 v86, v30, v47
	v_fma_f32 v18, v26, v20, -v87
	v_dual_fmac_f32 v21, v27, v20 :: v_dual_mul_f32 v20, v24, v37
	v_mul_f32_e32 v89, v24, v35
	v_mul_f32_e32 v26, v29, v35
	;; [unrolled: 1-line block ×4, first 2 shown]
	v_fmac_f32_e32 v20, v25, v36
	v_fmac_f32_e32 v89, v25, v34
	v_dual_mul_f32 v25, v28, v37 :: v_dual_fmac_f32 v86, v31, v46
	v_fma_f32 v84, v24, v34, -v88
	v_fma_f32 v24, v24, v36, -v90
	v_dual_mul_f32 v37, v31, v47 :: v_dual_mul_f32 v90, v33, v57
	v_fma_f32 v26, v28, v34, -v26
	v_fma_f32 v28, v28, v36, -v35
	v_fmac_f32_e32 v25, v29, v36
	v_dual_mul_f32 v35, v50, v47 :: v_dual_mul_f32 v36, v51, v49
	v_dual_fmac_f32 v27, v29, v34 :: v_dual_mul_f32 v34, v51, v47
	v_dual_mul_f32 v88, v32, v55 :: v_dual_mul_f32 v29, v30, v49
	v_mul_f32_e32 v87, v31, v49
	v_fma_f32 v37, v30, v46, -v37
	v_add_f32_e32 v16, v16, v82
	s_delay_alu instid0(VALU_DEP_4)
	v_dual_fmac_f32 v88, v33, v54 :: v_dual_fmac_f32 v29, v31, v48
	v_fma_f32 v31, v50, v46, -v34
	v_fma_f32 v34, v50, v48, -v36
	v_mul_f32_e32 v36, v32, v57
	v_mul_f32_e32 v47, v50, v49
	v_dual_mul_f32 v50, v53, v57 :: v_dual_fmac_f32 v35, v51, v46
	v_mul_f32_e32 v46, v53, v55
	v_mul_f32_e32 v49, v33, v55
	v_fma_f32 v30, v30, v48, -v87
	v_fmac_f32_e32 v36, v33, v56
	v_dual_fmac_f32 v47, v51, v48 :: v_dual_mul_f32 v48, v52, v55
	v_mul_f32_e32 v33, v52, v57
	v_fma_f32 v46, v52, v54, -v46
	v_fma_f32 v50, v52, v56, -v50
	v_mul_f32_e32 v52, v38, v61
	v_fma_f32 v49, v32, v54, -v49
	v_fma_f32 v32, v32, v56, -v90
	v_dual_mul_f32 v51, v39, v59 :: v_dual_fmac_f32 v48, v53, v54
	v_mul_f32_e32 v54, v70, v59
	v_dual_mul_f32 v55, v38, v59 :: v_dual_fmac_f32 v52, v39, v60
	v_fmac_f32_e32 v33, v53, v56
	v_mul_f32_e32 v53, v71, v59
	v_mul_f32_e32 v56, v71, v61
	v_mul_f32_e32 v57, v39, v61
	v_fmac_f32_e32 v54, v71, v58
	v_fmac_f32_e32 v55, v39, v58
	v_fma_f32 v39, v70, v58, -v53
	v_fma_f32 v53, v70, v60, -v56
	v_mul_f32_e32 v56, v40, v65
	v_mul_f32_e32 v59, v70, v61
	v_fma_f32 v51, v38, v58, -v51
	v_mul_f32_e32 v58, v72, v63
	v_mul_f32_e32 v87, v40, v63
	;; [unrolled: 1-line block ×4, first 2 shown]
	v_fma_f32 v38, v38, v60, -v57
	v_mul_f32_e32 v57, v73, v63
	v_fmac_f32_e32 v56, v41, v64
	v_dual_fmac_f32 v59, v71, v60 :: v_dual_mul_f32 v60, v73, v65
	v_mul_f32_e32 v63, v43, v67
	v_mul_f32_e32 v70, v43, v69
	v_fmac_f32_e32 v58, v73, v62
	v_fmac_f32_e32 v87, v41, v62
	v_mul_f32_e32 v41, v72, v65
	v_fma_f32 v61, v40, v62, -v61
	v_fma_f32 v40, v40, v64, -v90
	v_mul_f32_e32 v65, v42, v67
	v_fma_f32 v57, v72, v62, -v57
	v_fma_f32 v60, v72, v64, -v60
	v_dual_fmac_f32 v41, v73, v64 :: v_dual_mul_f32 v62, v42, v69
	v_mul_f32_e32 v64, v75, v67
	v_fma_f32 v63, v42, v66, -v63
	v_fma_f32 v42, v42, v68, -v70
	v_mul_f32_e32 v70, v76, v79
	v_mul_f32_e32 v67, v74, v67
	;; [unrolled: 1-line block ×3, first 2 shown]
	v_dual_mul_f32 v69, v74, v69 :: v_dual_add_f32 v8, v8, v19
	v_mul_f32_e32 v73, v44, v79
	v_dual_fmac_f32 v65, v43, v66 :: v_dual_add_f32 v16, v16, v84
	v_fmac_f32_e32 v62, v43, v68
	v_fma_f32 v43, v74, v66, -v64
	v_fmac_f32_e32 v70, v77, v78
	v_dual_fmac_f32 v67, v75, v66 :: v_dual_add_f32 v8, v8, v27
	v_mul_f32_e32 v66, v44, v81
	v_mul_f32_e32 v72, v45, v79
	v_dual_mul_f32 v90, v45, v81 :: v_dual_fmac_f32 v69, v75, v68
	v_add_f32_e32 v0, v0, v18
	v_dual_fmac_f32 v73, v45, v78 :: v_dual_add_f32 v16, v16, v37
	v_dual_fmac_f32 v66, v45, v80 :: v_dual_mul_f32 v45, v76, v81
	v_fma_f32 v64, v74, v68, -v71
	s_delay_alu instid0(VALU_DEP_4) | instskip(NEXT) | instid1(VALU_DEP_3)
	v_dual_mul_f32 v71, v77, v81 :: v_dual_add_f32 v0, v0, v28
	v_dual_add_f32 v8, v8, v35 :: v_dual_fmac_f32 v45, v77, v80
	v_add_f32_e32 v17, v17, v83
	v_dual_add_f32 v11, v11, v22 :: v_dual_add_f32 v16, v16, v49
	s_delay_alu instid0(VALU_DEP_3) | instskip(SKIP_1) | instid1(VALU_DEP_3)
	v_dual_add_f32 v13, v13, v85 :: v_dual_add_f32 v8, v8, v48
	v_dual_add_f32 v0, v0, v34 :: v_dual_add_f32 v9, v9, v23
	;; [unrolled: 1-line block ×3, first 2 shown]
	s_delay_alu instid0(VALU_DEP_3) | instskip(NEXT) | instid1(VALU_DEP_3)
	v_dual_add_f32 v17, v17, v89 :: v_dual_add_f32 v8, v8, v54
	v_dual_add_f32 v0, v0, v50 :: v_dual_add_f32 v11, v11, v24
	s_delay_alu instid0(VALU_DEP_3) | instskip(NEXT) | instid1(VALU_DEP_3)
	v_dual_add_f32 v13, v13, v20 :: v_dual_add_f32 v16, v16, v61
	v_dual_add_f32 v1, v1, v25 :: v_dual_add_f32 v8, v8, v58
	s_delay_alu instid0(VALU_DEP_3) | instskip(SKIP_1) | instid1(VALU_DEP_4)
	v_dual_add_f32 v0, v0, v53 :: v_dual_add_f32 v9, v9, v26
	v_fma_f32 v72, v44, v78, -v72
	v_dual_add_f32 v17, v17, v86 :: v_dual_add_f32 v16, v16, v63
	s_delay_alu instid0(VALU_DEP_4) | instskip(NEXT) | instid1(VALU_DEP_4)
	v_dual_add_f32 v11, v11, v30 :: v_dual_add_f32 v8, v8, v67
	v_dual_add_f32 v1, v1, v47 :: v_dual_add_f32 v0, v0, v60
	v_add_f32_e32 v13, v13, v29
	s_delay_alu instid0(VALU_DEP_4)
	v_dual_add_f32 v9, v9, v31 :: v_dual_add_f32 v16, v16, v72
	v_fma_f32 v71, v76, v80, -v71
	v_add_f32_e32 v11, v11, v32
	v_add_f32_e32 v0, v0, v64
	;; [unrolled: 1-line block ×6, first 2 shown]
	v_dual_add_f32 v0, v0, v71 :: v_dual_add_f32 v1, v1, v33
	v_add_f32_e32 v17, v17, v55
	v_add_f32_e32 v11, v11, v38
	;; [unrolled: 1-line block ×5, first 2 shown]
	v_mul_f32_e32 v68, v77, v79
	v_add_f32_e32 v17, v17, v87
	v_add_f32_e32 v11, v11, v40
	;; [unrolled: 1-line block ×5, first 2 shown]
	v_fma_f32 v44, v44, v80, -v90
	v_fma_f32 v68, v76, v78, -v68
	v_add_f32_e32 v17, v17, v65
	v_add_f32_e32 v11, v11, v42
	;; [unrolled: 1-line block ×10, first 2 shown]
	s_cbranch_scc0 .LBB645_2
.LBB645_3:
	s_load_b32 s3, s[0:1], 0x50
	v_add_nc_u32_e32 v7, s12, v7
	v_add_nc_u32_e32 v2, s10, v6
	s_delay_alu instid0(VALU_DEP_2) | instskip(NEXT) | instid1(VALU_DEP_2)
	v_cmp_gt_i32_e32 vcc_lo, s2, v7
	v_cmp_le_i32_e64 s0, v2, v7
	s_delay_alu instid0(VALU_DEP_1) | instskip(SKIP_2) | instid1(VALU_DEP_1)
	s_and_b32 s0, vcc_lo, s0
	s_waitcnt lgkmcnt(0)
	v_mad_i64_i32 v[3:4], null, v7, s3, 0
	v_lshlrev_b64 v[3:4], 3, v[3:4]
	s_delay_alu instid0(VALU_DEP_1) | instskip(NEXT) | instid1(VALU_DEP_1)
	v_add_co_u32 v6, s1, s8, v3
	v_add_co_ci_u32_e64 v10, s1, s9, v4, s1
	s_and_saveexec_b32 s1, s0
	s_cbranch_execz .LBB645_5
; %bb.4:
	v_ashrrev_i32_e32 v3, 31, v2
	v_mul_f32_e32 v4, s4, v17
	v_mul_f32_e32 v5, s5, v17
	s_delay_alu instid0(VALU_DEP_3) | instskip(NEXT) | instid1(VALU_DEP_3)
	v_lshlrev_b64 v[14:15], 3, v[2:3]
	v_fmac_f32_e32 v4, s5, v16
	s_delay_alu instid0(VALU_DEP_3) | instskip(NEXT) | instid1(VALU_DEP_3)
	v_fma_f32 v3, v16, s4, -v5
	v_add_co_u32 v14, s0, v6, v14
	s_delay_alu instid0(VALU_DEP_1)
	v_add_co_ci_u32_e64 v15, s0, v10, v15, s0
	global_store_b64 v[14:15], v[3:4], off
.LBB645_5:
	s_or_b32 exec_lo, exec_lo, s1
	v_add_nc_u32_e32 v4, 16, v2
	s_delay_alu instid0(VALU_DEP_1) | instskip(NEXT) | instid1(VALU_DEP_1)
	v_cmp_le_i32_e64 s0, v4, v7
	s_and_b32 s1, vcc_lo, s0
	s_delay_alu instid0(SALU_CYCLE_1)
	s_and_saveexec_b32 s0, s1
	s_cbranch_execz .LBB645_7
; %bb.6:
	v_ashrrev_i32_e32 v5, 31, v4
	v_mul_f32_e32 v3, s5, v13
	v_mul_f32_e32 v13, s4, v13
	s_delay_alu instid0(VALU_DEP_3) | instskip(NEXT) | instid1(VALU_DEP_3)
	v_lshlrev_b64 v[14:15], 3, v[4:5]
	v_fma_f32 v12, v11, s4, -v3
	s_delay_alu instid0(VALU_DEP_3) | instskip(NEXT) | instid1(VALU_DEP_3)
	v_fmac_f32_e32 v13, s5, v11
	v_add_co_u32 v5, vcc_lo, v6, v14
	s_delay_alu instid0(VALU_DEP_4)
	v_add_co_ci_u32_e32 v6, vcc_lo, v10, v15, vcc_lo
	global_store_b64 v[5:6], v[12:13], off
.LBB645_7:
	s_or_b32 exec_lo, exec_lo, s0
	v_add_nc_u32_e32 v5, 16, v7
	s_delay_alu instid0(VALU_DEP_1) | instskip(SKIP_2) | instid1(VALU_DEP_1)
	v_mad_i64_i32 v[6:7], null, v5, s3, 0
	v_cmp_gt_i32_e32 vcc_lo, s2, v5
	v_cmp_le_i32_e64 s0, v2, v5
	s_and_b32 s0, vcc_lo, s0
	s_delay_alu instid0(VALU_DEP_3) | instskip(NEXT) | instid1(VALU_DEP_1)
	v_lshlrev_b64 v[6:7], 3, v[6:7]
	v_add_co_u32 v6, s1, s8, v6
	s_delay_alu instid0(VALU_DEP_1)
	v_add_co_ci_u32_e64 v7, s1, s9, v7, s1
	s_and_saveexec_b32 s1, s0
	s_cbranch_execz .LBB645_9
; %bb.8:
	v_ashrrev_i32_e32 v3, 31, v2
	v_mul_f32_e32 v11, s4, v8
	v_mul_f32_e32 v10, s5, v8
	s_delay_alu instid0(VALU_DEP_3) | instskip(NEXT) | instid1(VALU_DEP_3)
	v_lshlrev_b64 v[2:3], 3, v[2:3]
	v_fmac_f32_e32 v11, s5, v9
	s_delay_alu instid0(VALU_DEP_3) | instskip(NEXT) | instid1(VALU_DEP_3)
	v_fma_f32 v10, v9, s4, -v10
	v_add_co_u32 v2, s0, v6, v2
	s_delay_alu instid0(VALU_DEP_1)
	v_add_co_ci_u32_e64 v3, s0, v7, v3, s0
	global_store_b64 v[2:3], v[10:11], off
.LBB645_9:
	s_or_b32 exec_lo, exec_lo, s1
	v_cmp_le_i32_e64 s0, v4, v5
	s_delay_alu instid0(VALU_DEP_1) | instskip(NEXT) | instid1(SALU_CYCLE_1)
	s_and_b32 s0, vcc_lo, s0
	s_and_saveexec_b32 s1, s0
	s_cbranch_execz .LBB645_11
; %bb.10:
	v_ashrrev_i32_e32 v5, 31, v4
	v_mul_f32_e32 v8, s5, v1
	v_mul_f32_e32 v2, s4, v1
	s_delay_alu instid0(VALU_DEP_3) | instskip(NEXT) | instid1(VALU_DEP_3)
	v_lshlrev_b64 v[3:4], 3, v[4:5]
	v_fma_f32 v1, v0, s4, -v8
	s_delay_alu instid0(VALU_DEP_3) | instskip(NEXT) | instid1(VALU_DEP_3)
	v_fmac_f32_e32 v2, s5, v0
	v_add_co_u32 v3, vcc_lo, v6, v3
	s_delay_alu instid0(VALU_DEP_4)
	v_add_co_ci_u32_e32 v4, vcc_lo, v7, v4, vcc_lo
	global_store_b64 v[3:4], v[1:2], off
.LBB645_11:
	s_nop 0
	s_sendmsg sendmsg(MSG_DEALLOC_VGPRS)
	s_endpgm
	.section	.rodata,"a",@progbits
	.p2align	6, 0x0
	.amdhsa_kernel _ZL37rocblas_syrkx_herkx_restricted_kernelIi19rocblas_complex_numIfELi16ELi32ELi8ELb1ELb0ELc84ELc85EKPKS1_KPS1_EviT_T0_PT8_S7_lSA_S7_lS8_PT9_S7_li
		.amdhsa_group_segment_fixed_size 4096
		.amdhsa_private_segment_fixed_size 0
		.amdhsa_kernarg_size 100
		.amdhsa_user_sgpr_count 13
		.amdhsa_user_sgpr_dispatch_ptr 0
		.amdhsa_user_sgpr_queue_ptr 0
		.amdhsa_user_sgpr_kernarg_segment_ptr 1
		.amdhsa_user_sgpr_dispatch_id 0
		.amdhsa_user_sgpr_private_segment_size 0
		.amdhsa_wavefront_size32 1
		.amdhsa_uses_dynamic_stack 0
		.amdhsa_enable_private_segment 0
		.amdhsa_system_sgpr_workgroup_id_x 1
		.amdhsa_system_sgpr_workgroup_id_y 1
		.amdhsa_system_sgpr_workgroup_id_z 1
		.amdhsa_system_sgpr_workgroup_info 0
		.amdhsa_system_vgpr_workitem_id 1
		.amdhsa_next_free_vgpr 91
		.amdhsa_next_free_sgpr 19
		.amdhsa_reserve_vcc 1
		.amdhsa_float_round_mode_32 0
		.amdhsa_float_round_mode_16_64 0
		.amdhsa_float_denorm_mode_32 3
		.amdhsa_float_denorm_mode_16_64 3
		.amdhsa_dx10_clamp 1
		.amdhsa_ieee_mode 1
		.amdhsa_fp16_overflow 0
		.amdhsa_workgroup_processor_mode 1
		.amdhsa_memory_ordered 1
		.amdhsa_forward_progress 0
		.amdhsa_shared_vgpr_count 0
		.amdhsa_exception_fp_ieee_invalid_op 0
		.amdhsa_exception_fp_denorm_src 0
		.amdhsa_exception_fp_ieee_div_zero 0
		.amdhsa_exception_fp_ieee_overflow 0
		.amdhsa_exception_fp_ieee_underflow 0
		.amdhsa_exception_fp_ieee_inexact 0
		.amdhsa_exception_int_div_zero 0
	.end_amdhsa_kernel
	.section	.text._ZL37rocblas_syrkx_herkx_restricted_kernelIi19rocblas_complex_numIfELi16ELi32ELi8ELb1ELb0ELc84ELc85EKPKS1_KPS1_EviT_T0_PT8_S7_lSA_S7_lS8_PT9_S7_li,"axG",@progbits,_ZL37rocblas_syrkx_herkx_restricted_kernelIi19rocblas_complex_numIfELi16ELi32ELi8ELb1ELb0ELc84ELc85EKPKS1_KPS1_EviT_T0_PT8_S7_lSA_S7_lS8_PT9_S7_li,comdat
.Lfunc_end645:
	.size	_ZL37rocblas_syrkx_herkx_restricted_kernelIi19rocblas_complex_numIfELi16ELi32ELi8ELb1ELb0ELc84ELc85EKPKS1_KPS1_EviT_T0_PT8_S7_lSA_S7_lS8_PT9_S7_li, .Lfunc_end645-_ZL37rocblas_syrkx_herkx_restricted_kernelIi19rocblas_complex_numIfELi16ELi32ELi8ELb1ELb0ELc84ELc85EKPKS1_KPS1_EviT_T0_PT8_S7_lSA_S7_lS8_PT9_S7_li
                                        ; -- End function
	.section	.AMDGPU.csdata,"",@progbits
; Kernel info:
; codeLenInByte = 2072
; NumSgprs: 21
; NumVgprs: 91
; ScratchSize: 0
; MemoryBound: 0
; FloatMode: 240
; IeeeMode: 1
; LDSByteSize: 4096 bytes/workgroup (compile time only)
; SGPRBlocks: 2
; VGPRBlocks: 11
; NumSGPRsForWavesPerEU: 21
; NumVGPRsForWavesPerEU: 91
; Occupancy: 16
; WaveLimiterHint : 1
; COMPUTE_PGM_RSRC2:SCRATCH_EN: 0
; COMPUTE_PGM_RSRC2:USER_SGPR: 13
; COMPUTE_PGM_RSRC2:TRAP_HANDLER: 0
; COMPUTE_PGM_RSRC2:TGID_X_EN: 1
; COMPUTE_PGM_RSRC2:TGID_Y_EN: 1
; COMPUTE_PGM_RSRC2:TGID_Z_EN: 1
; COMPUTE_PGM_RSRC2:TIDIG_COMP_CNT: 1
	.section	.text._ZL37rocblas_syrkx_herkx_restricted_kernelIi19rocblas_complex_numIfELi16ELi32ELi8ELb1ELb0ELc67ELc85EKPKS1_KPS1_EviT_T0_PT8_S7_lSA_S7_lS8_PT9_S7_li,"axG",@progbits,_ZL37rocblas_syrkx_herkx_restricted_kernelIi19rocblas_complex_numIfELi16ELi32ELi8ELb1ELb0ELc67ELc85EKPKS1_KPS1_EviT_T0_PT8_S7_lSA_S7_lS8_PT9_S7_li,comdat
	.globl	_ZL37rocblas_syrkx_herkx_restricted_kernelIi19rocblas_complex_numIfELi16ELi32ELi8ELb1ELb0ELc67ELc85EKPKS1_KPS1_EviT_T0_PT8_S7_lSA_S7_lS8_PT9_S7_li ; -- Begin function _ZL37rocblas_syrkx_herkx_restricted_kernelIi19rocblas_complex_numIfELi16ELi32ELi8ELb1ELb0ELc67ELc85EKPKS1_KPS1_EviT_T0_PT8_S7_lSA_S7_lS8_PT9_S7_li
	.p2align	8
	.type	_ZL37rocblas_syrkx_herkx_restricted_kernelIi19rocblas_complex_numIfELi16ELi32ELi8ELb1ELb0ELc67ELc85EKPKS1_KPS1_EviT_T0_PT8_S7_lSA_S7_lS8_PT9_S7_li,@function
_ZL37rocblas_syrkx_herkx_restricted_kernelIi19rocblas_complex_numIfELi16ELi32ELi8ELb1ELb0ELc67ELc85EKPKS1_KPS1_EviT_T0_PT8_S7_lSA_S7_lS8_PT9_S7_li: ; @_ZL37rocblas_syrkx_herkx_restricted_kernelIi19rocblas_complex_numIfELi16ELi32ELi8ELb1ELb0ELc67ELc85EKPKS1_KPS1_EviT_T0_PT8_S7_lSA_S7_lS8_PT9_S7_li
; %bb.0:
	s_clause 0x1
	s_load_b64 s[4:5], s[0:1], 0x48
	s_load_b64 s[2:3], s[0:1], 0x0
	s_mov_b32 s10, s15
	s_mov_b32 s11, 0
	v_dual_mov_b32 v17, 0 :: v_dual_and_b32 v6, 0x3ff, v0
	s_lshl_b64 s[16:17], s[10:11], 3
	v_bfe_u32 v7, v0, 10, 10
	v_dual_mov_b32 v16, 0 :: v_dual_mov_b32 v11, 0
	v_dual_mov_b32 v13, 0 :: v_dual_mov_b32 v8, 0
	;; [unrolled: 1-line block ×3, first 2 shown]
	v_mov_b32_e32 v1, 0
	s_waitcnt lgkmcnt(0)
	s_add_u32 s8, s4, s16
	s_addc_u32 s9, s5, s17
	s_load_b128 s[4:7], s[0:1], 0x8
	s_load_b64 s[8:9], s[8:9], 0x0
	s_lshl_b32 s10, s13, 5
	s_lshl_b32 s12, s14, 5
	s_cmp_lt_i32 s3, 1
	s_cbranch_scc1 .LBB646_3
; %bb.1:
	s_clause 0x2
	s_load_b64 s[14:15], s[0:1], 0x28
	s_load_b32 s13, s[0:1], 0x18
	s_load_b32 s18, s[0:1], 0x30
	v_lshl_add_u32 v2, v7, 4, v6
	v_dual_mov_b32 v1, 0 :: v_dual_and_b32 v0, 7, v6
	v_lshlrev_b32_e32 v10, 3, v6
	s_waitcnt lgkmcnt(0)
	s_add_u32 s6, s6, s16
	v_and_b32_e32 v8, 31, v2
	v_lshrrev_b32_e32 v9, 3, v2
	v_lshrrev_b32_e32 v2, 5, v2
	v_mov_b32_e32 v3, v1
	s_addc_u32 s7, s7, s17
	v_add_nc_u32_e32 v11, s10, v8
	s_load_b64 s[6:7], s[6:7], 0x0
	v_add_nc_u32_e32 v13, s12, v9
	v_lshl_add_u32 v12, v7, 6, 0x800
	s_add_u32 s14, s14, s16
	v_mad_i64_i32 v[4:5], null, s13, v11, v[2:3]
	v_lshlrev_b32_e32 v3, 3, v0
	s_addc_u32 s15, s15, s17
	s_load_b64 s[14:15], s[14:15], 0x0
	s_delay_alu instid0(VALU_DEP_1) | instskip(NEXT) | instid1(VALU_DEP_3)
	v_lshl_or_b32 v9, v9, 6, v3
	v_lshlrev_b64 v[3:4], 3, v[4:5]
	s_delay_alu instid0(VALU_DEP_2) | instskip(SKIP_4) | instid1(VALU_DEP_3)
	v_add_nc_u32_e32 v15, 0x800, v9
	v_mov_b32_e32 v9, v1
	v_dual_mov_b32 v8, v1 :: v_dual_lshlrev_b32 v11, 3, v8
	v_mad_i64_i32 v[16:17], null, s18, v13, v[0:1]
	v_mov_b32_e32 v0, v1
	v_lshl_or_b32 v14, v2, 8, v11
	s_waitcnt lgkmcnt(0)
	v_add_co_u32 v2, vcc_lo, v3, s6
	v_add_co_ci_u32_e32 v3, vcc_lo, s7, v4, vcc_lo
	v_lshlrev_b64 v[16:17], 3, v[16:17]
	v_mov_b32_e32 v13, v1
	v_mov_b32_e32 v11, v1
	s_delay_alu instid0(VALU_DEP_3)
	v_add_co_u32 v4, vcc_lo, v16, s14
	v_mov_b32_e32 v16, v1
	v_add_co_ci_u32_e32 v5, vcc_lo, s15, v17, vcc_lo
	v_add_co_u32 v2, vcc_lo, v2, 4
	v_add_co_ci_u32_e32 v3, vcc_lo, 0, v3, vcc_lo
	v_add_co_u32 v4, vcc_lo, v4, 4
	s_delay_alu instid0(VALU_DEP_4)
	v_add_co_ci_u32_e32 v5, vcc_lo, 0, v5, vcc_lo
	v_mov_b32_e32 v17, v1
.LBB646_2:                              ; =>This Inner Loop Header: Depth=1
	global_load_b64 v[18:19], v[2:3], off offset:-4
	global_load_b64 v[20:21], v[4:5], off offset:-4
	v_add_co_u32 v2, vcc_lo, v2, 64
	v_add_co_ci_u32_e32 v3, vcc_lo, 0, v3, vcc_lo
	v_add_co_u32 v4, vcc_lo, v4, 64
	v_add_co_ci_u32_e32 v5, vcc_lo, 0, v5, vcc_lo
	s_add_i32 s11, s11, 8
	s_waitcnt vmcnt(1)
	ds_store_b64 v14, v[18:19]
	s_waitcnt vmcnt(0)
	ds_store_b64 v15, v[20:21]
	s_waitcnt lgkmcnt(0)
	s_barrier
	buffer_gl0_inv
	ds_load_2addr_b64 v[18:21], v10 offset1:16
	ds_load_b128 v[22:25], v12
	ds_load_b128 v[26:29], v12 offset:1024
	ds_load_b128 v[30:33], v12 offset:16
	ds_load_2addr_b64 v[34:37], v10 offset0:32 offset1:48
	ds_load_b128 v[38:41], v12 offset:32
	ds_load_b128 v[42:45], v12 offset:48
	ds_load_2addr_b64 v[46:49], v10 offset0:64 offset1:80
	ds_load_b128 v[50:53], v12 offset:1040
	ds_load_2addr_b64 v[54:57], v10 offset0:96 offset1:112
	ds_load_2addr_b64 v[58:61], v10 offset0:128 offset1:144
	;; [unrolled: 1-line block ×4, first 2 shown]
	ds_load_b128 v[70:73], v12 offset:1056
	ds_load_b128 v[74:77], v12 offset:1072
	ds_load_2addr_b64 v[78:81], v10 offset0:224 offset1:240
	s_cmp_ge_i32 s11, s3
	s_waitcnt lgkmcnt(0)
	s_barrier
	buffer_gl0_inv
	v_dual_mul_f32 v82, v23, v19 :: v_dual_mul_f32 v85, v22, v21
	v_dual_mul_f32 v83, v22, v19 :: v_dual_mul_f32 v84, v23, v21
	v_mul_f32_e32 v86, v27, v19
	v_dual_mul_f32 v19, v26, v19 :: v_dual_mul_f32 v90, v25, v37
	v_dual_mul_f32 v87, v27, v21 :: v_dual_mul_f32 v88, v25, v35
	v_mul_f32_e32 v21, v26, v21
	v_fma_f32 v82, v22, v18, -v82
	v_fmac_f32_e32 v83, v23, v18
	v_fma_f32 v22, v22, v20, -v84
	v_fmac_f32_e32 v85, v23, v20
	v_fma_f32 v23, v26, v18, -v86
	v_dual_fmac_f32 v19, v27, v18 :: v_dual_mul_f32 v86, v30, v47
	v_fma_f32 v18, v26, v20, -v87
	v_dual_fmac_f32 v21, v27, v20 :: v_dual_mul_f32 v20, v24, v37
	v_mul_f32_e32 v89, v24, v35
	v_mul_f32_e32 v26, v29, v35
	;; [unrolled: 1-line block ×4, first 2 shown]
	v_fmac_f32_e32 v20, v25, v36
	v_fmac_f32_e32 v89, v25, v34
	v_dual_mul_f32 v25, v28, v37 :: v_dual_fmac_f32 v86, v31, v46
	v_fma_f32 v84, v24, v34, -v88
	v_fma_f32 v24, v24, v36, -v90
	v_dual_mul_f32 v37, v31, v47 :: v_dual_mul_f32 v90, v33, v57
	v_fma_f32 v26, v28, v34, -v26
	v_fma_f32 v28, v28, v36, -v35
	v_fmac_f32_e32 v25, v29, v36
	v_dual_mul_f32 v35, v50, v47 :: v_dual_mul_f32 v36, v51, v49
	v_dual_fmac_f32 v27, v29, v34 :: v_dual_mul_f32 v34, v51, v47
	v_dual_mul_f32 v88, v32, v55 :: v_dual_mul_f32 v29, v30, v49
	v_mul_f32_e32 v87, v31, v49
	v_fma_f32 v37, v30, v46, -v37
	v_add_f32_e32 v16, v16, v82
	s_delay_alu instid0(VALU_DEP_4)
	v_dual_fmac_f32 v88, v33, v54 :: v_dual_fmac_f32 v29, v31, v48
	v_fma_f32 v31, v50, v46, -v34
	v_fma_f32 v34, v50, v48, -v36
	v_mul_f32_e32 v36, v32, v57
	v_mul_f32_e32 v47, v50, v49
	v_dual_mul_f32 v50, v53, v57 :: v_dual_fmac_f32 v35, v51, v46
	v_mul_f32_e32 v46, v53, v55
	v_mul_f32_e32 v49, v33, v55
	v_fma_f32 v30, v30, v48, -v87
	v_fmac_f32_e32 v36, v33, v56
	v_dual_fmac_f32 v47, v51, v48 :: v_dual_mul_f32 v48, v52, v55
	v_mul_f32_e32 v33, v52, v57
	v_fma_f32 v46, v52, v54, -v46
	v_fma_f32 v50, v52, v56, -v50
	v_mul_f32_e32 v52, v38, v61
	v_fma_f32 v49, v32, v54, -v49
	v_fma_f32 v32, v32, v56, -v90
	v_dual_mul_f32 v51, v39, v59 :: v_dual_fmac_f32 v48, v53, v54
	v_mul_f32_e32 v54, v70, v59
	v_dual_mul_f32 v55, v38, v59 :: v_dual_fmac_f32 v52, v39, v60
	v_fmac_f32_e32 v33, v53, v56
	v_mul_f32_e32 v53, v71, v59
	v_mul_f32_e32 v56, v71, v61
	v_mul_f32_e32 v57, v39, v61
	v_fmac_f32_e32 v54, v71, v58
	v_fmac_f32_e32 v55, v39, v58
	v_fma_f32 v39, v70, v58, -v53
	v_fma_f32 v53, v70, v60, -v56
	v_mul_f32_e32 v56, v40, v65
	v_mul_f32_e32 v59, v70, v61
	v_fma_f32 v51, v38, v58, -v51
	v_mul_f32_e32 v58, v72, v63
	v_mul_f32_e32 v87, v40, v63
	;; [unrolled: 1-line block ×4, first 2 shown]
	v_fma_f32 v38, v38, v60, -v57
	v_mul_f32_e32 v57, v73, v63
	v_fmac_f32_e32 v56, v41, v64
	v_dual_fmac_f32 v59, v71, v60 :: v_dual_mul_f32 v60, v73, v65
	v_mul_f32_e32 v63, v43, v67
	v_mul_f32_e32 v70, v43, v69
	v_fmac_f32_e32 v58, v73, v62
	v_fmac_f32_e32 v87, v41, v62
	v_mul_f32_e32 v41, v72, v65
	v_fma_f32 v61, v40, v62, -v61
	v_fma_f32 v40, v40, v64, -v90
	v_mul_f32_e32 v65, v42, v67
	v_fma_f32 v57, v72, v62, -v57
	v_fma_f32 v60, v72, v64, -v60
	v_dual_fmac_f32 v41, v73, v64 :: v_dual_mul_f32 v62, v42, v69
	v_mul_f32_e32 v64, v75, v67
	v_fma_f32 v63, v42, v66, -v63
	v_fma_f32 v42, v42, v68, -v70
	v_mul_f32_e32 v70, v76, v79
	v_mul_f32_e32 v67, v74, v67
	;; [unrolled: 1-line block ×3, first 2 shown]
	v_dual_mul_f32 v69, v74, v69 :: v_dual_add_f32 v8, v8, v19
	v_mul_f32_e32 v73, v44, v79
	v_dual_fmac_f32 v65, v43, v66 :: v_dual_add_f32 v16, v16, v84
	v_fmac_f32_e32 v62, v43, v68
	v_fma_f32 v43, v74, v66, -v64
	v_fmac_f32_e32 v70, v77, v78
	v_dual_fmac_f32 v67, v75, v66 :: v_dual_add_f32 v8, v8, v27
	v_mul_f32_e32 v66, v44, v81
	v_mul_f32_e32 v72, v45, v79
	v_dual_mul_f32 v90, v45, v81 :: v_dual_fmac_f32 v69, v75, v68
	v_add_f32_e32 v0, v0, v18
	v_dual_fmac_f32 v73, v45, v78 :: v_dual_add_f32 v16, v16, v37
	v_dual_fmac_f32 v66, v45, v80 :: v_dual_mul_f32 v45, v76, v81
	v_fma_f32 v64, v74, v68, -v71
	s_delay_alu instid0(VALU_DEP_4) | instskip(NEXT) | instid1(VALU_DEP_3)
	v_dual_mul_f32 v71, v77, v81 :: v_dual_add_f32 v0, v0, v28
	v_dual_add_f32 v8, v8, v35 :: v_dual_fmac_f32 v45, v77, v80
	v_add_f32_e32 v17, v17, v83
	v_dual_add_f32 v11, v11, v22 :: v_dual_add_f32 v16, v16, v49
	s_delay_alu instid0(VALU_DEP_3) | instskip(SKIP_1) | instid1(VALU_DEP_3)
	v_dual_add_f32 v13, v13, v85 :: v_dual_add_f32 v8, v8, v48
	v_dual_add_f32 v0, v0, v34 :: v_dual_add_f32 v9, v9, v23
	;; [unrolled: 1-line block ×3, first 2 shown]
	s_delay_alu instid0(VALU_DEP_3) | instskip(NEXT) | instid1(VALU_DEP_3)
	v_dual_add_f32 v17, v17, v89 :: v_dual_add_f32 v8, v8, v54
	v_dual_add_f32 v0, v0, v50 :: v_dual_add_f32 v11, v11, v24
	s_delay_alu instid0(VALU_DEP_3) | instskip(NEXT) | instid1(VALU_DEP_3)
	v_dual_add_f32 v13, v13, v20 :: v_dual_add_f32 v16, v16, v61
	v_dual_add_f32 v1, v1, v25 :: v_dual_add_f32 v8, v8, v58
	s_delay_alu instid0(VALU_DEP_3) | instskip(SKIP_1) | instid1(VALU_DEP_4)
	v_dual_add_f32 v0, v0, v53 :: v_dual_add_f32 v9, v9, v26
	v_fma_f32 v72, v44, v78, -v72
	v_dual_add_f32 v17, v17, v86 :: v_dual_add_f32 v16, v16, v63
	s_delay_alu instid0(VALU_DEP_4) | instskip(NEXT) | instid1(VALU_DEP_4)
	v_dual_add_f32 v11, v11, v30 :: v_dual_add_f32 v8, v8, v67
	v_dual_add_f32 v1, v1, v47 :: v_dual_add_f32 v0, v0, v60
	v_add_f32_e32 v13, v13, v29
	s_delay_alu instid0(VALU_DEP_4)
	v_dual_add_f32 v9, v9, v31 :: v_dual_add_f32 v16, v16, v72
	v_fma_f32 v71, v76, v80, -v71
	v_add_f32_e32 v11, v11, v32
	v_add_f32_e32 v0, v0, v64
	;; [unrolled: 1-line block ×6, first 2 shown]
	v_dual_add_f32 v0, v0, v71 :: v_dual_add_f32 v1, v1, v33
	v_add_f32_e32 v17, v17, v55
	v_add_f32_e32 v11, v11, v38
	;; [unrolled: 1-line block ×5, first 2 shown]
	v_mul_f32_e32 v68, v77, v79
	v_add_f32_e32 v17, v17, v87
	v_add_f32_e32 v11, v11, v40
	;; [unrolled: 1-line block ×5, first 2 shown]
	v_fma_f32 v44, v44, v80, -v90
	v_fma_f32 v68, v76, v78, -v68
	v_add_f32_e32 v17, v17, v65
	v_add_f32_e32 v11, v11, v42
	;; [unrolled: 1-line block ×10, first 2 shown]
	s_cbranch_scc0 .LBB646_2
.LBB646_3:
	s_load_b32 s3, s[0:1], 0x50
	v_add_nc_u32_e32 v7, s12, v7
	v_add_nc_u32_e32 v2, s10, v6
	s_delay_alu instid0(VALU_DEP_2) | instskip(NEXT) | instid1(VALU_DEP_2)
	v_cmp_gt_i32_e32 vcc_lo, s2, v7
	v_cmp_le_i32_e64 s0, v2, v7
	s_delay_alu instid0(VALU_DEP_1) | instskip(SKIP_2) | instid1(VALU_DEP_1)
	s_and_b32 s0, vcc_lo, s0
	s_waitcnt lgkmcnt(0)
	v_mad_i64_i32 v[3:4], null, v7, s3, 0
	v_lshlrev_b64 v[3:4], 3, v[3:4]
	s_delay_alu instid0(VALU_DEP_1) | instskip(NEXT) | instid1(VALU_DEP_1)
	v_add_co_u32 v6, s1, s8, v3
	v_add_co_ci_u32_e64 v10, s1, s9, v4, s1
	s_and_saveexec_b32 s1, s0
	s_cbranch_execz .LBB646_5
; %bb.4:
	v_ashrrev_i32_e32 v3, 31, v2
	v_mul_f32_e32 v4, s4, v17
	v_mul_f32_e32 v5, s5, v17
	s_delay_alu instid0(VALU_DEP_3) | instskip(NEXT) | instid1(VALU_DEP_3)
	v_lshlrev_b64 v[14:15], 3, v[2:3]
	v_fmac_f32_e32 v4, s5, v16
	s_delay_alu instid0(VALU_DEP_3) | instskip(NEXT) | instid1(VALU_DEP_3)
	v_fma_f32 v3, v16, s4, -v5
	v_add_co_u32 v14, s0, v6, v14
	s_delay_alu instid0(VALU_DEP_1)
	v_add_co_ci_u32_e64 v15, s0, v10, v15, s0
	global_store_b64 v[14:15], v[3:4], off
.LBB646_5:
	s_or_b32 exec_lo, exec_lo, s1
	v_add_nc_u32_e32 v4, 16, v2
	s_delay_alu instid0(VALU_DEP_1) | instskip(NEXT) | instid1(VALU_DEP_1)
	v_cmp_le_i32_e64 s0, v4, v7
	s_and_b32 s1, vcc_lo, s0
	s_delay_alu instid0(SALU_CYCLE_1)
	s_and_saveexec_b32 s0, s1
	s_cbranch_execz .LBB646_7
; %bb.6:
	v_ashrrev_i32_e32 v5, 31, v4
	v_mul_f32_e32 v3, s5, v13
	v_mul_f32_e32 v13, s4, v13
	s_delay_alu instid0(VALU_DEP_3) | instskip(NEXT) | instid1(VALU_DEP_3)
	v_lshlrev_b64 v[14:15], 3, v[4:5]
	v_fma_f32 v12, v11, s4, -v3
	s_delay_alu instid0(VALU_DEP_3) | instskip(NEXT) | instid1(VALU_DEP_3)
	v_fmac_f32_e32 v13, s5, v11
	v_add_co_u32 v5, vcc_lo, v6, v14
	s_delay_alu instid0(VALU_DEP_4)
	v_add_co_ci_u32_e32 v6, vcc_lo, v10, v15, vcc_lo
	global_store_b64 v[5:6], v[12:13], off
.LBB646_7:
	s_or_b32 exec_lo, exec_lo, s0
	v_add_nc_u32_e32 v5, 16, v7
	s_delay_alu instid0(VALU_DEP_1) | instskip(SKIP_2) | instid1(VALU_DEP_1)
	v_mad_i64_i32 v[6:7], null, v5, s3, 0
	v_cmp_gt_i32_e32 vcc_lo, s2, v5
	v_cmp_le_i32_e64 s0, v2, v5
	s_and_b32 s0, vcc_lo, s0
	s_delay_alu instid0(VALU_DEP_3) | instskip(NEXT) | instid1(VALU_DEP_1)
	v_lshlrev_b64 v[6:7], 3, v[6:7]
	v_add_co_u32 v6, s1, s8, v6
	s_delay_alu instid0(VALU_DEP_1)
	v_add_co_ci_u32_e64 v7, s1, s9, v7, s1
	s_and_saveexec_b32 s1, s0
	s_cbranch_execz .LBB646_9
; %bb.8:
	v_ashrrev_i32_e32 v3, 31, v2
	v_mul_f32_e32 v11, s4, v8
	v_mul_f32_e32 v10, s5, v8
	s_delay_alu instid0(VALU_DEP_3) | instskip(NEXT) | instid1(VALU_DEP_3)
	v_lshlrev_b64 v[2:3], 3, v[2:3]
	v_fmac_f32_e32 v11, s5, v9
	s_delay_alu instid0(VALU_DEP_3) | instskip(NEXT) | instid1(VALU_DEP_3)
	v_fma_f32 v10, v9, s4, -v10
	v_add_co_u32 v2, s0, v6, v2
	s_delay_alu instid0(VALU_DEP_1)
	v_add_co_ci_u32_e64 v3, s0, v7, v3, s0
	global_store_b64 v[2:3], v[10:11], off
.LBB646_9:
	s_or_b32 exec_lo, exec_lo, s1
	v_cmp_le_i32_e64 s0, v4, v5
	s_delay_alu instid0(VALU_DEP_1) | instskip(NEXT) | instid1(SALU_CYCLE_1)
	s_and_b32 s0, vcc_lo, s0
	s_and_saveexec_b32 s1, s0
	s_cbranch_execz .LBB646_11
; %bb.10:
	v_ashrrev_i32_e32 v5, 31, v4
	v_mul_f32_e32 v8, s5, v1
	v_mul_f32_e32 v2, s4, v1
	s_delay_alu instid0(VALU_DEP_3) | instskip(NEXT) | instid1(VALU_DEP_3)
	v_lshlrev_b64 v[3:4], 3, v[4:5]
	v_fma_f32 v1, v0, s4, -v8
	s_delay_alu instid0(VALU_DEP_3) | instskip(NEXT) | instid1(VALU_DEP_3)
	v_fmac_f32_e32 v2, s5, v0
	v_add_co_u32 v3, vcc_lo, v6, v3
	s_delay_alu instid0(VALU_DEP_4)
	v_add_co_ci_u32_e32 v4, vcc_lo, v7, v4, vcc_lo
	global_store_b64 v[3:4], v[1:2], off
.LBB646_11:
	s_nop 0
	s_sendmsg sendmsg(MSG_DEALLOC_VGPRS)
	s_endpgm
	.section	.rodata,"a",@progbits
	.p2align	6, 0x0
	.amdhsa_kernel _ZL37rocblas_syrkx_herkx_restricted_kernelIi19rocblas_complex_numIfELi16ELi32ELi8ELb1ELb0ELc67ELc85EKPKS1_KPS1_EviT_T0_PT8_S7_lSA_S7_lS8_PT9_S7_li
		.amdhsa_group_segment_fixed_size 4096
		.amdhsa_private_segment_fixed_size 0
		.amdhsa_kernarg_size 100
		.amdhsa_user_sgpr_count 13
		.amdhsa_user_sgpr_dispatch_ptr 0
		.amdhsa_user_sgpr_queue_ptr 0
		.amdhsa_user_sgpr_kernarg_segment_ptr 1
		.amdhsa_user_sgpr_dispatch_id 0
		.amdhsa_user_sgpr_private_segment_size 0
		.amdhsa_wavefront_size32 1
		.amdhsa_uses_dynamic_stack 0
		.amdhsa_enable_private_segment 0
		.amdhsa_system_sgpr_workgroup_id_x 1
		.amdhsa_system_sgpr_workgroup_id_y 1
		.amdhsa_system_sgpr_workgroup_id_z 1
		.amdhsa_system_sgpr_workgroup_info 0
		.amdhsa_system_vgpr_workitem_id 1
		.amdhsa_next_free_vgpr 91
		.amdhsa_next_free_sgpr 19
		.amdhsa_reserve_vcc 1
		.amdhsa_float_round_mode_32 0
		.amdhsa_float_round_mode_16_64 0
		.amdhsa_float_denorm_mode_32 3
		.amdhsa_float_denorm_mode_16_64 3
		.amdhsa_dx10_clamp 1
		.amdhsa_ieee_mode 1
		.amdhsa_fp16_overflow 0
		.amdhsa_workgroup_processor_mode 1
		.amdhsa_memory_ordered 1
		.amdhsa_forward_progress 0
		.amdhsa_shared_vgpr_count 0
		.amdhsa_exception_fp_ieee_invalid_op 0
		.amdhsa_exception_fp_denorm_src 0
		.amdhsa_exception_fp_ieee_div_zero 0
		.amdhsa_exception_fp_ieee_overflow 0
		.amdhsa_exception_fp_ieee_underflow 0
		.amdhsa_exception_fp_ieee_inexact 0
		.amdhsa_exception_int_div_zero 0
	.end_amdhsa_kernel
	.section	.text._ZL37rocblas_syrkx_herkx_restricted_kernelIi19rocblas_complex_numIfELi16ELi32ELi8ELb1ELb0ELc67ELc85EKPKS1_KPS1_EviT_T0_PT8_S7_lSA_S7_lS8_PT9_S7_li,"axG",@progbits,_ZL37rocblas_syrkx_herkx_restricted_kernelIi19rocblas_complex_numIfELi16ELi32ELi8ELb1ELb0ELc67ELc85EKPKS1_KPS1_EviT_T0_PT8_S7_lSA_S7_lS8_PT9_S7_li,comdat
.Lfunc_end646:
	.size	_ZL37rocblas_syrkx_herkx_restricted_kernelIi19rocblas_complex_numIfELi16ELi32ELi8ELb1ELb0ELc67ELc85EKPKS1_KPS1_EviT_T0_PT8_S7_lSA_S7_lS8_PT9_S7_li, .Lfunc_end646-_ZL37rocblas_syrkx_herkx_restricted_kernelIi19rocblas_complex_numIfELi16ELi32ELi8ELb1ELb0ELc67ELc85EKPKS1_KPS1_EviT_T0_PT8_S7_lSA_S7_lS8_PT9_S7_li
                                        ; -- End function
	.section	.AMDGPU.csdata,"",@progbits
; Kernel info:
; codeLenInByte = 2072
; NumSgprs: 21
; NumVgprs: 91
; ScratchSize: 0
; MemoryBound: 0
; FloatMode: 240
; IeeeMode: 1
; LDSByteSize: 4096 bytes/workgroup (compile time only)
; SGPRBlocks: 2
; VGPRBlocks: 11
; NumSGPRsForWavesPerEU: 21
; NumVGPRsForWavesPerEU: 91
; Occupancy: 16
; WaveLimiterHint : 1
; COMPUTE_PGM_RSRC2:SCRATCH_EN: 0
; COMPUTE_PGM_RSRC2:USER_SGPR: 13
; COMPUTE_PGM_RSRC2:TRAP_HANDLER: 0
; COMPUTE_PGM_RSRC2:TGID_X_EN: 1
; COMPUTE_PGM_RSRC2:TGID_Y_EN: 1
; COMPUTE_PGM_RSRC2:TGID_Z_EN: 1
; COMPUTE_PGM_RSRC2:TIDIG_COMP_CNT: 1
	.section	.text._ZL37rocblas_syrkx_herkx_restricted_kernelIi19rocblas_complex_numIfELi16ELi32ELi8ELb1ELb0ELc78ELc85EKPKS1_KPS1_EviT_T0_PT8_S7_lSA_S7_lS8_PT9_S7_li,"axG",@progbits,_ZL37rocblas_syrkx_herkx_restricted_kernelIi19rocblas_complex_numIfELi16ELi32ELi8ELb1ELb0ELc78ELc85EKPKS1_KPS1_EviT_T0_PT8_S7_lSA_S7_lS8_PT9_S7_li,comdat
	.globl	_ZL37rocblas_syrkx_herkx_restricted_kernelIi19rocblas_complex_numIfELi16ELi32ELi8ELb1ELb0ELc78ELc85EKPKS1_KPS1_EviT_T0_PT8_S7_lSA_S7_lS8_PT9_S7_li ; -- Begin function _ZL37rocblas_syrkx_herkx_restricted_kernelIi19rocblas_complex_numIfELi16ELi32ELi8ELb1ELb0ELc78ELc85EKPKS1_KPS1_EviT_T0_PT8_S7_lSA_S7_lS8_PT9_S7_li
	.p2align	8
	.type	_ZL37rocblas_syrkx_herkx_restricted_kernelIi19rocblas_complex_numIfELi16ELi32ELi8ELb1ELb0ELc78ELc85EKPKS1_KPS1_EviT_T0_PT8_S7_lSA_S7_lS8_PT9_S7_li,@function
_ZL37rocblas_syrkx_herkx_restricted_kernelIi19rocblas_complex_numIfELi16ELi32ELi8ELb1ELb0ELc78ELc85EKPKS1_KPS1_EviT_T0_PT8_S7_lSA_S7_lS8_PT9_S7_li: ; @_ZL37rocblas_syrkx_herkx_restricted_kernelIi19rocblas_complex_numIfELi16ELi32ELi8ELb1ELb0ELc78ELc85EKPKS1_KPS1_EviT_T0_PT8_S7_lSA_S7_lS8_PT9_S7_li
; %bb.0:
	s_clause 0x1
	s_load_b64 s[4:5], s[0:1], 0x48
	s_load_b64 s[2:3], s[0:1], 0x0
	s_mov_b32 s10, s15
	s_mov_b32 s11, 0
	v_dual_mov_b32 v17, 0 :: v_dual_and_b32 v4, 0x3ff, v0
	s_lshl_b64 s[16:17], s[10:11], 3
	v_bfe_u32 v5, v0, 10, 10
	v_dual_mov_b32 v16, 0 :: v_dual_mov_b32 v13, 0
	v_dual_mov_b32 v12, 0 :: v_dual_mov_b32 v9, 0
	;; [unrolled: 1-line block ×3, first 2 shown]
	v_mov_b32_e32 v6, 0
	s_waitcnt lgkmcnt(0)
	s_add_u32 s8, s4, s16
	s_addc_u32 s9, s5, s17
	s_load_b128 s[4:7], s[0:1], 0x8
	s_load_b64 s[8:9], s[8:9], 0x0
	s_lshl_b32 s10, s13, 5
	s_lshl_b32 s14, s14, 5
	s_cmp_lt_i32 s3, 1
	s_cbranch_scc1 .LBB647_3
; %bb.1:
	s_clause 0x2
	s_load_b32 s12, s[0:1], 0x18
	s_load_b32 s18, s[0:1], 0x30
	s_load_b64 s[20:21], s[0:1], 0x28
	v_lshl_add_u32 v0, v5, 4, v4
	v_dual_mov_b32 v6, 0 :: v_dual_and_b32 v7, 7, v4
	v_lshlrev_b32_e32 v10, 3, v4
	v_lshl_add_u32 v11, v5, 6, 0x800
	s_delay_alu instid0(VALU_DEP_4) | instskip(SKIP_3) | instid1(VALU_DEP_4)
	v_and_b32_e32 v13, 31, v0
	v_lshrrev_b32_e32 v12, 3, v0
	v_lshrrev_b32_e32 v14, 5, v0
	v_lshlrev_b32_e32 v15, 3, v7
	v_dual_mov_b32 v17, 0 :: v_dual_add_nc_u32 v2, s10, v13
	s_delay_alu instid0(VALU_DEP_4) | instskip(SKIP_1) | instid1(VALU_DEP_4)
	v_add_nc_u32_e32 v0, s14, v12
	v_mov_b32_e32 v16, 0
	v_lshl_or_b32 v12, v12, 6, v15
	s_delay_alu instid0(VALU_DEP_4) | instskip(NEXT) | instid1(VALU_DEP_4)
	v_ashrrev_i32_e32 v3, 31, v2
	v_ashrrev_i32_e32 v1, 31, v0
	s_waitcnt lgkmcnt(0)
	s_ashr_i32 s13, s12, 31
	s_ashr_i32 s19, s18, 31
	s_add_u32 s6, s6, s16
	s_addc_u32 s7, s7, s17
	s_add_u32 s16, s20, s16
	s_load_b64 s[6:7], s[6:7], 0x0
	s_addc_u32 s17, s21, s17
	v_mad_i64_i32 v[8:9], null, s12, v14, v[2:3]
	s_load_b64 s[16:17], s[16:17], 0x0
	v_mad_i64_i32 v[2:3], null, s18, v7, v[0:1]
	v_mov_b32_e32 v7, 0
	v_dual_mov_b32 v12, 0 :: v_dual_add_nc_u32 v15, 0x800, v12
	s_delay_alu instid0(VALU_DEP_4) | instskip(SKIP_3) | instid1(VALU_DEP_1)
	v_lshlrev_b64 v[0:1], 3, v[8:9]
	v_dual_mov_b32 v9, 0 :: v_dual_mov_b32 v8, 0
	v_lshlrev_b64 v[2:3], 3, v[2:3]
	v_lshlrev_b32_e32 v13, 3, v13
	v_lshl_or_b32 v14, v14, 8, v13
	s_waitcnt lgkmcnt(0)
	v_add_co_u32 v0, vcc_lo, v0, s6
	v_add_co_ci_u32_e32 v1, vcc_lo, s7, v1, vcc_lo
	v_add_co_u32 v2, vcc_lo, v2, s16
	v_add_co_ci_u32_e32 v3, vcc_lo, s17, v3, vcc_lo
	s_delay_alu instid0(VALU_DEP_4) | instskip(NEXT) | instid1(VALU_DEP_4)
	v_add_co_u32 v0, vcc_lo, v0, 4
	v_add_co_ci_u32_e32 v1, vcc_lo, 0, v1, vcc_lo
	s_delay_alu instid0(VALU_DEP_4) | instskip(NEXT) | instid1(VALU_DEP_4)
	v_add_co_u32 v2, vcc_lo, v2, 4
	v_add_co_ci_u32_e32 v3, vcc_lo, 0, v3, vcc_lo
	v_mov_b32_e32 v13, 0
	s_lshl_b64 s[6:7], s[12:13], 6
	s_lshl_b64 s[12:13], s[18:19], 6
.LBB647_2:                              ; =>This Inner Loop Header: Depth=1
	global_load_b64 v[18:19], v[0:1], off offset:-4
	global_load_b64 v[20:21], v[2:3], off offset:-4
	v_add_co_u32 v0, vcc_lo, v0, s6
	v_add_co_ci_u32_e32 v1, vcc_lo, s7, v1, vcc_lo
	v_add_co_u32 v2, vcc_lo, v2, s12
	v_add_co_ci_u32_e32 v3, vcc_lo, s13, v3, vcc_lo
	s_add_i32 s11, s11, 8
	s_waitcnt vmcnt(1)
	ds_store_b64 v14, v[18:19]
	s_waitcnt vmcnt(0)
	ds_store_b64 v15, v[20:21]
	s_waitcnt lgkmcnt(0)
	s_barrier
	buffer_gl0_inv
	ds_load_2addr_b64 v[18:21], v10 offset1:16
	ds_load_b128 v[22:25], v11
	ds_load_b128 v[26:29], v11 offset:1024
	ds_load_b128 v[30:33], v11 offset:16
	ds_load_2addr_b64 v[34:37], v10 offset0:32 offset1:48
	ds_load_b128 v[38:41], v11 offset:32
	ds_load_b128 v[42:45], v11 offset:48
	ds_load_2addr_b64 v[46:49], v10 offset0:64 offset1:80
	ds_load_b128 v[50:53], v11 offset:1040
	ds_load_2addr_b64 v[54:57], v10 offset0:96 offset1:112
	ds_load_2addr_b64 v[58:61], v10 offset0:128 offset1:144
	;; [unrolled: 1-line block ×4, first 2 shown]
	ds_load_b128 v[70:73], v11 offset:1056
	ds_load_b128 v[74:77], v11 offset:1072
	ds_load_2addr_b64 v[78:81], v10 offset0:224 offset1:240
	s_cmp_ge_i32 s11, s3
	s_waitcnt lgkmcnt(0)
	s_barrier
	buffer_gl0_inv
	v_dual_mul_f32 v82, v23, v19 :: v_dual_mul_f32 v85, v22, v21
	v_dual_mul_f32 v83, v22, v19 :: v_dual_mul_f32 v84, v23, v21
	v_mul_f32_e32 v86, v27, v19
	v_dual_mul_f32 v19, v26, v19 :: v_dual_mul_f32 v90, v25, v37
	v_dual_mul_f32 v87, v27, v21 :: v_dual_mul_f32 v88, v25, v35
	v_mul_f32_e32 v21, v26, v21
	v_mul_f32_e32 v89, v24, v35
	;; [unrolled: 1-line block ×3, first 2 shown]
	v_fma_f32 v82, v22, v18, -v82
	v_fmac_f32_e32 v83, v23, v18
	v_fma_f32 v22, v22, v20, -v84
	v_dual_fmac_f32 v85, v23, v20 :: v_dual_mul_f32 v84, v30, v47
	v_fma_f32 v23, v26, v18, -v86
	v_fmac_f32_e32 v19, v27, v18
	v_fma_f32 v18, v26, v20, -v87
	v_dual_mul_f32 v26, v28, v35 :: v_dual_fmac_f32 v21, v27, v20
	v_mul_f32_e32 v20, v29, v35
	v_mul_f32_e32 v27, v29, v37
	v_dual_mul_f32 v35, v28, v37 :: v_dual_fmac_f32 v84, v31, v46
	v_fma_f32 v37, v24, v34, -v88
	v_fma_f32 v24, v24, v36, -v90
	v_dual_fmac_f32 v91, v25, v36 :: v_dual_mul_f32 v90, v32, v57
	v_dual_mul_f32 v86, v31, v49 :: v_dual_fmac_f32 v89, v25, v34
	v_dual_mul_f32 v25, v31, v47 :: v_dual_mul_f32 v88, v33, v57
	v_fma_f32 v20, v28, v34, -v20
	v_fmac_f32_e32 v26, v29, v34
	v_fma_f32 v27, v28, v36, -v27
	v_dual_fmac_f32 v35, v29, v36 :: v_dual_mul_f32 v28, v51, v47
	v_dual_mul_f32 v29, v50, v47 :: v_dual_mul_f32 v34, v51, v49
	v_mul_f32_e32 v36, v50, v49
	v_mul_f32_e32 v87, v30, v49
	v_mul_f32_e32 v47, v33, v55
	v_dual_mul_f32 v49, v32, v55 :: v_dual_fmac_f32 v90, v33, v56
	v_fma_f32 v25, v30, v46, -v25
	v_fma_f32 v30, v30, v48, -v86
	;; [unrolled: 1-line block ×3, first 2 shown]
	v_fmac_f32_e32 v36, v51, v48
	v_fmac_f32_e32 v87, v31, v48
	v_fma_f32 v31, v50, v48, -v34
	v_mul_f32_e32 v34, v53, v55
	v_mul_f32_e32 v48, v53, v57
	v_dual_mul_f32 v50, v52, v57 :: v_dual_fmac_f32 v29, v51, v46
	v_mul_f32_e32 v46, v52, v55
	v_fma_f32 v47, v32, v54, -v47
	v_fmac_f32_e32 v49, v33, v54
	v_fma_f32 v32, v32, v56, -v88
	s_delay_alu instid0(VALU_DEP_4)
	v_dual_mul_f32 v33, v39, v59 :: v_dual_fmac_f32 v46, v53, v54
	v_mul_f32_e32 v51, v38, v59
	v_mul_f32_e32 v55, v39, v61
	v_fma_f32 v34, v52, v54, -v34
	v_fma_f32 v48, v52, v56, -v48
	v_fmac_f32_e32 v50, v53, v56
	v_mul_f32_e32 v52, v71, v59
	v_dual_mul_f32 v53, v70, v59 :: v_dual_mul_f32 v86, v41, v65
	v_mul_f32_e32 v54, v71, v61
	v_dual_mul_f32 v56, v70, v61 :: v_dual_mul_f32 v59, v41, v63
	v_mul_f32_e32 v57, v38, v61
	v_mul_f32_e32 v61, v40, v63
	v_dual_mul_f32 v88, v40, v65 :: v_dual_fmac_f32 v51, v39, v58
	v_fma_f32 v33, v38, v58, -v33
	v_fmac_f32_e32 v53, v71, v58
	v_fmac_f32_e32 v56, v71, v60
	s_delay_alu instid0(VALU_DEP_4)
	v_fmac_f32_e32 v88, v41, v64
	v_fmac_f32_e32 v57, v39, v60
	v_fma_f32 v39, v70, v58, -v52
	v_fma_f32 v52, v70, v60, -v54
	v_mul_f32_e32 v54, v73, v63
	v_fma_f32 v38, v38, v60, -v55
	v_mul_f32_e32 v60, v72, v65
	v_dual_mul_f32 v55, v72, v63 :: v_dual_mul_f32 v70, v42, v69
	v_mul_f32_e32 v58, v73, v65
	v_fma_f32 v59, v40, v62, -v59
	v_fmac_f32_e32 v61, v41, v62
	v_fma_f32 v40, v40, v64, -v86
	v_dual_mul_f32 v41, v43, v67 :: v_dual_fmac_f32 v60, v73, v64
	v_dual_mul_f32 v63, v42, v67 :: v_dual_mul_f32 v86, v44, v81
	v_mul_f32_e32 v65, v43, v69
	v_fma_f32 v54, v72, v62, -v54
	v_fmac_f32_e32 v55, v73, v62
	v_fma_f32 v58, v72, v64, -v58
	v_mul_f32_e32 v72, v44, v79
	v_mul_f32_e32 v62, v75, v67
	v_dual_mul_f32 v64, v74, v67 :: v_dual_mul_f32 v67, v75, v69
	v_dual_mul_f32 v69, v74, v69 :: v_dual_fmac_f32 v70, v43, v68
	s_delay_alu instid0(VALU_DEP_2)
	v_dual_mul_f32 v71, v45, v79 :: v_dual_fmac_f32 v64, v75, v66
	v_dual_mul_f32 v73, v45, v81 :: v_dual_add_f32 v16, v16, v82
	v_fma_f32 v41, v42, v66, -v41
	v_fmac_f32_e32 v63, v43, v66
	v_fma_f32 v42, v42, v68, -v65
	v_fma_f32 v43, v74, v66, -v62
	v_dual_mul_f32 v65, v77, v79 :: v_dual_add_f32 v12, v12, v22
	v_mul_f32_e32 v66, v76, v79
	v_fma_f32 v62, v74, v68, -v67
	v_dual_mul_f32 v67, v77, v81 :: v_dual_add_f32 v8, v8, v19
	v_dual_fmac_f32 v86, v45, v80 :: v_dual_add_f32 v7, v7, v18
	v_dual_add_f32 v17, v17, v83 :: v_dual_add_f32 v6, v6, v21
	v_dual_add_f32 v13, v13, v85 :: v_dual_add_f32 v12, v12, v24
	;; [unrolled: 1-line block ×3, first 2 shown]
	v_dual_fmac_f32 v69, v75, v68 :: v_dual_fmac_f32 v72, v45, v78
	v_mul_f32_e32 v68, v76, v81
	v_dual_fmac_f32 v66, v77, v78 :: v_dual_add_f32 v7, v7, v27
	v_dual_add_f32 v17, v17, v89 :: v_dual_add_f32 v8, v8, v26
	v_dual_add_f32 v13, v13, v91 :: v_dual_add_f32 v16, v16, v25
	;; [unrolled: 1-line block ×3, first 2 shown]
	s_delay_alu instid0(VALU_DEP_4) | instskip(NEXT) | instid1(VALU_DEP_4)
	v_dual_fmac_f32 v68, v77, v80 :: v_dual_add_f32 v7, v7, v31
	v_dual_add_f32 v17, v17, v84 :: v_dual_add_f32 v12, v12, v30
	s_delay_alu instid0(VALU_DEP_4) | instskip(NEXT) | instid1(VALU_DEP_4)
	v_dual_add_f32 v13, v13, v87 :: v_dual_add_f32 v8, v8, v29
	v_dual_add_f32 v9, v9, v28 :: v_dual_add_f32 v16, v16, v47
	s_delay_alu instid0(VALU_DEP_3) | instskip(NEXT) | instid1(VALU_DEP_3)
	v_dual_add_f32 v6, v6, v36 :: v_dual_add_f32 v17, v17, v49
	v_dual_add_f32 v12, v12, v32 :: v_dual_add_f32 v13, v13, v90
	s_delay_alu instid0(VALU_DEP_3) | instskip(SKIP_1) | instid1(VALU_DEP_4)
	v_dual_add_f32 v9, v9, v34 :: v_dual_add_f32 v16, v16, v33
	v_dual_add_f32 v8, v8, v46 :: v_dual_add_f32 v7, v7, v48
	;; [unrolled: 1-line block ×3, first 2 shown]
	s_delay_alu instid0(VALU_DEP_4) | instskip(NEXT) | instid1(VALU_DEP_3)
	v_dual_add_f32 v12, v12, v38 :: v_dual_add_f32 v13, v13, v57
	v_dual_add_f32 v9, v9, v39 :: v_dual_add_f32 v8, v8, v53
	s_delay_alu instid0(VALU_DEP_4) | instskip(NEXT) | instid1(VALU_DEP_4)
	v_dual_add_f32 v7, v7, v52 :: v_dual_add_f32 v16, v16, v59
	v_dual_add_f32 v6, v6, v56 :: v_dual_add_f32 v17, v17, v61
	s_delay_alu instid0(VALU_DEP_3) | instskip(NEXT) | instid1(VALU_DEP_4)
	v_dual_add_f32 v12, v12, v40 :: v_dual_add_f32 v9, v9, v54
	v_dual_add_f32 v13, v13, v88 :: v_dual_add_f32 v8, v8, v55
	s_delay_alu instid0(VALU_DEP_3)
	v_dual_add_f32 v7, v7, v58 :: v_dual_add_f32 v6, v6, v60
	v_fma_f32 v71, v44, v78, -v71
	v_fma_f32 v44, v44, v80, -v73
	;; [unrolled: 1-line block ×4, first 2 shown]
	v_dual_add_f32 v16, v16, v41 :: v_dual_add_f32 v17, v17, v63
	v_dual_add_f32 v12, v12, v42 :: v_dual_add_f32 v9, v9, v43
	;; [unrolled: 1-line block ×4, first 2 shown]
	s_delay_alu instid0(VALU_DEP_4) | instskip(NEXT) | instid1(VALU_DEP_3)
	v_dual_add_f32 v16, v16, v71 :: v_dual_add_f32 v17, v17, v72
	v_dual_add_f32 v12, v12, v44 :: v_dual_add_f32 v13, v13, v86
	s_delay_alu instid0(VALU_DEP_4) | instskip(NEXT) | instid1(VALU_DEP_4)
	v_dual_add_f32 v9, v9, v45 :: v_dual_add_f32 v8, v8, v66
	v_dual_add_f32 v7, v7, v65 :: v_dual_add_f32 v6, v6, v68
	s_cbranch_scc0 .LBB647_2
.LBB647_3:
	s_load_b32 s3, s[0:1], 0x50
	v_add_nc_u32_e32 v5, s14, v5
	v_add_nc_u32_e32 v0, s10, v4
	s_delay_alu instid0(VALU_DEP_2) | instskip(NEXT) | instid1(VALU_DEP_2)
	v_cmp_gt_i32_e32 vcc_lo, s2, v5
	v_cmp_le_i32_e64 s0, v0, v5
	s_delay_alu instid0(VALU_DEP_1) | instskip(SKIP_2) | instid1(VALU_DEP_1)
	s_and_b32 s0, vcc_lo, s0
	s_waitcnt lgkmcnt(0)
	v_mad_i64_i32 v[1:2], null, v5, s3, 0
	v_lshlrev_b64 v[1:2], 3, v[1:2]
	s_delay_alu instid0(VALU_DEP_1) | instskip(NEXT) | instid1(VALU_DEP_1)
	v_add_co_u32 v4, s1, s8, v1
	v_add_co_ci_u32_e64 v10, s1, s9, v2, s1
	s_and_saveexec_b32 s1, s0
	s_cbranch_execz .LBB647_5
; %bb.4:
	v_ashrrev_i32_e32 v1, 31, v0
	v_mul_f32_e32 v2, s4, v17
	v_mul_f32_e32 v3, s5, v17
	s_delay_alu instid0(VALU_DEP_3) | instskip(NEXT) | instid1(VALU_DEP_3)
	v_lshlrev_b64 v[14:15], 3, v[0:1]
	v_fmac_f32_e32 v2, s5, v16
	s_delay_alu instid0(VALU_DEP_3) | instskip(NEXT) | instid1(VALU_DEP_3)
	v_fma_f32 v1, v16, s4, -v3
	v_add_co_u32 v14, s0, v4, v14
	s_delay_alu instid0(VALU_DEP_1)
	v_add_co_ci_u32_e64 v15, s0, v10, v15, s0
	global_store_b64 v[14:15], v[1:2], off
.LBB647_5:
	s_or_b32 exec_lo, exec_lo, s1
	v_add_nc_u32_e32 v2, 16, v0
	s_delay_alu instid0(VALU_DEP_1) | instskip(NEXT) | instid1(VALU_DEP_1)
	v_cmp_le_i32_e64 s0, v2, v5
	s_and_b32 s1, vcc_lo, s0
	s_delay_alu instid0(SALU_CYCLE_1)
	s_and_saveexec_b32 s0, s1
	s_cbranch_execz .LBB647_7
; %bb.6:
	v_ashrrev_i32_e32 v3, 31, v2
	v_mul_f32_e32 v14, s4, v13
	v_mul_f32_e32 v1, s5, v13
	s_delay_alu instid0(VALU_DEP_3) | instskip(NEXT) | instid1(VALU_DEP_3)
	v_lshlrev_b64 v[15:16], 3, v[2:3]
	v_fmac_f32_e32 v14, s5, v12
	s_delay_alu instid0(VALU_DEP_3) | instskip(NEXT) | instid1(VALU_DEP_3)
	v_fma_f32 v13, v12, s4, -v1
	v_add_co_u32 v3, vcc_lo, v4, v15
	s_delay_alu instid0(VALU_DEP_4)
	v_add_co_ci_u32_e32 v4, vcc_lo, v10, v16, vcc_lo
	global_store_b64 v[3:4], v[13:14], off
.LBB647_7:
	s_or_b32 exec_lo, exec_lo, s0
	v_add_nc_u32_e32 v3, 16, v5
	s_delay_alu instid0(VALU_DEP_1) | instskip(SKIP_2) | instid1(VALU_DEP_1)
	v_mad_i64_i32 v[4:5], null, v3, s3, 0
	v_cmp_gt_i32_e32 vcc_lo, s2, v3
	v_cmp_le_i32_e64 s0, v0, v3
	s_and_b32 s0, vcc_lo, s0
	s_delay_alu instid0(VALU_DEP_3) | instskip(NEXT) | instid1(VALU_DEP_1)
	v_lshlrev_b64 v[4:5], 3, v[4:5]
	v_add_co_u32 v4, s1, s8, v4
	s_delay_alu instid0(VALU_DEP_1)
	v_add_co_ci_u32_e64 v5, s1, s9, v5, s1
	s_and_saveexec_b32 s1, s0
	s_cbranch_execz .LBB647_9
; %bb.8:
	v_ashrrev_i32_e32 v1, 31, v0
	v_mul_f32_e32 v11, s4, v8
	v_mul_f32_e32 v10, s5, v8
	s_delay_alu instid0(VALU_DEP_3) | instskip(NEXT) | instid1(VALU_DEP_3)
	v_lshlrev_b64 v[0:1], 3, v[0:1]
	v_fmac_f32_e32 v11, s5, v9
	s_delay_alu instid0(VALU_DEP_3) | instskip(NEXT) | instid1(VALU_DEP_3)
	v_fma_f32 v10, v9, s4, -v10
	v_add_co_u32 v0, s0, v4, v0
	s_delay_alu instid0(VALU_DEP_1)
	v_add_co_ci_u32_e64 v1, s0, v5, v1, s0
	global_store_b64 v[0:1], v[10:11], off
.LBB647_9:
	s_or_b32 exec_lo, exec_lo, s1
	v_cmp_le_i32_e64 s0, v2, v3
	s_delay_alu instid0(VALU_DEP_1) | instskip(NEXT) | instid1(SALU_CYCLE_1)
	s_and_b32 s0, vcc_lo, s0
	s_and_saveexec_b32 s1, s0
	s_cbranch_execz .LBB647_11
; %bb.10:
	v_ashrrev_i32_e32 v3, 31, v2
	v_mul_f32_e32 v1, s4, v6
	v_mul_f32_e32 v0, s5, v6
	s_delay_alu instid0(VALU_DEP_3) | instskip(NEXT) | instid1(VALU_DEP_3)
	v_lshlrev_b64 v[2:3], 3, v[2:3]
	v_fmac_f32_e32 v1, s5, v7
	s_delay_alu instid0(VALU_DEP_3) | instskip(NEXT) | instid1(VALU_DEP_3)
	v_fma_f32 v0, v7, s4, -v0
	v_add_co_u32 v2, vcc_lo, v4, v2
	s_delay_alu instid0(VALU_DEP_4)
	v_add_co_ci_u32_e32 v3, vcc_lo, v5, v3, vcc_lo
	global_store_b64 v[2:3], v[0:1], off
.LBB647_11:
	s_nop 0
	s_sendmsg sendmsg(MSG_DEALLOC_VGPRS)
	s_endpgm
	.section	.rodata,"a",@progbits
	.p2align	6, 0x0
	.amdhsa_kernel _ZL37rocblas_syrkx_herkx_restricted_kernelIi19rocblas_complex_numIfELi16ELi32ELi8ELb1ELb0ELc78ELc85EKPKS1_KPS1_EviT_T0_PT8_S7_lSA_S7_lS8_PT9_S7_li
		.amdhsa_group_segment_fixed_size 4096
		.amdhsa_private_segment_fixed_size 0
		.amdhsa_kernarg_size 100
		.amdhsa_user_sgpr_count 13
		.amdhsa_user_sgpr_dispatch_ptr 0
		.amdhsa_user_sgpr_queue_ptr 0
		.amdhsa_user_sgpr_kernarg_segment_ptr 1
		.amdhsa_user_sgpr_dispatch_id 0
		.amdhsa_user_sgpr_private_segment_size 0
		.amdhsa_wavefront_size32 1
		.amdhsa_uses_dynamic_stack 0
		.amdhsa_enable_private_segment 0
		.amdhsa_system_sgpr_workgroup_id_x 1
		.amdhsa_system_sgpr_workgroup_id_y 1
		.amdhsa_system_sgpr_workgroup_id_z 1
		.amdhsa_system_sgpr_workgroup_info 0
		.amdhsa_system_vgpr_workitem_id 1
		.amdhsa_next_free_vgpr 92
		.amdhsa_next_free_sgpr 22
		.amdhsa_reserve_vcc 1
		.amdhsa_float_round_mode_32 0
		.amdhsa_float_round_mode_16_64 0
		.amdhsa_float_denorm_mode_32 3
		.amdhsa_float_denorm_mode_16_64 3
		.amdhsa_dx10_clamp 1
		.amdhsa_ieee_mode 1
		.amdhsa_fp16_overflow 0
		.amdhsa_workgroup_processor_mode 1
		.amdhsa_memory_ordered 1
		.amdhsa_forward_progress 0
		.amdhsa_shared_vgpr_count 0
		.amdhsa_exception_fp_ieee_invalid_op 0
		.amdhsa_exception_fp_denorm_src 0
		.amdhsa_exception_fp_ieee_div_zero 0
		.amdhsa_exception_fp_ieee_overflow 0
		.amdhsa_exception_fp_ieee_underflow 0
		.amdhsa_exception_fp_ieee_inexact 0
		.amdhsa_exception_int_div_zero 0
	.end_amdhsa_kernel
	.section	.text._ZL37rocblas_syrkx_herkx_restricted_kernelIi19rocblas_complex_numIfELi16ELi32ELi8ELb1ELb0ELc78ELc85EKPKS1_KPS1_EviT_T0_PT8_S7_lSA_S7_lS8_PT9_S7_li,"axG",@progbits,_ZL37rocblas_syrkx_herkx_restricted_kernelIi19rocblas_complex_numIfELi16ELi32ELi8ELb1ELb0ELc78ELc85EKPKS1_KPS1_EviT_T0_PT8_S7_lSA_S7_lS8_PT9_S7_li,comdat
.Lfunc_end647:
	.size	_ZL37rocblas_syrkx_herkx_restricted_kernelIi19rocblas_complex_numIfELi16ELi32ELi8ELb1ELb0ELc78ELc85EKPKS1_KPS1_EviT_T0_PT8_S7_lSA_S7_lS8_PT9_S7_li, .Lfunc_end647-_ZL37rocblas_syrkx_herkx_restricted_kernelIi19rocblas_complex_numIfELi16ELi32ELi8ELb1ELb0ELc78ELc85EKPKS1_KPS1_EviT_T0_PT8_S7_lSA_S7_lS8_PT9_S7_li
                                        ; -- End function
	.section	.AMDGPU.csdata,"",@progbits
; Kernel info:
; codeLenInByte = 2120
; NumSgprs: 24
; NumVgprs: 92
; ScratchSize: 0
; MemoryBound: 0
; FloatMode: 240
; IeeeMode: 1
; LDSByteSize: 4096 bytes/workgroup (compile time only)
; SGPRBlocks: 2
; VGPRBlocks: 11
; NumSGPRsForWavesPerEU: 24
; NumVGPRsForWavesPerEU: 92
; Occupancy: 16
; WaveLimiterHint : 1
; COMPUTE_PGM_RSRC2:SCRATCH_EN: 0
; COMPUTE_PGM_RSRC2:USER_SGPR: 13
; COMPUTE_PGM_RSRC2:TRAP_HANDLER: 0
; COMPUTE_PGM_RSRC2:TGID_X_EN: 1
; COMPUTE_PGM_RSRC2:TGID_Y_EN: 1
; COMPUTE_PGM_RSRC2:TGID_Z_EN: 1
; COMPUTE_PGM_RSRC2:TIDIG_COMP_CNT: 1
	.section	.text._ZL37rocblas_syrkx_herkx_restricted_kernelIi19rocblas_complex_numIfELi16ELi32ELi8ELb0ELb0ELc84ELc76EKPKS1_KPS1_EviT_T0_PT8_S7_lSA_S7_lS8_PT9_S7_li,"axG",@progbits,_ZL37rocblas_syrkx_herkx_restricted_kernelIi19rocblas_complex_numIfELi16ELi32ELi8ELb0ELb0ELc84ELc76EKPKS1_KPS1_EviT_T0_PT8_S7_lSA_S7_lS8_PT9_S7_li,comdat
	.globl	_ZL37rocblas_syrkx_herkx_restricted_kernelIi19rocblas_complex_numIfELi16ELi32ELi8ELb0ELb0ELc84ELc76EKPKS1_KPS1_EviT_T0_PT8_S7_lSA_S7_lS8_PT9_S7_li ; -- Begin function _ZL37rocblas_syrkx_herkx_restricted_kernelIi19rocblas_complex_numIfELi16ELi32ELi8ELb0ELb0ELc84ELc76EKPKS1_KPS1_EviT_T0_PT8_S7_lSA_S7_lS8_PT9_S7_li
	.p2align	8
	.type	_ZL37rocblas_syrkx_herkx_restricted_kernelIi19rocblas_complex_numIfELi16ELi32ELi8ELb0ELb0ELc84ELc76EKPKS1_KPS1_EviT_T0_PT8_S7_lSA_S7_lS8_PT9_S7_li,@function
_ZL37rocblas_syrkx_herkx_restricted_kernelIi19rocblas_complex_numIfELi16ELi32ELi8ELb0ELb0ELc84ELc76EKPKS1_KPS1_EviT_T0_PT8_S7_lSA_S7_lS8_PT9_S7_li: ; @_ZL37rocblas_syrkx_herkx_restricted_kernelIi19rocblas_complex_numIfELi16ELi32ELi8ELb0ELb0ELc84ELc76EKPKS1_KPS1_EviT_T0_PT8_S7_lSA_S7_lS8_PT9_S7_li
; %bb.0:
	s_clause 0x1
	s_load_b128 s[4:7], s[0:1], 0x40
	s_load_b64 s[16:17], s[0:1], 0x0
	s_mov_b32 s18, s15
	s_mov_b32 s19, 0
	v_dual_mov_b32 v17, 0 :: v_dual_and_b32 v6, 0x3ff, v0
	s_lshl_b64 s[20:21], s[18:19], 3
	v_bfe_u32 v7, v0, 10, 10
	v_dual_mov_b32 v14, 0 :: v_dual_mov_b32 v11, 0
	v_dual_mov_b32 v10, 0 :: v_dual_mov_b32 v9, 0
	;; [unrolled: 1-line block ×3, first 2 shown]
	v_mov_b32_e32 v0, 0
	s_waitcnt lgkmcnt(0)
	s_add_u32 s2, s6, s20
	s_addc_u32 s3, s7, s21
	s_load_b128 s[8:11], s[0:1], 0x8
	s_load_b64 s[2:3], s[2:3], 0x0
	s_lshl_b32 s6, s13, 5
	s_lshl_b32 s7, s14, 5
	s_cmp_lt_i32 s17, 1
	s_cbranch_scc1 .LBB648_3
; %bb.1:
	s_clause 0x2
	s_load_b64 s[12:13], s[0:1], 0x28
	s_load_b32 s14, s[0:1], 0x18
	s_load_b32 s15, s[0:1], 0x30
	v_lshl_add_u32 v2, v7, 4, v6
	v_dual_mov_b32 v1, 0 :: v_dual_and_b32 v0, 7, v6
	v_lshlrev_b32_e32 v12, 3, v6
	s_waitcnt lgkmcnt(0)
	s_add_u32 s10, s10, s20
	v_and_b32_e32 v8, 31, v2
	v_lshrrev_b32_e32 v11, 3, v2
	v_lshrrev_b32_e32 v2, 5, v2
	v_mov_b32_e32 v3, v1
	s_addc_u32 s11, s11, s21
	v_add_nc_u32_e32 v9, s6, v8
	s_load_b64 s[10:11], s[10:11], 0x0
	v_add_nc_u32_e32 v14, s7, v11
	v_lshl_add_u32 v13, v7, 6, 0x800
	v_mov_b32_e32 v17, v1
	s_add_u32 s12, s12, s20
	v_mad_i64_i32 v[4:5], null, s14, v9, v[2:3]
	v_lshlrev_b32_e32 v3, 3, v0
	s_addc_u32 s13, s13, s21
	s_load_b64 s[12:13], s[12:13], 0x0
	s_delay_alu instid0(VALU_DEP_1) | instskip(NEXT) | instid1(VALU_DEP_3)
	v_lshl_or_b32 v11, v11, 6, v3
	v_lshlrev_b64 v[3:4], 3, v[4:5]
	s_delay_alu instid0(VALU_DEP_2) | instskip(SKIP_4) | instid1(VALU_DEP_3)
	v_dual_mov_b32 v11, v1 :: v_dual_add_nc_u32 v16, 0x800, v11
	v_mad_i64_i32 v[9:10], null, s15, v14, v[0:1]
	v_lshlrev_b32_e32 v14, 3, v8
	v_mov_b32_e32 v0, v1
	v_mov_b32_e32 v8, v1
	v_lshl_or_b32 v15, v2, 8, v14
	v_lshlrev_b64 v[9:10], 3, v[9:10]
	s_waitcnt lgkmcnt(0)
	v_add_co_u32 v2, vcc_lo, v3, s10
	v_add_co_ci_u32_e32 v3, vcc_lo, s11, v4, vcc_lo
	v_mov_b32_e32 v14, v1
	s_delay_alu instid0(VALU_DEP_4) | instskip(SKIP_3) | instid1(VALU_DEP_4)
	v_add_co_u32 v4, vcc_lo, v9, s12
	v_add_co_ci_u32_e32 v5, vcc_lo, s13, v10, vcc_lo
	v_add_co_u32 v2, vcc_lo, v2, 4
	v_add_co_ci_u32_e32 v3, vcc_lo, 0, v3, vcc_lo
	v_add_co_u32 v4, vcc_lo, v4, 4
	s_delay_alu instid0(VALU_DEP_4)
	v_add_co_ci_u32_e32 v5, vcc_lo, 0, v5, vcc_lo
	v_mov_b32_e32 v9, v1
	v_mov_b32_e32 v10, v1
.LBB648_2:                              ; =>This Inner Loop Header: Depth=1
	global_load_b64 v[18:19], v[2:3], off offset:-4
	global_load_b64 v[20:21], v[4:5], off offset:-4
	v_add_co_u32 v2, vcc_lo, v2, 64
	v_add_co_ci_u32_e32 v3, vcc_lo, 0, v3, vcc_lo
	v_add_co_u32 v4, vcc_lo, v4, 64
	v_add_co_ci_u32_e32 v5, vcc_lo, 0, v5, vcc_lo
	s_add_i32 s19, s19, 8
	s_waitcnt vmcnt(1)
	ds_store_b64 v15, v[18:19]
	s_waitcnt vmcnt(0)
	ds_store_b64 v16, v[20:21]
	s_waitcnt lgkmcnt(0)
	s_barrier
	buffer_gl0_inv
	ds_load_2addr_b64 v[18:21], v12 offset1:16
	ds_load_b128 v[22:25], v13
	ds_load_b128 v[26:29], v13 offset:1024
	ds_load_b128 v[30:33], v13 offset:16
	ds_load_2addr_b64 v[34:37], v12 offset0:32 offset1:48
	ds_load_b128 v[38:41], v13 offset:32
	ds_load_b128 v[42:45], v13 offset:48
	ds_load_2addr_b64 v[46:49], v12 offset0:64 offset1:80
	ds_load_b128 v[50:53], v13 offset:1040
	ds_load_2addr_b64 v[54:57], v12 offset0:96 offset1:112
	ds_load_2addr_b64 v[58:61], v12 offset0:128 offset1:144
	ds_load_2addr_b64 v[62:65], v12 offset0:160 offset1:176
	ds_load_2addr_b64 v[66:69], v12 offset0:192 offset1:208
	ds_load_b128 v[70:73], v13 offset:1056
	ds_load_b128 v[74:77], v13 offset:1072
	ds_load_2addr_b64 v[78:81], v12 offset0:224 offset1:240
	s_cmp_ge_i32 s19, s17
	s_waitcnt lgkmcnt(0)
	s_barrier
	buffer_gl0_inv
	v_dual_mul_f32 v82, v23, v19 :: v_dual_mul_f32 v85, v22, v21
	v_dual_mul_f32 v83, v22, v19 :: v_dual_mul_f32 v84, v23, v21
	v_mul_f32_e32 v86, v27, v19
	v_dual_mul_f32 v19, v26, v19 :: v_dual_mul_f32 v90, v25, v37
	v_dual_mul_f32 v87, v27, v21 :: v_dual_mul_f32 v88, v25, v35
	v_mul_f32_e32 v21, v26, v21
	v_fma_f32 v82, v22, v18, -v82
	v_fmac_f32_e32 v83, v23, v18
	v_fma_f32 v22, v22, v20, -v84
	v_fmac_f32_e32 v85, v23, v20
	v_fma_f32 v23, v26, v18, -v86
	v_dual_fmac_f32 v19, v27, v18 :: v_dual_mul_f32 v86, v30, v47
	v_fma_f32 v18, v26, v20, -v87
	v_dual_fmac_f32 v21, v27, v20 :: v_dual_mul_f32 v20, v24, v37
	v_mul_f32_e32 v89, v24, v35
	v_mul_f32_e32 v26, v29, v35
	;; [unrolled: 1-line block ×4, first 2 shown]
	v_fmac_f32_e32 v20, v25, v36
	v_fmac_f32_e32 v89, v25, v34
	v_dual_mul_f32 v25, v28, v37 :: v_dual_fmac_f32 v86, v31, v46
	v_fma_f32 v84, v24, v34, -v88
	v_fma_f32 v24, v24, v36, -v90
	v_dual_mul_f32 v37, v31, v47 :: v_dual_mul_f32 v90, v33, v57
	v_fma_f32 v26, v28, v34, -v26
	v_fma_f32 v28, v28, v36, -v35
	v_fmac_f32_e32 v25, v29, v36
	v_dual_mul_f32 v35, v50, v47 :: v_dual_mul_f32 v36, v51, v49
	v_dual_fmac_f32 v27, v29, v34 :: v_dual_mul_f32 v34, v51, v47
	v_dual_mul_f32 v88, v32, v55 :: v_dual_mul_f32 v29, v30, v49
	v_mul_f32_e32 v87, v31, v49
	v_fma_f32 v37, v30, v46, -v37
	v_add_f32_e32 v14, v14, v82
	s_delay_alu instid0(VALU_DEP_4)
	v_dual_fmac_f32 v88, v33, v54 :: v_dual_fmac_f32 v29, v31, v48
	v_fma_f32 v31, v50, v46, -v34
	v_fma_f32 v34, v50, v48, -v36
	v_mul_f32_e32 v36, v32, v57
	v_mul_f32_e32 v47, v50, v49
	v_dual_mul_f32 v50, v53, v57 :: v_dual_fmac_f32 v35, v51, v46
	v_mul_f32_e32 v46, v53, v55
	v_mul_f32_e32 v49, v33, v55
	v_fma_f32 v30, v30, v48, -v87
	v_fmac_f32_e32 v36, v33, v56
	v_dual_fmac_f32 v47, v51, v48 :: v_dual_mul_f32 v48, v52, v55
	v_mul_f32_e32 v33, v52, v57
	v_fma_f32 v46, v52, v54, -v46
	v_fma_f32 v50, v52, v56, -v50
	v_mul_f32_e32 v52, v38, v61
	v_fma_f32 v49, v32, v54, -v49
	v_fma_f32 v32, v32, v56, -v90
	v_dual_mul_f32 v51, v39, v59 :: v_dual_fmac_f32 v48, v53, v54
	v_mul_f32_e32 v54, v70, v59
	v_dual_mul_f32 v55, v38, v59 :: v_dual_fmac_f32 v52, v39, v60
	v_fmac_f32_e32 v33, v53, v56
	v_mul_f32_e32 v53, v71, v59
	v_mul_f32_e32 v56, v71, v61
	;; [unrolled: 1-line block ×3, first 2 shown]
	v_fmac_f32_e32 v54, v71, v58
	v_fmac_f32_e32 v55, v39, v58
	v_fma_f32 v39, v70, v58, -v53
	v_fma_f32 v53, v70, v60, -v56
	v_mul_f32_e32 v56, v40, v65
	v_mul_f32_e32 v59, v70, v61
	v_fma_f32 v51, v38, v58, -v51
	v_mul_f32_e32 v58, v72, v63
	v_mul_f32_e32 v87, v40, v63
	v_mul_f32_e32 v61, v41, v63
	v_mul_f32_e32 v90, v41, v65
	v_fma_f32 v38, v38, v60, -v57
	v_mul_f32_e32 v57, v73, v63
	v_fmac_f32_e32 v56, v41, v64
	v_dual_fmac_f32 v59, v71, v60 :: v_dual_mul_f32 v60, v73, v65
	v_mul_f32_e32 v63, v43, v67
	v_mul_f32_e32 v70, v43, v69
	v_fmac_f32_e32 v58, v73, v62
	v_fmac_f32_e32 v87, v41, v62
	v_mul_f32_e32 v41, v72, v65
	v_fma_f32 v61, v40, v62, -v61
	v_fma_f32 v40, v40, v64, -v90
	v_mul_f32_e32 v65, v42, v67
	v_fma_f32 v57, v72, v62, -v57
	v_fma_f32 v60, v72, v64, -v60
	v_dual_fmac_f32 v41, v73, v64 :: v_dual_mul_f32 v62, v42, v69
	v_mul_f32_e32 v64, v75, v67
	v_fma_f32 v63, v42, v66, -v63
	v_fma_f32 v42, v42, v68, -v70
	v_mul_f32_e32 v70, v76, v79
	v_mul_f32_e32 v67, v74, v67
	;; [unrolled: 1-line block ×3, first 2 shown]
	v_dual_mul_f32 v69, v74, v69 :: v_dual_add_f32 v8, v8, v19
	v_dual_mul_f32 v73, v44, v79 :: v_dual_add_f32 v10, v10, v22
	v_dual_fmac_f32 v65, v43, v66 :: v_dual_add_f32 v14, v14, v84
	v_fmac_f32_e32 v62, v43, v68
	v_fma_f32 v43, v74, v66, -v64
	v_fmac_f32_e32 v70, v77, v78
	v_dual_fmac_f32 v67, v75, v66 :: v_dual_add_f32 v10, v10, v24
	v_mul_f32_e32 v66, v44, v81
	v_mul_f32_e32 v72, v45, v79
	v_dual_mul_f32 v90, v45, v81 :: v_dual_fmac_f32 v69, v75, v68
	v_add_f32_e32 v0, v0, v18
	v_fmac_f32_e32 v73, v45, v78
	v_dual_fmac_f32 v66, v45, v80 :: v_dual_mul_f32 v45, v76, v81
	v_add_f32_e32 v10, v10, v30
	v_fma_f32 v64, v74, v68, -v71
	v_dual_mul_f32 v71, v77, v81 :: v_dual_add_f32 v8, v8, v27
	s_delay_alu instid0(VALU_DEP_4) | instskip(SKIP_4) | instid1(VALU_DEP_2)
	v_dual_fmac_f32 v45, v77, v80 :: v_dual_add_f32 v14, v14, v37
	v_add_f32_e32 v11, v11, v85
	v_add_f32_e32 v9, v9, v23
	v_dual_add_f32 v1, v1, v21 :: v_dual_add_f32 v10, v10, v32
	v_dual_add_f32 v0, v0, v28 :: v_dual_add_f32 v17, v17, v83
	;; [unrolled: 1-line block ×3, first 2 shown]
	s_delay_alu instid0(VALU_DEP_3) | instskip(NEXT) | instid1(VALU_DEP_3)
	v_add_f32_e32 v10, v10, v38
	v_dual_add_f32 v0, v0, v34 :: v_dual_add_f32 v17, v17, v89
	s_delay_alu instid0(VALU_DEP_3) | instskip(SKIP_1) | instid1(VALU_DEP_3)
	v_add_f32_e32 v8, v8, v48
	v_dual_add_f32 v11, v11, v20 :: v_dual_add_f32 v14, v14, v49
	v_add_f32_e32 v0, v0, v50
	v_add_f32_e32 v9, v9, v26
	;; [unrolled: 1-line block ×3, first 2 shown]
	s_delay_alu instid0(VALU_DEP_4) | instskip(SKIP_3) | instid1(VALU_DEP_4)
	v_dual_add_f32 v11, v11, v29 :: v_dual_add_f32 v8, v8, v54
	v_dual_add_f32 v1, v1, v47 :: v_dual_add_f32 v10, v10, v40
	v_add_f32_e32 v14, v14, v51
	v_dual_add_f32 v9, v9, v31 :: v_dual_add_f32 v0, v0, v53
	v_dual_add_f32 v17, v17, v88 :: v_dual_add_f32 v8, v8, v58
	s_delay_alu instid0(VALU_DEP_4) | instskip(NEXT) | instid1(VALU_DEP_4)
	v_dual_add_f32 v1, v1, v33 :: v_dual_add_f32 v10, v10, v42
	v_dual_add_f32 v14, v14, v61 :: v_dual_add_f32 v11, v11, v36
	s_delay_alu instid0(VALU_DEP_4)
	v_dual_add_f32 v9, v9, v46 :: v_dual_add_f32 v0, v0, v60
	v_fma_f32 v72, v44, v78, -v72
	v_fma_f32 v44, v44, v80, -v90
	v_add_f32_e32 v17, v17, v55
	v_add_f32_e32 v1, v1, v59
	v_dual_add_f32 v14, v14, v63 :: v_dual_add_f32 v11, v11, v52
	v_add_f32_e32 v8, v8, v67
	v_add_f32_e32 v9, v9, v39
	v_mul_f32_e32 v68, v77, v79
	s_delay_alu instid0(VALU_DEP_4) | instskip(SKIP_3) | instid1(VALU_DEP_2)
	v_add_f32_e32 v14, v14, v72
	v_fma_f32 v71, v76, v80, -v71
	v_dual_add_f32 v0, v0, v64 :: v_dual_add_f32 v17, v17, v87
	v_dual_add_f32 v8, v8, v70 :: v_dual_add_f32 v11, v11, v56
	;; [unrolled: 1-line block ×4, first 2 shown]
	v_fma_f32 v68, v76, v78, -v68
	v_add_f32_e32 v17, v17, v65
	v_add_f32_e32 v11, v11, v62
	;; [unrolled: 1-line block ×4, first 2 shown]
	s_delay_alu instid0(VALU_DEP_4) | instskip(NEXT) | instid1(VALU_DEP_4)
	v_add_f32_e32 v17, v17, v73
	v_add_f32_e32 v11, v11, v66
	s_delay_alu instid0(VALU_DEP_4) | instskip(NEXT) | instid1(VALU_DEP_4)
	v_add_f32_e32 v9, v9, v68
	v_add_f32_e32 v1, v1, v45
	s_cbranch_scc0 .LBB648_2
.LBB648_3:
	s_waitcnt lgkmcnt(0)
	s_load_b32 s10, s[0:1], 0x50
	v_add_nc_u32_e32 v7, s7, v7
	v_add_nc_u32_e32 v2, s6, v6
	s_delay_alu instid0(VALU_DEP_1) | instskip(SKIP_1) | instid1(VALU_DEP_2)
	v_cmp_le_i32_e64 s0, v7, v2
	v_cmp_gt_i32_e32 vcc_lo, s16, v2
	s_and_b32 s0, s0, vcc_lo
	s_waitcnt lgkmcnt(0)
	v_mad_i64_i32 v[3:4], null, v7, s10, 0
	s_delay_alu instid0(VALU_DEP_1) | instskip(NEXT) | instid1(VALU_DEP_1)
	v_lshlrev_b64 v[3:4], 3, v[3:4]
	v_add_co_u32 v6, s1, s2, v3
	s_delay_alu instid0(VALU_DEP_1)
	v_add_co_ci_u32_e64 v12, s1, s3, v4, s1
	s_and_saveexec_b32 s1, s0
	s_cbranch_execz .LBB648_5
; %bb.4:
	v_ashrrev_i32_e32 v3, 31, v2
	s_delay_alu instid0(VALU_DEP_1) | instskip(NEXT) | instid1(VALU_DEP_1)
	v_lshlrev_b64 v[3:4], 3, v[2:3]
	v_add_co_u32 v3, s0, v6, v3
	s_delay_alu instid0(VALU_DEP_1)
	v_add_co_ci_u32_e64 v4, s0, v12, v4, s0
	global_load_b64 v[15:16], v[3:4], off
	v_mul_f32_e32 v5, s9, v17
	s_waitcnt vmcnt(0)
	v_mul_f32_e32 v13, s5, v16
	v_dual_mul_f32 v16, s4, v16 :: v_dual_mul_f32 v17, s8, v17
	s_delay_alu instid0(VALU_DEP_3) | instskip(NEXT) | instid1(VALU_DEP_3)
	v_fma_f32 v5, v14, s8, -v5
	v_fma_f32 v13, v15, s4, -v13
	s_delay_alu instid0(VALU_DEP_3) | instskip(NEXT) | instid1(VALU_DEP_2)
	v_dual_fmac_f32 v16, s5, v15 :: v_dual_fmac_f32 v17, s9, v14
	v_add_f32_e32 v13, v5, v13
	s_delay_alu instid0(VALU_DEP_2)
	v_add_f32_e32 v14, v17, v16
	global_store_b64 v[3:4], v[13:14], off
.LBB648_5:
	s_or_b32 exec_lo, exec_lo, s1
	v_add_nc_u32_e32 v4, 16, v2
	s_delay_alu instid0(VALU_DEP_1) | instskip(SKIP_1) | instid1(VALU_DEP_1)
	v_cmp_le_i32_e64 s1, v7, v4
	v_cmp_gt_i32_e64 s0, s16, v4
	s_and_b32 s1, s1, s0
	s_delay_alu instid0(SALU_CYCLE_1)
	s_and_saveexec_b32 s6, s1
	s_cbranch_execz .LBB648_7
; %bb.6:
	v_ashrrev_i32_e32 v5, 31, v4
	s_delay_alu instid0(VALU_DEP_1) | instskip(NEXT) | instid1(VALU_DEP_1)
	v_lshlrev_b64 v[13:14], 3, v[4:5]
	v_add_co_u32 v5, s1, v6, v13
	s_delay_alu instid0(VALU_DEP_1) | instskip(SKIP_4) | instid1(VALU_DEP_2)
	v_add_co_ci_u32_e64 v6, s1, v12, v14, s1
	global_load_b64 v[12:13], v[5:6], off
	s_waitcnt vmcnt(0)
	v_dual_mul_f32 v3, s9, v11 :: v_dual_mul_f32 v14, s5, v13
	v_mul_f32_e32 v13, s4, v13
	v_fma_f32 v3, v10, s8, -v3
	v_mul_f32_e32 v11, s8, v11
	s_delay_alu instid0(VALU_DEP_3) | instskip(NEXT) | instid1(VALU_DEP_2)
	v_fmac_f32_e32 v13, s5, v12
	v_fmac_f32_e32 v11, s9, v10
	v_fma_f32 v10, v12, s4, -v14
	s_delay_alu instid0(VALU_DEP_2) | instskip(NEXT) | instid1(VALU_DEP_2)
	v_add_f32_e32 v11, v11, v13
	v_add_f32_e32 v10, v3, v10
	global_store_b64 v[5:6], v[10:11], off
.LBB648_7:
	s_or_b32 exec_lo, exec_lo, s6
	v_add_nc_u32_e32 v5, 16, v7
	s_delay_alu instid0(VALU_DEP_1) | instskip(SKIP_1) | instid1(VALU_DEP_2)
	v_mad_i64_i32 v[6:7], null, v5, s10, 0
	v_cmp_le_i32_e64 s1, v5, v2
	v_lshlrev_b64 v[6:7], 3, v[6:7]
	s_delay_alu instid0(VALU_DEP_1) | instskip(NEXT) | instid1(VALU_DEP_1)
	v_add_co_u32 v6, s2, s2, v6
	v_add_co_ci_u32_e64 v7, s2, s3, v7, s2
	s_delay_alu instid0(VALU_DEP_4) | instskip(NEXT) | instid1(SALU_CYCLE_1)
	s_and_b32 s2, s1, vcc_lo
	s_and_saveexec_b32 s1, s2
	s_cbranch_execz .LBB648_9
; %bb.8:
	v_ashrrev_i32_e32 v3, 31, v2
	s_delay_alu instid0(VALU_DEP_1) | instskip(NEXT) | instid1(VALU_DEP_1)
	v_lshlrev_b64 v[2:3], 3, v[2:3]
	v_add_co_u32 v2, vcc_lo, v6, v2
	s_delay_alu instid0(VALU_DEP_2)
	v_add_co_ci_u32_e32 v3, vcc_lo, v7, v3, vcc_lo
	global_load_b64 v[10:11], v[2:3], off
	v_mul_f32_e32 v12, s9, v8
	s_waitcnt vmcnt(0)
	v_dual_mul_f32 v13, s8, v8 :: v_dual_mul_f32 v8, s5, v11
	v_mul_f32_e32 v11, s4, v11
	s_delay_alu instid0(VALU_DEP_3) | instskip(NEXT) | instid1(VALU_DEP_3)
	v_fma_f32 v12, v9, s8, -v12
	v_fma_f32 v8, v10, s4, -v8
	s_delay_alu instid0(VALU_DEP_4) | instskip(NEXT) | instid1(VALU_DEP_2)
	v_fmac_f32_e32 v13, s9, v9
	v_dual_fmac_f32 v11, s5, v10 :: v_dual_add_f32 v8, v12, v8
	s_delay_alu instid0(VALU_DEP_1)
	v_add_f32_e32 v9, v13, v11
	global_store_b64 v[2:3], v[8:9], off
.LBB648_9:
	s_or_b32 exec_lo, exec_lo, s1
	v_cmp_le_i32_e32 vcc_lo, v5, v4
	s_and_b32 s0, vcc_lo, s0
	s_delay_alu instid0(SALU_CYCLE_1)
	s_and_saveexec_b32 s1, s0
	s_cbranch_execz .LBB648_11
; %bb.10:
	v_ashrrev_i32_e32 v5, 31, v4
	s_delay_alu instid0(VALU_DEP_1) | instskip(NEXT) | instid1(VALU_DEP_1)
	v_lshlrev_b64 v[2:3], 3, v[4:5]
	v_add_co_u32 v2, vcc_lo, v6, v2
	s_delay_alu instid0(VALU_DEP_2)
	v_add_co_ci_u32_e32 v3, vcc_lo, v7, v3, vcc_lo
	v_mul_f32_e32 v6, s9, v1
	v_mul_f32_e32 v1, s8, v1
	global_load_b64 v[4:5], v[2:3], off
	v_fmac_f32_e32 v1, s9, v0
	v_fma_f32 v6, v0, s8, -v6
	s_waitcnt vmcnt(0)
	v_mul_f32_e32 v7, s5, v5
	v_mul_f32_e32 v5, s4, v5
	s_delay_alu instid0(VALU_DEP_2) | instskip(NEXT) | instid1(VALU_DEP_2)
	v_fma_f32 v0, v4, s4, -v7
	v_fmac_f32_e32 v5, s5, v4
	s_delay_alu instid0(VALU_DEP_1)
	v_dual_add_f32 v0, v6, v0 :: v_dual_add_f32 v1, v1, v5
	global_store_b64 v[2:3], v[0:1], off
.LBB648_11:
	s_nop 0
	s_sendmsg sendmsg(MSG_DEALLOC_VGPRS)
	s_endpgm
	.section	.rodata,"a",@progbits
	.p2align	6, 0x0
	.amdhsa_kernel _ZL37rocblas_syrkx_herkx_restricted_kernelIi19rocblas_complex_numIfELi16ELi32ELi8ELb0ELb0ELc84ELc76EKPKS1_KPS1_EviT_T0_PT8_S7_lSA_S7_lS8_PT9_S7_li
		.amdhsa_group_segment_fixed_size 4096
		.amdhsa_private_segment_fixed_size 0
		.amdhsa_kernarg_size 100
		.amdhsa_user_sgpr_count 13
		.amdhsa_user_sgpr_dispatch_ptr 0
		.amdhsa_user_sgpr_queue_ptr 0
		.amdhsa_user_sgpr_kernarg_segment_ptr 1
		.amdhsa_user_sgpr_dispatch_id 0
		.amdhsa_user_sgpr_private_segment_size 0
		.amdhsa_wavefront_size32 1
		.amdhsa_uses_dynamic_stack 0
		.amdhsa_enable_private_segment 0
		.amdhsa_system_sgpr_workgroup_id_x 1
		.amdhsa_system_sgpr_workgroup_id_y 1
		.amdhsa_system_sgpr_workgroup_id_z 1
		.amdhsa_system_sgpr_workgroup_info 0
		.amdhsa_system_vgpr_workitem_id 1
		.amdhsa_next_free_vgpr 91
		.amdhsa_next_free_sgpr 22
		.amdhsa_reserve_vcc 1
		.amdhsa_float_round_mode_32 0
		.amdhsa_float_round_mode_16_64 0
		.amdhsa_float_denorm_mode_32 3
		.amdhsa_float_denorm_mode_16_64 3
		.amdhsa_dx10_clamp 1
		.amdhsa_ieee_mode 1
		.amdhsa_fp16_overflow 0
		.amdhsa_workgroup_processor_mode 1
		.amdhsa_memory_ordered 1
		.amdhsa_forward_progress 0
		.amdhsa_shared_vgpr_count 0
		.amdhsa_exception_fp_ieee_invalid_op 0
		.amdhsa_exception_fp_denorm_src 0
		.amdhsa_exception_fp_ieee_div_zero 0
		.amdhsa_exception_fp_ieee_overflow 0
		.amdhsa_exception_fp_ieee_underflow 0
		.amdhsa_exception_fp_ieee_inexact 0
		.amdhsa_exception_int_div_zero 0
	.end_amdhsa_kernel
	.section	.text._ZL37rocblas_syrkx_herkx_restricted_kernelIi19rocblas_complex_numIfELi16ELi32ELi8ELb0ELb0ELc84ELc76EKPKS1_KPS1_EviT_T0_PT8_S7_lSA_S7_lS8_PT9_S7_li,"axG",@progbits,_ZL37rocblas_syrkx_herkx_restricted_kernelIi19rocblas_complex_numIfELi16ELi32ELi8ELb0ELb0ELc84ELc76EKPKS1_KPS1_EviT_T0_PT8_S7_lSA_S7_lS8_PT9_S7_li,comdat
.Lfunc_end648:
	.size	_ZL37rocblas_syrkx_herkx_restricted_kernelIi19rocblas_complex_numIfELi16ELi32ELi8ELb0ELb0ELc84ELc76EKPKS1_KPS1_EviT_T0_PT8_S7_lSA_S7_lS8_PT9_S7_li, .Lfunc_end648-_ZL37rocblas_syrkx_herkx_restricted_kernelIi19rocblas_complex_numIfELi16ELi32ELi8ELb0ELb0ELc84ELc76EKPKS1_KPS1_EviT_T0_PT8_S7_lSA_S7_lS8_PT9_S7_li
                                        ; -- End function
	.section	.AMDGPU.csdata,"",@progbits
; Kernel info:
; codeLenInByte = 2268
; NumSgprs: 24
; NumVgprs: 91
; ScratchSize: 0
; MemoryBound: 0
; FloatMode: 240
; IeeeMode: 1
; LDSByteSize: 4096 bytes/workgroup (compile time only)
; SGPRBlocks: 2
; VGPRBlocks: 11
; NumSGPRsForWavesPerEU: 24
; NumVGPRsForWavesPerEU: 91
; Occupancy: 16
; WaveLimiterHint : 1
; COMPUTE_PGM_RSRC2:SCRATCH_EN: 0
; COMPUTE_PGM_RSRC2:USER_SGPR: 13
; COMPUTE_PGM_RSRC2:TRAP_HANDLER: 0
; COMPUTE_PGM_RSRC2:TGID_X_EN: 1
; COMPUTE_PGM_RSRC2:TGID_Y_EN: 1
; COMPUTE_PGM_RSRC2:TGID_Z_EN: 1
; COMPUTE_PGM_RSRC2:TIDIG_COMP_CNT: 1
	.section	.text._ZL37rocblas_syrkx_herkx_restricted_kernelIi19rocblas_complex_numIfELi16ELi32ELi8ELb0ELb0ELc67ELc76EKPKS1_KPS1_EviT_T0_PT8_S7_lSA_S7_lS8_PT9_S7_li,"axG",@progbits,_ZL37rocblas_syrkx_herkx_restricted_kernelIi19rocblas_complex_numIfELi16ELi32ELi8ELb0ELb0ELc67ELc76EKPKS1_KPS1_EviT_T0_PT8_S7_lSA_S7_lS8_PT9_S7_li,comdat
	.globl	_ZL37rocblas_syrkx_herkx_restricted_kernelIi19rocblas_complex_numIfELi16ELi32ELi8ELb0ELb0ELc67ELc76EKPKS1_KPS1_EviT_T0_PT8_S7_lSA_S7_lS8_PT9_S7_li ; -- Begin function _ZL37rocblas_syrkx_herkx_restricted_kernelIi19rocblas_complex_numIfELi16ELi32ELi8ELb0ELb0ELc67ELc76EKPKS1_KPS1_EviT_T0_PT8_S7_lSA_S7_lS8_PT9_S7_li
	.p2align	8
	.type	_ZL37rocblas_syrkx_herkx_restricted_kernelIi19rocblas_complex_numIfELi16ELi32ELi8ELb0ELb0ELc67ELc76EKPKS1_KPS1_EviT_T0_PT8_S7_lSA_S7_lS8_PT9_S7_li,@function
_ZL37rocblas_syrkx_herkx_restricted_kernelIi19rocblas_complex_numIfELi16ELi32ELi8ELb0ELb0ELc67ELc76EKPKS1_KPS1_EviT_T0_PT8_S7_lSA_S7_lS8_PT9_S7_li: ; @_ZL37rocblas_syrkx_herkx_restricted_kernelIi19rocblas_complex_numIfELi16ELi32ELi8ELb0ELb0ELc67ELc76EKPKS1_KPS1_EviT_T0_PT8_S7_lSA_S7_lS8_PT9_S7_li
; %bb.0:
	s_clause 0x1
	s_load_b128 s[4:7], s[0:1], 0x40
	s_load_b64 s[16:17], s[0:1], 0x0
	s_mov_b32 s18, s15
	s_mov_b32 s19, 0
	v_dual_mov_b32 v17, 0 :: v_dual_and_b32 v6, 0x3ff, v0
	s_lshl_b64 s[20:21], s[18:19], 3
	v_bfe_u32 v7, v0, 10, 10
	v_dual_mov_b32 v14, 0 :: v_dual_mov_b32 v11, 0
	v_dual_mov_b32 v10, 0 :: v_dual_mov_b32 v9, 0
	v_dual_mov_b32 v8, 0 :: v_dual_mov_b32 v1, 0
	v_mov_b32_e32 v0, 0
	s_waitcnt lgkmcnt(0)
	s_add_u32 s2, s6, s20
	s_addc_u32 s3, s7, s21
	s_load_b128 s[8:11], s[0:1], 0x8
	s_load_b64 s[2:3], s[2:3], 0x0
	s_lshl_b32 s6, s13, 5
	s_lshl_b32 s7, s14, 5
	s_cmp_lt_i32 s17, 1
	s_cbranch_scc1 .LBB649_3
; %bb.1:
	s_clause 0x2
	s_load_b64 s[12:13], s[0:1], 0x28
	s_load_b32 s14, s[0:1], 0x18
	s_load_b32 s15, s[0:1], 0x30
	v_lshl_add_u32 v2, v7, 4, v6
	v_dual_mov_b32 v1, 0 :: v_dual_and_b32 v0, 7, v6
	v_lshlrev_b32_e32 v12, 3, v6
	s_waitcnt lgkmcnt(0)
	s_add_u32 s10, s10, s20
	v_and_b32_e32 v8, 31, v2
	v_lshrrev_b32_e32 v11, 3, v2
	v_lshrrev_b32_e32 v2, 5, v2
	v_mov_b32_e32 v3, v1
	s_addc_u32 s11, s11, s21
	v_add_nc_u32_e32 v9, s6, v8
	s_load_b64 s[10:11], s[10:11], 0x0
	v_add_nc_u32_e32 v14, s7, v11
	v_lshl_add_u32 v13, v7, 6, 0x800
	v_mov_b32_e32 v17, v1
	s_add_u32 s12, s12, s20
	v_mad_i64_i32 v[4:5], null, s14, v9, v[2:3]
	v_lshlrev_b32_e32 v3, 3, v0
	s_addc_u32 s13, s13, s21
	s_load_b64 s[12:13], s[12:13], 0x0
	s_delay_alu instid0(VALU_DEP_1) | instskip(NEXT) | instid1(VALU_DEP_3)
	v_lshl_or_b32 v11, v11, 6, v3
	v_lshlrev_b64 v[3:4], 3, v[4:5]
	s_delay_alu instid0(VALU_DEP_2) | instskip(SKIP_4) | instid1(VALU_DEP_3)
	v_dual_mov_b32 v11, v1 :: v_dual_add_nc_u32 v16, 0x800, v11
	v_mad_i64_i32 v[9:10], null, s15, v14, v[0:1]
	v_lshlrev_b32_e32 v14, 3, v8
	v_mov_b32_e32 v0, v1
	v_mov_b32_e32 v8, v1
	v_lshl_or_b32 v15, v2, 8, v14
	v_lshlrev_b64 v[9:10], 3, v[9:10]
	s_waitcnt lgkmcnt(0)
	v_add_co_u32 v2, vcc_lo, v3, s10
	v_add_co_ci_u32_e32 v3, vcc_lo, s11, v4, vcc_lo
	v_mov_b32_e32 v14, v1
	s_delay_alu instid0(VALU_DEP_4) | instskip(SKIP_3) | instid1(VALU_DEP_4)
	v_add_co_u32 v4, vcc_lo, v9, s12
	v_add_co_ci_u32_e32 v5, vcc_lo, s13, v10, vcc_lo
	v_add_co_u32 v2, vcc_lo, v2, 4
	v_add_co_ci_u32_e32 v3, vcc_lo, 0, v3, vcc_lo
	v_add_co_u32 v4, vcc_lo, v4, 4
	s_delay_alu instid0(VALU_DEP_4)
	v_add_co_ci_u32_e32 v5, vcc_lo, 0, v5, vcc_lo
	v_mov_b32_e32 v9, v1
	v_mov_b32_e32 v10, v1
.LBB649_2:                              ; =>This Inner Loop Header: Depth=1
	global_load_b64 v[18:19], v[2:3], off offset:-4
	global_load_b64 v[20:21], v[4:5], off offset:-4
	v_add_co_u32 v2, vcc_lo, v2, 64
	v_add_co_ci_u32_e32 v3, vcc_lo, 0, v3, vcc_lo
	v_add_co_u32 v4, vcc_lo, v4, 64
	v_add_co_ci_u32_e32 v5, vcc_lo, 0, v5, vcc_lo
	s_add_i32 s19, s19, 8
	s_waitcnt vmcnt(1)
	ds_store_b64 v15, v[18:19]
	s_waitcnt vmcnt(0)
	ds_store_b64 v16, v[20:21]
	s_waitcnt lgkmcnt(0)
	s_barrier
	buffer_gl0_inv
	ds_load_2addr_b64 v[18:21], v12 offset1:16
	ds_load_b128 v[22:25], v13
	ds_load_b128 v[26:29], v13 offset:1024
	ds_load_b128 v[30:33], v13 offset:16
	ds_load_2addr_b64 v[34:37], v12 offset0:32 offset1:48
	ds_load_b128 v[38:41], v13 offset:32
	ds_load_b128 v[42:45], v13 offset:48
	ds_load_2addr_b64 v[46:49], v12 offset0:64 offset1:80
	ds_load_b128 v[50:53], v13 offset:1040
	ds_load_2addr_b64 v[54:57], v12 offset0:96 offset1:112
	ds_load_2addr_b64 v[58:61], v12 offset0:128 offset1:144
	;; [unrolled: 1-line block ×4, first 2 shown]
	ds_load_b128 v[70:73], v13 offset:1056
	ds_load_b128 v[74:77], v13 offset:1072
	ds_load_2addr_b64 v[78:81], v12 offset0:224 offset1:240
	s_cmp_ge_i32 s19, s17
	s_waitcnt lgkmcnt(0)
	s_barrier
	buffer_gl0_inv
	v_dual_mul_f32 v82, v23, v19 :: v_dual_mul_f32 v85, v22, v21
	v_dual_mul_f32 v83, v22, v19 :: v_dual_mul_f32 v84, v23, v21
	v_mul_f32_e32 v86, v27, v19
	v_dual_mul_f32 v19, v26, v19 :: v_dual_mul_f32 v90, v25, v37
	v_dual_mul_f32 v87, v27, v21 :: v_dual_mul_f32 v88, v25, v35
	v_mul_f32_e32 v21, v26, v21
	v_fma_f32 v82, v22, v18, -v82
	v_fmac_f32_e32 v83, v23, v18
	v_fma_f32 v22, v22, v20, -v84
	v_fmac_f32_e32 v85, v23, v20
	v_fma_f32 v23, v26, v18, -v86
	v_dual_fmac_f32 v19, v27, v18 :: v_dual_mul_f32 v86, v30, v47
	v_fma_f32 v18, v26, v20, -v87
	v_dual_fmac_f32 v21, v27, v20 :: v_dual_mul_f32 v20, v24, v37
	v_mul_f32_e32 v89, v24, v35
	v_mul_f32_e32 v26, v29, v35
	;; [unrolled: 1-line block ×4, first 2 shown]
	v_fmac_f32_e32 v20, v25, v36
	v_fmac_f32_e32 v89, v25, v34
	v_dual_mul_f32 v25, v28, v37 :: v_dual_fmac_f32 v86, v31, v46
	v_fma_f32 v84, v24, v34, -v88
	v_fma_f32 v24, v24, v36, -v90
	v_dual_mul_f32 v37, v31, v47 :: v_dual_mul_f32 v90, v33, v57
	v_fma_f32 v26, v28, v34, -v26
	v_fma_f32 v28, v28, v36, -v35
	v_fmac_f32_e32 v25, v29, v36
	v_dual_mul_f32 v35, v50, v47 :: v_dual_mul_f32 v36, v51, v49
	v_dual_fmac_f32 v27, v29, v34 :: v_dual_mul_f32 v34, v51, v47
	v_dual_mul_f32 v88, v32, v55 :: v_dual_mul_f32 v29, v30, v49
	v_mul_f32_e32 v87, v31, v49
	v_fma_f32 v37, v30, v46, -v37
	v_add_f32_e32 v14, v14, v82
	s_delay_alu instid0(VALU_DEP_4)
	v_dual_fmac_f32 v88, v33, v54 :: v_dual_fmac_f32 v29, v31, v48
	v_fma_f32 v31, v50, v46, -v34
	v_fma_f32 v34, v50, v48, -v36
	v_mul_f32_e32 v36, v32, v57
	v_mul_f32_e32 v47, v50, v49
	v_dual_mul_f32 v50, v53, v57 :: v_dual_fmac_f32 v35, v51, v46
	v_mul_f32_e32 v46, v53, v55
	v_mul_f32_e32 v49, v33, v55
	v_fma_f32 v30, v30, v48, -v87
	v_fmac_f32_e32 v36, v33, v56
	v_dual_fmac_f32 v47, v51, v48 :: v_dual_mul_f32 v48, v52, v55
	v_mul_f32_e32 v33, v52, v57
	v_fma_f32 v46, v52, v54, -v46
	v_fma_f32 v50, v52, v56, -v50
	v_mul_f32_e32 v52, v38, v61
	v_fma_f32 v49, v32, v54, -v49
	v_fma_f32 v32, v32, v56, -v90
	v_dual_mul_f32 v51, v39, v59 :: v_dual_fmac_f32 v48, v53, v54
	v_mul_f32_e32 v54, v70, v59
	v_dual_mul_f32 v55, v38, v59 :: v_dual_fmac_f32 v52, v39, v60
	v_fmac_f32_e32 v33, v53, v56
	v_mul_f32_e32 v53, v71, v59
	v_mul_f32_e32 v56, v71, v61
	;; [unrolled: 1-line block ×3, first 2 shown]
	v_fmac_f32_e32 v54, v71, v58
	v_fmac_f32_e32 v55, v39, v58
	v_fma_f32 v39, v70, v58, -v53
	v_fma_f32 v53, v70, v60, -v56
	v_mul_f32_e32 v56, v40, v65
	v_mul_f32_e32 v59, v70, v61
	v_fma_f32 v51, v38, v58, -v51
	v_mul_f32_e32 v58, v72, v63
	v_mul_f32_e32 v87, v40, v63
	;; [unrolled: 1-line block ×4, first 2 shown]
	v_fma_f32 v38, v38, v60, -v57
	v_mul_f32_e32 v57, v73, v63
	v_fmac_f32_e32 v56, v41, v64
	v_dual_fmac_f32 v59, v71, v60 :: v_dual_mul_f32 v60, v73, v65
	v_mul_f32_e32 v63, v43, v67
	v_mul_f32_e32 v70, v43, v69
	v_fmac_f32_e32 v58, v73, v62
	v_fmac_f32_e32 v87, v41, v62
	v_mul_f32_e32 v41, v72, v65
	v_fma_f32 v61, v40, v62, -v61
	v_fma_f32 v40, v40, v64, -v90
	v_mul_f32_e32 v65, v42, v67
	v_fma_f32 v57, v72, v62, -v57
	v_fma_f32 v60, v72, v64, -v60
	v_dual_fmac_f32 v41, v73, v64 :: v_dual_mul_f32 v62, v42, v69
	v_mul_f32_e32 v64, v75, v67
	v_fma_f32 v63, v42, v66, -v63
	v_fma_f32 v42, v42, v68, -v70
	v_mul_f32_e32 v70, v76, v79
	v_mul_f32_e32 v67, v74, v67
	;; [unrolled: 1-line block ×3, first 2 shown]
	v_dual_mul_f32 v69, v74, v69 :: v_dual_add_f32 v8, v8, v19
	v_dual_mul_f32 v73, v44, v79 :: v_dual_add_f32 v10, v10, v22
	v_dual_fmac_f32 v65, v43, v66 :: v_dual_add_f32 v14, v14, v84
	v_fmac_f32_e32 v62, v43, v68
	v_fma_f32 v43, v74, v66, -v64
	v_fmac_f32_e32 v70, v77, v78
	v_dual_fmac_f32 v67, v75, v66 :: v_dual_add_f32 v10, v10, v24
	v_mul_f32_e32 v66, v44, v81
	v_mul_f32_e32 v72, v45, v79
	v_dual_mul_f32 v90, v45, v81 :: v_dual_fmac_f32 v69, v75, v68
	v_add_f32_e32 v0, v0, v18
	v_fmac_f32_e32 v73, v45, v78
	v_dual_fmac_f32 v66, v45, v80 :: v_dual_mul_f32 v45, v76, v81
	v_add_f32_e32 v10, v10, v30
	v_fma_f32 v64, v74, v68, -v71
	v_dual_mul_f32 v71, v77, v81 :: v_dual_add_f32 v8, v8, v27
	s_delay_alu instid0(VALU_DEP_4) | instskip(SKIP_4) | instid1(VALU_DEP_2)
	v_dual_fmac_f32 v45, v77, v80 :: v_dual_add_f32 v14, v14, v37
	v_add_f32_e32 v11, v11, v85
	v_add_f32_e32 v9, v9, v23
	v_dual_add_f32 v1, v1, v21 :: v_dual_add_f32 v10, v10, v32
	v_dual_add_f32 v0, v0, v28 :: v_dual_add_f32 v17, v17, v83
	;; [unrolled: 1-line block ×3, first 2 shown]
	s_delay_alu instid0(VALU_DEP_3) | instskip(NEXT) | instid1(VALU_DEP_3)
	v_add_f32_e32 v10, v10, v38
	v_dual_add_f32 v0, v0, v34 :: v_dual_add_f32 v17, v17, v89
	s_delay_alu instid0(VALU_DEP_3) | instskip(SKIP_1) | instid1(VALU_DEP_3)
	v_add_f32_e32 v8, v8, v48
	v_dual_add_f32 v11, v11, v20 :: v_dual_add_f32 v14, v14, v49
	v_add_f32_e32 v0, v0, v50
	v_add_f32_e32 v9, v9, v26
	;; [unrolled: 1-line block ×3, first 2 shown]
	s_delay_alu instid0(VALU_DEP_4) | instskip(SKIP_3) | instid1(VALU_DEP_4)
	v_dual_add_f32 v11, v11, v29 :: v_dual_add_f32 v8, v8, v54
	v_dual_add_f32 v1, v1, v47 :: v_dual_add_f32 v10, v10, v40
	v_add_f32_e32 v14, v14, v51
	v_dual_add_f32 v9, v9, v31 :: v_dual_add_f32 v0, v0, v53
	v_dual_add_f32 v17, v17, v88 :: v_dual_add_f32 v8, v8, v58
	s_delay_alu instid0(VALU_DEP_4) | instskip(NEXT) | instid1(VALU_DEP_4)
	v_dual_add_f32 v1, v1, v33 :: v_dual_add_f32 v10, v10, v42
	v_dual_add_f32 v14, v14, v61 :: v_dual_add_f32 v11, v11, v36
	s_delay_alu instid0(VALU_DEP_4)
	v_dual_add_f32 v9, v9, v46 :: v_dual_add_f32 v0, v0, v60
	v_fma_f32 v72, v44, v78, -v72
	v_fma_f32 v44, v44, v80, -v90
	v_add_f32_e32 v17, v17, v55
	v_add_f32_e32 v1, v1, v59
	v_dual_add_f32 v14, v14, v63 :: v_dual_add_f32 v11, v11, v52
	v_add_f32_e32 v8, v8, v67
	v_add_f32_e32 v9, v9, v39
	v_mul_f32_e32 v68, v77, v79
	s_delay_alu instid0(VALU_DEP_4) | instskip(SKIP_3) | instid1(VALU_DEP_2)
	v_add_f32_e32 v14, v14, v72
	v_fma_f32 v71, v76, v80, -v71
	v_dual_add_f32 v0, v0, v64 :: v_dual_add_f32 v17, v17, v87
	v_dual_add_f32 v8, v8, v70 :: v_dual_add_f32 v11, v11, v56
	;; [unrolled: 1-line block ×4, first 2 shown]
	v_fma_f32 v68, v76, v78, -v68
	v_add_f32_e32 v17, v17, v65
	v_add_f32_e32 v11, v11, v62
	;; [unrolled: 1-line block ×4, first 2 shown]
	s_delay_alu instid0(VALU_DEP_4) | instskip(NEXT) | instid1(VALU_DEP_4)
	v_add_f32_e32 v17, v17, v73
	v_add_f32_e32 v11, v11, v66
	s_delay_alu instid0(VALU_DEP_4) | instskip(NEXT) | instid1(VALU_DEP_4)
	v_add_f32_e32 v9, v9, v68
	v_add_f32_e32 v1, v1, v45
	s_cbranch_scc0 .LBB649_2
.LBB649_3:
	s_waitcnt lgkmcnt(0)
	s_load_b32 s10, s[0:1], 0x50
	v_add_nc_u32_e32 v7, s7, v7
	v_add_nc_u32_e32 v2, s6, v6
	s_delay_alu instid0(VALU_DEP_1) | instskip(SKIP_1) | instid1(VALU_DEP_2)
	v_cmp_le_i32_e64 s0, v7, v2
	v_cmp_gt_i32_e32 vcc_lo, s16, v2
	s_and_b32 s0, s0, vcc_lo
	s_waitcnt lgkmcnt(0)
	v_mad_i64_i32 v[3:4], null, v7, s10, 0
	s_delay_alu instid0(VALU_DEP_1) | instskip(NEXT) | instid1(VALU_DEP_1)
	v_lshlrev_b64 v[3:4], 3, v[3:4]
	v_add_co_u32 v6, s1, s2, v3
	s_delay_alu instid0(VALU_DEP_1)
	v_add_co_ci_u32_e64 v12, s1, s3, v4, s1
	s_and_saveexec_b32 s1, s0
	s_cbranch_execz .LBB649_5
; %bb.4:
	v_ashrrev_i32_e32 v3, 31, v2
	s_delay_alu instid0(VALU_DEP_1) | instskip(NEXT) | instid1(VALU_DEP_1)
	v_lshlrev_b64 v[3:4], 3, v[2:3]
	v_add_co_u32 v3, s0, v6, v3
	s_delay_alu instid0(VALU_DEP_1)
	v_add_co_ci_u32_e64 v4, s0, v12, v4, s0
	global_load_b64 v[15:16], v[3:4], off
	v_mul_f32_e32 v5, s9, v17
	s_waitcnt vmcnt(0)
	v_mul_f32_e32 v13, s5, v16
	v_dual_mul_f32 v16, s4, v16 :: v_dual_mul_f32 v17, s8, v17
	s_delay_alu instid0(VALU_DEP_3) | instskip(NEXT) | instid1(VALU_DEP_3)
	v_fma_f32 v5, v14, s8, -v5
	v_fma_f32 v13, v15, s4, -v13
	s_delay_alu instid0(VALU_DEP_3) | instskip(NEXT) | instid1(VALU_DEP_2)
	v_dual_fmac_f32 v16, s5, v15 :: v_dual_fmac_f32 v17, s9, v14
	v_add_f32_e32 v13, v5, v13
	s_delay_alu instid0(VALU_DEP_2)
	v_add_f32_e32 v14, v17, v16
	global_store_b64 v[3:4], v[13:14], off
.LBB649_5:
	s_or_b32 exec_lo, exec_lo, s1
	v_add_nc_u32_e32 v4, 16, v2
	s_delay_alu instid0(VALU_DEP_1) | instskip(SKIP_1) | instid1(VALU_DEP_1)
	v_cmp_le_i32_e64 s1, v7, v4
	v_cmp_gt_i32_e64 s0, s16, v4
	s_and_b32 s1, s1, s0
	s_delay_alu instid0(SALU_CYCLE_1)
	s_and_saveexec_b32 s6, s1
	s_cbranch_execz .LBB649_7
; %bb.6:
	v_ashrrev_i32_e32 v5, 31, v4
	s_delay_alu instid0(VALU_DEP_1) | instskip(NEXT) | instid1(VALU_DEP_1)
	v_lshlrev_b64 v[13:14], 3, v[4:5]
	v_add_co_u32 v5, s1, v6, v13
	s_delay_alu instid0(VALU_DEP_1) | instskip(SKIP_4) | instid1(VALU_DEP_2)
	v_add_co_ci_u32_e64 v6, s1, v12, v14, s1
	global_load_b64 v[12:13], v[5:6], off
	s_waitcnt vmcnt(0)
	v_dual_mul_f32 v3, s9, v11 :: v_dual_mul_f32 v14, s5, v13
	v_mul_f32_e32 v13, s4, v13
	v_fma_f32 v3, v10, s8, -v3
	v_mul_f32_e32 v11, s8, v11
	s_delay_alu instid0(VALU_DEP_3) | instskip(NEXT) | instid1(VALU_DEP_2)
	v_fmac_f32_e32 v13, s5, v12
	v_fmac_f32_e32 v11, s9, v10
	v_fma_f32 v10, v12, s4, -v14
	s_delay_alu instid0(VALU_DEP_2) | instskip(NEXT) | instid1(VALU_DEP_2)
	v_add_f32_e32 v11, v11, v13
	v_add_f32_e32 v10, v3, v10
	global_store_b64 v[5:6], v[10:11], off
.LBB649_7:
	s_or_b32 exec_lo, exec_lo, s6
	v_add_nc_u32_e32 v5, 16, v7
	s_delay_alu instid0(VALU_DEP_1) | instskip(SKIP_1) | instid1(VALU_DEP_2)
	v_mad_i64_i32 v[6:7], null, v5, s10, 0
	v_cmp_le_i32_e64 s1, v5, v2
	v_lshlrev_b64 v[6:7], 3, v[6:7]
	s_delay_alu instid0(VALU_DEP_1) | instskip(NEXT) | instid1(VALU_DEP_1)
	v_add_co_u32 v6, s2, s2, v6
	v_add_co_ci_u32_e64 v7, s2, s3, v7, s2
	s_delay_alu instid0(VALU_DEP_4) | instskip(NEXT) | instid1(SALU_CYCLE_1)
	s_and_b32 s2, s1, vcc_lo
	s_and_saveexec_b32 s1, s2
	s_cbranch_execz .LBB649_9
; %bb.8:
	v_ashrrev_i32_e32 v3, 31, v2
	s_delay_alu instid0(VALU_DEP_1) | instskip(NEXT) | instid1(VALU_DEP_1)
	v_lshlrev_b64 v[2:3], 3, v[2:3]
	v_add_co_u32 v2, vcc_lo, v6, v2
	s_delay_alu instid0(VALU_DEP_2)
	v_add_co_ci_u32_e32 v3, vcc_lo, v7, v3, vcc_lo
	global_load_b64 v[10:11], v[2:3], off
	v_mul_f32_e32 v12, s9, v8
	s_waitcnt vmcnt(0)
	v_dual_mul_f32 v13, s8, v8 :: v_dual_mul_f32 v8, s5, v11
	v_mul_f32_e32 v11, s4, v11
	s_delay_alu instid0(VALU_DEP_3) | instskip(NEXT) | instid1(VALU_DEP_3)
	v_fma_f32 v12, v9, s8, -v12
	v_fma_f32 v8, v10, s4, -v8
	s_delay_alu instid0(VALU_DEP_4) | instskip(NEXT) | instid1(VALU_DEP_2)
	v_fmac_f32_e32 v13, s9, v9
	v_dual_fmac_f32 v11, s5, v10 :: v_dual_add_f32 v8, v12, v8
	s_delay_alu instid0(VALU_DEP_1)
	v_add_f32_e32 v9, v13, v11
	global_store_b64 v[2:3], v[8:9], off
.LBB649_9:
	s_or_b32 exec_lo, exec_lo, s1
	v_cmp_le_i32_e32 vcc_lo, v5, v4
	s_and_b32 s0, vcc_lo, s0
	s_delay_alu instid0(SALU_CYCLE_1)
	s_and_saveexec_b32 s1, s0
	s_cbranch_execz .LBB649_11
; %bb.10:
	v_ashrrev_i32_e32 v5, 31, v4
	s_delay_alu instid0(VALU_DEP_1) | instskip(NEXT) | instid1(VALU_DEP_1)
	v_lshlrev_b64 v[2:3], 3, v[4:5]
	v_add_co_u32 v2, vcc_lo, v6, v2
	s_delay_alu instid0(VALU_DEP_2)
	v_add_co_ci_u32_e32 v3, vcc_lo, v7, v3, vcc_lo
	v_mul_f32_e32 v6, s9, v1
	v_mul_f32_e32 v1, s8, v1
	global_load_b64 v[4:5], v[2:3], off
	v_fmac_f32_e32 v1, s9, v0
	v_fma_f32 v6, v0, s8, -v6
	s_waitcnt vmcnt(0)
	v_mul_f32_e32 v7, s5, v5
	v_mul_f32_e32 v5, s4, v5
	s_delay_alu instid0(VALU_DEP_2) | instskip(NEXT) | instid1(VALU_DEP_2)
	v_fma_f32 v0, v4, s4, -v7
	v_fmac_f32_e32 v5, s5, v4
	s_delay_alu instid0(VALU_DEP_1)
	v_dual_add_f32 v0, v6, v0 :: v_dual_add_f32 v1, v1, v5
	global_store_b64 v[2:3], v[0:1], off
.LBB649_11:
	s_nop 0
	s_sendmsg sendmsg(MSG_DEALLOC_VGPRS)
	s_endpgm
	.section	.rodata,"a",@progbits
	.p2align	6, 0x0
	.amdhsa_kernel _ZL37rocblas_syrkx_herkx_restricted_kernelIi19rocblas_complex_numIfELi16ELi32ELi8ELb0ELb0ELc67ELc76EKPKS1_KPS1_EviT_T0_PT8_S7_lSA_S7_lS8_PT9_S7_li
		.amdhsa_group_segment_fixed_size 4096
		.amdhsa_private_segment_fixed_size 0
		.amdhsa_kernarg_size 100
		.amdhsa_user_sgpr_count 13
		.amdhsa_user_sgpr_dispatch_ptr 0
		.amdhsa_user_sgpr_queue_ptr 0
		.amdhsa_user_sgpr_kernarg_segment_ptr 1
		.amdhsa_user_sgpr_dispatch_id 0
		.amdhsa_user_sgpr_private_segment_size 0
		.amdhsa_wavefront_size32 1
		.amdhsa_uses_dynamic_stack 0
		.amdhsa_enable_private_segment 0
		.amdhsa_system_sgpr_workgroup_id_x 1
		.amdhsa_system_sgpr_workgroup_id_y 1
		.amdhsa_system_sgpr_workgroup_id_z 1
		.amdhsa_system_sgpr_workgroup_info 0
		.amdhsa_system_vgpr_workitem_id 1
		.amdhsa_next_free_vgpr 91
		.amdhsa_next_free_sgpr 22
		.amdhsa_reserve_vcc 1
		.amdhsa_float_round_mode_32 0
		.amdhsa_float_round_mode_16_64 0
		.amdhsa_float_denorm_mode_32 3
		.amdhsa_float_denorm_mode_16_64 3
		.amdhsa_dx10_clamp 1
		.amdhsa_ieee_mode 1
		.amdhsa_fp16_overflow 0
		.amdhsa_workgroup_processor_mode 1
		.amdhsa_memory_ordered 1
		.amdhsa_forward_progress 0
		.amdhsa_shared_vgpr_count 0
		.amdhsa_exception_fp_ieee_invalid_op 0
		.amdhsa_exception_fp_denorm_src 0
		.amdhsa_exception_fp_ieee_div_zero 0
		.amdhsa_exception_fp_ieee_overflow 0
		.amdhsa_exception_fp_ieee_underflow 0
		.amdhsa_exception_fp_ieee_inexact 0
		.amdhsa_exception_int_div_zero 0
	.end_amdhsa_kernel
	.section	.text._ZL37rocblas_syrkx_herkx_restricted_kernelIi19rocblas_complex_numIfELi16ELi32ELi8ELb0ELb0ELc67ELc76EKPKS1_KPS1_EviT_T0_PT8_S7_lSA_S7_lS8_PT9_S7_li,"axG",@progbits,_ZL37rocblas_syrkx_herkx_restricted_kernelIi19rocblas_complex_numIfELi16ELi32ELi8ELb0ELb0ELc67ELc76EKPKS1_KPS1_EviT_T0_PT8_S7_lSA_S7_lS8_PT9_S7_li,comdat
.Lfunc_end649:
	.size	_ZL37rocblas_syrkx_herkx_restricted_kernelIi19rocblas_complex_numIfELi16ELi32ELi8ELb0ELb0ELc67ELc76EKPKS1_KPS1_EviT_T0_PT8_S7_lSA_S7_lS8_PT9_S7_li, .Lfunc_end649-_ZL37rocblas_syrkx_herkx_restricted_kernelIi19rocblas_complex_numIfELi16ELi32ELi8ELb0ELb0ELc67ELc76EKPKS1_KPS1_EviT_T0_PT8_S7_lSA_S7_lS8_PT9_S7_li
                                        ; -- End function
	.section	.AMDGPU.csdata,"",@progbits
; Kernel info:
; codeLenInByte = 2268
; NumSgprs: 24
; NumVgprs: 91
; ScratchSize: 0
; MemoryBound: 0
; FloatMode: 240
; IeeeMode: 1
; LDSByteSize: 4096 bytes/workgroup (compile time only)
; SGPRBlocks: 2
; VGPRBlocks: 11
; NumSGPRsForWavesPerEU: 24
; NumVGPRsForWavesPerEU: 91
; Occupancy: 16
; WaveLimiterHint : 1
; COMPUTE_PGM_RSRC2:SCRATCH_EN: 0
; COMPUTE_PGM_RSRC2:USER_SGPR: 13
; COMPUTE_PGM_RSRC2:TRAP_HANDLER: 0
; COMPUTE_PGM_RSRC2:TGID_X_EN: 1
; COMPUTE_PGM_RSRC2:TGID_Y_EN: 1
; COMPUTE_PGM_RSRC2:TGID_Z_EN: 1
; COMPUTE_PGM_RSRC2:TIDIG_COMP_CNT: 1
	.section	.text._ZL37rocblas_syrkx_herkx_restricted_kernelIi19rocblas_complex_numIfELi16ELi32ELi8ELb0ELb0ELc78ELc76EKPKS1_KPS1_EviT_T0_PT8_S7_lSA_S7_lS8_PT9_S7_li,"axG",@progbits,_ZL37rocblas_syrkx_herkx_restricted_kernelIi19rocblas_complex_numIfELi16ELi32ELi8ELb0ELb0ELc78ELc76EKPKS1_KPS1_EviT_T0_PT8_S7_lSA_S7_lS8_PT9_S7_li,comdat
	.globl	_ZL37rocblas_syrkx_herkx_restricted_kernelIi19rocblas_complex_numIfELi16ELi32ELi8ELb0ELb0ELc78ELc76EKPKS1_KPS1_EviT_T0_PT8_S7_lSA_S7_lS8_PT9_S7_li ; -- Begin function _ZL37rocblas_syrkx_herkx_restricted_kernelIi19rocblas_complex_numIfELi16ELi32ELi8ELb0ELb0ELc78ELc76EKPKS1_KPS1_EviT_T0_PT8_S7_lSA_S7_lS8_PT9_S7_li
	.p2align	8
	.type	_ZL37rocblas_syrkx_herkx_restricted_kernelIi19rocblas_complex_numIfELi16ELi32ELi8ELb0ELb0ELc78ELc76EKPKS1_KPS1_EviT_T0_PT8_S7_lSA_S7_lS8_PT9_S7_li,@function
_ZL37rocblas_syrkx_herkx_restricted_kernelIi19rocblas_complex_numIfELi16ELi32ELi8ELb0ELb0ELc78ELc76EKPKS1_KPS1_EviT_T0_PT8_S7_lSA_S7_lS8_PT9_S7_li: ; @_ZL37rocblas_syrkx_herkx_restricted_kernelIi19rocblas_complex_numIfELi16ELi32ELi8ELb0ELb0ELc78ELc76EKPKS1_KPS1_EviT_T0_PT8_S7_lSA_S7_lS8_PT9_S7_li
; %bb.0:
	s_clause 0x1
	s_load_b128 s[4:7], s[0:1], 0x40
	s_load_b64 s[16:17], s[0:1], 0x0
	s_mov_b32 s18, s15
	s_mov_b32 s19, 0
	v_dual_mov_b32 v17, 0 :: v_dual_and_b32 v6, 0x3ff, v0
	s_lshl_b64 s[20:21], s[18:19], 3
	v_bfe_u32 v7, v0, 10, 10
	v_dual_mov_b32 v14, 0 :: v_dual_mov_b32 v11, 0
	v_dual_mov_b32 v13, 0 :: v_dual_mov_b32 v8, 0
	;; [unrolled: 1-line block ×3, first 2 shown]
	v_mov_b32_e32 v5, 0
	s_waitcnt lgkmcnt(0)
	s_add_u32 s2, s6, s20
	s_addc_u32 s3, s7, s21
	s_load_b128 s[8:11], s[0:1], 0x8
	s_load_b64 s[2:3], s[2:3], 0x0
	s_lshl_b32 s12, s13, 5
	s_lshl_b32 s13, s14, 5
	s_cmp_lt_i32 s17, 1
	s_cbranch_scc1 .LBB650_3
; %bb.1:
	s_clause 0x2
	s_load_b32 s6, s[0:1], 0x18
	s_load_b32 s14, s[0:1], 0x30
	s_load_b64 s[22:23], s[0:1], 0x28
	v_lshl_add_u32 v0, v7, 4, v6
	v_dual_mov_b32 v4, 0 :: v_dual_and_b32 v5, 7, v6
	v_lshlrev_b32_e32 v10, 3, v6
	v_lshl_add_u32 v12, v7, 6, 0x800
	s_delay_alu instid0(VALU_DEP_4) | instskip(SKIP_3) | instid1(VALU_DEP_4)
	v_and_b32_e32 v13, 31, v0
	v_lshrrev_b32_e32 v11, 3, v0
	v_lshrrev_b32_e32 v14, 5, v0
	v_lshlrev_b32_e32 v15, 3, v5
	v_dual_mov_b32 v17, 0 :: v_dual_add_nc_u32 v2, s12, v13
	s_delay_alu instid0(VALU_DEP_4) | instskip(NEXT) | instid1(VALU_DEP_3)
	v_add_nc_u32_e32 v0, s13, v11
	v_lshl_or_b32 v11, v11, 6, v15
	s_delay_alu instid0(VALU_DEP_3) | instskip(NEXT) | instid1(VALU_DEP_3)
	v_ashrrev_i32_e32 v3, 31, v2
	v_ashrrev_i32_e32 v1, 31, v0
	s_waitcnt lgkmcnt(0)
	s_ashr_i32 s7, s6, 31
	s_ashr_i32 s15, s14, 31
	s_add_u32 s10, s10, s20
	s_addc_u32 s11, s11, s21
	s_add_u32 s20, s22, s20
	s_load_b64 s[10:11], s[10:11], 0x0
	s_addc_u32 s21, s23, s21
	v_mad_i64_i32 v[8:9], null, s6, v14, v[2:3]
	s_load_b64 s[20:21], s[20:21], 0x0
	v_mad_i64_i32 v[2:3], null, s14, v5, v[0:1]
	v_dual_mov_b32 v5, 0 :: v_dual_add_nc_u32 v16, 0x800, v11
	v_mov_b32_e32 v11, 0
	s_delay_alu instid0(VALU_DEP_4) | instskip(SKIP_4) | instid1(VALU_DEP_3)
	v_lshlrev_b64 v[0:1], 3, v[8:9]
	v_dual_mov_b32 v8, 0 :: v_dual_lshlrev_b32 v13, 3, v13
	v_lshlrev_b64 v[2:3], 3, v[2:3]
	v_mov_b32_e32 v9, 0
	s_lshl_b64 s[6:7], s[6:7], 6
	v_lshl_or_b32 v15, v14, 8, v13
	v_dual_mov_b32 v13, 0 :: v_dual_mov_b32 v14, 0
	s_waitcnt lgkmcnt(0)
	v_add_co_u32 v0, vcc_lo, v0, s10
	v_add_co_ci_u32_e32 v1, vcc_lo, s11, v1, vcc_lo
	v_add_co_u32 v2, vcc_lo, v2, s20
	v_add_co_ci_u32_e32 v3, vcc_lo, s21, v3, vcc_lo
	s_delay_alu instid0(VALU_DEP_4) | instskip(NEXT) | instid1(VALU_DEP_4)
	v_add_co_u32 v0, vcc_lo, v0, 4
	v_add_co_ci_u32_e32 v1, vcc_lo, 0, v1, vcc_lo
	s_delay_alu instid0(VALU_DEP_4) | instskip(NEXT) | instid1(VALU_DEP_4)
	v_add_co_u32 v2, vcc_lo, v2, 4
	v_add_co_ci_u32_e32 v3, vcc_lo, 0, v3, vcc_lo
	s_lshl_b64 s[10:11], s[14:15], 6
.LBB650_2:                              ; =>This Inner Loop Header: Depth=1
	global_load_b64 v[18:19], v[0:1], off offset:-4
	global_load_b64 v[20:21], v[2:3], off offset:-4
	v_add_co_u32 v0, vcc_lo, v0, s6
	v_add_co_ci_u32_e32 v1, vcc_lo, s7, v1, vcc_lo
	v_add_co_u32 v2, vcc_lo, v2, s10
	v_add_co_ci_u32_e32 v3, vcc_lo, s11, v3, vcc_lo
	s_add_i32 s19, s19, 8
	s_waitcnt vmcnt(1)
	ds_store_b64 v15, v[18:19]
	s_waitcnt vmcnt(0)
	ds_store_b64 v16, v[20:21]
	s_waitcnt lgkmcnt(0)
	s_barrier
	buffer_gl0_inv
	ds_load_2addr_b64 v[18:21], v10 offset1:16
	ds_load_b128 v[22:25], v12
	ds_load_b128 v[26:29], v12 offset:1024
	ds_load_b128 v[30:33], v12 offset:16
	ds_load_2addr_b64 v[34:37], v10 offset0:32 offset1:48
	ds_load_b128 v[38:41], v12 offset:32
	ds_load_b128 v[42:45], v12 offset:48
	ds_load_2addr_b64 v[46:49], v10 offset0:64 offset1:80
	ds_load_b128 v[50:53], v12 offset:1040
	ds_load_2addr_b64 v[54:57], v10 offset0:96 offset1:112
	ds_load_2addr_b64 v[58:61], v10 offset0:128 offset1:144
	;; [unrolled: 1-line block ×4, first 2 shown]
	ds_load_b128 v[70:73], v12 offset:1056
	ds_load_b128 v[74:77], v12 offset:1072
	ds_load_2addr_b64 v[78:81], v10 offset0:224 offset1:240
	s_cmp_ge_i32 s19, s17
	s_waitcnt lgkmcnt(0)
	s_barrier
	buffer_gl0_inv
	v_dual_mul_f32 v82, v23, v19 :: v_dual_mul_f32 v85, v22, v21
	v_dual_mul_f32 v83, v22, v19 :: v_dual_mul_f32 v84, v23, v21
	v_mul_f32_e32 v86, v27, v19
	v_dual_mul_f32 v19, v26, v19 :: v_dual_mul_f32 v90, v25, v37
	v_dual_mul_f32 v87, v27, v21 :: v_dual_mul_f32 v88, v25, v35
	v_mul_f32_e32 v21, v26, v21
	v_mul_f32_e32 v89, v24, v35
	;; [unrolled: 1-line block ×3, first 2 shown]
	v_fma_f32 v82, v22, v18, -v82
	v_fmac_f32_e32 v83, v23, v18
	v_fma_f32 v22, v22, v20, -v84
	v_dual_fmac_f32 v85, v23, v20 :: v_dual_mul_f32 v84, v30, v47
	v_fma_f32 v23, v26, v18, -v86
	v_fmac_f32_e32 v19, v27, v18
	v_fma_f32 v18, v26, v20, -v87
	v_dual_mul_f32 v26, v28, v35 :: v_dual_fmac_f32 v21, v27, v20
	v_mul_f32_e32 v20, v29, v35
	v_mul_f32_e32 v27, v29, v37
	v_dual_mul_f32 v35, v28, v37 :: v_dual_fmac_f32 v84, v31, v46
	v_fma_f32 v37, v24, v34, -v88
	v_fma_f32 v24, v24, v36, -v90
	v_dual_fmac_f32 v91, v25, v36 :: v_dual_mul_f32 v90, v32, v57
	v_dual_mul_f32 v86, v31, v49 :: v_dual_fmac_f32 v89, v25, v34
	v_dual_mul_f32 v25, v31, v47 :: v_dual_mul_f32 v88, v33, v57
	v_fma_f32 v20, v28, v34, -v20
	v_fmac_f32_e32 v26, v29, v34
	v_fma_f32 v27, v28, v36, -v27
	v_dual_fmac_f32 v35, v29, v36 :: v_dual_mul_f32 v28, v51, v47
	v_dual_mul_f32 v29, v50, v47 :: v_dual_mul_f32 v34, v51, v49
	v_mul_f32_e32 v36, v50, v49
	v_mul_f32_e32 v87, v30, v49
	;; [unrolled: 1-line block ×3, first 2 shown]
	v_dual_mul_f32 v49, v32, v55 :: v_dual_fmac_f32 v90, v33, v56
	v_fma_f32 v25, v30, v46, -v25
	v_fma_f32 v30, v30, v48, -v86
	v_fma_f32 v28, v50, v46, -v28
	v_fmac_f32_e32 v36, v51, v48
	v_fmac_f32_e32 v87, v31, v48
	v_fma_f32 v31, v50, v48, -v34
	v_mul_f32_e32 v34, v53, v55
	v_mul_f32_e32 v48, v53, v57
	v_dual_mul_f32 v50, v52, v57 :: v_dual_fmac_f32 v29, v51, v46
	v_mul_f32_e32 v46, v52, v55
	v_fma_f32 v47, v32, v54, -v47
	v_fmac_f32_e32 v49, v33, v54
	v_fma_f32 v32, v32, v56, -v88
	s_delay_alu instid0(VALU_DEP_4)
	v_dual_mul_f32 v33, v39, v59 :: v_dual_fmac_f32 v46, v53, v54
	v_mul_f32_e32 v51, v38, v59
	v_mul_f32_e32 v55, v39, v61
	v_fma_f32 v34, v52, v54, -v34
	v_fma_f32 v48, v52, v56, -v48
	v_fmac_f32_e32 v50, v53, v56
	v_mul_f32_e32 v52, v71, v59
	v_dual_mul_f32 v53, v70, v59 :: v_dual_mul_f32 v86, v41, v65
	v_mul_f32_e32 v54, v71, v61
	v_dual_mul_f32 v56, v70, v61 :: v_dual_mul_f32 v59, v41, v63
	v_mul_f32_e32 v57, v38, v61
	v_mul_f32_e32 v61, v40, v63
	v_dual_mul_f32 v88, v40, v65 :: v_dual_fmac_f32 v51, v39, v58
	v_fma_f32 v33, v38, v58, -v33
	v_fmac_f32_e32 v53, v71, v58
	v_fmac_f32_e32 v56, v71, v60
	s_delay_alu instid0(VALU_DEP_4)
	v_fmac_f32_e32 v88, v41, v64
	v_fmac_f32_e32 v57, v39, v60
	v_fma_f32 v39, v70, v58, -v52
	v_fma_f32 v52, v70, v60, -v54
	v_mul_f32_e32 v54, v73, v63
	v_fma_f32 v38, v38, v60, -v55
	v_mul_f32_e32 v60, v72, v65
	v_dual_mul_f32 v55, v72, v63 :: v_dual_mul_f32 v70, v42, v69
	v_mul_f32_e32 v58, v73, v65
	v_fma_f32 v59, v40, v62, -v59
	v_fmac_f32_e32 v61, v41, v62
	v_fma_f32 v40, v40, v64, -v86
	v_dual_mul_f32 v41, v43, v67 :: v_dual_fmac_f32 v60, v73, v64
	v_dual_mul_f32 v63, v42, v67 :: v_dual_mul_f32 v86, v44, v81
	v_mul_f32_e32 v65, v43, v69
	v_fma_f32 v54, v72, v62, -v54
	v_fmac_f32_e32 v55, v73, v62
	v_fma_f32 v58, v72, v64, -v58
	v_mul_f32_e32 v72, v44, v79
	v_mul_f32_e32 v62, v75, v67
	v_dual_mul_f32 v64, v74, v67 :: v_dual_mul_f32 v67, v75, v69
	v_dual_mul_f32 v69, v74, v69 :: v_dual_fmac_f32 v70, v43, v68
	s_delay_alu instid0(VALU_DEP_2)
	v_dual_mul_f32 v71, v45, v79 :: v_dual_fmac_f32 v64, v75, v66
	v_dual_mul_f32 v73, v45, v81 :: v_dual_add_f32 v14, v14, v82
	v_fma_f32 v41, v42, v66, -v41
	v_fmac_f32_e32 v63, v43, v66
	v_fma_f32 v42, v42, v68, -v65
	v_fma_f32 v43, v74, v66, -v62
	v_dual_mul_f32 v65, v77, v79 :: v_dual_add_f32 v4, v4, v21
	v_mul_f32_e32 v66, v76, v79
	v_fma_f32 v62, v74, v68, -v67
	v_dual_mul_f32 v67, v77, v81 :: v_dual_add_f32 v8, v8, v19
	v_dual_add_f32 v17, v17, v83 :: v_dual_add_f32 v14, v14, v37
	v_add_f32_e32 v13, v13, v85
	v_dual_add_f32 v5, v5, v18 :: v_dual_add_f32 v4, v4, v35
	s_delay_alu instid0(VALU_DEP_4) | instskip(SKIP_2) | instid1(VALU_DEP_4)
	v_add_f32_e32 v8, v8, v26
	v_dual_fmac_f32 v86, v45, v80 :: v_dual_add_f32 v11, v11, v22
	v_dual_add_f32 v9, v9, v23 :: v_dual_add_f32 v14, v14, v25
	v_dual_add_f32 v17, v17, v89 :: v_dual_add_f32 v4, v4, v36
	s_delay_alu instid0(VALU_DEP_4)
	v_dual_add_f32 v13, v13, v91 :: v_dual_add_f32 v8, v8, v29
	v_dual_fmac_f32 v69, v75, v68 :: v_dual_fmac_f32 v72, v45, v78
	v_mul_f32_e32 v68, v76, v81
	v_dual_fmac_f32 v66, v77, v78 :: v_dual_add_f32 v11, v11, v24
	v_dual_add_f32 v9, v9, v20 :: v_dual_add_f32 v14, v14, v47
	v_dual_add_f32 v5, v5, v27 :: v_dual_add_f32 v8, v8, v46
	;; [unrolled: 1-line block ×3, first 2 shown]
	s_delay_alu instid0(VALU_DEP_4) | instskip(NEXT) | instid1(VALU_DEP_4)
	v_dual_fmac_f32 v68, v77, v80 :: v_dual_add_f32 v11, v11, v30
	v_dual_add_f32 v13, v13, v87 :: v_dual_add_f32 v14, v14, v33
	s_delay_alu instid0(VALU_DEP_4) | instskip(NEXT) | instid1(VALU_DEP_4)
	v_dual_add_f32 v9, v9, v28 :: v_dual_add_f32 v8, v8, v53
	v_dual_add_f32 v5, v5, v31 :: v_dual_add_f32 v4, v4, v56
	s_delay_alu instid0(VALU_DEP_3) | instskip(NEXT) | instid1(VALU_DEP_3)
	v_dual_add_f32 v17, v17, v49 :: v_dual_add_f32 v14, v14, v59
	v_dual_add_f32 v11, v11, v32 :: v_dual_add_f32 v8, v8, v55
	s_delay_alu instid0(VALU_DEP_3) | instskip(NEXT) | instid1(VALU_DEP_3)
	v_dual_add_f32 v13, v13, v90 :: v_dual_add_f32 v4, v4, v60
	v_dual_add_f32 v9, v9, v34 :: v_dual_add_f32 v14, v14, v41
	v_add_f32_e32 v5, v5, v48
	v_fma_f32 v71, v44, v78, -v71
	s_delay_alu instid0(VALU_DEP_4) | instskip(SKIP_1) | instid1(VALU_DEP_3)
	v_dual_add_f32 v4, v4, v69 :: v_dual_add_f32 v17, v17, v51
	v_dual_add_f32 v8, v8, v64 :: v_dual_add_f32 v11, v11, v38
	;; [unrolled: 1-line block ×3, first 2 shown]
	s_delay_alu instid0(VALU_DEP_3) | instskip(SKIP_3) | instid1(VALU_DEP_4)
	v_dual_add_f32 v9, v9, v39 :: v_dual_add_f32 v4, v4, v68
	v_add_f32_e32 v5, v5, v52
	v_add_f32_e32 v17, v17, v61
	;; [unrolled: 1-line block ×4, first 2 shown]
	v_dual_add_f32 v8, v8, v66 :: v_dual_add_f32 v13, v13, v88
	v_add_f32_e32 v5, v5, v58
	v_fma_f32 v44, v44, v80, -v73
	v_fma_f32 v45, v76, v78, -v65
	v_fma_f32 v65, v76, v80, -v67
	v_add_f32_e32 v17, v17, v63
	v_add_f32_e32 v11, v11, v42
	;; [unrolled: 1-line block ×10, first 2 shown]
	s_cbranch_scc0 .LBB650_2
.LBB650_3:
	s_load_b32 s6, s[0:1], 0x50
	v_add_nc_u32_e32 v7, s13, v7
	v_add_nc_u32_e32 v0, s12, v6
	s_delay_alu instid0(VALU_DEP_1) | instskip(SKIP_1) | instid1(VALU_DEP_2)
	v_cmp_le_i32_e64 s0, v7, v0
	v_cmp_gt_i32_e32 vcc_lo, s16, v0
	s_and_b32 s0, s0, vcc_lo
	s_waitcnt lgkmcnt(0)
	v_mad_i64_i32 v[1:2], null, v7, s6, 0
	s_delay_alu instid0(VALU_DEP_1) | instskip(NEXT) | instid1(VALU_DEP_1)
	v_lshlrev_b64 v[1:2], 3, v[1:2]
	v_add_co_u32 v6, s1, s2, v1
	s_delay_alu instid0(VALU_DEP_1)
	v_add_co_ci_u32_e64 v10, s1, s3, v2, s1
	s_and_saveexec_b32 s1, s0
	s_cbranch_execz .LBB650_5
; %bb.4:
	v_ashrrev_i32_e32 v1, 31, v0
	s_delay_alu instid0(VALU_DEP_1) | instskip(NEXT) | instid1(VALU_DEP_1)
	v_lshlrev_b64 v[1:2], 3, v[0:1]
	v_add_co_u32 v1, s0, v6, v1
	s_delay_alu instid0(VALU_DEP_1)
	v_add_co_ci_u32_e64 v2, s0, v10, v2, s0
	global_load_b64 v[15:16], v[1:2], off
	v_mul_f32_e32 v3, s9, v17
	s_waitcnt vmcnt(0)
	v_dual_mul_f32 v12, s8, v17 :: v_dual_mul_f32 v17, s5, v16
	v_mul_f32_e32 v16, s4, v16
	s_delay_alu instid0(VALU_DEP_3) | instskip(NEXT) | instid1(VALU_DEP_3)
	v_fma_f32 v3, v14, s8, -v3
	v_fmac_f32_e32 v12, s9, v14
	s_delay_alu instid0(VALU_DEP_4) | instskip(NEXT) | instid1(VALU_DEP_4)
	v_fma_f32 v14, v15, s4, -v17
	v_fmac_f32_e32 v16, s5, v15
	s_delay_alu instid0(VALU_DEP_1)
	v_dual_add_f32 v14, v3, v14 :: v_dual_add_f32 v15, v12, v16
	global_store_b64 v[1:2], v[14:15], off
.LBB650_5:
	s_or_b32 exec_lo, exec_lo, s1
	v_add_nc_u32_e32 v2, 16, v0
	s_delay_alu instid0(VALU_DEP_1) | instskip(SKIP_1) | instid1(VALU_DEP_1)
	v_cmp_le_i32_e64 s1, v7, v2
	v_cmp_gt_i32_e64 s0, s16, v2
	s_and_b32 s1, s1, s0
	s_delay_alu instid0(SALU_CYCLE_1)
	s_and_saveexec_b32 s7, s1
	s_cbranch_execz .LBB650_7
; %bb.6:
	v_ashrrev_i32_e32 v3, 31, v2
	s_delay_alu instid0(VALU_DEP_1) | instskip(NEXT) | instid1(VALU_DEP_1)
	v_lshlrev_b64 v[14:15], 3, v[2:3]
	v_add_co_u32 v14, s1, v6, v14
	s_delay_alu instid0(VALU_DEP_1)
	v_add_co_ci_u32_e64 v15, s1, v10, v15, s1
	global_load_b64 v[16:17], v[14:15], off
	s_waitcnt vmcnt(0)
	v_mul_f32_e32 v6, s5, v17
	v_mul_f32_e32 v12, s4, v17
	;; [unrolled: 1-line block ×3, first 2 shown]
	s_delay_alu instid0(VALU_DEP_3) | instskip(NEXT) | instid1(VALU_DEP_3)
	v_fma_f32 v6, v16, s4, -v6
	v_fmac_f32_e32 v12, s5, v16
	s_delay_alu instid0(VALU_DEP_3) | instskip(NEXT) | instid1(VALU_DEP_1)
	v_fma_f32 v1, v11, s8, -v1
	v_dual_mul_f32 v3, s8, v13 :: v_dual_add_f32 v10, v1, v6
	s_delay_alu instid0(VALU_DEP_1) | instskip(NEXT) | instid1(VALU_DEP_1)
	v_fmac_f32_e32 v3, s9, v11
	v_add_f32_e32 v11, v3, v12
	global_store_b64 v[14:15], v[10:11], off
.LBB650_7:
	s_or_b32 exec_lo, exec_lo, s7
	v_add_nc_u32_e32 v3, 16, v7
	s_delay_alu instid0(VALU_DEP_1) | instskip(SKIP_1) | instid1(VALU_DEP_2)
	v_mad_i64_i32 v[6:7], null, v3, s6, 0
	v_cmp_le_i32_e64 s1, v3, v0
	v_lshlrev_b64 v[6:7], 3, v[6:7]
	s_delay_alu instid0(VALU_DEP_1) | instskip(NEXT) | instid1(VALU_DEP_1)
	v_add_co_u32 v6, s2, s2, v6
	v_add_co_ci_u32_e64 v7, s2, s3, v7, s2
	s_delay_alu instid0(VALU_DEP_4) | instskip(NEXT) | instid1(SALU_CYCLE_1)
	s_and_b32 s2, s1, vcc_lo
	s_and_saveexec_b32 s1, s2
	s_cbranch_execz .LBB650_9
; %bb.8:
	v_ashrrev_i32_e32 v1, 31, v0
	s_delay_alu instid0(VALU_DEP_1) | instskip(NEXT) | instid1(VALU_DEP_1)
	v_lshlrev_b64 v[0:1], 3, v[0:1]
	v_add_co_u32 v0, vcc_lo, v6, v0
	s_delay_alu instid0(VALU_DEP_2)
	v_add_co_ci_u32_e32 v1, vcc_lo, v7, v1, vcc_lo
	global_load_b64 v[10:11], v[0:1], off
	v_mul_f32_e32 v12, s9, v8
	s_waitcnt vmcnt(0)
	v_dual_mul_f32 v13, s8, v8 :: v_dual_mul_f32 v8, s5, v11
	v_mul_f32_e32 v11, s4, v11
	s_delay_alu instid0(VALU_DEP_3) | instskip(NEXT) | instid1(VALU_DEP_3)
	v_fma_f32 v12, v9, s8, -v12
	v_fma_f32 v8, v10, s4, -v8
	s_delay_alu instid0(VALU_DEP_4) | instskip(NEXT) | instid1(VALU_DEP_2)
	v_fmac_f32_e32 v13, s9, v9
	v_dual_fmac_f32 v11, s5, v10 :: v_dual_add_f32 v8, v12, v8
	s_delay_alu instid0(VALU_DEP_1)
	v_add_f32_e32 v9, v13, v11
	global_store_b64 v[0:1], v[8:9], off
.LBB650_9:
	s_or_b32 exec_lo, exec_lo, s1
	v_cmp_le_i32_e32 vcc_lo, v3, v2
	s_and_b32 s0, vcc_lo, s0
	s_delay_alu instid0(SALU_CYCLE_1)
	s_and_saveexec_b32 s1, s0
	s_cbranch_execz .LBB650_11
; %bb.10:
	v_ashrrev_i32_e32 v3, 31, v2
	s_delay_alu instid0(VALU_DEP_1) | instskip(NEXT) | instid1(VALU_DEP_1)
	v_lshlrev_b64 v[0:1], 3, v[2:3]
	v_add_co_u32 v0, vcc_lo, v6, v0
	s_delay_alu instid0(VALU_DEP_2)
	v_add_co_ci_u32_e32 v1, vcc_lo, v7, v1, vcc_lo
	global_load_b64 v[2:3], v[0:1], off
	v_mul_f32_e32 v6, s9, v4
	s_waitcnt vmcnt(0)
	v_dual_mul_f32 v4, s8, v4 :: v_dual_mul_f32 v7, s5, v3
	v_mul_f32_e32 v3, s4, v3
	s_delay_alu instid0(VALU_DEP_3) | instskip(NEXT) | instid1(VALU_DEP_3)
	v_fma_f32 v6, v5, s8, -v6
	v_fmac_f32_e32 v4, s9, v5
	s_delay_alu instid0(VALU_DEP_4) | instskip(NEXT) | instid1(VALU_DEP_1)
	v_fma_f32 v5, v2, s4, -v7
	v_dual_fmac_f32 v3, s5, v2 :: v_dual_add_f32 v2, v6, v5
	s_delay_alu instid0(VALU_DEP_1)
	v_add_f32_e32 v3, v4, v3
	global_store_b64 v[0:1], v[2:3], off
.LBB650_11:
	s_nop 0
	s_sendmsg sendmsg(MSG_DEALLOC_VGPRS)
	s_endpgm
	.section	.rodata,"a",@progbits
	.p2align	6, 0x0
	.amdhsa_kernel _ZL37rocblas_syrkx_herkx_restricted_kernelIi19rocblas_complex_numIfELi16ELi32ELi8ELb0ELb0ELc78ELc76EKPKS1_KPS1_EviT_T0_PT8_S7_lSA_S7_lS8_PT9_S7_li
		.amdhsa_group_segment_fixed_size 4096
		.amdhsa_private_segment_fixed_size 0
		.amdhsa_kernarg_size 100
		.amdhsa_user_sgpr_count 13
		.amdhsa_user_sgpr_dispatch_ptr 0
		.amdhsa_user_sgpr_queue_ptr 0
		.amdhsa_user_sgpr_kernarg_segment_ptr 1
		.amdhsa_user_sgpr_dispatch_id 0
		.amdhsa_user_sgpr_private_segment_size 0
		.amdhsa_wavefront_size32 1
		.amdhsa_uses_dynamic_stack 0
		.amdhsa_enable_private_segment 0
		.amdhsa_system_sgpr_workgroup_id_x 1
		.amdhsa_system_sgpr_workgroup_id_y 1
		.amdhsa_system_sgpr_workgroup_id_z 1
		.amdhsa_system_sgpr_workgroup_info 0
		.amdhsa_system_vgpr_workitem_id 1
		.amdhsa_next_free_vgpr 92
		.amdhsa_next_free_sgpr 24
		.amdhsa_reserve_vcc 1
		.amdhsa_float_round_mode_32 0
		.amdhsa_float_round_mode_16_64 0
		.amdhsa_float_denorm_mode_32 3
		.amdhsa_float_denorm_mode_16_64 3
		.amdhsa_dx10_clamp 1
		.amdhsa_ieee_mode 1
		.amdhsa_fp16_overflow 0
		.amdhsa_workgroup_processor_mode 1
		.amdhsa_memory_ordered 1
		.amdhsa_forward_progress 0
		.amdhsa_shared_vgpr_count 0
		.amdhsa_exception_fp_ieee_invalid_op 0
		.amdhsa_exception_fp_denorm_src 0
		.amdhsa_exception_fp_ieee_div_zero 0
		.amdhsa_exception_fp_ieee_overflow 0
		.amdhsa_exception_fp_ieee_underflow 0
		.amdhsa_exception_fp_ieee_inexact 0
		.amdhsa_exception_int_div_zero 0
	.end_amdhsa_kernel
	.section	.text._ZL37rocblas_syrkx_herkx_restricted_kernelIi19rocblas_complex_numIfELi16ELi32ELi8ELb0ELb0ELc78ELc76EKPKS1_KPS1_EviT_T0_PT8_S7_lSA_S7_lS8_PT9_S7_li,"axG",@progbits,_ZL37rocblas_syrkx_herkx_restricted_kernelIi19rocblas_complex_numIfELi16ELi32ELi8ELb0ELb0ELc78ELc76EKPKS1_KPS1_EviT_T0_PT8_S7_lSA_S7_lS8_PT9_S7_li,comdat
.Lfunc_end650:
	.size	_ZL37rocblas_syrkx_herkx_restricted_kernelIi19rocblas_complex_numIfELi16ELi32ELi8ELb0ELb0ELc78ELc76EKPKS1_KPS1_EviT_T0_PT8_S7_lSA_S7_lS8_PT9_S7_li, .Lfunc_end650-_ZL37rocblas_syrkx_herkx_restricted_kernelIi19rocblas_complex_numIfELi16ELi32ELi8ELb0ELb0ELc78ELc76EKPKS1_KPS1_EviT_T0_PT8_S7_lSA_S7_lS8_PT9_S7_li
                                        ; -- End function
	.section	.AMDGPU.csdata,"",@progbits
; Kernel info:
; codeLenInByte = 2304
; NumSgprs: 26
; NumVgprs: 92
; ScratchSize: 0
; MemoryBound: 0
; FloatMode: 240
; IeeeMode: 1
; LDSByteSize: 4096 bytes/workgroup (compile time only)
; SGPRBlocks: 3
; VGPRBlocks: 11
; NumSGPRsForWavesPerEU: 26
; NumVGPRsForWavesPerEU: 92
; Occupancy: 16
; WaveLimiterHint : 1
; COMPUTE_PGM_RSRC2:SCRATCH_EN: 0
; COMPUTE_PGM_RSRC2:USER_SGPR: 13
; COMPUTE_PGM_RSRC2:TRAP_HANDLER: 0
; COMPUTE_PGM_RSRC2:TGID_X_EN: 1
; COMPUTE_PGM_RSRC2:TGID_Y_EN: 1
; COMPUTE_PGM_RSRC2:TGID_Z_EN: 1
; COMPUTE_PGM_RSRC2:TIDIG_COMP_CNT: 1
	.section	.text._ZL37rocblas_syrkx_herkx_restricted_kernelIi19rocblas_complex_numIfELi16ELi32ELi8ELb0ELb0ELc84ELc85EKPKS1_KPS1_EviT_T0_PT8_S7_lSA_S7_lS8_PT9_S7_li,"axG",@progbits,_ZL37rocblas_syrkx_herkx_restricted_kernelIi19rocblas_complex_numIfELi16ELi32ELi8ELb0ELb0ELc84ELc85EKPKS1_KPS1_EviT_T0_PT8_S7_lSA_S7_lS8_PT9_S7_li,comdat
	.globl	_ZL37rocblas_syrkx_herkx_restricted_kernelIi19rocblas_complex_numIfELi16ELi32ELi8ELb0ELb0ELc84ELc85EKPKS1_KPS1_EviT_T0_PT8_S7_lSA_S7_lS8_PT9_S7_li ; -- Begin function _ZL37rocblas_syrkx_herkx_restricted_kernelIi19rocblas_complex_numIfELi16ELi32ELi8ELb0ELb0ELc84ELc85EKPKS1_KPS1_EviT_T0_PT8_S7_lSA_S7_lS8_PT9_S7_li
	.p2align	8
	.type	_ZL37rocblas_syrkx_herkx_restricted_kernelIi19rocblas_complex_numIfELi16ELi32ELi8ELb0ELb0ELc84ELc85EKPKS1_KPS1_EviT_T0_PT8_S7_lSA_S7_lS8_PT9_S7_li,@function
_ZL37rocblas_syrkx_herkx_restricted_kernelIi19rocblas_complex_numIfELi16ELi32ELi8ELb0ELb0ELc84ELc85EKPKS1_KPS1_EviT_T0_PT8_S7_lSA_S7_lS8_PT9_S7_li: ; @_ZL37rocblas_syrkx_herkx_restricted_kernelIi19rocblas_complex_numIfELi16ELi32ELi8ELb0ELb0ELc84ELc85EKPKS1_KPS1_EviT_T0_PT8_S7_lSA_S7_lS8_PT9_S7_li
; %bb.0:
	s_clause 0x1
	s_load_b128 s[4:7], s[0:1], 0x40
	s_load_b64 s[2:3], s[0:1], 0x0
	s_mov_b32 s16, s15
	s_mov_b32 s17, 0
	v_dual_mov_b32 v11, 0 :: v_dual_and_b32 v6, 0x3ff, v0
	s_lshl_b64 s[18:19], s[16:17], 3
	v_bfe_u32 v7, v0, 10, 10
	v_dual_mov_b32 v14, 0 :: v_dual_mov_b32 v9, 0
	v_dual_mov_b32 v16, 0 :: v_dual_mov_b32 v1, 0
	v_mov_b32_e32 v10, 0
	v_mov_b32_e32 v8, 0
	;; [unrolled: 1-line block ×3, first 2 shown]
	s_waitcnt lgkmcnt(0)
	s_add_u32 s6, s6, s18
	s_addc_u32 s7, s7, s19
	s_load_b128 s[8:11], s[0:1], 0x8
	s_load_b64 s[6:7], s[6:7], 0x0
	s_lshl_b32 s12, s13, 5
	s_lshl_b32 s13, s14, 5
	s_cmp_lt_i32 s3, 1
	s_cbranch_scc1 .LBB651_3
; %bb.1:
	s_clause 0x2
	s_load_b64 s[14:15], s[0:1], 0x28
	s_load_b32 s16, s[0:1], 0x18
	s_load_b32 s20, s[0:1], 0x30
	v_lshl_add_u32 v2, v7, 4, v6
	v_dual_mov_b32 v1, 0 :: v_dual_and_b32 v0, 7, v6
	v_lshlrev_b32_e32 v12, 3, v6
	s_waitcnt lgkmcnt(0)
	s_add_u32 s10, s10, s18
	v_and_b32_e32 v8, 31, v2
	v_lshrrev_b32_e32 v11, 3, v2
	v_lshrrev_b32_e32 v2, 5, v2
	v_mov_b32_e32 v3, v1
	s_addc_u32 s11, s11, s19
	v_add_nc_u32_e32 v9, s12, v8
	s_load_b64 s[10:11], s[10:11], 0x0
	v_add_nc_u32_e32 v14, s13, v11
	v_lshl_add_u32 v13, v7, 6, 0x800
	v_mov_b32_e32 v16, v1
	s_add_u32 s14, s14, s18
	v_mad_i64_i32 v[4:5], null, s16, v9, v[2:3]
	v_lshlrev_b32_e32 v3, 3, v0
	s_addc_u32 s15, s15, s19
	s_load_b64 s[14:15], s[14:15], 0x0
	s_delay_alu instid0(VALU_DEP_1) | instskip(NEXT) | instid1(VALU_DEP_3)
	v_lshl_or_b32 v11, v11, 6, v3
	v_lshlrev_b64 v[3:4], 3, v[4:5]
	s_delay_alu instid0(VALU_DEP_2)
	v_add_nc_u32_e32 v17, 0x800, v11
	v_mov_b32_e32 v11, v1
	v_mad_i64_i32 v[9:10], null, s20, v14, v[0:1]
	v_lshlrev_b32_e32 v14, 3, v8
	v_mov_b32_e32 v0, v1
	v_mov_b32_e32 v8, v1
	s_delay_alu instid0(VALU_DEP_3)
	v_lshl_or_b32 v15, v2, 8, v14
	v_lshlrev_b64 v[9:10], 3, v[9:10]
	s_waitcnt lgkmcnt(0)
	v_add_co_u32 v2, vcc_lo, v3, s10
	v_add_co_ci_u32_e32 v3, vcc_lo, s11, v4, vcc_lo
	v_mov_b32_e32 v14, v1
	s_delay_alu instid0(VALU_DEP_4)
	v_add_co_u32 v4, vcc_lo, v9, s14
	v_add_co_ci_u32_e32 v5, vcc_lo, s15, v10, vcc_lo
	v_mov_b32_e32 v10, v1
	v_add_co_u32 v2, vcc_lo, v2, 4
	v_add_co_ci_u32_e32 v3, vcc_lo, 0, v3, vcc_lo
	v_add_co_u32 v4, vcc_lo, v4, 4
	v_add_co_ci_u32_e32 v5, vcc_lo, 0, v5, vcc_lo
	v_mov_b32_e32 v9, v1
.LBB651_2:                              ; =>This Inner Loop Header: Depth=1
	global_load_b64 v[18:19], v[2:3], off offset:-4
	global_load_b64 v[20:21], v[4:5], off offset:-4
	v_add_co_u32 v2, vcc_lo, v2, 64
	v_add_co_ci_u32_e32 v3, vcc_lo, 0, v3, vcc_lo
	v_add_co_u32 v4, vcc_lo, v4, 64
	v_add_co_ci_u32_e32 v5, vcc_lo, 0, v5, vcc_lo
	s_add_i32 s17, s17, 8
	s_waitcnt vmcnt(1)
	ds_store_b64 v15, v[18:19]
	s_waitcnt vmcnt(0)
	ds_store_b64 v17, v[20:21]
	s_waitcnt lgkmcnt(0)
	s_barrier
	buffer_gl0_inv
	ds_load_2addr_b64 v[18:21], v12 offset1:16
	ds_load_b128 v[22:25], v13
	ds_load_b128 v[26:29], v13 offset:1024
	ds_load_b128 v[30:33], v13 offset:16
	ds_load_2addr_b64 v[34:37], v12 offset0:32 offset1:48
	ds_load_b128 v[38:41], v13 offset:32
	ds_load_b128 v[42:45], v13 offset:48
	ds_load_2addr_b64 v[46:49], v12 offset0:64 offset1:80
	ds_load_b128 v[50:53], v13 offset:1040
	ds_load_2addr_b64 v[54:57], v12 offset0:96 offset1:112
	ds_load_2addr_b64 v[58:61], v12 offset0:128 offset1:144
	;; [unrolled: 1-line block ×4, first 2 shown]
	ds_load_b128 v[70:73], v13 offset:1056
	ds_load_b128 v[74:77], v13 offset:1072
	ds_load_2addr_b64 v[78:81], v12 offset0:224 offset1:240
	s_cmp_ge_i32 s17, s3
	s_waitcnt lgkmcnt(0)
	s_barrier
	buffer_gl0_inv
	v_dual_mul_f32 v82, v23, v19 :: v_dual_mul_f32 v85, v22, v21
	v_dual_mul_f32 v83, v22, v19 :: v_dual_mul_f32 v84, v23, v21
	v_mul_f32_e32 v86, v27, v19
	v_dual_mul_f32 v19, v26, v19 :: v_dual_mul_f32 v90, v25, v37
	v_dual_mul_f32 v87, v27, v21 :: v_dual_mul_f32 v88, v25, v35
	v_mul_f32_e32 v21, v26, v21
	v_fma_f32 v82, v22, v18, -v82
	v_fmac_f32_e32 v83, v23, v18
	v_fma_f32 v22, v22, v20, -v84
	v_fmac_f32_e32 v85, v23, v20
	v_fma_f32 v23, v26, v18, -v86
	v_dual_fmac_f32 v19, v27, v18 :: v_dual_mul_f32 v86, v30, v47
	v_fma_f32 v18, v26, v20, -v87
	v_dual_fmac_f32 v21, v27, v20 :: v_dual_mul_f32 v20, v24, v37
	v_mul_f32_e32 v89, v24, v35
	v_mul_f32_e32 v26, v29, v35
	;; [unrolled: 1-line block ×4, first 2 shown]
	v_fmac_f32_e32 v20, v25, v36
	v_fmac_f32_e32 v89, v25, v34
	v_dual_mul_f32 v25, v28, v37 :: v_dual_fmac_f32 v86, v31, v46
	v_fma_f32 v84, v24, v34, -v88
	v_fma_f32 v24, v24, v36, -v90
	v_dual_mul_f32 v37, v31, v47 :: v_dual_mul_f32 v90, v33, v57
	v_fma_f32 v26, v28, v34, -v26
	v_fma_f32 v28, v28, v36, -v35
	v_fmac_f32_e32 v25, v29, v36
	v_dual_mul_f32 v35, v50, v47 :: v_dual_mul_f32 v36, v51, v49
	v_dual_fmac_f32 v27, v29, v34 :: v_dual_mul_f32 v34, v51, v47
	v_dual_mul_f32 v88, v32, v55 :: v_dual_mul_f32 v29, v30, v49
	v_mul_f32_e32 v87, v31, v49
	v_fma_f32 v37, v30, v46, -v37
	v_add_f32_e32 v14, v14, v82
	s_delay_alu instid0(VALU_DEP_4)
	v_dual_fmac_f32 v88, v33, v54 :: v_dual_fmac_f32 v29, v31, v48
	v_fma_f32 v31, v50, v46, -v34
	v_fma_f32 v34, v50, v48, -v36
	v_mul_f32_e32 v36, v32, v57
	v_mul_f32_e32 v47, v50, v49
	v_dual_mul_f32 v50, v53, v57 :: v_dual_fmac_f32 v35, v51, v46
	v_mul_f32_e32 v46, v53, v55
	v_mul_f32_e32 v49, v33, v55
	v_fma_f32 v30, v30, v48, -v87
	v_fmac_f32_e32 v36, v33, v56
	v_dual_fmac_f32 v47, v51, v48 :: v_dual_mul_f32 v48, v52, v55
	v_mul_f32_e32 v33, v52, v57
	v_fma_f32 v46, v52, v54, -v46
	v_fma_f32 v50, v52, v56, -v50
	v_mul_f32_e32 v52, v38, v61
	v_fma_f32 v49, v32, v54, -v49
	v_fma_f32 v32, v32, v56, -v90
	v_dual_mul_f32 v51, v39, v59 :: v_dual_fmac_f32 v48, v53, v54
	v_mul_f32_e32 v54, v70, v59
	v_dual_mul_f32 v55, v38, v59 :: v_dual_fmac_f32 v52, v39, v60
	v_fmac_f32_e32 v33, v53, v56
	v_mul_f32_e32 v53, v71, v59
	v_mul_f32_e32 v56, v71, v61
	;; [unrolled: 1-line block ×3, first 2 shown]
	v_fmac_f32_e32 v54, v71, v58
	v_fmac_f32_e32 v55, v39, v58
	v_fma_f32 v39, v70, v58, -v53
	v_fma_f32 v53, v70, v60, -v56
	v_mul_f32_e32 v56, v40, v65
	v_mul_f32_e32 v59, v70, v61
	v_fma_f32 v51, v38, v58, -v51
	v_mul_f32_e32 v58, v72, v63
	v_mul_f32_e32 v87, v40, v63
	;; [unrolled: 1-line block ×4, first 2 shown]
	v_fma_f32 v38, v38, v60, -v57
	v_mul_f32_e32 v57, v73, v63
	v_fmac_f32_e32 v56, v41, v64
	v_dual_fmac_f32 v59, v71, v60 :: v_dual_mul_f32 v60, v73, v65
	v_mul_f32_e32 v63, v43, v67
	v_mul_f32_e32 v70, v43, v69
	v_fmac_f32_e32 v58, v73, v62
	v_fmac_f32_e32 v87, v41, v62
	v_mul_f32_e32 v41, v72, v65
	v_fma_f32 v61, v40, v62, -v61
	v_fma_f32 v40, v40, v64, -v90
	v_mul_f32_e32 v65, v42, v67
	v_fma_f32 v57, v72, v62, -v57
	v_fma_f32 v60, v72, v64, -v60
	v_dual_fmac_f32 v41, v73, v64 :: v_dual_mul_f32 v62, v42, v69
	v_mul_f32_e32 v64, v75, v67
	v_fma_f32 v63, v42, v66, -v63
	v_fma_f32 v42, v42, v68, -v70
	v_mul_f32_e32 v70, v76, v79
	v_mul_f32_e32 v67, v74, v67
	;; [unrolled: 1-line block ×3, first 2 shown]
	v_dual_mul_f32 v69, v74, v69 :: v_dual_add_f32 v16, v16, v83
	v_dual_mul_f32 v73, v44, v79 :: v_dual_add_f32 v10, v10, v22
	v_dual_fmac_f32 v65, v43, v66 :: v_dual_add_f32 v8, v8, v19
	v_fmac_f32_e32 v62, v43, v68
	v_fma_f32 v43, v74, v66, -v64
	v_fmac_f32_e32 v70, v77, v78
	v_dual_fmac_f32 v67, v75, v66 :: v_dual_add_f32 v14, v14, v84
	v_mul_f32_e32 v66, v44, v81
	v_mul_f32_e32 v72, v45, v79
	;; [unrolled: 1-line block ×3, first 2 shown]
	v_fma_f32 v64, v74, v68, -v71
	v_dual_fmac_f32 v69, v75, v68 :: v_dual_add_f32 v0, v0, v18
	v_dual_mul_f32 v71, v77, v81 :: v_dual_add_f32 v10, v10, v24
	v_dual_fmac_f32 v73, v45, v78 :: v_dual_add_f32 v16, v16, v89
	v_dual_fmac_f32 v66, v45, v80 :: v_dual_mul_f32 v45, v76, v81
	s_delay_alu instid0(VALU_DEP_3)
	v_dual_add_f32 v10, v10, v30 :: v_dual_add_f32 v11, v11, v85
	v_dual_add_f32 v0, v0, v28 :: v_dual_add_f32 v9, v9, v23
	v_add_f32_e32 v14, v14, v37
	v_dual_add_f32 v1, v1, v21 :: v_dual_add_f32 v16, v16, v86
	v_dual_fmac_f32 v45, v77, v80 :: v_dual_add_f32 v8, v8, v27
	v_add_f32_e32 v11, v11, v20
	s_delay_alu instid0(VALU_DEP_4) | instskip(NEXT) | instid1(VALU_DEP_4)
	v_dual_add_f32 v9, v9, v26 :: v_dual_add_f32 v14, v14, v49
	v_dual_add_f32 v1, v1, v25 :: v_dual_add_f32 v0, v0, v34
	s_delay_alu instid0(VALU_DEP_3) | instskip(NEXT) | instid1(VALU_DEP_3)
	v_dual_add_f32 v8, v8, v35 :: v_dual_add_f32 v11, v11, v29
	v_dual_add_f32 v16, v16, v88 :: v_dual_add_f32 v9, v9, v31
	s_delay_alu instid0(VALU_DEP_3) | instskip(NEXT) | instid1(VALU_DEP_3)
	v_dual_add_f32 v10, v10, v32 :: v_dual_add_f32 v1, v1, v47
	v_add_f32_e32 v8, v8, v48
	s_delay_alu instid0(VALU_DEP_4) | instskip(NEXT) | instid1(VALU_DEP_4)
	v_dual_add_f32 v11, v11, v36 :: v_dual_add_f32 v0, v0, v50
	v_dual_add_f32 v9, v9, v46 :: v_dual_add_f32 v14, v14, v51
	s_delay_alu instid0(VALU_DEP_4) | instskip(NEXT) | instid1(VALU_DEP_3)
	v_dual_add_f32 v1, v1, v33 :: v_dual_add_f32 v16, v16, v55
	v_dual_add_f32 v10, v10, v38 :: v_dual_add_f32 v11, v11, v52
	s_delay_alu instid0(VALU_DEP_3) | instskip(NEXT) | instid1(VALU_DEP_3)
	v_dual_add_f32 v9, v9, v39 :: v_dual_add_f32 v8, v8, v54
	v_dual_add_f32 v0, v0, v53 :: v_dual_add_f32 v1, v1, v59
	v_mul_f32_e32 v68, v77, v79
	s_delay_alu instid0(VALU_DEP_4) | instskip(NEXT) | instid1(VALU_DEP_4)
	v_dual_add_f32 v14, v14, v61 :: v_dual_add_f32 v11, v11, v56
	v_dual_add_f32 v16, v16, v87 :: v_dual_add_f32 v9, v9, v57
	s_delay_alu instid0(VALU_DEP_4) | instskip(SKIP_1) | instid1(VALU_DEP_4)
	v_dual_add_f32 v10, v10, v40 :: v_dual_add_f32 v1, v1, v41
	v_add_f32_e32 v8, v8, v58
	v_dual_add_f32 v0, v0, v60 :: v_dual_add_f32 v11, v11, v62
	v_fma_f32 v72, v44, v78, -v72
	v_fma_f32 v44, v44, v80, -v90
	;; [unrolled: 1-line block ×4, first 2 shown]
	v_dual_add_f32 v14, v14, v63 :: v_dual_add_f32 v1, v1, v69
	v_dual_add_f32 v16, v16, v65 :: v_dual_add_f32 v11, v11, v66
	;; [unrolled: 1-line block ×3, first 2 shown]
	s_delay_alu instid0(VALU_DEP_3) | instskip(SKIP_2) | instid1(VALU_DEP_4)
	v_dual_add_f32 v8, v8, v67 :: v_dual_add_f32 v1, v1, v45
	v_add_f32_e32 v0, v0, v64
	v_add_f32_e32 v14, v14, v72
	v_dual_add_f32 v16, v16, v73 :: v_dual_add_f32 v9, v9, v68
	v_add_f32_e32 v10, v10, v44
	v_add_f32_e32 v8, v8, v70
	;; [unrolled: 1-line block ×3, first 2 shown]
	s_cbranch_scc0 .LBB651_2
.LBB651_3:
	s_load_b32 s3, s[0:1], 0x50
	v_add_nc_u32_e32 v7, s13, v7
	v_add_nc_u32_e32 v2, s12, v6
	s_delay_alu instid0(VALU_DEP_2) | instskip(NEXT) | instid1(VALU_DEP_2)
	v_cmp_gt_i32_e32 vcc_lo, s2, v7
	v_cmp_le_i32_e64 s0, v2, v7
	s_delay_alu instid0(VALU_DEP_1) | instskip(SKIP_2) | instid1(VALU_DEP_1)
	s_and_b32 s0, vcc_lo, s0
	s_waitcnt lgkmcnt(0)
	v_mad_i64_i32 v[3:4], null, v7, s3, 0
	v_lshlrev_b64 v[3:4], 3, v[3:4]
	s_delay_alu instid0(VALU_DEP_1) | instskip(NEXT) | instid1(VALU_DEP_1)
	v_add_co_u32 v6, s1, s6, v3
	v_add_co_ci_u32_e64 v12, s1, s7, v4, s1
	s_and_saveexec_b32 s1, s0
	s_cbranch_execz .LBB651_5
; %bb.4:
	v_ashrrev_i32_e32 v3, 31, v2
	s_delay_alu instid0(VALU_DEP_1) | instskip(NEXT) | instid1(VALU_DEP_1)
	v_lshlrev_b64 v[3:4], 3, v[2:3]
	v_add_co_u32 v3, s0, v6, v3
	s_delay_alu instid0(VALU_DEP_1) | instskip(SKIP_4) | instid1(VALU_DEP_2)
	v_add_co_ci_u32_e64 v4, s0, v12, v4, s0
	global_load_b64 v[17:18], v[3:4], off
	v_mul_f32_e32 v5, s9, v16
	s_waitcnt vmcnt(0)
	v_dual_mul_f32 v15, s8, v16 :: v_dual_mul_f32 v16, s4, v18
	v_fma_f32 v5, v14, s8, -v5
	s_delay_alu instid0(VALU_DEP_2) | instskip(NEXT) | instid1(VALU_DEP_1)
	v_dual_fmac_f32 v16, s5, v17 :: v_dual_fmac_f32 v15, s9, v14
	v_dual_mul_f32 v13, s5, v18 :: v_dual_add_f32 v14, v15, v16
	s_delay_alu instid0(VALU_DEP_1) | instskip(NEXT) | instid1(VALU_DEP_1)
	v_fma_f32 v13, v17, s4, -v13
	v_add_f32_e32 v13, v5, v13
	global_store_b64 v[3:4], v[13:14], off
.LBB651_5:
	s_or_b32 exec_lo, exec_lo, s1
	v_add_nc_u32_e32 v4, 16, v2
	s_delay_alu instid0(VALU_DEP_1) | instskip(NEXT) | instid1(VALU_DEP_1)
	v_cmp_le_i32_e64 s0, v4, v7
	s_and_b32 s1, vcc_lo, s0
	s_delay_alu instid0(SALU_CYCLE_1)
	s_and_saveexec_b32 s0, s1
	s_cbranch_execz .LBB651_7
; %bb.6:
	v_ashrrev_i32_e32 v5, 31, v4
	s_delay_alu instid0(VALU_DEP_1) | instskip(NEXT) | instid1(VALU_DEP_1)
	v_lshlrev_b64 v[13:14], 3, v[4:5]
	v_add_co_u32 v5, vcc_lo, v6, v13
	s_delay_alu instid0(VALU_DEP_2) | instskip(SKIP_4) | instid1(VALU_DEP_2)
	v_add_co_ci_u32_e32 v6, vcc_lo, v12, v14, vcc_lo
	global_load_b64 v[12:13], v[5:6], off
	s_waitcnt vmcnt(0)
	v_dual_mul_f32 v3, s9, v11 :: v_dual_mul_f32 v14, s5, v13
	v_mul_f32_e32 v13, s4, v13
	v_fma_f32 v3, v10, s8, -v3
	v_mul_f32_e32 v11, s8, v11
	s_delay_alu instid0(VALU_DEP_3) | instskip(NEXT) | instid1(VALU_DEP_2)
	v_fmac_f32_e32 v13, s5, v12
	v_fmac_f32_e32 v11, s9, v10
	v_fma_f32 v10, v12, s4, -v14
	s_delay_alu instid0(VALU_DEP_2) | instskip(NEXT) | instid1(VALU_DEP_2)
	v_add_f32_e32 v11, v11, v13
	v_add_f32_e32 v10, v3, v10
	global_store_b64 v[5:6], v[10:11], off
.LBB651_7:
	s_or_b32 exec_lo, exec_lo, s0
	v_add_nc_u32_e32 v5, 16, v7
	s_delay_alu instid0(VALU_DEP_1) | instskip(SKIP_2) | instid1(VALU_DEP_1)
	v_mad_i64_i32 v[6:7], null, v5, s3, 0
	v_cmp_gt_i32_e32 vcc_lo, s2, v5
	v_cmp_le_i32_e64 s0, v2, v5
	s_and_b32 s0, vcc_lo, s0
	s_delay_alu instid0(VALU_DEP_3) | instskip(NEXT) | instid1(VALU_DEP_1)
	v_lshlrev_b64 v[6:7], 3, v[6:7]
	v_add_co_u32 v6, s1, s6, v6
	s_delay_alu instid0(VALU_DEP_1)
	v_add_co_ci_u32_e64 v7, s1, s7, v7, s1
	s_and_saveexec_b32 s1, s0
	s_cbranch_execz .LBB651_9
; %bb.8:
	v_ashrrev_i32_e32 v3, 31, v2
	s_delay_alu instid0(VALU_DEP_1) | instskip(NEXT) | instid1(VALU_DEP_1)
	v_lshlrev_b64 v[2:3], 3, v[2:3]
	v_add_co_u32 v2, s0, v6, v2
	s_delay_alu instid0(VALU_DEP_1)
	v_add_co_ci_u32_e64 v3, s0, v7, v3, s0
	global_load_b64 v[10:11], v[2:3], off
	v_mul_f32_e32 v12, s9, v8
	s_waitcnt vmcnt(0)
	v_dual_mul_f32 v13, s8, v8 :: v_dual_mul_f32 v8, s5, v11
	v_mul_f32_e32 v11, s4, v11
	s_delay_alu instid0(VALU_DEP_3) | instskip(NEXT) | instid1(VALU_DEP_3)
	v_fma_f32 v12, v9, s8, -v12
	v_fma_f32 v8, v10, s4, -v8
	s_delay_alu instid0(VALU_DEP_4) | instskip(NEXT) | instid1(VALU_DEP_2)
	v_fmac_f32_e32 v13, s9, v9
	v_dual_fmac_f32 v11, s5, v10 :: v_dual_add_f32 v8, v12, v8
	s_delay_alu instid0(VALU_DEP_1)
	v_add_f32_e32 v9, v13, v11
	global_store_b64 v[2:3], v[8:9], off
.LBB651_9:
	s_or_b32 exec_lo, exec_lo, s1
	v_cmp_le_i32_e64 s0, v4, v5
	s_delay_alu instid0(VALU_DEP_1) | instskip(NEXT) | instid1(SALU_CYCLE_1)
	s_and_b32 s0, vcc_lo, s0
	s_and_saveexec_b32 s1, s0
	s_cbranch_execz .LBB651_11
; %bb.10:
	v_ashrrev_i32_e32 v5, 31, v4
	s_delay_alu instid0(VALU_DEP_1) | instskip(NEXT) | instid1(VALU_DEP_1)
	v_lshlrev_b64 v[2:3], 3, v[4:5]
	v_add_co_u32 v2, vcc_lo, v6, v2
	s_delay_alu instid0(VALU_DEP_2)
	v_add_co_ci_u32_e32 v3, vcc_lo, v7, v3, vcc_lo
	v_mul_f32_e32 v6, s9, v1
	v_mul_f32_e32 v1, s8, v1
	global_load_b64 v[4:5], v[2:3], off
	v_fmac_f32_e32 v1, s9, v0
	v_fma_f32 v6, v0, s8, -v6
	s_waitcnt vmcnt(0)
	v_mul_f32_e32 v7, s5, v5
	v_mul_f32_e32 v5, s4, v5
	s_delay_alu instid0(VALU_DEP_2) | instskip(NEXT) | instid1(VALU_DEP_2)
	v_fma_f32 v0, v4, s4, -v7
	v_fmac_f32_e32 v5, s5, v4
	s_delay_alu instid0(VALU_DEP_1)
	v_dual_add_f32 v0, v6, v0 :: v_dual_add_f32 v1, v1, v5
	global_store_b64 v[2:3], v[0:1], off
.LBB651_11:
	s_nop 0
	s_sendmsg sendmsg(MSG_DEALLOC_VGPRS)
	s_endpgm
	.section	.rodata,"a",@progbits
	.p2align	6, 0x0
	.amdhsa_kernel _ZL37rocblas_syrkx_herkx_restricted_kernelIi19rocblas_complex_numIfELi16ELi32ELi8ELb0ELb0ELc84ELc85EKPKS1_KPS1_EviT_T0_PT8_S7_lSA_S7_lS8_PT9_S7_li
		.amdhsa_group_segment_fixed_size 4096
		.amdhsa_private_segment_fixed_size 0
		.amdhsa_kernarg_size 100
		.amdhsa_user_sgpr_count 13
		.amdhsa_user_sgpr_dispatch_ptr 0
		.amdhsa_user_sgpr_queue_ptr 0
		.amdhsa_user_sgpr_kernarg_segment_ptr 1
		.amdhsa_user_sgpr_dispatch_id 0
		.amdhsa_user_sgpr_private_segment_size 0
		.amdhsa_wavefront_size32 1
		.amdhsa_uses_dynamic_stack 0
		.amdhsa_enable_private_segment 0
		.amdhsa_system_sgpr_workgroup_id_x 1
		.amdhsa_system_sgpr_workgroup_id_y 1
		.amdhsa_system_sgpr_workgroup_id_z 1
		.amdhsa_system_sgpr_workgroup_info 0
		.amdhsa_system_vgpr_workitem_id 1
		.amdhsa_next_free_vgpr 91
		.amdhsa_next_free_sgpr 21
		.amdhsa_reserve_vcc 1
		.amdhsa_float_round_mode_32 0
		.amdhsa_float_round_mode_16_64 0
		.amdhsa_float_denorm_mode_32 3
		.amdhsa_float_denorm_mode_16_64 3
		.amdhsa_dx10_clamp 1
		.amdhsa_ieee_mode 1
		.amdhsa_fp16_overflow 0
		.amdhsa_workgroup_processor_mode 1
		.amdhsa_memory_ordered 1
		.amdhsa_forward_progress 0
		.amdhsa_shared_vgpr_count 0
		.amdhsa_exception_fp_ieee_invalid_op 0
		.amdhsa_exception_fp_denorm_src 0
		.amdhsa_exception_fp_ieee_div_zero 0
		.amdhsa_exception_fp_ieee_overflow 0
		.amdhsa_exception_fp_ieee_underflow 0
		.amdhsa_exception_fp_ieee_inexact 0
		.amdhsa_exception_int_div_zero 0
	.end_amdhsa_kernel
	.section	.text._ZL37rocblas_syrkx_herkx_restricted_kernelIi19rocblas_complex_numIfELi16ELi32ELi8ELb0ELb0ELc84ELc85EKPKS1_KPS1_EviT_T0_PT8_S7_lSA_S7_lS8_PT9_S7_li,"axG",@progbits,_ZL37rocblas_syrkx_herkx_restricted_kernelIi19rocblas_complex_numIfELi16ELi32ELi8ELb0ELb0ELc84ELc85EKPKS1_KPS1_EviT_T0_PT8_S7_lSA_S7_lS8_PT9_S7_li,comdat
.Lfunc_end651:
	.size	_ZL37rocblas_syrkx_herkx_restricted_kernelIi19rocblas_complex_numIfELi16ELi32ELi8ELb0ELb0ELc84ELc85EKPKS1_KPS1_EviT_T0_PT8_S7_lSA_S7_lS8_PT9_S7_li, .Lfunc_end651-_ZL37rocblas_syrkx_herkx_restricted_kernelIi19rocblas_complex_numIfELi16ELi32ELi8ELb0ELb0ELc84ELc85EKPKS1_KPS1_EviT_T0_PT8_S7_lSA_S7_lS8_PT9_S7_li
                                        ; -- End function
	.section	.AMDGPU.csdata,"",@progbits
; Kernel info:
; codeLenInByte = 2264
; NumSgprs: 23
; NumVgprs: 91
; ScratchSize: 0
; MemoryBound: 0
; FloatMode: 240
; IeeeMode: 1
; LDSByteSize: 4096 bytes/workgroup (compile time only)
; SGPRBlocks: 2
; VGPRBlocks: 11
; NumSGPRsForWavesPerEU: 23
; NumVGPRsForWavesPerEU: 91
; Occupancy: 16
; WaveLimiterHint : 1
; COMPUTE_PGM_RSRC2:SCRATCH_EN: 0
; COMPUTE_PGM_RSRC2:USER_SGPR: 13
; COMPUTE_PGM_RSRC2:TRAP_HANDLER: 0
; COMPUTE_PGM_RSRC2:TGID_X_EN: 1
; COMPUTE_PGM_RSRC2:TGID_Y_EN: 1
; COMPUTE_PGM_RSRC2:TGID_Z_EN: 1
; COMPUTE_PGM_RSRC2:TIDIG_COMP_CNT: 1
	.section	.text._ZL37rocblas_syrkx_herkx_restricted_kernelIi19rocblas_complex_numIfELi16ELi32ELi8ELb0ELb0ELc67ELc85EKPKS1_KPS1_EviT_T0_PT8_S7_lSA_S7_lS8_PT9_S7_li,"axG",@progbits,_ZL37rocblas_syrkx_herkx_restricted_kernelIi19rocblas_complex_numIfELi16ELi32ELi8ELb0ELb0ELc67ELc85EKPKS1_KPS1_EviT_T0_PT8_S7_lSA_S7_lS8_PT9_S7_li,comdat
	.globl	_ZL37rocblas_syrkx_herkx_restricted_kernelIi19rocblas_complex_numIfELi16ELi32ELi8ELb0ELb0ELc67ELc85EKPKS1_KPS1_EviT_T0_PT8_S7_lSA_S7_lS8_PT9_S7_li ; -- Begin function _ZL37rocblas_syrkx_herkx_restricted_kernelIi19rocblas_complex_numIfELi16ELi32ELi8ELb0ELb0ELc67ELc85EKPKS1_KPS1_EviT_T0_PT8_S7_lSA_S7_lS8_PT9_S7_li
	.p2align	8
	.type	_ZL37rocblas_syrkx_herkx_restricted_kernelIi19rocblas_complex_numIfELi16ELi32ELi8ELb0ELb0ELc67ELc85EKPKS1_KPS1_EviT_T0_PT8_S7_lSA_S7_lS8_PT9_S7_li,@function
_ZL37rocblas_syrkx_herkx_restricted_kernelIi19rocblas_complex_numIfELi16ELi32ELi8ELb0ELb0ELc67ELc85EKPKS1_KPS1_EviT_T0_PT8_S7_lSA_S7_lS8_PT9_S7_li: ; @_ZL37rocblas_syrkx_herkx_restricted_kernelIi19rocblas_complex_numIfELi16ELi32ELi8ELb0ELb0ELc67ELc85EKPKS1_KPS1_EviT_T0_PT8_S7_lSA_S7_lS8_PT9_S7_li
; %bb.0:
	s_clause 0x1
	s_load_b128 s[4:7], s[0:1], 0x40
	s_load_b64 s[2:3], s[0:1], 0x0
	s_mov_b32 s16, s15
	s_mov_b32 s17, 0
	v_dual_mov_b32 v11, 0 :: v_dual_and_b32 v6, 0x3ff, v0
	s_lshl_b64 s[18:19], s[16:17], 3
	v_bfe_u32 v7, v0, 10, 10
	v_dual_mov_b32 v14, 0 :: v_dual_mov_b32 v9, 0
	v_dual_mov_b32 v16, 0 :: v_dual_mov_b32 v1, 0
	v_mov_b32_e32 v10, 0
	v_mov_b32_e32 v8, 0
	;; [unrolled: 1-line block ×3, first 2 shown]
	s_waitcnt lgkmcnt(0)
	s_add_u32 s6, s6, s18
	s_addc_u32 s7, s7, s19
	s_load_b128 s[8:11], s[0:1], 0x8
	s_load_b64 s[6:7], s[6:7], 0x0
	s_lshl_b32 s12, s13, 5
	s_lshl_b32 s13, s14, 5
	s_cmp_lt_i32 s3, 1
	s_cbranch_scc1 .LBB652_3
; %bb.1:
	s_clause 0x2
	s_load_b64 s[14:15], s[0:1], 0x28
	s_load_b32 s16, s[0:1], 0x18
	s_load_b32 s20, s[0:1], 0x30
	v_lshl_add_u32 v2, v7, 4, v6
	v_dual_mov_b32 v1, 0 :: v_dual_and_b32 v0, 7, v6
	v_lshlrev_b32_e32 v12, 3, v6
	s_waitcnt lgkmcnt(0)
	s_add_u32 s10, s10, s18
	v_and_b32_e32 v8, 31, v2
	v_lshrrev_b32_e32 v11, 3, v2
	v_lshrrev_b32_e32 v2, 5, v2
	v_mov_b32_e32 v3, v1
	s_addc_u32 s11, s11, s19
	v_add_nc_u32_e32 v9, s12, v8
	s_load_b64 s[10:11], s[10:11], 0x0
	v_add_nc_u32_e32 v14, s13, v11
	v_lshl_add_u32 v13, v7, 6, 0x800
	v_mov_b32_e32 v16, v1
	s_add_u32 s14, s14, s18
	v_mad_i64_i32 v[4:5], null, s16, v9, v[2:3]
	v_lshlrev_b32_e32 v3, 3, v0
	s_addc_u32 s15, s15, s19
	s_load_b64 s[14:15], s[14:15], 0x0
	s_delay_alu instid0(VALU_DEP_1) | instskip(NEXT) | instid1(VALU_DEP_3)
	v_lshl_or_b32 v11, v11, 6, v3
	v_lshlrev_b64 v[3:4], 3, v[4:5]
	s_delay_alu instid0(VALU_DEP_2)
	v_add_nc_u32_e32 v17, 0x800, v11
	v_mov_b32_e32 v11, v1
	v_mad_i64_i32 v[9:10], null, s20, v14, v[0:1]
	v_lshlrev_b32_e32 v14, 3, v8
	v_mov_b32_e32 v0, v1
	v_mov_b32_e32 v8, v1
	s_delay_alu instid0(VALU_DEP_3)
	v_lshl_or_b32 v15, v2, 8, v14
	v_lshlrev_b64 v[9:10], 3, v[9:10]
	s_waitcnt lgkmcnt(0)
	v_add_co_u32 v2, vcc_lo, v3, s10
	v_add_co_ci_u32_e32 v3, vcc_lo, s11, v4, vcc_lo
	v_mov_b32_e32 v14, v1
	s_delay_alu instid0(VALU_DEP_4)
	v_add_co_u32 v4, vcc_lo, v9, s14
	v_add_co_ci_u32_e32 v5, vcc_lo, s15, v10, vcc_lo
	v_mov_b32_e32 v10, v1
	v_add_co_u32 v2, vcc_lo, v2, 4
	v_add_co_ci_u32_e32 v3, vcc_lo, 0, v3, vcc_lo
	v_add_co_u32 v4, vcc_lo, v4, 4
	v_add_co_ci_u32_e32 v5, vcc_lo, 0, v5, vcc_lo
	v_mov_b32_e32 v9, v1
.LBB652_2:                              ; =>This Inner Loop Header: Depth=1
	global_load_b64 v[18:19], v[2:3], off offset:-4
	global_load_b64 v[20:21], v[4:5], off offset:-4
	v_add_co_u32 v2, vcc_lo, v2, 64
	v_add_co_ci_u32_e32 v3, vcc_lo, 0, v3, vcc_lo
	v_add_co_u32 v4, vcc_lo, v4, 64
	v_add_co_ci_u32_e32 v5, vcc_lo, 0, v5, vcc_lo
	s_add_i32 s17, s17, 8
	s_waitcnt vmcnt(1)
	ds_store_b64 v15, v[18:19]
	s_waitcnt vmcnt(0)
	ds_store_b64 v17, v[20:21]
	s_waitcnt lgkmcnt(0)
	s_barrier
	buffer_gl0_inv
	ds_load_2addr_b64 v[18:21], v12 offset1:16
	ds_load_b128 v[22:25], v13
	ds_load_b128 v[26:29], v13 offset:1024
	ds_load_b128 v[30:33], v13 offset:16
	ds_load_2addr_b64 v[34:37], v12 offset0:32 offset1:48
	ds_load_b128 v[38:41], v13 offset:32
	ds_load_b128 v[42:45], v13 offset:48
	ds_load_2addr_b64 v[46:49], v12 offset0:64 offset1:80
	ds_load_b128 v[50:53], v13 offset:1040
	ds_load_2addr_b64 v[54:57], v12 offset0:96 offset1:112
	ds_load_2addr_b64 v[58:61], v12 offset0:128 offset1:144
	;; [unrolled: 1-line block ×4, first 2 shown]
	ds_load_b128 v[70:73], v13 offset:1056
	ds_load_b128 v[74:77], v13 offset:1072
	ds_load_2addr_b64 v[78:81], v12 offset0:224 offset1:240
	s_cmp_ge_i32 s17, s3
	s_waitcnt lgkmcnt(0)
	s_barrier
	buffer_gl0_inv
	v_dual_mul_f32 v82, v23, v19 :: v_dual_mul_f32 v85, v22, v21
	v_dual_mul_f32 v83, v22, v19 :: v_dual_mul_f32 v84, v23, v21
	v_mul_f32_e32 v86, v27, v19
	v_dual_mul_f32 v19, v26, v19 :: v_dual_mul_f32 v90, v25, v37
	v_dual_mul_f32 v87, v27, v21 :: v_dual_mul_f32 v88, v25, v35
	v_mul_f32_e32 v21, v26, v21
	v_fma_f32 v82, v22, v18, -v82
	v_fmac_f32_e32 v83, v23, v18
	v_fma_f32 v22, v22, v20, -v84
	v_fmac_f32_e32 v85, v23, v20
	v_fma_f32 v23, v26, v18, -v86
	v_dual_fmac_f32 v19, v27, v18 :: v_dual_mul_f32 v86, v30, v47
	v_fma_f32 v18, v26, v20, -v87
	v_dual_fmac_f32 v21, v27, v20 :: v_dual_mul_f32 v20, v24, v37
	v_mul_f32_e32 v89, v24, v35
	v_mul_f32_e32 v26, v29, v35
	;; [unrolled: 1-line block ×4, first 2 shown]
	v_fmac_f32_e32 v20, v25, v36
	v_fmac_f32_e32 v89, v25, v34
	v_dual_mul_f32 v25, v28, v37 :: v_dual_fmac_f32 v86, v31, v46
	v_fma_f32 v84, v24, v34, -v88
	v_fma_f32 v24, v24, v36, -v90
	v_dual_mul_f32 v37, v31, v47 :: v_dual_mul_f32 v90, v33, v57
	v_fma_f32 v26, v28, v34, -v26
	v_fma_f32 v28, v28, v36, -v35
	v_fmac_f32_e32 v25, v29, v36
	v_dual_mul_f32 v35, v50, v47 :: v_dual_mul_f32 v36, v51, v49
	v_dual_fmac_f32 v27, v29, v34 :: v_dual_mul_f32 v34, v51, v47
	v_dual_mul_f32 v88, v32, v55 :: v_dual_mul_f32 v29, v30, v49
	v_mul_f32_e32 v87, v31, v49
	v_fma_f32 v37, v30, v46, -v37
	v_add_f32_e32 v14, v14, v82
	s_delay_alu instid0(VALU_DEP_4)
	v_dual_fmac_f32 v88, v33, v54 :: v_dual_fmac_f32 v29, v31, v48
	v_fma_f32 v31, v50, v46, -v34
	v_fma_f32 v34, v50, v48, -v36
	v_mul_f32_e32 v36, v32, v57
	v_mul_f32_e32 v47, v50, v49
	v_dual_mul_f32 v50, v53, v57 :: v_dual_fmac_f32 v35, v51, v46
	v_mul_f32_e32 v46, v53, v55
	v_mul_f32_e32 v49, v33, v55
	v_fma_f32 v30, v30, v48, -v87
	v_fmac_f32_e32 v36, v33, v56
	v_dual_fmac_f32 v47, v51, v48 :: v_dual_mul_f32 v48, v52, v55
	v_mul_f32_e32 v33, v52, v57
	v_fma_f32 v46, v52, v54, -v46
	v_fma_f32 v50, v52, v56, -v50
	v_mul_f32_e32 v52, v38, v61
	v_fma_f32 v49, v32, v54, -v49
	v_fma_f32 v32, v32, v56, -v90
	v_dual_mul_f32 v51, v39, v59 :: v_dual_fmac_f32 v48, v53, v54
	v_mul_f32_e32 v54, v70, v59
	v_dual_mul_f32 v55, v38, v59 :: v_dual_fmac_f32 v52, v39, v60
	v_fmac_f32_e32 v33, v53, v56
	v_mul_f32_e32 v53, v71, v59
	v_mul_f32_e32 v56, v71, v61
	;; [unrolled: 1-line block ×3, first 2 shown]
	v_fmac_f32_e32 v54, v71, v58
	v_fmac_f32_e32 v55, v39, v58
	v_fma_f32 v39, v70, v58, -v53
	v_fma_f32 v53, v70, v60, -v56
	v_mul_f32_e32 v56, v40, v65
	v_mul_f32_e32 v59, v70, v61
	v_fma_f32 v51, v38, v58, -v51
	v_mul_f32_e32 v58, v72, v63
	v_mul_f32_e32 v87, v40, v63
	;; [unrolled: 1-line block ×4, first 2 shown]
	v_fma_f32 v38, v38, v60, -v57
	v_mul_f32_e32 v57, v73, v63
	v_fmac_f32_e32 v56, v41, v64
	v_dual_fmac_f32 v59, v71, v60 :: v_dual_mul_f32 v60, v73, v65
	v_mul_f32_e32 v63, v43, v67
	v_mul_f32_e32 v70, v43, v69
	v_fmac_f32_e32 v58, v73, v62
	v_fmac_f32_e32 v87, v41, v62
	v_mul_f32_e32 v41, v72, v65
	v_fma_f32 v61, v40, v62, -v61
	v_fma_f32 v40, v40, v64, -v90
	v_mul_f32_e32 v65, v42, v67
	v_fma_f32 v57, v72, v62, -v57
	v_fma_f32 v60, v72, v64, -v60
	v_dual_fmac_f32 v41, v73, v64 :: v_dual_mul_f32 v62, v42, v69
	v_mul_f32_e32 v64, v75, v67
	v_fma_f32 v63, v42, v66, -v63
	v_fma_f32 v42, v42, v68, -v70
	v_mul_f32_e32 v70, v76, v79
	v_mul_f32_e32 v67, v74, v67
	v_mul_f32_e32 v71, v75, v69
	v_dual_mul_f32 v69, v74, v69 :: v_dual_add_f32 v16, v16, v83
	v_dual_mul_f32 v73, v44, v79 :: v_dual_add_f32 v10, v10, v22
	v_dual_fmac_f32 v65, v43, v66 :: v_dual_add_f32 v8, v8, v19
	v_fmac_f32_e32 v62, v43, v68
	v_fma_f32 v43, v74, v66, -v64
	v_fmac_f32_e32 v70, v77, v78
	v_dual_fmac_f32 v67, v75, v66 :: v_dual_add_f32 v14, v14, v84
	v_mul_f32_e32 v66, v44, v81
	v_mul_f32_e32 v72, v45, v79
	;; [unrolled: 1-line block ×3, first 2 shown]
	v_fma_f32 v64, v74, v68, -v71
	v_dual_fmac_f32 v69, v75, v68 :: v_dual_add_f32 v0, v0, v18
	v_dual_mul_f32 v71, v77, v81 :: v_dual_add_f32 v10, v10, v24
	v_dual_fmac_f32 v73, v45, v78 :: v_dual_add_f32 v16, v16, v89
	v_dual_fmac_f32 v66, v45, v80 :: v_dual_mul_f32 v45, v76, v81
	s_delay_alu instid0(VALU_DEP_3)
	v_dual_add_f32 v10, v10, v30 :: v_dual_add_f32 v11, v11, v85
	v_dual_add_f32 v0, v0, v28 :: v_dual_add_f32 v9, v9, v23
	v_add_f32_e32 v14, v14, v37
	v_dual_add_f32 v1, v1, v21 :: v_dual_add_f32 v16, v16, v86
	v_dual_fmac_f32 v45, v77, v80 :: v_dual_add_f32 v8, v8, v27
	v_add_f32_e32 v11, v11, v20
	s_delay_alu instid0(VALU_DEP_4) | instskip(NEXT) | instid1(VALU_DEP_4)
	v_dual_add_f32 v9, v9, v26 :: v_dual_add_f32 v14, v14, v49
	v_dual_add_f32 v1, v1, v25 :: v_dual_add_f32 v0, v0, v34
	s_delay_alu instid0(VALU_DEP_3) | instskip(NEXT) | instid1(VALU_DEP_3)
	v_dual_add_f32 v8, v8, v35 :: v_dual_add_f32 v11, v11, v29
	v_dual_add_f32 v16, v16, v88 :: v_dual_add_f32 v9, v9, v31
	s_delay_alu instid0(VALU_DEP_3) | instskip(NEXT) | instid1(VALU_DEP_3)
	v_dual_add_f32 v10, v10, v32 :: v_dual_add_f32 v1, v1, v47
	v_add_f32_e32 v8, v8, v48
	s_delay_alu instid0(VALU_DEP_4) | instskip(NEXT) | instid1(VALU_DEP_4)
	v_dual_add_f32 v11, v11, v36 :: v_dual_add_f32 v0, v0, v50
	v_dual_add_f32 v9, v9, v46 :: v_dual_add_f32 v14, v14, v51
	s_delay_alu instid0(VALU_DEP_4) | instskip(NEXT) | instid1(VALU_DEP_3)
	v_dual_add_f32 v1, v1, v33 :: v_dual_add_f32 v16, v16, v55
	v_dual_add_f32 v10, v10, v38 :: v_dual_add_f32 v11, v11, v52
	s_delay_alu instid0(VALU_DEP_3) | instskip(NEXT) | instid1(VALU_DEP_3)
	v_dual_add_f32 v9, v9, v39 :: v_dual_add_f32 v8, v8, v54
	v_dual_add_f32 v0, v0, v53 :: v_dual_add_f32 v1, v1, v59
	v_mul_f32_e32 v68, v77, v79
	s_delay_alu instid0(VALU_DEP_4) | instskip(NEXT) | instid1(VALU_DEP_4)
	v_dual_add_f32 v14, v14, v61 :: v_dual_add_f32 v11, v11, v56
	v_dual_add_f32 v16, v16, v87 :: v_dual_add_f32 v9, v9, v57
	s_delay_alu instid0(VALU_DEP_4) | instskip(SKIP_1) | instid1(VALU_DEP_4)
	v_dual_add_f32 v10, v10, v40 :: v_dual_add_f32 v1, v1, v41
	v_add_f32_e32 v8, v8, v58
	v_dual_add_f32 v0, v0, v60 :: v_dual_add_f32 v11, v11, v62
	v_fma_f32 v72, v44, v78, -v72
	v_fma_f32 v44, v44, v80, -v90
	;; [unrolled: 1-line block ×4, first 2 shown]
	v_dual_add_f32 v14, v14, v63 :: v_dual_add_f32 v1, v1, v69
	v_dual_add_f32 v16, v16, v65 :: v_dual_add_f32 v11, v11, v66
	;; [unrolled: 1-line block ×3, first 2 shown]
	s_delay_alu instid0(VALU_DEP_3) | instskip(SKIP_2) | instid1(VALU_DEP_4)
	v_dual_add_f32 v8, v8, v67 :: v_dual_add_f32 v1, v1, v45
	v_add_f32_e32 v0, v0, v64
	v_add_f32_e32 v14, v14, v72
	v_dual_add_f32 v16, v16, v73 :: v_dual_add_f32 v9, v9, v68
	v_add_f32_e32 v10, v10, v44
	v_add_f32_e32 v8, v8, v70
	;; [unrolled: 1-line block ×3, first 2 shown]
	s_cbranch_scc0 .LBB652_2
.LBB652_3:
	s_load_b32 s3, s[0:1], 0x50
	v_add_nc_u32_e32 v7, s13, v7
	v_add_nc_u32_e32 v2, s12, v6
	s_delay_alu instid0(VALU_DEP_2) | instskip(NEXT) | instid1(VALU_DEP_2)
	v_cmp_gt_i32_e32 vcc_lo, s2, v7
	v_cmp_le_i32_e64 s0, v2, v7
	s_delay_alu instid0(VALU_DEP_1) | instskip(SKIP_2) | instid1(VALU_DEP_1)
	s_and_b32 s0, vcc_lo, s0
	s_waitcnt lgkmcnt(0)
	v_mad_i64_i32 v[3:4], null, v7, s3, 0
	v_lshlrev_b64 v[3:4], 3, v[3:4]
	s_delay_alu instid0(VALU_DEP_1) | instskip(NEXT) | instid1(VALU_DEP_1)
	v_add_co_u32 v6, s1, s6, v3
	v_add_co_ci_u32_e64 v12, s1, s7, v4, s1
	s_and_saveexec_b32 s1, s0
	s_cbranch_execz .LBB652_5
; %bb.4:
	v_ashrrev_i32_e32 v3, 31, v2
	s_delay_alu instid0(VALU_DEP_1) | instskip(NEXT) | instid1(VALU_DEP_1)
	v_lshlrev_b64 v[3:4], 3, v[2:3]
	v_add_co_u32 v3, s0, v6, v3
	s_delay_alu instid0(VALU_DEP_1) | instskip(SKIP_4) | instid1(VALU_DEP_2)
	v_add_co_ci_u32_e64 v4, s0, v12, v4, s0
	global_load_b64 v[17:18], v[3:4], off
	v_mul_f32_e32 v5, s9, v16
	s_waitcnt vmcnt(0)
	v_dual_mul_f32 v15, s8, v16 :: v_dual_mul_f32 v16, s4, v18
	v_fma_f32 v5, v14, s8, -v5
	s_delay_alu instid0(VALU_DEP_2) | instskip(NEXT) | instid1(VALU_DEP_1)
	v_dual_fmac_f32 v16, s5, v17 :: v_dual_fmac_f32 v15, s9, v14
	v_dual_mul_f32 v13, s5, v18 :: v_dual_add_f32 v14, v15, v16
	s_delay_alu instid0(VALU_DEP_1) | instskip(NEXT) | instid1(VALU_DEP_1)
	v_fma_f32 v13, v17, s4, -v13
	v_add_f32_e32 v13, v5, v13
	global_store_b64 v[3:4], v[13:14], off
.LBB652_5:
	s_or_b32 exec_lo, exec_lo, s1
	v_add_nc_u32_e32 v4, 16, v2
	s_delay_alu instid0(VALU_DEP_1) | instskip(NEXT) | instid1(VALU_DEP_1)
	v_cmp_le_i32_e64 s0, v4, v7
	s_and_b32 s1, vcc_lo, s0
	s_delay_alu instid0(SALU_CYCLE_1)
	s_and_saveexec_b32 s0, s1
	s_cbranch_execz .LBB652_7
; %bb.6:
	v_ashrrev_i32_e32 v5, 31, v4
	s_delay_alu instid0(VALU_DEP_1) | instskip(NEXT) | instid1(VALU_DEP_1)
	v_lshlrev_b64 v[13:14], 3, v[4:5]
	v_add_co_u32 v5, vcc_lo, v6, v13
	s_delay_alu instid0(VALU_DEP_2) | instskip(SKIP_4) | instid1(VALU_DEP_2)
	v_add_co_ci_u32_e32 v6, vcc_lo, v12, v14, vcc_lo
	global_load_b64 v[12:13], v[5:6], off
	s_waitcnt vmcnt(0)
	v_dual_mul_f32 v3, s9, v11 :: v_dual_mul_f32 v14, s5, v13
	v_mul_f32_e32 v13, s4, v13
	v_fma_f32 v3, v10, s8, -v3
	v_mul_f32_e32 v11, s8, v11
	s_delay_alu instid0(VALU_DEP_3) | instskip(NEXT) | instid1(VALU_DEP_2)
	v_fmac_f32_e32 v13, s5, v12
	v_fmac_f32_e32 v11, s9, v10
	v_fma_f32 v10, v12, s4, -v14
	s_delay_alu instid0(VALU_DEP_2) | instskip(NEXT) | instid1(VALU_DEP_2)
	v_add_f32_e32 v11, v11, v13
	v_add_f32_e32 v10, v3, v10
	global_store_b64 v[5:6], v[10:11], off
.LBB652_7:
	s_or_b32 exec_lo, exec_lo, s0
	v_add_nc_u32_e32 v5, 16, v7
	s_delay_alu instid0(VALU_DEP_1) | instskip(SKIP_2) | instid1(VALU_DEP_1)
	v_mad_i64_i32 v[6:7], null, v5, s3, 0
	v_cmp_gt_i32_e32 vcc_lo, s2, v5
	v_cmp_le_i32_e64 s0, v2, v5
	s_and_b32 s0, vcc_lo, s0
	s_delay_alu instid0(VALU_DEP_3) | instskip(NEXT) | instid1(VALU_DEP_1)
	v_lshlrev_b64 v[6:7], 3, v[6:7]
	v_add_co_u32 v6, s1, s6, v6
	s_delay_alu instid0(VALU_DEP_1)
	v_add_co_ci_u32_e64 v7, s1, s7, v7, s1
	s_and_saveexec_b32 s1, s0
	s_cbranch_execz .LBB652_9
; %bb.8:
	v_ashrrev_i32_e32 v3, 31, v2
	s_delay_alu instid0(VALU_DEP_1) | instskip(NEXT) | instid1(VALU_DEP_1)
	v_lshlrev_b64 v[2:3], 3, v[2:3]
	v_add_co_u32 v2, s0, v6, v2
	s_delay_alu instid0(VALU_DEP_1)
	v_add_co_ci_u32_e64 v3, s0, v7, v3, s0
	global_load_b64 v[10:11], v[2:3], off
	v_mul_f32_e32 v12, s9, v8
	s_waitcnt vmcnt(0)
	v_dual_mul_f32 v13, s8, v8 :: v_dual_mul_f32 v8, s5, v11
	v_mul_f32_e32 v11, s4, v11
	s_delay_alu instid0(VALU_DEP_3) | instskip(NEXT) | instid1(VALU_DEP_3)
	v_fma_f32 v12, v9, s8, -v12
	v_fma_f32 v8, v10, s4, -v8
	s_delay_alu instid0(VALU_DEP_4) | instskip(NEXT) | instid1(VALU_DEP_2)
	v_fmac_f32_e32 v13, s9, v9
	v_dual_fmac_f32 v11, s5, v10 :: v_dual_add_f32 v8, v12, v8
	s_delay_alu instid0(VALU_DEP_1)
	v_add_f32_e32 v9, v13, v11
	global_store_b64 v[2:3], v[8:9], off
.LBB652_9:
	s_or_b32 exec_lo, exec_lo, s1
	v_cmp_le_i32_e64 s0, v4, v5
	s_delay_alu instid0(VALU_DEP_1) | instskip(NEXT) | instid1(SALU_CYCLE_1)
	s_and_b32 s0, vcc_lo, s0
	s_and_saveexec_b32 s1, s0
	s_cbranch_execz .LBB652_11
; %bb.10:
	v_ashrrev_i32_e32 v5, 31, v4
	s_delay_alu instid0(VALU_DEP_1) | instskip(NEXT) | instid1(VALU_DEP_1)
	v_lshlrev_b64 v[2:3], 3, v[4:5]
	v_add_co_u32 v2, vcc_lo, v6, v2
	s_delay_alu instid0(VALU_DEP_2)
	v_add_co_ci_u32_e32 v3, vcc_lo, v7, v3, vcc_lo
	v_mul_f32_e32 v6, s9, v1
	v_mul_f32_e32 v1, s8, v1
	global_load_b64 v[4:5], v[2:3], off
	v_fmac_f32_e32 v1, s9, v0
	v_fma_f32 v6, v0, s8, -v6
	s_waitcnt vmcnt(0)
	v_mul_f32_e32 v7, s5, v5
	v_mul_f32_e32 v5, s4, v5
	s_delay_alu instid0(VALU_DEP_2) | instskip(NEXT) | instid1(VALU_DEP_2)
	v_fma_f32 v0, v4, s4, -v7
	v_fmac_f32_e32 v5, s5, v4
	s_delay_alu instid0(VALU_DEP_1)
	v_dual_add_f32 v0, v6, v0 :: v_dual_add_f32 v1, v1, v5
	global_store_b64 v[2:3], v[0:1], off
.LBB652_11:
	s_nop 0
	s_sendmsg sendmsg(MSG_DEALLOC_VGPRS)
	s_endpgm
	.section	.rodata,"a",@progbits
	.p2align	6, 0x0
	.amdhsa_kernel _ZL37rocblas_syrkx_herkx_restricted_kernelIi19rocblas_complex_numIfELi16ELi32ELi8ELb0ELb0ELc67ELc85EKPKS1_KPS1_EviT_T0_PT8_S7_lSA_S7_lS8_PT9_S7_li
		.amdhsa_group_segment_fixed_size 4096
		.amdhsa_private_segment_fixed_size 0
		.amdhsa_kernarg_size 100
		.amdhsa_user_sgpr_count 13
		.amdhsa_user_sgpr_dispatch_ptr 0
		.amdhsa_user_sgpr_queue_ptr 0
		.amdhsa_user_sgpr_kernarg_segment_ptr 1
		.amdhsa_user_sgpr_dispatch_id 0
		.amdhsa_user_sgpr_private_segment_size 0
		.amdhsa_wavefront_size32 1
		.amdhsa_uses_dynamic_stack 0
		.amdhsa_enable_private_segment 0
		.amdhsa_system_sgpr_workgroup_id_x 1
		.amdhsa_system_sgpr_workgroup_id_y 1
		.amdhsa_system_sgpr_workgroup_id_z 1
		.amdhsa_system_sgpr_workgroup_info 0
		.amdhsa_system_vgpr_workitem_id 1
		.amdhsa_next_free_vgpr 91
		.amdhsa_next_free_sgpr 21
		.amdhsa_reserve_vcc 1
		.amdhsa_float_round_mode_32 0
		.amdhsa_float_round_mode_16_64 0
		.amdhsa_float_denorm_mode_32 3
		.amdhsa_float_denorm_mode_16_64 3
		.amdhsa_dx10_clamp 1
		.amdhsa_ieee_mode 1
		.amdhsa_fp16_overflow 0
		.amdhsa_workgroup_processor_mode 1
		.amdhsa_memory_ordered 1
		.amdhsa_forward_progress 0
		.amdhsa_shared_vgpr_count 0
		.amdhsa_exception_fp_ieee_invalid_op 0
		.amdhsa_exception_fp_denorm_src 0
		.amdhsa_exception_fp_ieee_div_zero 0
		.amdhsa_exception_fp_ieee_overflow 0
		.amdhsa_exception_fp_ieee_underflow 0
		.amdhsa_exception_fp_ieee_inexact 0
		.amdhsa_exception_int_div_zero 0
	.end_amdhsa_kernel
	.section	.text._ZL37rocblas_syrkx_herkx_restricted_kernelIi19rocblas_complex_numIfELi16ELi32ELi8ELb0ELb0ELc67ELc85EKPKS1_KPS1_EviT_T0_PT8_S7_lSA_S7_lS8_PT9_S7_li,"axG",@progbits,_ZL37rocblas_syrkx_herkx_restricted_kernelIi19rocblas_complex_numIfELi16ELi32ELi8ELb0ELb0ELc67ELc85EKPKS1_KPS1_EviT_T0_PT8_S7_lSA_S7_lS8_PT9_S7_li,comdat
.Lfunc_end652:
	.size	_ZL37rocblas_syrkx_herkx_restricted_kernelIi19rocblas_complex_numIfELi16ELi32ELi8ELb0ELb0ELc67ELc85EKPKS1_KPS1_EviT_T0_PT8_S7_lSA_S7_lS8_PT9_S7_li, .Lfunc_end652-_ZL37rocblas_syrkx_herkx_restricted_kernelIi19rocblas_complex_numIfELi16ELi32ELi8ELb0ELb0ELc67ELc85EKPKS1_KPS1_EviT_T0_PT8_S7_lSA_S7_lS8_PT9_S7_li
                                        ; -- End function
	.section	.AMDGPU.csdata,"",@progbits
; Kernel info:
; codeLenInByte = 2264
; NumSgprs: 23
; NumVgprs: 91
; ScratchSize: 0
; MemoryBound: 0
; FloatMode: 240
; IeeeMode: 1
; LDSByteSize: 4096 bytes/workgroup (compile time only)
; SGPRBlocks: 2
; VGPRBlocks: 11
; NumSGPRsForWavesPerEU: 23
; NumVGPRsForWavesPerEU: 91
; Occupancy: 16
; WaveLimiterHint : 1
; COMPUTE_PGM_RSRC2:SCRATCH_EN: 0
; COMPUTE_PGM_RSRC2:USER_SGPR: 13
; COMPUTE_PGM_RSRC2:TRAP_HANDLER: 0
; COMPUTE_PGM_RSRC2:TGID_X_EN: 1
; COMPUTE_PGM_RSRC2:TGID_Y_EN: 1
; COMPUTE_PGM_RSRC2:TGID_Z_EN: 1
; COMPUTE_PGM_RSRC2:TIDIG_COMP_CNT: 1
	.section	.text._ZL37rocblas_syrkx_herkx_restricted_kernelIi19rocblas_complex_numIfELi16ELi32ELi8ELb0ELb0ELc78ELc85EKPKS1_KPS1_EviT_T0_PT8_S7_lSA_S7_lS8_PT9_S7_li,"axG",@progbits,_ZL37rocblas_syrkx_herkx_restricted_kernelIi19rocblas_complex_numIfELi16ELi32ELi8ELb0ELb0ELc78ELc85EKPKS1_KPS1_EviT_T0_PT8_S7_lSA_S7_lS8_PT9_S7_li,comdat
	.globl	_ZL37rocblas_syrkx_herkx_restricted_kernelIi19rocblas_complex_numIfELi16ELi32ELi8ELb0ELb0ELc78ELc85EKPKS1_KPS1_EviT_T0_PT8_S7_lSA_S7_lS8_PT9_S7_li ; -- Begin function _ZL37rocblas_syrkx_herkx_restricted_kernelIi19rocblas_complex_numIfELi16ELi32ELi8ELb0ELb0ELc78ELc85EKPKS1_KPS1_EviT_T0_PT8_S7_lSA_S7_lS8_PT9_S7_li
	.p2align	8
	.type	_ZL37rocblas_syrkx_herkx_restricted_kernelIi19rocblas_complex_numIfELi16ELi32ELi8ELb0ELb0ELc78ELc85EKPKS1_KPS1_EviT_T0_PT8_S7_lSA_S7_lS8_PT9_S7_li,@function
_ZL37rocblas_syrkx_herkx_restricted_kernelIi19rocblas_complex_numIfELi16ELi32ELi8ELb0ELb0ELc78ELc85EKPKS1_KPS1_EviT_T0_PT8_S7_lSA_S7_lS8_PT9_S7_li: ; @_ZL37rocblas_syrkx_herkx_restricted_kernelIi19rocblas_complex_numIfELi16ELi32ELi8ELb0ELb0ELc78ELc85EKPKS1_KPS1_EviT_T0_PT8_S7_lSA_S7_lS8_PT9_S7_li
; %bb.0:
	s_clause 0x1
	s_load_b128 s[4:7], s[0:1], 0x40
	s_load_b64 s[2:3], s[0:1], 0x0
	s_mov_b32 s16, s15
	s_mov_b32 s17, 0
	v_dual_mov_b32 v11, 0 :: v_dual_and_b32 v6, 0x3ff, v0
	s_lshl_b64 s[18:19], s[16:17], 3
	v_bfe_u32 v7, v0, 10, 10
	v_dual_mov_b32 v14, 0 :: v_dual_mov_b32 v13, 0
	v_dual_mov_b32 v16, 0 :: v_dual_mov_b32 v9, 0
	;; [unrolled: 1-line block ×3, first 2 shown]
	v_mov_b32_e32 v4, 0
	s_waitcnt lgkmcnt(0)
	s_add_u32 s6, s6, s18
	s_addc_u32 s7, s7, s19
	s_load_b128 s[8:11], s[0:1], 0x8
	s_load_b64 s[6:7], s[6:7], 0x0
	s_lshl_b32 s15, s13, 5
	s_lshl_b32 s14, s14, 5
	s_cmp_lt_i32 s3, 1
	s_cbranch_scc1 .LBB653_3
; %bb.1:
	s_clause 0x2
	s_load_b32 s12, s[0:1], 0x18
	s_load_b32 s20, s[0:1], 0x30
	s_load_b64 s[22:23], s[0:1], 0x28
	v_lshl_add_u32 v0, v7, 4, v6
	v_dual_mov_b32 v4, 0 :: v_dual_and_b32 v5, 7, v6
	v_lshlrev_b32_e32 v10, 3, v6
	s_delay_alu instid0(VALU_DEP_3)
	v_dual_mov_b32 v16, 0 :: v_dual_and_b32 v13, 31, v0
	v_lshrrev_b32_e32 v11, 3, v0
	v_lshrrev_b32_e32 v14, 5, v0
	v_lshlrev_b32_e32 v15, 3, v5
	v_lshl_add_u32 v12, v7, 6, 0x800
	v_add_nc_u32_e32 v2, s15, v13
	v_add_nc_u32_e32 v0, s14, v11
	s_delay_alu instid0(VALU_DEP_4) | instskip(NEXT) | instid1(VALU_DEP_3)
	v_lshl_or_b32 v11, v11, 6, v15
	v_ashrrev_i32_e32 v3, 31, v2
	s_delay_alu instid0(VALU_DEP_3)
	v_ashrrev_i32_e32 v1, 31, v0
	s_waitcnt lgkmcnt(0)
	s_ashr_i32 s13, s12, 31
	s_ashr_i32 s21, s20, 31
	s_add_u32 s10, s10, s18
	s_addc_u32 s11, s11, s19
	s_add_u32 s18, s22, s18
	s_load_b64 s[10:11], s[10:11], 0x0
	s_addc_u32 s19, s23, s19
	v_mad_i64_i32 v[8:9], null, s12, v14, v[2:3]
	s_load_b64 s[18:19], s[18:19], 0x0
	v_mad_i64_i32 v[2:3], null, s20, v5, v[0:1]
	v_mov_b32_e32 v5, 0
	v_add_nc_u32_e32 v17, 0x800, v11
	v_mov_b32_e32 v11, 0
	v_lshlrev_b64 v[0:1], 3, v[8:9]
	v_dual_mov_b32 v9, 0 :: v_dual_mov_b32 v8, 0
	v_lshlrev_b64 v[2:3], 3, v[2:3]
	v_lshlrev_b32_e32 v13, 3, v13
	s_delay_alu instid0(VALU_DEP_1)
	v_lshl_or_b32 v15, v14, 8, v13
	v_mov_b32_e32 v14, 0
	s_waitcnt lgkmcnt(0)
	v_add_co_u32 v0, vcc_lo, v0, s10
	v_add_co_ci_u32_e32 v1, vcc_lo, s11, v1, vcc_lo
	v_add_co_u32 v2, vcc_lo, v2, s18
	v_add_co_ci_u32_e32 v3, vcc_lo, s19, v3, vcc_lo
	s_delay_alu instid0(VALU_DEP_4) | instskip(NEXT) | instid1(VALU_DEP_4)
	v_add_co_u32 v0, vcc_lo, v0, 4
	v_add_co_ci_u32_e32 v1, vcc_lo, 0, v1, vcc_lo
	s_delay_alu instid0(VALU_DEP_4) | instskip(NEXT) | instid1(VALU_DEP_4)
	v_add_co_u32 v2, vcc_lo, v2, 4
	v_add_co_ci_u32_e32 v3, vcc_lo, 0, v3, vcc_lo
	v_mov_b32_e32 v13, 0
	s_lshl_b64 s[10:11], s[12:13], 6
	s_lshl_b64 s[12:13], s[20:21], 6
.LBB653_2:                              ; =>This Inner Loop Header: Depth=1
	global_load_b64 v[18:19], v[0:1], off offset:-4
	global_load_b64 v[20:21], v[2:3], off offset:-4
	v_add_co_u32 v0, vcc_lo, v0, s10
	v_add_co_ci_u32_e32 v1, vcc_lo, s11, v1, vcc_lo
	v_add_co_u32 v2, vcc_lo, v2, s12
	v_add_co_ci_u32_e32 v3, vcc_lo, s13, v3, vcc_lo
	s_add_i32 s17, s17, 8
	s_waitcnt vmcnt(1)
	ds_store_b64 v15, v[18:19]
	s_waitcnt vmcnt(0)
	ds_store_b64 v17, v[20:21]
	s_waitcnt lgkmcnt(0)
	s_barrier
	buffer_gl0_inv
	ds_load_2addr_b64 v[18:21], v10 offset1:16
	ds_load_b128 v[22:25], v12
	ds_load_b128 v[26:29], v12 offset:1024
	ds_load_b128 v[30:33], v12 offset:16
	ds_load_2addr_b64 v[34:37], v10 offset0:32 offset1:48
	ds_load_b128 v[38:41], v12 offset:32
	ds_load_b128 v[42:45], v12 offset:48
	ds_load_2addr_b64 v[46:49], v10 offset0:64 offset1:80
	ds_load_b128 v[50:53], v12 offset:1040
	ds_load_2addr_b64 v[54:57], v10 offset0:96 offset1:112
	ds_load_2addr_b64 v[58:61], v10 offset0:128 offset1:144
	ds_load_2addr_b64 v[62:65], v10 offset0:160 offset1:176
	ds_load_2addr_b64 v[66:69], v10 offset0:192 offset1:208
	ds_load_b128 v[70:73], v12 offset:1056
	ds_load_b128 v[74:77], v12 offset:1072
	ds_load_2addr_b64 v[78:81], v10 offset0:224 offset1:240
	s_cmp_ge_i32 s17, s3
	s_waitcnt lgkmcnt(0)
	s_barrier
	buffer_gl0_inv
	v_dual_mul_f32 v82, v23, v19 :: v_dual_mul_f32 v85, v22, v21
	v_dual_mul_f32 v83, v22, v19 :: v_dual_mul_f32 v84, v23, v21
	v_mul_f32_e32 v86, v27, v19
	v_dual_mul_f32 v19, v26, v19 :: v_dual_mul_f32 v90, v25, v37
	v_dual_mul_f32 v87, v27, v21 :: v_dual_mul_f32 v88, v25, v35
	v_mul_f32_e32 v21, v26, v21
	v_mul_f32_e32 v89, v24, v35
	;; [unrolled: 1-line block ×3, first 2 shown]
	v_fma_f32 v82, v22, v18, -v82
	v_fmac_f32_e32 v83, v23, v18
	v_fma_f32 v22, v22, v20, -v84
	v_dual_fmac_f32 v85, v23, v20 :: v_dual_mul_f32 v84, v30, v47
	v_fma_f32 v23, v26, v18, -v86
	v_fmac_f32_e32 v19, v27, v18
	v_fma_f32 v18, v26, v20, -v87
	v_dual_mul_f32 v26, v28, v35 :: v_dual_fmac_f32 v21, v27, v20
	v_mul_f32_e32 v20, v29, v35
	v_mul_f32_e32 v27, v29, v37
	v_dual_mul_f32 v35, v28, v37 :: v_dual_fmac_f32 v84, v31, v46
	v_fma_f32 v37, v24, v34, -v88
	v_fma_f32 v24, v24, v36, -v90
	v_dual_fmac_f32 v91, v25, v36 :: v_dual_mul_f32 v90, v32, v57
	v_dual_mul_f32 v86, v31, v49 :: v_dual_fmac_f32 v89, v25, v34
	v_dual_mul_f32 v25, v31, v47 :: v_dual_mul_f32 v88, v33, v57
	v_fma_f32 v20, v28, v34, -v20
	v_fmac_f32_e32 v26, v29, v34
	v_fma_f32 v27, v28, v36, -v27
	v_dual_fmac_f32 v35, v29, v36 :: v_dual_mul_f32 v28, v51, v47
	v_dual_mul_f32 v29, v50, v47 :: v_dual_mul_f32 v34, v51, v49
	v_mul_f32_e32 v36, v50, v49
	v_mul_f32_e32 v87, v30, v49
	;; [unrolled: 1-line block ×3, first 2 shown]
	v_dual_mul_f32 v49, v32, v55 :: v_dual_fmac_f32 v90, v33, v56
	v_fma_f32 v25, v30, v46, -v25
	v_fma_f32 v30, v30, v48, -v86
	;; [unrolled: 1-line block ×3, first 2 shown]
	v_fmac_f32_e32 v36, v51, v48
	v_fmac_f32_e32 v87, v31, v48
	v_fma_f32 v31, v50, v48, -v34
	v_mul_f32_e32 v34, v53, v55
	v_mul_f32_e32 v48, v53, v57
	v_dual_mul_f32 v50, v52, v57 :: v_dual_fmac_f32 v29, v51, v46
	v_mul_f32_e32 v46, v52, v55
	v_fma_f32 v47, v32, v54, -v47
	v_fmac_f32_e32 v49, v33, v54
	v_fma_f32 v32, v32, v56, -v88
	s_delay_alu instid0(VALU_DEP_4)
	v_dual_mul_f32 v33, v39, v59 :: v_dual_fmac_f32 v46, v53, v54
	v_mul_f32_e32 v51, v38, v59
	v_mul_f32_e32 v55, v39, v61
	v_fma_f32 v34, v52, v54, -v34
	v_fma_f32 v48, v52, v56, -v48
	v_fmac_f32_e32 v50, v53, v56
	v_mul_f32_e32 v52, v71, v59
	v_dual_mul_f32 v53, v70, v59 :: v_dual_mul_f32 v86, v41, v65
	v_mul_f32_e32 v54, v71, v61
	v_dual_mul_f32 v56, v70, v61 :: v_dual_mul_f32 v59, v41, v63
	v_mul_f32_e32 v57, v38, v61
	v_mul_f32_e32 v61, v40, v63
	v_dual_mul_f32 v88, v40, v65 :: v_dual_fmac_f32 v51, v39, v58
	v_fma_f32 v33, v38, v58, -v33
	v_fmac_f32_e32 v53, v71, v58
	v_fmac_f32_e32 v56, v71, v60
	s_delay_alu instid0(VALU_DEP_4)
	v_fmac_f32_e32 v88, v41, v64
	v_fmac_f32_e32 v57, v39, v60
	v_fma_f32 v39, v70, v58, -v52
	v_fma_f32 v52, v70, v60, -v54
	v_mul_f32_e32 v54, v73, v63
	v_fma_f32 v38, v38, v60, -v55
	v_mul_f32_e32 v60, v72, v65
	v_dual_mul_f32 v55, v72, v63 :: v_dual_mul_f32 v70, v42, v69
	v_mul_f32_e32 v58, v73, v65
	v_fma_f32 v59, v40, v62, -v59
	v_fmac_f32_e32 v61, v41, v62
	v_fma_f32 v40, v40, v64, -v86
	v_dual_mul_f32 v41, v43, v67 :: v_dual_fmac_f32 v60, v73, v64
	v_dual_mul_f32 v63, v42, v67 :: v_dual_mul_f32 v86, v44, v81
	v_mul_f32_e32 v65, v43, v69
	v_fma_f32 v54, v72, v62, -v54
	v_fmac_f32_e32 v55, v73, v62
	v_fma_f32 v58, v72, v64, -v58
	v_mul_f32_e32 v72, v44, v79
	v_mul_f32_e32 v62, v75, v67
	v_dual_mul_f32 v64, v74, v67 :: v_dual_mul_f32 v67, v75, v69
	v_dual_mul_f32 v69, v74, v69 :: v_dual_fmac_f32 v70, v43, v68
	s_delay_alu instid0(VALU_DEP_2)
	v_dual_mul_f32 v71, v45, v79 :: v_dual_fmac_f32 v64, v75, v66
	v_dual_mul_f32 v73, v45, v81 :: v_dual_add_f32 v14, v14, v82
	v_fma_f32 v41, v42, v66, -v41
	v_fmac_f32_e32 v63, v43, v66
	v_fma_f32 v42, v42, v68, -v65
	v_fma_f32 v43, v74, v66, -v62
	v_dual_mul_f32 v65, v77, v79 :: v_dual_add_f32 v4, v4, v21
	v_mul_f32_e32 v66, v76, v79
	v_fma_f32 v62, v74, v68, -v67
	v_dual_mul_f32 v67, v77, v81 :: v_dual_add_f32 v16, v16, v83
	v_dual_fmac_f32 v86, v45, v80 :: v_dual_add_f32 v11, v11, v22
	v_dual_add_f32 v13, v13, v85 :: v_dual_add_f32 v8, v8, v19
	v_dual_add_f32 v9, v9, v23 :: v_dual_add_f32 v14, v14, v37
	s_delay_alu instid0(VALU_DEP_4)
	v_dual_add_f32 v5, v5, v18 :: v_dual_add_f32 v16, v16, v89
	v_dual_fmac_f32 v69, v75, v68 :: v_dual_fmac_f32 v72, v45, v78
	v_mul_f32_e32 v68, v76, v81
	v_dual_fmac_f32 v66, v77, v78 :: v_dual_add_f32 v11, v11, v24
	v_dual_add_f32 v13, v13, v91 :: v_dual_add_f32 v8, v8, v26
	v_dual_add_f32 v9, v9, v20 :: v_dual_add_f32 v4, v4, v35
	;; [unrolled: 1-line block ×3, first 2 shown]
	s_delay_alu instid0(VALU_DEP_4) | instskip(NEXT) | instid1(VALU_DEP_4)
	v_dual_fmac_f32 v68, v77, v80 :: v_dual_add_f32 v11, v11, v30
	v_dual_add_f32 v16, v16, v84 :: v_dual_add_f32 v13, v13, v87
	s_delay_alu instid0(VALU_DEP_4) | instskip(NEXT) | instid1(VALU_DEP_4)
	v_dual_add_f32 v9, v9, v28 :: v_dual_add_f32 v8, v8, v29
	v_dual_add_f32 v5, v5, v31 :: v_dual_add_f32 v4, v4, v36
	s_delay_alu instid0(VALU_DEP_4) | instskip(NEXT) | instid1(VALU_DEP_4)
	v_dual_add_f32 v14, v14, v47 :: v_dual_add_f32 v11, v11, v32
	v_dual_add_f32 v16, v16, v49 :: v_dual_add_f32 v13, v13, v90
	s_delay_alu instid0(VALU_DEP_2) | instskip(NEXT) | instid1(VALU_DEP_4)
	v_dual_add_f32 v9, v9, v34 :: v_dual_add_f32 v14, v14, v33
	v_dual_add_f32 v8, v8, v46 :: v_dual_add_f32 v5, v5, v48
	s_delay_alu instid0(VALU_DEP_3) | instskip(NEXT) | instid1(VALU_DEP_4)
	v_dual_add_f32 v4, v4, v50 :: v_dual_add_f32 v13, v13, v57
	v_dual_add_f32 v16, v16, v51 :: v_dual_add_f32 v11, v11, v38
	s_delay_alu instid0(VALU_DEP_3) | instskip(NEXT) | instid1(VALU_DEP_4)
	v_dual_add_f32 v9, v9, v39 :: v_dual_add_f32 v8, v8, v53
	v_dual_add_f32 v5, v5, v52 :: v_dual_add_f32 v14, v14, v59
	s_delay_alu instid0(VALU_DEP_2) | instskip(NEXT) | instid1(VALU_DEP_4)
	v_dual_add_f32 v4, v4, v56 :: v_dual_add_f32 v9, v9, v54
	v_dual_add_f32 v16, v16, v61 :: v_dual_add_f32 v11, v11, v40
	s_delay_alu instid0(VALU_DEP_4) | instskip(NEXT) | instid1(VALU_DEP_3)
	v_dual_add_f32 v13, v13, v88 :: v_dual_add_f32 v8, v8, v55
	v_dual_add_f32 v5, v5, v58 :: v_dual_add_f32 v4, v4, v60
	v_fma_f32 v71, v44, v78, -v71
	v_fma_f32 v44, v44, v80, -v73
	;; [unrolled: 1-line block ×4, first 2 shown]
	v_dual_add_f32 v14, v14, v41 :: v_dual_add_f32 v11, v11, v42
	v_dual_add_f32 v16, v16, v63 :: v_dual_add_f32 v13, v13, v70
	;; [unrolled: 1-line block ×4, first 2 shown]
	s_delay_alu instid0(VALU_DEP_4) | instskip(NEXT) | instid1(VALU_DEP_4)
	v_dual_add_f32 v14, v14, v71 :: v_dual_add_f32 v11, v11, v44
	v_dual_add_f32 v16, v16, v72 :: v_dual_add_f32 v13, v13, v86
	s_delay_alu instid0(VALU_DEP_4) | instskip(NEXT) | instid1(VALU_DEP_4)
	v_dual_add_f32 v9, v9, v45 :: v_dual_add_f32 v8, v8, v66
	v_dual_add_f32 v5, v5, v65 :: v_dual_add_f32 v4, v4, v68
	s_cbranch_scc0 .LBB653_2
.LBB653_3:
	s_load_b32 s3, s[0:1], 0x50
	v_add_nc_u32_e32 v7, s14, v7
	v_add_nc_u32_e32 v0, s15, v6
	s_delay_alu instid0(VALU_DEP_2) | instskip(NEXT) | instid1(VALU_DEP_2)
	v_cmp_gt_i32_e32 vcc_lo, s2, v7
	v_cmp_le_i32_e64 s0, v0, v7
	s_delay_alu instid0(VALU_DEP_1) | instskip(SKIP_2) | instid1(VALU_DEP_1)
	s_and_b32 s0, vcc_lo, s0
	s_waitcnt lgkmcnt(0)
	v_mad_i64_i32 v[1:2], null, v7, s3, 0
	v_lshlrev_b64 v[1:2], 3, v[1:2]
	s_delay_alu instid0(VALU_DEP_1) | instskip(NEXT) | instid1(VALU_DEP_1)
	v_add_co_u32 v6, s1, s6, v1
	v_add_co_ci_u32_e64 v10, s1, s7, v2, s1
	s_and_saveexec_b32 s1, s0
	s_cbranch_execz .LBB653_5
; %bb.4:
	v_ashrrev_i32_e32 v1, 31, v0
	s_delay_alu instid0(VALU_DEP_1) | instskip(NEXT) | instid1(VALU_DEP_1)
	v_lshlrev_b64 v[1:2], 3, v[0:1]
	v_add_co_u32 v1, s0, v6, v1
	s_delay_alu instid0(VALU_DEP_1)
	v_add_co_ci_u32_e64 v2, s0, v10, v2, s0
	global_load_b64 v[17:18], v[1:2], off
	v_mul_f32_e32 v3, s9, v16
	s_waitcnt vmcnt(0)
	v_dual_mul_f32 v12, s8, v16 :: v_dual_mul_f32 v15, s5, v18
	v_mul_f32_e32 v16, s4, v18
	s_delay_alu instid0(VALU_DEP_3) | instskip(NEXT) | instid1(VALU_DEP_3)
	v_fma_f32 v3, v14, s8, -v3
	v_fmac_f32_e32 v12, s9, v14
	s_delay_alu instid0(VALU_DEP_4) | instskip(NEXT) | instid1(VALU_DEP_4)
	v_fma_f32 v14, v17, s4, -v15
	v_fmac_f32_e32 v16, s5, v17
	s_delay_alu instid0(VALU_DEP_1)
	v_dual_add_f32 v14, v3, v14 :: v_dual_add_f32 v15, v12, v16
	global_store_b64 v[1:2], v[14:15], off
.LBB653_5:
	s_or_b32 exec_lo, exec_lo, s1
	v_add_nc_u32_e32 v2, 16, v0
	s_delay_alu instid0(VALU_DEP_1) | instskip(NEXT) | instid1(VALU_DEP_1)
	v_cmp_le_i32_e64 s0, v2, v7
	s_and_b32 s1, vcc_lo, s0
	s_delay_alu instid0(SALU_CYCLE_1)
	s_and_saveexec_b32 s0, s1
	s_cbranch_execz .LBB653_7
; %bb.6:
	v_ashrrev_i32_e32 v3, 31, v2
	s_delay_alu instid0(VALU_DEP_1) | instskip(NEXT) | instid1(VALU_DEP_1)
	v_lshlrev_b64 v[14:15], 3, v[2:3]
	v_add_co_u32 v14, vcc_lo, v6, v14
	s_delay_alu instid0(VALU_DEP_2)
	v_add_co_ci_u32_e32 v15, vcc_lo, v10, v15, vcc_lo
	global_load_b64 v[16:17], v[14:15], off
	s_waitcnt vmcnt(0)
	v_mul_f32_e32 v6, s5, v17
	v_mul_f32_e32 v12, s4, v17
	;; [unrolled: 1-line block ×3, first 2 shown]
	s_delay_alu instid0(VALU_DEP_3) | instskip(NEXT) | instid1(VALU_DEP_3)
	v_fma_f32 v6, v16, s4, -v6
	v_fmac_f32_e32 v12, s5, v16
	s_delay_alu instid0(VALU_DEP_3) | instskip(NEXT) | instid1(VALU_DEP_1)
	v_fma_f32 v1, v11, s8, -v1
	v_dual_mul_f32 v3, s8, v13 :: v_dual_add_f32 v10, v1, v6
	s_delay_alu instid0(VALU_DEP_1) | instskip(NEXT) | instid1(VALU_DEP_1)
	v_fmac_f32_e32 v3, s9, v11
	v_add_f32_e32 v11, v3, v12
	global_store_b64 v[14:15], v[10:11], off
.LBB653_7:
	s_or_b32 exec_lo, exec_lo, s0
	v_add_nc_u32_e32 v3, 16, v7
	s_delay_alu instid0(VALU_DEP_1) | instskip(SKIP_2) | instid1(VALU_DEP_1)
	v_mad_i64_i32 v[6:7], null, v3, s3, 0
	v_cmp_gt_i32_e32 vcc_lo, s2, v3
	v_cmp_le_i32_e64 s0, v0, v3
	s_and_b32 s0, vcc_lo, s0
	s_delay_alu instid0(VALU_DEP_3) | instskip(NEXT) | instid1(VALU_DEP_1)
	v_lshlrev_b64 v[6:7], 3, v[6:7]
	v_add_co_u32 v6, s1, s6, v6
	s_delay_alu instid0(VALU_DEP_1)
	v_add_co_ci_u32_e64 v7, s1, s7, v7, s1
	s_and_saveexec_b32 s1, s0
	s_cbranch_execz .LBB653_9
; %bb.8:
	v_ashrrev_i32_e32 v1, 31, v0
	s_delay_alu instid0(VALU_DEP_1) | instskip(NEXT) | instid1(VALU_DEP_1)
	v_lshlrev_b64 v[0:1], 3, v[0:1]
	v_add_co_u32 v0, s0, v6, v0
	s_delay_alu instid0(VALU_DEP_1)
	v_add_co_ci_u32_e64 v1, s0, v7, v1, s0
	global_load_b64 v[10:11], v[0:1], off
	v_mul_f32_e32 v12, s9, v8
	s_waitcnt vmcnt(0)
	v_dual_mul_f32 v13, s8, v8 :: v_dual_mul_f32 v8, s5, v11
	v_mul_f32_e32 v11, s4, v11
	s_delay_alu instid0(VALU_DEP_3) | instskip(NEXT) | instid1(VALU_DEP_3)
	v_fma_f32 v12, v9, s8, -v12
	v_fma_f32 v8, v10, s4, -v8
	s_delay_alu instid0(VALU_DEP_4) | instskip(NEXT) | instid1(VALU_DEP_2)
	v_fmac_f32_e32 v13, s9, v9
	v_dual_fmac_f32 v11, s5, v10 :: v_dual_add_f32 v8, v12, v8
	s_delay_alu instid0(VALU_DEP_1)
	v_add_f32_e32 v9, v13, v11
	global_store_b64 v[0:1], v[8:9], off
.LBB653_9:
	s_or_b32 exec_lo, exec_lo, s1
	v_cmp_le_i32_e64 s0, v2, v3
	s_delay_alu instid0(VALU_DEP_1) | instskip(NEXT) | instid1(SALU_CYCLE_1)
	s_and_b32 s0, vcc_lo, s0
	s_and_saveexec_b32 s1, s0
	s_cbranch_execz .LBB653_11
; %bb.10:
	v_ashrrev_i32_e32 v3, 31, v2
	s_delay_alu instid0(VALU_DEP_1) | instskip(NEXT) | instid1(VALU_DEP_1)
	v_lshlrev_b64 v[0:1], 3, v[2:3]
	v_add_co_u32 v0, vcc_lo, v6, v0
	s_delay_alu instid0(VALU_DEP_2)
	v_add_co_ci_u32_e32 v1, vcc_lo, v7, v1, vcc_lo
	global_load_b64 v[2:3], v[0:1], off
	v_mul_f32_e32 v6, s9, v4
	s_waitcnt vmcnt(0)
	v_dual_mul_f32 v4, s8, v4 :: v_dual_mul_f32 v7, s5, v3
	v_mul_f32_e32 v3, s4, v3
	s_delay_alu instid0(VALU_DEP_3) | instskip(NEXT) | instid1(VALU_DEP_3)
	v_fma_f32 v6, v5, s8, -v6
	v_fmac_f32_e32 v4, s9, v5
	s_delay_alu instid0(VALU_DEP_4) | instskip(NEXT) | instid1(VALU_DEP_1)
	v_fma_f32 v5, v2, s4, -v7
	v_dual_fmac_f32 v3, s5, v2 :: v_dual_add_f32 v2, v6, v5
	s_delay_alu instid0(VALU_DEP_1)
	v_add_f32_e32 v3, v4, v3
	global_store_b64 v[0:1], v[2:3], off
.LBB653_11:
	s_nop 0
	s_sendmsg sendmsg(MSG_DEALLOC_VGPRS)
	s_endpgm
	.section	.rodata,"a",@progbits
	.p2align	6, 0x0
	.amdhsa_kernel _ZL37rocblas_syrkx_herkx_restricted_kernelIi19rocblas_complex_numIfELi16ELi32ELi8ELb0ELb0ELc78ELc85EKPKS1_KPS1_EviT_T0_PT8_S7_lSA_S7_lS8_PT9_S7_li
		.amdhsa_group_segment_fixed_size 4096
		.amdhsa_private_segment_fixed_size 0
		.amdhsa_kernarg_size 100
		.amdhsa_user_sgpr_count 13
		.amdhsa_user_sgpr_dispatch_ptr 0
		.amdhsa_user_sgpr_queue_ptr 0
		.amdhsa_user_sgpr_kernarg_segment_ptr 1
		.amdhsa_user_sgpr_dispatch_id 0
		.amdhsa_user_sgpr_private_segment_size 0
		.amdhsa_wavefront_size32 1
		.amdhsa_uses_dynamic_stack 0
		.amdhsa_enable_private_segment 0
		.amdhsa_system_sgpr_workgroup_id_x 1
		.amdhsa_system_sgpr_workgroup_id_y 1
		.amdhsa_system_sgpr_workgroup_id_z 1
		.amdhsa_system_sgpr_workgroup_info 0
		.amdhsa_system_vgpr_workitem_id 1
		.amdhsa_next_free_vgpr 92
		.amdhsa_next_free_sgpr 24
		.amdhsa_reserve_vcc 1
		.amdhsa_float_round_mode_32 0
		.amdhsa_float_round_mode_16_64 0
		.amdhsa_float_denorm_mode_32 3
		.amdhsa_float_denorm_mode_16_64 3
		.amdhsa_dx10_clamp 1
		.amdhsa_ieee_mode 1
		.amdhsa_fp16_overflow 0
		.amdhsa_workgroup_processor_mode 1
		.amdhsa_memory_ordered 1
		.amdhsa_forward_progress 0
		.amdhsa_shared_vgpr_count 0
		.amdhsa_exception_fp_ieee_invalid_op 0
		.amdhsa_exception_fp_denorm_src 0
		.amdhsa_exception_fp_ieee_div_zero 0
		.amdhsa_exception_fp_ieee_overflow 0
		.amdhsa_exception_fp_ieee_underflow 0
		.amdhsa_exception_fp_ieee_inexact 0
		.amdhsa_exception_int_div_zero 0
	.end_amdhsa_kernel
	.section	.text._ZL37rocblas_syrkx_herkx_restricted_kernelIi19rocblas_complex_numIfELi16ELi32ELi8ELb0ELb0ELc78ELc85EKPKS1_KPS1_EviT_T0_PT8_S7_lSA_S7_lS8_PT9_S7_li,"axG",@progbits,_ZL37rocblas_syrkx_herkx_restricted_kernelIi19rocblas_complex_numIfELi16ELi32ELi8ELb0ELb0ELc78ELc85EKPKS1_KPS1_EviT_T0_PT8_S7_lSA_S7_lS8_PT9_S7_li,comdat
.Lfunc_end653:
	.size	_ZL37rocblas_syrkx_herkx_restricted_kernelIi19rocblas_complex_numIfELi16ELi32ELi8ELb0ELb0ELc78ELc85EKPKS1_KPS1_EviT_T0_PT8_S7_lSA_S7_lS8_PT9_S7_li, .Lfunc_end653-_ZL37rocblas_syrkx_herkx_restricted_kernelIi19rocblas_complex_numIfELi16ELi32ELi8ELb0ELb0ELc78ELc85EKPKS1_KPS1_EviT_T0_PT8_S7_lSA_S7_lS8_PT9_S7_li
                                        ; -- End function
	.section	.AMDGPU.csdata,"",@progbits
; Kernel info:
; codeLenInByte = 2316
; NumSgprs: 26
; NumVgprs: 92
; ScratchSize: 0
; MemoryBound: 0
; FloatMode: 240
; IeeeMode: 1
; LDSByteSize: 4096 bytes/workgroup (compile time only)
; SGPRBlocks: 3
; VGPRBlocks: 11
; NumSGPRsForWavesPerEU: 26
; NumVGPRsForWavesPerEU: 92
; Occupancy: 16
; WaveLimiterHint : 1
; COMPUTE_PGM_RSRC2:SCRATCH_EN: 0
; COMPUTE_PGM_RSRC2:USER_SGPR: 13
; COMPUTE_PGM_RSRC2:TRAP_HANDLER: 0
; COMPUTE_PGM_RSRC2:TGID_X_EN: 1
; COMPUTE_PGM_RSRC2:TGID_Y_EN: 1
; COMPUTE_PGM_RSRC2:TGID_Z_EN: 1
; COMPUTE_PGM_RSRC2:TIDIG_COMP_CNT: 1
	.section	.text._ZL41rocblas_syrkx_herkx_small_restrict_kernelIi19rocblas_complex_numIfELi16ELb1ELb0ELc84ELc76EKPKS1_KPS1_EviT_T0_PT6_S7_lSA_S7_lS8_PT7_S7_li,"axG",@progbits,_ZL41rocblas_syrkx_herkx_small_restrict_kernelIi19rocblas_complex_numIfELi16ELb1ELb0ELc84ELc76EKPKS1_KPS1_EviT_T0_PT6_S7_lSA_S7_lS8_PT7_S7_li,comdat
	.globl	_ZL41rocblas_syrkx_herkx_small_restrict_kernelIi19rocblas_complex_numIfELi16ELb1ELb0ELc84ELc76EKPKS1_KPS1_EviT_T0_PT6_S7_lSA_S7_lS8_PT7_S7_li ; -- Begin function _ZL41rocblas_syrkx_herkx_small_restrict_kernelIi19rocblas_complex_numIfELi16ELb1ELb0ELc84ELc76EKPKS1_KPS1_EviT_T0_PT6_S7_lSA_S7_lS8_PT7_S7_li
	.p2align	8
	.type	_ZL41rocblas_syrkx_herkx_small_restrict_kernelIi19rocblas_complex_numIfELi16ELb1ELb0ELc84ELc76EKPKS1_KPS1_EviT_T0_PT6_S7_lSA_S7_lS8_PT7_S7_li,@function
_ZL41rocblas_syrkx_herkx_small_restrict_kernelIi19rocblas_complex_numIfELi16ELb1ELb0ELc84ELc76EKPKS1_KPS1_EviT_T0_PT6_S7_lSA_S7_lS8_PT7_S7_li: ; @_ZL41rocblas_syrkx_herkx_small_restrict_kernelIi19rocblas_complex_numIfELi16ELb1ELb0ELc84ELc76EKPKS1_KPS1_EviT_T0_PT6_S7_lSA_S7_lS8_PT7_S7_li
; %bb.0:
	s_load_b64 s[2:3], s[0:1], 0x48
	s_mov_b32 s8, s15
	s_mov_b32 s9, 0
	v_dual_mov_b32 v11, 0 :: v_dual_and_b32 v2, 0x3ff, v0
	s_lshl_b64 s[10:11], s[8:9], 3
	s_load_b32 s8, s[0:1], 0x4
	v_bfe_u32 v1, v0, 10, 10
	s_delay_alu instid0(VALU_DEP_2) | instskip(SKIP_1) | instid1(VALU_DEP_3)
	v_lshl_add_u32 v0, s13, 4, v2
	v_mov_b32_e32 v10, 0
	v_lshl_add_u32 v5, s14, 4, v1
	s_waitcnt lgkmcnt(0)
	s_add_u32 s2, s2, s10
	s_addc_u32 s3, s3, s11
	s_load_b128 s[4:7], s[0:1], 0x8
	s_load_b64 s[2:3], s[2:3], 0x0
	s_cmp_lt_i32 s8, 1
	s_cbranch_scc1 .LBB654_3
; %bb.1:
	s_clause 0x2
	s_load_b64 s[12:13], s[0:1], 0x28
	s_load_b32 s14, s[0:1], 0x30
	s_load_b32 s15, s[0:1], 0x18
	v_lshlrev_b32_e32 v6, 3, v2
	v_lshlrev_b32_e32 v4, 7, v1
	v_dual_mov_b32 v10, 0 :: v_dual_lshlrev_b32 v13, 3, v1
	s_delay_alu instid0(VALU_DEP_2) | instskip(NEXT) | instid1(VALU_DEP_4)
	v_add_nc_u32_e32 v7, 0x800, v4
	v_add_nc_u32_e32 v8, v6, v4
	s_delay_alu instid0(VALU_DEP_2)
	v_add_nc_u32_e32 v9, v7, v6
	s_waitcnt lgkmcnt(0)
	s_add_u32 s12, s12, s10
	s_addc_u32 s13, s13, s11
	v_mad_i64_i32 v[2:3], null, s14, v5, 0
	s_load_b64 s[12:13], s[12:13], 0x0
	s_add_u32 s6, s6, s10
	s_addc_u32 s7, s7, s11
	v_mad_i64_i32 v[11:12], null, s15, v0, 0
	s_load_b64 s[6:7], s[6:7], 0x0
	s_delay_alu instid0(VALU_DEP_2) | instskip(NEXT) | instid1(VALU_DEP_2)
	v_lshlrev_b64 v[1:2], 3, v[2:3]
	v_lshlrev_b64 v[3:4], 3, v[11:12]
	s_delay_alu instid0(VALU_DEP_2) | instskip(NEXT) | instid1(VALU_DEP_3)
	v_add_co_u32 v1, vcc_lo, v1, v6
	v_add_co_ci_u32_e32 v2, vcc_lo, 0, v2, vcc_lo
	v_mov_b32_e32 v11, 0
	s_delay_alu instid0(VALU_DEP_4)
	v_add_co_u32 v3, vcc_lo, v3, v13
	v_add_co_ci_u32_e32 v4, vcc_lo, 0, v4, vcc_lo
	s_waitcnt lgkmcnt(0)
	v_add_co_u32 v1, vcc_lo, s12, v1
	v_add_co_ci_u32_e32 v2, vcc_lo, s13, v2, vcc_lo
	v_add_co_u32 v3, vcc_lo, s6, v3
	v_add_co_ci_u32_e32 v4, vcc_lo, s7, v4, vcc_lo
.LBB654_2:                              ; =>This Inner Loop Header: Depth=1
	global_load_b64 v[12:13], v[3:4], off
	global_load_b64 v[14:15], v[1:2], off
	v_add_co_u32 v1, vcc_lo, 0x80, v1
	v_add_co_ci_u32_e32 v2, vcc_lo, 0, v2, vcc_lo
	v_add_co_u32 v3, vcc_lo, 0x80, v3
	v_add_co_ci_u32_e32 v4, vcc_lo, 0, v4, vcc_lo
	s_add_i32 s9, s9, 16
	s_waitcnt vmcnt(1)
	ds_store_b64 v8, v[12:13]
	s_waitcnt vmcnt(0)
	ds_store_b64 v9, v[14:15]
	s_waitcnt lgkmcnt(0)
	s_barrier
	buffer_gl0_inv
	ds_load_2addr_b64 v[12:15], v6 offset1:16
	ds_load_b128 v[16:19], v7
	ds_load_b128 v[20:23], v7 offset:16
	ds_load_2addr_b64 v[24:27], v6 offset0:32 offset1:48
	ds_load_2addr_b64 v[28:31], v6 offset0:64 offset1:80
	ds_load_b128 v[32:35], v7 offset:32
	ds_load_b128 v[36:39], v7 offset:48
	ds_load_2addr_b64 v[40:43], v6 offset0:96 offset1:112
	ds_load_2addr_b64 v[44:47], v6 offset0:128 offset1:144
	;; [unrolled: 1-line block ×3, first 2 shown]
	ds_load_b128 v[52:55], v7 offset:64
	ds_load_b128 v[56:59], v7 offset:80
	ds_load_2addr_b64 v[60:63], v6 offset0:192 offset1:208
	ds_load_2addr_b64 v[64:67], v6 offset0:224 offset1:240
	ds_load_b128 v[68:71], v7 offset:96
	ds_load_b128 v[72:75], v7 offset:112
	s_cmp_lt_i32 s9, s8
	s_waitcnt lgkmcnt(0)
	s_barrier
	buffer_gl0_inv
	v_dual_mul_f32 v76, v17, v13 :: v_dual_mul_f32 v77, v19, v15
	v_mul_f32_e32 v13, v16, v13
	v_dual_mul_f32 v15, v18, v15 :: v_dual_mul_f32 v78, v21, v25
	v_mul_f32_e32 v25, v20, v25
	s_delay_alu instid0(VALU_DEP_4) | instskip(SKIP_1) | instid1(VALU_DEP_4)
	v_fma_f32 v16, v16, v12, -v76
	v_dual_mul_f32 v79, v23, v27 :: v_dual_mul_f32 v80, v33, v29
	v_fmac_f32_e32 v15, v19, v14
	s_delay_alu instid0(VALU_DEP_4) | instskip(SKIP_4) | instid1(VALU_DEP_4)
	v_fmac_f32_e32 v25, v21, v24
	v_fmac_f32_e32 v13, v17, v12
	v_mul_f32_e32 v83, v39, v43
	v_dual_mul_f32 v27, v22, v27 :: v_dual_mul_f32 v82, v37, v41
	v_mul_f32_e32 v43, v38, v43
	v_add_f32_e32 v10, v10, v13
	v_mul_f32_e32 v29, v32, v29
	v_dual_add_f32 v11, v11, v16 :: v_dual_mul_f32 v16, v72, v65
	v_mul_f32_e32 v17, v54, v47
	s_delay_alu instid0(VALU_DEP_4) | instskip(SKIP_1) | instid1(VALU_DEP_3)
	v_add_f32_e32 v10, v10, v15
	v_dual_mul_f32 v81, v35, v31 :: v_dual_mul_f32 v84, v53, v45
	v_dual_fmac_f32 v16, v73, v64 :: v_dual_fmac_f32 v17, v55, v46
	s_delay_alu instid0(VALU_DEP_3) | instskip(SKIP_3) | instid1(VALU_DEP_4)
	v_dual_fmac_f32 v27, v23, v26 :: v_dual_add_f32 v10, v10, v25
	v_mul_f32_e32 v31, v34, v31
	v_mul_f32_e32 v45, v52, v45
	v_fmac_f32_e32 v29, v33, v28
	v_dual_mul_f32 v41, v36, v41 :: v_dual_add_f32 v10, v10, v27
	v_fma_f32 v12, v18, v14, -v77
	v_dual_mul_f32 v18, v57, v49 :: v_dual_fmac_f32 v31, v35, v30
	v_mul_f32_e32 v14, v55, v47
	s_delay_alu instid0(VALU_DEP_4) | instskip(SKIP_3) | instid1(VALU_DEP_4)
	v_add_f32_e32 v10, v10, v29
	v_mul_f32_e32 v19, v56, v49
	v_add_f32_e32 v11, v11, v12
	v_dual_mul_f32 v12, v75, v67 :: v_dual_fmac_f32 v41, v37, v40
	v_add_f32_e32 v10, v10, v31
	v_mul_f32_e32 v47, v59, v51
	v_fmac_f32_e32 v43, v39, v42
	v_mul_f32_e32 v49, v58, v51
	s_delay_alu instid0(VALU_DEP_4) | instskip(SKIP_2) | instid1(VALU_DEP_4)
	v_dual_fmac_f32 v45, v53, v44 :: v_dual_add_f32 v10, v10, v41
	v_mul_f32_e32 v51, v69, v61
	v_fmac_f32_e32 v19, v57, v48
	v_fmac_f32_e32 v49, v59, v50
	v_mul_f32_e32 v23, v70, v63
	v_add_f32_e32 v10, v10, v43
	v_fma_f32 v20, v20, v24, -v78
	v_mul_f32_e32 v15, v74, v67
	v_fma_f32 v21, v22, v26, -v79
	s_delay_alu instid0(VALU_DEP_4) | instskip(SKIP_1) | instid1(VALU_DEP_4)
	v_dual_fmac_f32 v23, v71, v62 :: v_dual_add_f32 v10, v10, v45
	v_fma_f32 v14, v54, v46, -v14
	v_fmac_f32_e32 v15, v75, v66
	v_fma_f32 v18, v56, v48, -v18
	v_mul_f32_e32 v22, v71, v63
	v_add_f32_e32 v10, v10, v17
	v_mul_f32_e32 v61, v68, v61
	v_fma_f32 v17, v68, v60, -v51
	v_fma_f32 v12, v74, v66, -v12
	s_delay_alu instid0(VALU_DEP_3) | instskip(NEXT) | instid1(VALU_DEP_1)
	v_dual_add_f32 v10, v10, v19 :: v_dual_fmac_f32 v61, v69, v60
	v_add_f32_e32 v10, v10, v49
	s_delay_alu instid0(VALU_DEP_1) | instskip(NEXT) | instid1(VALU_DEP_1)
	v_add_f32_e32 v10, v10, v61
	v_dual_mul_f32 v13, v73, v65 :: v_dual_add_f32 v10, v10, v23
	s_delay_alu instid0(VALU_DEP_1) | instskip(NEXT) | instid1(VALU_DEP_2)
	v_fma_f32 v13, v72, v64, -v13
	v_add_f32_e32 v10, v10, v16
	v_add_f32_e32 v11, v11, v20
	v_fma_f32 v20, v32, v28, -v80
	s_delay_alu instid0(VALU_DEP_2) | instskip(SKIP_1) | instid1(VALU_DEP_2)
	v_dual_add_f32 v10, v10, v15 :: v_dual_add_f32 v11, v11, v21
	v_fma_f32 v21, v34, v30, -v81
	v_add_f32_e32 v11, v11, v20
	v_fma_f32 v20, v36, v40, -v82
	s_delay_alu instid0(VALU_DEP_2) | instskip(SKIP_1) | instid1(VALU_DEP_2)
	v_add_f32_e32 v11, v11, v21
	v_fma_f32 v21, v38, v42, -v83
	v_add_f32_e32 v11, v11, v20
	v_fma_f32 v20, v52, v44, -v84
	s_delay_alu instid0(VALU_DEP_2) | instskip(NEXT) | instid1(VALU_DEP_1)
	v_add_f32_e32 v11, v11, v21
	v_add_f32_e32 v11, v11, v20
	s_delay_alu instid0(VALU_DEP_1) | instskip(SKIP_1) | instid1(VALU_DEP_2)
	v_add_f32_e32 v11, v11, v14
	v_fma_f32 v14, v58, v50, -v47
	v_add_f32_e32 v11, v11, v18
	s_delay_alu instid0(VALU_DEP_1) | instskip(SKIP_1) | instid1(VALU_DEP_2)
	v_add_f32_e32 v11, v11, v14
	v_fma_f32 v14, v70, v62, -v22
	v_add_f32_e32 v11, v11, v17
	s_delay_alu instid0(VALU_DEP_1) | instskip(NEXT) | instid1(VALU_DEP_1)
	v_add_f32_e32 v11, v11, v14
	v_add_f32_e32 v11, v11, v13
	s_delay_alu instid0(VALU_DEP_1)
	v_add_f32_e32 v11, v11, v12
	s_cbranch_scc1 .LBB654_2
.LBB654_3:
	s_waitcnt lgkmcnt(0)
	s_mov_b32 s6, exec_lo
	v_cmpx_le_i32_e64 v5, v0
	s_cbranch_execz .LBB654_5
; %bb.4:
	s_load_b32 s0, s[0:1], 0x50
	v_ashrrev_i32_e32 v1, 31, v0
	s_delay_alu instid0(VALU_DEP_1) | instskip(SKIP_3) | instid1(VALU_DEP_1)
	v_lshlrev_b64 v[0:1], 3, v[0:1]
	s_waitcnt lgkmcnt(0)
	v_mad_i64_i32 v[2:3], null, s0, v5, 0
	v_mul_f32_e32 v5, s4, v10
	v_dual_mul_f32 v4, s5, v10 :: v_dual_fmac_f32 v5, s5, v11
	s_delay_alu instid0(VALU_DEP_3) | instskip(NEXT) | instid1(VALU_DEP_2)
	v_lshlrev_b64 v[2:3], 3, v[2:3]
	v_fma_f32 v4, v11, s4, -v4
	s_delay_alu instid0(VALU_DEP_2) | instskip(NEXT) | instid1(VALU_DEP_3)
	v_add_co_u32 v2, vcc_lo, s2, v2
	v_add_co_ci_u32_e32 v3, vcc_lo, s3, v3, vcc_lo
	s_delay_alu instid0(VALU_DEP_2) | instskip(NEXT) | instid1(VALU_DEP_2)
	v_add_co_u32 v0, vcc_lo, v2, v0
	v_add_co_ci_u32_e32 v1, vcc_lo, v3, v1, vcc_lo
	global_store_b64 v[0:1], v[4:5], off
.LBB654_5:
	s_nop 0
	s_sendmsg sendmsg(MSG_DEALLOC_VGPRS)
	s_endpgm
	.section	.rodata,"a",@progbits
	.p2align	6, 0x0
	.amdhsa_kernel _ZL41rocblas_syrkx_herkx_small_restrict_kernelIi19rocblas_complex_numIfELi16ELb1ELb0ELc84ELc76EKPKS1_KPS1_EviT_T0_PT6_S7_lSA_S7_lS8_PT7_S7_li
		.amdhsa_group_segment_fixed_size 4096
		.amdhsa_private_segment_fixed_size 0
		.amdhsa_kernarg_size 100
		.amdhsa_user_sgpr_count 13
		.amdhsa_user_sgpr_dispatch_ptr 0
		.amdhsa_user_sgpr_queue_ptr 0
		.amdhsa_user_sgpr_kernarg_segment_ptr 1
		.amdhsa_user_sgpr_dispatch_id 0
		.amdhsa_user_sgpr_private_segment_size 0
		.amdhsa_wavefront_size32 1
		.amdhsa_uses_dynamic_stack 0
		.amdhsa_enable_private_segment 0
		.amdhsa_system_sgpr_workgroup_id_x 1
		.amdhsa_system_sgpr_workgroup_id_y 1
		.amdhsa_system_sgpr_workgroup_id_z 1
		.amdhsa_system_sgpr_workgroup_info 0
		.amdhsa_system_vgpr_workitem_id 1
		.amdhsa_next_free_vgpr 85
		.amdhsa_next_free_sgpr 16
		.amdhsa_reserve_vcc 1
		.amdhsa_float_round_mode_32 0
		.amdhsa_float_round_mode_16_64 0
		.amdhsa_float_denorm_mode_32 3
		.amdhsa_float_denorm_mode_16_64 3
		.amdhsa_dx10_clamp 1
		.amdhsa_ieee_mode 1
		.amdhsa_fp16_overflow 0
		.amdhsa_workgroup_processor_mode 1
		.amdhsa_memory_ordered 1
		.amdhsa_forward_progress 0
		.amdhsa_shared_vgpr_count 0
		.amdhsa_exception_fp_ieee_invalid_op 0
		.amdhsa_exception_fp_denorm_src 0
		.amdhsa_exception_fp_ieee_div_zero 0
		.amdhsa_exception_fp_ieee_overflow 0
		.amdhsa_exception_fp_ieee_underflow 0
		.amdhsa_exception_fp_ieee_inexact 0
		.amdhsa_exception_int_div_zero 0
	.end_amdhsa_kernel
	.section	.text._ZL41rocblas_syrkx_herkx_small_restrict_kernelIi19rocblas_complex_numIfELi16ELb1ELb0ELc84ELc76EKPKS1_KPS1_EviT_T0_PT6_S7_lSA_S7_lS8_PT7_S7_li,"axG",@progbits,_ZL41rocblas_syrkx_herkx_small_restrict_kernelIi19rocblas_complex_numIfELi16ELb1ELb0ELc84ELc76EKPKS1_KPS1_EviT_T0_PT6_S7_lSA_S7_lS8_PT7_S7_li,comdat
.Lfunc_end654:
	.size	_ZL41rocblas_syrkx_herkx_small_restrict_kernelIi19rocblas_complex_numIfELi16ELb1ELb0ELc84ELc76EKPKS1_KPS1_EviT_T0_PT6_S7_lSA_S7_lS8_PT7_S7_li, .Lfunc_end654-_ZL41rocblas_syrkx_herkx_small_restrict_kernelIi19rocblas_complex_numIfELi16ELb1ELb0ELc84ELc76EKPKS1_KPS1_EviT_T0_PT6_S7_lSA_S7_lS8_PT7_S7_li
                                        ; -- End function
	.section	.AMDGPU.csdata,"",@progbits
; Kernel info:
; codeLenInByte = 1212
; NumSgprs: 18
; NumVgprs: 85
; ScratchSize: 0
; MemoryBound: 0
; FloatMode: 240
; IeeeMode: 1
; LDSByteSize: 4096 bytes/workgroup (compile time only)
; SGPRBlocks: 2
; VGPRBlocks: 10
; NumSGPRsForWavesPerEU: 18
; NumVGPRsForWavesPerEU: 85
; Occupancy: 16
; WaveLimiterHint : 1
; COMPUTE_PGM_RSRC2:SCRATCH_EN: 0
; COMPUTE_PGM_RSRC2:USER_SGPR: 13
; COMPUTE_PGM_RSRC2:TRAP_HANDLER: 0
; COMPUTE_PGM_RSRC2:TGID_X_EN: 1
; COMPUTE_PGM_RSRC2:TGID_Y_EN: 1
; COMPUTE_PGM_RSRC2:TGID_Z_EN: 1
; COMPUTE_PGM_RSRC2:TIDIG_COMP_CNT: 1
	.section	.text._ZL41rocblas_syrkx_herkx_small_restrict_kernelIi19rocblas_complex_numIfELi16ELb1ELb0ELc67ELc76EKPKS1_KPS1_EviT_T0_PT6_S7_lSA_S7_lS8_PT7_S7_li,"axG",@progbits,_ZL41rocblas_syrkx_herkx_small_restrict_kernelIi19rocblas_complex_numIfELi16ELb1ELb0ELc67ELc76EKPKS1_KPS1_EviT_T0_PT6_S7_lSA_S7_lS8_PT7_S7_li,comdat
	.globl	_ZL41rocblas_syrkx_herkx_small_restrict_kernelIi19rocblas_complex_numIfELi16ELb1ELb0ELc67ELc76EKPKS1_KPS1_EviT_T0_PT6_S7_lSA_S7_lS8_PT7_S7_li ; -- Begin function _ZL41rocblas_syrkx_herkx_small_restrict_kernelIi19rocblas_complex_numIfELi16ELb1ELb0ELc67ELc76EKPKS1_KPS1_EviT_T0_PT6_S7_lSA_S7_lS8_PT7_S7_li
	.p2align	8
	.type	_ZL41rocblas_syrkx_herkx_small_restrict_kernelIi19rocblas_complex_numIfELi16ELb1ELb0ELc67ELc76EKPKS1_KPS1_EviT_T0_PT6_S7_lSA_S7_lS8_PT7_S7_li,@function
_ZL41rocblas_syrkx_herkx_small_restrict_kernelIi19rocblas_complex_numIfELi16ELb1ELb0ELc67ELc76EKPKS1_KPS1_EviT_T0_PT6_S7_lSA_S7_lS8_PT7_S7_li: ; @_ZL41rocblas_syrkx_herkx_small_restrict_kernelIi19rocblas_complex_numIfELi16ELb1ELb0ELc67ELc76EKPKS1_KPS1_EviT_T0_PT6_S7_lSA_S7_lS8_PT7_S7_li
; %bb.0:
	s_load_b64 s[2:3], s[0:1], 0x48
	s_mov_b32 s8, s15
	s_mov_b32 s9, 0
	v_dual_mov_b32 v11, 0 :: v_dual_and_b32 v2, 0x3ff, v0
	s_lshl_b64 s[10:11], s[8:9], 3
	s_load_b32 s8, s[0:1], 0x4
	v_bfe_u32 v1, v0, 10, 10
	s_delay_alu instid0(VALU_DEP_2) | instskip(SKIP_1) | instid1(VALU_DEP_3)
	v_lshl_add_u32 v0, s13, 4, v2
	v_mov_b32_e32 v10, 0
	v_lshl_add_u32 v5, s14, 4, v1
	s_waitcnt lgkmcnt(0)
	s_add_u32 s2, s2, s10
	s_addc_u32 s3, s3, s11
	s_load_b128 s[4:7], s[0:1], 0x8
	s_load_b64 s[2:3], s[2:3], 0x0
	s_cmp_lt_i32 s8, 1
	s_cbranch_scc1 .LBB655_3
; %bb.1:
	s_clause 0x2
	s_load_b64 s[12:13], s[0:1], 0x28
	s_load_b32 s14, s[0:1], 0x18
	s_load_b32 s15, s[0:1], 0x30
	v_lshlrev_b32_e32 v8, 7, v1
	v_lshlrev_b32_e32 v6, 3, v2
	v_dual_mov_b32 v10, 0 :: v_dual_lshlrev_b32 v13, 3, v1
	s_waitcnt lgkmcnt(0)
	s_add_u32 s12, s12, s10
	s_addc_u32 s13, s13, s11
	s_add_u32 s6, s6, s10
	s_addc_u32 s7, s7, s11
	v_mad_i64_i32 v[3:4], null, s14, v0, 0
	s_load_b64 s[6:7], s[6:7], 0x0
	v_mad_i64_i32 v[11:12], null, s15, v5, 0
	s_load_b64 s[10:11], s[12:13], 0x0
	s_delay_alu instid0(VALU_DEP_2) | instskip(NEXT) | instid1(VALU_DEP_2)
	v_lshlrev_b64 v[1:2], 3, v[3:4]
	v_lshlrev_b64 v[3:4], 3, v[11:12]
	s_delay_alu instid0(VALU_DEP_2) | instskip(NEXT) | instid1(VALU_DEP_3)
	v_add_co_u32 v1, vcc_lo, v1, v13
	v_add_co_ci_u32_e32 v2, vcc_lo, 0, v2, vcc_lo
	s_delay_alu instid0(VALU_DEP_3) | instskip(NEXT) | instid1(VALU_DEP_4)
	v_add_co_u32 v3, vcc_lo, v3, v6
	v_add_co_ci_u32_e32 v4, vcc_lo, 0, v4, vcc_lo
	s_waitcnt lgkmcnt(0)
	v_add_co_u32 v11, vcc_lo, v1, s6
	v_add_co_ci_u32_e32 v12, vcc_lo, s7, v2, vcc_lo
	v_add_co_u32 v1, vcc_lo, s10, v3
	v_add_co_ci_u32_e32 v2, vcc_lo, s11, v4, vcc_lo
	s_delay_alu instid0(VALU_DEP_4) | instskip(SKIP_4) | instid1(VALU_DEP_3)
	v_add_co_u32 v3, vcc_lo, v11, 4
	v_mov_b32_e32 v11, 0
	v_add_nc_u32_e32 v7, 0x800, v8
	v_add_nc_u32_e32 v8, v6, v8
	v_add_co_ci_u32_e32 v4, vcc_lo, 0, v12, vcc_lo
	v_add_nc_u32_e32 v9, v7, v6
.LBB655_2:                              ; =>This Inner Loop Header: Depth=1
	global_load_b64 v[12:13], v[3:4], off offset:-4
	global_load_b64 v[14:15], v[1:2], off
	v_add_co_u32 v1, vcc_lo, 0x80, v1
	v_add_co_ci_u32_e32 v2, vcc_lo, 0, v2, vcc_lo
	v_add_co_u32 v3, vcc_lo, 0x80, v3
	v_add_co_ci_u32_e32 v4, vcc_lo, 0, v4, vcc_lo
	s_add_i32 s9, s9, 16
	s_waitcnt vmcnt(1)
	ds_store_b64 v8, v[12:13]
	s_waitcnt vmcnt(0)
	ds_store_b64 v9, v[14:15]
	s_waitcnt lgkmcnt(0)
	s_barrier
	buffer_gl0_inv
	ds_load_2addr_b64 v[12:15], v6 offset1:16
	ds_load_b128 v[16:19], v7
	ds_load_b128 v[20:23], v7 offset:16
	ds_load_2addr_b64 v[24:27], v6 offset0:32 offset1:48
	ds_load_2addr_b64 v[28:31], v6 offset0:64 offset1:80
	ds_load_b128 v[32:35], v7 offset:32
	ds_load_b128 v[36:39], v7 offset:48
	ds_load_2addr_b64 v[40:43], v6 offset0:96 offset1:112
	ds_load_2addr_b64 v[44:47], v6 offset0:128 offset1:144
	;; [unrolled: 1-line block ×3, first 2 shown]
	ds_load_b128 v[52:55], v7 offset:64
	ds_load_b128 v[56:59], v7 offset:80
	ds_load_2addr_b64 v[60:63], v6 offset0:192 offset1:208
	ds_load_2addr_b64 v[64:67], v6 offset0:224 offset1:240
	ds_load_b128 v[68:71], v7 offset:96
	ds_load_b128 v[72:75], v7 offset:112
	s_cmp_lt_i32 s9, s8
	s_waitcnt lgkmcnt(0)
	s_barrier
	buffer_gl0_inv
	v_dual_mul_f32 v76, v17, v13 :: v_dual_mul_f32 v77, v19, v15
	v_mul_f32_e32 v13, v16, v13
	v_dual_mul_f32 v15, v18, v15 :: v_dual_mul_f32 v78, v21, v25
	v_mul_f32_e32 v25, v20, v25
	s_delay_alu instid0(VALU_DEP_4) | instskip(SKIP_1) | instid1(VALU_DEP_4)
	v_fma_f32 v16, v16, v12, -v76
	v_dual_mul_f32 v79, v23, v27 :: v_dual_mul_f32 v80, v33, v29
	v_fmac_f32_e32 v15, v19, v14
	s_delay_alu instid0(VALU_DEP_4) | instskip(SKIP_4) | instid1(VALU_DEP_4)
	v_fmac_f32_e32 v25, v21, v24
	v_fmac_f32_e32 v13, v17, v12
	v_mul_f32_e32 v83, v39, v43
	v_dual_mul_f32 v27, v22, v27 :: v_dual_mul_f32 v82, v37, v41
	v_mul_f32_e32 v43, v38, v43
	v_add_f32_e32 v10, v10, v13
	v_mul_f32_e32 v29, v32, v29
	v_dual_add_f32 v11, v11, v16 :: v_dual_mul_f32 v16, v72, v65
	v_mul_f32_e32 v17, v54, v47
	s_delay_alu instid0(VALU_DEP_4) | instskip(SKIP_1) | instid1(VALU_DEP_3)
	v_add_f32_e32 v10, v10, v15
	v_dual_mul_f32 v81, v35, v31 :: v_dual_mul_f32 v84, v53, v45
	v_dual_fmac_f32 v16, v73, v64 :: v_dual_fmac_f32 v17, v55, v46
	s_delay_alu instid0(VALU_DEP_3) | instskip(SKIP_3) | instid1(VALU_DEP_4)
	v_dual_fmac_f32 v27, v23, v26 :: v_dual_add_f32 v10, v10, v25
	v_mul_f32_e32 v31, v34, v31
	v_mul_f32_e32 v45, v52, v45
	v_fmac_f32_e32 v29, v33, v28
	v_dual_mul_f32 v41, v36, v41 :: v_dual_add_f32 v10, v10, v27
	v_fma_f32 v12, v18, v14, -v77
	v_dual_mul_f32 v18, v57, v49 :: v_dual_fmac_f32 v31, v35, v30
	v_mul_f32_e32 v14, v55, v47
	s_delay_alu instid0(VALU_DEP_4) | instskip(SKIP_3) | instid1(VALU_DEP_4)
	v_add_f32_e32 v10, v10, v29
	v_mul_f32_e32 v19, v56, v49
	v_add_f32_e32 v11, v11, v12
	v_dual_mul_f32 v12, v75, v67 :: v_dual_fmac_f32 v41, v37, v40
	v_add_f32_e32 v10, v10, v31
	v_mul_f32_e32 v47, v59, v51
	v_fmac_f32_e32 v43, v39, v42
	v_mul_f32_e32 v49, v58, v51
	s_delay_alu instid0(VALU_DEP_4) | instskip(SKIP_2) | instid1(VALU_DEP_4)
	v_dual_fmac_f32 v45, v53, v44 :: v_dual_add_f32 v10, v10, v41
	v_mul_f32_e32 v51, v69, v61
	v_fmac_f32_e32 v19, v57, v48
	v_fmac_f32_e32 v49, v59, v50
	v_mul_f32_e32 v23, v70, v63
	v_add_f32_e32 v10, v10, v43
	v_fma_f32 v20, v20, v24, -v78
	v_mul_f32_e32 v15, v74, v67
	v_fma_f32 v21, v22, v26, -v79
	s_delay_alu instid0(VALU_DEP_4) | instskip(SKIP_1) | instid1(VALU_DEP_4)
	v_dual_fmac_f32 v23, v71, v62 :: v_dual_add_f32 v10, v10, v45
	v_fma_f32 v14, v54, v46, -v14
	v_fmac_f32_e32 v15, v75, v66
	v_fma_f32 v18, v56, v48, -v18
	v_mul_f32_e32 v22, v71, v63
	v_add_f32_e32 v10, v10, v17
	v_mul_f32_e32 v61, v68, v61
	v_fma_f32 v17, v68, v60, -v51
	v_fma_f32 v12, v74, v66, -v12
	s_delay_alu instid0(VALU_DEP_3) | instskip(NEXT) | instid1(VALU_DEP_1)
	v_dual_add_f32 v10, v10, v19 :: v_dual_fmac_f32 v61, v69, v60
	v_add_f32_e32 v10, v10, v49
	s_delay_alu instid0(VALU_DEP_1) | instskip(NEXT) | instid1(VALU_DEP_1)
	v_add_f32_e32 v10, v10, v61
	v_dual_mul_f32 v13, v73, v65 :: v_dual_add_f32 v10, v10, v23
	s_delay_alu instid0(VALU_DEP_1) | instskip(NEXT) | instid1(VALU_DEP_2)
	v_fma_f32 v13, v72, v64, -v13
	v_add_f32_e32 v10, v10, v16
	v_add_f32_e32 v11, v11, v20
	v_fma_f32 v20, v32, v28, -v80
	s_delay_alu instid0(VALU_DEP_2) | instskip(SKIP_1) | instid1(VALU_DEP_2)
	v_dual_add_f32 v10, v10, v15 :: v_dual_add_f32 v11, v11, v21
	v_fma_f32 v21, v34, v30, -v81
	v_add_f32_e32 v11, v11, v20
	v_fma_f32 v20, v36, v40, -v82
	s_delay_alu instid0(VALU_DEP_2) | instskip(SKIP_1) | instid1(VALU_DEP_2)
	v_add_f32_e32 v11, v11, v21
	v_fma_f32 v21, v38, v42, -v83
	v_add_f32_e32 v11, v11, v20
	v_fma_f32 v20, v52, v44, -v84
	s_delay_alu instid0(VALU_DEP_2) | instskip(NEXT) | instid1(VALU_DEP_1)
	v_add_f32_e32 v11, v11, v21
	v_add_f32_e32 v11, v11, v20
	s_delay_alu instid0(VALU_DEP_1) | instskip(SKIP_1) | instid1(VALU_DEP_2)
	v_add_f32_e32 v11, v11, v14
	v_fma_f32 v14, v58, v50, -v47
	v_add_f32_e32 v11, v11, v18
	s_delay_alu instid0(VALU_DEP_1) | instskip(SKIP_1) | instid1(VALU_DEP_2)
	v_add_f32_e32 v11, v11, v14
	v_fma_f32 v14, v70, v62, -v22
	v_add_f32_e32 v11, v11, v17
	s_delay_alu instid0(VALU_DEP_1) | instskip(NEXT) | instid1(VALU_DEP_1)
	v_add_f32_e32 v11, v11, v14
	v_add_f32_e32 v11, v11, v13
	s_delay_alu instid0(VALU_DEP_1)
	v_add_f32_e32 v11, v11, v12
	s_cbranch_scc1 .LBB655_2
.LBB655_3:
	s_waitcnt lgkmcnt(0)
	s_mov_b32 s6, exec_lo
	v_cmpx_le_i32_e64 v5, v0
	s_cbranch_execz .LBB655_5
; %bb.4:
	s_load_b32 s0, s[0:1], 0x50
	v_ashrrev_i32_e32 v1, 31, v0
	s_delay_alu instid0(VALU_DEP_1) | instskip(SKIP_3) | instid1(VALU_DEP_1)
	v_lshlrev_b64 v[0:1], 3, v[0:1]
	s_waitcnt lgkmcnt(0)
	v_mad_i64_i32 v[2:3], null, s0, v5, 0
	v_mul_f32_e32 v5, s4, v10
	v_dual_mul_f32 v4, s5, v10 :: v_dual_fmac_f32 v5, s5, v11
	s_delay_alu instid0(VALU_DEP_3) | instskip(NEXT) | instid1(VALU_DEP_2)
	v_lshlrev_b64 v[2:3], 3, v[2:3]
	v_fma_f32 v4, v11, s4, -v4
	s_delay_alu instid0(VALU_DEP_2) | instskip(NEXT) | instid1(VALU_DEP_3)
	v_add_co_u32 v2, vcc_lo, s2, v2
	v_add_co_ci_u32_e32 v3, vcc_lo, s3, v3, vcc_lo
	s_delay_alu instid0(VALU_DEP_2) | instskip(NEXT) | instid1(VALU_DEP_2)
	v_add_co_u32 v0, vcc_lo, v2, v0
	v_add_co_ci_u32_e32 v1, vcc_lo, v3, v1, vcc_lo
	global_store_b64 v[0:1], v[4:5], off
.LBB655_5:
	s_nop 0
	s_sendmsg sendmsg(MSG_DEALLOC_VGPRS)
	s_endpgm
	.section	.rodata,"a",@progbits
	.p2align	6, 0x0
	.amdhsa_kernel _ZL41rocblas_syrkx_herkx_small_restrict_kernelIi19rocblas_complex_numIfELi16ELb1ELb0ELc67ELc76EKPKS1_KPS1_EviT_T0_PT6_S7_lSA_S7_lS8_PT7_S7_li
		.amdhsa_group_segment_fixed_size 4096
		.amdhsa_private_segment_fixed_size 0
		.amdhsa_kernarg_size 100
		.amdhsa_user_sgpr_count 13
		.amdhsa_user_sgpr_dispatch_ptr 0
		.amdhsa_user_sgpr_queue_ptr 0
		.amdhsa_user_sgpr_kernarg_segment_ptr 1
		.amdhsa_user_sgpr_dispatch_id 0
		.amdhsa_user_sgpr_private_segment_size 0
		.amdhsa_wavefront_size32 1
		.amdhsa_uses_dynamic_stack 0
		.amdhsa_enable_private_segment 0
		.amdhsa_system_sgpr_workgroup_id_x 1
		.amdhsa_system_sgpr_workgroup_id_y 1
		.amdhsa_system_sgpr_workgroup_id_z 1
		.amdhsa_system_sgpr_workgroup_info 0
		.amdhsa_system_vgpr_workitem_id 1
		.amdhsa_next_free_vgpr 85
		.amdhsa_next_free_sgpr 16
		.amdhsa_reserve_vcc 1
		.amdhsa_float_round_mode_32 0
		.amdhsa_float_round_mode_16_64 0
		.amdhsa_float_denorm_mode_32 3
		.amdhsa_float_denorm_mode_16_64 3
		.amdhsa_dx10_clamp 1
		.amdhsa_ieee_mode 1
		.amdhsa_fp16_overflow 0
		.amdhsa_workgroup_processor_mode 1
		.amdhsa_memory_ordered 1
		.amdhsa_forward_progress 0
		.amdhsa_shared_vgpr_count 0
		.amdhsa_exception_fp_ieee_invalid_op 0
		.amdhsa_exception_fp_denorm_src 0
		.amdhsa_exception_fp_ieee_div_zero 0
		.amdhsa_exception_fp_ieee_overflow 0
		.amdhsa_exception_fp_ieee_underflow 0
		.amdhsa_exception_fp_ieee_inexact 0
		.amdhsa_exception_int_div_zero 0
	.end_amdhsa_kernel
	.section	.text._ZL41rocblas_syrkx_herkx_small_restrict_kernelIi19rocblas_complex_numIfELi16ELb1ELb0ELc67ELc76EKPKS1_KPS1_EviT_T0_PT6_S7_lSA_S7_lS8_PT7_S7_li,"axG",@progbits,_ZL41rocblas_syrkx_herkx_small_restrict_kernelIi19rocblas_complex_numIfELi16ELb1ELb0ELc67ELc76EKPKS1_KPS1_EviT_T0_PT6_S7_lSA_S7_lS8_PT7_S7_li,comdat
.Lfunc_end655:
	.size	_ZL41rocblas_syrkx_herkx_small_restrict_kernelIi19rocblas_complex_numIfELi16ELb1ELb0ELc67ELc76EKPKS1_KPS1_EviT_T0_PT6_S7_lSA_S7_lS8_PT7_S7_li, .Lfunc_end655-_ZL41rocblas_syrkx_herkx_small_restrict_kernelIi19rocblas_complex_numIfELi16ELb1ELb0ELc67ELc76EKPKS1_KPS1_EviT_T0_PT6_S7_lSA_S7_lS8_PT7_S7_li
                                        ; -- End function
	.section	.AMDGPU.csdata,"",@progbits
; Kernel info:
; codeLenInByte = 1220
; NumSgprs: 18
; NumVgprs: 85
; ScratchSize: 0
; MemoryBound: 0
; FloatMode: 240
; IeeeMode: 1
; LDSByteSize: 4096 bytes/workgroup (compile time only)
; SGPRBlocks: 2
; VGPRBlocks: 10
; NumSGPRsForWavesPerEU: 18
; NumVGPRsForWavesPerEU: 85
; Occupancy: 16
; WaveLimiterHint : 1
; COMPUTE_PGM_RSRC2:SCRATCH_EN: 0
; COMPUTE_PGM_RSRC2:USER_SGPR: 13
; COMPUTE_PGM_RSRC2:TRAP_HANDLER: 0
; COMPUTE_PGM_RSRC2:TGID_X_EN: 1
; COMPUTE_PGM_RSRC2:TGID_Y_EN: 1
; COMPUTE_PGM_RSRC2:TGID_Z_EN: 1
; COMPUTE_PGM_RSRC2:TIDIG_COMP_CNT: 1
	.section	.text._ZL41rocblas_syrkx_herkx_small_restrict_kernelIi19rocblas_complex_numIfELi16ELb1ELb0ELc78ELc76EKPKS1_KPS1_EviT_T0_PT6_S7_lSA_S7_lS8_PT7_S7_li,"axG",@progbits,_ZL41rocblas_syrkx_herkx_small_restrict_kernelIi19rocblas_complex_numIfELi16ELb1ELb0ELc78ELc76EKPKS1_KPS1_EviT_T0_PT6_S7_lSA_S7_lS8_PT7_S7_li,comdat
	.globl	_ZL41rocblas_syrkx_herkx_small_restrict_kernelIi19rocblas_complex_numIfELi16ELb1ELb0ELc78ELc76EKPKS1_KPS1_EviT_T0_PT6_S7_lSA_S7_lS8_PT7_S7_li ; -- Begin function _ZL41rocblas_syrkx_herkx_small_restrict_kernelIi19rocblas_complex_numIfELi16ELb1ELb0ELc78ELc76EKPKS1_KPS1_EviT_T0_PT6_S7_lSA_S7_lS8_PT7_S7_li
	.p2align	8
	.type	_ZL41rocblas_syrkx_herkx_small_restrict_kernelIi19rocblas_complex_numIfELi16ELb1ELb0ELc78ELc76EKPKS1_KPS1_EviT_T0_PT6_S7_lSA_S7_lS8_PT7_S7_li,@function
_ZL41rocblas_syrkx_herkx_small_restrict_kernelIi19rocblas_complex_numIfELi16ELb1ELb0ELc78ELc76EKPKS1_KPS1_EviT_T0_PT6_S7_lSA_S7_lS8_PT7_S7_li: ; @_ZL41rocblas_syrkx_herkx_small_restrict_kernelIi19rocblas_complex_numIfELi16ELb1ELb0ELc78ELc76EKPKS1_KPS1_EviT_T0_PT6_S7_lSA_S7_lS8_PT7_S7_li
; %bb.0:
	s_load_b64 s[2:3], s[0:1], 0x48
	s_mov_b32 s8, s15
	s_mov_b32 s9, 0
	v_dual_mov_b32 v12, 0 :: v_dual_and_b32 v5, 0x3ff, v0
	s_lshl_b64 s[10:11], s[8:9], 3
	s_load_b32 s8, s[0:1], 0x4
	v_bfe_u32 v4, v0, 10, 10
	s_delay_alu instid0(VALU_DEP_2) | instskip(SKIP_1) | instid1(VALU_DEP_3)
	v_lshl_add_u32 v0, s13, 4, v5
	v_mov_b32_e32 v11, 0
	v_lshl_add_u32 v2, s14, 4, v4
	s_delay_alu instid0(VALU_DEP_3)
	v_ashrrev_i32_e32 v1, 31, v0
	s_waitcnt lgkmcnt(0)
	s_add_u32 s2, s2, s10
	s_addc_u32 s3, s3, s11
	s_load_b128 s[4:7], s[0:1], 0x8
	s_load_b64 s[2:3], s[2:3], 0x0
	s_cmp_lt_i32 s8, 1
	s_cbranch_scc1 .LBB656_3
; %bb.1:
	s_clause 0x2
	s_load_b32 s12, s[0:1], 0x18
	s_load_b32 s14, s[0:1], 0x30
	s_load_b64 s[16:17], s[0:1], 0x28
	v_lshlrev_b32_e32 v7, 3, v5
	v_ashrrev_i32_e32 v3, 31, v2
	v_dual_mov_b32 v11, 0 :: v_dual_lshlrev_b32 v16, 7, v4
	v_lshlrev_b64 v[12:13], 3, v[0:1]
	s_delay_alu instid0(VALU_DEP_2)
	v_add_nc_u32_e32 v8, 0x800, v16
	s_waitcnt lgkmcnt(0)
	s_ashr_i32 s13, s12, 31
	s_ashr_i32 s15, s14, 31
	s_add_u32 s16, s16, s10
	s_addc_u32 s17, s17, s11
	v_mad_i64_i32 v[9:10], null, s14, v5, 0
	s_load_b64 s[16:17], s[16:17], 0x0
	s_add_u32 s6, s6, s10
	s_addc_u32 s7, s7, s11
	v_mad_i64_i32 v[5:6], null, s12, v4, 0
	s_load_b64 s[6:7], s[6:7], 0x0
	v_lshlrev_b64 v[3:4], 3, v[2:3]
	s_delay_alu instid0(VALU_DEP_3) | instskip(SKIP_1) | instid1(VALU_DEP_3)
	v_lshlrev_b64 v[14:15], 3, v[9:10]
	s_lshl_b64 s[10:11], s[12:13], 7
	v_lshlrev_b64 v[5:6], 3, v[5:6]
	s_delay_alu instid0(VALU_DEP_2) | instskip(NEXT) | instid1(VALU_DEP_3)
	v_add_co_u32 v3, vcc_lo, v14, v3
	v_add_co_ci_u32_e32 v4, vcc_lo, v15, v4, vcc_lo
	s_delay_alu instid0(VALU_DEP_3) | instskip(NEXT) | instid1(VALU_DEP_4)
	v_add_co_u32 v5, vcc_lo, v5, v12
	v_add_co_ci_u32_e32 v6, vcc_lo, v6, v13, vcc_lo
	s_waitcnt lgkmcnt(0)
	v_add_co_u32 v12, vcc_lo, v3, s16
	v_add_co_ci_u32_e32 v13, vcc_lo, s17, v4, vcc_lo
	v_add_co_u32 v3, vcc_lo, s6, v5
	v_add_co_ci_u32_e32 v4, vcc_lo, s7, v6, vcc_lo
	s_delay_alu instid0(VALU_DEP_4) | instskip(NEXT) | instid1(VALU_DEP_4)
	v_add_co_u32 v5, vcc_lo, v12, 4
	v_add_co_ci_u32_e32 v6, vcc_lo, 0, v13, vcc_lo
	v_dual_mov_b32 v12, 0 :: v_dual_add_nc_u32 v9, v7, v16
	v_add_nc_u32_e32 v10, v8, v7
	s_lshl_b64 s[6:7], s[14:15], 7
.LBB656_2:                              ; =>This Inner Loop Header: Depth=1
	global_load_b64 v[13:14], v[3:4], off
	global_load_b64 v[15:16], v[5:6], off offset:-4
	v_add_co_u32 v5, vcc_lo, v5, s6
	v_add_co_ci_u32_e32 v6, vcc_lo, s7, v6, vcc_lo
	v_add_co_u32 v3, vcc_lo, v3, s10
	v_add_co_ci_u32_e32 v4, vcc_lo, s11, v4, vcc_lo
	s_add_i32 s9, s9, 16
	s_waitcnt vmcnt(1)
	ds_store_b64 v9, v[13:14]
	s_waitcnt vmcnt(0)
	ds_store_b64 v10, v[15:16]
	s_waitcnt lgkmcnt(0)
	s_barrier
	buffer_gl0_inv
	ds_load_2addr_b64 v[13:16], v7 offset1:16
	ds_load_b128 v[17:20], v8
	ds_load_b128 v[21:24], v8 offset:16
	ds_load_2addr_b64 v[25:28], v7 offset0:32 offset1:48
	ds_load_2addr_b64 v[29:32], v7 offset0:64 offset1:80
	ds_load_b128 v[33:36], v8 offset:32
	ds_load_b128 v[37:40], v8 offset:48
	ds_load_2addr_b64 v[41:44], v7 offset0:96 offset1:112
	ds_load_2addr_b64 v[45:48], v7 offset0:128 offset1:144
	;; [unrolled: 1-line block ×3, first 2 shown]
	ds_load_b128 v[53:56], v8 offset:64
	ds_load_b128 v[57:60], v8 offset:80
	ds_load_2addr_b64 v[61:64], v7 offset0:192 offset1:208
	ds_load_2addr_b64 v[65:68], v7 offset0:224 offset1:240
	ds_load_b128 v[69:72], v8 offset:96
	ds_load_b128 v[73:76], v8 offset:112
	s_cmp_lt_i32 s9, s8
	s_waitcnt lgkmcnt(0)
	s_barrier
	buffer_gl0_inv
	v_dual_mul_f32 v77, v18, v14 :: v_dual_mul_f32 v78, v20, v16
	v_mul_f32_e32 v14, v17, v14
	v_dual_mul_f32 v16, v19, v16 :: v_dual_mul_f32 v79, v22, v26
	v_mul_f32_e32 v26, v21, v26
	s_delay_alu instid0(VALU_DEP_4) | instskip(SKIP_1) | instid1(VALU_DEP_4)
	v_fma_f32 v17, v17, v13, -v77
	v_dual_mul_f32 v80, v24, v28 :: v_dual_mul_f32 v81, v34, v30
	v_fmac_f32_e32 v16, v20, v15
	s_delay_alu instid0(VALU_DEP_4) | instskip(SKIP_4) | instid1(VALU_DEP_4)
	v_fmac_f32_e32 v26, v22, v25
	v_fmac_f32_e32 v14, v18, v13
	v_mul_f32_e32 v84, v40, v44
	v_dual_mul_f32 v28, v23, v28 :: v_dual_mul_f32 v83, v38, v42
	v_mul_f32_e32 v44, v39, v44
	v_add_f32_e32 v11, v11, v14
	v_mul_f32_e32 v30, v33, v30
	v_dual_add_f32 v12, v12, v17 :: v_dual_mul_f32 v17, v73, v66
	v_mul_f32_e32 v18, v55, v48
	s_delay_alu instid0(VALU_DEP_4) | instskip(SKIP_1) | instid1(VALU_DEP_3)
	v_add_f32_e32 v11, v11, v16
	v_dual_mul_f32 v82, v36, v32 :: v_dual_mul_f32 v85, v54, v46
	v_dual_fmac_f32 v17, v74, v65 :: v_dual_fmac_f32 v18, v56, v47
	s_delay_alu instid0(VALU_DEP_3) | instskip(SKIP_3) | instid1(VALU_DEP_4)
	v_dual_fmac_f32 v28, v24, v27 :: v_dual_add_f32 v11, v11, v26
	v_mul_f32_e32 v32, v35, v32
	v_mul_f32_e32 v46, v53, v46
	v_fmac_f32_e32 v30, v34, v29
	v_dual_mul_f32 v42, v37, v42 :: v_dual_add_f32 v11, v11, v28
	v_fma_f32 v13, v19, v15, -v78
	v_dual_mul_f32 v19, v58, v50 :: v_dual_fmac_f32 v32, v36, v31
	v_mul_f32_e32 v15, v56, v48
	s_delay_alu instid0(VALU_DEP_4) | instskip(SKIP_3) | instid1(VALU_DEP_4)
	v_add_f32_e32 v11, v11, v30
	v_mul_f32_e32 v20, v57, v50
	v_add_f32_e32 v12, v12, v13
	v_dual_mul_f32 v13, v76, v68 :: v_dual_fmac_f32 v42, v38, v41
	v_add_f32_e32 v11, v11, v32
	v_mul_f32_e32 v48, v60, v52
	v_fmac_f32_e32 v44, v40, v43
	v_mul_f32_e32 v50, v59, v52
	s_delay_alu instid0(VALU_DEP_4) | instskip(SKIP_2) | instid1(VALU_DEP_4)
	v_dual_fmac_f32 v46, v54, v45 :: v_dual_add_f32 v11, v11, v42
	v_mul_f32_e32 v52, v70, v62
	v_fmac_f32_e32 v20, v58, v49
	v_fmac_f32_e32 v50, v60, v51
	v_mul_f32_e32 v24, v71, v64
	v_add_f32_e32 v11, v11, v44
	v_fma_f32 v21, v21, v25, -v79
	v_mul_f32_e32 v16, v75, v68
	v_fma_f32 v22, v23, v27, -v80
	s_delay_alu instid0(VALU_DEP_4) | instskip(SKIP_1) | instid1(VALU_DEP_4)
	v_dual_fmac_f32 v24, v72, v63 :: v_dual_add_f32 v11, v11, v46
	v_fma_f32 v15, v55, v47, -v15
	v_fmac_f32_e32 v16, v76, v67
	v_fma_f32 v19, v57, v49, -v19
	v_mul_f32_e32 v23, v72, v64
	v_add_f32_e32 v11, v11, v18
	v_mul_f32_e32 v62, v69, v62
	v_fma_f32 v18, v69, v61, -v52
	v_fma_f32 v13, v75, v67, -v13
	s_delay_alu instid0(VALU_DEP_3) | instskip(NEXT) | instid1(VALU_DEP_1)
	v_dual_add_f32 v11, v11, v20 :: v_dual_fmac_f32 v62, v70, v61
	v_add_f32_e32 v11, v11, v50
	s_delay_alu instid0(VALU_DEP_1) | instskip(NEXT) | instid1(VALU_DEP_1)
	v_add_f32_e32 v11, v11, v62
	v_dual_mul_f32 v14, v74, v66 :: v_dual_add_f32 v11, v11, v24
	s_delay_alu instid0(VALU_DEP_1) | instskip(NEXT) | instid1(VALU_DEP_2)
	v_fma_f32 v14, v73, v65, -v14
	v_add_f32_e32 v11, v11, v17
	v_add_f32_e32 v12, v12, v21
	v_fma_f32 v21, v33, v29, -v81
	s_delay_alu instid0(VALU_DEP_2) | instskip(SKIP_1) | instid1(VALU_DEP_2)
	v_dual_add_f32 v11, v11, v16 :: v_dual_add_f32 v12, v12, v22
	v_fma_f32 v22, v35, v31, -v82
	v_add_f32_e32 v12, v12, v21
	v_fma_f32 v21, v37, v41, -v83
	s_delay_alu instid0(VALU_DEP_2) | instskip(SKIP_1) | instid1(VALU_DEP_2)
	v_add_f32_e32 v12, v12, v22
	v_fma_f32 v22, v39, v43, -v84
	v_add_f32_e32 v12, v12, v21
	v_fma_f32 v21, v53, v45, -v85
	s_delay_alu instid0(VALU_DEP_2) | instskip(NEXT) | instid1(VALU_DEP_1)
	v_add_f32_e32 v12, v12, v22
	v_add_f32_e32 v12, v12, v21
	s_delay_alu instid0(VALU_DEP_1) | instskip(SKIP_1) | instid1(VALU_DEP_2)
	v_add_f32_e32 v12, v12, v15
	v_fma_f32 v15, v59, v51, -v48
	v_add_f32_e32 v12, v12, v19
	s_delay_alu instid0(VALU_DEP_1) | instskip(SKIP_1) | instid1(VALU_DEP_2)
	v_add_f32_e32 v12, v12, v15
	v_fma_f32 v15, v71, v63, -v23
	v_add_f32_e32 v12, v12, v18
	s_delay_alu instid0(VALU_DEP_1) | instskip(NEXT) | instid1(VALU_DEP_1)
	v_add_f32_e32 v12, v12, v15
	v_add_f32_e32 v12, v12, v14
	s_delay_alu instid0(VALU_DEP_1)
	v_add_f32_e32 v12, v12, v13
	s_cbranch_scc1 .LBB656_2
.LBB656_3:
	s_waitcnt lgkmcnt(0)
	s_mov_b32 s6, exec_lo
	v_cmpx_le_i32_e64 v2, v0
	s_cbranch_execz .LBB656_5
; %bb.4:
	s_load_b32 s0, s[0:1], 0x50
	v_lshlrev_b64 v[0:1], 3, v[0:1]
	v_mul_f32_e32 v5, s4, v11
	s_delay_alu instid0(VALU_DEP_1) | instskip(SKIP_2) | instid1(VALU_DEP_1)
	v_dual_mul_f32 v6, s5, v11 :: v_dual_fmac_f32 v5, s5, v12
	s_waitcnt lgkmcnt(0)
	v_mad_i64_i32 v[3:4], null, s0, v2, 0
	v_lshlrev_b64 v[2:3], 3, v[3:4]
	s_delay_alu instid0(VALU_DEP_3) | instskip(NEXT) | instid1(VALU_DEP_2)
	v_fma_f32 v4, v12, s4, -v6
	v_add_co_u32 v2, vcc_lo, s2, v2
	s_delay_alu instid0(VALU_DEP_3) | instskip(NEXT) | instid1(VALU_DEP_2)
	v_add_co_ci_u32_e32 v3, vcc_lo, s3, v3, vcc_lo
	v_add_co_u32 v0, vcc_lo, v2, v0
	s_delay_alu instid0(VALU_DEP_2)
	v_add_co_ci_u32_e32 v1, vcc_lo, v3, v1, vcc_lo
	global_store_b64 v[0:1], v[4:5], off
.LBB656_5:
	s_nop 0
	s_sendmsg sendmsg(MSG_DEALLOC_VGPRS)
	s_endpgm
	.section	.rodata,"a",@progbits
	.p2align	6, 0x0
	.amdhsa_kernel _ZL41rocblas_syrkx_herkx_small_restrict_kernelIi19rocblas_complex_numIfELi16ELb1ELb0ELc78ELc76EKPKS1_KPS1_EviT_T0_PT6_S7_lSA_S7_lS8_PT7_S7_li
		.amdhsa_group_segment_fixed_size 4096
		.amdhsa_private_segment_fixed_size 0
		.amdhsa_kernarg_size 100
		.amdhsa_user_sgpr_count 13
		.amdhsa_user_sgpr_dispatch_ptr 0
		.amdhsa_user_sgpr_queue_ptr 0
		.amdhsa_user_sgpr_kernarg_segment_ptr 1
		.amdhsa_user_sgpr_dispatch_id 0
		.amdhsa_user_sgpr_private_segment_size 0
		.amdhsa_wavefront_size32 1
		.amdhsa_uses_dynamic_stack 0
		.amdhsa_enable_private_segment 0
		.amdhsa_system_sgpr_workgroup_id_x 1
		.amdhsa_system_sgpr_workgroup_id_y 1
		.amdhsa_system_sgpr_workgroup_id_z 1
		.amdhsa_system_sgpr_workgroup_info 0
		.amdhsa_system_vgpr_workitem_id 1
		.amdhsa_next_free_vgpr 86
		.amdhsa_next_free_sgpr 18
		.amdhsa_reserve_vcc 1
		.amdhsa_float_round_mode_32 0
		.amdhsa_float_round_mode_16_64 0
		.amdhsa_float_denorm_mode_32 3
		.amdhsa_float_denorm_mode_16_64 3
		.amdhsa_dx10_clamp 1
		.amdhsa_ieee_mode 1
		.amdhsa_fp16_overflow 0
		.amdhsa_workgroup_processor_mode 1
		.amdhsa_memory_ordered 1
		.amdhsa_forward_progress 0
		.amdhsa_shared_vgpr_count 0
		.amdhsa_exception_fp_ieee_invalid_op 0
		.amdhsa_exception_fp_denorm_src 0
		.amdhsa_exception_fp_ieee_div_zero 0
		.amdhsa_exception_fp_ieee_overflow 0
		.amdhsa_exception_fp_ieee_underflow 0
		.amdhsa_exception_fp_ieee_inexact 0
		.amdhsa_exception_int_div_zero 0
	.end_amdhsa_kernel
	.section	.text._ZL41rocblas_syrkx_herkx_small_restrict_kernelIi19rocblas_complex_numIfELi16ELb1ELb0ELc78ELc76EKPKS1_KPS1_EviT_T0_PT6_S7_lSA_S7_lS8_PT7_S7_li,"axG",@progbits,_ZL41rocblas_syrkx_herkx_small_restrict_kernelIi19rocblas_complex_numIfELi16ELb1ELb0ELc78ELc76EKPKS1_KPS1_EviT_T0_PT6_S7_lSA_S7_lS8_PT7_S7_li,comdat
.Lfunc_end656:
	.size	_ZL41rocblas_syrkx_herkx_small_restrict_kernelIi19rocblas_complex_numIfELi16ELb1ELb0ELc78ELc76EKPKS1_KPS1_EviT_T0_PT6_S7_lSA_S7_lS8_PT7_S7_li, .Lfunc_end656-_ZL41rocblas_syrkx_herkx_small_restrict_kernelIi19rocblas_complex_numIfELi16ELb1ELb0ELc78ELc76EKPKS1_KPS1_EviT_T0_PT6_S7_lSA_S7_lS8_PT7_S7_li
                                        ; -- End function
	.section	.AMDGPU.csdata,"",@progbits
; Kernel info:
; codeLenInByte = 1252
; NumSgprs: 20
; NumVgprs: 86
; ScratchSize: 0
; MemoryBound: 0
; FloatMode: 240
; IeeeMode: 1
; LDSByteSize: 4096 bytes/workgroup (compile time only)
; SGPRBlocks: 2
; VGPRBlocks: 10
; NumSGPRsForWavesPerEU: 20
; NumVGPRsForWavesPerEU: 86
; Occupancy: 16
; WaveLimiterHint : 1
; COMPUTE_PGM_RSRC2:SCRATCH_EN: 0
; COMPUTE_PGM_RSRC2:USER_SGPR: 13
; COMPUTE_PGM_RSRC2:TRAP_HANDLER: 0
; COMPUTE_PGM_RSRC2:TGID_X_EN: 1
; COMPUTE_PGM_RSRC2:TGID_Y_EN: 1
; COMPUTE_PGM_RSRC2:TGID_Z_EN: 1
; COMPUTE_PGM_RSRC2:TIDIG_COMP_CNT: 1
	.section	.text._ZL41rocblas_syrkx_herkx_small_restrict_kernelIi19rocblas_complex_numIfELi16ELb1ELb0ELc84ELc85EKPKS1_KPS1_EviT_T0_PT6_S7_lSA_S7_lS8_PT7_S7_li,"axG",@progbits,_ZL41rocblas_syrkx_herkx_small_restrict_kernelIi19rocblas_complex_numIfELi16ELb1ELb0ELc84ELc85EKPKS1_KPS1_EviT_T0_PT6_S7_lSA_S7_lS8_PT7_S7_li,comdat
	.globl	_ZL41rocblas_syrkx_herkx_small_restrict_kernelIi19rocblas_complex_numIfELi16ELb1ELb0ELc84ELc85EKPKS1_KPS1_EviT_T0_PT6_S7_lSA_S7_lS8_PT7_S7_li ; -- Begin function _ZL41rocblas_syrkx_herkx_small_restrict_kernelIi19rocblas_complex_numIfELi16ELb1ELb0ELc84ELc85EKPKS1_KPS1_EviT_T0_PT6_S7_lSA_S7_lS8_PT7_S7_li
	.p2align	8
	.type	_ZL41rocblas_syrkx_herkx_small_restrict_kernelIi19rocblas_complex_numIfELi16ELb1ELb0ELc84ELc85EKPKS1_KPS1_EviT_T0_PT6_S7_lSA_S7_lS8_PT7_S7_li,@function
_ZL41rocblas_syrkx_herkx_small_restrict_kernelIi19rocblas_complex_numIfELi16ELb1ELb0ELc84ELc85EKPKS1_KPS1_EviT_T0_PT6_S7_lSA_S7_lS8_PT7_S7_li: ; @_ZL41rocblas_syrkx_herkx_small_restrict_kernelIi19rocblas_complex_numIfELi16ELb1ELb0ELc84ELc85EKPKS1_KPS1_EviT_T0_PT6_S7_lSA_S7_lS8_PT7_S7_li
; %bb.0:
	s_load_b64 s[2:3], s[0:1], 0x48
	s_mov_b32 s8, s15
	s_mov_b32 s9, 0
	v_dual_mov_b32 v11, 0 :: v_dual_and_b32 v2, 0x3ff, v0
	s_lshl_b64 s[10:11], s[8:9], 3
	s_load_b32 s8, s[0:1], 0x4
	v_bfe_u32 v1, v0, 10, 10
	s_delay_alu instid0(VALU_DEP_2) | instskip(SKIP_1) | instid1(VALU_DEP_3)
	v_lshl_add_u32 v0, s13, 4, v2
	v_mov_b32_e32 v10, 0
	v_lshl_add_u32 v5, s14, 4, v1
	s_waitcnt lgkmcnt(0)
	s_add_u32 s2, s2, s10
	s_addc_u32 s3, s3, s11
	s_load_b128 s[4:7], s[0:1], 0x8
	s_load_b64 s[2:3], s[2:3], 0x0
	s_cmp_lt_i32 s8, 1
	s_cbranch_scc1 .LBB657_3
; %bb.1:
	s_clause 0x2
	s_load_b64 s[12:13], s[0:1], 0x28
	s_load_b32 s14, s[0:1], 0x30
	s_load_b32 s15, s[0:1], 0x18
	v_lshlrev_b32_e32 v6, 3, v2
	v_lshlrev_b32_e32 v4, 7, v1
	v_dual_mov_b32 v10, 0 :: v_dual_lshlrev_b32 v13, 3, v1
	s_delay_alu instid0(VALU_DEP_2) | instskip(NEXT) | instid1(VALU_DEP_4)
	v_add_nc_u32_e32 v7, 0x800, v4
	v_add_nc_u32_e32 v8, v6, v4
	s_delay_alu instid0(VALU_DEP_2)
	v_add_nc_u32_e32 v9, v7, v6
	s_waitcnt lgkmcnt(0)
	s_add_u32 s12, s12, s10
	s_addc_u32 s13, s13, s11
	v_mad_i64_i32 v[2:3], null, s14, v5, 0
	s_load_b64 s[12:13], s[12:13], 0x0
	s_add_u32 s6, s6, s10
	s_addc_u32 s7, s7, s11
	v_mad_i64_i32 v[11:12], null, s15, v0, 0
	s_load_b64 s[6:7], s[6:7], 0x0
	s_delay_alu instid0(VALU_DEP_2) | instskip(NEXT) | instid1(VALU_DEP_2)
	v_lshlrev_b64 v[1:2], 3, v[2:3]
	v_lshlrev_b64 v[3:4], 3, v[11:12]
	s_delay_alu instid0(VALU_DEP_2) | instskip(NEXT) | instid1(VALU_DEP_3)
	v_add_co_u32 v1, vcc_lo, v1, v6
	v_add_co_ci_u32_e32 v2, vcc_lo, 0, v2, vcc_lo
	v_mov_b32_e32 v11, 0
	s_delay_alu instid0(VALU_DEP_4)
	v_add_co_u32 v3, vcc_lo, v3, v13
	v_add_co_ci_u32_e32 v4, vcc_lo, 0, v4, vcc_lo
	s_waitcnt lgkmcnt(0)
	v_add_co_u32 v1, vcc_lo, s12, v1
	v_add_co_ci_u32_e32 v2, vcc_lo, s13, v2, vcc_lo
	v_add_co_u32 v3, vcc_lo, s6, v3
	v_add_co_ci_u32_e32 v4, vcc_lo, s7, v4, vcc_lo
.LBB657_2:                              ; =>This Inner Loop Header: Depth=1
	global_load_b64 v[12:13], v[3:4], off
	global_load_b64 v[14:15], v[1:2], off
	v_add_co_u32 v1, vcc_lo, 0x80, v1
	v_add_co_ci_u32_e32 v2, vcc_lo, 0, v2, vcc_lo
	v_add_co_u32 v3, vcc_lo, 0x80, v3
	v_add_co_ci_u32_e32 v4, vcc_lo, 0, v4, vcc_lo
	s_add_i32 s9, s9, 16
	s_waitcnt vmcnt(1)
	ds_store_b64 v8, v[12:13]
	s_waitcnt vmcnt(0)
	ds_store_b64 v9, v[14:15]
	s_waitcnt lgkmcnt(0)
	s_barrier
	buffer_gl0_inv
	ds_load_2addr_b64 v[12:15], v6 offset1:16
	ds_load_b128 v[16:19], v7
	ds_load_b128 v[20:23], v7 offset:16
	ds_load_2addr_b64 v[24:27], v6 offset0:32 offset1:48
	ds_load_2addr_b64 v[28:31], v6 offset0:64 offset1:80
	ds_load_b128 v[32:35], v7 offset:32
	ds_load_b128 v[36:39], v7 offset:48
	ds_load_2addr_b64 v[40:43], v6 offset0:96 offset1:112
	ds_load_2addr_b64 v[44:47], v6 offset0:128 offset1:144
	;; [unrolled: 1-line block ×3, first 2 shown]
	ds_load_b128 v[52:55], v7 offset:64
	ds_load_b128 v[56:59], v7 offset:80
	ds_load_2addr_b64 v[60:63], v6 offset0:192 offset1:208
	ds_load_2addr_b64 v[64:67], v6 offset0:224 offset1:240
	ds_load_b128 v[68:71], v7 offset:96
	ds_load_b128 v[72:75], v7 offset:112
	s_cmp_lt_i32 s9, s8
	s_waitcnt lgkmcnt(0)
	s_barrier
	buffer_gl0_inv
	v_dual_mul_f32 v76, v17, v13 :: v_dual_mul_f32 v77, v19, v15
	v_mul_f32_e32 v13, v16, v13
	v_dual_mul_f32 v15, v18, v15 :: v_dual_mul_f32 v78, v21, v25
	v_mul_f32_e32 v25, v20, v25
	s_delay_alu instid0(VALU_DEP_4) | instskip(SKIP_1) | instid1(VALU_DEP_4)
	v_fma_f32 v16, v16, v12, -v76
	v_dual_mul_f32 v79, v23, v27 :: v_dual_mul_f32 v80, v33, v29
	v_fmac_f32_e32 v15, v19, v14
	s_delay_alu instid0(VALU_DEP_4) | instskip(SKIP_4) | instid1(VALU_DEP_4)
	v_fmac_f32_e32 v25, v21, v24
	v_fmac_f32_e32 v13, v17, v12
	v_mul_f32_e32 v83, v39, v43
	v_dual_mul_f32 v27, v22, v27 :: v_dual_mul_f32 v82, v37, v41
	v_mul_f32_e32 v43, v38, v43
	v_add_f32_e32 v10, v10, v13
	v_mul_f32_e32 v29, v32, v29
	v_dual_add_f32 v11, v11, v16 :: v_dual_mul_f32 v16, v72, v65
	v_mul_f32_e32 v17, v54, v47
	s_delay_alu instid0(VALU_DEP_4) | instskip(SKIP_1) | instid1(VALU_DEP_3)
	v_add_f32_e32 v10, v10, v15
	v_dual_mul_f32 v81, v35, v31 :: v_dual_mul_f32 v84, v53, v45
	v_dual_fmac_f32 v16, v73, v64 :: v_dual_fmac_f32 v17, v55, v46
	s_delay_alu instid0(VALU_DEP_3) | instskip(SKIP_3) | instid1(VALU_DEP_4)
	v_dual_fmac_f32 v27, v23, v26 :: v_dual_add_f32 v10, v10, v25
	v_mul_f32_e32 v31, v34, v31
	v_mul_f32_e32 v45, v52, v45
	v_fmac_f32_e32 v29, v33, v28
	v_dual_mul_f32 v41, v36, v41 :: v_dual_add_f32 v10, v10, v27
	v_fma_f32 v12, v18, v14, -v77
	v_dual_mul_f32 v18, v57, v49 :: v_dual_fmac_f32 v31, v35, v30
	v_mul_f32_e32 v14, v55, v47
	s_delay_alu instid0(VALU_DEP_4) | instskip(SKIP_3) | instid1(VALU_DEP_4)
	v_add_f32_e32 v10, v10, v29
	v_mul_f32_e32 v19, v56, v49
	v_add_f32_e32 v11, v11, v12
	v_dual_mul_f32 v12, v75, v67 :: v_dual_fmac_f32 v41, v37, v40
	v_add_f32_e32 v10, v10, v31
	v_mul_f32_e32 v47, v59, v51
	v_fmac_f32_e32 v43, v39, v42
	v_mul_f32_e32 v49, v58, v51
	s_delay_alu instid0(VALU_DEP_4) | instskip(SKIP_2) | instid1(VALU_DEP_4)
	v_dual_fmac_f32 v45, v53, v44 :: v_dual_add_f32 v10, v10, v41
	v_mul_f32_e32 v51, v69, v61
	v_fmac_f32_e32 v19, v57, v48
	v_fmac_f32_e32 v49, v59, v50
	v_mul_f32_e32 v23, v70, v63
	v_add_f32_e32 v10, v10, v43
	v_fma_f32 v20, v20, v24, -v78
	v_mul_f32_e32 v15, v74, v67
	v_fma_f32 v21, v22, v26, -v79
	s_delay_alu instid0(VALU_DEP_4) | instskip(SKIP_1) | instid1(VALU_DEP_4)
	v_dual_fmac_f32 v23, v71, v62 :: v_dual_add_f32 v10, v10, v45
	v_fma_f32 v14, v54, v46, -v14
	v_fmac_f32_e32 v15, v75, v66
	v_fma_f32 v18, v56, v48, -v18
	v_mul_f32_e32 v22, v71, v63
	v_add_f32_e32 v10, v10, v17
	v_mul_f32_e32 v61, v68, v61
	v_fma_f32 v17, v68, v60, -v51
	v_fma_f32 v12, v74, v66, -v12
	s_delay_alu instid0(VALU_DEP_3) | instskip(NEXT) | instid1(VALU_DEP_1)
	v_dual_add_f32 v10, v10, v19 :: v_dual_fmac_f32 v61, v69, v60
	v_add_f32_e32 v10, v10, v49
	s_delay_alu instid0(VALU_DEP_1) | instskip(NEXT) | instid1(VALU_DEP_1)
	v_add_f32_e32 v10, v10, v61
	v_dual_mul_f32 v13, v73, v65 :: v_dual_add_f32 v10, v10, v23
	s_delay_alu instid0(VALU_DEP_1) | instskip(NEXT) | instid1(VALU_DEP_2)
	v_fma_f32 v13, v72, v64, -v13
	v_add_f32_e32 v10, v10, v16
	v_add_f32_e32 v11, v11, v20
	v_fma_f32 v20, v32, v28, -v80
	s_delay_alu instid0(VALU_DEP_2) | instskip(SKIP_1) | instid1(VALU_DEP_2)
	v_dual_add_f32 v10, v10, v15 :: v_dual_add_f32 v11, v11, v21
	v_fma_f32 v21, v34, v30, -v81
	v_add_f32_e32 v11, v11, v20
	v_fma_f32 v20, v36, v40, -v82
	s_delay_alu instid0(VALU_DEP_2) | instskip(SKIP_1) | instid1(VALU_DEP_2)
	v_add_f32_e32 v11, v11, v21
	v_fma_f32 v21, v38, v42, -v83
	v_add_f32_e32 v11, v11, v20
	v_fma_f32 v20, v52, v44, -v84
	s_delay_alu instid0(VALU_DEP_2) | instskip(NEXT) | instid1(VALU_DEP_1)
	v_add_f32_e32 v11, v11, v21
	v_add_f32_e32 v11, v11, v20
	s_delay_alu instid0(VALU_DEP_1) | instskip(SKIP_1) | instid1(VALU_DEP_2)
	v_add_f32_e32 v11, v11, v14
	v_fma_f32 v14, v58, v50, -v47
	v_add_f32_e32 v11, v11, v18
	s_delay_alu instid0(VALU_DEP_1) | instskip(SKIP_1) | instid1(VALU_DEP_2)
	v_add_f32_e32 v11, v11, v14
	v_fma_f32 v14, v70, v62, -v22
	v_add_f32_e32 v11, v11, v17
	s_delay_alu instid0(VALU_DEP_1) | instskip(NEXT) | instid1(VALU_DEP_1)
	v_add_f32_e32 v11, v11, v14
	v_add_f32_e32 v11, v11, v13
	s_delay_alu instid0(VALU_DEP_1)
	v_add_f32_e32 v11, v11, v12
	s_cbranch_scc1 .LBB657_2
.LBB657_3:
	s_waitcnt lgkmcnt(0)
	s_mov_b32 s6, exec_lo
	v_cmpx_le_i32_e64 v0, v5
	s_cbranch_execz .LBB657_5
; %bb.4:
	s_load_b32 s0, s[0:1], 0x50
	v_ashrrev_i32_e32 v1, 31, v0
	s_delay_alu instid0(VALU_DEP_1) | instskip(SKIP_3) | instid1(VALU_DEP_1)
	v_lshlrev_b64 v[0:1], 3, v[0:1]
	s_waitcnt lgkmcnt(0)
	v_mad_i64_i32 v[2:3], null, s0, v5, 0
	v_mul_f32_e32 v5, s4, v10
	v_dual_mul_f32 v4, s5, v10 :: v_dual_fmac_f32 v5, s5, v11
	s_delay_alu instid0(VALU_DEP_3) | instskip(NEXT) | instid1(VALU_DEP_2)
	v_lshlrev_b64 v[2:3], 3, v[2:3]
	v_fma_f32 v4, v11, s4, -v4
	s_delay_alu instid0(VALU_DEP_2) | instskip(NEXT) | instid1(VALU_DEP_3)
	v_add_co_u32 v2, vcc_lo, s2, v2
	v_add_co_ci_u32_e32 v3, vcc_lo, s3, v3, vcc_lo
	s_delay_alu instid0(VALU_DEP_2) | instskip(NEXT) | instid1(VALU_DEP_2)
	v_add_co_u32 v0, vcc_lo, v2, v0
	v_add_co_ci_u32_e32 v1, vcc_lo, v3, v1, vcc_lo
	global_store_b64 v[0:1], v[4:5], off
.LBB657_5:
	s_nop 0
	s_sendmsg sendmsg(MSG_DEALLOC_VGPRS)
	s_endpgm
	.section	.rodata,"a",@progbits
	.p2align	6, 0x0
	.amdhsa_kernel _ZL41rocblas_syrkx_herkx_small_restrict_kernelIi19rocblas_complex_numIfELi16ELb1ELb0ELc84ELc85EKPKS1_KPS1_EviT_T0_PT6_S7_lSA_S7_lS8_PT7_S7_li
		.amdhsa_group_segment_fixed_size 4096
		.amdhsa_private_segment_fixed_size 0
		.amdhsa_kernarg_size 100
		.amdhsa_user_sgpr_count 13
		.amdhsa_user_sgpr_dispatch_ptr 0
		.amdhsa_user_sgpr_queue_ptr 0
		.amdhsa_user_sgpr_kernarg_segment_ptr 1
		.amdhsa_user_sgpr_dispatch_id 0
		.amdhsa_user_sgpr_private_segment_size 0
		.amdhsa_wavefront_size32 1
		.amdhsa_uses_dynamic_stack 0
		.amdhsa_enable_private_segment 0
		.amdhsa_system_sgpr_workgroup_id_x 1
		.amdhsa_system_sgpr_workgroup_id_y 1
		.amdhsa_system_sgpr_workgroup_id_z 1
		.amdhsa_system_sgpr_workgroup_info 0
		.amdhsa_system_vgpr_workitem_id 1
		.amdhsa_next_free_vgpr 85
		.amdhsa_next_free_sgpr 16
		.amdhsa_reserve_vcc 1
		.amdhsa_float_round_mode_32 0
		.amdhsa_float_round_mode_16_64 0
		.amdhsa_float_denorm_mode_32 3
		.amdhsa_float_denorm_mode_16_64 3
		.amdhsa_dx10_clamp 1
		.amdhsa_ieee_mode 1
		.amdhsa_fp16_overflow 0
		.amdhsa_workgroup_processor_mode 1
		.amdhsa_memory_ordered 1
		.amdhsa_forward_progress 0
		.amdhsa_shared_vgpr_count 0
		.amdhsa_exception_fp_ieee_invalid_op 0
		.amdhsa_exception_fp_denorm_src 0
		.amdhsa_exception_fp_ieee_div_zero 0
		.amdhsa_exception_fp_ieee_overflow 0
		.amdhsa_exception_fp_ieee_underflow 0
		.amdhsa_exception_fp_ieee_inexact 0
		.amdhsa_exception_int_div_zero 0
	.end_amdhsa_kernel
	.section	.text._ZL41rocblas_syrkx_herkx_small_restrict_kernelIi19rocblas_complex_numIfELi16ELb1ELb0ELc84ELc85EKPKS1_KPS1_EviT_T0_PT6_S7_lSA_S7_lS8_PT7_S7_li,"axG",@progbits,_ZL41rocblas_syrkx_herkx_small_restrict_kernelIi19rocblas_complex_numIfELi16ELb1ELb0ELc84ELc85EKPKS1_KPS1_EviT_T0_PT6_S7_lSA_S7_lS8_PT7_S7_li,comdat
.Lfunc_end657:
	.size	_ZL41rocblas_syrkx_herkx_small_restrict_kernelIi19rocblas_complex_numIfELi16ELb1ELb0ELc84ELc85EKPKS1_KPS1_EviT_T0_PT6_S7_lSA_S7_lS8_PT7_S7_li, .Lfunc_end657-_ZL41rocblas_syrkx_herkx_small_restrict_kernelIi19rocblas_complex_numIfELi16ELb1ELb0ELc84ELc85EKPKS1_KPS1_EviT_T0_PT6_S7_lSA_S7_lS8_PT7_S7_li
                                        ; -- End function
	.section	.AMDGPU.csdata,"",@progbits
; Kernel info:
; codeLenInByte = 1212
; NumSgprs: 18
; NumVgprs: 85
; ScratchSize: 0
; MemoryBound: 0
; FloatMode: 240
; IeeeMode: 1
; LDSByteSize: 4096 bytes/workgroup (compile time only)
; SGPRBlocks: 2
; VGPRBlocks: 10
; NumSGPRsForWavesPerEU: 18
; NumVGPRsForWavesPerEU: 85
; Occupancy: 16
; WaveLimiterHint : 1
; COMPUTE_PGM_RSRC2:SCRATCH_EN: 0
; COMPUTE_PGM_RSRC2:USER_SGPR: 13
; COMPUTE_PGM_RSRC2:TRAP_HANDLER: 0
; COMPUTE_PGM_RSRC2:TGID_X_EN: 1
; COMPUTE_PGM_RSRC2:TGID_Y_EN: 1
; COMPUTE_PGM_RSRC2:TGID_Z_EN: 1
; COMPUTE_PGM_RSRC2:TIDIG_COMP_CNT: 1
	.section	.text._ZL41rocblas_syrkx_herkx_small_restrict_kernelIi19rocblas_complex_numIfELi16ELb1ELb0ELc67ELc85EKPKS1_KPS1_EviT_T0_PT6_S7_lSA_S7_lS8_PT7_S7_li,"axG",@progbits,_ZL41rocblas_syrkx_herkx_small_restrict_kernelIi19rocblas_complex_numIfELi16ELb1ELb0ELc67ELc85EKPKS1_KPS1_EviT_T0_PT6_S7_lSA_S7_lS8_PT7_S7_li,comdat
	.globl	_ZL41rocblas_syrkx_herkx_small_restrict_kernelIi19rocblas_complex_numIfELi16ELb1ELb0ELc67ELc85EKPKS1_KPS1_EviT_T0_PT6_S7_lSA_S7_lS8_PT7_S7_li ; -- Begin function _ZL41rocblas_syrkx_herkx_small_restrict_kernelIi19rocblas_complex_numIfELi16ELb1ELb0ELc67ELc85EKPKS1_KPS1_EviT_T0_PT6_S7_lSA_S7_lS8_PT7_S7_li
	.p2align	8
	.type	_ZL41rocblas_syrkx_herkx_small_restrict_kernelIi19rocblas_complex_numIfELi16ELb1ELb0ELc67ELc85EKPKS1_KPS1_EviT_T0_PT6_S7_lSA_S7_lS8_PT7_S7_li,@function
_ZL41rocblas_syrkx_herkx_small_restrict_kernelIi19rocblas_complex_numIfELi16ELb1ELb0ELc67ELc85EKPKS1_KPS1_EviT_T0_PT6_S7_lSA_S7_lS8_PT7_S7_li: ; @_ZL41rocblas_syrkx_herkx_small_restrict_kernelIi19rocblas_complex_numIfELi16ELb1ELb0ELc67ELc85EKPKS1_KPS1_EviT_T0_PT6_S7_lSA_S7_lS8_PT7_S7_li
; %bb.0:
	s_load_b64 s[2:3], s[0:1], 0x48
	s_mov_b32 s8, s15
	s_mov_b32 s9, 0
	v_dual_mov_b32 v11, 0 :: v_dual_and_b32 v2, 0x3ff, v0
	s_lshl_b64 s[10:11], s[8:9], 3
	s_load_b32 s8, s[0:1], 0x4
	v_bfe_u32 v1, v0, 10, 10
	s_delay_alu instid0(VALU_DEP_2) | instskip(SKIP_1) | instid1(VALU_DEP_3)
	v_lshl_add_u32 v0, s13, 4, v2
	v_mov_b32_e32 v10, 0
	v_lshl_add_u32 v5, s14, 4, v1
	s_waitcnt lgkmcnt(0)
	s_add_u32 s2, s2, s10
	s_addc_u32 s3, s3, s11
	s_load_b128 s[4:7], s[0:1], 0x8
	s_load_b64 s[2:3], s[2:3], 0x0
	s_cmp_lt_i32 s8, 1
	s_cbranch_scc1 .LBB658_3
; %bb.1:
	s_clause 0x2
	s_load_b64 s[12:13], s[0:1], 0x28
	s_load_b32 s14, s[0:1], 0x18
	s_load_b32 s15, s[0:1], 0x30
	v_lshlrev_b32_e32 v8, 7, v1
	v_lshlrev_b32_e32 v6, 3, v2
	v_dual_mov_b32 v10, 0 :: v_dual_lshlrev_b32 v13, 3, v1
	s_waitcnt lgkmcnt(0)
	s_add_u32 s12, s12, s10
	s_addc_u32 s13, s13, s11
	s_add_u32 s6, s6, s10
	s_addc_u32 s7, s7, s11
	v_mad_i64_i32 v[3:4], null, s14, v0, 0
	s_load_b64 s[6:7], s[6:7], 0x0
	v_mad_i64_i32 v[11:12], null, s15, v5, 0
	s_load_b64 s[10:11], s[12:13], 0x0
	s_delay_alu instid0(VALU_DEP_2) | instskip(NEXT) | instid1(VALU_DEP_2)
	v_lshlrev_b64 v[1:2], 3, v[3:4]
	v_lshlrev_b64 v[3:4], 3, v[11:12]
	s_delay_alu instid0(VALU_DEP_2) | instskip(NEXT) | instid1(VALU_DEP_3)
	v_add_co_u32 v1, vcc_lo, v1, v13
	v_add_co_ci_u32_e32 v2, vcc_lo, 0, v2, vcc_lo
	s_delay_alu instid0(VALU_DEP_3) | instskip(NEXT) | instid1(VALU_DEP_4)
	v_add_co_u32 v3, vcc_lo, v3, v6
	v_add_co_ci_u32_e32 v4, vcc_lo, 0, v4, vcc_lo
	s_waitcnt lgkmcnt(0)
	v_add_co_u32 v11, vcc_lo, v1, s6
	v_add_co_ci_u32_e32 v12, vcc_lo, s7, v2, vcc_lo
	v_add_co_u32 v1, vcc_lo, s10, v3
	v_add_co_ci_u32_e32 v2, vcc_lo, s11, v4, vcc_lo
	s_delay_alu instid0(VALU_DEP_4) | instskip(SKIP_4) | instid1(VALU_DEP_3)
	v_add_co_u32 v3, vcc_lo, v11, 4
	v_mov_b32_e32 v11, 0
	v_add_nc_u32_e32 v7, 0x800, v8
	v_add_nc_u32_e32 v8, v6, v8
	v_add_co_ci_u32_e32 v4, vcc_lo, 0, v12, vcc_lo
	v_add_nc_u32_e32 v9, v7, v6
.LBB658_2:                              ; =>This Inner Loop Header: Depth=1
	global_load_b64 v[12:13], v[3:4], off offset:-4
	global_load_b64 v[14:15], v[1:2], off
	v_add_co_u32 v1, vcc_lo, 0x80, v1
	v_add_co_ci_u32_e32 v2, vcc_lo, 0, v2, vcc_lo
	v_add_co_u32 v3, vcc_lo, 0x80, v3
	v_add_co_ci_u32_e32 v4, vcc_lo, 0, v4, vcc_lo
	s_add_i32 s9, s9, 16
	s_waitcnt vmcnt(1)
	ds_store_b64 v8, v[12:13]
	s_waitcnt vmcnt(0)
	ds_store_b64 v9, v[14:15]
	s_waitcnt lgkmcnt(0)
	s_barrier
	buffer_gl0_inv
	ds_load_2addr_b64 v[12:15], v6 offset1:16
	ds_load_b128 v[16:19], v7
	ds_load_b128 v[20:23], v7 offset:16
	ds_load_2addr_b64 v[24:27], v6 offset0:32 offset1:48
	ds_load_2addr_b64 v[28:31], v6 offset0:64 offset1:80
	ds_load_b128 v[32:35], v7 offset:32
	ds_load_b128 v[36:39], v7 offset:48
	ds_load_2addr_b64 v[40:43], v6 offset0:96 offset1:112
	ds_load_2addr_b64 v[44:47], v6 offset0:128 offset1:144
	;; [unrolled: 1-line block ×3, first 2 shown]
	ds_load_b128 v[52:55], v7 offset:64
	ds_load_b128 v[56:59], v7 offset:80
	ds_load_2addr_b64 v[60:63], v6 offset0:192 offset1:208
	ds_load_2addr_b64 v[64:67], v6 offset0:224 offset1:240
	ds_load_b128 v[68:71], v7 offset:96
	ds_load_b128 v[72:75], v7 offset:112
	s_cmp_lt_i32 s9, s8
	s_waitcnt lgkmcnt(0)
	s_barrier
	buffer_gl0_inv
	v_dual_mul_f32 v76, v17, v13 :: v_dual_mul_f32 v77, v19, v15
	v_mul_f32_e32 v13, v16, v13
	v_dual_mul_f32 v15, v18, v15 :: v_dual_mul_f32 v78, v21, v25
	v_mul_f32_e32 v25, v20, v25
	s_delay_alu instid0(VALU_DEP_4) | instskip(SKIP_1) | instid1(VALU_DEP_4)
	v_fma_f32 v16, v16, v12, -v76
	v_dual_mul_f32 v79, v23, v27 :: v_dual_mul_f32 v80, v33, v29
	v_fmac_f32_e32 v15, v19, v14
	s_delay_alu instid0(VALU_DEP_4) | instskip(SKIP_4) | instid1(VALU_DEP_4)
	v_fmac_f32_e32 v25, v21, v24
	v_fmac_f32_e32 v13, v17, v12
	v_mul_f32_e32 v83, v39, v43
	v_dual_mul_f32 v27, v22, v27 :: v_dual_mul_f32 v82, v37, v41
	v_mul_f32_e32 v43, v38, v43
	v_add_f32_e32 v10, v10, v13
	v_mul_f32_e32 v29, v32, v29
	v_dual_add_f32 v11, v11, v16 :: v_dual_mul_f32 v16, v72, v65
	v_mul_f32_e32 v17, v54, v47
	s_delay_alu instid0(VALU_DEP_4) | instskip(SKIP_1) | instid1(VALU_DEP_3)
	v_add_f32_e32 v10, v10, v15
	v_dual_mul_f32 v81, v35, v31 :: v_dual_mul_f32 v84, v53, v45
	v_dual_fmac_f32 v16, v73, v64 :: v_dual_fmac_f32 v17, v55, v46
	s_delay_alu instid0(VALU_DEP_3) | instskip(SKIP_3) | instid1(VALU_DEP_4)
	v_dual_fmac_f32 v27, v23, v26 :: v_dual_add_f32 v10, v10, v25
	v_mul_f32_e32 v31, v34, v31
	v_mul_f32_e32 v45, v52, v45
	v_fmac_f32_e32 v29, v33, v28
	v_dual_mul_f32 v41, v36, v41 :: v_dual_add_f32 v10, v10, v27
	v_fma_f32 v12, v18, v14, -v77
	v_dual_mul_f32 v18, v57, v49 :: v_dual_fmac_f32 v31, v35, v30
	v_mul_f32_e32 v14, v55, v47
	s_delay_alu instid0(VALU_DEP_4) | instskip(SKIP_3) | instid1(VALU_DEP_4)
	v_add_f32_e32 v10, v10, v29
	v_mul_f32_e32 v19, v56, v49
	v_add_f32_e32 v11, v11, v12
	v_dual_mul_f32 v12, v75, v67 :: v_dual_fmac_f32 v41, v37, v40
	v_add_f32_e32 v10, v10, v31
	v_mul_f32_e32 v47, v59, v51
	v_fmac_f32_e32 v43, v39, v42
	v_mul_f32_e32 v49, v58, v51
	s_delay_alu instid0(VALU_DEP_4) | instskip(SKIP_2) | instid1(VALU_DEP_4)
	v_dual_fmac_f32 v45, v53, v44 :: v_dual_add_f32 v10, v10, v41
	v_mul_f32_e32 v51, v69, v61
	v_fmac_f32_e32 v19, v57, v48
	v_fmac_f32_e32 v49, v59, v50
	v_mul_f32_e32 v23, v70, v63
	v_add_f32_e32 v10, v10, v43
	v_fma_f32 v20, v20, v24, -v78
	v_mul_f32_e32 v15, v74, v67
	v_fma_f32 v21, v22, v26, -v79
	s_delay_alu instid0(VALU_DEP_4) | instskip(SKIP_1) | instid1(VALU_DEP_4)
	v_dual_fmac_f32 v23, v71, v62 :: v_dual_add_f32 v10, v10, v45
	v_fma_f32 v14, v54, v46, -v14
	v_fmac_f32_e32 v15, v75, v66
	v_fma_f32 v18, v56, v48, -v18
	v_mul_f32_e32 v22, v71, v63
	v_add_f32_e32 v10, v10, v17
	v_mul_f32_e32 v61, v68, v61
	v_fma_f32 v17, v68, v60, -v51
	v_fma_f32 v12, v74, v66, -v12
	s_delay_alu instid0(VALU_DEP_3) | instskip(NEXT) | instid1(VALU_DEP_1)
	v_dual_add_f32 v10, v10, v19 :: v_dual_fmac_f32 v61, v69, v60
	v_add_f32_e32 v10, v10, v49
	s_delay_alu instid0(VALU_DEP_1) | instskip(NEXT) | instid1(VALU_DEP_1)
	v_add_f32_e32 v10, v10, v61
	v_dual_mul_f32 v13, v73, v65 :: v_dual_add_f32 v10, v10, v23
	s_delay_alu instid0(VALU_DEP_1) | instskip(NEXT) | instid1(VALU_DEP_2)
	v_fma_f32 v13, v72, v64, -v13
	v_add_f32_e32 v10, v10, v16
	v_add_f32_e32 v11, v11, v20
	v_fma_f32 v20, v32, v28, -v80
	s_delay_alu instid0(VALU_DEP_2) | instskip(SKIP_1) | instid1(VALU_DEP_2)
	v_dual_add_f32 v10, v10, v15 :: v_dual_add_f32 v11, v11, v21
	v_fma_f32 v21, v34, v30, -v81
	v_add_f32_e32 v11, v11, v20
	v_fma_f32 v20, v36, v40, -v82
	s_delay_alu instid0(VALU_DEP_2) | instskip(SKIP_1) | instid1(VALU_DEP_2)
	v_add_f32_e32 v11, v11, v21
	v_fma_f32 v21, v38, v42, -v83
	v_add_f32_e32 v11, v11, v20
	v_fma_f32 v20, v52, v44, -v84
	s_delay_alu instid0(VALU_DEP_2) | instskip(NEXT) | instid1(VALU_DEP_1)
	v_add_f32_e32 v11, v11, v21
	v_add_f32_e32 v11, v11, v20
	s_delay_alu instid0(VALU_DEP_1) | instskip(SKIP_1) | instid1(VALU_DEP_2)
	v_add_f32_e32 v11, v11, v14
	v_fma_f32 v14, v58, v50, -v47
	v_add_f32_e32 v11, v11, v18
	s_delay_alu instid0(VALU_DEP_1) | instskip(SKIP_1) | instid1(VALU_DEP_2)
	v_add_f32_e32 v11, v11, v14
	v_fma_f32 v14, v70, v62, -v22
	v_add_f32_e32 v11, v11, v17
	s_delay_alu instid0(VALU_DEP_1) | instskip(NEXT) | instid1(VALU_DEP_1)
	v_add_f32_e32 v11, v11, v14
	v_add_f32_e32 v11, v11, v13
	s_delay_alu instid0(VALU_DEP_1)
	v_add_f32_e32 v11, v11, v12
	s_cbranch_scc1 .LBB658_2
.LBB658_3:
	s_waitcnt lgkmcnt(0)
	s_mov_b32 s6, exec_lo
	v_cmpx_le_i32_e64 v0, v5
	s_cbranch_execz .LBB658_5
; %bb.4:
	s_load_b32 s0, s[0:1], 0x50
	v_ashrrev_i32_e32 v1, 31, v0
	s_delay_alu instid0(VALU_DEP_1) | instskip(SKIP_3) | instid1(VALU_DEP_1)
	v_lshlrev_b64 v[0:1], 3, v[0:1]
	s_waitcnt lgkmcnt(0)
	v_mad_i64_i32 v[2:3], null, s0, v5, 0
	v_mul_f32_e32 v5, s4, v10
	v_dual_mul_f32 v4, s5, v10 :: v_dual_fmac_f32 v5, s5, v11
	s_delay_alu instid0(VALU_DEP_3) | instskip(NEXT) | instid1(VALU_DEP_2)
	v_lshlrev_b64 v[2:3], 3, v[2:3]
	v_fma_f32 v4, v11, s4, -v4
	s_delay_alu instid0(VALU_DEP_2) | instskip(NEXT) | instid1(VALU_DEP_3)
	v_add_co_u32 v2, vcc_lo, s2, v2
	v_add_co_ci_u32_e32 v3, vcc_lo, s3, v3, vcc_lo
	s_delay_alu instid0(VALU_DEP_2) | instskip(NEXT) | instid1(VALU_DEP_2)
	v_add_co_u32 v0, vcc_lo, v2, v0
	v_add_co_ci_u32_e32 v1, vcc_lo, v3, v1, vcc_lo
	global_store_b64 v[0:1], v[4:5], off
.LBB658_5:
	s_nop 0
	s_sendmsg sendmsg(MSG_DEALLOC_VGPRS)
	s_endpgm
	.section	.rodata,"a",@progbits
	.p2align	6, 0x0
	.amdhsa_kernel _ZL41rocblas_syrkx_herkx_small_restrict_kernelIi19rocblas_complex_numIfELi16ELb1ELb0ELc67ELc85EKPKS1_KPS1_EviT_T0_PT6_S7_lSA_S7_lS8_PT7_S7_li
		.amdhsa_group_segment_fixed_size 4096
		.amdhsa_private_segment_fixed_size 0
		.amdhsa_kernarg_size 100
		.amdhsa_user_sgpr_count 13
		.amdhsa_user_sgpr_dispatch_ptr 0
		.amdhsa_user_sgpr_queue_ptr 0
		.amdhsa_user_sgpr_kernarg_segment_ptr 1
		.amdhsa_user_sgpr_dispatch_id 0
		.amdhsa_user_sgpr_private_segment_size 0
		.amdhsa_wavefront_size32 1
		.amdhsa_uses_dynamic_stack 0
		.amdhsa_enable_private_segment 0
		.amdhsa_system_sgpr_workgroup_id_x 1
		.amdhsa_system_sgpr_workgroup_id_y 1
		.amdhsa_system_sgpr_workgroup_id_z 1
		.amdhsa_system_sgpr_workgroup_info 0
		.amdhsa_system_vgpr_workitem_id 1
		.amdhsa_next_free_vgpr 85
		.amdhsa_next_free_sgpr 16
		.amdhsa_reserve_vcc 1
		.amdhsa_float_round_mode_32 0
		.amdhsa_float_round_mode_16_64 0
		.amdhsa_float_denorm_mode_32 3
		.amdhsa_float_denorm_mode_16_64 3
		.amdhsa_dx10_clamp 1
		.amdhsa_ieee_mode 1
		.amdhsa_fp16_overflow 0
		.amdhsa_workgroup_processor_mode 1
		.amdhsa_memory_ordered 1
		.amdhsa_forward_progress 0
		.amdhsa_shared_vgpr_count 0
		.amdhsa_exception_fp_ieee_invalid_op 0
		.amdhsa_exception_fp_denorm_src 0
		.amdhsa_exception_fp_ieee_div_zero 0
		.amdhsa_exception_fp_ieee_overflow 0
		.amdhsa_exception_fp_ieee_underflow 0
		.amdhsa_exception_fp_ieee_inexact 0
		.amdhsa_exception_int_div_zero 0
	.end_amdhsa_kernel
	.section	.text._ZL41rocblas_syrkx_herkx_small_restrict_kernelIi19rocblas_complex_numIfELi16ELb1ELb0ELc67ELc85EKPKS1_KPS1_EviT_T0_PT6_S7_lSA_S7_lS8_PT7_S7_li,"axG",@progbits,_ZL41rocblas_syrkx_herkx_small_restrict_kernelIi19rocblas_complex_numIfELi16ELb1ELb0ELc67ELc85EKPKS1_KPS1_EviT_T0_PT6_S7_lSA_S7_lS8_PT7_S7_li,comdat
.Lfunc_end658:
	.size	_ZL41rocblas_syrkx_herkx_small_restrict_kernelIi19rocblas_complex_numIfELi16ELb1ELb0ELc67ELc85EKPKS1_KPS1_EviT_T0_PT6_S7_lSA_S7_lS8_PT7_S7_li, .Lfunc_end658-_ZL41rocblas_syrkx_herkx_small_restrict_kernelIi19rocblas_complex_numIfELi16ELb1ELb0ELc67ELc85EKPKS1_KPS1_EviT_T0_PT6_S7_lSA_S7_lS8_PT7_S7_li
                                        ; -- End function
	.section	.AMDGPU.csdata,"",@progbits
; Kernel info:
; codeLenInByte = 1220
; NumSgprs: 18
; NumVgprs: 85
; ScratchSize: 0
; MemoryBound: 0
; FloatMode: 240
; IeeeMode: 1
; LDSByteSize: 4096 bytes/workgroup (compile time only)
; SGPRBlocks: 2
; VGPRBlocks: 10
; NumSGPRsForWavesPerEU: 18
; NumVGPRsForWavesPerEU: 85
; Occupancy: 16
; WaveLimiterHint : 1
; COMPUTE_PGM_RSRC2:SCRATCH_EN: 0
; COMPUTE_PGM_RSRC2:USER_SGPR: 13
; COMPUTE_PGM_RSRC2:TRAP_HANDLER: 0
; COMPUTE_PGM_RSRC2:TGID_X_EN: 1
; COMPUTE_PGM_RSRC2:TGID_Y_EN: 1
; COMPUTE_PGM_RSRC2:TGID_Z_EN: 1
; COMPUTE_PGM_RSRC2:TIDIG_COMP_CNT: 1
	.section	.text._ZL41rocblas_syrkx_herkx_small_restrict_kernelIi19rocblas_complex_numIfELi16ELb1ELb0ELc78ELc85EKPKS1_KPS1_EviT_T0_PT6_S7_lSA_S7_lS8_PT7_S7_li,"axG",@progbits,_ZL41rocblas_syrkx_herkx_small_restrict_kernelIi19rocblas_complex_numIfELi16ELb1ELb0ELc78ELc85EKPKS1_KPS1_EviT_T0_PT6_S7_lSA_S7_lS8_PT7_S7_li,comdat
	.globl	_ZL41rocblas_syrkx_herkx_small_restrict_kernelIi19rocblas_complex_numIfELi16ELb1ELb0ELc78ELc85EKPKS1_KPS1_EviT_T0_PT6_S7_lSA_S7_lS8_PT7_S7_li ; -- Begin function _ZL41rocblas_syrkx_herkx_small_restrict_kernelIi19rocblas_complex_numIfELi16ELb1ELb0ELc78ELc85EKPKS1_KPS1_EviT_T0_PT6_S7_lSA_S7_lS8_PT7_S7_li
	.p2align	8
	.type	_ZL41rocblas_syrkx_herkx_small_restrict_kernelIi19rocblas_complex_numIfELi16ELb1ELb0ELc78ELc85EKPKS1_KPS1_EviT_T0_PT6_S7_lSA_S7_lS8_PT7_S7_li,@function
_ZL41rocblas_syrkx_herkx_small_restrict_kernelIi19rocblas_complex_numIfELi16ELb1ELb0ELc78ELc85EKPKS1_KPS1_EviT_T0_PT6_S7_lSA_S7_lS8_PT7_S7_li: ; @_ZL41rocblas_syrkx_herkx_small_restrict_kernelIi19rocblas_complex_numIfELi16ELb1ELb0ELc78ELc85EKPKS1_KPS1_EviT_T0_PT6_S7_lSA_S7_lS8_PT7_S7_li
; %bb.0:
	s_load_b64 s[2:3], s[0:1], 0x48
	s_mov_b32 s8, s15
	s_mov_b32 s9, 0
	v_dual_mov_b32 v12, 0 :: v_dual_and_b32 v5, 0x3ff, v0
	s_lshl_b64 s[10:11], s[8:9], 3
	s_load_b32 s8, s[0:1], 0x4
	v_bfe_u32 v4, v0, 10, 10
	s_delay_alu instid0(VALU_DEP_2) | instskip(SKIP_1) | instid1(VALU_DEP_3)
	v_lshl_add_u32 v0, s13, 4, v5
	v_mov_b32_e32 v11, 0
	v_lshl_add_u32 v2, s14, 4, v4
	s_delay_alu instid0(VALU_DEP_3)
	v_ashrrev_i32_e32 v1, 31, v0
	s_waitcnt lgkmcnt(0)
	s_add_u32 s2, s2, s10
	s_addc_u32 s3, s3, s11
	s_load_b128 s[4:7], s[0:1], 0x8
	s_load_b64 s[2:3], s[2:3], 0x0
	s_cmp_lt_i32 s8, 1
	s_cbranch_scc1 .LBB659_3
; %bb.1:
	s_clause 0x2
	s_load_b32 s12, s[0:1], 0x18
	s_load_b32 s14, s[0:1], 0x30
	s_load_b64 s[16:17], s[0:1], 0x28
	v_lshlrev_b32_e32 v7, 3, v5
	v_ashrrev_i32_e32 v3, 31, v2
	v_dual_mov_b32 v11, 0 :: v_dual_lshlrev_b32 v16, 7, v4
	v_lshlrev_b64 v[12:13], 3, v[0:1]
	s_delay_alu instid0(VALU_DEP_2)
	v_add_nc_u32_e32 v8, 0x800, v16
	s_waitcnt lgkmcnt(0)
	s_ashr_i32 s13, s12, 31
	s_ashr_i32 s15, s14, 31
	s_add_u32 s16, s16, s10
	s_addc_u32 s17, s17, s11
	v_mad_i64_i32 v[9:10], null, s14, v5, 0
	s_load_b64 s[16:17], s[16:17], 0x0
	s_add_u32 s6, s6, s10
	s_addc_u32 s7, s7, s11
	v_mad_i64_i32 v[5:6], null, s12, v4, 0
	s_load_b64 s[6:7], s[6:7], 0x0
	v_lshlrev_b64 v[3:4], 3, v[2:3]
	s_delay_alu instid0(VALU_DEP_3) | instskip(SKIP_1) | instid1(VALU_DEP_3)
	v_lshlrev_b64 v[14:15], 3, v[9:10]
	s_lshl_b64 s[10:11], s[12:13], 7
	v_lshlrev_b64 v[5:6], 3, v[5:6]
	s_delay_alu instid0(VALU_DEP_2) | instskip(NEXT) | instid1(VALU_DEP_3)
	v_add_co_u32 v3, vcc_lo, v14, v3
	v_add_co_ci_u32_e32 v4, vcc_lo, v15, v4, vcc_lo
	s_delay_alu instid0(VALU_DEP_3) | instskip(NEXT) | instid1(VALU_DEP_4)
	v_add_co_u32 v5, vcc_lo, v5, v12
	v_add_co_ci_u32_e32 v6, vcc_lo, v6, v13, vcc_lo
	s_waitcnt lgkmcnt(0)
	v_add_co_u32 v12, vcc_lo, v3, s16
	v_add_co_ci_u32_e32 v13, vcc_lo, s17, v4, vcc_lo
	v_add_co_u32 v3, vcc_lo, s6, v5
	v_add_co_ci_u32_e32 v4, vcc_lo, s7, v6, vcc_lo
	s_delay_alu instid0(VALU_DEP_4) | instskip(NEXT) | instid1(VALU_DEP_4)
	v_add_co_u32 v5, vcc_lo, v12, 4
	v_add_co_ci_u32_e32 v6, vcc_lo, 0, v13, vcc_lo
	v_dual_mov_b32 v12, 0 :: v_dual_add_nc_u32 v9, v7, v16
	v_add_nc_u32_e32 v10, v8, v7
	s_lshl_b64 s[6:7], s[14:15], 7
.LBB659_2:                              ; =>This Inner Loop Header: Depth=1
	global_load_b64 v[13:14], v[3:4], off
	global_load_b64 v[15:16], v[5:6], off offset:-4
	v_add_co_u32 v5, vcc_lo, v5, s6
	v_add_co_ci_u32_e32 v6, vcc_lo, s7, v6, vcc_lo
	v_add_co_u32 v3, vcc_lo, v3, s10
	v_add_co_ci_u32_e32 v4, vcc_lo, s11, v4, vcc_lo
	s_add_i32 s9, s9, 16
	s_waitcnt vmcnt(1)
	ds_store_b64 v9, v[13:14]
	s_waitcnt vmcnt(0)
	ds_store_b64 v10, v[15:16]
	s_waitcnt lgkmcnt(0)
	s_barrier
	buffer_gl0_inv
	ds_load_2addr_b64 v[13:16], v7 offset1:16
	ds_load_b128 v[17:20], v8
	ds_load_b128 v[21:24], v8 offset:16
	ds_load_2addr_b64 v[25:28], v7 offset0:32 offset1:48
	ds_load_2addr_b64 v[29:32], v7 offset0:64 offset1:80
	ds_load_b128 v[33:36], v8 offset:32
	ds_load_b128 v[37:40], v8 offset:48
	ds_load_2addr_b64 v[41:44], v7 offset0:96 offset1:112
	ds_load_2addr_b64 v[45:48], v7 offset0:128 offset1:144
	;; [unrolled: 1-line block ×3, first 2 shown]
	ds_load_b128 v[53:56], v8 offset:64
	ds_load_b128 v[57:60], v8 offset:80
	ds_load_2addr_b64 v[61:64], v7 offset0:192 offset1:208
	ds_load_2addr_b64 v[65:68], v7 offset0:224 offset1:240
	ds_load_b128 v[69:72], v8 offset:96
	ds_load_b128 v[73:76], v8 offset:112
	s_cmp_lt_i32 s9, s8
	s_waitcnt lgkmcnt(0)
	s_barrier
	buffer_gl0_inv
	v_dual_mul_f32 v77, v18, v14 :: v_dual_mul_f32 v78, v20, v16
	v_mul_f32_e32 v14, v17, v14
	v_dual_mul_f32 v16, v19, v16 :: v_dual_mul_f32 v79, v22, v26
	v_mul_f32_e32 v26, v21, v26
	s_delay_alu instid0(VALU_DEP_4) | instskip(SKIP_1) | instid1(VALU_DEP_4)
	v_fma_f32 v17, v17, v13, -v77
	v_dual_mul_f32 v80, v24, v28 :: v_dual_mul_f32 v81, v34, v30
	v_fmac_f32_e32 v16, v20, v15
	s_delay_alu instid0(VALU_DEP_4) | instskip(SKIP_4) | instid1(VALU_DEP_4)
	v_fmac_f32_e32 v26, v22, v25
	v_fmac_f32_e32 v14, v18, v13
	v_mul_f32_e32 v84, v40, v44
	v_dual_mul_f32 v28, v23, v28 :: v_dual_mul_f32 v83, v38, v42
	v_mul_f32_e32 v44, v39, v44
	v_add_f32_e32 v11, v11, v14
	v_mul_f32_e32 v30, v33, v30
	v_dual_add_f32 v12, v12, v17 :: v_dual_mul_f32 v17, v73, v66
	v_mul_f32_e32 v18, v55, v48
	s_delay_alu instid0(VALU_DEP_4) | instskip(SKIP_1) | instid1(VALU_DEP_3)
	v_add_f32_e32 v11, v11, v16
	v_dual_mul_f32 v82, v36, v32 :: v_dual_mul_f32 v85, v54, v46
	v_dual_fmac_f32 v17, v74, v65 :: v_dual_fmac_f32 v18, v56, v47
	s_delay_alu instid0(VALU_DEP_3) | instskip(SKIP_3) | instid1(VALU_DEP_4)
	v_dual_fmac_f32 v28, v24, v27 :: v_dual_add_f32 v11, v11, v26
	v_mul_f32_e32 v32, v35, v32
	v_mul_f32_e32 v46, v53, v46
	v_fmac_f32_e32 v30, v34, v29
	v_dual_mul_f32 v42, v37, v42 :: v_dual_add_f32 v11, v11, v28
	v_fma_f32 v13, v19, v15, -v78
	v_dual_mul_f32 v19, v58, v50 :: v_dual_fmac_f32 v32, v36, v31
	v_mul_f32_e32 v15, v56, v48
	s_delay_alu instid0(VALU_DEP_4) | instskip(SKIP_3) | instid1(VALU_DEP_4)
	v_add_f32_e32 v11, v11, v30
	v_mul_f32_e32 v20, v57, v50
	v_add_f32_e32 v12, v12, v13
	v_dual_mul_f32 v13, v76, v68 :: v_dual_fmac_f32 v42, v38, v41
	v_add_f32_e32 v11, v11, v32
	v_mul_f32_e32 v48, v60, v52
	v_fmac_f32_e32 v44, v40, v43
	v_mul_f32_e32 v50, v59, v52
	s_delay_alu instid0(VALU_DEP_4) | instskip(SKIP_2) | instid1(VALU_DEP_4)
	v_dual_fmac_f32 v46, v54, v45 :: v_dual_add_f32 v11, v11, v42
	v_mul_f32_e32 v52, v70, v62
	v_fmac_f32_e32 v20, v58, v49
	v_fmac_f32_e32 v50, v60, v51
	v_mul_f32_e32 v24, v71, v64
	v_add_f32_e32 v11, v11, v44
	v_fma_f32 v21, v21, v25, -v79
	v_mul_f32_e32 v16, v75, v68
	v_fma_f32 v22, v23, v27, -v80
	s_delay_alu instid0(VALU_DEP_4) | instskip(SKIP_1) | instid1(VALU_DEP_4)
	v_dual_fmac_f32 v24, v72, v63 :: v_dual_add_f32 v11, v11, v46
	v_fma_f32 v15, v55, v47, -v15
	v_fmac_f32_e32 v16, v76, v67
	v_fma_f32 v19, v57, v49, -v19
	v_mul_f32_e32 v23, v72, v64
	v_add_f32_e32 v11, v11, v18
	v_mul_f32_e32 v62, v69, v62
	v_fma_f32 v18, v69, v61, -v52
	v_fma_f32 v13, v75, v67, -v13
	s_delay_alu instid0(VALU_DEP_3) | instskip(NEXT) | instid1(VALU_DEP_1)
	v_dual_add_f32 v11, v11, v20 :: v_dual_fmac_f32 v62, v70, v61
	v_add_f32_e32 v11, v11, v50
	s_delay_alu instid0(VALU_DEP_1) | instskip(NEXT) | instid1(VALU_DEP_1)
	v_add_f32_e32 v11, v11, v62
	v_dual_mul_f32 v14, v74, v66 :: v_dual_add_f32 v11, v11, v24
	s_delay_alu instid0(VALU_DEP_1) | instskip(NEXT) | instid1(VALU_DEP_2)
	v_fma_f32 v14, v73, v65, -v14
	v_add_f32_e32 v11, v11, v17
	v_add_f32_e32 v12, v12, v21
	v_fma_f32 v21, v33, v29, -v81
	s_delay_alu instid0(VALU_DEP_2) | instskip(SKIP_1) | instid1(VALU_DEP_2)
	v_dual_add_f32 v11, v11, v16 :: v_dual_add_f32 v12, v12, v22
	v_fma_f32 v22, v35, v31, -v82
	v_add_f32_e32 v12, v12, v21
	v_fma_f32 v21, v37, v41, -v83
	s_delay_alu instid0(VALU_DEP_2) | instskip(SKIP_1) | instid1(VALU_DEP_2)
	v_add_f32_e32 v12, v12, v22
	v_fma_f32 v22, v39, v43, -v84
	v_add_f32_e32 v12, v12, v21
	v_fma_f32 v21, v53, v45, -v85
	s_delay_alu instid0(VALU_DEP_2) | instskip(NEXT) | instid1(VALU_DEP_1)
	v_add_f32_e32 v12, v12, v22
	v_add_f32_e32 v12, v12, v21
	s_delay_alu instid0(VALU_DEP_1) | instskip(SKIP_1) | instid1(VALU_DEP_2)
	v_add_f32_e32 v12, v12, v15
	v_fma_f32 v15, v59, v51, -v48
	v_add_f32_e32 v12, v12, v19
	s_delay_alu instid0(VALU_DEP_1) | instskip(SKIP_1) | instid1(VALU_DEP_2)
	v_add_f32_e32 v12, v12, v15
	v_fma_f32 v15, v71, v63, -v23
	v_add_f32_e32 v12, v12, v18
	s_delay_alu instid0(VALU_DEP_1) | instskip(NEXT) | instid1(VALU_DEP_1)
	v_add_f32_e32 v12, v12, v15
	v_add_f32_e32 v12, v12, v14
	s_delay_alu instid0(VALU_DEP_1)
	v_add_f32_e32 v12, v12, v13
	s_cbranch_scc1 .LBB659_2
.LBB659_3:
	s_waitcnt lgkmcnt(0)
	s_mov_b32 s6, exec_lo
	v_cmpx_le_i32_e64 v0, v2
	s_cbranch_execz .LBB659_5
; %bb.4:
	s_load_b32 s0, s[0:1], 0x50
	v_lshlrev_b64 v[0:1], 3, v[0:1]
	v_mul_f32_e32 v5, s4, v11
	s_delay_alu instid0(VALU_DEP_1) | instskip(SKIP_2) | instid1(VALU_DEP_1)
	v_dual_mul_f32 v6, s5, v11 :: v_dual_fmac_f32 v5, s5, v12
	s_waitcnt lgkmcnt(0)
	v_mad_i64_i32 v[3:4], null, s0, v2, 0
	v_lshlrev_b64 v[2:3], 3, v[3:4]
	s_delay_alu instid0(VALU_DEP_3) | instskip(NEXT) | instid1(VALU_DEP_2)
	v_fma_f32 v4, v12, s4, -v6
	v_add_co_u32 v2, vcc_lo, s2, v2
	s_delay_alu instid0(VALU_DEP_3) | instskip(NEXT) | instid1(VALU_DEP_2)
	v_add_co_ci_u32_e32 v3, vcc_lo, s3, v3, vcc_lo
	v_add_co_u32 v0, vcc_lo, v2, v0
	s_delay_alu instid0(VALU_DEP_2)
	v_add_co_ci_u32_e32 v1, vcc_lo, v3, v1, vcc_lo
	global_store_b64 v[0:1], v[4:5], off
.LBB659_5:
	s_nop 0
	s_sendmsg sendmsg(MSG_DEALLOC_VGPRS)
	s_endpgm
	.section	.rodata,"a",@progbits
	.p2align	6, 0x0
	.amdhsa_kernel _ZL41rocblas_syrkx_herkx_small_restrict_kernelIi19rocblas_complex_numIfELi16ELb1ELb0ELc78ELc85EKPKS1_KPS1_EviT_T0_PT6_S7_lSA_S7_lS8_PT7_S7_li
		.amdhsa_group_segment_fixed_size 4096
		.amdhsa_private_segment_fixed_size 0
		.amdhsa_kernarg_size 100
		.amdhsa_user_sgpr_count 13
		.amdhsa_user_sgpr_dispatch_ptr 0
		.amdhsa_user_sgpr_queue_ptr 0
		.amdhsa_user_sgpr_kernarg_segment_ptr 1
		.amdhsa_user_sgpr_dispatch_id 0
		.amdhsa_user_sgpr_private_segment_size 0
		.amdhsa_wavefront_size32 1
		.amdhsa_uses_dynamic_stack 0
		.amdhsa_enable_private_segment 0
		.amdhsa_system_sgpr_workgroup_id_x 1
		.amdhsa_system_sgpr_workgroup_id_y 1
		.amdhsa_system_sgpr_workgroup_id_z 1
		.amdhsa_system_sgpr_workgroup_info 0
		.amdhsa_system_vgpr_workitem_id 1
		.amdhsa_next_free_vgpr 86
		.amdhsa_next_free_sgpr 18
		.amdhsa_reserve_vcc 1
		.amdhsa_float_round_mode_32 0
		.amdhsa_float_round_mode_16_64 0
		.amdhsa_float_denorm_mode_32 3
		.amdhsa_float_denorm_mode_16_64 3
		.amdhsa_dx10_clamp 1
		.amdhsa_ieee_mode 1
		.amdhsa_fp16_overflow 0
		.amdhsa_workgroup_processor_mode 1
		.amdhsa_memory_ordered 1
		.amdhsa_forward_progress 0
		.amdhsa_shared_vgpr_count 0
		.amdhsa_exception_fp_ieee_invalid_op 0
		.amdhsa_exception_fp_denorm_src 0
		.amdhsa_exception_fp_ieee_div_zero 0
		.amdhsa_exception_fp_ieee_overflow 0
		.amdhsa_exception_fp_ieee_underflow 0
		.amdhsa_exception_fp_ieee_inexact 0
		.amdhsa_exception_int_div_zero 0
	.end_amdhsa_kernel
	.section	.text._ZL41rocblas_syrkx_herkx_small_restrict_kernelIi19rocblas_complex_numIfELi16ELb1ELb0ELc78ELc85EKPKS1_KPS1_EviT_T0_PT6_S7_lSA_S7_lS8_PT7_S7_li,"axG",@progbits,_ZL41rocblas_syrkx_herkx_small_restrict_kernelIi19rocblas_complex_numIfELi16ELb1ELb0ELc78ELc85EKPKS1_KPS1_EviT_T0_PT6_S7_lSA_S7_lS8_PT7_S7_li,comdat
.Lfunc_end659:
	.size	_ZL41rocblas_syrkx_herkx_small_restrict_kernelIi19rocblas_complex_numIfELi16ELb1ELb0ELc78ELc85EKPKS1_KPS1_EviT_T0_PT6_S7_lSA_S7_lS8_PT7_S7_li, .Lfunc_end659-_ZL41rocblas_syrkx_herkx_small_restrict_kernelIi19rocblas_complex_numIfELi16ELb1ELb0ELc78ELc85EKPKS1_KPS1_EviT_T0_PT6_S7_lSA_S7_lS8_PT7_S7_li
                                        ; -- End function
	.section	.AMDGPU.csdata,"",@progbits
; Kernel info:
; codeLenInByte = 1252
; NumSgprs: 20
; NumVgprs: 86
; ScratchSize: 0
; MemoryBound: 0
; FloatMode: 240
; IeeeMode: 1
; LDSByteSize: 4096 bytes/workgroup (compile time only)
; SGPRBlocks: 2
; VGPRBlocks: 10
; NumSGPRsForWavesPerEU: 20
; NumVGPRsForWavesPerEU: 86
; Occupancy: 16
; WaveLimiterHint : 1
; COMPUTE_PGM_RSRC2:SCRATCH_EN: 0
; COMPUTE_PGM_RSRC2:USER_SGPR: 13
; COMPUTE_PGM_RSRC2:TRAP_HANDLER: 0
; COMPUTE_PGM_RSRC2:TGID_X_EN: 1
; COMPUTE_PGM_RSRC2:TGID_Y_EN: 1
; COMPUTE_PGM_RSRC2:TGID_Z_EN: 1
; COMPUTE_PGM_RSRC2:TIDIG_COMP_CNT: 1
	.section	.text._ZL41rocblas_syrkx_herkx_small_restrict_kernelIi19rocblas_complex_numIfELi16ELb0ELb0ELc84ELc76EKPKS1_KPS1_EviT_T0_PT6_S7_lSA_S7_lS8_PT7_S7_li,"axG",@progbits,_ZL41rocblas_syrkx_herkx_small_restrict_kernelIi19rocblas_complex_numIfELi16ELb0ELb0ELc84ELc76EKPKS1_KPS1_EviT_T0_PT6_S7_lSA_S7_lS8_PT7_S7_li,comdat
	.globl	_ZL41rocblas_syrkx_herkx_small_restrict_kernelIi19rocblas_complex_numIfELi16ELb0ELb0ELc84ELc76EKPKS1_KPS1_EviT_T0_PT6_S7_lSA_S7_lS8_PT7_S7_li ; -- Begin function _ZL41rocblas_syrkx_herkx_small_restrict_kernelIi19rocblas_complex_numIfELi16ELb0ELb0ELc84ELc76EKPKS1_KPS1_EviT_T0_PT6_S7_lSA_S7_lS8_PT7_S7_li
	.p2align	8
	.type	_ZL41rocblas_syrkx_herkx_small_restrict_kernelIi19rocblas_complex_numIfELi16ELb0ELb0ELc84ELc76EKPKS1_KPS1_EviT_T0_PT6_S7_lSA_S7_lS8_PT7_S7_li,@function
_ZL41rocblas_syrkx_herkx_small_restrict_kernelIi19rocblas_complex_numIfELi16ELb0ELb0ELc84ELc76EKPKS1_KPS1_EviT_T0_PT6_S7_lSA_S7_lS8_PT7_S7_li: ; @_ZL41rocblas_syrkx_herkx_small_restrict_kernelIi19rocblas_complex_numIfELi16ELb0ELb0ELc84ELc76EKPKS1_KPS1_EviT_T0_PT6_S7_lSA_S7_lS8_PT7_S7_li
; %bb.0:
	s_load_b128 s[4:7], s[0:1], 0x40
	s_mov_b32 s16, s15
	s_mov_b32 s17, 0
	v_dual_mov_b32 v11, 0 :: v_dual_and_b32 v2, 0x3ff, v0
	s_lshl_b64 s[18:19], s[16:17], 3
	v_bfe_u32 v1, v0, 10, 10
	v_mov_b32_e32 v10, 0
	s_delay_alu instid0(VALU_DEP_3) | instskip(NEXT) | instid1(VALU_DEP_3)
	v_lshl_add_u32 v0, s13, 4, v2
	v_lshl_add_u32 v5, s14, 4, v1
	s_waitcnt lgkmcnt(0)
	s_add_u32 s2, s6, s18
	s_load_b32 s6, s[0:1], 0x4
	s_addc_u32 s3, s7, s19
	s_load_b128 s[8:11], s[0:1], 0x8
	s_load_b64 s[2:3], s[2:3], 0x0
	s_waitcnt lgkmcnt(0)
	s_cmp_lt_i32 s6, 1
	s_cbranch_scc1 .LBB660_3
; %bb.1:
	s_clause 0x2
	s_load_b64 s[12:13], s[0:1], 0x28
	s_load_b32 s7, s[0:1], 0x30
	s_load_b32 s14, s[0:1], 0x18
	v_lshlrev_b32_e32 v6, 3, v2
	v_lshlrev_b32_e32 v4, 7, v1
	v_dual_mov_b32 v10, 0 :: v_dual_lshlrev_b32 v13, 3, v1
	s_delay_alu instid0(VALU_DEP_2) | instskip(NEXT) | instid1(VALU_DEP_4)
	v_add_nc_u32_e32 v7, 0x800, v4
	v_add_nc_u32_e32 v8, v6, v4
	s_delay_alu instid0(VALU_DEP_2)
	v_add_nc_u32_e32 v9, v7, v6
	s_waitcnt lgkmcnt(0)
	s_add_u32 s12, s12, s18
	s_addc_u32 s13, s13, s19
	v_mad_i64_i32 v[2:3], null, s7, v5, 0
	s_load_b64 s[12:13], s[12:13], 0x0
	s_add_u32 s10, s10, s18
	s_addc_u32 s11, s11, s19
	v_mad_i64_i32 v[11:12], null, s14, v0, 0
	s_load_b64 s[10:11], s[10:11], 0x0
	s_delay_alu instid0(VALU_DEP_2) | instskip(NEXT) | instid1(VALU_DEP_2)
	v_lshlrev_b64 v[1:2], 3, v[2:3]
	v_lshlrev_b64 v[3:4], 3, v[11:12]
	s_delay_alu instid0(VALU_DEP_2) | instskip(NEXT) | instid1(VALU_DEP_3)
	v_add_co_u32 v1, vcc_lo, v1, v6
	v_add_co_ci_u32_e32 v2, vcc_lo, 0, v2, vcc_lo
	v_mov_b32_e32 v11, 0
	s_delay_alu instid0(VALU_DEP_4)
	v_add_co_u32 v3, vcc_lo, v3, v13
	v_add_co_ci_u32_e32 v4, vcc_lo, 0, v4, vcc_lo
	s_waitcnt lgkmcnt(0)
	v_add_co_u32 v1, vcc_lo, s12, v1
	v_add_co_ci_u32_e32 v2, vcc_lo, s13, v2, vcc_lo
	v_add_co_u32 v3, vcc_lo, s10, v3
	v_add_co_ci_u32_e32 v4, vcc_lo, s11, v4, vcc_lo
.LBB660_2:                              ; =>This Inner Loop Header: Depth=1
	global_load_b64 v[12:13], v[3:4], off
	global_load_b64 v[14:15], v[1:2], off
	v_add_co_u32 v1, vcc_lo, 0x80, v1
	v_add_co_ci_u32_e32 v2, vcc_lo, 0, v2, vcc_lo
	v_add_co_u32 v3, vcc_lo, 0x80, v3
	v_add_co_ci_u32_e32 v4, vcc_lo, 0, v4, vcc_lo
	s_add_i32 s17, s17, 16
	s_waitcnt vmcnt(1)
	ds_store_b64 v8, v[12:13]
	s_waitcnt vmcnt(0)
	ds_store_b64 v9, v[14:15]
	s_waitcnt lgkmcnt(0)
	s_barrier
	buffer_gl0_inv
	ds_load_2addr_b64 v[12:15], v6 offset1:16
	ds_load_b128 v[16:19], v7
	ds_load_b128 v[20:23], v7 offset:16
	ds_load_2addr_b64 v[24:27], v6 offset0:32 offset1:48
	ds_load_2addr_b64 v[28:31], v6 offset0:64 offset1:80
	ds_load_b128 v[32:35], v7 offset:32
	ds_load_b128 v[36:39], v7 offset:48
	ds_load_2addr_b64 v[40:43], v6 offset0:96 offset1:112
	ds_load_2addr_b64 v[44:47], v6 offset0:128 offset1:144
	ds_load_2addr_b64 v[48:51], v6 offset0:160 offset1:176
	ds_load_b128 v[52:55], v7 offset:64
	ds_load_b128 v[56:59], v7 offset:80
	ds_load_2addr_b64 v[60:63], v6 offset0:192 offset1:208
	ds_load_2addr_b64 v[64:67], v6 offset0:224 offset1:240
	ds_load_b128 v[68:71], v7 offset:96
	ds_load_b128 v[72:75], v7 offset:112
	s_cmp_lt_i32 s17, s6
	s_waitcnt lgkmcnt(0)
	s_barrier
	buffer_gl0_inv
	v_dual_mul_f32 v76, v17, v13 :: v_dual_mul_f32 v77, v19, v15
	v_mul_f32_e32 v13, v16, v13
	v_dual_mul_f32 v15, v18, v15 :: v_dual_mul_f32 v78, v21, v25
	v_mul_f32_e32 v25, v20, v25
	s_delay_alu instid0(VALU_DEP_4) | instskip(SKIP_1) | instid1(VALU_DEP_4)
	v_fma_f32 v16, v16, v12, -v76
	v_dual_mul_f32 v79, v23, v27 :: v_dual_mul_f32 v80, v33, v29
	v_fmac_f32_e32 v15, v19, v14
	s_delay_alu instid0(VALU_DEP_4) | instskip(SKIP_4) | instid1(VALU_DEP_4)
	v_fmac_f32_e32 v25, v21, v24
	v_fmac_f32_e32 v13, v17, v12
	v_mul_f32_e32 v83, v39, v43
	v_dual_mul_f32 v27, v22, v27 :: v_dual_mul_f32 v82, v37, v41
	v_mul_f32_e32 v43, v38, v43
	v_add_f32_e32 v10, v10, v13
	v_mul_f32_e32 v29, v32, v29
	v_dual_add_f32 v11, v11, v16 :: v_dual_mul_f32 v16, v72, v65
	v_mul_f32_e32 v17, v54, v47
	s_delay_alu instid0(VALU_DEP_4) | instskip(SKIP_1) | instid1(VALU_DEP_3)
	v_add_f32_e32 v10, v10, v15
	v_dual_mul_f32 v81, v35, v31 :: v_dual_mul_f32 v84, v53, v45
	v_dual_fmac_f32 v16, v73, v64 :: v_dual_fmac_f32 v17, v55, v46
	s_delay_alu instid0(VALU_DEP_3) | instskip(SKIP_3) | instid1(VALU_DEP_4)
	v_dual_fmac_f32 v27, v23, v26 :: v_dual_add_f32 v10, v10, v25
	v_mul_f32_e32 v31, v34, v31
	v_mul_f32_e32 v45, v52, v45
	v_fmac_f32_e32 v29, v33, v28
	v_dual_mul_f32 v41, v36, v41 :: v_dual_add_f32 v10, v10, v27
	v_fma_f32 v12, v18, v14, -v77
	v_dual_mul_f32 v18, v57, v49 :: v_dual_fmac_f32 v31, v35, v30
	v_mul_f32_e32 v14, v55, v47
	s_delay_alu instid0(VALU_DEP_4) | instskip(SKIP_3) | instid1(VALU_DEP_4)
	v_add_f32_e32 v10, v10, v29
	v_mul_f32_e32 v19, v56, v49
	v_add_f32_e32 v11, v11, v12
	v_dual_mul_f32 v12, v75, v67 :: v_dual_fmac_f32 v41, v37, v40
	v_add_f32_e32 v10, v10, v31
	v_mul_f32_e32 v47, v59, v51
	v_fmac_f32_e32 v43, v39, v42
	v_mul_f32_e32 v49, v58, v51
	s_delay_alu instid0(VALU_DEP_4) | instskip(SKIP_2) | instid1(VALU_DEP_4)
	v_dual_fmac_f32 v45, v53, v44 :: v_dual_add_f32 v10, v10, v41
	v_mul_f32_e32 v51, v69, v61
	v_fmac_f32_e32 v19, v57, v48
	v_fmac_f32_e32 v49, v59, v50
	v_mul_f32_e32 v23, v70, v63
	v_add_f32_e32 v10, v10, v43
	v_fma_f32 v20, v20, v24, -v78
	v_mul_f32_e32 v15, v74, v67
	v_fma_f32 v21, v22, v26, -v79
	s_delay_alu instid0(VALU_DEP_4) | instskip(SKIP_1) | instid1(VALU_DEP_4)
	v_dual_fmac_f32 v23, v71, v62 :: v_dual_add_f32 v10, v10, v45
	v_fma_f32 v14, v54, v46, -v14
	v_fmac_f32_e32 v15, v75, v66
	v_fma_f32 v18, v56, v48, -v18
	v_mul_f32_e32 v22, v71, v63
	v_add_f32_e32 v10, v10, v17
	v_mul_f32_e32 v61, v68, v61
	v_fma_f32 v17, v68, v60, -v51
	v_fma_f32 v12, v74, v66, -v12
	s_delay_alu instid0(VALU_DEP_3) | instskip(NEXT) | instid1(VALU_DEP_1)
	v_dual_add_f32 v10, v10, v19 :: v_dual_fmac_f32 v61, v69, v60
	v_add_f32_e32 v10, v10, v49
	s_delay_alu instid0(VALU_DEP_1) | instskip(NEXT) | instid1(VALU_DEP_1)
	v_add_f32_e32 v10, v10, v61
	v_dual_mul_f32 v13, v73, v65 :: v_dual_add_f32 v10, v10, v23
	s_delay_alu instid0(VALU_DEP_1) | instskip(NEXT) | instid1(VALU_DEP_2)
	v_fma_f32 v13, v72, v64, -v13
	v_add_f32_e32 v10, v10, v16
	v_add_f32_e32 v11, v11, v20
	v_fma_f32 v20, v32, v28, -v80
	s_delay_alu instid0(VALU_DEP_2) | instskip(SKIP_1) | instid1(VALU_DEP_2)
	v_dual_add_f32 v10, v10, v15 :: v_dual_add_f32 v11, v11, v21
	v_fma_f32 v21, v34, v30, -v81
	v_add_f32_e32 v11, v11, v20
	v_fma_f32 v20, v36, v40, -v82
	s_delay_alu instid0(VALU_DEP_2) | instskip(SKIP_1) | instid1(VALU_DEP_2)
	v_add_f32_e32 v11, v11, v21
	v_fma_f32 v21, v38, v42, -v83
	v_add_f32_e32 v11, v11, v20
	v_fma_f32 v20, v52, v44, -v84
	s_delay_alu instid0(VALU_DEP_2) | instskip(NEXT) | instid1(VALU_DEP_1)
	v_add_f32_e32 v11, v11, v21
	v_add_f32_e32 v11, v11, v20
	s_delay_alu instid0(VALU_DEP_1) | instskip(SKIP_1) | instid1(VALU_DEP_2)
	v_add_f32_e32 v11, v11, v14
	v_fma_f32 v14, v58, v50, -v47
	v_add_f32_e32 v11, v11, v18
	s_delay_alu instid0(VALU_DEP_1) | instskip(SKIP_1) | instid1(VALU_DEP_2)
	v_add_f32_e32 v11, v11, v14
	v_fma_f32 v14, v70, v62, -v22
	v_add_f32_e32 v11, v11, v17
	s_delay_alu instid0(VALU_DEP_1) | instskip(NEXT) | instid1(VALU_DEP_1)
	v_add_f32_e32 v11, v11, v14
	v_add_f32_e32 v11, v11, v13
	s_delay_alu instid0(VALU_DEP_1)
	v_add_f32_e32 v11, v11, v12
	s_cbranch_scc1 .LBB660_2
.LBB660_3:
	s_mov_b32 s6, exec_lo
	v_cmpx_le_i32_e64 v5, v0
	s_cbranch_execz .LBB660_5
; %bb.4:
	s_load_b32 s0, s[0:1], 0x50
	v_ashrrev_i32_e32 v1, 31, v0
	s_delay_alu instid0(VALU_DEP_1) | instskip(SKIP_2) | instid1(VALU_DEP_1)
	v_lshlrev_b64 v[0:1], 3, v[0:1]
	s_waitcnt lgkmcnt(0)
	v_mad_i64_i32 v[2:3], null, s0, v5, 0
	v_lshlrev_b64 v[2:3], 3, v[2:3]
	s_delay_alu instid0(VALU_DEP_1) | instskip(NEXT) | instid1(VALU_DEP_2)
	v_add_co_u32 v2, vcc_lo, s2, v2
	v_add_co_ci_u32_e32 v3, vcc_lo, s3, v3, vcc_lo
	s_delay_alu instid0(VALU_DEP_2) | instskip(NEXT) | instid1(VALU_DEP_2)
	v_add_co_u32 v0, vcc_lo, v2, v0
	v_add_co_ci_u32_e32 v1, vcc_lo, v3, v1, vcc_lo
	global_load_b64 v[2:3], v[0:1], off
	v_mul_f32_e32 v4, s9, v10
	s_waitcnt vmcnt(0)
	v_dual_mul_f32 v5, s8, v10 :: v_dual_mul_f32 v6, s5, v3
	v_mul_f32_e32 v3, s4, v3
	s_delay_alu instid0(VALU_DEP_3) | instskip(NEXT) | instid1(VALU_DEP_3)
	v_fma_f32 v4, v11, s8, -v4
	v_fma_f32 v6, v2, s4, -v6
	s_delay_alu instid0(VALU_DEP_4) | instskip(NEXT) | instid1(VALU_DEP_4)
	v_fmac_f32_e32 v5, s9, v11
	v_fmac_f32_e32 v3, s5, v2
	s_delay_alu instid0(VALU_DEP_1)
	v_dual_add_f32 v2, v4, v6 :: v_dual_add_f32 v3, v5, v3
	global_store_b64 v[0:1], v[2:3], off
.LBB660_5:
	s_nop 0
	s_sendmsg sendmsg(MSG_DEALLOC_VGPRS)
	s_endpgm
	.section	.rodata,"a",@progbits
	.p2align	6, 0x0
	.amdhsa_kernel _ZL41rocblas_syrkx_herkx_small_restrict_kernelIi19rocblas_complex_numIfELi16ELb0ELb0ELc84ELc76EKPKS1_KPS1_EviT_T0_PT6_S7_lSA_S7_lS8_PT7_S7_li
		.amdhsa_group_segment_fixed_size 4096
		.amdhsa_private_segment_fixed_size 0
		.amdhsa_kernarg_size 100
		.amdhsa_user_sgpr_count 13
		.amdhsa_user_sgpr_dispatch_ptr 0
		.amdhsa_user_sgpr_queue_ptr 0
		.amdhsa_user_sgpr_kernarg_segment_ptr 1
		.amdhsa_user_sgpr_dispatch_id 0
		.amdhsa_user_sgpr_private_segment_size 0
		.amdhsa_wavefront_size32 1
		.amdhsa_uses_dynamic_stack 0
		.amdhsa_enable_private_segment 0
		.amdhsa_system_sgpr_workgroup_id_x 1
		.amdhsa_system_sgpr_workgroup_id_y 1
		.amdhsa_system_sgpr_workgroup_id_z 1
		.amdhsa_system_sgpr_workgroup_info 0
		.amdhsa_system_vgpr_workitem_id 1
		.amdhsa_next_free_vgpr 85
		.amdhsa_next_free_sgpr 20
		.amdhsa_reserve_vcc 1
		.amdhsa_float_round_mode_32 0
		.amdhsa_float_round_mode_16_64 0
		.amdhsa_float_denorm_mode_32 3
		.amdhsa_float_denorm_mode_16_64 3
		.amdhsa_dx10_clamp 1
		.amdhsa_ieee_mode 1
		.amdhsa_fp16_overflow 0
		.amdhsa_workgroup_processor_mode 1
		.amdhsa_memory_ordered 1
		.amdhsa_forward_progress 0
		.amdhsa_shared_vgpr_count 0
		.amdhsa_exception_fp_ieee_invalid_op 0
		.amdhsa_exception_fp_denorm_src 0
		.amdhsa_exception_fp_ieee_div_zero 0
		.amdhsa_exception_fp_ieee_overflow 0
		.amdhsa_exception_fp_ieee_underflow 0
		.amdhsa_exception_fp_ieee_inexact 0
		.amdhsa_exception_int_div_zero 0
	.end_amdhsa_kernel
	.section	.text._ZL41rocblas_syrkx_herkx_small_restrict_kernelIi19rocblas_complex_numIfELi16ELb0ELb0ELc84ELc76EKPKS1_KPS1_EviT_T0_PT6_S7_lSA_S7_lS8_PT7_S7_li,"axG",@progbits,_ZL41rocblas_syrkx_herkx_small_restrict_kernelIi19rocblas_complex_numIfELi16ELb0ELb0ELc84ELc76EKPKS1_KPS1_EviT_T0_PT6_S7_lSA_S7_lS8_PT7_S7_li,comdat
.Lfunc_end660:
	.size	_ZL41rocblas_syrkx_herkx_small_restrict_kernelIi19rocblas_complex_numIfELi16ELb0ELb0ELc84ELc76EKPKS1_KPS1_EviT_T0_PT6_S7_lSA_S7_lS8_PT7_S7_li, .Lfunc_end660-_ZL41rocblas_syrkx_herkx_small_restrict_kernelIi19rocblas_complex_numIfELi16ELb0ELb0ELc84ELc76EKPKS1_KPS1_EviT_T0_PT6_S7_lSA_S7_lS8_PT7_S7_li
                                        ; -- End function
	.section	.AMDGPU.csdata,"",@progbits
; Kernel info:
; codeLenInByte = 1260
; NumSgprs: 22
; NumVgprs: 85
; ScratchSize: 0
; MemoryBound: 0
; FloatMode: 240
; IeeeMode: 1
; LDSByteSize: 4096 bytes/workgroup (compile time only)
; SGPRBlocks: 2
; VGPRBlocks: 10
; NumSGPRsForWavesPerEU: 22
; NumVGPRsForWavesPerEU: 85
; Occupancy: 16
; WaveLimiterHint : 1
; COMPUTE_PGM_RSRC2:SCRATCH_EN: 0
; COMPUTE_PGM_RSRC2:USER_SGPR: 13
; COMPUTE_PGM_RSRC2:TRAP_HANDLER: 0
; COMPUTE_PGM_RSRC2:TGID_X_EN: 1
; COMPUTE_PGM_RSRC2:TGID_Y_EN: 1
; COMPUTE_PGM_RSRC2:TGID_Z_EN: 1
; COMPUTE_PGM_RSRC2:TIDIG_COMP_CNT: 1
	.section	.text._ZL41rocblas_syrkx_herkx_small_restrict_kernelIi19rocblas_complex_numIfELi16ELb0ELb0ELc67ELc76EKPKS1_KPS1_EviT_T0_PT6_S7_lSA_S7_lS8_PT7_S7_li,"axG",@progbits,_ZL41rocblas_syrkx_herkx_small_restrict_kernelIi19rocblas_complex_numIfELi16ELb0ELb0ELc67ELc76EKPKS1_KPS1_EviT_T0_PT6_S7_lSA_S7_lS8_PT7_S7_li,comdat
	.globl	_ZL41rocblas_syrkx_herkx_small_restrict_kernelIi19rocblas_complex_numIfELi16ELb0ELb0ELc67ELc76EKPKS1_KPS1_EviT_T0_PT6_S7_lSA_S7_lS8_PT7_S7_li ; -- Begin function _ZL41rocblas_syrkx_herkx_small_restrict_kernelIi19rocblas_complex_numIfELi16ELb0ELb0ELc67ELc76EKPKS1_KPS1_EviT_T0_PT6_S7_lSA_S7_lS8_PT7_S7_li
	.p2align	8
	.type	_ZL41rocblas_syrkx_herkx_small_restrict_kernelIi19rocblas_complex_numIfELi16ELb0ELb0ELc67ELc76EKPKS1_KPS1_EviT_T0_PT6_S7_lSA_S7_lS8_PT7_S7_li,@function
_ZL41rocblas_syrkx_herkx_small_restrict_kernelIi19rocblas_complex_numIfELi16ELb0ELb0ELc67ELc76EKPKS1_KPS1_EviT_T0_PT6_S7_lSA_S7_lS8_PT7_S7_li: ; @_ZL41rocblas_syrkx_herkx_small_restrict_kernelIi19rocblas_complex_numIfELi16ELb0ELb0ELc67ELc76EKPKS1_KPS1_EviT_T0_PT6_S7_lSA_S7_lS8_PT7_S7_li
; %bb.0:
	s_load_b128 s[4:7], s[0:1], 0x40
	s_mov_b32 s16, s15
	s_mov_b32 s17, 0
	v_dual_mov_b32 v11, 0 :: v_dual_and_b32 v2, 0x3ff, v0
	s_lshl_b64 s[18:19], s[16:17], 3
	v_bfe_u32 v1, v0, 10, 10
	v_mov_b32_e32 v10, 0
	s_delay_alu instid0(VALU_DEP_3) | instskip(NEXT) | instid1(VALU_DEP_3)
	v_lshl_add_u32 v0, s13, 4, v2
	v_lshl_add_u32 v5, s14, 4, v1
	s_waitcnt lgkmcnt(0)
	s_add_u32 s2, s6, s18
	s_load_b32 s6, s[0:1], 0x4
	s_addc_u32 s3, s7, s19
	s_load_b128 s[8:11], s[0:1], 0x8
	s_load_b64 s[2:3], s[2:3], 0x0
	s_waitcnt lgkmcnt(0)
	s_cmp_lt_i32 s6, 1
	s_cbranch_scc1 .LBB661_3
; %bb.1:
	s_clause 0x2
	s_load_b64 s[12:13], s[0:1], 0x28
	s_load_b32 s7, s[0:1], 0x18
	s_load_b32 s14, s[0:1], 0x30
	v_lshlrev_b32_e32 v8, 7, v1
	v_lshlrev_b32_e32 v6, 3, v2
	v_dual_mov_b32 v10, 0 :: v_dual_lshlrev_b32 v13, 3, v1
	s_waitcnt lgkmcnt(0)
	s_add_u32 s12, s12, s18
	s_addc_u32 s13, s13, s19
	s_add_u32 s10, s10, s18
	s_addc_u32 s11, s11, s19
	v_mad_i64_i32 v[3:4], null, s7, v0, 0
	s_load_b64 s[10:11], s[10:11], 0x0
	v_mad_i64_i32 v[11:12], null, s14, v5, 0
	s_load_b64 s[12:13], s[12:13], 0x0
	s_delay_alu instid0(VALU_DEP_2) | instskip(NEXT) | instid1(VALU_DEP_2)
	v_lshlrev_b64 v[1:2], 3, v[3:4]
	v_lshlrev_b64 v[3:4], 3, v[11:12]
	s_delay_alu instid0(VALU_DEP_2) | instskip(NEXT) | instid1(VALU_DEP_3)
	v_add_co_u32 v1, vcc_lo, v1, v13
	v_add_co_ci_u32_e32 v2, vcc_lo, 0, v2, vcc_lo
	s_delay_alu instid0(VALU_DEP_3) | instskip(NEXT) | instid1(VALU_DEP_4)
	v_add_co_u32 v3, vcc_lo, v3, v6
	v_add_co_ci_u32_e32 v4, vcc_lo, 0, v4, vcc_lo
	s_waitcnt lgkmcnt(0)
	v_add_co_u32 v11, vcc_lo, v1, s10
	v_add_co_ci_u32_e32 v12, vcc_lo, s11, v2, vcc_lo
	v_add_co_u32 v1, vcc_lo, s12, v3
	v_add_co_ci_u32_e32 v2, vcc_lo, s13, v4, vcc_lo
	s_delay_alu instid0(VALU_DEP_4) | instskip(SKIP_4) | instid1(VALU_DEP_3)
	v_add_co_u32 v3, vcc_lo, v11, 4
	v_mov_b32_e32 v11, 0
	v_add_nc_u32_e32 v7, 0x800, v8
	v_add_nc_u32_e32 v8, v6, v8
	v_add_co_ci_u32_e32 v4, vcc_lo, 0, v12, vcc_lo
	v_add_nc_u32_e32 v9, v7, v6
.LBB661_2:                              ; =>This Inner Loop Header: Depth=1
	global_load_b64 v[12:13], v[3:4], off offset:-4
	global_load_b64 v[14:15], v[1:2], off
	v_add_co_u32 v1, vcc_lo, 0x80, v1
	v_add_co_ci_u32_e32 v2, vcc_lo, 0, v2, vcc_lo
	v_add_co_u32 v3, vcc_lo, 0x80, v3
	v_add_co_ci_u32_e32 v4, vcc_lo, 0, v4, vcc_lo
	s_add_i32 s17, s17, 16
	s_waitcnt vmcnt(1)
	ds_store_b64 v8, v[12:13]
	s_waitcnt vmcnt(0)
	ds_store_b64 v9, v[14:15]
	s_waitcnt lgkmcnt(0)
	s_barrier
	buffer_gl0_inv
	ds_load_2addr_b64 v[12:15], v6 offset1:16
	ds_load_b128 v[16:19], v7
	ds_load_b128 v[20:23], v7 offset:16
	ds_load_2addr_b64 v[24:27], v6 offset0:32 offset1:48
	ds_load_2addr_b64 v[28:31], v6 offset0:64 offset1:80
	ds_load_b128 v[32:35], v7 offset:32
	ds_load_b128 v[36:39], v7 offset:48
	ds_load_2addr_b64 v[40:43], v6 offset0:96 offset1:112
	ds_load_2addr_b64 v[44:47], v6 offset0:128 offset1:144
	;; [unrolled: 1-line block ×3, first 2 shown]
	ds_load_b128 v[52:55], v7 offset:64
	ds_load_b128 v[56:59], v7 offset:80
	ds_load_2addr_b64 v[60:63], v6 offset0:192 offset1:208
	ds_load_2addr_b64 v[64:67], v6 offset0:224 offset1:240
	ds_load_b128 v[68:71], v7 offset:96
	ds_load_b128 v[72:75], v7 offset:112
	s_cmp_lt_i32 s17, s6
	s_waitcnt lgkmcnt(0)
	s_barrier
	buffer_gl0_inv
	v_dual_mul_f32 v76, v17, v13 :: v_dual_mul_f32 v77, v19, v15
	v_mul_f32_e32 v13, v16, v13
	v_dual_mul_f32 v15, v18, v15 :: v_dual_mul_f32 v78, v21, v25
	v_mul_f32_e32 v25, v20, v25
	s_delay_alu instid0(VALU_DEP_4) | instskip(SKIP_1) | instid1(VALU_DEP_4)
	v_fma_f32 v16, v16, v12, -v76
	v_dual_mul_f32 v79, v23, v27 :: v_dual_mul_f32 v80, v33, v29
	v_fmac_f32_e32 v15, v19, v14
	s_delay_alu instid0(VALU_DEP_4) | instskip(SKIP_4) | instid1(VALU_DEP_4)
	v_fmac_f32_e32 v25, v21, v24
	v_fmac_f32_e32 v13, v17, v12
	v_mul_f32_e32 v83, v39, v43
	v_dual_mul_f32 v27, v22, v27 :: v_dual_mul_f32 v82, v37, v41
	v_mul_f32_e32 v43, v38, v43
	v_add_f32_e32 v10, v10, v13
	v_mul_f32_e32 v29, v32, v29
	v_dual_add_f32 v11, v11, v16 :: v_dual_mul_f32 v16, v72, v65
	v_mul_f32_e32 v17, v54, v47
	s_delay_alu instid0(VALU_DEP_4) | instskip(SKIP_1) | instid1(VALU_DEP_3)
	v_add_f32_e32 v10, v10, v15
	v_dual_mul_f32 v81, v35, v31 :: v_dual_mul_f32 v84, v53, v45
	v_dual_fmac_f32 v16, v73, v64 :: v_dual_fmac_f32 v17, v55, v46
	s_delay_alu instid0(VALU_DEP_3) | instskip(SKIP_3) | instid1(VALU_DEP_4)
	v_dual_fmac_f32 v27, v23, v26 :: v_dual_add_f32 v10, v10, v25
	v_mul_f32_e32 v31, v34, v31
	v_mul_f32_e32 v45, v52, v45
	v_fmac_f32_e32 v29, v33, v28
	v_dual_mul_f32 v41, v36, v41 :: v_dual_add_f32 v10, v10, v27
	v_fma_f32 v12, v18, v14, -v77
	v_dual_mul_f32 v18, v57, v49 :: v_dual_fmac_f32 v31, v35, v30
	v_mul_f32_e32 v14, v55, v47
	s_delay_alu instid0(VALU_DEP_4) | instskip(SKIP_3) | instid1(VALU_DEP_4)
	v_add_f32_e32 v10, v10, v29
	v_mul_f32_e32 v19, v56, v49
	v_add_f32_e32 v11, v11, v12
	v_dual_mul_f32 v12, v75, v67 :: v_dual_fmac_f32 v41, v37, v40
	v_add_f32_e32 v10, v10, v31
	v_mul_f32_e32 v47, v59, v51
	v_fmac_f32_e32 v43, v39, v42
	v_mul_f32_e32 v49, v58, v51
	s_delay_alu instid0(VALU_DEP_4) | instskip(SKIP_2) | instid1(VALU_DEP_4)
	v_dual_fmac_f32 v45, v53, v44 :: v_dual_add_f32 v10, v10, v41
	v_mul_f32_e32 v51, v69, v61
	v_fmac_f32_e32 v19, v57, v48
	v_fmac_f32_e32 v49, v59, v50
	v_mul_f32_e32 v23, v70, v63
	v_add_f32_e32 v10, v10, v43
	v_fma_f32 v20, v20, v24, -v78
	v_mul_f32_e32 v15, v74, v67
	v_fma_f32 v21, v22, v26, -v79
	s_delay_alu instid0(VALU_DEP_4) | instskip(SKIP_1) | instid1(VALU_DEP_4)
	v_dual_fmac_f32 v23, v71, v62 :: v_dual_add_f32 v10, v10, v45
	v_fma_f32 v14, v54, v46, -v14
	v_fmac_f32_e32 v15, v75, v66
	v_fma_f32 v18, v56, v48, -v18
	v_mul_f32_e32 v22, v71, v63
	v_add_f32_e32 v10, v10, v17
	v_mul_f32_e32 v61, v68, v61
	v_fma_f32 v17, v68, v60, -v51
	v_fma_f32 v12, v74, v66, -v12
	s_delay_alu instid0(VALU_DEP_3) | instskip(NEXT) | instid1(VALU_DEP_1)
	v_dual_add_f32 v10, v10, v19 :: v_dual_fmac_f32 v61, v69, v60
	v_add_f32_e32 v10, v10, v49
	s_delay_alu instid0(VALU_DEP_1) | instskip(NEXT) | instid1(VALU_DEP_1)
	v_add_f32_e32 v10, v10, v61
	v_dual_mul_f32 v13, v73, v65 :: v_dual_add_f32 v10, v10, v23
	s_delay_alu instid0(VALU_DEP_1) | instskip(NEXT) | instid1(VALU_DEP_2)
	v_fma_f32 v13, v72, v64, -v13
	v_add_f32_e32 v10, v10, v16
	v_add_f32_e32 v11, v11, v20
	v_fma_f32 v20, v32, v28, -v80
	s_delay_alu instid0(VALU_DEP_2) | instskip(SKIP_1) | instid1(VALU_DEP_2)
	v_dual_add_f32 v10, v10, v15 :: v_dual_add_f32 v11, v11, v21
	v_fma_f32 v21, v34, v30, -v81
	v_add_f32_e32 v11, v11, v20
	v_fma_f32 v20, v36, v40, -v82
	s_delay_alu instid0(VALU_DEP_2) | instskip(SKIP_1) | instid1(VALU_DEP_2)
	v_add_f32_e32 v11, v11, v21
	v_fma_f32 v21, v38, v42, -v83
	v_add_f32_e32 v11, v11, v20
	v_fma_f32 v20, v52, v44, -v84
	s_delay_alu instid0(VALU_DEP_2) | instskip(NEXT) | instid1(VALU_DEP_1)
	v_add_f32_e32 v11, v11, v21
	v_add_f32_e32 v11, v11, v20
	s_delay_alu instid0(VALU_DEP_1) | instskip(SKIP_1) | instid1(VALU_DEP_2)
	v_add_f32_e32 v11, v11, v14
	v_fma_f32 v14, v58, v50, -v47
	v_add_f32_e32 v11, v11, v18
	s_delay_alu instid0(VALU_DEP_1) | instskip(SKIP_1) | instid1(VALU_DEP_2)
	v_add_f32_e32 v11, v11, v14
	v_fma_f32 v14, v70, v62, -v22
	v_add_f32_e32 v11, v11, v17
	s_delay_alu instid0(VALU_DEP_1) | instskip(NEXT) | instid1(VALU_DEP_1)
	v_add_f32_e32 v11, v11, v14
	v_add_f32_e32 v11, v11, v13
	s_delay_alu instid0(VALU_DEP_1)
	v_add_f32_e32 v11, v11, v12
	s_cbranch_scc1 .LBB661_2
.LBB661_3:
	s_mov_b32 s6, exec_lo
	v_cmpx_le_i32_e64 v5, v0
	s_cbranch_execz .LBB661_5
; %bb.4:
	s_load_b32 s0, s[0:1], 0x50
	v_ashrrev_i32_e32 v1, 31, v0
	s_delay_alu instid0(VALU_DEP_1) | instskip(SKIP_2) | instid1(VALU_DEP_1)
	v_lshlrev_b64 v[0:1], 3, v[0:1]
	s_waitcnt lgkmcnt(0)
	v_mad_i64_i32 v[2:3], null, s0, v5, 0
	v_lshlrev_b64 v[2:3], 3, v[2:3]
	s_delay_alu instid0(VALU_DEP_1) | instskip(NEXT) | instid1(VALU_DEP_2)
	v_add_co_u32 v2, vcc_lo, s2, v2
	v_add_co_ci_u32_e32 v3, vcc_lo, s3, v3, vcc_lo
	s_delay_alu instid0(VALU_DEP_2) | instskip(NEXT) | instid1(VALU_DEP_2)
	v_add_co_u32 v0, vcc_lo, v2, v0
	v_add_co_ci_u32_e32 v1, vcc_lo, v3, v1, vcc_lo
	global_load_b64 v[2:3], v[0:1], off
	v_mul_f32_e32 v4, s9, v10
	s_waitcnt vmcnt(0)
	v_dual_mul_f32 v5, s8, v10 :: v_dual_mul_f32 v6, s5, v3
	v_mul_f32_e32 v3, s4, v3
	s_delay_alu instid0(VALU_DEP_3) | instskip(NEXT) | instid1(VALU_DEP_3)
	v_fma_f32 v4, v11, s8, -v4
	v_fma_f32 v6, v2, s4, -v6
	s_delay_alu instid0(VALU_DEP_4) | instskip(NEXT) | instid1(VALU_DEP_4)
	v_fmac_f32_e32 v5, s9, v11
	v_fmac_f32_e32 v3, s5, v2
	s_delay_alu instid0(VALU_DEP_1)
	v_dual_add_f32 v2, v4, v6 :: v_dual_add_f32 v3, v5, v3
	global_store_b64 v[0:1], v[2:3], off
.LBB661_5:
	s_nop 0
	s_sendmsg sendmsg(MSG_DEALLOC_VGPRS)
	s_endpgm
	.section	.rodata,"a",@progbits
	.p2align	6, 0x0
	.amdhsa_kernel _ZL41rocblas_syrkx_herkx_small_restrict_kernelIi19rocblas_complex_numIfELi16ELb0ELb0ELc67ELc76EKPKS1_KPS1_EviT_T0_PT6_S7_lSA_S7_lS8_PT7_S7_li
		.amdhsa_group_segment_fixed_size 4096
		.amdhsa_private_segment_fixed_size 0
		.amdhsa_kernarg_size 100
		.amdhsa_user_sgpr_count 13
		.amdhsa_user_sgpr_dispatch_ptr 0
		.amdhsa_user_sgpr_queue_ptr 0
		.amdhsa_user_sgpr_kernarg_segment_ptr 1
		.amdhsa_user_sgpr_dispatch_id 0
		.amdhsa_user_sgpr_private_segment_size 0
		.amdhsa_wavefront_size32 1
		.amdhsa_uses_dynamic_stack 0
		.amdhsa_enable_private_segment 0
		.amdhsa_system_sgpr_workgroup_id_x 1
		.amdhsa_system_sgpr_workgroup_id_y 1
		.amdhsa_system_sgpr_workgroup_id_z 1
		.amdhsa_system_sgpr_workgroup_info 0
		.amdhsa_system_vgpr_workitem_id 1
		.amdhsa_next_free_vgpr 85
		.amdhsa_next_free_sgpr 20
		.amdhsa_reserve_vcc 1
		.amdhsa_float_round_mode_32 0
		.amdhsa_float_round_mode_16_64 0
		.amdhsa_float_denorm_mode_32 3
		.amdhsa_float_denorm_mode_16_64 3
		.amdhsa_dx10_clamp 1
		.amdhsa_ieee_mode 1
		.amdhsa_fp16_overflow 0
		.amdhsa_workgroup_processor_mode 1
		.amdhsa_memory_ordered 1
		.amdhsa_forward_progress 0
		.amdhsa_shared_vgpr_count 0
		.amdhsa_exception_fp_ieee_invalid_op 0
		.amdhsa_exception_fp_denorm_src 0
		.amdhsa_exception_fp_ieee_div_zero 0
		.amdhsa_exception_fp_ieee_overflow 0
		.amdhsa_exception_fp_ieee_underflow 0
		.amdhsa_exception_fp_ieee_inexact 0
		.amdhsa_exception_int_div_zero 0
	.end_amdhsa_kernel
	.section	.text._ZL41rocblas_syrkx_herkx_small_restrict_kernelIi19rocblas_complex_numIfELi16ELb0ELb0ELc67ELc76EKPKS1_KPS1_EviT_T0_PT6_S7_lSA_S7_lS8_PT7_S7_li,"axG",@progbits,_ZL41rocblas_syrkx_herkx_small_restrict_kernelIi19rocblas_complex_numIfELi16ELb0ELb0ELc67ELc76EKPKS1_KPS1_EviT_T0_PT6_S7_lSA_S7_lS8_PT7_S7_li,comdat
.Lfunc_end661:
	.size	_ZL41rocblas_syrkx_herkx_small_restrict_kernelIi19rocblas_complex_numIfELi16ELb0ELb0ELc67ELc76EKPKS1_KPS1_EviT_T0_PT6_S7_lSA_S7_lS8_PT7_S7_li, .Lfunc_end661-_ZL41rocblas_syrkx_herkx_small_restrict_kernelIi19rocblas_complex_numIfELi16ELb0ELb0ELc67ELc76EKPKS1_KPS1_EviT_T0_PT6_S7_lSA_S7_lS8_PT7_S7_li
                                        ; -- End function
	.section	.AMDGPU.csdata,"",@progbits
; Kernel info:
; codeLenInByte = 1268
; NumSgprs: 22
; NumVgprs: 85
; ScratchSize: 0
; MemoryBound: 0
; FloatMode: 240
; IeeeMode: 1
; LDSByteSize: 4096 bytes/workgroup (compile time only)
; SGPRBlocks: 2
; VGPRBlocks: 10
; NumSGPRsForWavesPerEU: 22
; NumVGPRsForWavesPerEU: 85
; Occupancy: 16
; WaveLimiterHint : 1
; COMPUTE_PGM_RSRC2:SCRATCH_EN: 0
; COMPUTE_PGM_RSRC2:USER_SGPR: 13
; COMPUTE_PGM_RSRC2:TRAP_HANDLER: 0
; COMPUTE_PGM_RSRC2:TGID_X_EN: 1
; COMPUTE_PGM_RSRC2:TGID_Y_EN: 1
; COMPUTE_PGM_RSRC2:TGID_Z_EN: 1
; COMPUTE_PGM_RSRC2:TIDIG_COMP_CNT: 1
	.section	.text._ZL41rocblas_syrkx_herkx_small_restrict_kernelIi19rocblas_complex_numIfELi16ELb0ELb0ELc78ELc76EKPKS1_KPS1_EviT_T0_PT6_S7_lSA_S7_lS8_PT7_S7_li,"axG",@progbits,_ZL41rocblas_syrkx_herkx_small_restrict_kernelIi19rocblas_complex_numIfELi16ELb0ELb0ELc78ELc76EKPKS1_KPS1_EviT_T0_PT6_S7_lSA_S7_lS8_PT7_S7_li,comdat
	.globl	_ZL41rocblas_syrkx_herkx_small_restrict_kernelIi19rocblas_complex_numIfELi16ELb0ELb0ELc78ELc76EKPKS1_KPS1_EviT_T0_PT6_S7_lSA_S7_lS8_PT7_S7_li ; -- Begin function _ZL41rocblas_syrkx_herkx_small_restrict_kernelIi19rocblas_complex_numIfELi16ELb0ELb0ELc78ELc76EKPKS1_KPS1_EviT_T0_PT6_S7_lSA_S7_lS8_PT7_S7_li
	.p2align	8
	.type	_ZL41rocblas_syrkx_herkx_small_restrict_kernelIi19rocblas_complex_numIfELi16ELb0ELb0ELc78ELc76EKPKS1_KPS1_EviT_T0_PT6_S7_lSA_S7_lS8_PT7_S7_li,@function
_ZL41rocblas_syrkx_herkx_small_restrict_kernelIi19rocblas_complex_numIfELi16ELb0ELb0ELc78ELc76EKPKS1_KPS1_EviT_T0_PT6_S7_lSA_S7_lS8_PT7_S7_li: ; @_ZL41rocblas_syrkx_herkx_small_restrict_kernelIi19rocblas_complex_numIfELi16ELb0ELb0ELc78ELc76EKPKS1_KPS1_EviT_T0_PT6_S7_lSA_S7_lS8_PT7_S7_li
; %bb.0:
	s_clause 0x1
	s_load_b128 s[4:7], s[0:1], 0x40
	s_load_b32 s12, s[0:1], 0x4
	s_mov_b32 s16, s15
	s_mov_b32 s17, 0
	v_dual_mov_b32 v12, 0 :: v_dual_and_b32 v5, 0x3ff, v0
	s_lshl_b64 s[18:19], s[16:17], 3
	v_bfe_u32 v4, v0, 10, 10
	v_mov_b32_e32 v11, 0
	s_delay_alu instid0(VALU_DEP_3) | instskip(NEXT) | instid1(VALU_DEP_3)
	v_lshl_add_u32 v0, s13, 4, v5
	v_lshl_add_u32 v2, s14, 4, v4
	s_delay_alu instid0(VALU_DEP_2)
	v_ashrrev_i32_e32 v1, 31, v0
	s_waitcnt lgkmcnt(0)
	s_add_u32 s2, s6, s18
	s_addc_u32 s3, s7, s19
	s_load_b128 s[8:11], s[0:1], 0x8
	s_load_b64 s[2:3], s[2:3], 0x0
	s_cmp_lt_i32 s12, 1
	s_cbranch_scc1 .LBB662_3
; %bb.1:
	s_clause 0x2
	s_load_b32 s14, s[0:1], 0x18
	s_load_b32 s6, s[0:1], 0x30
	s_load_b64 s[20:21], s[0:1], 0x28
	v_lshlrev_b32_e32 v7, 3, v5
	v_ashrrev_i32_e32 v3, 31, v2
	v_dual_mov_b32 v11, 0 :: v_dual_lshlrev_b32 v16, 7, v4
	v_lshlrev_b64 v[12:13], 3, v[0:1]
	s_delay_alu instid0(VALU_DEP_2)
	v_add_nc_u32_e32 v8, 0x800, v16
	s_waitcnt lgkmcnt(0)
	s_ashr_i32 s15, s14, 31
	s_ashr_i32 s7, s6, 31
	s_add_u32 s20, s20, s18
	s_addc_u32 s21, s21, s19
	v_mad_i64_i32 v[9:10], null, s6, v5, 0
	s_load_b64 s[20:21], s[20:21], 0x0
	s_add_u32 s10, s10, s18
	s_addc_u32 s11, s11, s19
	v_mad_i64_i32 v[5:6], null, s14, v4, 0
	s_load_b64 s[10:11], s[10:11], 0x0
	v_lshlrev_b64 v[3:4], 3, v[2:3]
	s_delay_alu instid0(VALU_DEP_3) | instskip(SKIP_1) | instid1(VALU_DEP_3)
	v_lshlrev_b64 v[14:15], 3, v[9:10]
	s_lshl_b64 s[6:7], s[6:7], 7
	v_lshlrev_b64 v[5:6], 3, v[5:6]
	s_delay_alu instid0(VALU_DEP_2) | instskip(NEXT) | instid1(VALU_DEP_3)
	v_add_co_u32 v3, vcc_lo, v14, v3
	v_add_co_ci_u32_e32 v4, vcc_lo, v15, v4, vcc_lo
	s_delay_alu instid0(VALU_DEP_3) | instskip(NEXT) | instid1(VALU_DEP_4)
	v_add_co_u32 v5, vcc_lo, v5, v12
	v_add_co_ci_u32_e32 v6, vcc_lo, v6, v13, vcc_lo
	s_waitcnt lgkmcnt(0)
	v_add_co_u32 v12, vcc_lo, v3, s20
	v_add_co_ci_u32_e32 v13, vcc_lo, s21, v4, vcc_lo
	v_add_co_u32 v3, vcc_lo, s10, v5
	v_add_co_ci_u32_e32 v4, vcc_lo, s11, v6, vcc_lo
	s_delay_alu instid0(VALU_DEP_4) | instskip(NEXT) | instid1(VALU_DEP_4)
	v_add_co_u32 v5, vcc_lo, v12, 4
	v_add_co_ci_u32_e32 v6, vcc_lo, 0, v13, vcc_lo
	v_dual_mov_b32 v12, 0 :: v_dual_add_nc_u32 v9, v7, v16
	v_add_nc_u32_e32 v10, v8, v7
	s_lshl_b64 s[10:11], s[14:15], 7
.LBB662_2:                              ; =>This Inner Loop Header: Depth=1
	global_load_b64 v[13:14], v[3:4], off
	global_load_b64 v[15:16], v[5:6], off offset:-4
	v_add_co_u32 v5, vcc_lo, v5, s6
	v_add_co_ci_u32_e32 v6, vcc_lo, s7, v6, vcc_lo
	v_add_co_u32 v3, vcc_lo, v3, s10
	v_add_co_ci_u32_e32 v4, vcc_lo, s11, v4, vcc_lo
	s_add_i32 s17, s17, 16
	s_waitcnt vmcnt(1)
	ds_store_b64 v9, v[13:14]
	s_waitcnt vmcnt(0)
	ds_store_b64 v10, v[15:16]
	s_waitcnt lgkmcnt(0)
	s_barrier
	buffer_gl0_inv
	ds_load_2addr_b64 v[13:16], v7 offset1:16
	ds_load_b128 v[17:20], v8
	ds_load_b128 v[21:24], v8 offset:16
	ds_load_2addr_b64 v[25:28], v7 offset0:32 offset1:48
	ds_load_2addr_b64 v[29:32], v7 offset0:64 offset1:80
	ds_load_b128 v[33:36], v8 offset:32
	ds_load_b128 v[37:40], v8 offset:48
	ds_load_2addr_b64 v[41:44], v7 offset0:96 offset1:112
	ds_load_2addr_b64 v[45:48], v7 offset0:128 offset1:144
	;; [unrolled: 1-line block ×3, first 2 shown]
	ds_load_b128 v[53:56], v8 offset:64
	ds_load_b128 v[57:60], v8 offset:80
	ds_load_2addr_b64 v[61:64], v7 offset0:192 offset1:208
	ds_load_2addr_b64 v[65:68], v7 offset0:224 offset1:240
	ds_load_b128 v[69:72], v8 offset:96
	ds_load_b128 v[73:76], v8 offset:112
	s_cmp_lt_i32 s17, s12
	s_waitcnt lgkmcnt(0)
	s_barrier
	buffer_gl0_inv
	v_dual_mul_f32 v77, v18, v14 :: v_dual_mul_f32 v78, v20, v16
	v_mul_f32_e32 v14, v17, v14
	v_dual_mul_f32 v16, v19, v16 :: v_dual_mul_f32 v79, v22, v26
	v_mul_f32_e32 v26, v21, v26
	s_delay_alu instid0(VALU_DEP_4) | instskip(SKIP_1) | instid1(VALU_DEP_4)
	v_fma_f32 v17, v17, v13, -v77
	v_dual_mul_f32 v80, v24, v28 :: v_dual_mul_f32 v81, v34, v30
	v_fmac_f32_e32 v16, v20, v15
	s_delay_alu instid0(VALU_DEP_4) | instskip(SKIP_4) | instid1(VALU_DEP_4)
	v_fmac_f32_e32 v26, v22, v25
	v_fmac_f32_e32 v14, v18, v13
	v_mul_f32_e32 v84, v40, v44
	v_dual_mul_f32 v28, v23, v28 :: v_dual_mul_f32 v83, v38, v42
	v_mul_f32_e32 v44, v39, v44
	v_add_f32_e32 v11, v11, v14
	v_mul_f32_e32 v30, v33, v30
	v_dual_add_f32 v12, v12, v17 :: v_dual_mul_f32 v17, v73, v66
	v_mul_f32_e32 v18, v55, v48
	s_delay_alu instid0(VALU_DEP_4) | instskip(SKIP_1) | instid1(VALU_DEP_3)
	v_add_f32_e32 v11, v11, v16
	v_dual_mul_f32 v82, v36, v32 :: v_dual_mul_f32 v85, v54, v46
	v_dual_fmac_f32 v17, v74, v65 :: v_dual_fmac_f32 v18, v56, v47
	s_delay_alu instid0(VALU_DEP_3) | instskip(SKIP_3) | instid1(VALU_DEP_4)
	v_dual_fmac_f32 v28, v24, v27 :: v_dual_add_f32 v11, v11, v26
	v_mul_f32_e32 v32, v35, v32
	v_mul_f32_e32 v46, v53, v46
	v_fmac_f32_e32 v30, v34, v29
	v_dual_mul_f32 v42, v37, v42 :: v_dual_add_f32 v11, v11, v28
	v_fma_f32 v13, v19, v15, -v78
	v_dual_mul_f32 v19, v58, v50 :: v_dual_fmac_f32 v32, v36, v31
	v_mul_f32_e32 v15, v56, v48
	s_delay_alu instid0(VALU_DEP_4) | instskip(SKIP_3) | instid1(VALU_DEP_4)
	v_add_f32_e32 v11, v11, v30
	v_mul_f32_e32 v20, v57, v50
	v_add_f32_e32 v12, v12, v13
	v_dual_mul_f32 v13, v76, v68 :: v_dual_fmac_f32 v42, v38, v41
	v_add_f32_e32 v11, v11, v32
	v_mul_f32_e32 v48, v60, v52
	v_fmac_f32_e32 v44, v40, v43
	v_mul_f32_e32 v50, v59, v52
	s_delay_alu instid0(VALU_DEP_4) | instskip(SKIP_2) | instid1(VALU_DEP_4)
	v_dual_fmac_f32 v46, v54, v45 :: v_dual_add_f32 v11, v11, v42
	v_mul_f32_e32 v52, v70, v62
	v_fmac_f32_e32 v20, v58, v49
	v_fmac_f32_e32 v50, v60, v51
	v_mul_f32_e32 v24, v71, v64
	v_add_f32_e32 v11, v11, v44
	v_fma_f32 v21, v21, v25, -v79
	v_mul_f32_e32 v16, v75, v68
	v_fma_f32 v22, v23, v27, -v80
	s_delay_alu instid0(VALU_DEP_4) | instskip(SKIP_1) | instid1(VALU_DEP_4)
	v_dual_fmac_f32 v24, v72, v63 :: v_dual_add_f32 v11, v11, v46
	v_fma_f32 v15, v55, v47, -v15
	v_fmac_f32_e32 v16, v76, v67
	v_fma_f32 v19, v57, v49, -v19
	v_mul_f32_e32 v23, v72, v64
	v_add_f32_e32 v11, v11, v18
	v_mul_f32_e32 v62, v69, v62
	v_fma_f32 v18, v69, v61, -v52
	v_fma_f32 v13, v75, v67, -v13
	s_delay_alu instid0(VALU_DEP_3) | instskip(NEXT) | instid1(VALU_DEP_1)
	v_dual_add_f32 v11, v11, v20 :: v_dual_fmac_f32 v62, v70, v61
	v_add_f32_e32 v11, v11, v50
	s_delay_alu instid0(VALU_DEP_1) | instskip(NEXT) | instid1(VALU_DEP_1)
	v_add_f32_e32 v11, v11, v62
	v_dual_mul_f32 v14, v74, v66 :: v_dual_add_f32 v11, v11, v24
	s_delay_alu instid0(VALU_DEP_1) | instskip(NEXT) | instid1(VALU_DEP_2)
	v_fma_f32 v14, v73, v65, -v14
	v_add_f32_e32 v11, v11, v17
	v_add_f32_e32 v12, v12, v21
	v_fma_f32 v21, v33, v29, -v81
	s_delay_alu instid0(VALU_DEP_2) | instskip(SKIP_1) | instid1(VALU_DEP_2)
	v_dual_add_f32 v11, v11, v16 :: v_dual_add_f32 v12, v12, v22
	v_fma_f32 v22, v35, v31, -v82
	v_add_f32_e32 v12, v12, v21
	v_fma_f32 v21, v37, v41, -v83
	s_delay_alu instid0(VALU_DEP_2) | instskip(SKIP_1) | instid1(VALU_DEP_2)
	v_add_f32_e32 v12, v12, v22
	v_fma_f32 v22, v39, v43, -v84
	v_add_f32_e32 v12, v12, v21
	v_fma_f32 v21, v53, v45, -v85
	s_delay_alu instid0(VALU_DEP_2) | instskip(NEXT) | instid1(VALU_DEP_1)
	v_add_f32_e32 v12, v12, v22
	v_add_f32_e32 v12, v12, v21
	s_delay_alu instid0(VALU_DEP_1) | instskip(SKIP_1) | instid1(VALU_DEP_2)
	v_add_f32_e32 v12, v12, v15
	v_fma_f32 v15, v59, v51, -v48
	v_add_f32_e32 v12, v12, v19
	s_delay_alu instid0(VALU_DEP_1) | instskip(SKIP_1) | instid1(VALU_DEP_2)
	v_add_f32_e32 v12, v12, v15
	v_fma_f32 v15, v71, v63, -v23
	v_add_f32_e32 v12, v12, v18
	s_delay_alu instid0(VALU_DEP_1) | instskip(NEXT) | instid1(VALU_DEP_1)
	v_add_f32_e32 v12, v12, v15
	v_add_f32_e32 v12, v12, v14
	s_delay_alu instid0(VALU_DEP_1)
	v_add_f32_e32 v12, v12, v13
	s_cbranch_scc1 .LBB662_2
.LBB662_3:
	s_mov_b32 s6, exec_lo
	v_cmpx_le_i32_e64 v2, v0
	s_cbranch_execz .LBB662_5
; %bb.4:
	s_load_b32 s0, s[0:1], 0x50
	v_lshlrev_b64 v[0:1], 3, v[0:1]
	s_waitcnt lgkmcnt(0)
	v_mad_i64_i32 v[3:4], null, s0, v2, 0
	s_delay_alu instid0(VALU_DEP_1) | instskip(NEXT) | instid1(VALU_DEP_1)
	v_lshlrev_b64 v[2:3], 3, v[3:4]
	v_add_co_u32 v2, vcc_lo, s2, v2
	s_delay_alu instid0(VALU_DEP_2) | instskip(NEXT) | instid1(VALU_DEP_2)
	v_add_co_ci_u32_e32 v3, vcc_lo, s3, v3, vcc_lo
	v_add_co_u32 v0, vcc_lo, v2, v0
	s_delay_alu instid0(VALU_DEP_2) | instskip(SKIP_4) | instid1(VALU_DEP_1)
	v_add_co_ci_u32_e32 v1, vcc_lo, v3, v1, vcc_lo
	global_load_b64 v[2:3], v[0:1], off
	s_waitcnt vmcnt(0)
	v_mul_f32_e32 v6, s5, v3
	v_mul_f32_e32 v3, s4, v3
	v_fmac_f32_e32 v3, s5, v2
	s_delay_alu instid0(VALU_DEP_3) | instskip(SKIP_1) | instid1(VALU_DEP_1)
	v_fma_f32 v6, v2, s4, -v6
	v_mul_f32_e32 v5, s8, v11
	v_dual_mul_f32 v4, s9, v11 :: v_dual_fmac_f32 v5, s9, v12
	s_delay_alu instid0(VALU_DEP_1) | instskip(NEXT) | instid1(VALU_DEP_1)
	v_fma_f32 v4, v12, s8, -v4
	v_dual_add_f32 v3, v5, v3 :: v_dual_add_f32 v2, v4, v6
	global_store_b64 v[0:1], v[2:3], off
.LBB662_5:
	s_nop 0
	s_sendmsg sendmsg(MSG_DEALLOC_VGPRS)
	s_endpgm
	.section	.rodata,"a",@progbits
	.p2align	6, 0x0
	.amdhsa_kernel _ZL41rocblas_syrkx_herkx_small_restrict_kernelIi19rocblas_complex_numIfELi16ELb0ELb0ELc78ELc76EKPKS1_KPS1_EviT_T0_PT6_S7_lSA_S7_lS8_PT7_S7_li
		.amdhsa_group_segment_fixed_size 4096
		.amdhsa_private_segment_fixed_size 0
		.amdhsa_kernarg_size 100
		.amdhsa_user_sgpr_count 13
		.amdhsa_user_sgpr_dispatch_ptr 0
		.amdhsa_user_sgpr_queue_ptr 0
		.amdhsa_user_sgpr_kernarg_segment_ptr 1
		.amdhsa_user_sgpr_dispatch_id 0
		.amdhsa_user_sgpr_private_segment_size 0
		.amdhsa_wavefront_size32 1
		.amdhsa_uses_dynamic_stack 0
		.amdhsa_enable_private_segment 0
		.amdhsa_system_sgpr_workgroup_id_x 1
		.amdhsa_system_sgpr_workgroup_id_y 1
		.amdhsa_system_sgpr_workgroup_id_z 1
		.amdhsa_system_sgpr_workgroup_info 0
		.amdhsa_system_vgpr_workitem_id 1
		.amdhsa_next_free_vgpr 86
		.amdhsa_next_free_sgpr 22
		.amdhsa_reserve_vcc 1
		.amdhsa_float_round_mode_32 0
		.amdhsa_float_round_mode_16_64 0
		.amdhsa_float_denorm_mode_32 3
		.amdhsa_float_denorm_mode_16_64 3
		.amdhsa_dx10_clamp 1
		.amdhsa_ieee_mode 1
		.amdhsa_fp16_overflow 0
		.amdhsa_workgroup_processor_mode 1
		.amdhsa_memory_ordered 1
		.amdhsa_forward_progress 0
		.amdhsa_shared_vgpr_count 0
		.amdhsa_exception_fp_ieee_invalid_op 0
		.amdhsa_exception_fp_denorm_src 0
		.amdhsa_exception_fp_ieee_div_zero 0
		.amdhsa_exception_fp_ieee_overflow 0
		.amdhsa_exception_fp_ieee_underflow 0
		.amdhsa_exception_fp_ieee_inexact 0
		.amdhsa_exception_int_div_zero 0
	.end_amdhsa_kernel
	.section	.text._ZL41rocblas_syrkx_herkx_small_restrict_kernelIi19rocblas_complex_numIfELi16ELb0ELb0ELc78ELc76EKPKS1_KPS1_EviT_T0_PT6_S7_lSA_S7_lS8_PT7_S7_li,"axG",@progbits,_ZL41rocblas_syrkx_herkx_small_restrict_kernelIi19rocblas_complex_numIfELi16ELb0ELb0ELc78ELc76EKPKS1_KPS1_EviT_T0_PT6_S7_lSA_S7_lS8_PT7_S7_li,comdat
.Lfunc_end662:
	.size	_ZL41rocblas_syrkx_herkx_small_restrict_kernelIi19rocblas_complex_numIfELi16ELb0ELb0ELc78ELc76EKPKS1_KPS1_EviT_T0_PT6_S7_lSA_S7_lS8_PT7_S7_li, .Lfunc_end662-_ZL41rocblas_syrkx_herkx_small_restrict_kernelIi19rocblas_complex_numIfELi16ELb0ELb0ELc78ELc76EKPKS1_KPS1_EviT_T0_PT6_S7_lSA_S7_lS8_PT7_S7_li
                                        ; -- End function
	.section	.AMDGPU.csdata,"",@progbits
; Kernel info:
; codeLenInByte = 1296
; NumSgprs: 24
; NumVgprs: 86
; ScratchSize: 0
; MemoryBound: 0
; FloatMode: 240
; IeeeMode: 1
; LDSByteSize: 4096 bytes/workgroup (compile time only)
; SGPRBlocks: 2
; VGPRBlocks: 10
; NumSGPRsForWavesPerEU: 24
; NumVGPRsForWavesPerEU: 86
; Occupancy: 16
; WaveLimiterHint : 1
; COMPUTE_PGM_RSRC2:SCRATCH_EN: 0
; COMPUTE_PGM_RSRC2:USER_SGPR: 13
; COMPUTE_PGM_RSRC2:TRAP_HANDLER: 0
; COMPUTE_PGM_RSRC2:TGID_X_EN: 1
; COMPUTE_PGM_RSRC2:TGID_Y_EN: 1
; COMPUTE_PGM_RSRC2:TGID_Z_EN: 1
; COMPUTE_PGM_RSRC2:TIDIG_COMP_CNT: 1
	.section	.text._ZL41rocblas_syrkx_herkx_small_restrict_kernelIi19rocblas_complex_numIfELi16ELb0ELb0ELc84ELc85EKPKS1_KPS1_EviT_T0_PT6_S7_lSA_S7_lS8_PT7_S7_li,"axG",@progbits,_ZL41rocblas_syrkx_herkx_small_restrict_kernelIi19rocblas_complex_numIfELi16ELb0ELb0ELc84ELc85EKPKS1_KPS1_EviT_T0_PT6_S7_lSA_S7_lS8_PT7_S7_li,comdat
	.globl	_ZL41rocblas_syrkx_herkx_small_restrict_kernelIi19rocblas_complex_numIfELi16ELb0ELb0ELc84ELc85EKPKS1_KPS1_EviT_T0_PT6_S7_lSA_S7_lS8_PT7_S7_li ; -- Begin function _ZL41rocblas_syrkx_herkx_small_restrict_kernelIi19rocblas_complex_numIfELi16ELb0ELb0ELc84ELc85EKPKS1_KPS1_EviT_T0_PT6_S7_lSA_S7_lS8_PT7_S7_li
	.p2align	8
	.type	_ZL41rocblas_syrkx_herkx_small_restrict_kernelIi19rocblas_complex_numIfELi16ELb0ELb0ELc84ELc85EKPKS1_KPS1_EviT_T0_PT6_S7_lSA_S7_lS8_PT7_S7_li,@function
_ZL41rocblas_syrkx_herkx_small_restrict_kernelIi19rocblas_complex_numIfELi16ELb0ELb0ELc84ELc85EKPKS1_KPS1_EviT_T0_PT6_S7_lSA_S7_lS8_PT7_S7_li: ; @_ZL41rocblas_syrkx_herkx_small_restrict_kernelIi19rocblas_complex_numIfELi16ELb0ELb0ELc84ELc85EKPKS1_KPS1_EviT_T0_PT6_S7_lSA_S7_lS8_PT7_S7_li
; %bb.0:
	s_load_b128 s[4:7], s[0:1], 0x40
	s_mov_b32 s16, s15
	s_mov_b32 s17, 0
	v_dual_mov_b32 v11, 0 :: v_dual_and_b32 v2, 0x3ff, v0
	s_lshl_b64 s[18:19], s[16:17], 3
	v_bfe_u32 v1, v0, 10, 10
	v_mov_b32_e32 v10, 0
	s_delay_alu instid0(VALU_DEP_3) | instskip(NEXT) | instid1(VALU_DEP_3)
	v_lshl_add_u32 v0, s13, 4, v2
	v_lshl_add_u32 v5, s14, 4, v1
	s_waitcnt lgkmcnt(0)
	s_add_u32 s2, s6, s18
	s_load_b32 s6, s[0:1], 0x4
	s_addc_u32 s3, s7, s19
	s_load_b128 s[8:11], s[0:1], 0x8
	s_load_b64 s[2:3], s[2:3], 0x0
	s_waitcnt lgkmcnt(0)
	s_cmp_lt_i32 s6, 1
	s_cbranch_scc1 .LBB663_3
; %bb.1:
	s_clause 0x2
	s_load_b64 s[12:13], s[0:1], 0x28
	s_load_b32 s7, s[0:1], 0x30
	s_load_b32 s14, s[0:1], 0x18
	v_lshlrev_b32_e32 v6, 3, v2
	v_lshlrev_b32_e32 v4, 7, v1
	v_dual_mov_b32 v10, 0 :: v_dual_lshlrev_b32 v13, 3, v1
	s_delay_alu instid0(VALU_DEP_2) | instskip(NEXT) | instid1(VALU_DEP_4)
	v_add_nc_u32_e32 v7, 0x800, v4
	v_add_nc_u32_e32 v8, v6, v4
	s_delay_alu instid0(VALU_DEP_2)
	v_add_nc_u32_e32 v9, v7, v6
	s_waitcnt lgkmcnt(0)
	s_add_u32 s12, s12, s18
	s_addc_u32 s13, s13, s19
	v_mad_i64_i32 v[2:3], null, s7, v5, 0
	s_load_b64 s[12:13], s[12:13], 0x0
	s_add_u32 s10, s10, s18
	s_addc_u32 s11, s11, s19
	v_mad_i64_i32 v[11:12], null, s14, v0, 0
	s_load_b64 s[10:11], s[10:11], 0x0
	s_delay_alu instid0(VALU_DEP_2) | instskip(NEXT) | instid1(VALU_DEP_2)
	v_lshlrev_b64 v[1:2], 3, v[2:3]
	v_lshlrev_b64 v[3:4], 3, v[11:12]
	s_delay_alu instid0(VALU_DEP_2) | instskip(NEXT) | instid1(VALU_DEP_3)
	v_add_co_u32 v1, vcc_lo, v1, v6
	v_add_co_ci_u32_e32 v2, vcc_lo, 0, v2, vcc_lo
	v_mov_b32_e32 v11, 0
	s_delay_alu instid0(VALU_DEP_4)
	v_add_co_u32 v3, vcc_lo, v3, v13
	v_add_co_ci_u32_e32 v4, vcc_lo, 0, v4, vcc_lo
	s_waitcnt lgkmcnt(0)
	v_add_co_u32 v1, vcc_lo, s12, v1
	v_add_co_ci_u32_e32 v2, vcc_lo, s13, v2, vcc_lo
	v_add_co_u32 v3, vcc_lo, s10, v3
	v_add_co_ci_u32_e32 v4, vcc_lo, s11, v4, vcc_lo
.LBB663_2:                              ; =>This Inner Loop Header: Depth=1
	global_load_b64 v[12:13], v[3:4], off
	global_load_b64 v[14:15], v[1:2], off
	v_add_co_u32 v1, vcc_lo, 0x80, v1
	v_add_co_ci_u32_e32 v2, vcc_lo, 0, v2, vcc_lo
	v_add_co_u32 v3, vcc_lo, 0x80, v3
	v_add_co_ci_u32_e32 v4, vcc_lo, 0, v4, vcc_lo
	s_add_i32 s17, s17, 16
	s_waitcnt vmcnt(1)
	ds_store_b64 v8, v[12:13]
	s_waitcnt vmcnt(0)
	ds_store_b64 v9, v[14:15]
	s_waitcnt lgkmcnt(0)
	s_barrier
	buffer_gl0_inv
	ds_load_2addr_b64 v[12:15], v6 offset1:16
	ds_load_b128 v[16:19], v7
	ds_load_b128 v[20:23], v7 offset:16
	ds_load_2addr_b64 v[24:27], v6 offset0:32 offset1:48
	ds_load_2addr_b64 v[28:31], v6 offset0:64 offset1:80
	ds_load_b128 v[32:35], v7 offset:32
	ds_load_b128 v[36:39], v7 offset:48
	ds_load_2addr_b64 v[40:43], v6 offset0:96 offset1:112
	ds_load_2addr_b64 v[44:47], v6 offset0:128 offset1:144
	;; [unrolled: 1-line block ×3, first 2 shown]
	ds_load_b128 v[52:55], v7 offset:64
	ds_load_b128 v[56:59], v7 offset:80
	ds_load_2addr_b64 v[60:63], v6 offset0:192 offset1:208
	ds_load_2addr_b64 v[64:67], v6 offset0:224 offset1:240
	ds_load_b128 v[68:71], v7 offset:96
	ds_load_b128 v[72:75], v7 offset:112
	s_cmp_lt_i32 s17, s6
	s_waitcnt lgkmcnt(0)
	s_barrier
	buffer_gl0_inv
	v_dual_mul_f32 v76, v17, v13 :: v_dual_mul_f32 v77, v19, v15
	v_mul_f32_e32 v13, v16, v13
	v_dual_mul_f32 v15, v18, v15 :: v_dual_mul_f32 v78, v21, v25
	v_mul_f32_e32 v25, v20, v25
	s_delay_alu instid0(VALU_DEP_4) | instskip(SKIP_1) | instid1(VALU_DEP_4)
	v_fma_f32 v16, v16, v12, -v76
	v_dual_mul_f32 v79, v23, v27 :: v_dual_mul_f32 v80, v33, v29
	v_fmac_f32_e32 v15, v19, v14
	s_delay_alu instid0(VALU_DEP_4) | instskip(SKIP_4) | instid1(VALU_DEP_4)
	v_fmac_f32_e32 v25, v21, v24
	v_fmac_f32_e32 v13, v17, v12
	v_mul_f32_e32 v83, v39, v43
	v_dual_mul_f32 v27, v22, v27 :: v_dual_mul_f32 v82, v37, v41
	v_mul_f32_e32 v43, v38, v43
	v_add_f32_e32 v10, v10, v13
	v_mul_f32_e32 v29, v32, v29
	v_dual_add_f32 v11, v11, v16 :: v_dual_mul_f32 v16, v72, v65
	v_mul_f32_e32 v17, v54, v47
	s_delay_alu instid0(VALU_DEP_4) | instskip(SKIP_1) | instid1(VALU_DEP_3)
	v_add_f32_e32 v10, v10, v15
	v_dual_mul_f32 v81, v35, v31 :: v_dual_mul_f32 v84, v53, v45
	v_dual_fmac_f32 v16, v73, v64 :: v_dual_fmac_f32 v17, v55, v46
	s_delay_alu instid0(VALU_DEP_3) | instskip(SKIP_3) | instid1(VALU_DEP_4)
	v_dual_fmac_f32 v27, v23, v26 :: v_dual_add_f32 v10, v10, v25
	v_mul_f32_e32 v31, v34, v31
	v_mul_f32_e32 v45, v52, v45
	v_fmac_f32_e32 v29, v33, v28
	v_dual_mul_f32 v41, v36, v41 :: v_dual_add_f32 v10, v10, v27
	v_fma_f32 v12, v18, v14, -v77
	v_dual_mul_f32 v18, v57, v49 :: v_dual_fmac_f32 v31, v35, v30
	v_mul_f32_e32 v14, v55, v47
	s_delay_alu instid0(VALU_DEP_4) | instskip(SKIP_3) | instid1(VALU_DEP_4)
	v_add_f32_e32 v10, v10, v29
	v_mul_f32_e32 v19, v56, v49
	v_add_f32_e32 v11, v11, v12
	v_dual_mul_f32 v12, v75, v67 :: v_dual_fmac_f32 v41, v37, v40
	v_add_f32_e32 v10, v10, v31
	v_mul_f32_e32 v47, v59, v51
	v_fmac_f32_e32 v43, v39, v42
	v_mul_f32_e32 v49, v58, v51
	s_delay_alu instid0(VALU_DEP_4) | instskip(SKIP_2) | instid1(VALU_DEP_4)
	v_dual_fmac_f32 v45, v53, v44 :: v_dual_add_f32 v10, v10, v41
	v_mul_f32_e32 v51, v69, v61
	v_fmac_f32_e32 v19, v57, v48
	v_fmac_f32_e32 v49, v59, v50
	v_mul_f32_e32 v23, v70, v63
	v_add_f32_e32 v10, v10, v43
	v_fma_f32 v20, v20, v24, -v78
	v_mul_f32_e32 v15, v74, v67
	v_fma_f32 v21, v22, v26, -v79
	s_delay_alu instid0(VALU_DEP_4) | instskip(SKIP_1) | instid1(VALU_DEP_4)
	v_dual_fmac_f32 v23, v71, v62 :: v_dual_add_f32 v10, v10, v45
	v_fma_f32 v14, v54, v46, -v14
	v_fmac_f32_e32 v15, v75, v66
	v_fma_f32 v18, v56, v48, -v18
	v_mul_f32_e32 v22, v71, v63
	v_add_f32_e32 v10, v10, v17
	v_mul_f32_e32 v61, v68, v61
	v_fma_f32 v17, v68, v60, -v51
	v_fma_f32 v12, v74, v66, -v12
	s_delay_alu instid0(VALU_DEP_3) | instskip(NEXT) | instid1(VALU_DEP_1)
	v_dual_add_f32 v10, v10, v19 :: v_dual_fmac_f32 v61, v69, v60
	v_add_f32_e32 v10, v10, v49
	s_delay_alu instid0(VALU_DEP_1) | instskip(NEXT) | instid1(VALU_DEP_1)
	v_add_f32_e32 v10, v10, v61
	v_dual_mul_f32 v13, v73, v65 :: v_dual_add_f32 v10, v10, v23
	s_delay_alu instid0(VALU_DEP_1) | instskip(NEXT) | instid1(VALU_DEP_2)
	v_fma_f32 v13, v72, v64, -v13
	v_add_f32_e32 v10, v10, v16
	v_add_f32_e32 v11, v11, v20
	v_fma_f32 v20, v32, v28, -v80
	s_delay_alu instid0(VALU_DEP_2) | instskip(SKIP_1) | instid1(VALU_DEP_2)
	v_dual_add_f32 v10, v10, v15 :: v_dual_add_f32 v11, v11, v21
	v_fma_f32 v21, v34, v30, -v81
	v_add_f32_e32 v11, v11, v20
	v_fma_f32 v20, v36, v40, -v82
	s_delay_alu instid0(VALU_DEP_2) | instskip(SKIP_1) | instid1(VALU_DEP_2)
	v_add_f32_e32 v11, v11, v21
	v_fma_f32 v21, v38, v42, -v83
	v_add_f32_e32 v11, v11, v20
	v_fma_f32 v20, v52, v44, -v84
	s_delay_alu instid0(VALU_DEP_2) | instskip(NEXT) | instid1(VALU_DEP_1)
	v_add_f32_e32 v11, v11, v21
	v_add_f32_e32 v11, v11, v20
	s_delay_alu instid0(VALU_DEP_1) | instskip(SKIP_1) | instid1(VALU_DEP_2)
	v_add_f32_e32 v11, v11, v14
	v_fma_f32 v14, v58, v50, -v47
	v_add_f32_e32 v11, v11, v18
	s_delay_alu instid0(VALU_DEP_1) | instskip(SKIP_1) | instid1(VALU_DEP_2)
	v_add_f32_e32 v11, v11, v14
	v_fma_f32 v14, v70, v62, -v22
	v_add_f32_e32 v11, v11, v17
	s_delay_alu instid0(VALU_DEP_1) | instskip(NEXT) | instid1(VALU_DEP_1)
	v_add_f32_e32 v11, v11, v14
	v_add_f32_e32 v11, v11, v13
	s_delay_alu instid0(VALU_DEP_1)
	v_add_f32_e32 v11, v11, v12
	s_cbranch_scc1 .LBB663_2
.LBB663_3:
	s_mov_b32 s6, exec_lo
	v_cmpx_le_i32_e64 v0, v5
	s_cbranch_execz .LBB663_5
; %bb.4:
	s_load_b32 s0, s[0:1], 0x50
	v_ashrrev_i32_e32 v1, 31, v0
	s_delay_alu instid0(VALU_DEP_1) | instskip(SKIP_2) | instid1(VALU_DEP_1)
	v_lshlrev_b64 v[0:1], 3, v[0:1]
	s_waitcnt lgkmcnt(0)
	v_mad_i64_i32 v[2:3], null, s0, v5, 0
	v_lshlrev_b64 v[2:3], 3, v[2:3]
	s_delay_alu instid0(VALU_DEP_1) | instskip(NEXT) | instid1(VALU_DEP_2)
	v_add_co_u32 v2, vcc_lo, s2, v2
	v_add_co_ci_u32_e32 v3, vcc_lo, s3, v3, vcc_lo
	s_delay_alu instid0(VALU_DEP_2) | instskip(NEXT) | instid1(VALU_DEP_2)
	v_add_co_u32 v0, vcc_lo, v2, v0
	v_add_co_ci_u32_e32 v1, vcc_lo, v3, v1, vcc_lo
	global_load_b64 v[2:3], v[0:1], off
	v_mul_f32_e32 v4, s9, v10
	s_waitcnt vmcnt(0)
	v_dual_mul_f32 v5, s8, v10 :: v_dual_mul_f32 v6, s5, v3
	v_mul_f32_e32 v3, s4, v3
	s_delay_alu instid0(VALU_DEP_3) | instskip(NEXT) | instid1(VALU_DEP_3)
	v_fma_f32 v4, v11, s8, -v4
	v_fma_f32 v6, v2, s4, -v6
	s_delay_alu instid0(VALU_DEP_4) | instskip(NEXT) | instid1(VALU_DEP_4)
	v_fmac_f32_e32 v5, s9, v11
	v_fmac_f32_e32 v3, s5, v2
	s_delay_alu instid0(VALU_DEP_1)
	v_dual_add_f32 v2, v4, v6 :: v_dual_add_f32 v3, v5, v3
	global_store_b64 v[0:1], v[2:3], off
.LBB663_5:
	s_nop 0
	s_sendmsg sendmsg(MSG_DEALLOC_VGPRS)
	s_endpgm
	.section	.rodata,"a",@progbits
	.p2align	6, 0x0
	.amdhsa_kernel _ZL41rocblas_syrkx_herkx_small_restrict_kernelIi19rocblas_complex_numIfELi16ELb0ELb0ELc84ELc85EKPKS1_KPS1_EviT_T0_PT6_S7_lSA_S7_lS8_PT7_S7_li
		.amdhsa_group_segment_fixed_size 4096
		.amdhsa_private_segment_fixed_size 0
		.amdhsa_kernarg_size 100
		.amdhsa_user_sgpr_count 13
		.amdhsa_user_sgpr_dispatch_ptr 0
		.amdhsa_user_sgpr_queue_ptr 0
		.amdhsa_user_sgpr_kernarg_segment_ptr 1
		.amdhsa_user_sgpr_dispatch_id 0
		.amdhsa_user_sgpr_private_segment_size 0
		.amdhsa_wavefront_size32 1
		.amdhsa_uses_dynamic_stack 0
		.amdhsa_enable_private_segment 0
		.amdhsa_system_sgpr_workgroup_id_x 1
		.amdhsa_system_sgpr_workgroup_id_y 1
		.amdhsa_system_sgpr_workgroup_id_z 1
		.amdhsa_system_sgpr_workgroup_info 0
		.amdhsa_system_vgpr_workitem_id 1
		.amdhsa_next_free_vgpr 85
		.amdhsa_next_free_sgpr 20
		.amdhsa_reserve_vcc 1
		.amdhsa_float_round_mode_32 0
		.amdhsa_float_round_mode_16_64 0
		.amdhsa_float_denorm_mode_32 3
		.amdhsa_float_denorm_mode_16_64 3
		.amdhsa_dx10_clamp 1
		.amdhsa_ieee_mode 1
		.amdhsa_fp16_overflow 0
		.amdhsa_workgroup_processor_mode 1
		.amdhsa_memory_ordered 1
		.amdhsa_forward_progress 0
		.amdhsa_shared_vgpr_count 0
		.amdhsa_exception_fp_ieee_invalid_op 0
		.amdhsa_exception_fp_denorm_src 0
		.amdhsa_exception_fp_ieee_div_zero 0
		.amdhsa_exception_fp_ieee_overflow 0
		.amdhsa_exception_fp_ieee_underflow 0
		.amdhsa_exception_fp_ieee_inexact 0
		.amdhsa_exception_int_div_zero 0
	.end_amdhsa_kernel
	.section	.text._ZL41rocblas_syrkx_herkx_small_restrict_kernelIi19rocblas_complex_numIfELi16ELb0ELb0ELc84ELc85EKPKS1_KPS1_EviT_T0_PT6_S7_lSA_S7_lS8_PT7_S7_li,"axG",@progbits,_ZL41rocblas_syrkx_herkx_small_restrict_kernelIi19rocblas_complex_numIfELi16ELb0ELb0ELc84ELc85EKPKS1_KPS1_EviT_T0_PT6_S7_lSA_S7_lS8_PT7_S7_li,comdat
.Lfunc_end663:
	.size	_ZL41rocblas_syrkx_herkx_small_restrict_kernelIi19rocblas_complex_numIfELi16ELb0ELb0ELc84ELc85EKPKS1_KPS1_EviT_T0_PT6_S7_lSA_S7_lS8_PT7_S7_li, .Lfunc_end663-_ZL41rocblas_syrkx_herkx_small_restrict_kernelIi19rocblas_complex_numIfELi16ELb0ELb0ELc84ELc85EKPKS1_KPS1_EviT_T0_PT6_S7_lSA_S7_lS8_PT7_S7_li
                                        ; -- End function
	.section	.AMDGPU.csdata,"",@progbits
; Kernel info:
; codeLenInByte = 1260
; NumSgprs: 22
; NumVgprs: 85
; ScratchSize: 0
; MemoryBound: 0
; FloatMode: 240
; IeeeMode: 1
; LDSByteSize: 4096 bytes/workgroup (compile time only)
; SGPRBlocks: 2
; VGPRBlocks: 10
; NumSGPRsForWavesPerEU: 22
; NumVGPRsForWavesPerEU: 85
; Occupancy: 16
; WaveLimiterHint : 1
; COMPUTE_PGM_RSRC2:SCRATCH_EN: 0
; COMPUTE_PGM_RSRC2:USER_SGPR: 13
; COMPUTE_PGM_RSRC2:TRAP_HANDLER: 0
; COMPUTE_PGM_RSRC2:TGID_X_EN: 1
; COMPUTE_PGM_RSRC2:TGID_Y_EN: 1
; COMPUTE_PGM_RSRC2:TGID_Z_EN: 1
; COMPUTE_PGM_RSRC2:TIDIG_COMP_CNT: 1
	.section	.text._ZL41rocblas_syrkx_herkx_small_restrict_kernelIi19rocblas_complex_numIfELi16ELb0ELb0ELc67ELc85EKPKS1_KPS1_EviT_T0_PT6_S7_lSA_S7_lS8_PT7_S7_li,"axG",@progbits,_ZL41rocblas_syrkx_herkx_small_restrict_kernelIi19rocblas_complex_numIfELi16ELb0ELb0ELc67ELc85EKPKS1_KPS1_EviT_T0_PT6_S7_lSA_S7_lS8_PT7_S7_li,comdat
	.globl	_ZL41rocblas_syrkx_herkx_small_restrict_kernelIi19rocblas_complex_numIfELi16ELb0ELb0ELc67ELc85EKPKS1_KPS1_EviT_T0_PT6_S7_lSA_S7_lS8_PT7_S7_li ; -- Begin function _ZL41rocblas_syrkx_herkx_small_restrict_kernelIi19rocblas_complex_numIfELi16ELb0ELb0ELc67ELc85EKPKS1_KPS1_EviT_T0_PT6_S7_lSA_S7_lS8_PT7_S7_li
	.p2align	8
	.type	_ZL41rocblas_syrkx_herkx_small_restrict_kernelIi19rocblas_complex_numIfELi16ELb0ELb0ELc67ELc85EKPKS1_KPS1_EviT_T0_PT6_S7_lSA_S7_lS8_PT7_S7_li,@function
_ZL41rocblas_syrkx_herkx_small_restrict_kernelIi19rocblas_complex_numIfELi16ELb0ELb0ELc67ELc85EKPKS1_KPS1_EviT_T0_PT6_S7_lSA_S7_lS8_PT7_S7_li: ; @_ZL41rocblas_syrkx_herkx_small_restrict_kernelIi19rocblas_complex_numIfELi16ELb0ELb0ELc67ELc85EKPKS1_KPS1_EviT_T0_PT6_S7_lSA_S7_lS8_PT7_S7_li
; %bb.0:
	s_load_b128 s[4:7], s[0:1], 0x40
	s_mov_b32 s16, s15
	s_mov_b32 s17, 0
	v_dual_mov_b32 v11, 0 :: v_dual_and_b32 v2, 0x3ff, v0
	s_lshl_b64 s[18:19], s[16:17], 3
	v_bfe_u32 v1, v0, 10, 10
	v_mov_b32_e32 v10, 0
	s_delay_alu instid0(VALU_DEP_3) | instskip(NEXT) | instid1(VALU_DEP_3)
	v_lshl_add_u32 v0, s13, 4, v2
	v_lshl_add_u32 v5, s14, 4, v1
	s_waitcnt lgkmcnt(0)
	s_add_u32 s2, s6, s18
	s_load_b32 s6, s[0:1], 0x4
	s_addc_u32 s3, s7, s19
	s_load_b128 s[8:11], s[0:1], 0x8
	s_load_b64 s[2:3], s[2:3], 0x0
	s_waitcnt lgkmcnt(0)
	s_cmp_lt_i32 s6, 1
	s_cbranch_scc1 .LBB664_3
; %bb.1:
	s_clause 0x2
	s_load_b64 s[12:13], s[0:1], 0x28
	s_load_b32 s7, s[0:1], 0x18
	s_load_b32 s14, s[0:1], 0x30
	v_lshlrev_b32_e32 v8, 7, v1
	v_lshlrev_b32_e32 v6, 3, v2
	v_dual_mov_b32 v10, 0 :: v_dual_lshlrev_b32 v13, 3, v1
	s_waitcnt lgkmcnt(0)
	s_add_u32 s12, s12, s18
	s_addc_u32 s13, s13, s19
	s_add_u32 s10, s10, s18
	s_addc_u32 s11, s11, s19
	v_mad_i64_i32 v[3:4], null, s7, v0, 0
	s_load_b64 s[10:11], s[10:11], 0x0
	v_mad_i64_i32 v[11:12], null, s14, v5, 0
	s_load_b64 s[12:13], s[12:13], 0x0
	s_delay_alu instid0(VALU_DEP_2) | instskip(NEXT) | instid1(VALU_DEP_2)
	v_lshlrev_b64 v[1:2], 3, v[3:4]
	v_lshlrev_b64 v[3:4], 3, v[11:12]
	s_delay_alu instid0(VALU_DEP_2) | instskip(NEXT) | instid1(VALU_DEP_3)
	v_add_co_u32 v1, vcc_lo, v1, v13
	v_add_co_ci_u32_e32 v2, vcc_lo, 0, v2, vcc_lo
	s_delay_alu instid0(VALU_DEP_3) | instskip(NEXT) | instid1(VALU_DEP_4)
	v_add_co_u32 v3, vcc_lo, v3, v6
	v_add_co_ci_u32_e32 v4, vcc_lo, 0, v4, vcc_lo
	s_waitcnt lgkmcnt(0)
	v_add_co_u32 v11, vcc_lo, v1, s10
	v_add_co_ci_u32_e32 v12, vcc_lo, s11, v2, vcc_lo
	v_add_co_u32 v1, vcc_lo, s12, v3
	v_add_co_ci_u32_e32 v2, vcc_lo, s13, v4, vcc_lo
	s_delay_alu instid0(VALU_DEP_4) | instskip(SKIP_4) | instid1(VALU_DEP_3)
	v_add_co_u32 v3, vcc_lo, v11, 4
	v_mov_b32_e32 v11, 0
	v_add_nc_u32_e32 v7, 0x800, v8
	v_add_nc_u32_e32 v8, v6, v8
	v_add_co_ci_u32_e32 v4, vcc_lo, 0, v12, vcc_lo
	v_add_nc_u32_e32 v9, v7, v6
.LBB664_2:                              ; =>This Inner Loop Header: Depth=1
	global_load_b64 v[12:13], v[3:4], off offset:-4
	global_load_b64 v[14:15], v[1:2], off
	v_add_co_u32 v1, vcc_lo, 0x80, v1
	v_add_co_ci_u32_e32 v2, vcc_lo, 0, v2, vcc_lo
	v_add_co_u32 v3, vcc_lo, 0x80, v3
	v_add_co_ci_u32_e32 v4, vcc_lo, 0, v4, vcc_lo
	s_add_i32 s17, s17, 16
	s_waitcnt vmcnt(1)
	ds_store_b64 v8, v[12:13]
	s_waitcnt vmcnt(0)
	ds_store_b64 v9, v[14:15]
	s_waitcnt lgkmcnt(0)
	s_barrier
	buffer_gl0_inv
	ds_load_2addr_b64 v[12:15], v6 offset1:16
	ds_load_b128 v[16:19], v7
	ds_load_b128 v[20:23], v7 offset:16
	ds_load_2addr_b64 v[24:27], v6 offset0:32 offset1:48
	ds_load_2addr_b64 v[28:31], v6 offset0:64 offset1:80
	ds_load_b128 v[32:35], v7 offset:32
	ds_load_b128 v[36:39], v7 offset:48
	ds_load_2addr_b64 v[40:43], v6 offset0:96 offset1:112
	ds_load_2addr_b64 v[44:47], v6 offset0:128 offset1:144
	;; [unrolled: 1-line block ×3, first 2 shown]
	ds_load_b128 v[52:55], v7 offset:64
	ds_load_b128 v[56:59], v7 offset:80
	ds_load_2addr_b64 v[60:63], v6 offset0:192 offset1:208
	ds_load_2addr_b64 v[64:67], v6 offset0:224 offset1:240
	ds_load_b128 v[68:71], v7 offset:96
	ds_load_b128 v[72:75], v7 offset:112
	s_cmp_lt_i32 s17, s6
	s_waitcnt lgkmcnt(0)
	s_barrier
	buffer_gl0_inv
	v_dual_mul_f32 v76, v17, v13 :: v_dual_mul_f32 v77, v19, v15
	v_mul_f32_e32 v13, v16, v13
	v_dual_mul_f32 v15, v18, v15 :: v_dual_mul_f32 v78, v21, v25
	v_mul_f32_e32 v25, v20, v25
	s_delay_alu instid0(VALU_DEP_4) | instskip(SKIP_1) | instid1(VALU_DEP_4)
	v_fma_f32 v16, v16, v12, -v76
	v_dual_mul_f32 v79, v23, v27 :: v_dual_mul_f32 v80, v33, v29
	v_fmac_f32_e32 v15, v19, v14
	s_delay_alu instid0(VALU_DEP_4) | instskip(SKIP_4) | instid1(VALU_DEP_4)
	v_fmac_f32_e32 v25, v21, v24
	v_fmac_f32_e32 v13, v17, v12
	v_mul_f32_e32 v83, v39, v43
	v_dual_mul_f32 v27, v22, v27 :: v_dual_mul_f32 v82, v37, v41
	v_mul_f32_e32 v43, v38, v43
	v_add_f32_e32 v10, v10, v13
	v_mul_f32_e32 v29, v32, v29
	v_dual_add_f32 v11, v11, v16 :: v_dual_mul_f32 v16, v72, v65
	v_mul_f32_e32 v17, v54, v47
	s_delay_alu instid0(VALU_DEP_4) | instskip(SKIP_1) | instid1(VALU_DEP_3)
	v_add_f32_e32 v10, v10, v15
	v_dual_mul_f32 v81, v35, v31 :: v_dual_mul_f32 v84, v53, v45
	v_dual_fmac_f32 v16, v73, v64 :: v_dual_fmac_f32 v17, v55, v46
	s_delay_alu instid0(VALU_DEP_3) | instskip(SKIP_3) | instid1(VALU_DEP_4)
	v_dual_fmac_f32 v27, v23, v26 :: v_dual_add_f32 v10, v10, v25
	v_mul_f32_e32 v31, v34, v31
	v_mul_f32_e32 v45, v52, v45
	v_fmac_f32_e32 v29, v33, v28
	v_dual_mul_f32 v41, v36, v41 :: v_dual_add_f32 v10, v10, v27
	v_fma_f32 v12, v18, v14, -v77
	v_dual_mul_f32 v18, v57, v49 :: v_dual_fmac_f32 v31, v35, v30
	v_mul_f32_e32 v14, v55, v47
	s_delay_alu instid0(VALU_DEP_4) | instskip(SKIP_3) | instid1(VALU_DEP_4)
	v_add_f32_e32 v10, v10, v29
	v_mul_f32_e32 v19, v56, v49
	v_add_f32_e32 v11, v11, v12
	v_dual_mul_f32 v12, v75, v67 :: v_dual_fmac_f32 v41, v37, v40
	v_add_f32_e32 v10, v10, v31
	v_mul_f32_e32 v47, v59, v51
	v_fmac_f32_e32 v43, v39, v42
	v_mul_f32_e32 v49, v58, v51
	s_delay_alu instid0(VALU_DEP_4) | instskip(SKIP_2) | instid1(VALU_DEP_4)
	v_dual_fmac_f32 v45, v53, v44 :: v_dual_add_f32 v10, v10, v41
	v_mul_f32_e32 v51, v69, v61
	v_fmac_f32_e32 v19, v57, v48
	v_fmac_f32_e32 v49, v59, v50
	v_mul_f32_e32 v23, v70, v63
	v_add_f32_e32 v10, v10, v43
	v_fma_f32 v20, v20, v24, -v78
	v_mul_f32_e32 v15, v74, v67
	v_fma_f32 v21, v22, v26, -v79
	s_delay_alu instid0(VALU_DEP_4) | instskip(SKIP_1) | instid1(VALU_DEP_4)
	v_dual_fmac_f32 v23, v71, v62 :: v_dual_add_f32 v10, v10, v45
	v_fma_f32 v14, v54, v46, -v14
	v_fmac_f32_e32 v15, v75, v66
	v_fma_f32 v18, v56, v48, -v18
	v_mul_f32_e32 v22, v71, v63
	v_add_f32_e32 v10, v10, v17
	v_mul_f32_e32 v61, v68, v61
	v_fma_f32 v17, v68, v60, -v51
	v_fma_f32 v12, v74, v66, -v12
	s_delay_alu instid0(VALU_DEP_3) | instskip(NEXT) | instid1(VALU_DEP_1)
	v_dual_add_f32 v10, v10, v19 :: v_dual_fmac_f32 v61, v69, v60
	v_add_f32_e32 v10, v10, v49
	s_delay_alu instid0(VALU_DEP_1) | instskip(NEXT) | instid1(VALU_DEP_1)
	v_add_f32_e32 v10, v10, v61
	v_dual_mul_f32 v13, v73, v65 :: v_dual_add_f32 v10, v10, v23
	s_delay_alu instid0(VALU_DEP_1) | instskip(NEXT) | instid1(VALU_DEP_2)
	v_fma_f32 v13, v72, v64, -v13
	v_add_f32_e32 v10, v10, v16
	v_add_f32_e32 v11, v11, v20
	v_fma_f32 v20, v32, v28, -v80
	s_delay_alu instid0(VALU_DEP_2) | instskip(SKIP_1) | instid1(VALU_DEP_2)
	v_dual_add_f32 v10, v10, v15 :: v_dual_add_f32 v11, v11, v21
	v_fma_f32 v21, v34, v30, -v81
	v_add_f32_e32 v11, v11, v20
	v_fma_f32 v20, v36, v40, -v82
	s_delay_alu instid0(VALU_DEP_2) | instskip(SKIP_1) | instid1(VALU_DEP_2)
	v_add_f32_e32 v11, v11, v21
	v_fma_f32 v21, v38, v42, -v83
	v_add_f32_e32 v11, v11, v20
	v_fma_f32 v20, v52, v44, -v84
	s_delay_alu instid0(VALU_DEP_2) | instskip(NEXT) | instid1(VALU_DEP_1)
	v_add_f32_e32 v11, v11, v21
	v_add_f32_e32 v11, v11, v20
	s_delay_alu instid0(VALU_DEP_1) | instskip(SKIP_1) | instid1(VALU_DEP_2)
	v_add_f32_e32 v11, v11, v14
	v_fma_f32 v14, v58, v50, -v47
	v_add_f32_e32 v11, v11, v18
	s_delay_alu instid0(VALU_DEP_1) | instskip(SKIP_1) | instid1(VALU_DEP_2)
	v_add_f32_e32 v11, v11, v14
	v_fma_f32 v14, v70, v62, -v22
	v_add_f32_e32 v11, v11, v17
	s_delay_alu instid0(VALU_DEP_1) | instskip(NEXT) | instid1(VALU_DEP_1)
	v_add_f32_e32 v11, v11, v14
	v_add_f32_e32 v11, v11, v13
	s_delay_alu instid0(VALU_DEP_1)
	v_add_f32_e32 v11, v11, v12
	s_cbranch_scc1 .LBB664_2
.LBB664_3:
	s_mov_b32 s6, exec_lo
	v_cmpx_le_i32_e64 v0, v5
	s_cbranch_execz .LBB664_5
; %bb.4:
	s_load_b32 s0, s[0:1], 0x50
	v_ashrrev_i32_e32 v1, 31, v0
	s_delay_alu instid0(VALU_DEP_1) | instskip(SKIP_2) | instid1(VALU_DEP_1)
	v_lshlrev_b64 v[0:1], 3, v[0:1]
	s_waitcnt lgkmcnt(0)
	v_mad_i64_i32 v[2:3], null, s0, v5, 0
	v_lshlrev_b64 v[2:3], 3, v[2:3]
	s_delay_alu instid0(VALU_DEP_1) | instskip(NEXT) | instid1(VALU_DEP_2)
	v_add_co_u32 v2, vcc_lo, s2, v2
	v_add_co_ci_u32_e32 v3, vcc_lo, s3, v3, vcc_lo
	s_delay_alu instid0(VALU_DEP_2) | instskip(NEXT) | instid1(VALU_DEP_2)
	v_add_co_u32 v0, vcc_lo, v2, v0
	v_add_co_ci_u32_e32 v1, vcc_lo, v3, v1, vcc_lo
	global_load_b64 v[2:3], v[0:1], off
	v_mul_f32_e32 v4, s9, v10
	s_waitcnt vmcnt(0)
	v_dual_mul_f32 v5, s8, v10 :: v_dual_mul_f32 v6, s5, v3
	v_mul_f32_e32 v3, s4, v3
	s_delay_alu instid0(VALU_DEP_3) | instskip(NEXT) | instid1(VALU_DEP_3)
	v_fma_f32 v4, v11, s8, -v4
	v_fma_f32 v6, v2, s4, -v6
	s_delay_alu instid0(VALU_DEP_4) | instskip(NEXT) | instid1(VALU_DEP_4)
	v_fmac_f32_e32 v5, s9, v11
	v_fmac_f32_e32 v3, s5, v2
	s_delay_alu instid0(VALU_DEP_1)
	v_dual_add_f32 v2, v4, v6 :: v_dual_add_f32 v3, v5, v3
	global_store_b64 v[0:1], v[2:3], off
.LBB664_5:
	s_nop 0
	s_sendmsg sendmsg(MSG_DEALLOC_VGPRS)
	s_endpgm
	.section	.rodata,"a",@progbits
	.p2align	6, 0x0
	.amdhsa_kernel _ZL41rocblas_syrkx_herkx_small_restrict_kernelIi19rocblas_complex_numIfELi16ELb0ELb0ELc67ELc85EKPKS1_KPS1_EviT_T0_PT6_S7_lSA_S7_lS8_PT7_S7_li
		.amdhsa_group_segment_fixed_size 4096
		.amdhsa_private_segment_fixed_size 0
		.amdhsa_kernarg_size 100
		.amdhsa_user_sgpr_count 13
		.amdhsa_user_sgpr_dispatch_ptr 0
		.amdhsa_user_sgpr_queue_ptr 0
		.amdhsa_user_sgpr_kernarg_segment_ptr 1
		.amdhsa_user_sgpr_dispatch_id 0
		.amdhsa_user_sgpr_private_segment_size 0
		.amdhsa_wavefront_size32 1
		.amdhsa_uses_dynamic_stack 0
		.amdhsa_enable_private_segment 0
		.amdhsa_system_sgpr_workgroup_id_x 1
		.amdhsa_system_sgpr_workgroup_id_y 1
		.amdhsa_system_sgpr_workgroup_id_z 1
		.amdhsa_system_sgpr_workgroup_info 0
		.amdhsa_system_vgpr_workitem_id 1
		.amdhsa_next_free_vgpr 85
		.amdhsa_next_free_sgpr 20
		.amdhsa_reserve_vcc 1
		.amdhsa_float_round_mode_32 0
		.amdhsa_float_round_mode_16_64 0
		.amdhsa_float_denorm_mode_32 3
		.amdhsa_float_denorm_mode_16_64 3
		.amdhsa_dx10_clamp 1
		.amdhsa_ieee_mode 1
		.amdhsa_fp16_overflow 0
		.amdhsa_workgroup_processor_mode 1
		.amdhsa_memory_ordered 1
		.amdhsa_forward_progress 0
		.amdhsa_shared_vgpr_count 0
		.amdhsa_exception_fp_ieee_invalid_op 0
		.amdhsa_exception_fp_denorm_src 0
		.amdhsa_exception_fp_ieee_div_zero 0
		.amdhsa_exception_fp_ieee_overflow 0
		.amdhsa_exception_fp_ieee_underflow 0
		.amdhsa_exception_fp_ieee_inexact 0
		.amdhsa_exception_int_div_zero 0
	.end_amdhsa_kernel
	.section	.text._ZL41rocblas_syrkx_herkx_small_restrict_kernelIi19rocblas_complex_numIfELi16ELb0ELb0ELc67ELc85EKPKS1_KPS1_EviT_T0_PT6_S7_lSA_S7_lS8_PT7_S7_li,"axG",@progbits,_ZL41rocblas_syrkx_herkx_small_restrict_kernelIi19rocblas_complex_numIfELi16ELb0ELb0ELc67ELc85EKPKS1_KPS1_EviT_T0_PT6_S7_lSA_S7_lS8_PT7_S7_li,comdat
.Lfunc_end664:
	.size	_ZL41rocblas_syrkx_herkx_small_restrict_kernelIi19rocblas_complex_numIfELi16ELb0ELb0ELc67ELc85EKPKS1_KPS1_EviT_T0_PT6_S7_lSA_S7_lS8_PT7_S7_li, .Lfunc_end664-_ZL41rocblas_syrkx_herkx_small_restrict_kernelIi19rocblas_complex_numIfELi16ELb0ELb0ELc67ELc85EKPKS1_KPS1_EviT_T0_PT6_S7_lSA_S7_lS8_PT7_S7_li
                                        ; -- End function
	.section	.AMDGPU.csdata,"",@progbits
; Kernel info:
; codeLenInByte = 1268
; NumSgprs: 22
; NumVgprs: 85
; ScratchSize: 0
; MemoryBound: 0
; FloatMode: 240
; IeeeMode: 1
; LDSByteSize: 4096 bytes/workgroup (compile time only)
; SGPRBlocks: 2
; VGPRBlocks: 10
; NumSGPRsForWavesPerEU: 22
; NumVGPRsForWavesPerEU: 85
; Occupancy: 16
; WaveLimiterHint : 1
; COMPUTE_PGM_RSRC2:SCRATCH_EN: 0
; COMPUTE_PGM_RSRC2:USER_SGPR: 13
; COMPUTE_PGM_RSRC2:TRAP_HANDLER: 0
; COMPUTE_PGM_RSRC2:TGID_X_EN: 1
; COMPUTE_PGM_RSRC2:TGID_Y_EN: 1
; COMPUTE_PGM_RSRC2:TGID_Z_EN: 1
; COMPUTE_PGM_RSRC2:TIDIG_COMP_CNT: 1
	.section	.text._ZL41rocblas_syrkx_herkx_small_restrict_kernelIi19rocblas_complex_numIfELi16ELb0ELb0ELc78ELc85EKPKS1_KPS1_EviT_T0_PT6_S7_lSA_S7_lS8_PT7_S7_li,"axG",@progbits,_ZL41rocblas_syrkx_herkx_small_restrict_kernelIi19rocblas_complex_numIfELi16ELb0ELb0ELc78ELc85EKPKS1_KPS1_EviT_T0_PT6_S7_lSA_S7_lS8_PT7_S7_li,comdat
	.globl	_ZL41rocblas_syrkx_herkx_small_restrict_kernelIi19rocblas_complex_numIfELi16ELb0ELb0ELc78ELc85EKPKS1_KPS1_EviT_T0_PT6_S7_lSA_S7_lS8_PT7_S7_li ; -- Begin function _ZL41rocblas_syrkx_herkx_small_restrict_kernelIi19rocblas_complex_numIfELi16ELb0ELb0ELc78ELc85EKPKS1_KPS1_EviT_T0_PT6_S7_lSA_S7_lS8_PT7_S7_li
	.p2align	8
	.type	_ZL41rocblas_syrkx_herkx_small_restrict_kernelIi19rocblas_complex_numIfELi16ELb0ELb0ELc78ELc85EKPKS1_KPS1_EviT_T0_PT6_S7_lSA_S7_lS8_PT7_S7_li,@function
_ZL41rocblas_syrkx_herkx_small_restrict_kernelIi19rocblas_complex_numIfELi16ELb0ELb0ELc78ELc85EKPKS1_KPS1_EviT_T0_PT6_S7_lSA_S7_lS8_PT7_S7_li: ; @_ZL41rocblas_syrkx_herkx_small_restrict_kernelIi19rocblas_complex_numIfELi16ELb0ELb0ELc78ELc85EKPKS1_KPS1_EviT_T0_PT6_S7_lSA_S7_lS8_PT7_S7_li
; %bb.0:
	s_clause 0x1
	s_load_b128 s[4:7], s[0:1], 0x40
	s_load_b32 s12, s[0:1], 0x4
	s_mov_b32 s16, s15
	s_mov_b32 s17, 0
	v_dual_mov_b32 v12, 0 :: v_dual_and_b32 v5, 0x3ff, v0
	s_lshl_b64 s[18:19], s[16:17], 3
	v_bfe_u32 v4, v0, 10, 10
	v_mov_b32_e32 v11, 0
	s_delay_alu instid0(VALU_DEP_3) | instskip(NEXT) | instid1(VALU_DEP_3)
	v_lshl_add_u32 v0, s13, 4, v5
	v_lshl_add_u32 v2, s14, 4, v4
	s_delay_alu instid0(VALU_DEP_2)
	v_ashrrev_i32_e32 v1, 31, v0
	s_waitcnt lgkmcnt(0)
	s_add_u32 s2, s6, s18
	s_addc_u32 s3, s7, s19
	s_load_b128 s[8:11], s[0:1], 0x8
	s_load_b64 s[2:3], s[2:3], 0x0
	s_cmp_lt_i32 s12, 1
	s_cbranch_scc1 .LBB665_3
; %bb.1:
	s_clause 0x2
	s_load_b32 s14, s[0:1], 0x18
	s_load_b32 s6, s[0:1], 0x30
	s_load_b64 s[20:21], s[0:1], 0x28
	v_lshlrev_b32_e32 v7, 3, v5
	v_ashrrev_i32_e32 v3, 31, v2
	v_dual_mov_b32 v11, 0 :: v_dual_lshlrev_b32 v16, 7, v4
	v_lshlrev_b64 v[12:13], 3, v[0:1]
	s_delay_alu instid0(VALU_DEP_2)
	v_add_nc_u32_e32 v8, 0x800, v16
	s_waitcnt lgkmcnt(0)
	s_ashr_i32 s15, s14, 31
	s_ashr_i32 s7, s6, 31
	s_add_u32 s20, s20, s18
	s_addc_u32 s21, s21, s19
	v_mad_i64_i32 v[9:10], null, s6, v5, 0
	s_load_b64 s[20:21], s[20:21], 0x0
	s_add_u32 s10, s10, s18
	s_addc_u32 s11, s11, s19
	v_mad_i64_i32 v[5:6], null, s14, v4, 0
	s_load_b64 s[10:11], s[10:11], 0x0
	v_lshlrev_b64 v[3:4], 3, v[2:3]
	s_delay_alu instid0(VALU_DEP_3) | instskip(SKIP_1) | instid1(VALU_DEP_3)
	v_lshlrev_b64 v[14:15], 3, v[9:10]
	s_lshl_b64 s[6:7], s[6:7], 7
	v_lshlrev_b64 v[5:6], 3, v[5:6]
	s_delay_alu instid0(VALU_DEP_2) | instskip(NEXT) | instid1(VALU_DEP_3)
	v_add_co_u32 v3, vcc_lo, v14, v3
	v_add_co_ci_u32_e32 v4, vcc_lo, v15, v4, vcc_lo
	s_delay_alu instid0(VALU_DEP_3) | instskip(NEXT) | instid1(VALU_DEP_4)
	v_add_co_u32 v5, vcc_lo, v5, v12
	v_add_co_ci_u32_e32 v6, vcc_lo, v6, v13, vcc_lo
	s_waitcnt lgkmcnt(0)
	v_add_co_u32 v12, vcc_lo, v3, s20
	v_add_co_ci_u32_e32 v13, vcc_lo, s21, v4, vcc_lo
	v_add_co_u32 v3, vcc_lo, s10, v5
	v_add_co_ci_u32_e32 v4, vcc_lo, s11, v6, vcc_lo
	s_delay_alu instid0(VALU_DEP_4) | instskip(NEXT) | instid1(VALU_DEP_4)
	v_add_co_u32 v5, vcc_lo, v12, 4
	v_add_co_ci_u32_e32 v6, vcc_lo, 0, v13, vcc_lo
	v_dual_mov_b32 v12, 0 :: v_dual_add_nc_u32 v9, v7, v16
	v_add_nc_u32_e32 v10, v8, v7
	s_lshl_b64 s[10:11], s[14:15], 7
.LBB665_2:                              ; =>This Inner Loop Header: Depth=1
	global_load_b64 v[13:14], v[3:4], off
	global_load_b64 v[15:16], v[5:6], off offset:-4
	v_add_co_u32 v5, vcc_lo, v5, s6
	v_add_co_ci_u32_e32 v6, vcc_lo, s7, v6, vcc_lo
	v_add_co_u32 v3, vcc_lo, v3, s10
	v_add_co_ci_u32_e32 v4, vcc_lo, s11, v4, vcc_lo
	s_add_i32 s17, s17, 16
	s_waitcnt vmcnt(1)
	ds_store_b64 v9, v[13:14]
	s_waitcnt vmcnt(0)
	ds_store_b64 v10, v[15:16]
	s_waitcnt lgkmcnt(0)
	s_barrier
	buffer_gl0_inv
	ds_load_2addr_b64 v[13:16], v7 offset1:16
	ds_load_b128 v[17:20], v8
	ds_load_b128 v[21:24], v8 offset:16
	ds_load_2addr_b64 v[25:28], v7 offset0:32 offset1:48
	ds_load_2addr_b64 v[29:32], v7 offset0:64 offset1:80
	ds_load_b128 v[33:36], v8 offset:32
	ds_load_b128 v[37:40], v8 offset:48
	ds_load_2addr_b64 v[41:44], v7 offset0:96 offset1:112
	ds_load_2addr_b64 v[45:48], v7 offset0:128 offset1:144
	;; [unrolled: 1-line block ×3, first 2 shown]
	ds_load_b128 v[53:56], v8 offset:64
	ds_load_b128 v[57:60], v8 offset:80
	ds_load_2addr_b64 v[61:64], v7 offset0:192 offset1:208
	ds_load_2addr_b64 v[65:68], v7 offset0:224 offset1:240
	ds_load_b128 v[69:72], v8 offset:96
	ds_load_b128 v[73:76], v8 offset:112
	s_cmp_lt_i32 s17, s12
	s_waitcnt lgkmcnt(0)
	s_barrier
	buffer_gl0_inv
	v_dual_mul_f32 v77, v18, v14 :: v_dual_mul_f32 v78, v20, v16
	v_mul_f32_e32 v14, v17, v14
	v_dual_mul_f32 v16, v19, v16 :: v_dual_mul_f32 v79, v22, v26
	v_mul_f32_e32 v26, v21, v26
	s_delay_alu instid0(VALU_DEP_4) | instskip(SKIP_1) | instid1(VALU_DEP_4)
	v_fma_f32 v17, v17, v13, -v77
	v_dual_mul_f32 v80, v24, v28 :: v_dual_mul_f32 v81, v34, v30
	v_fmac_f32_e32 v16, v20, v15
	s_delay_alu instid0(VALU_DEP_4) | instskip(SKIP_4) | instid1(VALU_DEP_4)
	v_fmac_f32_e32 v26, v22, v25
	v_fmac_f32_e32 v14, v18, v13
	v_mul_f32_e32 v84, v40, v44
	v_dual_mul_f32 v28, v23, v28 :: v_dual_mul_f32 v83, v38, v42
	v_mul_f32_e32 v44, v39, v44
	v_add_f32_e32 v11, v11, v14
	v_mul_f32_e32 v30, v33, v30
	v_dual_add_f32 v12, v12, v17 :: v_dual_mul_f32 v17, v73, v66
	v_mul_f32_e32 v18, v55, v48
	s_delay_alu instid0(VALU_DEP_4) | instskip(SKIP_1) | instid1(VALU_DEP_3)
	v_add_f32_e32 v11, v11, v16
	v_dual_mul_f32 v82, v36, v32 :: v_dual_mul_f32 v85, v54, v46
	v_dual_fmac_f32 v17, v74, v65 :: v_dual_fmac_f32 v18, v56, v47
	s_delay_alu instid0(VALU_DEP_3) | instskip(SKIP_3) | instid1(VALU_DEP_4)
	v_dual_fmac_f32 v28, v24, v27 :: v_dual_add_f32 v11, v11, v26
	v_mul_f32_e32 v32, v35, v32
	v_mul_f32_e32 v46, v53, v46
	v_fmac_f32_e32 v30, v34, v29
	v_dual_mul_f32 v42, v37, v42 :: v_dual_add_f32 v11, v11, v28
	v_fma_f32 v13, v19, v15, -v78
	v_dual_mul_f32 v19, v58, v50 :: v_dual_fmac_f32 v32, v36, v31
	v_mul_f32_e32 v15, v56, v48
	s_delay_alu instid0(VALU_DEP_4) | instskip(SKIP_3) | instid1(VALU_DEP_4)
	v_add_f32_e32 v11, v11, v30
	v_mul_f32_e32 v20, v57, v50
	v_add_f32_e32 v12, v12, v13
	v_dual_mul_f32 v13, v76, v68 :: v_dual_fmac_f32 v42, v38, v41
	v_add_f32_e32 v11, v11, v32
	v_mul_f32_e32 v48, v60, v52
	v_fmac_f32_e32 v44, v40, v43
	v_mul_f32_e32 v50, v59, v52
	s_delay_alu instid0(VALU_DEP_4) | instskip(SKIP_2) | instid1(VALU_DEP_4)
	v_dual_fmac_f32 v46, v54, v45 :: v_dual_add_f32 v11, v11, v42
	v_mul_f32_e32 v52, v70, v62
	v_fmac_f32_e32 v20, v58, v49
	v_fmac_f32_e32 v50, v60, v51
	v_mul_f32_e32 v24, v71, v64
	v_add_f32_e32 v11, v11, v44
	v_fma_f32 v21, v21, v25, -v79
	v_mul_f32_e32 v16, v75, v68
	v_fma_f32 v22, v23, v27, -v80
	s_delay_alu instid0(VALU_DEP_4) | instskip(SKIP_1) | instid1(VALU_DEP_4)
	v_dual_fmac_f32 v24, v72, v63 :: v_dual_add_f32 v11, v11, v46
	v_fma_f32 v15, v55, v47, -v15
	v_fmac_f32_e32 v16, v76, v67
	v_fma_f32 v19, v57, v49, -v19
	v_mul_f32_e32 v23, v72, v64
	v_add_f32_e32 v11, v11, v18
	v_mul_f32_e32 v62, v69, v62
	v_fma_f32 v18, v69, v61, -v52
	v_fma_f32 v13, v75, v67, -v13
	s_delay_alu instid0(VALU_DEP_3) | instskip(NEXT) | instid1(VALU_DEP_1)
	v_dual_add_f32 v11, v11, v20 :: v_dual_fmac_f32 v62, v70, v61
	v_add_f32_e32 v11, v11, v50
	s_delay_alu instid0(VALU_DEP_1) | instskip(NEXT) | instid1(VALU_DEP_1)
	v_add_f32_e32 v11, v11, v62
	v_dual_mul_f32 v14, v74, v66 :: v_dual_add_f32 v11, v11, v24
	s_delay_alu instid0(VALU_DEP_1) | instskip(NEXT) | instid1(VALU_DEP_2)
	v_fma_f32 v14, v73, v65, -v14
	v_add_f32_e32 v11, v11, v17
	v_add_f32_e32 v12, v12, v21
	v_fma_f32 v21, v33, v29, -v81
	s_delay_alu instid0(VALU_DEP_2) | instskip(SKIP_1) | instid1(VALU_DEP_2)
	v_dual_add_f32 v11, v11, v16 :: v_dual_add_f32 v12, v12, v22
	v_fma_f32 v22, v35, v31, -v82
	v_add_f32_e32 v12, v12, v21
	v_fma_f32 v21, v37, v41, -v83
	s_delay_alu instid0(VALU_DEP_2) | instskip(SKIP_1) | instid1(VALU_DEP_2)
	v_add_f32_e32 v12, v12, v22
	v_fma_f32 v22, v39, v43, -v84
	v_add_f32_e32 v12, v12, v21
	v_fma_f32 v21, v53, v45, -v85
	s_delay_alu instid0(VALU_DEP_2) | instskip(NEXT) | instid1(VALU_DEP_1)
	v_add_f32_e32 v12, v12, v22
	v_add_f32_e32 v12, v12, v21
	s_delay_alu instid0(VALU_DEP_1) | instskip(SKIP_1) | instid1(VALU_DEP_2)
	v_add_f32_e32 v12, v12, v15
	v_fma_f32 v15, v59, v51, -v48
	v_add_f32_e32 v12, v12, v19
	s_delay_alu instid0(VALU_DEP_1) | instskip(SKIP_1) | instid1(VALU_DEP_2)
	v_add_f32_e32 v12, v12, v15
	v_fma_f32 v15, v71, v63, -v23
	v_add_f32_e32 v12, v12, v18
	s_delay_alu instid0(VALU_DEP_1) | instskip(NEXT) | instid1(VALU_DEP_1)
	v_add_f32_e32 v12, v12, v15
	v_add_f32_e32 v12, v12, v14
	s_delay_alu instid0(VALU_DEP_1)
	v_add_f32_e32 v12, v12, v13
	s_cbranch_scc1 .LBB665_2
.LBB665_3:
	s_mov_b32 s6, exec_lo
	v_cmpx_le_i32_e64 v0, v2
	s_cbranch_execz .LBB665_5
; %bb.4:
	s_load_b32 s0, s[0:1], 0x50
	v_lshlrev_b64 v[0:1], 3, v[0:1]
	s_waitcnt lgkmcnt(0)
	v_mad_i64_i32 v[3:4], null, s0, v2, 0
	s_delay_alu instid0(VALU_DEP_1) | instskip(NEXT) | instid1(VALU_DEP_1)
	v_lshlrev_b64 v[2:3], 3, v[3:4]
	v_add_co_u32 v2, vcc_lo, s2, v2
	s_delay_alu instid0(VALU_DEP_2) | instskip(NEXT) | instid1(VALU_DEP_2)
	v_add_co_ci_u32_e32 v3, vcc_lo, s3, v3, vcc_lo
	v_add_co_u32 v0, vcc_lo, v2, v0
	s_delay_alu instid0(VALU_DEP_2) | instskip(SKIP_4) | instid1(VALU_DEP_1)
	v_add_co_ci_u32_e32 v1, vcc_lo, v3, v1, vcc_lo
	global_load_b64 v[2:3], v[0:1], off
	s_waitcnt vmcnt(0)
	v_mul_f32_e32 v6, s5, v3
	v_mul_f32_e32 v3, s4, v3
	v_fmac_f32_e32 v3, s5, v2
	s_delay_alu instid0(VALU_DEP_3) | instskip(SKIP_1) | instid1(VALU_DEP_1)
	v_fma_f32 v6, v2, s4, -v6
	v_mul_f32_e32 v5, s8, v11
	v_dual_mul_f32 v4, s9, v11 :: v_dual_fmac_f32 v5, s9, v12
	s_delay_alu instid0(VALU_DEP_1) | instskip(NEXT) | instid1(VALU_DEP_1)
	v_fma_f32 v4, v12, s8, -v4
	v_dual_add_f32 v3, v5, v3 :: v_dual_add_f32 v2, v4, v6
	global_store_b64 v[0:1], v[2:3], off
.LBB665_5:
	s_nop 0
	s_sendmsg sendmsg(MSG_DEALLOC_VGPRS)
	s_endpgm
	.section	.rodata,"a",@progbits
	.p2align	6, 0x0
	.amdhsa_kernel _ZL41rocblas_syrkx_herkx_small_restrict_kernelIi19rocblas_complex_numIfELi16ELb0ELb0ELc78ELc85EKPKS1_KPS1_EviT_T0_PT6_S7_lSA_S7_lS8_PT7_S7_li
		.amdhsa_group_segment_fixed_size 4096
		.amdhsa_private_segment_fixed_size 0
		.amdhsa_kernarg_size 100
		.amdhsa_user_sgpr_count 13
		.amdhsa_user_sgpr_dispatch_ptr 0
		.amdhsa_user_sgpr_queue_ptr 0
		.amdhsa_user_sgpr_kernarg_segment_ptr 1
		.amdhsa_user_sgpr_dispatch_id 0
		.amdhsa_user_sgpr_private_segment_size 0
		.amdhsa_wavefront_size32 1
		.amdhsa_uses_dynamic_stack 0
		.amdhsa_enable_private_segment 0
		.amdhsa_system_sgpr_workgroup_id_x 1
		.amdhsa_system_sgpr_workgroup_id_y 1
		.amdhsa_system_sgpr_workgroup_id_z 1
		.amdhsa_system_sgpr_workgroup_info 0
		.amdhsa_system_vgpr_workitem_id 1
		.amdhsa_next_free_vgpr 86
		.amdhsa_next_free_sgpr 22
		.amdhsa_reserve_vcc 1
		.amdhsa_float_round_mode_32 0
		.amdhsa_float_round_mode_16_64 0
		.amdhsa_float_denorm_mode_32 3
		.amdhsa_float_denorm_mode_16_64 3
		.amdhsa_dx10_clamp 1
		.amdhsa_ieee_mode 1
		.amdhsa_fp16_overflow 0
		.amdhsa_workgroup_processor_mode 1
		.amdhsa_memory_ordered 1
		.amdhsa_forward_progress 0
		.amdhsa_shared_vgpr_count 0
		.amdhsa_exception_fp_ieee_invalid_op 0
		.amdhsa_exception_fp_denorm_src 0
		.amdhsa_exception_fp_ieee_div_zero 0
		.amdhsa_exception_fp_ieee_overflow 0
		.amdhsa_exception_fp_ieee_underflow 0
		.amdhsa_exception_fp_ieee_inexact 0
		.amdhsa_exception_int_div_zero 0
	.end_amdhsa_kernel
	.section	.text._ZL41rocblas_syrkx_herkx_small_restrict_kernelIi19rocblas_complex_numIfELi16ELb0ELb0ELc78ELc85EKPKS1_KPS1_EviT_T0_PT6_S7_lSA_S7_lS8_PT7_S7_li,"axG",@progbits,_ZL41rocblas_syrkx_herkx_small_restrict_kernelIi19rocblas_complex_numIfELi16ELb0ELb0ELc78ELc85EKPKS1_KPS1_EviT_T0_PT6_S7_lSA_S7_lS8_PT7_S7_li,comdat
.Lfunc_end665:
	.size	_ZL41rocblas_syrkx_herkx_small_restrict_kernelIi19rocblas_complex_numIfELi16ELb0ELb0ELc78ELc85EKPKS1_KPS1_EviT_T0_PT6_S7_lSA_S7_lS8_PT7_S7_li, .Lfunc_end665-_ZL41rocblas_syrkx_herkx_small_restrict_kernelIi19rocblas_complex_numIfELi16ELb0ELb0ELc78ELc85EKPKS1_KPS1_EviT_T0_PT6_S7_lSA_S7_lS8_PT7_S7_li
                                        ; -- End function
	.section	.AMDGPU.csdata,"",@progbits
; Kernel info:
; codeLenInByte = 1296
; NumSgprs: 24
; NumVgprs: 86
; ScratchSize: 0
; MemoryBound: 0
; FloatMode: 240
; IeeeMode: 1
; LDSByteSize: 4096 bytes/workgroup (compile time only)
; SGPRBlocks: 2
; VGPRBlocks: 10
; NumSGPRsForWavesPerEU: 24
; NumVGPRsForWavesPerEU: 86
; Occupancy: 16
; WaveLimiterHint : 1
; COMPUTE_PGM_RSRC2:SCRATCH_EN: 0
; COMPUTE_PGM_RSRC2:USER_SGPR: 13
; COMPUTE_PGM_RSRC2:TRAP_HANDLER: 0
; COMPUTE_PGM_RSRC2:TGID_X_EN: 1
; COMPUTE_PGM_RSRC2:TGID_Y_EN: 1
; COMPUTE_PGM_RSRC2:TGID_Z_EN: 1
; COMPUTE_PGM_RSRC2:TIDIG_COMP_CNT: 1
	.section	.text._ZL32rocblas_syrkx_herkx_small_kernelIi19rocblas_complex_numIfELi16ELb1ELb0ELc84ELc76EKPKS1_KPS1_EviT_T0_PT6_S7_lSA_S7_lS8_PT7_S7_li,"axG",@progbits,_ZL32rocblas_syrkx_herkx_small_kernelIi19rocblas_complex_numIfELi16ELb1ELb0ELc84ELc76EKPKS1_KPS1_EviT_T0_PT6_S7_lSA_S7_lS8_PT7_S7_li,comdat
	.globl	_ZL32rocblas_syrkx_herkx_small_kernelIi19rocblas_complex_numIfELi16ELb1ELb0ELc84ELc76EKPKS1_KPS1_EviT_T0_PT6_S7_lSA_S7_lS8_PT7_S7_li ; -- Begin function _ZL32rocblas_syrkx_herkx_small_kernelIi19rocblas_complex_numIfELi16ELb1ELb0ELc84ELc76EKPKS1_KPS1_EviT_T0_PT6_S7_lSA_S7_lS8_PT7_S7_li
	.p2align	8
	.type	_ZL32rocblas_syrkx_herkx_small_kernelIi19rocblas_complex_numIfELi16ELb1ELb0ELc84ELc76EKPKS1_KPS1_EviT_T0_PT6_S7_lSA_S7_lS8_PT7_S7_li,@function
_ZL32rocblas_syrkx_herkx_small_kernelIi19rocblas_complex_numIfELi16ELb1ELb0ELc84ELc76EKPKS1_KPS1_EviT_T0_PT6_S7_lSA_S7_lS8_PT7_S7_li: ; @_ZL32rocblas_syrkx_herkx_small_kernelIi19rocblas_complex_numIfELi16ELb1ELb0ELc84ELc76EKPKS1_KPS1_EviT_T0_PT6_S7_lSA_S7_lS8_PT7_S7_li
; %bb.0:
	s_clause 0x1
	s_load_b64 s[2:3], s[0:1], 0x48
	s_load_b64 s[16:17], s[0:1], 0x0
	s_mov_b32 s10, s15
	s_mov_b32 s11, 0
	v_dual_mov_b32 v15, 0 :: v_dual_and_b32 v8, 0x3ff, v0
	s_lshl_b64 s[18:19], s[10:11], 3
	v_bfe_u32 v9, v0, 10, 10
	v_mov_b32_e32 v14, 0
	s_delay_alu instid0(VALU_DEP_3) | instskip(NEXT) | instid1(VALU_DEP_3)
	v_lshl_add_u32 v0, s13, 4, v8
	v_lshl_add_u32 v7, s14, 4, v9
	s_waitcnt lgkmcnt(0)
	s_add_u32 s2, s2, s18
	s_addc_u32 s3, s3, s19
	s_load_b128 s[4:7], s[0:1], 0x8
	s_load_b64 s[8:9], s[2:3], 0x0
	v_cmp_gt_i32_e32 vcc_lo, s16, v0
	s_cmp_lt_i32 s17, 1
	s_cbranch_scc1 .LBB666_11
; %bb.1:
	s_clause 0x2
	s_load_b64 s[12:13], s[0:1], 0x28
	s_load_b32 s3, s[0:1], 0x30
	s_load_b32 s10, s[0:1], 0x18
	v_lshlrev_b32_e32 v10, 3, v8
	v_dual_mov_b32 v1, 0 :: v_dual_lshlrev_b32 v6, 7, v9
	v_dual_mov_b32 v14, 0 :: v_dual_lshlrev_b32 v15, 3, v9
	v_cmp_gt_i32_e64 s2, s16, v7
	s_delay_alu instid0(VALU_DEP_3)
	v_add_nc_u32_e32 v11, 0x800, v6
	v_add_nc_u32_e32 v12, v10, v6
	s_waitcnt lgkmcnt(0)
	s_add_u32 s12, s12, s18
	s_addc_u32 s13, s13, s19
	v_mad_i64_i32 v[2:3], null, s3, v7, 0
	s_load_b64 s[12:13], s[12:13], 0x0
	s_add_u32 s6, s6, s18
	s_addc_u32 s7, s7, s19
	v_mad_i64_i32 v[4:5], null, s10, v0, 0
	s_load_b64 s[6:7], s[6:7], 0x0
	s_delay_alu instid0(VALU_DEP_2) | instskip(SKIP_1) | instid1(VALU_DEP_2)
	v_lshlrev_b64 v[2:3], 3, v[2:3]
	s_xor_b32 s2, s2, -1
	v_lshlrev_b64 v[4:5], 3, v[4:5]
	s_delay_alu instid0(VALU_DEP_2) | instskip(NEXT) | instid1(VALU_DEP_1)
	v_add_co_u32 v2, s3, v2, v10
	v_add_co_ci_u32_e64 v6, s3, 0, v3, s3
	s_delay_alu instid0(VALU_DEP_3) | instskip(NEXT) | instid1(VALU_DEP_1)
	v_add_co_u32 v15, s3, v4, v15
	v_add_co_ci_u32_e64 v16, s3, 0, v5, s3
	s_waitcnt lgkmcnt(0)
	v_add_co_u32 v3, s3, s12, v2
	s_delay_alu instid0(VALU_DEP_1) | instskip(SKIP_1) | instid1(VALU_DEP_1)
	v_add_co_ci_u32_e64 v4, s3, s13, v6, s3
	v_add_co_u32 v5, s3, s6, v15
	v_add_co_ci_u32_e64 v6, s3, s7, v16, s3
	v_mov_b32_e32 v15, 0
	v_add_nc_u32_e32 v13, v11, v10
	s_xor_b32 s3, vcc_lo, -1
	s_branch .LBB666_3
.LBB666_2:                              ;   in Loop: Header=BB666_3 Depth=1
	s_or_b32 exec_lo, exec_lo, s6
	s_waitcnt lgkmcnt(0)
	s_barrier
	buffer_gl0_inv
	ds_load_2addr_b64 v[16:19], v10 offset1:16
	ds_load_b128 v[20:23], v11
	ds_load_b128 v[24:27], v11 offset:16
	ds_load_2addr_b64 v[28:31], v10 offset0:32 offset1:48
	ds_load_2addr_b64 v[32:35], v10 offset0:64 offset1:80
	ds_load_b128 v[36:39], v11 offset:32
	ds_load_b128 v[40:43], v11 offset:48
	ds_load_2addr_b64 v[44:47], v10 offset0:96 offset1:112
	ds_load_2addr_b64 v[48:51], v10 offset0:128 offset1:144
	;; [unrolled: 1-line block ×3, first 2 shown]
	ds_load_b128 v[56:59], v11 offset:64
	ds_load_b128 v[60:63], v11 offset:80
	v_add_co_u32 v3, vcc_lo, 0x80, v3
	v_add_co_ci_u32_e32 v4, vcc_lo, 0, v4, vcc_lo
	v_add_co_u32 v5, vcc_lo, 0x80, v5
	v_add_co_ci_u32_e32 v6, vcc_lo, 0, v6, vcc_lo
	s_add_i32 s11, s11, 16
	s_waitcnt lgkmcnt(10)
	v_mul_f32_e32 v2, v21, v17
	v_dual_mul_f32 v17, v20, v17 :: v_dual_mul_f32 v64, v23, v19
	v_mul_f32_e32 v19, v22, v19
	s_waitcnt lgkmcnt(8)
	v_dual_mul_f32 v65, v25, v29 :: v_dual_mul_f32 v66, v27, v31
	v_fma_f32 v2, v20, v16, -v2
	v_mul_f32_e32 v31, v26, v31
	s_waitcnt lgkmcnt(6)
	v_dual_mul_f32 v29, v24, v29 :: v_dual_mul_f32 v20, v39, v35
	s_delay_alu instid0(VALU_DEP_3) | instskip(SKIP_2) | instid1(VALU_DEP_4)
	v_dual_mul_f32 v67, v37, v33 :: v_dual_add_f32 v2, v15, v2
	v_fmac_f32_e32 v17, v21, v16
	v_fma_f32 v21, v22, v18, -v64
	v_dual_fmac_f32 v29, v25, v28 :: v_dual_mul_f32 v16, v38, v35
	v_fma_f32 v20, v38, v34, -v20
	s_delay_alu instid0(VALU_DEP_3)
	v_dual_fmac_f32 v31, v27, v30 :: v_dual_add_f32 v2, v2, v21
	v_dual_fmac_f32 v19, v23, v18 :: v_dual_add_f32 v14, v14, v17
	v_fma_f32 v17, v24, v28, -v65
	v_mul_f32_e32 v33, v36, v33
	s_waitcnt lgkmcnt(4)
	v_mul_f32_e32 v18, v40, v45
	v_fma_f32 v21, v36, v32, -v67
	v_add_f32_e32 v14, v14, v19
	v_fma_f32 v19, v26, v30, -v66
	v_add_f32_e32 v2, v2, v17
	v_mul_f32_e32 v15, v41, v45
	s_delay_alu instid0(VALU_DEP_4) | instskip(NEXT) | instid1(VALU_DEP_3)
	v_dual_mul_f32 v17, v43, v47 :: v_dual_add_f32 v14, v14, v29
	v_dual_fmac_f32 v33, v37, v32 :: v_dual_add_f32 v2, v2, v19
	v_dual_mul_f32 v19, v42, v47 :: v_dual_fmac_f32 v16, v39, v34
	s_delay_alu instid0(VALU_DEP_3) | instskip(SKIP_1) | instid1(VALU_DEP_3)
	v_add_f32_e32 v14, v14, v31
	v_fma_f32 v15, v40, v44, -v15
	v_dual_add_f32 v2, v2, v21 :: v_dual_fmac_f32 v19, v43, v46
	s_waitcnt lgkmcnt(1)
	v_mul_f32_e32 v21, v57, v49
	v_dual_fmac_f32 v18, v41, v44 :: v_dual_mul_f32 v25, v58, v51
	v_add_f32_e32 v14, v14, v33
	v_add_f32_e32 v2, v2, v20
	v_fma_f32 v20, v42, v46, -v17
	v_fma_f32 v21, v56, v48, -v21
	s_delay_alu instid0(VALU_DEP_4)
	v_dual_fmac_f32 v25, v59, v50 :: v_dual_add_f32 v14, v14, v16
	s_waitcnt lgkmcnt(0)
	v_mul_f32_e32 v33, v63, v55
	v_add_f32_e32 v2, v2, v15
	v_mul_f32_e32 v34, v62, v55
	s_cmp_ge_i32 s11, s17
	v_add_f32_e32 v18, v14, v18
	v_mul_f32_e32 v22, v56, v49
	v_add_f32_e32 v2, v2, v20
	ds_load_2addr_b64 v[14:17], v10 offset0:192 offset1:208
	v_dual_fmac_f32 v34, v63, v54 :: v_dual_add_f32 v23, v18, v19
	v_add_f32_e32 v2, v2, v21
	ds_load_b128 v[18:21], v11 offset:96
	v_fmac_f32_e32 v22, v57, v48
	s_delay_alu instid0(VALU_DEP_1) | instskip(NEXT) | instid1(VALU_DEP_1)
	v_add_f32_e32 v22, v23, v22
	v_dual_mul_f32 v24, v59, v51 :: v_dual_add_f32 v31, v22, v25
	s_delay_alu instid0(VALU_DEP_1) | instskip(SKIP_1) | instid1(VALU_DEP_2)
	v_fma_f32 v23, v58, v50, -v24
	v_mul_f32_e32 v24, v61, v53
	v_add_f32_e32 v2, v2, v23
	s_delay_alu instid0(VALU_DEP_2)
	v_fma_f32 v32, v60, v52, -v24
	ds_load_2addr_b64 v[22:25], v10 offset0:224 offset1:240
	ds_load_b128 v[26:29], v11 offset:112
	v_mul_f32_e32 v30, v60, v53
	s_waitcnt lgkmcnt(0)
	s_barrier
	v_add_f32_e32 v2, v2, v32
	v_mul_f32_e32 v32, v19, v15
	v_dual_fmac_f32 v30, v61, v52 :: v_dual_mul_f32 v15, v18, v15
	buffer_gl0_inv
	v_fma_f32 v18, v18, v14, -v32
	v_add_f32_e32 v30, v31, v30
	v_fma_f32 v31, v62, v54, -v33
	v_dual_fmac_f32 v15, v19, v14 :: v_dual_mul_f32 v14, v21, v17
	s_delay_alu instid0(VALU_DEP_3) | instskip(NEXT) | instid1(VALU_DEP_3)
	v_dual_mul_f32 v17, v20, v17 :: v_dual_add_f32 v30, v30, v34
	v_add_f32_e32 v2, v2, v31
	s_delay_alu instid0(VALU_DEP_3) | instskip(NEXT) | instid1(VALU_DEP_3)
	v_fma_f32 v14, v20, v16, -v14
	v_fmac_f32_e32 v17, v21, v16
	s_delay_alu instid0(VALU_DEP_4) | instskip(NEXT) | instid1(VALU_DEP_4)
	v_add_f32_e32 v15, v30, v15
	v_add_f32_e32 v2, v2, v18
	v_mul_f32_e32 v16, v27, v23
	v_mul_f32_e32 v18, v26, v23
	s_delay_alu instid0(VALU_DEP_3) | instskip(SKIP_1) | instid1(VALU_DEP_4)
	v_add_f32_e32 v2, v2, v14
	v_add_f32_e32 v14, v15, v17
	v_fma_f32 v15, v26, v22, -v16
	s_delay_alu instid0(VALU_DEP_4) | instskip(SKIP_1) | instid1(VALU_DEP_3)
	v_fmac_f32_e32 v18, v27, v22
	v_mul_f32_e32 v16, v29, v25
	v_dual_mul_f32 v17, v28, v25 :: v_dual_add_f32 v2, v2, v15
	s_delay_alu instid0(VALU_DEP_3) | instskip(NEXT) | instid1(VALU_DEP_3)
	v_add_f32_e32 v14, v14, v18
	v_fma_f32 v15, v28, v24, -v16
	s_delay_alu instid0(VALU_DEP_3) | instskip(NEXT) | instid1(VALU_DEP_2)
	v_fmac_f32_e32 v17, v29, v24
	v_add_f32_e32 v15, v2, v15
	s_delay_alu instid0(VALU_DEP_2)
	v_add_f32_e32 v14, v14, v17
	s_cbranch_scc1 .LBB666_11
.LBB666_3:                              ; =>This Inner Loop Header: Depth=1
	v_add_nc_u32_e32 v2, s11, v9
	s_delay_alu instid0(VALU_DEP_1) | instskip(SKIP_1) | instid1(SALU_CYCLE_1)
	v_cmp_le_i32_e32 vcc_lo, s17, v2
	s_or_b32 s6, s3, vcc_lo
	s_and_saveexec_b32 s7, s6
	s_delay_alu instid0(SALU_CYCLE_1)
	s_xor_b32 s6, exec_lo, s7
	s_cbranch_execz .LBB666_5
; %bb.4:                                ;   in Loop: Header=BB666_3 Depth=1
	v_mov_b32_e32 v2, v1
	ds_store_b64 v12, v[1:2]
.LBB666_5:                              ;   in Loop: Header=BB666_3 Depth=1
	s_and_not1_saveexec_b32 s6, s6
	s_cbranch_execz .LBB666_7
; %bb.6:                                ;   in Loop: Header=BB666_3 Depth=1
	global_load_b64 v[16:17], v[5:6], off
	s_waitcnt vmcnt(0)
	ds_store_b64 v12, v[16:17]
.LBB666_7:                              ;   in Loop: Header=BB666_3 Depth=1
	s_or_b32 exec_lo, exec_lo, s6
	v_add_nc_u32_e32 v2, s11, v8
	s_delay_alu instid0(VALU_DEP_1) | instskip(SKIP_1) | instid1(SALU_CYCLE_1)
	v_cmp_le_i32_e32 vcc_lo, s17, v2
	s_or_b32 s6, s2, vcc_lo
	s_and_saveexec_b32 s7, s6
	s_delay_alu instid0(SALU_CYCLE_1)
	s_xor_b32 s6, exec_lo, s7
	s_cbranch_execz .LBB666_9
; %bb.8:                                ;   in Loop: Header=BB666_3 Depth=1
	v_mov_b32_e32 v2, v1
	ds_store_b64 v13, v[1:2]
.LBB666_9:                              ;   in Loop: Header=BB666_3 Depth=1
	s_and_not1_saveexec_b32 s6, s6
	s_cbranch_execz .LBB666_2
; %bb.10:                               ;   in Loop: Header=BB666_3 Depth=1
	global_load_b64 v[16:17], v[3:4], off
	s_waitcnt vmcnt(0)
	ds_store_b64 v13, v[16:17]
	s_branch .LBB666_2
.LBB666_11:
	v_cmp_le_i32_e32 vcc_lo, v7, v0
	v_cmp_gt_i32_e64 s2, s16, v0
	s_delay_alu instid0(VALU_DEP_1) | instskip(NEXT) | instid1(SALU_CYCLE_1)
	s_and_b32 s2, vcc_lo, s2
	s_and_saveexec_b32 s3, s2
	s_cbranch_execz .LBB666_13
; %bb.12:
	s_load_b32 s0, s[0:1], 0x50
	v_ashrrev_i32_e32 v1, 31, v0
	s_waitcnt lgkmcnt(0)
	v_mul_f32_e32 v5, s4, v14
	v_mul_f32_e32 v4, s5, v14
	s_delay_alu instid0(VALU_DEP_3) | instskip(NEXT) | instid1(VALU_DEP_3)
	v_lshlrev_b64 v[0:1], 3, v[0:1]
	v_fmac_f32_e32 v5, s5, v15
	s_delay_alu instid0(VALU_DEP_3) | instskip(SKIP_1) | instid1(VALU_DEP_1)
	v_fma_f32 v4, v15, s4, -v4
	v_mad_i64_i32 v[2:3], null, s0, v7, 0
	v_lshlrev_b64 v[2:3], 3, v[2:3]
	s_delay_alu instid0(VALU_DEP_1) | instskip(NEXT) | instid1(VALU_DEP_2)
	v_add_co_u32 v2, vcc_lo, s8, v2
	v_add_co_ci_u32_e32 v3, vcc_lo, s9, v3, vcc_lo
	s_delay_alu instid0(VALU_DEP_2) | instskip(NEXT) | instid1(VALU_DEP_2)
	v_add_co_u32 v0, vcc_lo, v2, v0
	v_add_co_ci_u32_e32 v1, vcc_lo, v3, v1, vcc_lo
	global_store_b64 v[0:1], v[4:5], off
.LBB666_13:
	s_nop 0
	s_sendmsg sendmsg(MSG_DEALLOC_VGPRS)
	s_endpgm
	.section	.rodata,"a",@progbits
	.p2align	6, 0x0
	.amdhsa_kernel _ZL32rocblas_syrkx_herkx_small_kernelIi19rocblas_complex_numIfELi16ELb1ELb0ELc84ELc76EKPKS1_KPS1_EviT_T0_PT6_S7_lSA_S7_lS8_PT7_S7_li
		.amdhsa_group_segment_fixed_size 4096
		.amdhsa_private_segment_fixed_size 0
		.amdhsa_kernarg_size 100
		.amdhsa_user_sgpr_count 13
		.amdhsa_user_sgpr_dispatch_ptr 0
		.amdhsa_user_sgpr_queue_ptr 0
		.amdhsa_user_sgpr_kernarg_segment_ptr 1
		.amdhsa_user_sgpr_dispatch_id 0
		.amdhsa_user_sgpr_private_segment_size 0
		.amdhsa_wavefront_size32 1
		.amdhsa_uses_dynamic_stack 0
		.amdhsa_enable_private_segment 0
		.amdhsa_system_sgpr_workgroup_id_x 1
		.amdhsa_system_sgpr_workgroup_id_y 1
		.amdhsa_system_sgpr_workgroup_id_z 1
		.amdhsa_system_sgpr_workgroup_info 0
		.amdhsa_system_vgpr_workitem_id 1
		.amdhsa_next_free_vgpr 68
		.amdhsa_next_free_sgpr 20
		.amdhsa_reserve_vcc 1
		.amdhsa_float_round_mode_32 0
		.amdhsa_float_round_mode_16_64 0
		.amdhsa_float_denorm_mode_32 3
		.amdhsa_float_denorm_mode_16_64 3
		.amdhsa_dx10_clamp 1
		.amdhsa_ieee_mode 1
		.amdhsa_fp16_overflow 0
		.amdhsa_workgroup_processor_mode 1
		.amdhsa_memory_ordered 1
		.amdhsa_forward_progress 0
		.amdhsa_shared_vgpr_count 0
		.amdhsa_exception_fp_ieee_invalid_op 0
		.amdhsa_exception_fp_denorm_src 0
		.amdhsa_exception_fp_ieee_div_zero 0
		.amdhsa_exception_fp_ieee_overflow 0
		.amdhsa_exception_fp_ieee_underflow 0
		.amdhsa_exception_fp_ieee_inexact 0
		.amdhsa_exception_int_div_zero 0
	.end_amdhsa_kernel
	.section	.text._ZL32rocblas_syrkx_herkx_small_kernelIi19rocblas_complex_numIfELi16ELb1ELb0ELc84ELc76EKPKS1_KPS1_EviT_T0_PT6_S7_lSA_S7_lS8_PT7_S7_li,"axG",@progbits,_ZL32rocblas_syrkx_herkx_small_kernelIi19rocblas_complex_numIfELi16ELb1ELb0ELc84ELc76EKPKS1_KPS1_EviT_T0_PT6_S7_lSA_S7_lS8_PT7_S7_li,comdat
.Lfunc_end666:
	.size	_ZL32rocblas_syrkx_herkx_small_kernelIi19rocblas_complex_numIfELi16ELb1ELb0ELc84ELc76EKPKS1_KPS1_EviT_T0_PT6_S7_lSA_S7_lS8_PT7_S7_li, .Lfunc_end666-_ZL32rocblas_syrkx_herkx_small_kernelIi19rocblas_complex_numIfELi16ELb1ELb0ELc84ELc76EKPKS1_KPS1_EviT_T0_PT6_S7_lSA_S7_lS8_PT7_S7_li
                                        ; -- End function
	.section	.AMDGPU.csdata,"",@progbits
; Kernel info:
; codeLenInByte = 1404
; NumSgprs: 22
; NumVgprs: 68
; ScratchSize: 0
; MemoryBound: 1
; FloatMode: 240
; IeeeMode: 1
; LDSByteSize: 4096 bytes/workgroup (compile time only)
; SGPRBlocks: 2
; VGPRBlocks: 8
; NumSGPRsForWavesPerEU: 22
; NumVGPRsForWavesPerEU: 68
; Occupancy: 16
; WaveLimiterHint : 1
; COMPUTE_PGM_RSRC2:SCRATCH_EN: 0
; COMPUTE_PGM_RSRC2:USER_SGPR: 13
; COMPUTE_PGM_RSRC2:TRAP_HANDLER: 0
; COMPUTE_PGM_RSRC2:TGID_X_EN: 1
; COMPUTE_PGM_RSRC2:TGID_Y_EN: 1
; COMPUTE_PGM_RSRC2:TGID_Z_EN: 1
; COMPUTE_PGM_RSRC2:TIDIG_COMP_CNT: 1
	.section	.text._ZL32rocblas_syrkx_herkx_small_kernelIi19rocblas_complex_numIfELi16ELb1ELb0ELc67ELc76EKPKS1_KPS1_EviT_T0_PT6_S7_lSA_S7_lS8_PT7_S7_li,"axG",@progbits,_ZL32rocblas_syrkx_herkx_small_kernelIi19rocblas_complex_numIfELi16ELb1ELb0ELc67ELc76EKPKS1_KPS1_EviT_T0_PT6_S7_lSA_S7_lS8_PT7_S7_li,comdat
	.globl	_ZL32rocblas_syrkx_herkx_small_kernelIi19rocblas_complex_numIfELi16ELb1ELb0ELc67ELc76EKPKS1_KPS1_EviT_T0_PT6_S7_lSA_S7_lS8_PT7_S7_li ; -- Begin function _ZL32rocblas_syrkx_herkx_small_kernelIi19rocblas_complex_numIfELi16ELb1ELb0ELc67ELc76EKPKS1_KPS1_EviT_T0_PT6_S7_lSA_S7_lS8_PT7_S7_li
	.p2align	8
	.type	_ZL32rocblas_syrkx_herkx_small_kernelIi19rocblas_complex_numIfELi16ELb1ELb0ELc67ELc76EKPKS1_KPS1_EviT_T0_PT6_S7_lSA_S7_lS8_PT7_S7_li,@function
_ZL32rocblas_syrkx_herkx_small_kernelIi19rocblas_complex_numIfELi16ELb1ELb0ELc67ELc76EKPKS1_KPS1_EviT_T0_PT6_S7_lSA_S7_lS8_PT7_S7_li: ; @_ZL32rocblas_syrkx_herkx_small_kernelIi19rocblas_complex_numIfELi16ELb1ELb0ELc67ELc76EKPKS1_KPS1_EviT_T0_PT6_S7_lSA_S7_lS8_PT7_S7_li
; %bb.0:
	s_clause 0x1
	s_load_b64 s[2:3], s[0:1], 0x48
	s_load_b64 s[16:17], s[0:1], 0x0
	s_mov_b32 s10, s15
	s_mov_b32 s11, 0
	v_dual_mov_b32 v17, 0 :: v_dual_and_b32 v10, 0x3ff, v0
	s_lshl_b64 s[18:19], s[10:11], 3
	v_bfe_u32 v11, v0, 10, 10
	v_mov_b32_e32 v16, 0
	s_delay_alu instid0(VALU_DEP_3) | instskip(NEXT) | instid1(VALU_DEP_3)
	v_lshl_add_u32 v0, s13, 4, v10
	v_lshl_add_u32 v9, s14, 4, v11
	s_waitcnt lgkmcnt(0)
	s_add_u32 s2, s2, s18
	s_addc_u32 s3, s3, s19
	s_load_b128 s[4:7], s[0:1], 0x8
	s_load_b64 s[8:9], s[2:3], 0x0
	v_cmp_gt_i32_e32 vcc_lo, s16, v0
	s_cmp_lt_i32 s17, 1
	s_cbranch_scc1 .LBB667_9
; %bb.1:
	s_clause 0x2
	s_load_b64 s[12:13], s[0:1], 0x28
	s_load_b32 s3, s[0:1], 0x18
	s_load_b32 s10, s[0:1], 0x30
	v_dual_mov_b32 v16, 0 :: v_dual_lshlrev_b32 v7, 3, v11
	v_dual_mov_b32 v17, 0 :: v_dual_lshlrev_b32 v12, 3, v10
	;; [unrolled: 1-line block ×3, first 2 shown]
	v_cmp_gt_i32_e64 s2, s16, v9
	s_delay_alu instid0(VALU_DEP_2) | instskip(NEXT) | instid1(VALU_DEP_4)
	v_add_nc_u32_e32 v13, 0x800, v6
	v_add_nc_u32_e32 v14, v12, v6
	s_delay_alu instid0(VALU_DEP_2)
	v_add_nc_u32_e32 v15, v13, v12
	s_waitcnt lgkmcnt(0)
	s_add_u32 s12, s12, s18
	s_addc_u32 s13, s13, s19
	s_add_u32 s6, s6, s18
	s_addc_u32 s7, s7, s19
	v_mad_i64_i32 v[2:3], null, s3, v0, 0
	s_load_b64 s[6:7], s[6:7], 0x0
	v_mad_i64_i32 v[4:5], null, s10, v9, 0
	s_load_b64 s[12:13], s[12:13], 0x0
	s_delay_alu instid0(VALU_DEP_2) | instskip(NEXT) | instid1(VALU_DEP_2)
	v_lshlrev_b64 v[2:3], 3, v[2:3]
	v_lshlrev_b64 v[4:5], 3, v[4:5]
	s_delay_alu instid0(VALU_DEP_2) | instskip(NEXT) | instid1(VALU_DEP_1)
	v_add_co_u32 v2, s3, v2, v7
	v_add_co_ci_u32_e64 v3, s3, 0, v3, s3
	s_delay_alu instid0(VALU_DEP_3) | instskip(NEXT) | instid1(VALU_DEP_1)
	v_add_co_u32 v4, s3, v4, v12
	v_add_co_ci_u32_e64 v5, s3, 0, v5, s3
	s_waitcnt lgkmcnt(0)
	v_add_co_u32 v2, s3, v2, s6
	s_delay_alu instid0(VALU_DEP_1) | instskip(SKIP_1) | instid1(VALU_DEP_1)
	v_add_co_ci_u32_e64 v6, s3, s7, v3, s3
	v_add_co_u32 v3, s3, s12, v4
	v_add_co_ci_u32_e64 v4, s3, s13, v5, s3
	s_delay_alu instid0(VALU_DEP_4) | instskip(NEXT) | instid1(VALU_DEP_1)
	v_add_co_u32 v5, s3, v2, 4
	v_add_co_ci_u32_e64 v6, s3, 0, v6, s3
	s_xor_b32 s3, s2, -1
	s_branch .LBB667_3
.LBB667_2:                              ;   in Loop: Header=BB667_3 Depth=1
	s_or_b32 exec_lo, exec_lo, s2
	s_waitcnt lgkmcnt(0)
	s_barrier
	buffer_gl0_inv
	ds_load_2addr_b64 v[18:21], v12 offset1:16
	ds_load_b128 v[22:25], v13
	ds_load_b128 v[26:29], v13 offset:16
	ds_load_2addr_b64 v[30:33], v12 offset0:32 offset1:48
	ds_load_2addr_b64 v[34:37], v12 offset0:64 offset1:80
	ds_load_b128 v[38:41], v13 offset:32
	ds_load_b128 v[42:45], v13 offset:48
	ds_load_2addr_b64 v[46:49], v12 offset0:96 offset1:112
	ds_load_2addr_b64 v[50:53], v12 offset0:128 offset1:144
	;; [unrolled: 1-line block ×3, first 2 shown]
	ds_load_b128 v[58:61], v13 offset:64
	ds_load_b128 v[62:65], v13 offset:80
	v_add_co_u32 v3, s2, 0x80, v3
	s_delay_alu instid0(VALU_DEP_1) | instskip(SKIP_1) | instid1(VALU_DEP_1)
	v_add_co_ci_u32_e64 v4, s2, 0, v4, s2
	v_add_co_u32 v5, s2, 0x80, v5
	v_add_co_ci_u32_e64 v6, s2, 0, v6, s2
	s_add_i32 s11, s11, 16
	s_waitcnt lgkmcnt(10)
	v_mul_f32_e32 v2, v23, v19
	v_dual_mul_f32 v7, v22, v19 :: v_dual_mul_f32 v8, v25, v21
	v_mul_f32_e32 v19, v24, v21
	s_waitcnt lgkmcnt(8)
	v_dual_mul_f32 v21, v27, v31 :: v_dual_mul_f32 v66, v29, v33
	v_fma_f32 v2, v22, v18, -v2
	v_mul_f32_e32 v33, v28, v33
	v_fma_f32 v8, v24, v20, -v8
	s_waitcnt lgkmcnt(6)
	v_mul_f32_e32 v67, v39, v35
	v_fmac_f32_e32 v19, v25, v20
	v_add_f32_e32 v2, v17, v2
	v_fmac_f32_e32 v7, v23, v18
	v_fma_f32 v17, v26, v30, -v21
	v_mul_f32_e32 v18, v40, v37
	v_fma_f32 v20, v38, v34, -v67
	s_delay_alu instid0(VALU_DEP_4) | instskip(SKIP_3) | instid1(VALU_DEP_3)
	v_dual_add_f32 v2, v2, v8 :: v_dual_add_f32 v7, v16, v7
	s_waitcnt lgkmcnt(4)
	v_mul_f32_e32 v16, v43, v47
	v_dual_mul_f32 v31, v26, v31 :: v_dual_mul_f32 v22, v41, v37
	v_dual_add_f32 v2, v2, v17 :: v_dual_add_f32 v7, v7, v19
	v_fma_f32 v19, v28, v32, -v66
	v_fmac_f32_e32 v33, v29, v32
	v_dual_mul_f32 v35, v38, v35 :: v_dual_fmac_f32 v18, v41, v36
	v_dual_fmac_f32 v31, v27, v30 :: v_dual_mul_f32 v8, v42, v47
	s_delay_alu instid0(VALU_DEP_4)
	v_add_f32_e32 v2, v2, v19
	v_fma_f32 v19, v40, v36, -v22
	v_fma_f32 v16, v42, v46, -v16
	v_mul_f32_e32 v17, v45, v49
	v_dual_mul_f32 v21, v44, v49 :: v_dual_fmac_f32 v8, v43, v46
	v_dual_add_f32 v2, v2, v20 :: v_dual_fmac_f32 v35, v39, v34
	s_waitcnt lgkmcnt(1)
	v_mul_f32_e32 v20, v59, v51
	v_mul_f32_e32 v24, v58, v51
	v_fma_f32 v22, v44, v48, -v17
	v_add_f32_e32 v2, v2, v19
	v_add_f32_e32 v7, v7, v31
	s_delay_alu instid0(VALU_DEP_4) | instskip(NEXT) | instid1(VALU_DEP_3)
	v_dual_fmac_f32 v21, v45, v48 :: v_dual_fmac_f32 v24, v59, v50
	v_dual_mul_f32 v25, v61, v53 :: v_dual_add_f32 v2, v2, v16
	s_delay_alu instid0(VALU_DEP_3)
	v_add_f32_e32 v7, v7, v33
	v_mul_f32_e32 v26, v60, v53
	s_cmp_ge_i32 s11, s17
	s_waitcnt lgkmcnt(0)
	v_mul_f32_e32 v32, v62, v55
	v_dual_add_f32 v2, v2, v22 :: v_dual_add_f32 v7, v7, v35
	v_mul_f32_e32 v33, v65, v57
	v_mul_f32_e32 v34, v64, v57
	s_delay_alu instid0(VALU_DEP_4) | instskip(NEXT) | instid1(VALU_DEP_4)
	v_fmac_f32_e32 v32, v63, v54
	v_add_f32_e32 v7, v7, v18
	ds_load_2addr_b64 v[16:19], v12 offset0:192 offset1:208
	v_add_f32_e32 v7, v7, v8
	v_fma_f32 v8, v58, v50, -v20
	s_delay_alu instid0(VALU_DEP_1)
	v_dual_add_f32 v7, v7, v21 :: v_dual_add_f32 v2, v2, v8
	ds_load_b128 v[20:23], v13 offset:96
	v_fmac_f32_e32 v26, v61, v52
	v_fmac_f32_e32 v34, v65, v56
	v_add_f32_e32 v7, v7, v24
	v_mul_f32_e32 v24, v63, v55
	v_fma_f32 v8, v60, v52, -v25
	s_delay_alu instid0(VALU_DEP_1) | instskip(NEXT) | instid1(VALU_DEP_3)
	v_dual_add_f32 v7, v7, v26 :: v_dual_add_f32 v2, v2, v8
	v_fma_f32 v8, v62, v54, -v24
	ds_load_2addr_b64 v[24:27], v12 offset0:224 offset1:240
	ds_load_b128 v[28:31], v13 offset:112
	v_add_f32_e32 v7, v7, v32
	s_waitcnt lgkmcnt(0)
	s_barrier
	buffer_gl0_inv
	v_mul_f32_e32 v32, v21, v17
	v_dual_add_f32 v2, v2, v8 :: v_dual_add_f32 v7, v7, v34
	v_fma_f32 v8, v64, v56, -v33
	v_mul_f32_e32 v17, v20, v17
	s_delay_alu instid0(VALU_DEP_1) | instskip(NEXT) | instid1(VALU_DEP_3)
	v_fmac_f32_e32 v17, v21, v16
	v_add_f32_e32 v2, v2, v8
	v_fma_f32 v8, v20, v16, -v32
	v_mul_f32_e32 v16, v23, v19
	v_mul_f32_e32 v19, v22, v19
	s_delay_alu instid0(VALU_DEP_3) | instskip(NEXT) | instid1(VALU_DEP_3)
	v_dual_add_f32 v7, v7, v17 :: v_dual_add_f32 v2, v2, v8
	v_fma_f32 v8, v22, v18, -v16
	s_delay_alu instid0(VALU_DEP_3) | instskip(NEXT) | instid1(VALU_DEP_2)
	v_dual_fmac_f32 v19, v23, v18 :: v_dual_mul_f32 v16, v29, v25
	v_dual_mul_f32 v17, v28, v25 :: v_dual_add_f32 v2, v2, v8
	s_delay_alu instid0(VALU_DEP_2) | instskip(NEXT) | instid1(VALU_DEP_3)
	v_add_f32_e32 v7, v7, v19
	v_fma_f32 v8, v28, v24, -v16
	s_delay_alu instid0(VALU_DEP_3) | instskip(SKIP_1) | instid1(VALU_DEP_2)
	v_dual_fmac_f32 v17, v29, v24 :: v_dual_mul_f32 v16, v31, v27
	v_mul_f32_e32 v18, v30, v27
	v_dual_add_f32 v2, v2, v8 :: v_dual_add_f32 v7, v7, v17
	s_delay_alu instid0(VALU_DEP_3) | instskip(NEXT) | instid1(VALU_DEP_1)
	v_fma_f32 v8, v30, v26, -v16
	v_dual_fmac_f32 v18, v31, v26 :: v_dual_add_f32 v17, v2, v8
	s_delay_alu instid0(VALU_DEP_1)
	v_add_f32_e32 v16, v7, v18
	s_cbranch_scc1 .LBB667_9
.LBB667_3:                              ; =>This Inner Loop Header: Depth=1
	v_dual_mov_b32 v7, 0 :: v_dual_add_nc_u32 v2, s11, v11
	v_mov_b32_e32 v8, 0
	s_delay_alu instid0(VALU_DEP_2) | instskip(NEXT) | instid1(VALU_DEP_1)
	v_cmp_gt_i32_e64 s2, s17, v2
	s_and_b32 s6, vcc_lo, s2
	s_delay_alu instid0(SALU_CYCLE_1)
	s_and_saveexec_b32 s2, s6
	s_cbranch_execz .LBB667_5
; %bb.4:                                ;   in Loop: Header=BB667_3 Depth=1
	global_load_b64 v[7:8], v[5:6], off offset:-4
.LBB667_5:                              ;   in Loop: Header=BB667_3 Depth=1
	s_or_b32 exec_lo, exec_lo, s2
	v_add_nc_u32_e32 v2, s11, v10
	s_waitcnt vmcnt(0)
	ds_store_b64 v14, v[7:8]
	v_cmp_le_i32_e64 s2, s17, v2
	s_delay_alu instid0(VALU_DEP_1) | instskip(NEXT) | instid1(SALU_CYCLE_1)
	s_or_b32 s2, s3, s2
	s_and_saveexec_b32 s6, s2
	s_delay_alu instid0(SALU_CYCLE_1)
	s_xor_b32 s2, exec_lo, s6
	s_cbranch_execz .LBB667_7
; %bb.6:                                ;   in Loop: Header=BB667_3 Depth=1
	v_mov_b32_e32 v2, v1
	ds_store_b64 v15, v[1:2]
.LBB667_7:                              ;   in Loop: Header=BB667_3 Depth=1
	s_and_not1_saveexec_b32 s2, s2
	s_cbranch_execz .LBB667_2
; %bb.8:                                ;   in Loop: Header=BB667_3 Depth=1
	global_load_b64 v[7:8], v[3:4], off
	s_waitcnt vmcnt(0)
	ds_store_b64 v15, v[7:8]
	s_branch .LBB667_2
.LBB667_9:
	v_cmp_le_i32_e32 vcc_lo, v9, v0
	v_cmp_gt_i32_e64 s2, s16, v0
	s_delay_alu instid0(VALU_DEP_1) | instskip(NEXT) | instid1(SALU_CYCLE_1)
	s_and_b32 s2, vcc_lo, s2
	s_and_saveexec_b32 s3, s2
	s_cbranch_execz .LBB667_11
; %bb.10:
	s_load_b32 s0, s[0:1], 0x50
	v_ashrrev_i32_e32 v1, 31, v0
	s_waitcnt lgkmcnt(0)
	v_mul_f32_e32 v5, s4, v16
	v_mul_f32_e32 v4, s5, v16
	s_delay_alu instid0(VALU_DEP_3) | instskip(NEXT) | instid1(VALU_DEP_3)
	v_lshlrev_b64 v[0:1], 3, v[0:1]
	v_fmac_f32_e32 v5, s5, v17
	s_delay_alu instid0(VALU_DEP_3) | instskip(SKIP_1) | instid1(VALU_DEP_1)
	v_fma_f32 v4, v17, s4, -v4
	v_mad_i64_i32 v[2:3], null, s0, v9, 0
	v_lshlrev_b64 v[2:3], 3, v[2:3]
	s_delay_alu instid0(VALU_DEP_1) | instskip(NEXT) | instid1(VALU_DEP_2)
	v_add_co_u32 v2, vcc_lo, s8, v2
	v_add_co_ci_u32_e32 v3, vcc_lo, s9, v3, vcc_lo
	s_delay_alu instid0(VALU_DEP_2) | instskip(NEXT) | instid1(VALU_DEP_2)
	v_add_co_u32 v0, vcc_lo, v2, v0
	v_add_co_ci_u32_e32 v1, vcc_lo, v3, v1, vcc_lo
	global_store_b64 v[0:1], v[4:5], off
.LBB667_11:
	s_nop 0
	s_sendmsg sendmsg(MSG_DEALLOC_VGPRS)
	s_endpgm
	.section	.rodata,"a",@progbits
	.p2align	6, 0x0
	.amdhsa_kernel _ZL32rocblas_syrkx_herkx_small_kernelIi19rocblas_complex_numIfELi16ELb1ELb0ELc67ELc76EKPKS1_KPS1_EviT_T0_PT6_S7_lSA_S7_lS8_PT7_S7_li
		.amdhsa_group_segment_fixed_size 4096
		.amdhsa_private_segment_fixed_size 0
		.amdhsa_kernarg_size 100
		.amdhsa_user_sgpr_count 13
		.amdhsa_user_sgpr_dispatch_ptr 0
		.amdhsa_user_sgpr_queue_ptr 0
		.amdhsa_user_sgpr_kernarg_segment_ptr 1
		.amdhsa_user_sgpr_dispatch_id 0
		.amdhsa_user_sgpr_private_segment_size 0
		.amdhsa_wavefront_size32 1
		.amdhsa_uses_dynamic_stack 0
		.amdhsa_enable_private_segment 0
		.amdhsa_system_sgpr_workgroup_id_x 1
		.amdhsa_system_sgpr_workgroup_id_y 1
		.amdhsa_system_sgpr_workgroup_id_z 1
		.amdhsa_system_sgpr_workgroup_info 0
		.amdhsa_system_vgpr_workitem_id 1
		.amdhsa_next_free_vgpr 68
		.amdhsa_next_free_sgpr 20
		.amdhsa_reserve_vcc 1
		.amdhsa_float_round_mode_32 0
		.amdhsa_float_round_mode_16_64 0
		.amdhsa_float_denorm_mode_32 3
		.amdhsa_float_denorm_mode_16_64 3
		.amdhsa_dx10_clamp 1
		.amdhsa_ieee_mode 1
		.amdhsa_fp16_overflow 0
		.amdhsa_workgroup_processor_mode 1
		.amdhsa_memory_ordered 1
		.amdhsa_forward_progress 0
		.amdhsa_shared_vgpr_count 0
		.amdhsa_exception_fp_ieee_invalid_op 0
		.amdhsa_exception_fp_denorm_src 0
		.amdhsa_exception_fp_ieee_div_zero 0
		.amdhsa_exception_fp_ieee_overflow 0
		.amdhsa_exception_fp_ieee_underflow 0
		.amdhsa_exception_fp_ieee_inexact 0
		.amdhsa_exception_int_div_zero 0
	.end_amdhsa_kernel
	.section	.text._ZL32rocblas_syrkx_herkx_small_kernelIi19rocblas_complex_numIfELi16ELb1ELb0ELc67ELc76EKPKS1_KPS1_EviT_T0_PT6_S7_lSA_S7_lS8_PT7_S7_li,"axG",@progbits,_ZL32rocblas_syrkx_herkx_small_kernelIi19rocblas_complex_numIfELi16ELb1ELb0ELc67ELc76EKPKS1_KPS1_EviT_T0_PT6_S7_lSA_S7_lS8_PT7_S7_li,comdat
.Lfunc_end667:
	.size	_ZL32rocblas_syrkx_herkx_small_kernelIi19rocblas_complex_numIfELi16ELb1ELb0ELc67ELc76EKPKS1_KPS1_EviT_T0_PT6_S7_lSA_S7_lS8_PT7_S7_li, .Lfunc_end667-_ZL32rocblas_syrkx_herkx_small_kernelIi19rocblas_complex_numIfELi16ELb1ELb0ELc67ELc76EKPKS1_KPS1_EviT_T0_PT6_S7_lSA_S7_lS8_PT7_S7_li
                                        ; -- End function
	.section	.AMDGPU.csdata,"",@progbits
; Kernel info:
; codeLenInByte = 1420
; NumSgprs: 22
; NumVgprs: 68
; ScratchSize: 0
; MemoryBound: 1
; FloatMode: 240
; IeeeMode: 1
; LDSByteSize: 4096 bytes/workgroup (compile time only)
; SGPRBlocks: 2
; VGPRBlocks: 8
; NumSGPRsForWavesPerEU: 22
; NumVGPRsForWavesPerEU: 68
; Occupancy: 16
; WaveLimiterHint : 1
; COMPUTE_PGM_RSRC2:SCRATCH_EN: 0
; COMPUTE_PGM_RSRC2:USER_SGPR: 13
; COMPUTE_PGM_RSRC2:TRAP_HANDLER: 0
; COMPUTE_PGM_RSRC2:TGID_X_EN: 1
; COMPUTE_PGM_RSRC2:TGID_Y_EN: 1
; COMPUTE_PGM_RSRC2:TGID_Z_EN: 1
; COMPUTE_PGM_RSRC2:TIDIG_COMP_CNT: 1
	.section	.text._ZL32rocblas_syrkx_herkx_small_kernelIi19rocblas_complex_numIfELi16ELb1ELb0ELc78ELc76EKPKS1_KPS1_EviT_T0_PT6_S7_lSA_S7_lS8_PT7_S7_li,"axG",@progbits,_ZL32rocblas_syrkx_herkx_small_kernelIi19rocblas_complex_numIfELi16ELb1ELb0ELc78ELc76EKPKS1_KPS1_EviT_T0_PT6_S7_lSA_S7_lS8_PT7_S7_li,comdat
	.globl	_ZL32rocblas_syrkx_herkx_small_kernelIi19rocblas_complex_numIfELi16ELb1ELb0ELc78ELc76EKPKS1_KPS1_EviT_T0_PT6_S7_lSA_S7_lS8_PT7_S7_li ; -- Begin function _ZL32rocblas_syrkx_herkx_small_kernelIi19rocblas_complex_numIfELi16ELb1ELb0ELc78ELc76EKPKS1_KPS1_EviT_T0_PT6_S7_lSA_S7_lS8_PT7_S7_li
	.p2align	8
	.type	_ZL32rocblas_syrkx_herkx_small_kernelIi19rocblas_complex_numIfELi16ELb1ELb0ELc78ELc76EKPKS1_KPS1_EviT_T0_PT6_S7_lSA_S7_lS8_PT7_S7_li,@function
_ZL32rocblas_syrkx_herkx_small_kernelIi19rocblas_complex_numIfELi16ELb1ELb0ELc78ELc76EKPKS1_KPS1_EviT_T0_PT6_S7_lSA_S7_lS8_PT7_S7_li: ; @_ZL32rocblas_syrkx_herkx_small_kernelIi19rocblas_complex_numIfELi16ELb1ELb0ELc78ELc76EKPKS1_KPS1_EviT_T0_PT6_S7_lSA_S7_lS8_PT7_S7_li
; %bb.0:
	s_clause 0x1
	s_load_b64 s[2:3], s[0:1], 0x48
	s_load_b64 s[16:17], s[0:1], 0x0
	s_mov_b32 s10, s15
	s_mov_b32 s11, 0
	v_dual_mov_b32 v17, 0 :: v_dual_and_b32 v12, 0x3ff, v0
	s_lshl_b64 s[18:19], s[10:11], 3
	v_bfe_u32 v13, v0, 10, 10
	v_mov_b32_e32 v18, 0
	s_delay_alu instid0(VALU_DEP_3) | instskip(NEXT) | instid1(VALU_DEP_3)
	v_lshl_add_u32 v0, s13, 4, v12
	v_lshl_add_u32 v2, s14, 4, v13
	s_delay_alu instid0(VALU_DEP_2)
	v_ashrrev_i32_e32 v1, 31, v0
	s_waitcnt lgkmcnt(0)
	s_add_u32 s2, s2, s18
	s_addc_u32 s3, s3, s19
	s_load_b128 s[4:7], s[0:1], 0x8
	s_load_b64 s[8:9], s[2:3], 0x0
	v_cmp_gt_i32_e64 s2, s16, v0
	s_cmp_lt_i32 s17, 1
	s_cbranch_scc1 .LBB668_9
; %bb.1:
	s_clause 0x2
	s_load_b32 s12, s[0:1], 0x18
	s_load_b32 s14, s[0:1], 0x30
	s_load_b64 s[20:21], s[0:1], 0x28
	v_ashrrev_i32_e32 v3, 31, v2
	v_lshlrev_b64 v[5:6], 3, v[0:1]
	v_dual_mov_b32 v4, 0 :: v_dual_lshlrev_b32 v11, 7, v13
	v_dual_mov_b32 v17, 0 :: v_dual_lshlrev_b32 v14, 3, v12
	s_delay_alu instid0(VALU_DEP_4) | instskip(NEXT) | instid1(VALU_DEP_3)
	v_lshlrev_b64 v[18:19], 3, v[2:3]
	v_add_nc_u32_e32 v15, 0x800, v11
	v_cmp_gt_i32_e32 vcc_lo, s16, v2
	s_delay_alu instid0(VALU_DEP_4)
	v_add_nc_u32_e32 v3, v14, v11
	s_waitcnt lgkmcnt(0)
	s_ashr_i32 s13, s12, 31
	s_ashr_i32 s15, s14, 31
	s_add_u32 s20, s20, s18
	s_addc_u32 s21, s21, s19
	v_mad_i64_i32 v[7:8], null, s14, v12, 0
	s_load_b64 s[20:21], s[20:21], 0x0
	s_add_u32 s6, s6, s18
	s_addc_u32 s7, s7, s19
	v_mad_i64_i32 v[9:10], null, s12, v13, 0
	s_load_b64 s[6:7], s[6:7], 0x0
	s_delay_alu instid0(VALU_DEP_2) | instskip(SKIP_1) | instid1(VALU_DEP_2)
	v_lshlrev_b64 v[7:8], 3, v[7:8]
	s_lshl_b64 s[12:13], s[12:13], 7
	v_lshlrev_b64 v[9:10], 3, v[9:10]
	s_delay_alu instid0(VALU_DEP_2) | instskip(SKIP_1) | instid1(VALU_DEP_4)
	v_add_co_u32 v7, s3, v7, v18
	v_mov_b32_e32 v18, 0
	v_add_co_ci_u32_e64 v8, s3, v8, v19, s3
	s_delay_alu instid0(VALU_DEP_4) | instskip(NEXT) | instid1(VALU_DEP_1)
	v_add_co_u32 v5, s3, v9, v5
	v_add_co_ci_u32_e64 v9, s3, v10, v6, s3
	s_waitcnt lgkmcnt(0)
	v_add_co_u32 v10, s3, v7, s20
	s_delay_alu instid0(VALU_DEP_1) | instskip(SKIP_1) | instid1(VALU_DEP_1)
	v_add_co_ci_u32_e64 v11, s3, s21, v8, s3
	v_add_co_u32 v6, s3, s6, v5
	v_add_co_ci_u32_e64 v7, s3, s7, v9, s3
	s_delay_alu instid0(VALU_DEP_4)
	v_add_co_u32 v8, s3, v10, 4
	v_add_nc_u32_e32 v16, v15, v14
	v_add_co_ci_u32_e64 v9, s3, 0, v11, s3
	s_lshl_b64 s[6:7], s[14:15], 7
	s_xor_b32 s3, s2, -1
	s_branch .LBB668_3
.LBB668_2:                              ;   in Loop: Header=BB668_3 Depth=1
	s_or_b32 exec_lo, exec_lo, s2
	s_waitcnt vmcnt(0)
	ds_store_b64 v16, v[10:11]
	s_waitcnt lgkmcnt(0)
	s_barrier
	buffer_gl0_inv
	ds_load_2addr_b64 v[19:22], v14 offset1:16
	ds_load_b128 v[23:26], v15
	ds_load_b128 v[27:30], v15 offset:16
	ds_load_2addr_b64 v[31:34], v14 offset0:32 offset1:48
	ds_load_2addr_b64 v[35:38], v14 offset0:64 offset1:80
	ds_load_b128 v[39:42], v15 offset:32
	ds_load_b128 v[43:46], v15 offset:48
	ds_load_2addr_b64 v[47:50], v14 offset0:96 offset1:112
	ds_load_2addr_b64 v[51:54], v14 offset0:128 offset1:144
	;; [unrolled: 1-line block ×3, first 2 shown]
	ds_load_b128 v[59:62], v15 offset:64
	ds_load_b128 v[63:66], v15 offset:80
	v_add_co_u32 v8, s2, v8, s6
	s_delay_alu instid0(VALU_DEP_1) | instskip(SKIP_1) | instid1(VALU_DEP_1)
	v_add_co_ci_u32_e64 v9, s2, s7, v9, s2
	v_add_co_u32 v6, s2, v6, s12
	v_add_co_ci_u32_e64 v7, s2, s13, v7, s2
	s_add_i32 s11, s11, 16
	s_waitcnt lgkmcnt(10)
	v_mul_f32_e32 v5, v24, v20
	v_dual_mul_f32 v10, v23, v20 :: v_dual_mul_f32 v11, v26, v22
	v_mul_f32_e32 v20, v25, v22
	s_waitcnt lgkmcnt(8)
	v_dual_mul_f32 v22, v28, v32 :: v_dual_mul_f32 v67, v30, v34
	v_fma_f32 v5, v23, v19, -v5
	v_mul_f32_e32 v32, v27, v32
	v_fma_f32 v11, v25, v21, -v11
	s_waitcnt lgkmcnt(6)
	v_dual_mul_f32 v34, v29, v34 :: v_dual_mul_f32 v23, v39, v36
	v_dual_add_f32 v5, v18, v5 :: v_dual_mul_f32 v68, v40, v36
	v_mul_f32_e32 v36, v42, v38
	v_fmac_f32_e32 v32, v28, v31
	v_mul_f32_e32 v18, v41, v38
	s_delay_alu instid0(VALU_DEP_4)
	v_add_f32_e32 v5, v5, v11
	v_fmac_f32_e32 v10, v24, v19
	v_fma_f32 v19, v29, v33, -v67
	s_waitcnt lgkmcnt(4)
	v_mul_f32_e32 v11, v44, v48
	v_fmac_f32_e32 v23, v40, v35
	s_cmp_ge_i32 s11, s17
	v_add_f32_e32 v10, v17, v10
	v_fma_f32 v17, v27, v31, -v22
	v_fma_f32 v11, v43, v47, -v11
	s_delay_alu instid0(VALU_DEP_2) | instskip(SKIP_3) | instid1(VALU_DEP_3)
	v_add_f32_e32 v5, v5, v17
	v_fmac_f32_e32 v20, v26, v21
	v_fma_f32 v21, v41, v37, -v36
	v_mul_f32_e32 v17, v43, v48
	v_dual_add_f32 v5, v5, v19 :: v_dual_add_f32 v10, v10, v20
	v_fma_f32 v20, v39, v35, -v68
	v_fmac_f32_e32 v34, v30, v33
	v_mul_f32_e32 v19, v46, v50
	v_fmac_f32_e32 v17, v44, v47
	s_waitcnt lgkmcnt(0)
	v_mul_f32_e32 v33, v63, v56
	v_add_f32_e32 v5, v5, v20
	v_mul_f32_e32 v20, v45, v50
	v_mul_f32_e32 v26, v61, v54
	;; [unrolled: 1-line block ×3, first 2 shown]
	v_fmac_f32_e32 v33, v64, v55
	v_dual_add_f32 v5, v5, v21 :: v_dual_add_f32 v10, v10, v32
	v_dual_fmac_f32 v18, v42, v37 :: v_dual_mul_f32 v21, v60, v52
	s_delay_alu instid0(VALU_DEP_2) | instskip(SKIP_1) | instid1(VALU_DEP_2)
	v_dual_add_f32 v5, v5, v11 :: v_dual_add_f32 v10, v10, v34
	v_dual_mul_f32 v11, v59, v52 :: v_dual_fmac_f32 v20, v46, v49
	v_add_f32_e32 v10, v10, v23
	s_delay_alu instid0(VALU_DEP_1) | instskip(SKIP_1) | instid1(VALU_DEP_2)
	v_dual_fmac_f32 v11, v60, v51 :: v_dual_add_f32 v10, v10, v18
	v_fma_f32 v18, v45, v49, -v19
	v_add_f32_e32 v10, v10, v17
	v_fma_f32 v17, v59, v51, -v21
	s_delay_alu instid0(VALU_DEP_2) | instskip(NEXT) | instid1(VALU_DEP_1)
	v_dual_add_f32 v5, v5, v18 :: v_dual_add_f32 v10, v10, v20
	v_add_f32_e32 v5, v5, v17
	ds_load_2addr_b64 v[17:20], v14 offset0:192 offset1:208
	ds_load_b128 v[21:24], v15 offset:96
	v_mul_f32_e32 v25, v62, v54
	v_add_f32_e32 v10, v10, v11
	v_fmac_f32_e32 v35, v66, v57
	s_delay_alu instid0(VALU_DEP_3) | instskip(SKIP_1) | instid1(VALU_DEP_2)
	v_fma_f32 v11, v61, v53, -v25
	v_dual_fmac_f32 v26, v62, v53 :: v_dual_mul_f32 v25, v64, v56
	v_add_f32_e32 v5, v5, v11
	s_delay_alu instid0(VALU_DEP_2) | instskip(NEXT) | instid1(VALU_DEP_3)
	v_fma_f32 v11, v63, v55, -v25
	v_add_f32_e32 v10, v10, v26
	ds_load_2addr_b64 v[25:28], v14 offset0:224 offset1:240
	ds_load_b128 v[29:32], v15 offset:112
	s_waitcnt lgkmcnt(0)
	s_barrier
	v_dual_add_f32 v5, v5, v11 :: v_dual_mul_f32 v34, v66, v58
	v_add_f32_e32 v10, v10, v33
	v_mul_f32_e32 v33, v22, v18
	v_mul_f32_e32 v18, v21, v18
	buffer_gl0_inv
	v_fma_f32 v11, v65, v57, -v34
	s_delay_alu instid0(VALU_DEP_1) | instskip(SKIP_3) | instid1(VALU_DEP_3)
	v_add_f32_e32 v5, v5, v11
	v_fma_f32 v11, v21, v17, -v33
	v_dual_fmac_f32 v18, v22, v17 :: v_dual_mul_f32 v17, v24, v20
	v_add_f32_e32 v10, v10, v35
	v_dual_mul_f32 v20, v23, v20 :: v_dual_add_f32 v5, v5, v11
	s_delay_alu instid0(VALU_DEP_3) | instskip(NEXT) | instid1(VALU_DEP_2)
	v_fma_f32 v11, v23, v19, -v17
	v_dual_mul_f32 v17, v30, v26 :: v_dual_fmac_f32 v20, v24, v19
	v_mul_f32_e32 v19, v31, v28
	s_delay_alu instid0(VALU_DEP_3) | instskip(NEXT) | instid1(VALU_DEP_3)
	v_add_f32_e32 v5, v5, v11
	v_fma_f32 v11, v29, v25, -v17
	v_dual_mul_f32 v17, v32, v28 :: v_dual_add_f32 v10, v10, v18
	s_delay_alu instid0(VALU_DEP_4) | instskip(NEXT) | instid1(VALU_DEP_2)
	v_dual_mul_f32 v18, v29, v26 :: v_dual_fmac_f32 v19, v32, v27
	v_add_f32_e32 v10, v10, v20
	s_delay_alu instid0(VALU_DEP_2) | instskip(NEXT) | instid1(VALU_DEP_4)
	v_dual_fmac_f32 v18, v30, v25 :: v_dual_add_f32 v5, v5, v11
	v_fma_f32 v11, v31, v27, -v17
	s_delay_alu instid0(VALU_DEP_2) | instskip(NEXT) | instid1(VALU_DEP_2)
	v_add_f32_e32 v10, v10, v18
	v_add_f32_e32 v18, v5, v11
	s_delay_alu instid0(VALU_DEP_2)
	v_add_f32_e32 v17, v10, v19
	s_cbranch_scc1 .LBB668_9
.LBB668_3:                              ; =>This Inner Loop Header: Depth=1
	v_add_nc_u32_e32 v5, s11, v13
	s_delay_alu instid0(VALU_DEP_1) | instskip(NEXT) | instid1(VALU_DEP_1)
	v_cmp_le_i32_e64 s2, s17, v5
	s_or_b32 s2, s3, s2
	s_delay_alu instid0(SALU_CYCLE_1) | instskip(NEXT) | instid1(SALU_CYCLE_1)
	s_and_saveexec_b32 s10, s2
	s_xor_b32 s2, exec_lo, s10
	s_cbranch_execz .LBB668_5
; %bb.4:                                ;   in Loop: Header=BB668_3 Depth=1
	v_mov_b32_e32 v5, v4
	ds_store_b64 v3, v[4:5]
.LBB668_5:                              ;   in Loop: Header=BB668_3 Depth=1
	s_and_not1_saveexec_b32 s2, s2
	s_cbranch_execz .LBB668_7
; %bb.6:                                ;   in Loop: Header=BB668_3 Depth=1
	global_load_b64 v[10:11], v[6:7], off
	s_waitcnt vmcnt(0)
	ds_store_b64 v3, v[10:11]
.LBB668_7:                              ;   in Loop: Header=BB668_3 Depth=1
	s_or_b32 exec_lo, exec_lo, s2
	v_dual_mov_b32 v10, 0 :: v_dual_add_nc_u32 v5, s11, v12
	v_mov_b32_e32 v11, 0
	s_delay_alu instid0(VALU_DEP_2) | instskip(NEXT) | instid1(VALU_DEP_1)
	v_cmp_gt_i32_e64 s2, s17, v5
	s_and_b32 s10, vcc_lo, s2
	s_delay_alu instid0(SALU_CYCLE_1)
	s_and_saveexec_b32 s2, s10
	s_cbranch_execz .LBB668_2
; %bb.8:                                ;   in Loop: Header=BB668_3 Depth=1
	global_load_b64 v[10:11], v[8:9], off offset:-4
	s_branch .LBB668_2
.LBB668_9:
	v_cmp_le_i32_e32 vcc_lo, v2, v0
	v_cmp_gt_i32_e64 s2, s16, v0
	s_delay_alu instid0(VALU_DEP_1) | instskip(NEXT) | instid1(SALU_CYCLE_1)
	s_and_b32 s2, vcc_lo, s2
	s_and_saveexec_b32 s3, s2
	s_cbranch_execz .LBB668_11
; %bb.10:
	s_load_b32 s0, s[0:1], 0x50
	v_lshlrev_b64 v[0:1], 3, v[0:1]
	s_waitcnt lgkmcnt(0)
	v_mul_f32_e32 v5, s4, v17
	s_delay_alu instid0(VALU_DEP_1) | instskip(SKIP_1) | instid1(VALU_DEP_1)
	v_dual_mul_f32 v6, s5, v17 :: v_dual_fmac_f32 v5, s5, v18
	v_mad_i64_i32 v[3:4], null, s0, v2, 0
	v_lshlrev_b64 v[2:3], 3, v[3:4]
	s_delay_alu instid0(VALU_DEP_3) | instskip(NEXT) | instid1(VALU_DEP_2)
	v_fma_f32 v4, v18, s4, -v6
	v_add_co_u32 v2, vcc_lo, s8, v2
	s_delay_alu instid0(VALU_DEP_3) | instskip(NEXT) | instid1(VALU_DEP_2)
	v_add_co_ci_u32_e32 v3, vcc_lo, s9, v3, vcc_lo
	v_add_co_u32 v0, vcc_lo, v2, v0
	s_delay_alu instid0(VALU_DEP_2)
	v_add_co_ci_u32_e32 v1, vcc_lo, v3, v1, vcc_lo
	global_store_b64 v[0:1], v[4:5], off
.LBB668_11:
	s_nop 0
	s_sendmsg sendmsg(MSG_DEALLOC_VGPRS)
	s_endpgm
	.section	.rodata,"a",@progbits
	.p2align	6, 0x0
	.amdhsa_kernel _ZL32rocblas_syrkx_herkx_small_kernelIi19rocblas_complex_numIfELi16ELb1ELb0ELc78ELc76EKPKS1_KPS1_EviT_T0_PT6_S7_lSA_S7_lS8_PT7_S7_li
		.amdhsa_group_segment_fixed_size 4096
		.amdhsa_private_segment_fixed_size 0
		.amdhsa_kernarg_size 100
		.amdhsa_user_sgpr_count 13
		.amdhsa_user_sgpr_dispatch_ptr 0
		.amdhsa_user_sgpr_queue_ptr 0
		.amdhsa_user_sgpr_kernarg_segment_ptr 1
		.amdhsa_user_sgpr_dispatch_id 0
		.amdhsa_user_sgpr_private_segment_size 0
		.amdhsa_wavefront_size32 1
		.amdhsa_uses_dynamic_stack 0
		.amdhsa_enable_private_segment 0
		.amdhsa_system_sgpr_workgroup_id_x 1
		.amdhsa_system_sgpr_workgroup_id_y 1
		.amdhsa_system_sgpr_workgroup_id_z 1
		.amdhsa_system_sgpr_workgroup_info 0
		.amdhsa_system_vgpr_workitem_id 1
		.amdhsa_next_free_vgpr 69
		.amdhsa_next_free_sgpr 22
		.amdhsa_reserve_vcc 1
		.amdhsa_float_round_mode_32 0
		.amdhsa_float_round_mode_16_64 0
		.amdhsa_float_denorm_mode_32 3
		.amdhsa_float_denorm_mode_16_64 3
		.amdhsa_dx10_clamp 1
		.amdhsa_ieee_mode 1
		.amdhsa_fp16_overflow 0
		.amdhsa_workgroup_processor_mode 1
		.amdhsa_memory_ordered 1
		.amdhsa_forward_progress 0
		.amdhsa_shared_vgpr_count 0
		.amdhsa_exception_fp_ieee_invalid_op 0
		.amdhsa_exception_fp_denorm_src 0
		.amdhsa_exception_fp_ieee_div_zero 0
		.amdhsa_exception_fp_ieee_overflow 0
		.amdhsa_exception_fp_ieee_underflow 0
		.amdhsa_exception_fp_ieee_inexact 0
		.amdhsa_exception_int_div_zero 0
	.end_amdhsa_kernel
	.section	.text._ZL32rocblas_syrkx_herkx_small_kernelIi19rocblas_complex_numIfELi16ELb1ELb0ELc78ELc76EKPKS1_KPS1_EviT_T0_PT6_S7_lSA_S7_lS8_PT7_S7_li,"axG",@progbits,_ZL32rocblas_syrkx_herkx_small_kernelIi19rocblas_complex_numIfELi16ELb1ELb0ELc78ELc76EKPKS1_KPS1_EviT_T0_PT6_S7_lSA_S7_lS8_PT7_S7_li,comdat
.Lfunc_end668:
	.size	_ZL32rocblas_syrkx_herkx_small_kernelIi19rocblas_complex_numIfELi16ELb1ELb0ELc78ELc76EKPKS1_KPS1_EviT_T0_PT6_S7_lSA_S7_lS8_PT7_S7_li, .Lfunc_end668-_ZL32rocblas_syrkx_herkx_small_kernelIi19rocblas_complex_numIfELi16ELb1ELb0ELc78ELc76EKPKS1_KPS1_EviT_T0_PT6_S7_lSA_S7_lS8_PT7_S7_li
                                        ; -- End function
	.section	.AMDGPU.csdata,"",@progbits
; Kernel info:
; codeLenInByte = 1444
; NumSgprs: 24
; NumVgprs: 69
; ScratchSize: 0
; MemoryBound: 1
; FloatMode: 240
; IeeeMode: 1
; LDSByteSize: 4096 bytes/workgroup (compile time only)
; SGPRBlocks: 2
; VGPRBlocks: 8
; NumSGPRsForWavesPerEU: 24
; NumVGPRsForWavesPerEU: 69
; Occupancy: 16
; WaveLimiterHint : 1
; COMPUTE_PGM_RSRC2:SCRATCH_EN: 0
; COMPUTE_PGM_RSRC2:USER_SGPR: 13
; COMPUTE_PGM_RSRC2:TRAP_HANDLER: 0
; COMPUTE_PGM_RSRC2:TGID_X_EN: 1
; COMPUTE_PGM_RSRC2:TGID_Y_EN: 1
; COMPUTE_PGM_RSRC2:TGID_Z_EN: 1
; COMPUTE_PGM_RSRC2:TIDIG_COMP_CNT: 1
	.section	.text._ZL32rocblas_syrkx_herkx_small_kernelIi19rocblas_complex_numIfELi16ELb1ELb0ELc84ELc85EKPKS1_KPS1_EviT_T0_PT6_S7_lSA_S7_lS8_PT7_S7_li,"axG",@progbits,_ZL32rocblas_syrkx_herkx_small_kernelIi19rocblas_complex_numIfELi16ELb1ELb0ELc84ELc85EKPKS1_KPS1_EviT_T0_PT6_S7_lSA_S7_lS8_PT7_S7_li,comdat
	.globl	_ZL32rocblas_syrkx_herkx_small_kernelIi19rocblas_complex_numIfELi16ELb1ELb0ELc84ELc85EKPKS1_KPS1_EviT_T0_PT6_S7_lSA_S7_lS8_PT7_S7_li ; -- Begin function _ZL32rocblas_syrkx_herkx_small_kernelIi19rocblas_complex_numIfELi16ELb1ELb0ELc84ELc85EKPKS1_KPS1_EviT_T0_PT6_S7_lSA_S7_lS8_PT7_S7_li
	.p2align	8
	.type	_ZL32rocblas_syrkx_herkx_small_kernelIi19rocblas_complex_numIfELi16ELb1ELb0ELc84ELc85EKPKS1_KPS1_EviT_T0_PT6_S7_lSA_S7_lS8_PT7_S7_li,@function
_ZL32rocblas_syrkx_herkx_small_kernelIi19rocblas_complex_numIfELi16ELb1ELb0ELc84ELc85EKPKS1_KPS1_EviT_T0_PT6_S7_lSA_S7_lS8_PT7_S7_li: ; @_ZL32rocblas_syrkx_herkx_small_kernelIi19rocblas_complex_numIfELi16ELb1ELb0ELc84ELc85EKPKS1_KPS1_EviT_T0_PT6_S7_lSA_S7_lS8_PT7_S7_li
; %bb.0:
	s_clause 0x1
	s_load_b64 s[2:3], s[0:1], 0x48
	s_load_b64 s[16:17], s[0:1], 0x0
	s_mov_b32 s10, s15
	s_mov_b32 s11, 0
	v_bfe_u32 v8, v0, 10, 10
	s_lshl_b64 s[18:19], s[10:11], 3
	v_dual_mov_b32 v14, 0 :: v_dual_and_b32 v9, 0x3ff, v0
	v_mov_b32_e32 v15, 0
	s_delay_alu instid0(VALU_DEP_3) | instskip(NEXT) | instid1(VALU_DEP_3)
	v_lshl_add_u32 v7, s14, 4, v8
	v_lshl_add_u32 v0, s13, 4, v9
	s_waitcnt lgkmcnt(0)
	s_add_u32 s2, s2, s18
	s_addc_u32 s3, s3, s19
	s_load_b128 s[4:7], s[0:1], 0x8
	s_load_b64 s[8:9], s[2:3], 0x0
	v_cmp_gt_i32_e32 vcc_lo, s16, v7
	s_cmp_lt_i32 s17, 1
	s_cbranch_scc1 .LBB669_11
; %bb.1:
	s_clause 0x2
	s_load_b64 s[12:13], s[0:1], 0x28
	s_load_b32 s3, s[0:1], 0x30
	s_load_b32 s10, s[0:1], 0x18
	v_lshlrev_b32_e32 v10, 3, v9
	v_dual_mov_b32 v1, 0 :: v_dual_lshlrev_b32 v6, 7, v8
	v_dual_mov_b32 v14, 0 :: v_dual_lshlrev_b32 v15, 3, v8
	v_cmp_gt_i32_e64 s2, s16, v0
	s_delay_alu instid0(VALU_DEP_3)
	v_add_nc_u32_e32 v11, 0x800, v6
	v_add_nc_u32_e32 v12, v10, v6
	s_waitcnt lgkmcnt(0)
	s_add_u32 s12, s12, s18
	s_addc_u32 s13, s13, s19
	v_mad_i64_i32 v[2:3], null, s3, v7, 0
	s_load_b64 s[12:13], s[12:13], 0x0
	s_add_u32 s6, s6, s18
	s_addc_u32 s7, s7, s19
	v_mad_i64_i32 v[4:5], null, s10, v0, 0
	s_load_b64 s[6:7], s[6:7], 0x0
	s_delay_alu instid0(VALU_DEP_2) | instskip(SKIP_1) | instid1(VALU_DEP_2)
	v_lshlrev_b64 v[2:3], 3, v[2:3]
	s_xor_b32 s2, s2, -1
	v_lshlrev_b64 v[4:5], 3, v[4:5]
	s_delay_alu instid0(VALU_DEP_2) | instskip(NEXT) | instid1(VALU_DEP_1)
	v_add_co_u32 v2, s3, v2, v10
	v_add_co_ci_u32_e64 v6, s3, 0, v3, s3
	s_delay_alu instid0(VALU_DEP_3) | instskip(NEXT) | instid1(VALU_DEP_1)
	v_add_co_u32 v15, s3, v4, v15
	v_add_co_ci_u32_e64 v16, s3, 0, v5, s3
	s_waitcnt lgkmcnt(0)
	v_add_co_u32 v3, s3, s12, v2
	s_delay_alu instid0(VALU_DEP_1) | instskip(SKIP_1) | instid1(VALU_DEP_1)
	v_add_co_ci_u32_e64 v4, s3, s13, v6, s3
	v_add_co_u32 v5, s3, s6, v15
	v_add_co_ci_u32_e64 v6, s3, s7, v16, s3
	v_mov_b32_e32 v15, 0
	v_add_nc_u32_e32 v13, v11, v10
	s_xor_b32 s3, vcc_lo, -1
	s_branch .LBB669_3
.LBB669_2:                              ;   in Loop: Header=BB669_3 Depth=1
	s_or_b32 exec_lo, exec_lo, s6
	s_waitcnt lgkmcnt(0)
	s_barrier
	buffer_gl0_inv
	ds_load_2addr_b64 v[16:19], v10 offset1:16
	ds_load_b128 v[20:23], v11
	ds_load_b128 v[24:27], v11 offset:16
	ds_load_2addr_b64 v[28:31], v10 offset0:32 offset1:48
	ds_load_2addr_b64 v[32:35], v10 offset0:64 offset1:80
	ds_load_b128 v[36:39], v11 offset:32
	ds_load_b128 v[40:43], v11 offset:48
	ds_load_2addr_b64 v[44:47], v10 offset0:96 offset1:112
	ds_load_2addr_b64 v[48:51], v10 offset0:128 offset1:144
	;; [unrolled: 1-line block ×3, first 2 shown]
	ds_load_b128 v[56:59], v11 offset:64
	ds_load_b128 v[60:63], v11 offset:80
	v_add_co_u32 v3, vcc_lo, 0x80, v3
	v_add_co_ci_u32_e32 v4, vcc_lo, 0, v4, vcc_lo
	v_add_co_u32 v5, vcc_lo, 0x80, v5
	v_add_co_ci_u32_e32 v6, vcc_lo, 0, v6, vcc_lo
	s_add_i32 s11, s11, 16
	s_waitcnt lgkmcnt(10)
	v_mul_f32_e32 v2, v21, v17
	v_dual_mul_f32 v17, v20, v17 :: v_dual_mul_f32 v64, v23, v19
	v_mul_f32_e32 v19, v22, v19
	s_waitcnt lgkmcnt(8)
	v_dual_mul_f32 v65, v25, v29 :: v_dual_mul_f32 v66, v27, v31
	v_fma_f32 v2, v20, v16, -v2
	v_mul_f32_e32 v31, v26, v31
	s_waitcnt lgkmcnt(6)
	v_dual_mul_f32 v29, v24, v29 :: v_dual_mul_f32 v20, v39, v35
	s_delay_alu instid0(VALU_DEP_3) | instskip(SKIP_2) | instid1(VALU_DEP_4)
	v_dual_mul_f32 v67, v37, v33 :: v_dual_add_f32 v2, v15, v2
	v_fmac_f32_e32 v17, v21, v16
	v_fma_f32 v21, v22, v18, -v64
	v_dual_fmac_f32 v29, v25, v28 :: v_dual_mul_f32 v16, v38, v35
	v_fma_f32 v20, v38, v34, -v20
	s_delay_alu instid0(VALU_DEP_3)
	v_dual_fmac_f32 v31, v27, v30 :: v_dual_add_f32 v2, v2, v21
	v_dual_fmac_f32 v19, v23, v18 :: v_dual_add_f32 v14, v14, v17
	v_fma_f32 v17, v24, v28, -v65
	v_mul_f32_e32 v33, v36, v33
	s_waitcnt lgkmcnt(4)
	v_mul_f32_e32 v18, v40, v45
	v_fma_f32 v21, v36, v32, -v67
	v_add_f32_e32 v14, v14, v19
	v_fma_f32 v19, v26, v30, -v66
	v_add_f32_e32 v2, v2, v17
	v_mul_f32_e32 v15, v41, v45
	s_delay_alu instid0(VALU_DEP_4) | instskip(NEXT) | instid1(VALU_DEP_3)
	v_dual_mul_f32 v17, v43, v47 :: v_dual_add_f32 v14, v14, v29
	v_dual_fmac_f32 v33, v37, v32 :: v_dual_add_f32 v2, v2, v19
	v_dual_mul_f32 v19, v42, v47 :: v_dual_fmac_f32 v16, v39, v34
	s_delay_alu instid0(VALU_DEP_3) | instskip(SKIP_1) | instid1(VALU_DEP_3)
	v_add_f32_e32 v14, v14, v31
	v_fma_f32 v15, v40, v44, -v15
	v_dual_add_f32 v2, v2, v21 :: v_dual_fmac_f32 v19, v43, v46
	s_waitcnt lgkmcnt(1)
	v_mul_f32_e32 v21, v57, v49
	v_dual_fmac_f32 v18, v41, v44 :: v_dual_mul_f32 v25, v58, v51
	v_add_f32_e32 v14, v14, v33
	v_add_f32_e32 v2, v2, v20
	v_fma_f32 v20, v42, v46, -v17
	v_fma_f32 v21, v56, v48, -v21
	s_delay_alu instid0(VALU_DEP_4)
	v_dual_fmac_f32 v25, v59, v50 :: v_dual_add_f32 v14, v14, v16
	s_waitcnt lgkmcnt(0)
	v_mul_f32_e32 v33, v63, v55
	v_add_f32_e32 v2, v2, v15
	v_mul_f32_e32 v34, v62, v55
	s_cmp_ge_i32 s11, s17
	v_add_f32_e32 v18, v14, v18
	v_mul_f32_e32 v22, v56, v49
	v_add_f32_e32 v2, v2, v20
	ds_load_2addr_b64 v[14:17], v10 offset0:192 offset1:208
	v_dual_fmac_f32 v34, v63, v54 :: v_dual_add_f32 v23, v18, v19
	v_add_f32_e32 v2, v2, v21
	ds_load_b128 v[18:21], v11 offset:96
	v_fmac_f32_e32 v22, v57, v48
	s_delay_alu instid0(VALU_DEP_1) | instskip(NEXT) | instid1(VALU_DEP_1)
	v_add_f32_e32 v22, v23, v22
	v_dual_mul_f32 v24, v59, v51 :: v_dual_add_f32 v31, v22, v25
	s_delay_alu instid0(VALU_DEP_1) | instskip(SKIP_1) | instid1(VALU_DEP_2)
	v_fma_f32 v23, v58, v50, -v24
	v_mul_f32_e32 v24, v61, v53
	v_add_f32_e32 v2, v2, v23
	s_delay_alu instid0(VALU_DEP_2)
	v_fma_f32 v32, v60, v52, -v24
	ds_load_2addr_b64 v[22:25], v10 offset0:224 offset1:240
	ds_load_b128 v[26:29], v11 offset:112
	v_mul_f32_e32 v30, v60, v53
	s_waitcnt lgkmcnt(0)
	s_barrier
	v_add_f32_e32 v2, v2, v32
	v_mul_f32_e32 v32, v19, v15
	v_dual_fmac_f32 v30, v61, v52 :: v_dual_mul_f32 v15, v18, v15
	buffer_gl0_inv
	v_fma_f32 v18, v18, v14, -v32
	v_add_f32_e32 v30, v31, v30
	v_fma_f32 v31, v62, v54, -v33
	v_dual_fmac_f32 v15, v19, v14 :: v_dual_mul_f32 v14, v21, v17
	s_delay_alu instid0(VALU_DEP_3) | instskip(NEXT) | instid1(VALU_DEP_3)
	v_dual_mul_f32 v17, v20, v17 :: v_dual_add_f32 v30, v30, v34
	v_add_f32_e32 v2, v2, v31
	s_delay_alu instid0(VALU_DEP_3) | instskip(NEXT) | instid1(VALU_DEP_3)
	v_fma_f32 v14, v20, v16, -v14
	v_fmac_f32_e32 v17, v21, v16
	s_delay_alu instid0(VALU_DEP_4) | instskip(NEXT) | instid1(VALU_DEP_4)
	v_add_f32_e32 v15, v30, v15
	v_add_f32_e32 v2, v2, v18
	v_mul_f32_e32 v16, v27, v23
	v_mul_f32_e32 v18, v26, v23
	s_delay_alu instid0(VALU_DEP_3) | instskip(SKIP_1) | instid1(VALU_DEP_4)
	v_add_f32_e32 v2, v2, v14
	v_add_f32_e32 v14, v15, v17
	v_fma_f32 v15, v26, v22, -v16
	s_delay_alu instid0(VALU_DEP_4) | instskip(SKIP_1) | instid1(VALU_DEP_3)
	v_fmac_f32_e32 v18, v27, v22
	v_mul_f32_e32 v16, v29, v25
	v_dual_mul_f32 v17, v28, v25 :: v_dual_add_f32 v2, v2, v15
	s_delay_alu instid0(VALU_DEP_3) | instskip(NEXT) | instid1(VALU_DEP_3)
	v_add_f32_e32 v14, v14, v18
	v_fma_f32 v15, v28, v24, -v16
	s_delay_alu instid0(VALU_DEP_3) | instskip(NEXT) | instid1(VALU_DEP_2)
	v_fmac_f32_e32 v17, v29, v24
	v_add_f32_e32 v15, v2, v15
	s_delay_alu instid0(VALU_DEP_2)
	v_add_f32_e32 v14, v14, v17
	s_cbranch_scc1 .LBB669_11
.LBB669_3:                              ; =>This Inner Loop Header: Depth=1
	v_add_nc_u32_e32 v2, s11, v8
	s_delay_alu instid0(VALU_DEP_1) | instskip(SKIP_1) | instid1(SALU_CYCLE_1)
	v_cmp_le_i32_e32 vcc_lo, s17, v2
	s_or_b32 s6, s2, vcc_lo
	s_and_saveexec_b32 s7, s6
	s_delay_alu instid0(SALU_CYCLE_1)
	s_xor_b32 s6, exec_lo, s7
	s_cbranch_execz .LBB669_5
; %bb.4:                                ;   in Loop: Header=BB669_3 Depth=1
	v_mov_b32_e32 v2, v1
	ds_store_b64 v12, v[1:2]
.LBB669_5:                              ;   in Loop: Header=BB669_3 Depth=1
	s_and_not1_saveexec_b32 s6, s6
	s_cbranch_execz .LBB669_7
; %bb.6:                                ;   in Loop: Header=BB669_3 Depth=1
	global_load_b64 v[16:17], v[5:6], off
	s_waitcnt vmcnt(0)
	ds_store_b64 v12, v[16:17]
.LBB669_7:                              ;   in Loop: Header=BB669_3 Depth=1
	s_or_b32 exec_lo, exec_lo, s6
	v_add_nc_u32_e32 v2, s11, v9
	s_delay_alu instid0(VALU_DEP_1) | instskip(SKIP_1) | instid1(SALU_CYCLE_1)
	v_cmp_le_i32_e32 vcc_lo, s17, v2
	s_or_b32 s6, s3, vcc_lo
	s_and_saveexec_b32 s7, s6
	s_delay_alu instid0(SALU_CYCLE_1)
	s_xor_b32 s6, exec_lo, s7
	s_cbranch_execz .LBB669_9
; %bb.8:                                ;   in Loop: Header=BB669_3 Depth=1
	v_mov_b32_e32 v2, v1
	ds_store_b64 v13, v[1:2]
.LBB669_9:                              ;   in Loop: Header=BB669_3 Depth=1
	s_and_not1_saveexec_b32 s6, s6
	s_cbranch_execz .LBB669_2
; %bb.10:                               ;   in Loop: Header=BB669_3 Depth=1
	global_load_b64 v[16:17], v[3:4], off
	s_waitcnt vmcnt(0)
	ds_store_b64 v13, v[16:17]
	s_branch .LBB669_2
.LBB669_11:
	v_cmp_le_i32_e32 vcc_lo, v0, v7
	v_cmp_gt_i32_e64 s2, s16, v7
	s_delay_alu instid0(VALU_DEP_1) | instskip(NEXT) | instid1(SALU_CYCLE_1)
	s_and_b32 s2, vcc_lo, s2
	s_and_saveexec_b32 s3, s2
	s_cbranch_execz .LBB669_13
; %bb.12:
	s_load_b32 s0, s[0:1], 0x50
	v_ashrrev_i32_e32 v1, 31, v0
	s_waitcnt lgkmcnt(0)
	v_mul_f32_e32 v5, s4, v14
	v_mul_f32_e32 v4, s5, v14
	s_delay_alu instid0(VALU_DEP_3) | instskip(NEXT) | instid1(VALU_DEP_3)
	v_lshlrev_b64 v[0:1], 3, v[0:1]
	v_fmac_f32_e32 v5, s5, v15
	s_delay_alu instid0(VALU_DEP_3) | instskip(SKIP_1) | instid1(VALU_DEP_1)
	v_fma_f32 v4, v15, s4, -v4
	v_mad_i64_i32 v[2:3], null, s0, v7, 0
	v_lshlrev_b64 v[2:3], 3, v[2:3]
	s_delay_alu instid0(VALU_DEP_1) | instskip(NEXT) | instid1(VALU_DEP_2)
	v_add_co_u32 v2, vcc_lo, s8, v2
	v_add_co_ci_u32_e32 v3, vcc_lo, s9, v3, vcc_lo
	s_delay_alu instid0(VALU_DEP_2) | instskip(NEXT) | instid1(VALU_DEP_2)
	v_add_co_u32 v0, vcc_lo, v2, v0
	v_add_co_ci_u32_e32 v1, vcc_lo, v3, v1, vcc_lo
	global_store_b64 v[0:1], v[4:5], off
.LBB669_13:
	s_nop 0
	s_sendmsg sendmsg(MSG_DEALLOC_VGPRS)
	s_endpgm
	.section	.rodata,"a",@progbits
	.p2align	6, 0x0
	.amdhsa_kernel _ZL32rocblas_syrkx_herkx_small_kernelIi19rocblas_complex_numIfELi16ELb1ELb0ELc84ELc85EKPKS1_KPS1_EviT_T0_PT6_S7_lSA_S7_lS8_PT7_S7_li
		.amdhsa_group_segment_fixed_size 4096
		.amdhsa_private_segment_fixed_size 0
		.amdhsa_kernarg_size 100
		.amdhsa_user_sgpr_count 13
		.amdhsa_user_sgpr_dispatch_ptr 0
		.amdhsa_user_sgpr_queue_ptr 0
		.amdhsa_user_sgpr_kernarg_segment_ptr 1
		.amdhsa_user_sgpr_dispatch_id 0
		.amdhsa_user_sgpr_private_segment_size 0
		.amdhsa_wavefront_size32 1
		.amdhsa_uses_dynamic_stack 0
		.amdhsa_enable_private_segment 0
		.amdhsa_system_sgpr_workgroup_id_x 1
		.amdhsa_system_sgpr_workgroup_id_y 1
		.amdhsa_system_sgpr_workgroup_id_z 1
		.amdhsa_system_sgpr_workgroup_info 0
		.amdhsa_system_vgpr_workitem_id 1
		.amdhsa_next_free_vgpr 68
		.amdhsa_next_free_sgpr 20
		.amdhsa_reserve_vcc 1
		.amdhsa_float_round_mode_32 0
		.amdhsa_float_round_mode_16_64 0
		.amdhsa_float_denorm_mode_32 3
		.amdhsa_float_denorm_mode_16_64 3
		.amdhsa_dx10_clamp 1
		.amdhsa_ieee_mode 1
		.amdhsa_fp16_overflow 0
		.amdhsa_workgroup_processor_mode 1
		.amdhsa_memory_ordered 1
		.amdhsa_forward_progress 0
		.amdhsa_shared_vgpr_count 0
		.amdhsa_exception_fp_ieee_invalid_op 0
		.amdhsa_exception_fp_denorm_src 0
		.amdhsa_exception_fp_ieee_div_zero 0
		.amdhsa_exception_fp_ieee_overflow 0
		.amdhsa_exception_fp_ieee_underflow 0
		.amdhsa_exception_fp_ieee_inexact 0
		.amdhsa_exception_int_div_zero 0
	.end_amdhsa_kernel
	.section	.text._ZL32rocblas_syrkx_herkx_small_kernelIi19rocblas_complex_numIfELi16ELb1ELb0ELc84ELc85EKPKS1_KPS1_EviT_T0_PT6_S7_lSA_S7_lS8_PT7_S7_li,"axG",@progbits,_ZL32rocblas_syrkx_herkx_small_kernelIi19rocblas_complex_numIfELi16ELb1ELb0ELc84ELc85EKPKS1_KPS1_EviT_T0_PT6_S7_lSA_S7_lS8_PT7_S7_li,comdat
.Lfunc_end669:
	.size	_ZL32rocblas_syrkx_herkx_small_kernelIi19rocblas_complex_numIfELi16ELb1ELb0ELc84ELc85EKPKS1_KPS1_EviT_T0_PT6_S7_lSA_S7_lS8_PT7_S7_li, .Lfunc_end669-_ZL32rocblas_syrkx_herkx_small_kernelIi19rocblas_complex_numIfELi16ELb1ELb0ELc84ELc85EKPKS1_KPS1_EviT_T0_PT6_S7_lSA_S7_lS8_PT7_S7_li
                                        ; -- End function
	.section	.AMDGPU.csdata,"",@progbits
; Kernel info:
; codeLenInByte = 1404
; NumSgprs: 22
; NumVgprs: 68
; ScratchSize: 0
; MemoryBound: 1
; FloatMode: 240
; IeeeMode: 1
; LDSByteSize: 4096 bytes/workgroup (compile time only)
; SGPRBlocks: 2
; VGPRBlocks: 8
; NumSGPRsForWavesPerEU: 22
; NumVGPRsForWavesPerEU: 68
; Occupancy: 16
; WaveLimiterHint : 1
; COMPUTE_PGM_RSRC2:SCRATCH_EN: 0
; COMPUTE_PGM_RSRC2:USER_SGPR: 13
; COMPUTE_PGM_RSRC2:TRAP_HANDLER: 0
; COMPUTE_PGM_RSRC2:TGID_X_EN: 1
; COMPUTE_PGM_RSRC2:TGID_Y_EN: 1
; COMPUTE_PGM_RSRC2:TGID_Z_EN: 1
; COMPUTE_PGM_RSRC2:TIDIG_COMP_CNT: 1
	.section	.text._ZL32rocblas_syrkx_herkx_small_kernelIi19rocblas_complex_numIfELi16ELb1ELb0ELc67ELc85EKPKS1_KPS1_EviT_T0_PT6_S7_lSA_S7_lS8_PT7_S7_li,"axG",@progbits,_ZL32rocblas_syrkx_herkx_small_kernelIi19rocblas_complex_numIfELi16ELb1ELb0ELc67ELc85EKPKS1_KPS1_EviT_T0_PT6_S7_lSA_S7_lS8_PT7_S7_li,comdat
	.globl	_ZL32rocblas_syrkx_herkx_small_kernelIi19rocblas_complex_numIfELi16ELb1ELb0ELc67ELc85EKPKS1_KPS1_EviT_T0_PT6_S7_lSA_S7_lS8_PT7_S7_li ; -- Begin function _ZL32rocblas_syrkx_herkx_small_kernelIi19rocblas_complex_numIfELi16ELb1ELb0ELc67ELc85EKPKS1_KPS1_EviT_T0_PT6_S7_lSA_S7_lS8_PT7_S7_li
	.p2align	8
	.type	_ZL32rocblas_syrkx_herkx_small_kernelIi19rocblas_complex_numIfELi16ELb1ELb0ELc67ELc85EKPKS1_KPS1_EviT_T0_PT6_S7_lSA_S7_lS8_PT7_S7_li,@function
_ZL32rocblas_syrkx_herkx_small_kernelIi19rocblas_complex_numIfELi16ELb1ELb0ELc67ELc85EKPKS1_KPS1_EviT_T0_PT6_S7_lSA_S7_lS8_PT7_S7_li: ; @_ZL32rocblas_syrkx_herkx_small_kernelIi19rocblas_complex_numIfELi16ELb1ELb0ELc67ELc85EKPKS1_KPS1_EviT_T0_PT6_S7_lSA_S7_lS8_PT7_S7_li
; %bb.0:
	s_clause 0x1
	s_load_b64 s[2:3], s[0:1], 0x48
	s_load_b64 s[16:17], s[0:1], 0x0
	s_mov_b32 s10, s15
	s_mov_b32 s11, 0
	v_bfe_u32 v10, v0, 10, 10
	s_lshl_b64 s[18:19], s[10:11], 3
	v_dual_mov_b32 v16, 0 :: v_dual_and_b32 v11, 0x3ff, v0
	v_mov_b32_e32 v17, 0
	s_delay_alu instid0(VALU_DEP_3) | instskip(NEXT) | instid1(VALU_DEP_3)
	v_lshl_add_u32 v9, s14, 4, v10
	v_lshl_add_u32 v0, s13, 4, v11
	s_waitcnt lgkmcnt(0)
	s_add_u32 s2, s2, s18
	s_addc_u32 s3, s3, s19
	s_load_b128 s[4:7], s[0:1], 0x8
	s_load_b64 s[8:9], s[2:3], 0x0
	v_cmp_gt_i32_e64 s2, s16, v9
	s_cmp_lt_i32 s17, 1
	s_cbranch_scc1 .LBB670_9
; %bb.1:
	s_clause 0x2
	s_load_b64 s[12:13], s[0:1], 0x28
	s_load_b32 s3, s[0:1], 0x18
	s_load_b32 s10, s[0:1], 0x30
	v_dual_mov_b32 v16, 0 :: v_dual_lshlrev_b32 v7, 3, v10
	v_dual_mov_b32 v17, 0 :: v_dual_lshlrev_b32 v12, 3, v11
	;; [unrolled: 1-line block ×3, first 2 shown]
	v_cmp_gt_i32_e32 vcc_lo, s16, v0
	s_delay_alu instid0(VALU_DEP_2) | instskip(NEXT) | instid1(VALU_DEP_4)
	v_add_nc_u32_e32 v13, 0x800, v6
	v_add_nc_u32_e32 v14, v12, v6
	s_delay_alu instid0(VALU_DEP_2)
	v_add_nc_u32_e32 v15, v13, v12
	s_waitcnt lgkmcnt(0)
	s_add_u32 s12, s12, s18
	s_addc_u32 s13, s13, s19
	s_add_u32 s6, s6, s18
	s_addc_u32 s7, s7, s19
	v_mad_i64_i32 v[2:3], null, s3, v0, 0
	s_load_b64 s[6:7], s[6:7], 0x0
	v_mad_i64_i32 v[4:5], null, s10, v9, 0
	s_load_b64 s[12:13], s[12:13], 0x0
	s_delay_alu instid0(VALU_DEP_2) | instskip(NEXT) | instid1(VALU_DEP_2)
	v_lshlrev_b64 v[2:3], 3, v[2:3]
	v_lshlrev_b64 v[4:5], 3, v[4:5]
	s_delay_alu instid0(VALU_DEP_2) | instskip(NEXT) | instid1(VALU_DEP_1)
	v_add_co_u32 v2, s3, v2, v7
	v_add_co_ci_u32_e64 v3, s3, 0, v3, s3
	s_delay_alu instid0(VALU_DEP_3) | instskip(NEXT) | instid1(VALU_DEP_1)
	v_add_co_u32 v4, s3, v4, v12
	v_add_co_ci_u32_e64 v5, s3, 0, v5, s3
	s_waitcnt lgkmcnt(0)
	v_add_co_u32 v2, s3, v2, s6
	s_delay_alu instid0(VALU_DEP_1) | instskip(SKIP_1) | instid1(VALU_DEP_1)
	v_add_co_ci_u32_e64 v6, s3, s7, v3, s3
	v_add_co_u32 v3, s3, s12, v4
	v_add_co_ci_u32_e64 v4, s3, s13, v5, s3
	s_delay_alu instid0(VALU_DEP_4) | instskip(NEXT) | instid1(VALU_DEP_1)
	v_add_co_u32 v5, s3, v2, 4
	v_add_co_ci_u32_e64 v6, s3, 0, v6, s3
	s_xor_b32 s3, s2, -1
	s_branch .LBB670_3
.LBB670_2:                              ;   in Loop: Header=BB670_3 Depth=1
	s_or_b32 exec_lo, exec_lo, s2
	s_waitcnt lgkmcnt(0)
	s_barrier
	buffer_gl0_inv
	ds_load_2addr_b64 v[18:21], v12 offset1:16
	ds_load_b128 v[22:25], v13
	ds_load_b128 v[26:29], v13 offset:16
	ds_load_2addr_b64 v[30:33], v12 offset0:32 offset1:48
	ds_load_2addr_b64 v[34:37], v12 offset0:64 offset1:80
	ds_load_b128 v[38:41], v13 offset:32
	ds_load_b128 v[42:45], v13 offset:48
	ds_load_2addr_b64 v[46:49], v12 offset0:96 offset1:112
	ds_load_2addr_b64 v[50:53], v12 offset0:128 offset1:144
	;; [unrolled: 1-line block ×3, first 2 shown]
	ds_load_b128 v[58:61], v13 offset:64
	ds_load_b128 v[62:65], v13 offset:80
	v_add_co_u32 v3, s2, 0x80, v3
	s_delay_alu instid0(VALU_DEP_1) | instskip(SKIP_1) | instid1(VALU_DEP_1)
	v_add_co_ci_u32_e64 v4, s2, 0, v4, s2
	v_add_co_u32 v5, s2, 0x80, v5
	v_add_co_ci_u32_e64 v6, s2, 0, v6, s2
	s_add_i32 s11, s11, 16
	s_waitcnt lgkmcnt(10)
	v_mul_f32_e32 v2, v23, v19
	v_dual_mul_f32 v7, v22, v19 :: v_dual_mul_f32 v8, v25, v21
	v_mul_f32_e32 v19, v24, v21
	s_waitcnt lgkmcnt(8)
	v_dual_mul_f32 v21, v27, v31 :: v_dual_mul_f32 v66, v29, v33
	v_fma_f32 v2, v22, v18, -v2
	v_mul_f32_e32 v33, v28, v33
	v_fma_f32 v8, v24, v20, -v8
	s_waitcnt lgkmcnt(6)
	v_mul_f32_e32 v67, v39, v35
	v_fmac_f32_e32 v19, v25, v20
	v_add_f32_e32 v2, v17, v2
	v_fmac_f32_e32 v7, v23, v18
	v_fma_f32 v17, v26, v30, -v21
	v_mul_f32_e32 v18, v40, v37
	v_fma_f32 v20, v38, v34, -v67
	s_delay_alu instid0(VALU_DEP_4) | instskip(SKIP_3) | instid1(VALU_DEP_3)
	v_dual_add_f32 v2, v2, v8 :: v_dual_add_f32 v7, v16, v7
	s_waitcnt lgkmcnt(4)
	v_mul_f32_e32 v16, v43, v47
	v_dual_mul_f32 v31, v26, v31 :: v_dual_mul_f32 v22, v41, v37
	v_dual_add_f32 v2, v2, v17 :: v_dual_add_f32 v7, v7, v19
	v_fma_f32 v19, v28, v32, -v66
	v_fmac_f32_e32 v33, v29, v32
	v_dual_mul_f32 v35, v38, v35 :: v_dual_fmac_f32 v18, v41, v36
	v_dual_fmac_f32 v31, v27, v30 :: v_dual_mul_f32 v8, v42, v47
	s_delay_alu instid0(VALU_DEP_4)
	v_add_f32_e32 v2, v2, v19
	v_fma_f32 v19, v40, v36, -v22
	v_fma_f32 v16, v42, v46, -v16
	v_mul_f32_e32 v17, v45, v49
	v_dual_mul_f32 v21, v44, v49 :: v_dual_fmac_f32 v8, v43, v46
	v_dual_add_f32 v2, v2, v20 :: v_dual_fmac_f32 v35, v39, v34
	s_waitcnt lgkmcnt(1)
	v_mul_f32_e32 v20, v59, v51
	v_mul_f32_e32 v24, v58, v51
	v_fma_f32 v22, v44, v48, -v17
	v_add_f32_e32 v2, v2, v19
	v_add_f32_e32 v7, v7, v31
	s_delay_alu instid0(VALU_DEP_4) | instskip(NEXT) | instid1(VALU_DEP_3)
	v_dual_fmac_f32 v21, v45, v48 :: v_dual_fmac_f32 v24, v59, v50
	v_dual_mul_f32 v25, v61, v53 :: v_dual_add_f32 v2, v2, v16
	s_delay_alu instid0(VALU_DEP_3)
	v_add_f32_e32 v7, v7, v33
	v_mul_f32_e32 v26, v60, v53
	s_cmp_ge_i32 s11, s17
	s_waitcnt lgkmcnt(0)
	v_mul_f32_e32 v32, v62, v55
	v_dual_add_f32 v2, v2, v22 :: v_dual_add_f32 v7, v7, v35
	v_mul_f32_e32 v33, v65, v57
	v_mul_f32_e32 v34, v64, v57
	s_delay_alu instid0(VALU_DEP_4) | instskip(NEXT) | instid1(VALU_DEP_4)
	v_fmac_f32_e32 v32, v63, v54
	v_add_f32_e32 v7, v7, v18
	ds_load_2addr_b64 v[16:19], v12 offset0:192 offset1:208
	v_add_f32_e32 v7, v7, v8
	v_fma_f32 v8, v58, v50, -v20
	s_delay_alu instid0(VALU_DEP_1)
	v_dual_add_f32 v7, v7, v21 :: v_dual_add_f32 v2, v2, v8
	ds_load_b128 v[20:23], v13 offset:96
	v_fmac_f32_e32 v26, v61, v52
	v_fmac_f32_e32 v34, v65, v56
	v_add_f32_e32 v7, v7, v24
	v_mul_f32_e32 v24, v63, v55
	v_fma_f32 v8, v60, v52, -v25
	s_delay_alu instid0(VALU_DEP_1) | instskip(NEXT) | instid1(VALU_DEP_3)
	v_dual_add_f32 v7, v7, v26 :: v_dual_add_f32 v2, v2, v8
	v_fma_f32 v8, v62, v54, -v24
	ds_load_2addr_b64 v[24:27], v12 offset0:224 offset1:240
	ds_load_b128 v[28:31], v13 offset:112
	v_add_f32_e32 v7, v7, v32
	s_waitcnt lgkmcnt(0)
	s_barrier
	buffer_gl0_inv
	v_mul_f32_e32 v32, v21, v17
	v_dual_add_f32 v2, v2, v8 :: v_dual_add_f32 v7, v7, v34
	v_fma_f32 v8, v64, v56, -v33
	v_mul_f32_e32 v17, v20, v17
	s_delay_alu instid0(VALU_DEP_1) | instskip(NEXT) | instid1(VALU_DEP_3)
	v_fmac_f32_e32 v17, v21, v16
	v_add_f32_e32 v2, v2, v8
	v_fma_f32 v8, v20, v16, -v32
	v_mul_f32_e32 v16, v23, v19
	v_mul_f32_e32 v19, v22, v19
	s_delay_alu instid0(VALU_DEP_3) | instskip(NEXT) | instid1(VALU_DEP_3)
	v_dual_add_f32 v7, v7, v17 :: v_dual_add_f32 v2, v2, v8
	v_fma_f32 v8, v22, v18, -v16
	s_delay_alu instid0(VALU_DEP_3) | instskip(NEXT) | instid1(VALU_DEP_2)
	v_dual_fmac_f32 v19, v23, v18 :: v_dual_mul_f32 v16, v29, v25
	v_dual_mul_f32 v17, v28, v25 :: v_dual_add_f32 v2, v2, v8
	s_delay_alu instid0(VALU_DEP_2) | instskip(NEXT) | instid1(VALU_DEP_3)
	v_add_f32_e32 v7, v7, v19
	v_fma_f32 v8, v28, v24, -v16
	s_delay_alu instid0(VALU_DEP_3) | instskip(SKIP_1) | instid1(VALU_DEP_2)
	v_dual_fmac_f32 v17, v29, v24 :: v_dual_mul_f32 v16, v31, v27
	v_mul_f32_e32 v18, v30, v27
	v_dual_add_f32 v2, v2, v8 :: v_dual_add_f32 v7, v7, v17
	s_delay_alu instid0(VALU_DEP_3) | instskip(NEXT) | instid1(VALU_DEP_1)
	v_fma_f32 v8, v30, v26, -v16
	v_dual_fmac_f32 v18, v31, v26 :: v_dual_add_f32 v17, v2, v8
	s_delay_alu instid0(VALU_DEP_1)
	v_add_f32_e32 v16, v7, v18
	s_cbranch_scc1 .LBB670_9
.LBB670_3:                              ; =>This Inner Loop Header: Depth=1
	v_dual_mov_b32 v7, 0 :: v_dual_add_nc_u32 v2, s11, v10
	v_mov_b32_e32 v8, 0
	s_delay_alu instid0(VALU_DEP_2) | instskip(NEXT) | instid1(VALU_DEP_1)
	v_cmp_gt_i32_e64 s2, s17, v2
	s_and_b32 s6, vcc_lo, s2
	s_delay_alu instid0(SALU_CYCLE_1)
	s_and_saveexec_b32 s2, s6
	s_cbranch_execz .LBB670_5
; %bb.4:                                ;   in Loop: Header=BB670_3 Depth=1
	global_load_b64 v[7:8], v[5:6], off offset:-4
.LBB670_5:                              ;   in Loop: Header=BB670_3 Depth=1
	s_or_b32 exec_lo, exec_lo, s2
	v_add_nc_u32_e32 v2, s11, v11
	s_waitcnt vmcnt(0)
	ds_store_b64 v14, v[7:8]
	v_cmp_le_i32_e64 s2, s17, v2
	s_delay_alu instid0(VALU_DEP_1) | instskip(NEXT) | instid1(SALU_CYCLE_1)
	s_or_b32 s2, s3, s2
	s_and_saveexec_b32 s6, s2
	s_delay_alu instid0(SALU_CYCLE_1)
	s_xor_b32 s2, exec_lo, s6
	s_cbranch_execz .LBB670_7
; %bb.6:                                ;   in Loop: Header=BB670_3 Depth=1
	v_mov_b32_e32 v2, v1
	ds_store_b64 v15, v[1:2]
.LBB670_7:                              ;   in Loop: Header=BB670_3 Depth=1
	s_and_not1_saveexec_b32 s2, s2
	s_cbranch_execz .LBB670_2
; %bb.8:                                ;   in Loop: Header=BB670_3 Depth=1
	global_load_b64 v[7:8], v[3:4], off
	s_waitcnt vmcnt(0)
	ds_store_b64 v15, v[7:8]
	s_branch .LBB670_2
.LBB670_9:
	v_cmp_le_i32_e32 vcc_lo, v0, v9
	v_cmp_gt_i32_e64 s2, s16, v9
	s_delay_alu instid0(VALU_DEP_1) | instskip(NEXT) | instid1(SALU_CYCLE_1)
	s_and_b32 s2, vcc_lo, s2
	s_and_saveexec_b32 s3, s2
	s_cbranch_execz .LBB670_11
; %bb.10:
	s_load_b32 s0, s[0:1], 0x50
	v_ashrrev_i32_e32 v1, 31, v0
	s_waitcnt lgkmcnt(0)
	v_mul_f32_e32 v5, s4, v16
	v_mul_f32_e32 v4, s5, v16
	s_delay_alu instid0(VALU_DEP_3) | instskip(NEXT) | instid1(VALU_DEP_3)
	v_lshlrev_b64 v[0:1], 3, v[0:1]
	v_fmac_f32_e32 v5, s5, v17
	s_delay_alu instid0(VALU_DEP_3) | instskip(SKIP_1) | instid1(VALU_DEP_1)
	v_fma_f32 v4, v17, s4, -v4
	v_mad_i64_i32 v[2:3], null, s0, v9, 0
	v_lshlrev_b64 v[2:3], 3, v[2:3]
	s_delay_alu instid0(VALU_DEP_1) | instskip(NEXT) | instid1(VALU_DEP_2)
	v_add_co_u32 v2, vcc_lo, s8, v2
	v_add_co_ci_u32_e32 v3, vcc_lo, s9, v3, vcc_lo
	s_delay_alu instid0(VALU_DEP_2) | instskip(NEXT) | instid1(VALU_DEP_2)
	v_add_co_u32 v0, vcc_lo, v2, v0
	v_add_co_ci_u32_e32 v1, vcc_lo, v3, v1, vcc_lo
	global_store_b64 v[0:1], v[4:5], off
.LBB670_11:
	s_nop 0
	s_sendmsg sendmsg(MSG_DEALLOC_VGPRS)
	s_endpgm
	.section	.rodata,"a",@progbits
	.p2align	6, 0x0
	.amdhsa_kernel _ZL32rocblas_syrkx_herkx_small_kernelIi19rocblas_complex_numIfELi16ELb1ELb0ELc67ELc85EKPKS1_KPS1_EviT_T0_PT6_S7_lSA_S7_lS8_PT7_S7_li
		.amdhsa_group_segment_fixed_size 4096
		.amdhsa_private_segment_fixed_size 0
		.amdhsa_kernarg_size 100
		.amdhsa_user_sgpr_count 13
		.amdhsa_user_sgpr_dispatch_ptr 0
		.amdhsa_user_sgpr_queue_ptr 0
		.amdhsa_user_sgpr_kernarg_segment_ptr 1
		.amdhsa_user_sgpr_dispatch_id 0
		.amdhsa_user_sgpr_private_segment_size 0
		.amdhsa_wavefront_size32 1
		.amdhsa_uses_dynamic_stack 0
		.amdhsa_enable_private_segment 0
		.amdhsa_system_sgpr_workgroup_id_x 1
		.amdhsa_system_sgpr_workgroup_id_y 1
		.amdhsa_system_sgpr_workgroup_id_z 1
		.amdhsa_system_sgpr_workgroup_info 0
		.amdhsa_system_vgpr_workitem_id 1
		.amdhsa_next_free_vgpr 68
		.amdhsa_next_free_sgpr 20
		.amdhsa_reserve_vcc 1
		.amdhsa_float_round_mode_32 0
		.amdhsa_float_round_mode_16_64 0
		.amdhsa_float_denorm_mode_32 3
		.amdhsa_float_denorm_mode_16_64 3
		.amdhsa_dx10_clamp 1
		.amdhsa_ieee_mode 1
		.amdhsa_fp16_overflow 0
		.amdhsa_workgroup_processor_mode 1
		.amdhsa_memory_ordered 1
		.amdhsa_forward_progress 0
		.amdhsa_shared_vgpr_count 0
		.amdhsa_exception_fp_ieee_invalid_op 0
		.amdhsa_exception_fp_denorm_src 0
		.amdhsa_exception_fp_ieee_div_zero 0
		.amdhsa_exception_fp_ieee_overflow 0
		.amdhsa_exception_fp_ieee_underflow 0
		.amdhsa_exception_fp_ieee_inexact 0
		.amdhsa_exception_int_div_zero 0
	.end_amdhsa_kernel
	.section	.text._ZL32rocblas_syrkx_herkx_small_kernelIi19rocblas_complex_numIfELi16ELb1ELb0ELc67ELc85EKPKS1_KPS1_EviT_T0_PT6_S7_lSA_S7_lS8_PT7_S7_li,"axG",@progbits,_ZL32rocblas_syrkx_herkx_small_kernelIi19rocblas_complex_numIfELi16ELb1ELb0ELc67ELc85EKPKS1_KPS1_EviT_T0_PT6_S7_lSA_S7_lS8_PT7_S7_li,comdat
.Lfunc_end670:
	.size	_ZL32rocblas_syrkx_herkx_small_kernelIi19rocblas_complex_numIfELi16ELb1ELb0ELc67ELc85EKPKS1_KPS1_EviT_T0_PT6_S7_lSA_S7_lS8_PT7_S7_li, .Lfunc_end670-_ZL32rocblas_syrkx_herkx_small_kernelIi19rocblas_complex_numIfELi16ELb1ELb0ELc67ELc85EKPKS1_KPS1_EviT_T0_PT6_S7_lSA_S7_lS8_PT7_S7_li
                                        ; -- End function
	.section	.AMDGPU.csdata,"",@progbits
; Kernel info:
; codeLenInByte = 1420
; NumSgprs: 22
; NumVgprs: 68
; ScratchSize: 0
; MemoryBound: 1
; FloatMode: 240
; IeeeMode: 1
; LDSByteSize: 4096 bytes/workgroup (compile time only)
; SGPRBlocks: 2
; VGPRBlocks: 8
; NumSGPRsForWavesPerEU: 22
; NumVGPRsForWavesPerEU: 68
; Occupancy: 16
; WaveLimiterHint : 1
; COMPUTE_PGM_RSRC2:SCRATCH_EN: 0
; COMPUTE_PGM_RSRC2:USER_SGPR: 13
; COMPUTE_PGM_RSRC2:TRAP_HANDLER: 0
; COMPUTE_PGM_RSRC2:TGID_X_EN: 1
; COMPUTE_PGM_RSRC2:TGID_Y_EN: 1
; COMPUTE_PGM_RSRC2:TGID_Z_EN: 1
; COMPUTE_PGM_RSRC2:TIDIG_COMP_CNT: 1
	.section	.text._ZL32rocblas_syrkx_herkx_small_kernelIi19rocblas_complex_numIfELi16ELb1ELb0ELc78ELc85EKPKS1_KPS1_EviT_T0_PT6_S7_lSA_S7_lS8_PT7_S7_li,"axG",@progbits,_ZL32rocblas_syrkx_herkx_small_kernelIi19rocblas_complex_numIfELi16ELb1ELb0ELc78ELc85EKPKS1_KPS1_EviT_T0_PT6_S7_lSA_S7_lS8_PT7_S7_li,comdat
	.globl	_ZL32rocblas_syrkx_herkx_small_kernelIi19rocblas_complex_numIfELi16ELb1ELb0ELc78ELc85EKPKS1_KPS1_EviT_T0_PT6_S7_lSA_S7_lS8_PT7_S7_li ; -- Begin function _ZL32rocblas_syrkx_herkx_small_kernelIi19rocblas_complex_numIfELi16ELb1ELb0ELc78ELc85EKPKS1_KPS1_EviT_T0_PT6_S7_lSA_S7_lS8_PT7_S7_li
	.p2align	8
	.type	_ZL32rocblas_syrkx_herkx_small_kernelIi19rocblas_complex_numIfELi16ELb1ELb0ELc78ELc85EKPKS1_KPS1_EviT_T0_PT6_S7_lSA_S7_lS8_PT7_S7_li,@function
_ZL32rocblas_syrkx_herkx_small_kernelIi19rocblas_complex_numIfELi16ELb1ELb0ELc78ELc85EKPKS1_KPS1_EviT_T0_PT6_S7_lSA_S7_lS8_PT7_S7_li: ; @_ZL32rocblas_syrkx_herkx_small_kernelIi19rocblas_complex_numIfELi16ELb1ELb0ELc78ELc85EKPKS1_KPS1_EviT_T0_PT6_S7_lSA_S7_lS8_PT7_S7_li
; %bb.0:
	s_clause 0x1
	s_load_b64 s[2:3], s[0:1], 0x48
	s_load_b64 s[16:17], s[0:1], 0x0
	s_mov_b32 s10, s15
	s_mov_b32 s11, 0
	v_dual_mov_b32 v17, 0 :: v_dual_and_b32 v12, 0x3ff, v0
	s_lshl_b64 s[18:19], s[10:11], 3
	v_bfe_u32 v13, v0, 10, 10
	v_mov_b32_e32 v18, 0
	s_delay_alu instid0(VALU_DEP_3) | instskip(NEXT) | instid1(VALU_DEP_3)
	v_lshl_add_u32 v0, s13, 4, v12
	v_lshl_add_u32 v2, s14, 4, v13
	s_delay_alu instid0(VALU_DEP_2)
	v_ashrrev_i32_e32 v1, 31, v0
	s_waitcnt lgkmcnt(0)
	s_add_u32 s2, s2, s18
	s_addc_u32 s3, s3, s19
	s_load_b128 s[4:7], s[0:1], 0x8
	s_load_b64 s[8:9], s[2:3], 0x0
	v_cmp_gt_i32_e32 vcc_lo, s16, v2
	s_cmp_lt_i32 s17, 1
	s_cbranch_scc1 .LBB671_9
; %bb.1:
	s_clause 0x2
	s_load_b32 s12, s[0:1], 0x18
	s_load_b32 s14, s[0:1], 0x30
	s_load_b64 s[20:21], s[0:1], 0x28
	v_ashrrev_i32_e32 v3, 31, v2
	v_lshlrev_b64 v[5:6], 3, v[0:1]
	v_dual_mov_b32 v4, 0 :: v_dual_lshlrev_b32 v11, 7, v13
	v_dual_mov_b32 v17, 0 :: v_dual_lshlrev_b32 v14, 3, v12
	s_delay_alu instid0(VALU_DEP_4) | instskip(NEXT) | instid1(VALU_DEP_3)
	v_lshlrev_b64 v[18:19], 3, v[2:3]
	v_add_nc_u32_e32 v15, 0x800, v11
	v_cmp_gt_i32_e64 s2, s16, v0
	s_delay_alu instid0(VALU_DEP_4)
	v_add_nc_u32_e32 v3, v14, v11
	s_waitcnt lgkmcnt(0)
	s_ashr_i32 s13, s12, 31
	s_ashr_i32 s15, s14, 31
	s_add_u32 s20, s20, s18
	s_addc_u32 s21, s21, s19
	v_mad_i64_i32 v[7:8], null, s14, v12, 0
	s_load_b64 s[20:21], s[20:21], 0x0
	s_add_u32 s6, s6, s18
	s_addc_u32 s7, s7, s19
	v_mad_i64_i32 v[9:10], null, s12, v13, 0
	s_load_b64 s[6:7], s[6:7], 0x0
	s_delay_alu instid0(VALU_DEP_2) | instskip(SKIP_1) | instid1(VALU_DEP_2)
	v_lshlrev_b64 v[7:8], 3, v[7:8]
	s_lshl_b64 s[12:13], s[12:13], 7
	v_lshlrev_b64 v[9:10], 3, v[9:10]
	s_delay_alu instid0(VALU_DEP_2) | instskip(SKIP_1) | instid1(VALU_DEP_4)
	v_add_co_u32 v7, s3, v7, v18
	v_mov_b32_e32 v18, 0
	v_add_co_ci_u32_e64 v8, s3, v8, v19, s3
	s_delay_alu instid0(VALU_DEP_4) | instskip(NEXT) | instid1(VALU_DEP_1)
	v_add_co_u32 v5, s3, v9, v5
	v_add_co_ci_u32_e64 v9, s3, v10, v6, s3
	s_waitcnt lgkmcnt(0)
	v_add_co_u32 v10, s3, v7, s20
	s_delay_alu instid0(VALU_DEP_1) | instskip(SKIP_1) | instid1(VALU_DEP_1)
	v_add_co_ci_u32_e64 v11, s3, s21, v8, s3
	v_add_co_u32 v6, s3, s6, v5
	v_add_co_ci_u32_e64 v7, s3, s7, v9, s3
	s_delay_alu instid0(VALU_DEP_4)
	v_add_co_u32 v8, s3, v10, 4
	v_add_nc_u32_e32 v16, v15, v14
	v_add_co_ci_u32_e64 v9, s3, 0, v11, s3
	s_lshl_b64 s[6:7], s[14:15], 7
	s_xor_b32 s3, s2, -1
	s_branch .LBB671_3
.LBB671_2:                              ;   in Loop: Header=BB671_3 Depth=1
	s_or_b32 exec_lo, exec_lo, s2
	s_waitcnt vmcnt(0)
	ds_store_b64 v16, v[10:11]
	s_waitcnt lgkmcnt(0)
	s_barrier
	buffer_gl0_inv
	ds_load_2addr_b64 v[19:22], v14 offset1:16
	ds_load_b128 v[23:26], v15
	ds_load_b128 v[27:30], v15 offset:16
	ds_load_2addr_b64 v[31:34], v14 offset0:32 offset1:48
	ds_load_2addr_b64 v[35:38], v14 offset0:64 offset1:80
	ds_load_b128 v[39:42], v15 offset:32
	ds_load_b128 v[43:46], v15 offset:48
	ds_load_2addr_b64 v[47:50], v14 offset0:96 offset1:112
	ds_load_2addr_b64 v[51:54], v14 offset0:128 offset1:144
	;; [unrolled: 1-line block ×3, first 2 shown]
	ds_load_b128 v[59:62], v15 offset:64
	ds_load_b128 v[63:66], v15 offset:80
	v_add_co_u32 v8, s2, v8, s6
	s_delay_alu instid0(VALU_DEP_1) | instskip(SKIP_1) | instid1(VALU_DEP_1)
	v_add_co_ci_u32_e64 v9, s2, s7, v9, s2
	v_add_co_u32 v6, s2, v6, s12
	v_add_co_ci_u32_e64 v7, s2, s13, v7, s2
	s_add_i32 s11, s11, 16
	s_waitcnt lgkmcnt(10)
	v_mul_f32_e32 v5, v24, v20
	v_dual_mul_f32 v10, v23, v20 :: v_dual_mul_f32 v11, v26, v22
	v_mul_f32_e32 v20, v25, v22
	s_waitcnt lgkmcnt(8)
	v_dual_mul_f32 v22, v28, v32 :: v_dual_mul_f32 v67, v30, v34
	v_fma_f32 v5, v23, v19, -v5
	v_mul_f32_e32 v32, v27, v32
	v_fma_f32 v11, v25, v21, -v11
	s_waitcnt lgkmcnt(6)
	v_dual_mul_f32 v34, v29, v34 :: v_dual_mul_f32 v23, v39, v36
	v_dual_add_f32 v5, v18, v5 :: v_dual_mul_f32 v68, v40, v36
	v_mul_f32_e32 v36, v42, v38
	v_fmac_f32_e32 v32, v28, v31
	v_mul_f32_e32 v18, v41, v38
	s_delay_alu instid0(VALU_DEP_4)
	v_add_f32_e32 v5, v5, v11
	v_fmac_f32_e32 v10, v24, v19
	v_fma_f32 v19, v29, v33, -v67
	s_waitcnt lgkmcnt(4)
	v_mul_f32_e32 v11, v44, v48
	v_fmac_f32_e32 v23, v40, v35
	s_cmp_ge_i32 s11, s17
	v_add_f32_e32 v10, v17, v10
	v_fma_f32 v17, v27, v31, -v22
	v_fma_f32 v11, v43, v47, -v11
	s_delay_alu instid0(VALU_DEP_2) | instskip(SKIP_3) | instid1(VALU_DEP_3)
	v_add_f32_e32 v5, v5, v17
	v_fmac_f32_e32 v20, v26, v21
	v_fma_f32 v21, v41, v37, -v36
	v_mul_f32_e32 v17, v43, v48
	v_dual_add_f32 v5, v5, v19 :: v_dual_add_f32 v10, v10, v20
	v_fma_f32 v20, v39, v35, -v68
	v_fmac_f32_e32 v34, v30, v33
	v_mul_f32_e32 v19, v46, v50
	v_fmac_f32_e32 v17, v44, v47
	s_waitcnt lgkmcnt(0)
	v_mul_f32_e32 v33, v63, v56
	v_add_f32_e32 v5, v5, v20
	v_mul_f32_e32 v20, v45, v50
	v_mul_f32_e32 v26, v61, v54
	;; [unrolled: 1-line block ×3, first 2 shown]
	v_fmac_f32_e32 v33, v64, v55
	v_dual_add_f32 v5, v5, v21 :: v_dual_add_f32 v10, v10, v32
	v_dual_fmac_f32 v18, v42, v37 :: v_dual_mul_f32 v21, v60, v52
	s_delay_alu instid0(VALU_DEP_2) | instskip(SKIP_1) | instid1(VALU_DEP_2)
	v_dual_add_f32 v5, v5, v11 :: v_dual_add_f32 v10, v10, v34
	v_dual_mul_f32 v11, v59, v52 :: v_dual_fmac_f32 v20, v46, v49
	v_add_f32_e32 v10, v10, v23
	s_delay_alu instid0(VALU_DEP_1) | instskip(SKIP_1) | instid1(VALU_DEP_2)
	v_dual_fmac_f32 v11, v60, v51 :: v_dual_add_f32 v10, v10, v18
	v_fma_f32 v18, v45, v49, -v19
	v_add_f32_e32 v10, v10, v17
	v_fma_f32 v17, v59, v51, -v21
	s_delay_alu instid0(VALU_DEP_2) | instskip(NEXT) | instid1(VALU_DEP_1)
	v_dual_add_f32 v5, v5, v18 :: v_dual_add_f32 v10, v10, v20
	v_add_f32_e32 v5, v5, v17
	ds_load_2addr_b64 v[17:20], v14 offset0:192 offset1:208
	ds_load_b128 v[21:24], v15 offset:96
	v_mul_f32_e32 v25, v62, v54
	v_add_f32_e32 v10, v10, v11
	v_fmac_f32_e32 v35, v66, v57
	s_delay_alu instid0(VALU_DEP_3) | instskip(SKIP_1) | instid1(VALU_DEP_2)
	v_fma_f32 v11, v61, v53, -v25
	v_dual_fmac_f32 v26, v62, v53 :: v_dual_mul_f32 v25, v64, v56
	v_add_f32_e32 v5, v5, v11
	s_delay_alu instid0(VALU_DEP_2) | instskip(NEXT) | instid1(VALU_DEP_3)
	v_fma_f32 v11, v63, v55, -v25
	v_add_f32_e32 v10, v10, v26
	ds_load_2addr_b64 v[25:28], v14 offset0:224 offset1:240
	ds_load_b128 v[29:32], v15 offset:112
	s_waitcnt lgkmcnt(0)
	s_barrier
	v_dual_add_f32 v5, v5, v11 :: v_dual_mul_f32 v34, v66, v58
	v_add_f32_e32 v10, v10, v33
	v_mul_f32_e32 v33, v22, v18
	v_mul_f32_e32 v18, v21, v18
	buffer_gl0_inv
	v_fma_f32 v11, v65, v57, -v34
	s_delay_alu instid0(VALU_DEP_1) | instskip(SKIP_3) | instid1(VALU_DEP_3)
	v_add_f32_e32 v5, v5, v11
	v_fma_f32 v11, v21, v17, -v33
	v_dual_fmac_f32 v18, v22, v17 :: v_dual_mul_f32 v17, v24, v20
	v_add_f32_e32 v10, v10, v35
	v_dual_mul_f32 v20, v23, v20 :: v_dual_add_f32 v5, v5, v11
	s_delay_alu instid0(VALU_DEP_3) | instskip(NEXT) | instid1(VALU_DEP_2)
	v_fma_f32 v11, v23, v19, -v17
	v_dual_mul_f32 v17, v30, v26 :: v_dual_fmac_f32 v20, v24, v19
	v_mul_f32_e32 v19, v31, v28
	s_delay_alu instid0(VALU_DEP_3) | instskip(NEXT) | instid1(VALU_DEP_3)
	v_add_f32_e32 v5, v5, v11
	v_fma_f32 v11, v29, v25, -v17
	v_dual_mul_f32 v17, v32, v28 :: v_dual_add_f32 v10, v10, v18
	s_delay_alu instid0(VALU_DEP_4) | instskip(NEXT) | instid1(VALU_DEP_2)
	v_dual_mul_f32 v18, v29, v26 :: v_dual_fmac_f32 v19, v32, v27
	v_add_f32_e32 v10, v10, v20
	s_delay_alu instid0(VALU_DEP_2) | instskip(NEXT) | instid1(VALU_DEP_4)
	v_dual_fmac_f32 v18, v30, v25 :: v_dual_add_f32 v5, v5, v11
	v_fma_f32 v11, v31, v27, -v17
	s_delay_alu instid0(VALU_DEP_2) | instskip(NEXT) | instid1(VALU_DEP_2)
	v_add_f32_e32 v10, v10, v18
	v_add_f32_e32 v18, v5, v11
	s_delay_alu instid0(VALU_DEP_2)
	v_add_f32_e32 v17, v10, v19
	s_cbranch_scc1 .LBB671_9
.LBB671_3:                              ; =>This Inner Loop Header: Depth=1
	v_add_nc_u32_e32 v5, s11, v13
	s_delay_alu instid0(VALU_DEP_1) | instskip(NEXT) | instid1(VALU_DEP_1)
	v_cmp_le_i32_e64 s2, s17, v5
	s_or_b32 s2, s3, s2
	s_delay_alu instid0(SALU_CYCLE_1) | instskip(NEXT) | instid1(SALU_CYCLE_1)
	s_and_saveexec_b32 s10, s2
	s_xor_b32 s2, exec_lo, s10
	s_cbranch_execz .LBB671_5
; %bb.4:                                ;   in Loop: Header=BB671_3 Depth=1
	v_mov_b32_e32 v5, v4
	ds_store_b64 v3, v[4:5]
.LBB671_5:                              ;   in Loop: Header=BB671_3 Depth=1
	s_and_not1_saveexec_b32 s2, s2
	s_cbranch_execz .LBB671_7
; %bb.6:                                ;   in Loop: Header=BB671_3 Depth=1
	global_load_b64 v[10:11], v[6:7], off
	s_waitcnt vmcnt(0)
	ds_store_b64 v3, v[10:11]
.LBB671_7:                              ;   in Loop: Header=BB671_3 Depth=1
	s_or_b32 exec_lo, exec_lo, s2
	v_dual_mov_b32 v10, 0 :: v_dual_add_nc_u32 v5, s11, v12
	v_mov_b32_e32 v11, 0
	s_delay_alu instid0(VALU_DEP_2) | instskip(NEXT) | instid1(VALU_DEP_1)
	v_cmp_gt_i32_e64 s2, s17, v5
	s_and_b32 s10, vcc_lo, s2
	s_delay_alu instid0(SALU_CYCLE_1)
	s_and_saveexec_b32 s2, s10
	s_cbranch_execz .LBB671_2
; %bb.8:                                ;   in Loop: Header=BB671_3 Depth=1
	global_load_b64 v[10:11], v[8:9], off offset:-4
	s_branch .LBB671_2
.LBB671_9:
	v_cmp_le_i32_e32 vcc_lo, v0, v2
	v_cmp_gt_i32_e64 s2, s16, v2
	s_delay_alu instid0(VALU_DEP_1) | instskip(NEXT) | instid1(SALU_CYCLE_1)
	s_and_b32 s2, vcc_lo, s2
	s_and_saveexec_b32 s3, s2
	s_cbranch_execz .LBB671_11
; %bb.10:
	s_load_b32 s0, s[0:1], 0x50
	v_lshlrev_b64 v[0:1], 3, v[0:1]
	s_waitcnt lgkmcnt(0)
	v_mul_f32_e32 v5, s4, v17
	s_delay_alu instid0(VALU_DEP_1) | instskip(SKIP_1) | instid1(VALU_DEP_1)
	v_dual_mul_f32 v6, s5, v17 :: v_dual_fmac_f32 v5, s5, v18
	v_mad_i64_i32 v[3:4], null, s0, v2, 0
	v_lshlrev_b64 v[2:3], 3, v[3:4]
	s_delay_alu instid0(VALU_DEP_3) | instskip(NEXT) | instid1(VALU_DEP_2)
	v_fma_f32 v4, v18, s4, -v6
	v_add_co_u32 v2, vcc_lo, s8, v2
	s_delay_alu instid0(VALU_DEP_3) | instskip(NEXT) | instid1(VALU_DEP_2)
	v_add_co_ci_u32_e32 v3, vcc_lo, s9, v3, vcc_lo
	v_add_co_u32 v0, vcc_lo, v2, v0
	s_delay_alu instid0(VALU_DEP_2)
	v_add_co_ci_u32_e32 v1, vcc_lo, v3, v1, vcc_lo
	global_store_b64 v[0:1], v[4:5], off
.LBB671_11:
	s_nop 0
	s_sendmsg sendmsg(MSG_DEALLOC_VGPRS)
	s_endpgm
	.section	.rodata,"a",@progbits
	.p2align	6, 0x0
	.amdhsa_kernel _ZL32rocblas_syrkx_herkx_small_kernelIi19rocblas_complex_numIfELi16ELb1ELb0ELc78ELc85EKPKS1_KPS1_EviT_T0_PT6_S7_lSA_S7_lS8_PT7_S7_li
		.amdhsa_group_segment_fixed_size 4096
		.amdhsa_private_segment_fixed_size 0
		.amdhsa_kernarg_size 100
		.amdhsa_user_sgpr_count 13
		.amdhsa_user_sgpr_dispatch_ptr 0
		.amdhsa_user_sgpr_queue_ptr 0
		.amdhsa_user_sgpr_kernarg_segment_ptr 1
		.amdhsa_user_sgpr_dispatch_id 0
		.amdhsa_user_sgpr_private_segment_size 0
		.amdhsa_wavefront_size32 1
		.amdhsa_uses_dynamic_stack 0
		.amdhsa_enable_private_segment 0
		.amdhsa_system_sgpr_workgroup_id_x 1
		.amdhsa_system_sgpr_workgroup_id_y 1
		.amdhsa_system_sgpr_workgroup_id_z 1
		.amdhsa_system_sgpr_workgroup_info 0
		.amdhsa_system_vgpr_workitem_id 1
		.amdhsa_next_free_vgpr 69
		.amdhsa_next_free_sgpr 22
		.amdhsa_reserve_vcc 1
		.amdhsa_float_round_mode_32 0
		.amdhsa_float_round_mode_16_64 0
		.amdhsa_float_denorm_mode_32 3
		.amdhsa_float_denorm_mode_16_64 3
		.amdhsa_dx10_clamp 1
		.amdhsa_ieee_mode 1
		.amdhsa_fp16_overflow 0
		.amdhsa_workgroup_processor_mode 1
		.amdhsa_memory_ordered 1
		.amdhsa_forward_progress 0
		.amdhsa_shared_vgpr_count 0
		.amdhsa_exception_fp_ieee_invalid_op 0
		.amdhsa_exception_fp_denorm_src 0
		.amdhsa_exception_fp_ieee_div_zero 0
		.amdhsa_exception_fp_ieee_overflow 0
		.amdhsa_exception_fp_ieee_underflow 0
		.amdhsa_exception_fp_ieee_inexact 0
		.amdhsa_exception_int_div_zero 0
	.end_amdhsa_kernel
	.section	.text._ZL32rocblas_syrkx_herkx_small_kernelIi19rocblas_complex_numIfELi16ELb1ELb0ELc78ELc85EKPKS1_KPS1_EviT_T0_PT6_S7_lSA_S7_lS8_PT7_S7_li,"axG",@progbits,_ZL32rocblas_syrkx_herkx_small_kernelIi19rocblas_complex_numIfELi16ELb1ELb0ELc78ELc85EKPKS1_KPS1_EviT_T0_PT6_S7_lSA_S7_lS8_PT7_S7_li,comdat
.Lfunc_end671:
	.size	_ZL32rocblas_syrkx_herkx_small_kernelIi19rocblas_complex_numIfELi16ELb1ELb0ELc78ELc85EKPKS1_KPS1_EviT_T0_PT6_S7_lSA_S7_lS8_PT7_S7_li, .Lfunc_end671-_ZL32rocblas_syrkx_herkx_small_kernelIi19rocblas_complex_numIfELi16ELb1ELb0ELc78ELc85EKPKS1_KPS1_EviT_T0_PT6_S7_lSA_S7_lS8_PT7_S7_li
                                        ; -- End function
	.section	.AMDGPU.csdata,"",@progbits
; Kernel info:
; codeLenInByte = 1444
; NumSgprs: 24
; NumVgprs: 69
; ScratchSize: 0
; MemoryBound: 1
; FloatMode: 240
; IeeeMode: 1
; LDSByteSize: 4096 bytes/workgroup (compile time only)
; SGPRBlocks: 2
; VGPRBlocks: 8
; NumSGPRsForWavesPerEU: 24
; NumVGPRsForWavesPerEU: 69
; Occupancy: 16
; WaveLimiterHint : 1
; COMPUTE_PGM_RSRC2:SCRATCH_EN: 0
; COMPUTE_PGM_RSRC2:USER_SGPR: 13
; COMPUTE_PGM_RSRC2:TRAP_HANDLER: 0
; COMPUTE_PGM_RSRC2:TGID_X_EN: 1
; COMPUTE_PGM_RSRC2:TGID_Y_EN: 1
; COMPUTE_PGM_RSRC2:TGID_Z_EN: 1
; COMPUTE_PGM_RSRC2:TIDIG_COMP_CNT: 1
	.section	.text._ZL32rocblas_syrkx_herkx_small_kernelIi19rocblas_complex_numIfELi16ELb0ELb0ELc84ELc76EKPKS1_KPS1_EviT_T0_PT6_S7_lSA_S7_lS8_PT7_S7_li,"axG",@progbits,_ZL32rocblas_syrkx_herkx_small_kernelIi19rocblas_complex_numIfELi16ELb0ELb0ELc84ELc76EKPKS1_KPS1_EviT_T0_PT6_S7_lSA_S7_lS8_PT7_S7_li,comdat
	.globl	_ZL32rocblas_syrkx_herkx_small_kernelIi19rocblas_complex_numIfELi16ELb0ELb0ELc84ELc76EKPKS1_KPS1_EviT_T0_PT6_S7_lSA_S7_lS8_PT7_S7_li ; -- Begin function _ZL32rocblas_syrkx_herkx_small_kernelIi19rocblas_complex_numIfELi16ELb0ELb0ELc84ELc76EKPKS1_KPS1_EviT_T0_PT6_S7_lSA_S7_lS8_PT7_S7_li
	.p2align	8
	.type	_ZL32rocblas_syrkx_herkx_small_kernelIi19rocblas_complex_numIfELi16ELb0ELb0ELc84ELc76EKPKS1_KPS1_EviT_T0_PT6_S7_lSA_S7_lS8_PT7_S7_li,@function
_ZL32rocblas_syrkx_herkx_small_kernelIi19rocblas_complex_numIfELi16ELb0ELb0ELc84ELc76EKPKS1_KPS1_EviT_T0_PT6_S7_lSA_S7_lS8_PT7_S7_li: ; @_ZL32rocblas_syrkx_herkx_small_kernelIi19rocblas_complex_numIfELi16ELb0ELb0ELc84ELc76EKPKS1_KPS1_EviT_T0_PT6_S7_lSA_S7_lS8_PT7_S7_li
; %bb.0:
	s_clause 0x1
	s_load_b128 s[4:7], s[0:1], 0x40
	s_load_b64 s[18:19], s[0:1], 0x0
	s_mov_b32 s16, s15
	s_mov_b32 s17, 0
	v_dual_mov_b32 v15, 0 :: v_dual_and_b32 v8, 0x3ff, v0
	s_lshl_b64 s[20:21], s[16:17], 3
	v_bfe_u32 v9, v0, 10, 10
	v_mov_b32_e32 v14, 0
	s_delay_alu instid0(VALU_DEP_3) | instskip(NEXT) | instid1(VALU_DEP_3)
	v_lshl_add_u32 v0, s13, 4, v8
	v_lshl_add_u32 v7, s14, 4, v9
	s_waitcnt lgkmcnt(0)
	s_add_u32 s2, s6, s20
	s_addc_u32 s3, s7, s21
	s_load_b128 s[8:11], s[0:1], 0x8
	s_load_b64 s[6:7], s[2:3], 0x0
	v_cmp_gt_i32_e32 vcc_lo, s18, v0
	s_cmp_lt_i32 s19, 1
	s_cbranch_scc1 .LBB672_11
; %bb.1:
	s_clause 0x2
	s_load_b64 s[12:13], s[0:1], 0x28
	s_load_b32 s3, s[0:1], 0x30
	s_load_b32 s14, s[0:1], 0x18
	v_lshlrev_b32_e32 v10, 3, v8
	v_dual_mov_b32 v1, 0 :: v_dual_lshlrev_b32 v6, 7, v9
	v_dual_mov_b32 v14, 0 :: v_dual_lshlrev_b32 v15, 3, v9
	v_cmp_gt_i32_e64 s2, s18, v7
	s_delay_alu instid0(VALU_DEP_3)
	v_add_nc_u32_e32 v11, 0x800, v6
	v_add_nc_u32_e32 v12, v10, v6
	s_waitcnt lgkmcnt(0)
	s_add_u32 s12, s12, s20
	s_addc_u32 s13, s13, s21
	v_mad_i64_i32 v[2:3], null, s3, v7, 0
	s_load_b64 s[12:13], s[12:13], 0x0
	s_add_u32 s10, s10, s20
	s_addc_u32 s11, s11, s21
	v_mad_i64_i32 v[4:5], null, s14, v0, 0
	s_load_b64 s[10:11], s[10:11], 0x0
	s_delay_alu instid0(VALU_DEP_2) | instskip(SKIP_1) | instid1(VALU_DEP_2)
	v_lshlrev_b64 v[2:3], 3, v[2:3]
	s_xor_b32 s2, s2, -1
	v_lshlrev_b64 v[4:5], 3, v[4:5]
	s_delay_alu instid0(VALU_DEP_2) | instskip(NEXT) | instid1(VALU_DEP_1)
	v_add_co_u32 v2, s3, v2, v10
	v_add_co_ci_u32_e64 v6, s3, 0, v3, s3
	s_delay_alu instid0(VALU_DEP_3) | instskip(NEXT) | instid1(VALU_DEP_1)
	v_add_co_u32 v15, s3, v4, v15
	v_add_co_ci_u32_e64 v16, s3, 0, v5, s3
	s_waitcnt lgkmcnt(0)
	v_add_co_u32 v3, s3, s12, v2
	s_delay_alu instid0(VALU_DEP_1) | instskip(SKIP_1) | instid1(VALU_DEP_1)
	v_add_co_ci_u32_e64 v4, s3, s13, v6, s3
	v_add_co_u32 v5, s3, s10, v15
	v_add_co_ci_u32_e64 v6, s3, s11, v16, s3
	v_mov_b32_e32 v15, 0
	v_add_nc_u32_e32 v13, v11, v10
	s_xor_b32 s3, vcc_lo, -1
	s_branch .LBB672_3
.LBB672_2:                              ;   in Loop: Header=BB672_3 Depth=1
	s_or_b32 exec_lo, exec_lo, s10
	s_waitcnt lgkmcnt(0)
	s_barrier
	buffer_gl0_inv
	ds_load_2addr_b64 v[16:19], v10 offset1:16
	ds_load_b128 v[20:23], v11
	ds_load_b128 v[24:27], v11 offset:16
	ds_load_2addr_b64 v[28:31], v10 offset0:32 offset1:48
	ds_load_2addr_b64 v[32:35], v10 offset0:64 offset1:80
	ds_load_b128 v[36:39], v11 offset:32
	ds_load_b128 v[40:43], v11 offset:48
	ds_load_2addr_b64 v[44:47], v10 offset0:96 offset1:112
	ds_load_2addr_b64 v[48:51], v10 offset0:128 offset1:144
	;; [unrolled: 1-line block ×3, first 2 shown]
	ds_load_b128 v[56:59], v11 offset:64
	ds_load_b128 v[60:63], v11 offset:80
	v_add_co_u32 v3, vcc_lo, 0x80, v3
	v_add_co_ci_u32_e32 v4, vcc_lo, 0, v4, vcc_lo
	v_add_co_u32 v5, vcc_lo, 0x80, v5
	v_add_co_ci_u32_e32 v6, vcc_lo, 0, v6, vcc_lo
	s_add_i32 s17, s17, 16
	s_waitcnt lgkmcnt(10)
	v_mul_f32_e32 v2, v21, v17
	v_dual_mul_f32 v17, v20, v17 :: v_dual_mul_f32 v64, v23, v19
	v_mul_f32_e32 v19, v22, v19
	s_waitcnt lgkmcnt(8)
	v_dual_mul_f32 v65, v25, v29 :: v_dual_mul_f32 v66, v27, v31
	v_fma_f32 v2, v20, v16, -v2
	v_mul_f32_e32 v31, v26, v31
	s_waitcnt lgkmcnt(6)
	v_dual_mul_f32 v29, v24, v29 :: v_dual_mul_f32 v20, v39, v35
	s_delay_alu instid0(VALU_DEP_3) | instskip(SKIP_2) | instid1(VALU_DEP_4)
	v_dual_mul_f32 v67, v37, v33 :: v_dual_add_f32 v2, v15, v2
	v_fmac_f32_e32 v17, v21, v16
	v_fma_f32 v21, v22, v18, -v64
	v_dual_fmac_f32 v29, v25, v28 :: v_dual_mul_f32 v16, v38, v35
	v_fma_f32 v20, v38, v34, -v20
	s_delay_alu instid0(VALU_DEP_3)
	v_dual_fmac_f32 v31, v27, v30 :: v_dual_add_f32 v2, v2, v21
	v_dual_fmac_f32 v19, v23, v18 :: v_dual_add_f32 v14, v14, v17
	v_fma_f32 v17, v24, v28, -v65
	v_mul_f32_e32 v33, v36, v33
	s_waitcnt lgkmcnt(4)
	v_mul_f32_e32 v18, v40, v45
	v_fma_f32 v21, v36, v32, -v67
	v_add_f32_e32 v14, v14, v19
	v_fma_f32 v19, v26, v30, -v66
	v_add_f32_e32 v2, v2, v17
	v_mul_f32_e32 v15, v41, v45
	s_delay_alu instid0(VALU_DEP_4) | instskip(NEXT) | instid1(VALU_DEP_3)
	v_dual_mul_f32 v17, v43, v47 :: v_dual_add_f32 v14, v14, v29
	v_dual_fmac_f32 v33, v37, v32 :: v_dual_add_f32 v2, v2, v19
	v_dual_mul_f32 v19, v42, v47 :: v_dual_fmac_f32 v16, v39, v34
	s_delay_alu instid0(VALU_DEP_3) | instskip(SKIP_1) | instid1(VALU_DEP_3)
	v_add_f32_e32 v14, v14, v31
	v_fma_f32 v15, v40, v44, -v15
	v_dual_add_f32 v2, v2, v21 :: v_dual_fmac_f32 v19, v43, v46
	s_waitcnt lgkmcnt(1)
	v_mul_f32_e32 v21, v57, v49
	v_dual_fmac_f32 v18, v41, v44 :: v_dual_mul_f32 v25, v58, v51
	v_add_f32_e32 v14, v14, v33
	v_add_f32_e32 v2, v2, v20
	v_fma_f32 v20, v42, v46, -v17
	v_fma_f32 v21, v56, v48, -v21
	s_delay_alu instid0(VALU_DEP_4)
	v_dual_fmac_f32 v25, v59, v50 :: v_dual_add_f32 v14, v14, v16
	s_waitcnt lgkmcnt(0)
	v_mul_f32_e32 v33, v63, v55
	v_add_f32_e32 v2, v2, v15
	v_mul_f32_e32 v34, v62, v55
	s_cmp_ge_i32 s17, s19
	v_add_f32_e32 v18, v14, v18
	v_mul_f32_e32 v22, v56, v49
	v_add_f32_e32 v2, v2, v20
	ds_load_2addr_b64 v[14:17], v10 offset0:192 offset1:208
	v_dual_fmac_f32 v34, v63, v54 :: v_dual_add_f32 v23, v18, v19
	v_add_f32_e32 v2, v2, v21
	ds_load_b128 v[18:21], v11 offset:96
	v_fmac_f32_e32 v22, v57, v48
	s_delay_alu instid0(VALU_DEP_1) | instskip(NEXT) | instid1(VALU_DEP_1)
	v_add_f32_e32 v22, v23, v22
	v_dual_mul_f32 v24, v59, v51 :: v_dual_add_f32 v31, v22, v25
	s_delay_alu instid0(VALU_DEP_1) | instskip(SKIP_1) | instid1(VALU_DEP_2)
	v_fma_f32 v23, v58, v50, -v24
	v_mul_f32_e32 v24, v61, v53
	v_add_f32_e32 v2, v2, v23
	s_delay_alu instid0(VALU_DEP_2)
	v_fma_f32 v32, v60, v52, -v24
	ds_load_2addr_b64 v[22:25], v10 offset0:224 offset1:240
	ds_load_b128 v[26:29], v11 offset:112
	v_mul_f32_e32 v30, v60, v53
	s_waitcnt lgkmcnt(0)
	s_barrier
	v_add_f32_e32 v2, v2, v32
	v_mul_f32_e32 v32, v19, v15
	v_dual_fmac_f32 v30, v61, v52 :: v_dual_mul_f32 v15, v18, v15
	buffer_gl0_inv
	v_fma_f32 v18, v18, v14, -v32
	v_add_f32_e32 v30, v31, v30
	v_fma_f32 v31, v62, v54, -v33
	v_dual_fmac_f32 v15, v19, v14 :: v_dual_mul_f32 v14, v21, v17
	s_delay_alu instid0(VALU_DEP_3) | instskip(NEXT) | instid1(VALU_DEP_3)
	v_dual_mul_f32 v17, v20, v17 :: v_dual_add_f32 v30, v30, v34
	v_add_f32_e32 v2, v2, v31
	s_delay_alu instid0(VALU_DEP_3) | instskip(NEXT) | instid1(VALU_DEP_3)
	v_fma_f32 v14, v20, v16, -v14
	v_fmac_f32_e32 v17, v21, v16
	s_delay_alu instid0(VALU_DEP_4) | instskip(NEXT) | instid1(VALU_DEP_4)
	v_add_f32_e32 v15, v30, v15
	v_add_f32_e32 v2, v2, v18
	v_mul_f32_e32 v16, v27, v23
	v_mul_f32_e32 v18, v26, v23
	s_delay_alu instid0(VALU_DEP_3) | instskip(SKIP_1) | instid1(VALU_DEP_4)
	v_add_f32_e32 v2, v2, v14
	v_add_f32_e32 v14, v15, v17
	v_fma_f32 v15, v26, v22, -v16
	s_delay_alu instid0(VALU_DEP_4) | instskip(SKIP_1) | instid1(VALU_DEP_3)
	v_fmac_f32_e32 v18, v27, v22
	v_mul_f32_e32 v16, v29, v25
	v_dual_mul_f32 v17, v28, v25 :: v_dual_add_f32 v2, v2, v15
	s_delay_alu instid0(VALU_DEP_3) | instskip(NEXT) | instid1(VALU_DEP_3)
	v_add_f32_e32 v14, v14, v18
	v_fma_f32 v15, v28, v24, -v16
	s_delay_alu instid0(VALU_DEP_3) | instskip(NEXT) | instid1(VALU_DEP_2)
	v_fmac_f32_e32 v17, v29, v24
	v_add_f32_e32 v15, v2, v15
	s_delay_alu instid0(VALU_DEP_2)
	v_add_f32_e32 v14, v14, v17
	s_cbranch_scc1 .LBB672_11
.LBB672_3:                              ; =>This Inner Loop Header: Depth=1
	v_add_nc_u32_e32 v2, s17, v9
	s_delay_alu instid0(VALU_DEP_1) | instskip(SKIP_1) | instid1(SALU_CYCLE_1)
	v_cmp_le_i32_e32 vcc_lo, s19, v2
	s_or_b32 s10, s3, vcc_lo
	s_and_saveexec_b32 s11, s10
	s_delay_alu instid0(SALU_CYCLE_1)
	s_xor_b32 s10, exec_lo, s11
	s_cbranch_execz .LBB672_5
; %bb.4:                                ;   in Loop: Header=BB672_3 Depth=1
	v_mov_b32_e32 v2, v1
	ds_store_b64 v12, v[1:2]
.LBB672_5:                              ;   in Loop: Header=BB672_3 Depth=1
	s_and_not1_saveexec_b32 s10, s10
	s_cbranch_execz .LBB672_7
; %bb.6:                                ;   in Loop: Header=BB672_3 Depth=1
	global_load_b64 v[16:17], v[5:6], off
	s_waitcnt vmcnt(0)
	ds_store_b64 v12, v[16:17]
.LBB672_7:                              ;   in Loop: Header=BB672_3 Depth=1
	s_or_b32 exec_lo, exec_lo, s10
	v_add_nc_u32_e32 v2, s17, v8
	s_delay_alu instid0(VALU_DEP_1) | instskip(SKIP_1) | instid1(SALU_CYCLE_1)
	v_cmp_le_i32_e32 vcc_lo, s19, v2
	s_or_b32 s10, s2, vcc_lo
	s_and_saveexec_b32 s11, s10
	s_delay_alu instid0(SALU_CYCLE_1)
	s_xor_b32 s10, exec_lo, s11
	s_cbranch_execz .LBB672_9
; %bb.8:                                ;   in Loop: Header=BB672_3 Depth=1
	v_mov_b32_e32 v2, v1
	ds_store_b64 v13, v[1:2]
.LBB672_9:                              ;   in Loop: Header=BB672_3 Depth=1
	s_and_not1_saveexec_b32 s10, s10
	s_cbranch_execz .LBB672_2
; %bb.10:                               ;   in Loop: Header=BB672_3 Depth=1
	global_load_b64 v[16:17], v[3:4], off
	s_waitcnt vmcnt(0)
	ds_store_b64 v13, v[16:17]
	s_branch .LBB672_2
.LBB672_11:
	v_cmp_le_i32_e32 vcc_lo, v7, v0
	v_cmp_gt_i32_e64 s2, s18, v0
	s_delay_alu instid0(VALU_DEP_1) | instskip(NEXT) | instid1(SALU_CYCLE_1)
	s_and_b32 s2, vcc_lo, s2
	s_and_saveexec_b32 s3, s2
	s_cbranch_execz .LBB672_13
; %bb.12:
	s_load_b32 s0, s[0:1], 0x50
	v_ashrrev_i32_e32 v1, 31, v0
	s_delay_alu instid0(VALU_DEP_1) | instskip(SKIP_2) | instid1(VALU_DEP_1)
	v_lshlrev_b64 v[0:1], 3, v[0:1]
	s_waitcnt lgkmcnt(0)
	v_mad_i64_i32 v[2:3], null, s0, v7, 0
	v_lshlrev_b64 v[2:3], 3, v[2:3]
	s_delay_alu instid0(VALU_DEP_1) | instskip(NEXT) | instid1(VALU_DEP_2)
	v_add_co_u32 v2, vcc_lo, s6, v2
	v_add_co_ci_u32_e32 v3, vcc_lo, s7, v3, vcc_lo
	s_delay_alu instid0(VALU_DEP_2) | instskip(NEXT) | instid1(VALU_DEP_2)
	v_add_co_u32 v0, vcc_lo, v2, v0
	v_add_co_ci_u32_e32 v1, vcc_lo, v3, v1, vcc_lo
	global_load_b64 v[2:3], v[0:1], off
	v_mul_f32_e32 v4, s9, v14
	s_waitcnt vmcnt(0)
	v_dual_mul_f32 v5, s8, v14 :: v_dual_mul_f32 v6, s5, v3
	v_mul_f32_e32 v3, s4, v3
	s_delay_alu instid0(VALU_DEP_3) | instskip(NEXT) | instid1(VALU_DEP_3)
	v_fma_f32 v4, v15, s8, -v4
	v_fma_f32 v6, v2, s4, -v6
	s_delay_alu instid0(VALU_DEP_4) | instskip(NEXT) | instid1(VALU_DEP_4)
	v_fmac_f32_e32 v5, s9, v15
	v_fmac_f32_e32 v3, s5, v2
	s_delay_alu instid0(VALU_DEP_1)
	v_dual_add_f32 v2, v4, v6 :: v_dual_add_f32 v3, v5, v3
	global_store_b64 v[0:1], v[2:3], off
.LBB672_13:
	s_nop 0
	s_sendmsg sendmsg(MSG_DEALLOC_VGPRS)
	s_endpgm
	.section	.rodata,"a",@progbits
	.p2align	6, 0x0
	.amdhsa_kernel _ZL32rocblas_syrkx_herkx_small_kernelIi19rocblas_complex_numIfELi16ELb0ELb0ELc84ELc76EKPKS1_KPS1_EviT_T0_PT6_S7_lSA_S7_lS8_PT7_S7_li
		.amdhsa_group_segment_fixed_size 4096
		.amdhsa_private_segment_fixed_size 0
		.amdhsa_kernarg_size 100
		.amdhsa_user_sgpr_count 13
		.amdhsa_user_sgpr_dispatch_ptr 0
		.amdhsa_user_sgpr_queue_ptr 0
		.amdhsa_user_sgpr_kernarg_segment_ptr 1
		.amdhsa_user_sgpr_dispatch_id 0
		.amdhsa_user_sgpr_private_segment_size 0
		.amdhsa_wavefront_size32 1
		.amdhsa_uses_dynamic_stack 0
		.amdhsa_enable_private_segment 0
		.amdhsa_system_sgpr_workgroup_id_x 1
		.amdhsa_system_sgpr_workgroup_id_y 1
		.amdhsa_system_sgpr_workgroup_id_z 1
		.amdhsa_system_sgpr_workgroup_info 0
		.amdhsa_system_vgpr_workitem_id 1
		.amdhsa_next_free_vgpr 68
		.amdhsa_next_free_sgpr 22
		.amdhsa_reserve_vcc 1
		.amdhsa_float_round_mode_32 0
		.amdhsa_float_round_mode_16_64 0
		.amdhsa_float_denorm_mode_32 3
		.amdhsa_float_denorm_mode_16_64 3
		.amdhsa_dx10_clamp 1
		.amdhsa_ieee_mode 1
		.amdhsa_fp16_overflow 0
		.amdhsa_workgroup_processor_mode 1
		.amdhsa_memory_ordered 1
		.amdhsa_forward_progress 0
		.amdhsa_shared_vgpr_count 0
		.amdhsa_exception_fp_ieee_invalid_op 0
		.amdhsa_exception_fp_denorm_src 0
		.amdhsa_exception_fp_ieee_div_zero 0
		.amdhsa_exception_fp_ieee_overflow 0
		.amdhsa_exception_fp_ieee_underflow 0
		.amdhsa_exception_fp_ieee_inexact 0
		.amdhsa_exception_int_div_zero 0
	.end_amdhsa_kernel
	.section	.text._ZL32rocblas_syrkx_herkx_small_kernelIi19rocblas_complex_numIfELi16ELb0ELb0ELc84ELc76EKPKS1_KPS1_EviT_T0_PT6_S7_lSA_S7_lS8_PT7_S7_li,"axG",@progbits,_ZL32rocblas_syrkx_herkx_small_kernelIi19rocblas_complex_numIfELi16ELb0ELb0ELc84ELc76EKPKS1_KPS1_EviT_T0_PT6_S7_lSA_S7_lS8_PT7_S7_li,comdat
.Lfunc_end672:
	.size	_ZL32rocblas_syrkx_herkx_small_kernelIi19rocblas_complex_numIfELi16ELb0ELb0ELc84ELc76EKPKS1_KPS1_EviT_T0_PT6_S7_lSA_S7_lS8_PT7_S7_li, .Lfunc_end672-_ZL32rocblas_syrkx_herkx_small_kernelIi19rocblas_complex_numIfELi16ELb0ELb0ELc84ELc76EKPKS1_KPS1_EviT_T0_PT6_S7_lSA_S7_lS8_PT7_S7_li
                                        ; -- End function
	.section	.AMDGPU.csdata,"",@progbits
; Kernel info:
; codeLenInByte = 1452
; NumSgprs: 24
; NumVgprs: 68
; ScratchSize: 0
; MemoryBound: 1
; FloatMode: 240
; IeeeMode: 1
; LDSByteSize: 4096 bytes/workgroup (compile time only)
; SGPRBlocks: 2
; VGPRBlocks: 8
; NumSGPRsForWavesPerEU: 24
; NumVGPRsForWavesPerEU: 68
; Occupancy: 16
; WaveLimiterHint : 1
; COMPUTE_PGM_RSRC2:SCRATCH_EN: 0
; COMPUTE_PGM_RSRC2:USER_SGPR: 13
; COMPUTE_PGM_RSRC2:TRAP_HANDLER: 0
; COMPUTE_PGM_RSRC2:TGID_X_EN: 1
; COMPUTE_PGM_RSRC2:TGID_Y_EN: 1
; COMPUTE_PGM_RSRC2:TGID_Z_EN: 1
; COMPUTE_PGM_RSRC2:TIDIG_COMP_CNT: 1
	.section	.text._ZL32rocblas_syrkx_herkx_small_kernelIi19rocblas_complex_numIfELi16ELb0ELb0ELc67ELc76EKPKS1_KPS1_EviT_T0_PT6_S7_lSA_S7_lS8_PT7_S7_li,"axG",@progbits,_ZL32rocblas_syrkx_herkx_small_kernelIi19rocblas_complex_numIfELi16ELb0ELb0ELc67ELc76EKPKS1_KPS1_EviT_T0_PT6_S7_lSA_S7_lS8_PT7_S7_li,comdat
	.globl	_ZL32rocblas_syrkx_herkx_small_kernelIi19rocblas_complex_numIfELi16ELb0ELb0ELc67ELc76EKPKS1_KPS1_EviT_T0_PT6_S7_lSA_S7_lS8_PT7_S7_li ; -- Begin function _ZL32rocblas_syrkx_herkx_small_kernelIi19rocblas_complex_numIfELi16ELb0ELb0ELc67ELc76EKPKS1_KPS1_EviT_T0_PT6_S7_lSA_S7_lS8_PT7_S7_li
	.p2align	8
	.type	_ZL32rocblas_syrkx_herkx_small_kernelIi19rocblas_complex_numIfELi16ELb0ELb0ELc67ELc76EKPKS1_KPS1_EviT_T0_PT6_S7_lSA_S7_lS8_PT7_S7_li,@function
_ZL32rocblas_syrkx_herkx_small_kernelIi19rocblas_complex_numIfELi16ELb0ELb0ELc67ELc76EKPKS1_KPS1_EviT_T0_PT6_S7_lSA_S7_lS8_PT7_S7_li: ; @_ZL32rocblas_syrkx_herkx_small_kernelIi19rocblas_complex_numIfELi16ELb0ELb0ELc67ELc76EKPKS1_KPS1_EviT_T0_PT6_S7_lSA_S7_lS8_PT7_S7_li
; %bb.0:
	s_clause 0x1
	s_load_b128 s[4:7], s[0:1], 0x40
	s_load_b64 s[18:19], s[0:1], 0x0
	s_mov_b32 s16, s15
	s_mov_b32 s17, 0
	v_dual_mov_b32 v17, 0 :: v_dual_and_b32 v10, 0x3ff, v0
	s_lshl_b64 s[20:21], s[16:17], 3
	v_bfe_u32 v11, v0, 10, 10
	v_mov_b32_e32 v16, 0
	s_delay_alu instid0(VALU_DEP_3) | instskip(NEXT) | instid1(VALU_DEP_3)
	v_lshl_add_u32 v0, s13, 4, v10
	v_lshl_add_u32 v9, s14, 4, v11
	s_waitcnt lgkmcnt(0)
	s_add_u32 s2, s6, s20
	s_addc_u32 s3, s7, s21
	s_load_b128 s[8:11], s[0:1], 0x8
	s_load_b64 s[6:7], s[2:3], 0x0
	v_cmp_gt_i32_e32 vcc_lo, s18, v0
	s_cmp_lt_i32 s19, 1
	s_cbranch_scc1 .LBB673_9
; %bb.1:
	s_clause 0x2
	s_load_b64 s[12:13], s[0:1], 0x28
	s_load_b32 s3, s[0:1], 0x18
	s_load_b32 s14, s[0:1], 0x30
	v_dual_mov_b32 v16, 0 :: v_dual_lshlrev_b32 v7, 3, v11
	v_dual_mov_b32 v17, 0 :: v_dual_lshlrev_b32 v12, 3, v10
	;; [unrolled: 1-line block ×3, first 2 shown]
	v_cmp_gt_i32_e64 s2, s18, v9
	s_delay_alu instid0(VALU_DEP_2) | instskip(NEXT) | instid1(VALU_DEP_4)
	v_add_nc_u32_e32 v13, 0x800, v6
	v_add_nc_u32_e32 v14, v12, v6
	s_delay_alu instid0(VALU_DEP_2)
	v_add_nc_u32_e32 v15, v13, v12
	s_waitcnt lgkmcnt(0)
	s_add_u32 s12, s12, s20
	s_addc_u32 s13, s13, s21
	s_add_u32 s10, s10, s20
	s_addc_u32 s11, s11, s21
	v_mad_i64_i32 v[2:3], null, s3, v0, 0
	s_load_b64 s[10:11], s[10:11], 0x0
	v_mad_i64_i32 v[4:5], null, s14, v9, 0
	s_load_b64 s[12:13], s[12:13], 0x0
	s_delay_alu instid0(VALU_DEP_2) | instskip(NEXT) | instid1(VALU_DEP_2)
	v_lshlrev_b64 v[2:3], 3, v[2:3]
	v_lshlrev_b64 v[4:5], 3, v[4:5]
	s_delay_alu instid0(VALU_DEP_2) | instskip(NEXT) | instid1(VALU_DEP_1)
	v_add_co_u32 v2, s3, v2, v7
	v_add_co_ci_u32_e64 v3, s3, 0, v3, s3
	s_delay_alu instid0(VALU_DEP_3) | instskip(NEXT) | instid1(VALU_DEP_1)
	v_add_co_u32 v4, s3, v4, v12
	v_add_co_ci_u32_e64 v5, s3, 0, v5, s3
	s_waitcnt lgkmcnt(0)
	v_add_co_u32 v2, s3, v2, s10
	s_delay_alu instid0(VALU_DEP_1) | instskip(SKIP_1) | instid1(VALU_DEP_1)
	v_add_co_ci_u32_e64 v6, s3, s11, v3, s3
	v_add_co_u32 v3, s3, s12, v4
	v_add_co_ci_u32_e64 v4, s3, s13, v5, s3
	s_delay_alu instid0(VALU_DEP_4) | instskip(NEXT) | instid1(VALU_DEP_1)
	v_add_co_u32 v5, s3, v2, 4
	v_add_co_ci_u32_e64 v6, s3, 0, v6, s3
	s_xor_b32 s3, s2, -1
	s_branch .LBB673_3
.LBB673_2:                              ;   in Loop: Header=BB673_3 Depth=1
	s_or_b32 exec_lo, exec_lo, s2
	s_waitcnt lgkmcnt(0)
	s_barrier
	buffer_gl0_inv
	ds_load_2addr_b64 v[18:21], v12 offset1:16
	ds_load_b128 v[22:25], v13
	ds_load_b128 v[26:29], v13 offset:16
	ds_load_2addr_b64 v[30:33], v12 offset0:32 offset1:48
	ds_load_2addr_b64 v[34:37], v12 offset0:64 offset1:80
	ds_load_b128 v[38:41], v13 offset:32
	ds_load_b128 v[42:45], v13 offset:48
	ds_load_2addr_b64 v[46:49], v12 offset0:96 offset1:112
	ds_load_2addr_b64 v[50:53], v12 offset0:128 offset1:144
	;; [unrolled: 1-line block ×3, first 2 shown]
	ds_load_b128 v[58:61], v13 offset:64
	ds_load_b128 v[62:65], v13 offset:80
	v_add_co_u32 v3, s2, 0x80, v3
	s_delay_alu instid0(VALU_DEP_1) | instskip(SKIP_1) | instid1(VALU_DEP_1)
	v_add_co_ci_u32_e64 v4, s2, 0, v4, s2
	v_add_co_u32 v5, s2, 0x80, v5
	v_add_co_ci_u32_e64 v6, s2, 0, v6, s2
	s_add_i32 s17, s17, 16
	s_waitcnt lgkmcnt(10)
	v_mul_f32_e32 v2, v23, v19
	v_dual_mul_f32 v7, v22, v19 :: v_dual_mul_f32 v8, v25, v21
	v_mul_f32_e32 v19, v24, v21
	s_waitcnt lgkmcnt(8)
	v_dual_mul_f32 v21, v27, v31 :: v_dual_mul_f32 v66, v29, v33
	v_fma_f32 v2, v22, v18, -v2
	v_mul_f32_e32 v33, v28, v33
	v_fma_f32 v8, v24, v20, -v8
	s_waitcnt lgkmcnt(6)
	v_mul_f32_e32 v67, v39, v35
	v_fmac_f32_e32 v19, v25, v20
	v_add_f32_e32 v2, v17, v2
	v_fmac_f32_e32 v7, v23, v18
	v_fma_f32 v17, v26, v30, -v21
	v_mul_f32_e32 v18, v40, v37
	v_fma_f32 v20, v38, v34, -v67
	s_delay_alu instid0(VALU_DEP_4) | instskip(SKIP_3) | instid1(VALU_DEP_3)
	v_dual_add_f32 v2, v2, v8 :: v_dual_add_f32 v7, v16, v7
	s_waitcnt lgkmcnt(4)
	v_mul_f32_e32 v16, v43, v47
	v_dual_mul_f32 v31, v26, v31 :: v_dual_mul_f32 v22, v41, v37
	v_dual_add_f32 v2, v2, v17 :: v_dual_add_f32 v7, v7, v19
	v_fma_f32 v19, v28, v32, -v66
	v_fmac_f32_e32 v33, v29, v32
	v_dual_mul_f32 v35, v38, v35 :: v_dual_fmac_f32 v18, v41, v36
	v_dual_fmac_f32 v31, v27, v30 :: v_dual_mul_f32 v8, v42, v47
	s_delay_alu instid0(VALU_DEP_4)
	v_add_f32_e32 v2, v2, v19
	v_fma_f32 v19, v40, v36, -v22
	v_fma_f32 v16, v42, v46, -v16
	v_mul_f32_e32 v17, v45, v49
	v_dual_mul_f32 v21, v44, v49 :: v_dual_fmac_f32 v8, v43, v46
	v_dual_add_f32 v2, v2, v20 :: v_dual_fmac_f32 v35, v39, v34
	s_waitcnt lgkmcnt(1)
	v_mul_f32_e32 v20, v59, v51
	v_mul_f32_e32 v24, v58, v51
	v_fma_f32 v22, v44, v48, -v17
	v_add_f32_e32 v2, v2, v19
	v_add_f32_e32 v7, v7, v31
	s_delay_alu instid0(VALU_DEP_4) | instskip(NEXT) | instid1(VALU_DEP_3)
	v_dual_fmac_f32 v21, v45, v48 :: v_dual_fmac_f32 v24, v59, v50
	v_dual_mul_f32 v25, v61, v53 :: v_dual_add_f32 v2, v2, v16
	s_delay_alu instid0(VALU_DEP_3)
	v_add_f32_e32 v7, v7, v33
	v_mul_f32_e32 v26, v60, v53
	s_cmp_ge_i32 s17, s19
	s_waitcnt lgkmcnt(0)
	v_mul_f32_e32 v32, v62, v55
	v_dual_add_f32 v2, v2, v22 :: v_dual_add_f32 v7, v7, v35
	v_mul_f32_e32 v33, v65, v57
	v_mul_f32_e32 v34, v64, v57
	s_delay_alu instid0(VALU_DEP_4) | instskip(NEXT) | instid1(VALU_DEP_4)
	v_fmac_f32_e32 v32, v63, v54
	v_add_f32_e32 v7, v7, v18
	ds_load_2addr_b64 v[16:19], v12 offset0:192 offset1:208
	v_add_f32_e32 v7, v7, v8
	v_fma_f32 v8, v58, v50, -v20
	s_delay_alu instid0(VALU_DEP_1)
	v_dual_add_f32 v7, v7, v21 :: v_dual_add_f32 v2, v2, v8
	ds_load_b128 v[20:23], v13 offset:96
	v_fmac_f32_e32 v26, v61, v52
	v_fmac_f32_e32 v34, v65, v56
	v_add_f32_e32 v7, v7, v24
	v_mul_f32_e32 v24, v63, v55
	v_fma_f32 v8, v60, v52, -v25
	s_delay_alu instid0(VALU_DEP_1) | instskip(NEXT) | instid1(VALU_DEP_3)
	v_dual_add_f32 v7, v7, v26 :: v_dual_add_f32 v2, v2, v8
	v_fma_f32 v8, v62, v54, -v24
	ds_load_2addr_b64 v[24:27], v12 offset0:224 offset1:240
	ds_load_b128 v[28:31], v13 offset:112
	v_add_f32_e32 v7, v7, v32
	s_waitcnt lgkmcnt(0)
	s_barrier
	buffer_gl0_inv
	v_mul_f32_e32 v32, v21, v17
	v_dual_add_f32 v2, v2, v8 :: v_dual_add_f32 v7, v7, v34
	v_fma_f32 v8, v64, v56, -v33
	v_mul_f32_e32 v17, v20, v17
	s_delay_alu instid0(VALU_DEP_1) | instskip(NEXT) | instid1(VALU_DEP_3)
	v_fmac_f32_e32 v17, v21, v16
	v_add_f32_e32 v2, v2, v8
	v_fma_f32 v8, v20, v16, -v32
	v_mul_f32_e32 v16, v23, v19
	v_mul_f32_e32 v19, v22, v19
	s_delay_alu instid0(VALU_DEP_3) | instskip(NEXT) | instid1(VALU_DEP_3)
	v_dual_add_f32 v7, v7, v17 :: v_dual_add_f32 v2, v2, v8
	v_fma_f32 v8, v22, v18, -v16
	s_delay_alu instid0(VALU_DEP_3) | instskip(NEXT) | instid1(VALU_DEP_2)
	v_dual_fmac_f32 v19, v23, v18 :: v_dual_mul_f32 v16, v29, v25
	v_dual_mul_f32 v17, v28, v25 :: v_dual_add_f32 v2, v2, v8
	s_delay_alu instid0(VALU_DEP_2) | instskip(NEXT) | instid1(VALU_DEP_3)
	v_add_f32_e32 v7, v7, v19
	v_fma_f32 v8, v28, v24, -v16
	s_delay_alu instid0(VALU_DEP_3) | instskip(SKIP_1) | instid1(VALU_DEP_2)
	v_dual_fmac_f32 v17, v29, v24 :: v_dual_mul_f32 v16, v31, v27
	v_mul_f32_e32 v18, v30, v27
	v_dual_add_f32 v2, v2, v8 :: v_dual_add_f32 v7, v7, v17
	s_delay_alu instid0(VALU_DEP_3) | instskip(NEXT) | instid1(VALU_DEP_1)
	v_fma_f32 v8, v30, v26, -v16
	v_dual_fmac_f32 v18, v31, v26 :: v_dual_add_f32 v17, v2, v8
	s_delay_alu instid0(VALU_DEP_1)
	v_add_f32_e32 v16, v7, v18
	s_cbranch_scc1 .LBB673_9
.LBB673_3:                              ; =>This Inner Loop Header: Depth=1
	v_dual_mov_b32 v7, 0 :: v_dual_add_nc_u32 v2, s17, v11
	v_mov_b32_e32 v8, 0
	s_delay_alu instid0(VALU_DEP_2) | instskip(NEXT) | instid1(VALU_DEP_1)
	v_cmp_gt_i32_e64 s2, s19, v2
	s_and_b32 s10, vcc_lo, s2
	s_delay_alu instid0(SALU_CYCLE_1)
	s_and_saveexec_b32 s2, s10
	s_cbranch_execz .LBB673_5
; %bb.4:                                ;   in Loop: Header=BB673_3 Depth=1
	global_load_b64 v[7:8], v[5:6], off offset:-4
.LBB673_5:                              ;   in Loop: Header=BB673_3 Depth=1
	s_or_b32 exec_lo, exec_lo, s2
	v_add_nc_u32_e32 v2, s17, v10
	s_waitcnt vmcnt(0)
	ds_store_b64 v14, v[7:8]
	v_cmp_le_i32_e64 s2, s19, v2
	s_delay_alu instid0(VALU_DEP_1) | instskip(NEXT) | instid1(SALU_CYCLE_1)
	s_or_b32 s2, s3, s2
	s_and_saveexec_b32 s10, s2
	s_delay_alu instid0(SALU_CYCLE_1)
	s_xor_b32 s2, exec_lo, s10
	s_cbranch_execz .LBB673_7
; %bb.6:                                ;   in Loop: Header=BB673_3 Depth=1
	v_mov_b32_e32 v2, v1
	ds_store_b64 v15, v[1:2]
.LBB673_7:                              ;   in Loop: Header=BB673_3 Depth=1
	s_and_not1_saveexec_b32 s2, s2
	s_cbranch_execz .LBB673_2
; %bb.8:                                ;   in Loop: Header=BB673_3 Depth=1
	global_load_b64 v[7:8], v[3:4], off
	s_waitcnt vmcnt(0)
	ds_store_b64 v15, v[7:8]
	s_branch .LBB673_2
.LBB673_9:
	v_cmp_le_i32_e32 vcc_lo, v9, v0
	v_cmp_gt_i32_e64 s2, s18, v0
	s_delay_alu instid0(VALU_DEP_1) | instskip(NEXT) | instid1(SALU_CYCLE_1)
	s_and_b32 s2, vcc_lo, s2
	s_and_saveexec_b32 s3, s2
	s_cbranch_execz .LBB673_11
; %bb.10:
	s_load_b32 s0, s[0:1], 0x50
	v_ashrrev_i32_e32 v1, 31, v0
	s_delay_alu instid0(VALU_DEP_1) | instskip(SKIP_2) | instid1(VALU_DEP_1)
	v_lshlrev_b64 v[0:1], 3, v[0:1]
	s_waitcnt lgkmcnt(0)
	v_mad_i64_i32 v[2:3], null, s0, v9, 0
	v_lshlrev_b64 v[2:3], 3, v[2:3]
	s_delay_alu instid0(VALU_DEP_1) | instskip(NEXT) | instid1(VALU_DEP_2)
	v_add_co_u32 v2, vcc_lo, s6, v2
	v_add_co_ci_u32_e32 v3, vcc_lo, s7, v3, vcc_lo
	s_delay_alu instid0(VALU_DEP_2) | instskip(NEXT) | instid1(VALU_DEP_2)
	v_add_co_u32 v0, vcc_lo, v2, v0
	v_add_co_ci_u32_e32 v1, vcc_lo, v3, v1, vcc_lo
	global_load_b64 v[2:3], v[0:1], off
	v_mul_f32_e32 v4, s9, v16
	s_waitcnt vmcnt(0)
	v_dual_mul_f32 v5, s8, v16 :: v_dual_mul_f32 v6, s5, v3
	v_mul_f32_e32 v3, s4, v3
	s_delay_alu instid0(VALU_DEP_3) | instskip(NEXT) | instid1(VALU_DEP_3)
	v_fma_f32 v4, v17, s8, -v4
	v_fma_f32 v6, v2, s4, -v6
	s_delay_alu instid0(VALU_DEP_4) | instskip(NEXT) | instid1(VALU_DEP_4)
	v_fmac_f32_e32 v5, s9, v17
	v_fmac_f32_e32 v3, s5, v2
	s_delay_alu instid0(VALU_DEP_1)
	v_dual_add_f32 v2, v4, v6 :: v_dual_add_f32 v3, v5, v3
	global_store_b64 v[0:1], v[2:3], off
.LBB673_11:
	s_nop 0
	s_sendmsg sendmsg(MSG_DEALLOC_VGPRS)
	s_endpgm
	.section	.rodata,"a",@progbits
	.p2align	6, 0x0
	.amdhsa_kernel _ZL32rocblas_syrkx_herkx_small_kernelIi19rocblas_complex_numIfELi16ELb0ELb0ELc67ELc76EKPKS1_KPS1_EviT_T0_PT6_S7_lSA_S7_lS8_PT7_S7_li
		.amdhsa_group_segment_fixed_size 4096
		.amdhsa_private_segment_fixed_size 0
		.amdhsa_kernarg_size 100
		.amdhsa_user_sgpr_count 13
		.amdhsa_user_sgpr_dispatch_ptr 0
		.amdhsa_user_sgpr_queue_ptr 0
		.amdhsa_user_sgpr_kernarg_segment_ptr 1
		.amdhsa_user_sgpr_dispatch_id 0
		.amdhsa_user_sgpr_private_segment_size 0
		.amdhsa_wavefront_size32 1
		.amdhsa_uses_dynamic_stack 0
		.amdhsa_enable_private_segment 0
		.amdhsa_system_sgpr_workgroup_id_x 1
		.amdhsa_system_sgpr_workgroup_id_y 1
		.amdhsa_system_sgpr_workgroup_id_z 1
		.amdhsa_system_sgpr_workgroup_info 0
		.amdhsa_system_vgpr_workitem_id 1
		.amdhsa_next_free_vgpr 68
		.amdhsa_next_free_sgpr 22
		.amdhsa_reserve_vcc 1
		.amdhsa_float_round_mode_32 0
		.amdhsa_float_round_mode_16_64 0
		.amdhsa_float_denorm_mode_32 3
		.amdhsa_float_denorm_mode_16_64 3
		.amdhsa_dx10_clamp 1
		.amdhsa_ieee_mode 1
		.amdhsa_fp16_overflow 0
		.amdhsa_workgroup_processor_mode 1
		.amdhsa_memory_ordered 1
		.amdhsa_forward_progress 0
		.amdhsa_shared_vgpr_count 0
		.amdhsa_exception_fp_ieee_invalid_op 0
		.amdhsa_exception_fp_denorm_src 0
		.amdhsa_exception_fp_ieee_div_zero 0
		.amdhsa_exception_fp_ieee_overflow 0
		.amdhsa_exception_fp_ieee_underflow 0
		.amdhsa_exception_fp_ieee_inexact 0
		.amdhsa_exception_int_div_zero 0
	.end_amdhsa_kernel
	.section	.text._ZL32rocblas_syrkx_herkx_small_kernelIi19rocblas_complex_numIfELi16ELb0ELb0ELc67ELc76EKPKS1_KPS1_EviT_T0_PT6_S7_lSA_S7_lS8_PT7_S7_li,"axG",@progbits,_ZL32rocblas_syrkx_herkx_small_kernelIi19rocblas_complex_numIfELi16ELb0ELb0ELc67ELc76EKPKS1_KPS1_EviT_T0_PT6_S7_lSA_S7_lS8_PT7_S7_li,comdat
.Lfunc_end673:
	.size	_ZL32rocblas_syrkx_herkx_small_kernelIi19rocblas_complex_numIfELi16ELb0ELb0ELc67ELc76EKPKS1_KPS1_EviT_T0_PT6_S7_lSA_S7_lS8_PT7_S7_li, .Lfunc_end673-_ZL32rocblas_syrkx_herkx_small_kernelIi19rocblas_complex_numIfELi16ELb0ELb0ELc67ELc76EKPKS1_KPS1_EviT_T0_PT6_S7_lSA_S7_lS8_PT7_S7_li
                                        ; -- End function
	.section	.AMDGPU.csdata,"",@progbits
; Kernel info:
; codeLenInByte = 1468
; NumSgprs: 24
; NumVgprs: 68
; ScratchSize: 0
; MemoryBound: 1
; FloatMode: 240
; IeeeMode: 1
; LDSByteSize: 4096 bytes/workgroup (compile time only)
; SGPRBlocks: 2
; VGPRBlocks: 8
; NumSGPRsForWavesPerEU: 24
; NumVGPRsForWavesPerEU: 68
; Occupancy: 16
; WaveLimiterHint : 1
; COMPUTE_PGM_RSRC2:SCRATCH_EN: 0
; COMPUTE_PGM_RSRC2:USER_SGPR: 13
; COMPUTE_PGM_RSRC2:TRAP_HANDLER: 0
; COMPUTE_PGM_RSRC2:TGID_X_EN: 1
; COMPUTE_PGM_RSRC2:TGID_Y_EN: 1
; COMPUTE_PGM_RSRC2:TGID_Z_EN: 1
; COMPUTE_PGM_RSRC2:TIDIG_COMP_CNT: 1
	.section	.text._ZL32rocblas_syrkx_herkx_small_kernelIi19rocblas_complex_numIfELi16ELb0ELb0ELc78ELc76EKPKS1_KPS1_EviT_T0_PT6_S7_lSA_S7_lS8_PT7_S7_li,"axG",@progbits,_ZL32rocblas_syrkx_herkx_small_kernelIi19rocblas_complex_numIfELi16ELb0ELb0ELc78ELc76EKPKS1_KPS1_EviT_T0_PT6_S7_lSA_S7_lS8_PT7_S7_li,comdat
	.globl	_ZL32rocblas_syrkx_herkx_small_kernelIi19rocblas_complex_numIfELi16ELb0ELb0ELc78ELc76EKPKS1_KPS1_EviT_T0_PT6_S7_lSA_S7_lS8_PT7_S7_li ; -- Begin function _ZL32rocblas_syrkx_herkx_small_kernelIi19rocblas_complex_numIfELi16ELb0ELb0ELc78ELc76EKPKS1_KPS1_EviT_T0_PT6_S7_lSA_S7_lS8_PT7_S7_li
	.p2align	8
	.type	_ZL32rocblas_syrkx_herkx_small_kernelIi19rocblas_complex_numIfELi16ELb0ELb0ELc78ELc76EKPKS1_KPS1_EviT_T0_PT6_S7_lSA_S7_lS8_PT7_S7_li,@function
_ZL32rocblas_syrkx_herkx_small_kernelIi19rocblas_complex_numIfELi16ELb0ELb0ELc78ELc76EKPKS1_KPS1_EviT_T0_PT6_S7_lSA_S7_lS8_PT7_S7_li: ; @_ZL32rocblas_syrkx_herkx_small_kernelIi19rocblas_complex_numIfELi16ELb0ELb0ELc78ELc76EKPKS1_KPS1_EviT_T0_PT6_S7_lSA_S7_lS8_PT7_S7_li
; %bb.0:
	s_clause 0x1
	s_load_b128 s[4:7], s[0:1], 0x40
	s_load_b64 s[18:19], s[0:1], 0x0
	s_mov_b32 s16, s15
	s_mov_b32 s17, 0
	v_dual_mov_b32 v17, 0 :: v_dual_and_b32 v12, 0x3ff, v0
	s_lshl_b64 s[20:21], s[16:17], 3
	v_bfe_u32 v13, v0, 10, 10
	v_mov_b32_e32 v18, 0
	s_delay_alu instid0(VALU_DEP_3) | instskip(NEXT) | instid1(VALU_DEP_3)
	v_lshl_add_u32 v0, s13, 4, v12
	v_lshl_add_u32 v2, s14, 4, v13
	s_delay_alu instid0(VALU_DEP_2)
	v_ashrrev_i32_e32 v1, 31, v0
	s_waitcnt lgkmcnt(0)
	s_add_u32 s2, s6, s20
	s_addc_u32 s3, s7, s21
	s_load_b128 s[8:11], s[0:1], 0x8
	s_load_b64 s[6:7], s[2:3], 0x0
	v_cmp_gt_i32_e64 s2, s18, v0
	s_cmp_lt_i32 s19, 1
	s_cbranch_scc1 .LBB674_9
; %bb.1:
	s_clause 0x2
	s_load_b32 s12, s[0:1], 0x18
	s_load_b32 s14, s[0:1], 0x30
	s_load_b64 s[22:23], s[0:1], 0x28
	v_ashrrev_i32_e32 v3, 31, v2
	v_lshlrev_b64 v[5:6], 3, v[0:1]
	v_dual_mov_b32 v4, 0 :: v_dual_lshlrev_b32 v11, 7, v13
	v_dual_mov_b32 v17, 0 :: v_dual_lshlrev_b32 v14, 3, v12
	s_delay_alu instid0(VALU_DEP_4) | instskip(NEXT) | instid1(VALU_DEP_3)
	v_lshlrev_b64 v[18:19], 3, v[2:3]
	v_add_nc_u32_e32 v15, 0x800, v11
	v_cmp_gt_i32_e32 vcc_lo, s18, v2
	s_delay_alu instid0(VALU_DEP_4)
	v_add_nc_u32_e32 v3, v14, v11
	s_waitcnt lgkmcnt(0)
	s_ashr_i32 s13, s12, 31
	s_ashr_i32 s15, s14, 31
	s_add_u32 s22, s22, s20
	s_addc_u32 s23, s23, s21
	v_mad_i64_i32 v[7:8], null, s14, v12, 0
	s_load_b64 s[22:23], s[22:23], 0x0
	s_add_u32 s10, s10, s20
	s_addc_u32 s11, s11, s21
	v_mad_i64_i32 v[9:10], null, s12, v13, 0
	s_load_b64 s[10:11], s[10:11], 0x0
	s_delay_alu instid0(VALU_DEP_2) | instskip(SKIP_1) | instid1(VALU_DEP_2)
	v_lshlrev_b64 v[7:8], 3, v[7:8]
	s_lshl_b64 s[12:13], s[12:13], 7
	v_lshlrev_b64 v[9:10], 3, v[9:10]
	s_delay_alu instid0(VALU_DEP_2) | instskip(SKIP_1) | instid1(VALU_DEP_4)
	v_add_co_u32 v7, s3, v7, v18
	v_mov_b32_e32 v18, 0
	v_add_co_ci_u32_e64 v8, s3, v8, v19, s3
	s_delay_alu instid0(VALU_DEP_4) | instskip(NEXT) | instid1(VALU_DEP_1)
	v_add_co_u32 v5, s3, v9, v5
	v_add_co_ci_u32_e64 v9, s3, v10, v6, s3
	s_waitcnt lgkmcnt(0)
	v_add_co_u32 v10, s3, v7, s22
	s_delay_alu instid0(VALU_DEP_1) | instskip(SKIP_1) | instid1(VALU_DEP_1)
	v_add_co_ci_u32_e64 v11, s3, s23, v8, s3
	v_add_co_u32 v6, s3, s10, v5
	v_add_co_ci_u32_e64 v7, s3, s11, v9, s3
	s_delay_alu instid0(VALU_DEP_4)
	v_add_co_u32 v8, s3, v10, 4
	v_add_nc_u32_e32 v16, v15, v14
	v_add_co_ci_u32_e64 v9, s3, 0, v11, s3
	s_lshl_b64 s[10:11], s[14:15], 7
	s_xor_b32 s3, s2, -1
	s_branch .LBB674_3
.LBB674_2:                              ;   in Loop: Header=BB674_3 Depth=1
	s_or_b32 exec_lo, exec_lo, s2
	s_waitcnt vmcnt(0)
	ds_store_b64 v16, v[10:11]
	s_waitcnt lgkmcnt(0)
	s_barrier
	buffer_gl0_inv
	ds_load_2addr_b64 v[19:22], v14 offset1:16
	ds_load_b128 v[23:26], v15
	ds_load_b128 v[27:30], v15 offset:16
	ds_load_2addr_b64 v[31:34], v14 offset0:32 offset1:48
	ds_load_2addr_b64 v[35:38], v14 offset0:64 offset1:80
	ds_load_b128 v[39:42], v15 offset:32
	ds_load_b128 v[43:46], v15 offset:48
	ds_load_2addr_b64 v[47:50], v14 offset0:96 offset1:112
	ds_load_2addr_b64 v[51:54], v14 offset0:128 offset1:144
	;; [unrolled: 1-line block ×3, first 2 shown]
	ds_load_b128 v[59:62], v15 offset:64
	ds_load_b128 v[63:66], v15 offset:80
	v_add_co_u32 v8, s2, v8, s10
	s_delay_alu instid0(VALU_DEP_1) | instskip(SKIP_1) | instid1(VALU_DEP_1)
	v_add_co_ci_u32_e64 v9, s2, s11, v9, s2
	v_add_co_u32 v6, s2, v6, s12
	v_add_co_ci_u32_e64 v7, s2, s13, v7, s2
	s_add_i32 s17, s17, 16
	s_waitcnt lgkmcnt(10)
	v_mul_f32_e32 v5, v24, v20
	v_dual_mul_f32 v10, v23, v20 :: v_dual_mul_f32 v11, v26, v22
	v_mul_f32_e32 v20, v25, v22
	s_waitcnt lgkmcnt(8)
	v_dual_mul_f32 v22, v28, v32 :: v_dual_mul_f32 v67, v30, v34
	v_fma_f32 v5, v23, v19, -v5
	v_mul_f32_e32 v32, v27, v32
	v_fma_f32 v11, v25, v21, -v11
	s_waitcnt lgkmcnt(6)
	v_dual_mul_f32 v34, v29, v34 :: v_dual_mul_f32 v23, v39, v36
	v_dual_add_f32 v5, v18, v5 :: v_dual_mul_f32 v68, v40, v36
	v_mul_f32_e32 v36, v42, v38
	v_fmac_f32_e32 v32, v28, v31
	v_mul_f32_e32 v18, v41, v38
	s_delay_alu instid0(VALU_DEP_4)
	v_add_f32_e32 v5, v5, v11
	v_fmac_f32_e32 v10, v24, v19
	v_fma_f32 v19, v29, v33, -v67
	s_waitcnt lgkmcnt(4)
	v_mul_f32_e32 v11, v44, v48
	v_fmac_f32_e32 v23, v40, v35
	s_cmp_ge_i32 s17, s19
	v_add_f32_e32 v10, v17, v10
	v_fma_f32 v17, v27, v31, -v22
	v_fma_f32 v11, v43, v47, -v11
	s_delay_alu instid0(VALU_DEP_2) | instskip(SKIP_3) | instid1(VALU_DEP_3)
	v_add_f32_e32 v5, v5, v17
	v_fmac_f32_e32 v20, v26, v21
	v_fma_f32 v21, v41, v37, -v36
	v_mul_f32_e32 v17, v43, v48
	v_dual_add_f32 v5, v5, v19 :: v_dual_add_f32 v10, v10, v20
	v_fma_f32 v20, v39, v35, -v68
	v_fmac_f32_e32 v34, v30, v33
	v_mul_f32_e32 v19, v46, v50
	v_fmac_f32_e32 v17, v44, v47
	s_waitcnt lgkmcnt(0)
	v_mul_f32_e32 v33, v63, v56
	v_add_f32_e32 v5, v5, v20
	v_mul_f32_e32 v20, v45, v50
	v_mul_f32_e32 v26, v61, v54
	;; [unrolled: 1-line block ×3, first 2 shown]
	v_fmac_f32_e32 v33, v64, v55
	v_dual_add_f32 v5, v5, v21 :: v_dual_add_f32 v10, v10, v32
	v_dual_fmac_f32 v18, v42, v37 :: v_dual_mul_f32 v21, v60, v52
	s_delay_alu instid0(VALU_DEP_2) | instskip(SKIP_1) | instid1(VALU_DEP_2)
	v_dual_add_f32 v5, v5, v11 :: v_dual_add_f32 v10, v10, v34
	v_dual_mul_f32 v11, v59, v52 :: v_dual_fmac_f32 v20, v46, v49
	v_add_f32_e32 v10, v10, v23
	s_delay_alu instid0(VALU_DEP_1) | instskip(SKIP_1) | instid1(VALU_DEP_2)
	v_dual_fmac_f32 v11, v60, v51 :: v_dual_add_f32 v10, v10, v18
	v_fma_f32 v18, v45, v49, -v19
	v_add_f32_e32 v10, v10, v17
	v_fma_f32 v17, v59, v51, -v21
	s_delay_alu instid0(VALU_DEP_2) | instskip(NEXT) | instid1(VALU_DEP_1)
	v_dual_add_f32 v5, v5, v18 :: v_dual_add_f32 v10, v10, v20
	v_add_f32_e32 v5, v5, v17
	ds_load_2addr_b64 v[17:20], v14 offset0:192 offset1:208
	ds_load_b128 v[21:24], v15 offset:96
	v_mul_f32_e32 v25, v62, v54
	v_add_f32_e32 v10, v10, v11
	v_fmac_f32_e32 v35, v66, v57
	s_delay_alu instid0(VALU_DEP_3) | instskip(SKIP_1) | instid1(VALU_DEP_2)
	v_fma_f32 v11, v61, v53, -v25
	v_dual_fmac_f32 v26, v62, v53 :: v_dual_mul_f32 v25, v64, v56
	v_add_f32_e32 v5, v5, v11
	s_delay_alu instid0(VALU_DEP_2) | instskip(NEXT) | instid1(VALU_DEP_3)
	v_fma_f32 v11, v63, v55, -v25
	v_add_f32_e32 v10, v10, v26
	ds_load_2addr_b64 v[25:28], v14 offset0:224 offset1:240
	ds_load_b128 v[29:32], v15 offset:112
	s_waitcnt lgkmcnt(0)
	s_barrier
	v_dual_add_f32 v5, v5, v11 :: v_dual_mul_f32 v34, v66, v58
	v_add_f32_e32 v10, v10, v33
	v_mul_f32_e32 v33, v22, v18
	v_mul_f32_e32 v18, v21, v18
	buffer_gl0_inv
	v_fma_f32 v11, v65, v57, -v34
	s_delay_alu instid0(VALU_DEP_1) | instskip(SKIP_3) | instid1(VALU_DEP_3)
	v_add_f32_e32 v5, v5, v11
	v_fma_f32 v11, v21, v17, -v33
	v_dual_fmac_f32 v18, v22, v17 :: v_dual_mul_f32 v17, v24, v20
	v_add_f32_e32 v10, v10, v35
	v_dual_mul_f32 v20, v23, v20 :: v_dual_add_f32 v5, v5, v11
	s_delay_alu instid0(VALU_DEP_3) | instskip(NEXT) | instid1(VALU_DEP_2)
	v_fma_f32 v11, v23, v19, -v17
	v_dual_mul_f32 v17, v30, v26 :: v_dual_fmac_f32 v20, v24, v19
	v_mul_f32_e32 v19, v31, v28
	s_delay_alu instid0(VALU_DEP_3) | instskip(NEXT) | instid1(VALU_DEP_3)
	v_add_f32_e32 v5, v5, v11
	v_fma_f32 v11, v29, v25, -v17
	v_dual_mul_f32 v17, v32, v28 :: v_dual_add_f32 v10, v10, v18
	s_delay_alu instid0(VALU_DEP_4) | instskip(NEXT) | instid1(VALU_DEP_2)
	v_dual_mul_f32 v18, v29, v26 :: v_dual_fmac_f32 v19, v32, v27
	v_add_f32_e32 v10, v10, v20
	s_delay_alu instid0(VALU_DEP_2) | instskip(NEXT) | instid1(VALU_DEP_4)
	v_dual_fmac_f32 v18, v30, v25 :: v_dual_add_f32 v5, v5, v11
	v_fma_f32 v11, v31, v27, -v17
	s_delay_alu instid0(VALU_DEP_2) | instskip(NEXT) | instid1(VALU_DEP_2)
	v_add_f32_e32 v10, v10, v18
	v_add_f32_e32 v18, v5, v11
	s_delay_alu instid0(VALU_DEP_2)
	v_add_f32_e32 v17, v10, v19
	s_cbranch_scc1 .LBB674_9
.LBB674_3:                              ; =>This Inner Loop Header: Depth=1
	v_add_nc_u32_e32 v5, s17, v13
	s_delay_alu instid0(VALU_DEP_1) | instskip(NEXT) | instid1(VALU_DEP_1)
	v_cmp_le_i32_e64 s2, s19, v5
	s_or_b32 s2, s3, s2
	s_delay_alu instid0(SALU_CYCLE_1) | instskip(NEXT) | instid1(SALU_CYCLE_1)
	s_and_saveexec_b32 s14, s2
	s_xor_b32 s2, exec_lo, s14
	s_cbranch_execz .LBB674_5
; %bb.4:                                ;   in Loop: Header=BB674_3 Depth=1
	v_mov_b32_e32 v5, v4
	ds_store_b64 v3, v[4:5]
.LBB674_5:                              ;   in Loop: Header=BB674_3 Depth=1
	s_and_not1_saveexec_b32 s2, s2
	s_cbranch_execz .LBB674_7
; %bb.6:                                ;   in Loop: Header=BB674_3 Depth=1
	global_load_b64 v[10:11], v[6:7], off
	s_waitcnt vmcnt(0)
	ds_store_b64 v3, v[10:11]
.LBB674_7:                              ;   in Loop: Header=BB674_3 Depth=1
	s_or_b32 exec_lo, exec_lo, s2
	v_dual_mov_b32 v10, 0 :: v_dual_add_nc_u32 v5, s17, v12
	v_mov_b32_e32 v11, 0
	s_delay_alu instid0(VALU_DEP_2) | instskip(NEXT) | instid1(VALU_DEP_1)
	v_cmp_gt_i32_e64 s2, s19, v5
	s_and_b32 s14, vcc_lo, s2
	s_delay_alu instid0(SALU_CYCLE_1)
	s_and_saveexec_b32 s2, s14
	s_cbranch_execz .LBB674_2
; %bb.8:                                ;   in Loop: Header=BB674_3 Depth=1
	global_load_b64 v[10:11], v[8:9], off offset:-4
	s_branch .LBB674_2
.LBB674_9:
	v_cmp_le_i32_e32 vcc_lo, v2, v0
	v_cmp_gt_i32_e64 s2, s18, v0
	s_delay_alu instid0(VALU_DEP_1) | instskip(NEXT) | instid1(SALU_CYCLE_1)
	s_and_b32 s2, vcc_lo, s2
	s_and_saveexec_b32 s3, s2
	s_cbranch_execz .LBB674_11
; %bb.10:
	s_load_b32 s0, s[0:1], 0x50
	v_lshlrev_b64 v[0:1], 3, v[0:1]
	s_waitcnt lgkmcnt(0)
	v_mad_i64_i32 v[3:4], null, s0, v2, 0
	s_delay_alu instid0(VALU_DEP_1) | instskip(NEXT) | instid1(VALU_DEP_1)
	v_lshlrev_b64 v[2:3], 3, v[3:4]
	v_add_co_u32 v2, vcc_lo, s6, v2
	s_delay_alu instid0(VALU_DEP_2) | instskip(NEXT) | instid1(VALU_DEP_2)
	v_add_co_ci_u32_e32 v3, vcc_lo, s7, v3, vcc_lo
	v_add_co_u32 v0, vcc_lo, v2, v0
	s_delay_alu instid0(VALU_DEP_2)
	v_add_co_ci_u32_e32 v1, vcc_lo, v3, v1, vcc_lo
	global_load_b64 v[2:3], v[0:1], off
	v_mul_f32_e32 v4, s9, v17
	s_waitcnt vmcnt(0)
	v_dual_mul_f32 v5, s8, v17 :: v_dual_mul_f32 v6, s5, v3
	v_mul_f32_e32 v3, s4, v3
	s_delay_alu instid0(VALU_DEP_3) | instskip(NEXT) | instid1(VALU_DEP_3)
	v_fma_f32 v4, v18, s8, -v4
	v_fmac_f32_e32 v5, s9, v18
	s_delay_alu instid0(VALU_DEP_4) | instskip(NEXT) | instid1(VALU_DEP_4)
	v_fma_f32 v6, v2, s4, -v6
	v_fmac_f32_e32 v3, s5, v2
	s_delay_alu instid0(VALU_DEP_1)
	v_dual_add_f32 v2, v4, v6 :: v_dual_add_f32 v3, v5, v3
	global_store_b64 v[0:1], v[2:3], off
.LBB674_11:
	s_nop 0
	s_sendmsg sendmsg(MSG_DEALLOC_VGPRS)
	s_endpgm
	.section	.rodata,"a",@progbits
	.p2align	6, 0x0
	.amdhsa_kernel _ZL32rocblas_syrkx_herkx_small_kernelIi19rocblas_complex_numIfELi16ELb0ELb0ELc78ELc76EKPKS1_KPS1_EviT_T0_PT6_S7_lSA_S7_lS8_PT7_S7_li
		.amdhsa_group_segment_fixed_size 4096
		.amdhsa_private_segment_fixed_size 0
		.amdhsa_kernarg_size 100
		.amdhsa_user_sgpr_count 13
		.amdhsa_user_sgpr_dispatch_ptr 0
		.amdhsa_user_sgpr_queue_ptr 0
		.amdhsa_user_sgpr_kernarg_segment_ptr 1
		.amdhsa_user_sgpr_dispatch_id 0
		.amdhsa_user_sgpr_private_segment_size 0
		.amdhsa_wavefront_size32 1
		.amdhsa_uses_dynamic_stack 0
		.amdhsa_enable_private_segment 0
		.amdhsa_system_sgpr_workgroup_id_x 1
		.amdhsa_system_sgpr_workgroup_id_y 1
		.amdhsa_system_sgpr_workgroup_id_z 1
		.amdhsa_system_sgpr_workgroup_info 0
		.amdhsa_system_vgpr_workitem_id 1
		.amdhsa_next_free_vgpr 69
		.amdhsa_next_free_sgpr 24
		.amdhsa_reserve_vcc 1
		.amdhsa_float_round_mode_32 0
		.amdhsa_float_round_mode_16_64 0
		.amdhsa_float_denorm_mode_32 3
		.amdhsa_float_denorm_mode_16_64 3
		.amdhsa_dx10_clamp 1
		.amdhsa_ieee_mode 1
		.amdhsa_fp16_overflow 0
		.amdhsa_workgroup_processor_mode 1
		.amdhsa_memory_ordered 1
		.amdhsa_forward_progress 0
		.amdhsa_shared_vgpr_count 0
		.amdhsa_exception_fp_ieee_invalid_op 0
		.amdhsa_exception_fp_denorm_src 0
		.amdhsa_exception_fp_ieee_div_zero 0
		.amdhsa_exception_fp_ieee_overflow 0
		.amdhsa_exception_fp_ieee_underflow 0
		.amdhsa_exception_fp_ieee_inexact 0
		.amdhsa_exception_int_div_zero 0
	.end_amdhsa_kernel
	.section	.text._ZL32rocblas_syrkx_herkx_small_kernelIi19rocblas_complex_numIfELi16ELb0ELb0ELc78ELc76EKPKS1_KPS1_EviT_T0_PT6_S7_lSA_S7_lS8_PT7_S7_li,"axG",@progbits,_ZL32rocblas_syrkx_herkx_small_kernelIi19rocblas_complex_numIfELi16ELb0ELb0ELc78ELc76EKPKS1_KPS1_EviT_T0_PT6_S7_lSA_S7_lS8_PT7_S7_li,comdat
.Lfunc_end674:
	.size	_ZL32rocblas_syrkx_herkx_small_kernelIi19rocblas_complex_numIfELi16ELb0ELb0ELc78ELc76EKPKS1_KPS1_EviT_T0_PT6_S7_lSA_S7_lS8_PT7_S7_li, .Lfunc_end674-_ZL32rocblas_syrkx_herkx_small_kernelIi19rocblas_complex_numIfELi16ELb0ELb0ELc78ELc76EKPKS1_KPS1_EviT_T0_PT6_S7_lSA_S7_lS8_PT7_S7_li
                                        ; -- End function
	.section	.AMDGPU.csdata,"",@progbits
; Kernel info:
; codeLenInByte = 1492
; NumSgprs: 26
; NumVgprs: 69
; ScratchSize: 0
; MemoryBound: 1
; FloatMode: 240
; IeeeMode: 1
; LDSByteSize: 4096 bytes/workgroup (compile time only)
; SGPRBlocks: 3
; VGPRBlocks: 8
; NumSGPRsForWavesPerEU: 26
; NumVGPRsForWavesPerEU: 69
; Occupancy: 16
; WaveLimiterHint : 1
; COMPUTE_PGM_RSRC2:SCRATCH_EN: 0
; COMPUTE_PGM_RSRC2:USER_SGPR: 13
; COMPUTE_PGM_RSRC2:TRAP_HANDLER: 0
; COMPUTE_PGM_RSRC2:TGID_X_EN: 1
; COMPUTE_PGM_RSRC2:TGID_Y_EN: 1
; COMPUTE_PGM_RSRC2:TGID_Z_EN: 1
; COMPUTE_PGM_RSRC2:TIDIG_COMP_CNT: 1
	.section	.text._ZL32rocblas_syrkx_herkx_small_kernelIi19rocblas_complex_numIfELi16ELb0ELb0ELc84ELc85EKPKS1_KPS1_EviT_T0_PT6_S7_lSA_S7_lS8_PT7_S7_li,"axG",@progbits,_ZL32rocblas_syrkx_herkx_small_kernelIi19rocblas_complex_numIfELi16ELb0ELb0ELc84ELc85EKPKS1_KPS1_EviT_T0_PT6_S7_lSA_S7_lS8_PT7_S7_li,comdat
	.globl	_ZL32rocblas_syrkx_herkx_small_kernelIi19rocblas_complex_numIfELi16ELb0ELb0ELc84ELc85EKPKS1_KPS1_EviT_T0_PT6_S7_lSA_S7_lS8_PT7_S7_li ; -- Begin function _ZL32rocblas_syrkx_herkx_small_kernelIi19rocblas_complex_numIfELi16ELb0ELb0ELc84ELc85EKPKS1_KPS1_EviT_T0_PT6_S7_lSA_S7_lS8_PT7_S7_li
	.p2align	8
	.type	_ZL32rocblas_syrkx_herkx_small_kernelIi19rocblas_complex_numIfELi16ELb0ELb0ELc84ELc85EKPKS1_KPS1_EviT_T0_PT6_S7_lSA_S7_lS8_PT7_S7_li,@function
_ZL32rocblas_syrkx_herkx_small_kernelIi19rocblas_complex_numIfELi16ELb0ELb0ELc84ELc85EKPKS1_KPS1_EviT_T0_PT6_S7_lSA_S7_lS8_PT7_S7_li: ; @_ZL32rocblas_syrkx_herkx_small_kernelIi19rocblas_complex_numIfELi16ELb0ELb0ELc84ELc85EKPKS1_KPS1_EviT_T0_PT6_S7_lSA_S7_lS8_PT7_S7_li
; %bb.0:
	s_clause 0x1
	s_load_b128 s[4:7], s[0:1], 0x40
	s_load_b64 s[18:19], s[0:1], 0x0
	s_mov_b32 s16, s15
	s_mov_b32 s17, 0
	v_bfe_u32 v8, v0, 10, 10
	s_lshl_b64 s[20:21], s[16:17], 3
	v_dual_mov_b32 v14, 0 :: v_dual_and_b32 v9, 0x3ff, v0
	v_mov_b32_e32 v15, 0
	s_delay_alu instid0(VALU_DEP_3) | instskip(NEXT) | instid1(VALU_DEP_3)
	v_lshl_add_u32 v7, s14, 4, v8
	v_lshl_add_u32 v0, s13, 4, v9
	s_waitcnt lgkmcnt(0)
	s_add_u32 s2, s6, s20
	s_addc_u32 s3, s7, s21
	s_load_b128 s[8:11], s[0:1], 0x8
	s_load_b64 s[6:7], s[2:3], 0x0
	v_cmp_gt_i32_e32 vcc_lo, s18, v7
	s_cmp_lt_i32 s19, 1
	s_cbranch_scc1 .LBB675_11
; %bb.1:
	s_clause 0x2
	s_load_b64 s[12:13], s[0:1], 0x28
	s_load_b32 s3, s[0:1], 0x30
	s_load_b32 s14, s[0:1], 0x18
	v_lshlrev_b32_e32 v10, 3, v9
	v_dual_mov_b32 v1, 0 :: v_dual_lshlrev_b32 v6, 7, v8
	v_dual_mov_b32 v14, 0 :: v_dual_lshlrev_b32 v15, 3, v8
	v_cmp_gt_i32_e64 s2, s18, v0
	s_delay_alu instid0(VALU_DEP_3)
	v_add_nc_u32_e32 v11, 0x800, v6
	v_add_nc_u32_e32 v12, v10, v6
	s_waitcnt lgkmcnt(0)
	s_add_u32 s12, s12, s20
	s_addc_u32 s13, s13, s21
	v_mad_i64_i32 v[2:3], null, s3, v7, 0
	s_load_b64 s[12:13], s[12:13], 0x0
	s_add_u32 s10, s10, s20
	s_addc_u32 s11, s11, s21
	v_mad_i64_i32 v[4:5], null, s14, v0, 0
	s_load_b64 s[10:11], s[10:11], 0x0
	s_delay_alu instid0(VALU_DEP_2) | instskip(SKIP_1) | instid1(VALU_DEP_2)
	v_lshlrev_b64 v[2:3], 3, v[2:3]
	s_xor_b32 s2, s2, -1
	v_lshlrev_b64 v[4:5], 3, v[4:5]
	s_delay_alu instid0(VALU_DEP_2) | instskip(NEXT) | instid1(VALU_DEP_1)
	v_add_co_u32 v2, s3, v2, v10
	v_add_co_ci_u32_e64 v6, s3, 0, v3, s3
	s_delay_alu instid0(VALU_DEP_3) | instskip(NEXT) | instid1(VALU_DEP_1)
	v_add_co_u32 v15, s3, v4, v15
	v_add_co_ci_u32_e64 v16, s3, 0, v5, s3
	s_waitcnt lgkmcnt(0)
	v_add_co_u32 v3, s3, s12, v2
	s_delay_alu instid0(VALU_DEP_1) | instskip(SKIP_1) | instid1(VALU_DEP_1)
	v_add_co_ci_u32_e64 v4, s3, s13, v6, s3
	v_add_co_u32 v5, s3, s10, v15
	v_add_co_ci_u32_e64 v6, s3, s11, v16, s3
	v_mov_b32_e32 v15, 0
	v_add_nc_u32_e32 v13, v11, v10
	s_xor_b32 s3, vcc_lo, -1
	s_branch .LBB675_3
.LBB675_2:                              ;   in Loop: Header=BB675_3 Depth=1
	s_or_b32 exec_lo, exec_lo, s10
	s_waitcnt lgkmcnt(0)
	s_barrier
	buffer_gl0_inv
	ds_load_2addr_b64 v[16:19], v10 offset1:16
	ds_load_b128 v[20:23], v11
	ds_load_b128 v[24:27], v11 offset:16
	ds_load_2addr_b64 v[28:31], v10 offset0:32 offset1:48
	ds_load_2addr_b64 v[32:35], v10 offset0:64 offset1:80
	ds_load_b128 v[36:39], v11 offset:32
	ds_load_b128 v[40:43], v11 offset:48
	ds_load_2addr_b64 v[44:47], v10 offset0:96 offset1:112
	ds_load_2addr_b64 v[48:51], v10 offset0:128 offset1:144
	;; [unrolled: 1-line block ×3, first 2 shown]
	ds_load_b128 v[56:59], v11 offset:64
	ds_load_b128 v[60:63], v11 offset:80
	v_add_co_u32 v3, vcc_lo, 0x80, v3
	v_add_co_ci_u32_e32 v4, vcc_lo, 0, v4, vcc_lo
	v_add_co_u32 v5, vcc_lo, 0x80, v5
	v_add_co_ci_u32_e32 v6, vcc_lo, 0, v6, vcc_lo
	s_add_i32 s17, s17, 16
	s_waitcnt lgkmcnt(10)
	v_mul_f32_e32 v2, v21, v17
	v_dual_mul_f32 v17, v20, v17 :: v_dual_mul_f32 v64, v23, v19
	v_mul_f32_e32 v19, v22, v19
	s_waitcnt lgkmcnt(8)
	v_dual_mul_f32 v65, v25, v29 :: v_dual_mul_f32 v66, v27, v31
	v_fma_f32 v2, v20, v16, -v2
	v_mul_f32_e32 v31, v26, v31
	s_waitcnt lgkmcnt(6)
	v_dual_mul_f32 v29, v24, v29 :: v_dual_mul_f32 v20, v39, v35
	s_delay_alu instid0(VALU_DEP_3) | instskip(SKIP_2) | instid1(VALU_DEP_4)
	v_dual_mul_f32 v67, v37, v33 :: v_dual_add_f32 v2, v15, v2
	v_fmac_f32_e32 v17, v21, v16
	v_fma_f32 v21, v22, v18, -v64
	v_dual_fmac_f32 v29, v25, v28 :: v_dual_mul_f32 v16, v38, v35
	v_fma_f32 v20, v38, v34, -v20
	s_delay_alu instid0(VALU_DEP_3)
	v_dual_fmac_f32 v31, v27, v30 :: v_dual_add_f32 v2, v2, v21
	v_dual_fmac_f32 v19, v23, v18 :: v_dual_add_f32 v14, v14, v17
	v_fma_f32 v17, v24, v28, -v65
	v_mul_f32_e32 v33, v36, v33
	s_waitcnt lgkmcnt(4)
	v_mul_f32_e32 v18, v40, v45
	v_fma_f32 v21, v36, v32, -v67
	v_add_f32_e32 v14, v14, v19
	v_fma_f32 v19, v26, v30, -v66
	v_add_f32_e32 v2, v2, v17
	v_mul_f32_e32 v15, v41, v45
	s_delay_alu instid0(VALU_DEP_4) | instskip(NEXT) | instid1(VALU_DEP_3)
	v_dual_mul_f32 v17, v43, v47 :: v_dual_add_f32 v14, v14, v29
	v_dual_fmac_f32 v33, v37, v32 :: v_dual_add_f32 v2, v2, v19
	v_dual_mul_f32 v19, v42, v47 :: v_dual_fmac_f32 v16, v39, v34
	s_delay_alu instid0(VALU_DEP_3) | instskip(SKIP_1) | instid1(VALU_DEP_3)
	v_add_f32_e32 v14, v14, v31
	v_fma_f32 v15, v40, v44, -v15
	v_dual_add_f32 v2, v2, v21 :: v_dual_fmac_f32 v19, v43, v46
	s_waitcnt lgkmcnt(1)
	v_mul_f32_e32 v21, v57, v49
	v_dual_fmac_f32 v18, v41, v44 :: v_dual_mul_f32 v25, v58, v51
	v_add_f32_e32 v14, v14, v33
	v_add_f32_e32 v2, v2, v20
	v_fma_f32 v20, v42, v46, -v17
	v_fma_f32 v21, v56, v48, -v21
	s_delay_alu instid0(VALU_DEP_4)
	v_dual_fmac_f32 v25, v59, v50 :: v_dual_add_f32 v14, v14, v16
	s_waitcnt lgkmcnt(0)
	v_mul_f32_e32 v33, v63, v55
	v_add_f32_e32 v2, v2, v15
	v_mul_f32_e32 v34, v62, v55
	s_cmp_ge_i32 s17, s19
	v_add_f32_e32 v18, v14, v18
	v_mul_f32_e32 v22, v56, v49
	v_add_f32_e32 v2, v2, v20
	ds_load_2addr_b64 v[14:17], v10 offset0:192 offset1:208
	v_dual_fmac_f32 v34, v63, v54 :: v_dual_add_f32 v23, v18, v19
	v_add_f32_e32 v2, v2, v21
	ds_load_b128 v[18:21], v11 offset:96
	v_fmac_f32_e32 v22, v57, v48
	s_delay_alu instid0(VALU_DEP_1) | instskip(NEXT) | instid1(VALU_DEP_1)
	v_add_f32_e32 v22, v23, v22
	v_dual_mul_f32 v24, v59, v51 :: v_dual_add_f32 v31, v22, v25
	s_delay_alu instid0(VALU_DEP_1) | instskip(SKIP_1) | instid1(VALU_DEP_2)
	v_fma_f32 v23, v58, v50, -v24
	v_mul_f32_e32 v24, v61, v53
	v_add_f32_e32 v2, v2, v23
	s_delay_alu instid0(VALU_DEP_2)
	v_fma_f32 v32, v60, v52, -v24
	ds_load_2addr_b64 v[22:25], v10 offset0:224 offset1:240
	ds_load_b128 v[26:29], v11 offset:112
	v_mul_f32_e32 v30, v60, v53
	s_waitcnt lgkmcnt(0)
	s_barrier
	v_add_f32_e32 v2, v2, v32
	v_mul_f32_e32 v32, v19, v15
	v_dual_fmac_f32 v30, v61, v52 :: v_dual_mul_f32 v15, v18, v15
	buffer_gl0_inv
	v_fma_f32 v18, v18, v14, -v32
	v_add_f32_e32 v30, v31, v30
	v_fma_f32 v31, v62, v54, -v33
	v_dual_fmac_f32 v15, v19, v14 :: v_dual_mul_f32 v14, v21, v17
	s_delay_alu instid0(VALU_DEP_3) | instskip(NEXT) | instid1(VALU_DEP_3)
	v_dual_mul_f32 v17, v20, v17 :: v_dual_add_f32 v30, v30, v34
	v_add_f32_e32 v2, v2, v31
	s_delay_alu instid0(VALU_DEP_3) | instskip(NEXT) | instid1(VALU_DEP_3)
	v_fma_f32 v14, v20, v16, -v14
	v_fmac_f32_e32 v17, v21, v16
	s_delay_alu instid0(VALU_DEP_4) | instskip(NEXT) | instid1(VALU_DEP_4)
	v_add_f32_e32 v15, v30, v15
	v_add_f32_e32 v2, v2, v18
	v_mul_f32_e32 v16, v27, v23
	v_mul_f32_e32 v18, v26, v23
	s_delay_alu instid0(VALU_DEP_3) | instskip(SKIP_1) | instid1(VALU_DEP_4)
	v_add_f32_e32 v2, v2, v14
	v_add_f32_e32 v14, v15, v17
	v_fma_f32 v15, v26, v22, -v16
	s_delay_alu instid0(VALU_DEP_4) | instskip(SKIP_1) | instid1(VALU_DEP_3)
	v_fmac_f32_e32 v18, v27, v22
	v_mul_f32_e32 v16, v29, v25
	v_dual_mul_f32 v17, v28, v25 :: v_dual_add_f32 v2, v2, v15
	s_delay_alu instid0(VALU_DEP_3) | instskip(NEXT) | instid1(VALU_DEP_3)
	v_add_f32_e32 v14, v14, v18
	v_fma_f32 v15, v28, v24, -v16
	s_delay_alu instid0(VALU_DEP_3) | instskip(NEXT) | instid1(VALU_DEP_2)
	v_fmac_f32_e32 v17, v29, v24
	v_add_f32_e32 v15, v2, v15
	s_delay_alu instid0(VALU_DEP_2)
	v_add_f32_e32 v14, v14, v17
	s_cbranch_scc1 .LBB675_11
.LBB675_3:                              ; =>This Inner Loop Header: Depth=1
	v_add_nc_u32_e32 v2, s17, v8
	s_delay_alu instid0(VALU_DEP_1) | instskip(SKIP_1) | instid1(SALU_CYCLE_1)
	v_cmp_le_i32_e32 vcc_lo, s19, v2
	s_or_b32 s10, s2, vcc_lo
	s_and_saveexec_b32 s11, s10
	s_delay_alu instid0(SALU_CYCLE_1)
	s_xor_b32 s10, exec_lo, s11
	s_cbranch_execz .LBB675_5
; %bb.4:                                ;   in Loop: Header=BB675_3 Depth=1
	v_mov_b32_e32 v2, v1
	ds_store_b64 v12, v[1:2]
.LBB675_5:                              ;   in Loop: Header=BB675_3 Depth=1
	s_and_not1_saveexec_b32 s10, s10
	s_cbranch_execz .LBB675_7
; %bb.6:                                ;   in Loop: Header=BB675_3 Depth=1
	global_load_b64 v[16:17], v[5:6], off
	s_waitcnt vmcnt(0)
	ds_store_b64 v12, v[16:17]
.LBB675_7:                              ;   in Loop: Header=BB675_3 Depth=1
	s_or_b32 exec_lo, exec_lo, s10
	v_add_nc_u32_e32 v2, s17, v9
	s_delay_alu instid0(VALU_DEP_1) | instskip(SKIP_1) | instid1(SALU_CYCLE_1)
	v_cmp_le_i32_e32 vcc_lo, s19, v2
	s_or_b32 s10, s3, vcc_lo
	s_and_saveexec_b32 s11, s10
	s_delay_alu instid0(SALU_CYCLE_1)
	s_xor_b32 s10, exec_lo, s11
	s_cbranch_execz .LBB675_9
; %bb.8:                                ;   in Loop: Header=BB675_3 Depth=1
	v_mov_b32_e32 v2, v1
	ds_store_b64 v13, v[1:2]
.LBB675_9:                              ;   in Loop: Header=BB675_3 Depth=1
	s_and_not1_saveexec_b32 s10, s10
	s_cbranch_execz .LBB675_2
; %bb.10:                               ;   in Loop: Header=BB675_3 Depth=1
	global_load_b64 v[16:17], v[3:4], off
	s_waitcnt vmcnt(0)
	ds_store_b64 v13, v[16:17]
	s_branch .LBB675_2
.LBB675_11:
	v_cmp_le_i32_e32 vcc_lo, v0, v7
	v_cmp_gt_i32_e64 s2, s18, v7
	s_delay_alu instid0(VALU_DEP_1) | instskip(NEXT) | instid1(SALU_CYCLE_1)
	s_and_b32 s2, vcc_lo, s2
	s_and_saveexec_b32 s3, s2
	s_cbranch_execz .LBB675_13
; %bb.12:
	s_load_b32 s0, s[0:1], 0x50
	v_ashrrev_i32_e32 v1, 31, v0
	s_delay_alu instid0(VALU_DEP_1) | instskip(SKIP_2) | instid1(VALU_DEP_1)
	v_lshlrev_b64 v[0:1], 3, v[0:1]
	s_waitcnt lgkmcnt(0)
	v_mad_i64_i32 v[2:3], null, s0, v7, 0
	v_lshlrev_b64 v[2:3], 3, v[2:3]
	s_delay_alu instid0(VALU_DEP_1) | instskip(NEXT) | instid1(VALU_DEP_2)
	v_add_co_u32 v2, vcc_lo, s6, v2
	v_add_co_ci_u32_e32 v3, vcc_lo, s7, v3, vcc_lo
	s_delay_alu instid0(VALU_DEP_2) | instskip(NEXT) | instid1(VALU_DEP_2)
	v_add_co_u32 v0, vcc_lo, v2, v0
	v_add_co_ci_u32_e32 v1, vcc_lo, v3, v1, vcc_lo
	global_load_b64 v[2:3], v[0:1], off
	v_mul_f32_e32 v4, s9, v14
	s_waitcnt vmcnt(0)
	v_dual_mul_f32 v5, s8, v14 :: v_dual_mul_f32 v6, s5, v3
	v_mul_f32_e32 v3, s4, v3
	s_delay_alu instid0(VALU_DEP_3) | instskip(NEXT) | instid1(VALU_DEP_3)
	v_fma_f32 v4, v15, s8, -v4
	v_fma_f32 v6, v2, s4, -v6
	s_delay_alu instid0(VALU_DEP_4) | instskip(NEXT) | instid1(VALU_DEP_4)
	v_fmac_f32_e32 v5, s9, v15
	v_fmac_f32_e32 v3, s5, v2
	s_delay_alu instid0(VALU_DEP_1)
	v_dual_add_f32 v2, v4, v6 :: v_dual_add_f32 v3, v5, v3
	global_store_b64 v[0:1], v[2:3], off
.LBB675_13:
	s_nop 0
	s_sendmsg sendmsg(MSG_DEALLOC_VGPRS)
	s_endpgm
	.section	.rodata,"a",@progbits
	.p2align	6, 0x0
	.amdhsa_kernel _ZL32rocblas_syrkx_herkx_small_kernelIi19rocblas_complex_numIfELi16ELb0ELb0ELc84ELc85EKPKS1_KPS1_EviT_T0_PT6_S7_lSA_S7_lS8_PT7_S7_li
		.amdhsa_group_segment_fixed_size 4096
		.amdhsa_private_segment_fixed_size 0
		.amdhsa_kernarg_size 100
		.amdhsa_user_sgpr_count 13
		.amdhsa_user_sgpr_dispatch_ptr 0
		.amdhsa_user_sgpr_queue_ptr 0
		.amdhsa_user_sgpr_kernarg_segment_ptr 1
		.amdhsa_user_sgpr_dispatch_id 0
		.amdhsa_user_sgpr_private_segment_size 0
		.amdhsa_wavefront_size32 1
		.amdhsa_uses_dynamic_stack 0
		.amdhsa_enable_private_segment 0
		.amdhsa_system_sgpr_workgroup_id_x 1
		.amdhsa_system_sgpr_workgroup_id_y 1
		.amdhsa_system_sgpr_workgroup_id_z 1
		.amdhsa_system_sgpr_workgroup_info 0
		.amdhsa_system_vgpr_workitem_id 1
		.amdhsa_next_free_vgpr 68
		.amdhsa_next_free_sgpr 22
		.amdhsa_reserve_vcc 1
		.amdhsa_float_round_mode_32 0
		.amdhsa_float_round_mode_16_64 0
		.amdhsa_float_denorm_mode_32 3
		.amdhsa_float_denorm_mode_16_64 3
		.amdhsa_dx10_clamp 1
		.amdhsa_ieee_mode 1
		.amdhsa_fp16_overflow 0
		.amdhsa_workgroup_processor_mode 1
		.amdhsa_memory_ordered 1
		.amdhsa_forward_progress 0
		.amdhsa_shared_vgpr_count 0
		.amdhsa_exception_fp_ieee_invalid_op 0
		.amdhsa_exception_fp_denorm_src 0
		.amdhsa_exception_fp_ieee_div_zero 0
		.amdhsa_exception_fp_ieee_overflow 0
		.amdhsa_exception_fp_ieee_underflow 0
		.amdhsa_exception_fp_ieee_inexact 0
		.amdhsa_exception_int_div_zero 0
	.end_amdhsa_kernel
	.section	.text._ZL32rocblas_syrkx_herkx_small_kernelIi19rocblas_complex_numIfELi16ELb0ELb0ELc84ELc85EKPKS1_KPS1_EviT_T0_PT6_S7_lSA_S7_lS8_PT7_S7_li,"axG",@progbits,_ZL32rocblas_syrkx_herkx_small_kernelIi19rocblas_complex_numIfELi16ELb0ELb0ELc84ELc85EKPKS1_KPS1_EviT_T0_PT6_S7_lSA_S7_lS8_PT7_S7_li,comdat
.Lfunc_end675:
	.size	_ZL32rocblas_syrkx_herkx_small_kernelIi19rocblas_complex_numIfELi16ELb0ELb0ELc84ELc85EKPKS1_KPS1_EviT_T0_PT6_S7_lSA_S7_lS8_PT7_S7_li, .Lfunc_end675-_ZL32rocblas_syrkx_herkx_small_kernelIi19rocblas_complex_numIfELi16ELb0ELb0ELc84ELc85EKPKS1_KPS1_EviT_T0_PT6_S7_lSA_S7_lS8_PT7_S7_li
                                        ; -- End function
	.section	.AMDGPU.csdata,"",@progbits
; Kernel info:
; codeLenInByte = 1452
; NumSgprs: 24
; NumVgprs: 68
; ScratchSize: 0
; MemoryBound: 1
; FloatMode: 240
; IeeeMode: 1
; LDSByteSize: 4096 bytes/workgroup (compile time only)
; SGPRBlocks: 2
; VGPRBlocks: 8
; NumSGPRsForWavesPerEU: 24
; NumVGPRsForWavesPerEU: 68
; Occupancy: 16
; WaveLimiterHint : 1
; COMPUTE_PGM_RSRC2:SCRATCH_EN: 0
; COMPUTE_PGM_RSRC2:USER_SGPR: 13
; COMPUTE_PGM_RSRC2:TRAP_HANDLER: 0
; COMPUTE_PGM_RSRC2:TGID_X_EN: 1
; COMPUTE_PGM_RSRC2:TGID_Y_EN: 1
; COMPUTE_PGM_RSRC2:TGID_Z_EN: 1
; COMPUTE_PGM_RSRC2:TIDIG_COMP_CNT: 1
	.section	.text._ZL32rocblas_syrkx_herkx_small_kernelIi19rocblas_complex_numIfELi16ELb0ELb0ELc67ELc85EKPKS1_KPS1_EviT_T0_PT6_S7_lSA_S7_lS8_PT7_S7_li,"axG",@progbits,_ZL32rocblas_syrkx_herkx_small_kernelIi19rocblas_complex_numIfELi16ELb0ELb0ELc67ELc85EKPKS1_KPS1_EviT_T0_PT6_S7_lSA_S7_lS8_PT7_S7_li,comdat
	.globl	_ZL32rocblas_syrkx_herkx_small_kernelIi19rocblas_complex_numIfELi16ELb0ELb0ELc67ELc85EKPKS1_KPS1_EviT_T0_PT6_S7_lSA_S7_lS8_PT7_S7_li ; -- Begin function _ZL32rocblas_syrkx_herkx_small_kernelIi19rocblas_complex_numIfELi16ELb0ELb0ELc67ELc85EKPKS1_KPS1_EviT_T0_PT6_S7_lSA_S7_lS8_PT7_S7_li
	.p2align	8
	.type	_ZL32rocblas_syrkx_herkx_small_kernelIi19rocblas_complex_numIfELi16ELb0ELb0ELc67ELc85EKPKS1_KPS1_EviT_T0_PT6_S7_lSA_S7_lS8_PT7_S7_li,@function
_ZL32rocblas_syrkx_herkx_small_kernelIi19rocblas_complex_numIfELi16ELb0ELb0ELc67ELc85EKPKS1_KPS1_EviT_T0_PT6_S7_lSA_S7_lS8_PT7_S7_li: ; @_ZL32rocblas_syrkx_herkx_small_kernelIi19rocblas_complex_numIfELi16ELb0ELb0ELc67ELc85EKPKS1_KPS1_EviT_T0_PT6_S7_lSA_S7_lS8_PT7_S7_li
; %bb.0:
	s_clause 0x1
	s_load_b128 s[4:7], s[0:1], 0x40
	s_load_b64 s[18:19], s[0:1], 0x0
	s_mov_b32 s16, s15
	s_mov_b32 s17, 0
	v_bfe_u32 v10, v0, 10, 10
	s_lshl_b64 s[20:21], s[16:17], 3
	v_dual_mov_b32 v16, 0 :: v_dual_and_b32 v11, 0x3ff, v0
	v_mov_b32_e32 v17, 0
	s_delay_alu instid0(VALU_DEP_3) | instskip(NEXT) | instid1(VALU_DEP_3)
	v_lshl_add_u32 v9, s14, 4, v10
	v_lshl_add_u32 v0, s13, 4, v11
	s_waitcnt lgkmcnt(0)
	s_add_u32 s2, s6, s20
	s_addc_u32 s3, s7, s21
	s_load_b128 s[8:11], s[0:1], 0x8
	s_load_b64 s[6:7], s[2:3], 0x0
	v_cmp_gt_i32_e64 s2, s18, v9
	s_cmp_lt_i32 s19, 1
	s_cbranch_scc1 .LBB676_9
; %bb.1:
	s_clause 0x2
	s_load_b64 s[12:13], s[0:1], 0x28
	s_load_b32 s3, s[0:1], 0x18
	s_load_b32 s14, s[0:1], 0x30
	v_dual_mov_b32 v16, 0 :: v_dual_lshlrev_b32 v7, 3, v10
	v_dual_mov_b32 v17, 0 :: v_dual_lshlrev_b32 v12, 3, v11
	;; [unrolled: 1-line block ×3, first 2 shown]
	v_cmp_gt_i32_e32 vcc_lo, s18, v0
	s_delay_alu instid0(VALU_DEP_2) | instskip(NEXT) | instid1(VALU_DEP_4)
	v_add_nc_u32_e32 v13, 0x800, v6
	v_add_nc_u32_e32 v14, v12, v6
	s_delay_alu instid0(VALU_DEP_2)
	v_add_nc_u32_e32 v15, v13, v12
	s_waitcnt lgkmcnt(0)
	s_add_u32 s12, s12, s20
	s_addc_u32 s13, s13, s21
	s_add_u32 s10, s10, s20
	s_addc_u32 s11, s11, s21
	v_mad_i64_i32 v[2:3], null, s3, v0, 0
	s_load_b64 s[10:11], s[10:11], 0x0
	v_mad_i64_i32 v[4:5], null, s14, v9, 0
	s_load_b64 s[12:13], s[12:13], 0x0
	s_delay_alu instid0(VALU_DEP_2) | instskip(NEXT) | instid1(VALU_DEP_2)
	v_lshlrev_b64 v[2:3], 3, v[2:3]
	v_lshlrev_b64 v[4:5], 3, v[4:5]
	s_delay_alu instid0(VALU_DEP_2) | instskip(NEXT) | instid1(VALU_DEP_1)
	v_add_co_u32 v2, s3, v2, v7
	v_add_co_ci_u32_e64 v3, s3, 0, v3, s3
	s_delay_alu instid0(VALU_DEP_3) | instskip(NEXT) | instid1(VALU_DEP_1)
	v_add_co_u32 v4, s3, v4, v12
	v_add_co_ci_u32_e64 v5, s3, 0, v5, s3
	s_waitcnt lgkmcnt(0)
	v_add_co_u32 v2, s3, v2, s10
	s_delay_alu instid0(VALU_DEP_1) | instskip(SKIP_1) | instid1(VALU_DEP_1)
	v_add_co_ci_u32_e64 v6, s3, s11, v3, s3
	v_add_co_u32 v3, s3, s12, v4
	v_add_co_ci_u32_e64 v4, s3, s13, v5, s3
	s_delay_alu instid0(VALU_DEP_4) | instskip(NEXT) | instid1(VALU_DEP_1)
	v_add_co_u32 v5, s3, v2, 4
	v_add_co_ci_u32_e64 v6, s3, 0, v6, s3
	s_xor_b32 s3, s2, -1
	s_branch .LBB676_3
.LBB676_2:                              ;   in Loop: Header=BB676_3 Depth=1
	s_or_b32 exec_lo, exec_lo, s2
	s_waitcnt lgkmcnt(0)
	s_barrier
	buffer_gl0_inv
	ds_load_2addr_b64 v[18:21], v12 offset1:16
	ds_load_b128 v[22:25], v13
	ds_load_b128 v[26:29], v13 offset:16
	ds_load_2addr_b64 v[30:33], v12 offset0:32 offset1:48
	ds_load_2addr_b64 v[34:37], v12 offset0:64 offset1:80
	ds_load_b128 v[38:41], v13 offset:32
	ds_load_b128 v[42:45], v13 offset:48
	ds_load_2addr_b64 v[46:49], v12 offset0:96 offset1:112
	ds_load_2addr_b64 v[50:53], v12 offset0:128 offset1:144
	ds_load_2addr_b64 v[54:57], v12 offset0:160 offset1:176
	ds_load_b128 v[58:61], v13 offset:64
	ds_load_b128 v[62:65], v13 offset:80
	v_add_co_u32 v3, s2, 0x80, v3
	s_delay_alu instid0(VALU_DEP_1) | instskip(SKIP_1) | instid1(VALU_DEP_1)
	v_add_co_ci_u32_e64 v4, s2, 0, v4, s2
	v_add_co_u32 v5, s2, 0x80, v5
	v_add_co_ci_u32_e64 v6, s2, 0, v6, s2
	s_add_i32 s17, s17, 16
	s_waitcnt lgkmcnt(10)
	v_mul_f32_e32 v2, v23, v19
	v_dual_mul_f32 v7, v22, v19 :: v_dual_mul_f32 v8, v25, v21
	v_mul_f32_e32 v19, v24, v21
	s_waitcnt lgkmcnt(8)
	v_dual_mul_f32 v21, v27, v31 :: v_dual_mul_f32 v66, v29, v33
	v_fma_f32 v2, v22, v18, -v2
	v_mul_f32_e32 v33, v28, v33
	v_fma_f32 v8, v24, v20, -v8
	s_waitcnt lgkmcnt(6)
	v_mul_f32_e32 v67, v39, v35
	v_fmac_f32_e32 v19, v25, v20
	v_add_f32_e32 v2, v17, v2
	v_fmac_f32_e32 v7, v23, v18
	v_fma_f32 v17, v26, v30, -v21
	v_mul_f32_e32 v18, v40, v37
	v_fma_f32 v20, v38, v34, -v67
	s_delay_alu instid0(VALU_DEP_4) | instskip(SKIP_3) | instid1(VALU_DEP_3)
	v_dual_add_f32 v2, v2, v8 :: v_dual_add_f32 v7, v16, v7
	s_waitcnt lgkmcnt(4)
	v_mul_f32_e32 v16, v43, v47
	v_dual_mul_f32 v31, v26, v31 :: v_dual_mul_f32 v22, v41, v37
	v_dual_add_f32 v2, v2, v17 :: v_dual_add_f32 v7, v7, v19
	v_fma_f32 v19, v28, v32, -v66
	v_fmac_f32_e32 v33, v29, v32
	v_dual_mul_f32 v35, v38, v35 :: v_dual_fmac_f32 v18, v41, v36
	v_dual_fmac_f32 v31, v27, v30 :: v_dual_mul_f32 v8, v42, v47
	s_delay_alu instid0(VALU_DEP_4)
	v_add_f32_e32 v2, v2, v19
	v_fma_f32 v19, v40, v36, -v22
	v_fma_f32 v16, v42, v46, -v16
	v_mul_f32_e32 v17, v45, v49
	v_dual_mul_f32 v21, v44, v49 :: v_dual_fmac_f32 v8, v43, v46
	v_dual_add_f32 v2, v2, v20 :: v_dual_fmac_f32 v35, v39, v34
	s_waitcnt lgkmcnt(1)
	v_mul_f32_e32 v20, v59, v51
	v_mul_f32_e32 v24, v58, v51
	v_fma_f32 v22, v44, v48, -v17
	v_add_f32_e32 v2, v2, v19
	v_add_f32_e32 v7, v7, v31
	s_delay_alu instid0(VALU_DEP_4) | instskip(NEXT) | instid1(VALU_DEP_3)
	v_dual_fmac_f32 v21, v45, v48 :: v_dual_fmac_f32 v24, v59, v50
	v_dual_mul_f32 v25, v61, v53 :: v_dual_add_f32 v2, v2, v16
	s_delay_alu instid0(VALU_DEP_3)
	v_add_f32_e32 v7, v7, v33
	v_mul_f32_e32 v26, v60, v53
	s_cmp_ge_i32 s17, s19
	s_waitcnt lgkmcnt(0)
	v_mul_f32_e32 v32, v62, v55
	v_dual_add_f32 v2, v2, v22 :: v_dual_add_f32 v7, v7, v35
	v_mul_f32_e32 v33, v65, v57
	v_mul_f32_e32 v34, v64, v57
	s_delay_alu instid0(VALU_DEP_4) | instskip(NEXT) | instid1(VALU_DEP_4)
	v_fmac_f32_e32 v32, v63, v54
	v_add_f32_e32 v7, v7, v18
	ds_load_2addr_b64 v[16:19], v12 offset0:192 offset1:208
	v_add_f32_e32 v7, v7, v8
	v_fma_f32 v8, v58, v50, -v20
	s_delay_alu instid0(VALU_DEP_1)
	v_dual_add_f32 v7, v7, v21 :: v_dual_add_f32 v2, v2, v8
	ds_load_b128 v[20:23], v13 offset:96
	v_fmac_f32_e32 v26, v61, v52
	v_fmac_f32_e32 v34, v65, v56
	v_add_f32_e32 v7, v7, v24
	v_mul_f32_e32 v24, v63, v55
	v_fma_f32 v8, v60, v52, -v25
	s_delay_alu instid0(VALU_DEP_1) | instskip(NEXT) | instid1(VALU_DEP_3)
	v_dual_add_f32 v7, v7, v26 :: v_dual_add_f32 v2, v2, v8
	v_fma_f32 v8, v62, v54, -v24
	ds_load_2addr_b64 v[24:27], v12 offset0:224 offset1:240
	ds_load_b128 v[28:31], v13 offset:112
	v_add_f32_e32 v7, v7, v32
	s_waitcnt lgkmcnt(0)
	s_barrier
	buffer_gl0_inv
	v_mul_f32_e32 v32, v21, v17
	v_dual_add_f32 v2, v2, v8 :: v_dual_add_f32 v7, v7, v34
	v_fma_f32 v8, v64, v56, -v33
	v_mul_f32_e32 v17, v20, v17
	s_delay_alu instid0(VALU_DEP_1) | instskip(NEXT) | instid1(VALU_DEP_3)
	v_fmac_f32_e32 v17, v21, v16
	v_add_f32_e32 v2, v2, v8
	v_fma_f32 v8, v20, v16, -v32
	v_mul_f32_e32 v16, v23, v19
	v_mul_f32_e32 v19, v22, v19
	s_delay_alu instid0(VALU_DEP_3) | instskip(NEXT) | instid1(VALU_DEP_3)
	v_dual_add_f32 v7, v7, v17 :: v_dual_add_f32 v2, v2, v8
	v_fma_f32 v8, v22, v18, -v16
	s_delay_alu instid0(VALU_DEP_3) | instskip(NEXT) | instid1(VALU_DEP_2)
	v_dual_fmac_f32 v19, v23, v18 :: v_dual_mul_f32 v16, v29, v25
	v_dual_mul_f32 v17, v28, v25 :: v_dual_add_f32 v2, v2, v8
	s_delay_alu instid0(VALU_DEP_2) | instskip(NEXT) | instid1(VALU_DEP_3)
	v_add_f32_e32 v7, v7, v19
	v_fma_f32 v8, v28, v24, -v16
	s_delay_alu instid0(VALU_DEP_3) | instskip(SKIP_1) | instid1(VALU_DEP_2)
	v_dual_fmac_f32 v17, v29, v24 :: v_dual_mul_f32 v16, v31, v27
	v_mul_f32_e32 v18, v30, v27
	v_dual_add_f32 v2, v2, v8 :: v_dual_add_f32 v7, v7, v17
	s_delay_alu instid0(VALU_DEP_3) | instskip(NEXT) | instid1(VALU_DEP_1)
	v_fma_f32 v8, v30, v26, -v16
	v_dual_fmac_f32 v18, v31, v26 :: v_dual_add_f32 v17, v2, v8
	s_delay_alu instid0(VALU_DEP_1)
	v_add_f32_e32 v16, v7, v18
	s_cbranch_scc1 .LBB676_9
.LBB676_3:                              ; =>This Inner Loop Header: Depth=1
	v_dual_mov_b32 v7, 0 :: v_dual_add_nc_u32 v2, s17, v10
	v_mov_b32_e32 v8, 0
	s_delay_alu instid0(VALU_DEP_2) | instskip(NEXT) | instid1(VALU_DEP_1)
	v_cmp_gt_i32_e64 s2, s19, v2
	s_and_b32 s10, vcc_lo, s2
	s_delay_alu instid0(SALU_CYCLE_1)
	s_and_saveexec_b32 s2, s10
	s_cbranch_execz .LBB676_5
; %bb.4:                                ;   in Loop: Header=BB676_3 Depth=1
	global_load_b64 v[7:8], v[5:6], off offset:-4
.LBB676_5:                              ;   in Loop: Header=BB676_3 Depth=1
	s_or_b32 exec_lo, exec_lo, s2
	v_add_nc_u32_e32 v2, s17, v11
	s_waitcnt vmcnt(0)
	ds_store_b64 v14, v[7:8]
	v_cmp_le_i32_e64 s2, s19, v2
	s_delay_alu instid0(VALU_DEP_1) | instskip(NEXT) | instid1(SALU_CYCLE_1)
	s_or_b32 s2, s3, s2
	s_and_saveexec_b32 s10, s2
	s_delay_alu instid0(SALU_CYCLE_1)
	s_xor_b32 s2, exec_lo, s10
	s_cbranch_execz .LBB676_7
; %bb.6:                                ;   in Loop: Header=BB676_3 Depth=1
	v_mov_b32_e32 v2, v1
	ds_store_b64 v15, v[1:2]
.LBB676_7:                              ;   in Loop: Header=BB676_3 Depth=1
	s_and_not1_saveexec_b32 s2, s2
	s_cbranch_execz .LBB676_2
; %bb.8:                                ;   in Loop: Header=BB676_3 Depth=1
	global_load_b64 v[7:8], v[3:4], off
	s_waitcnt vmcnt(0)
	ds_store_b64 v15, v[7:8]
	s_branch .LBB676_2
.LBB676_9:
	v_cmp_le_i32_e32 vcc_lo, v0, v9
	v_cmp_gt_i32_e64 s2, s18, v9
	s_delay_alu instid0(VALU_DEP_1) | instskip(NEXT) | instid1(SALU_CYCLE_1)
	s_and_b32 s2, vcc_lo, s2
	s_and_saveexec_b32 s3, s2
	s_cbranch_execz .LBB676_11
; %bb.10:
	s_load_b32 s0, s[0:1], 0x50
	v_ashrrev_i32_e32 v1, 31, v0
	s_delay_alu instid0(VALU_DEP_1) | instskip(SKIP_2) | instid1(VALU_DEP_1)
	v_lshlrev_b64 v[0:1], 3, v[0:1]
	s_waitcnt lgkmcnt(0)
	v_mad_i64_i32 v[2:3], null, s0, v9, 0
	v_lshlrev_b64 v[2:3], 3, v[2:3]
	s_delay_alu instid0(VALU_DEP_1) | instskip(NEXT) | instid1(VALU_DEP_2)
	v_add_co_u32 v2, vcc_lo, s6, v2
	v_add_co_ci_u32_e32 v3, vcc_lo, s7, v3, vcc_lo
	s_delay_alu instid0(VALU_DEP_2) | instskip(NEXT) | instid1(VALU_DEP_2)
	v_add_co_u32 v0, vcc_lo, v2, v0
	v_add_co_ci_u32_e32 v1, vcc_lo, v3, v1, vcc_lo
	global_load_b64 v[2:3], v[0:1], off
	v_mul_f32_e32 v4, s9, v16
	s_waitcnt vmcnt(0)
	v_dual_mul_f32 v5, s8, v16 :: v_dual_mul_f32 v6, s5, v3
	v_mul_f32_e32 v3, s4, v3
	s_delay_alu instid0(VALU_DEP_3) | instskip(NEXT) | instid1(VALU_DEP_3)
	v_fma_f32 v4, v17, s8, -v4
	v_fma_f32 v6, v2, s4, -v6
	s_delay_alu instid0(VALU_DEP_4) | instskip(NEXT) | instid1(VALU_DEP_4)
	v_fmac_f32_e32 v5, s9, v17
	v_fmac_f32_e32 v3, s5, v2
	s_delay_alu instid0(VALU_DEP_1)
	v_dual_add_f32 v2, v4, v6 :: v_dual_add_f32 v3, v5, v3
	global_store_b64 v[0:1], v[2:3], off
.LBB676_11:
	s_nop 0
	s_sendmsg sendmsg(MSG_DEALLOC_VGPRS)
	s_endpgm
	.section	.rodata,"a",@progbits
	.p2align	6, 0x0
	.amdhsa_kernel _ZL32rocblas_syrkx_herkx_small_kernelIi19rocblas_complex_numIfELi16ELb0ELb0ELc67ELc85EKPKS1_KPS1_EviT_T0_PT6_S7_lSA_S7_lS8_PT7_S7_li
		.amdhsa_group_segment_fixed_size 4096
		.amdhsa_private_segment_fixed_size 0
		.amdhsa_kernarg_size 100
		.amdhsa_user_sgpr_count 13
		.amdhsa_user_sgpr_dispatch_ptr 0
		.amdhsa_user_sgpr_queue_ptr 0
		.amdhsa_user_sgpr_kernarg_segment_ptr 1
		.amdhsa_user_sgpr_dispatch_id 0
		.amdhsa_user_sgpr_private_segment_size 0
		.amdhsa_wavefront_size32 1
		.amdhsa_uses_dynamic_stack 0
		.amdhsa_enable_private_segment 0
		.amdhsa_system_sgpr_workgroup_id_x 1
		.amdhsa_system_sgpr_workgroup_id_y 1
		.amdhsa_system_sgpr_workgroup_id_z 1
		.amdhsa_system_sgpr_workgroup_info 0
		.amdhsa_system_vgpr_workitem_id 1
		.amdhsa_next_free_vgpr 68
		.amdhsa_next_free_sgpr 22
		.amdhsa_reserve_vcc 1
		.amdhsa_float_round_mode_32 0
		.amdhsa_float_round_mode_16_64 0
		.amdhsa_float_denorm_mode_32 3
		.amdhsa_float_denorm_mode_16_64 3
		.amdhsa_dx10_clamp 1
		.amdhsa_ieee_mode 1
		.amdhsa_fp16_overflow 0
		.amdhsa_workgroup_processor_mode 1
		.amdhsa_memory_ordered 1
		.amdhsa_forward_progress 0
		.amdhsa_shared_vgpr_count 0
		.amdhsa_exception_fp_ieee_invalid_op 0
		.amdhsa_exception_fp_denorm_src 0
		.amdhsa_exception_fp_ieee_div_zero 0
		.amdhsa_exception_fp_ieee_overflow 0
		.amdhsa_exception_fp_ieee_underflow 0
		.amdhsa_exception_fp_ieee_inexact 0
		.amdhsa_exception_int_div_zero 0
	.end_amdhsa_kernel
	.section	.text._ZL32rocblas_syrkx_herkx_small_kernelIi19rocblas_complex_numIfELi16ELb0ELb0ELc67ELc85EKPKS1_KPS1_EviT_T0_PT6_S7_lSA_S7_lS8_PT7_S7_li,"axG",@progbits,_ZL32rocblas_syrkx_herkx_small_kernelIi19rocblas_complex_numIfELi16ELb0ELb0ELc67ELc85EKPKS1_KPS1_EviT_T0_PT6_S7_lSA_S7_lS8_PT7_S7_li,comdat
.Lfunc_end676:
	.size	_ZL32rocblas_syrkx_herkx_small_kernelIi19rocblas_complex_numIfELi16ELb0ELb0ELc67ELc85EKPKS1_KPS1_EviT_T0_PT6_S7_lSA_S7_lS8_PT7_S7_li, .Lfunc_end676-_ZL32rocblas_syrkx_herkx_small_kernelIi19rocblas_complex_numIfELi16ELb0ELb0ELc67ELc85EKPKS1_KPS1_EviT_T0_PT6_S7_lSA_S7_lS8_PT7_S7_li
                                        ; -- End function
	.section	.AMDGPU.csdata,"",@progbits
; Kernel info:
; codeLenInByte = 1468
; NumSgprs: 24
; NumVgprs: 68
; ScratchSize: 0
; MemoryBound: 1
; FloatMode: 240
; IeeeMode: 1
; LDSByteSize: 4096 bytes/workgroup (compile time only)
; SGPRBlocks: 2
; VGPRBlocks: 8
; NumSGPRsForWavesPerEU: 24
; NumVGPRsForWavesPerEU: 68
; Occupancy: 16
; WaveLimiterHint : 1
; COMPUTE_PGM_RSRC2:SCRATCH_EN: 0
; COMPUTE_PGM_RSRC2:USER_SGPR: 13
; COMPUTE_PGM_RSRC2:TRAP_HANDLER: 0
; COMPUTE_PGM_RSRC2:TGID_X_EN: 1
; COMPUTE_PGM_RSRC2:TGID_Y_EN: 1
; COMPUTE_PGM_RSRC2:TGID_Z_EN: 1
; COMPUTE_PGM_RSRC2:TIDIG_COMP_CNT: 1
	.section	.text._ZL32rocblas_syrkx_herkx_small_kernelIi19rocblas_complex_numIfELi16ELb0ELb0ELc78ELc85EKPKS1_KPS1_EviT_T0_PT6_S7_lSA_S7_lS8_PT7_S7_li,"axG",@progbits,_ZL32rocblas_syrkx_herkx_small_kernelIi19rocblas_complex_numIfELi16ELb0ELb0ELc78ELc85EKPKS1_KPS1_EviT_T0_PT6_S7_lSA_S7_lS8_PT7_S7_li,comdat
	.globl	_ZL32rocblas_syrkx_herkx_small_kernelIi19rocblas_complex_numIfELi16ELb0ELb0ELc78ELc85EKPKS1_KPS1_EviT_T0_PT6_S7_lSA_S7_lS8_PT7_S7_li ; -- Begin function _ZL32rocblas_syrkx_herkx_small_kernelIi19rocblas_complex_numIfELi16ELb0ELb0ELc78ELc85EKPKS1_KPS1_EviT_T0_PT6_S7_lSA_S7_lS8_PT7_S7_li
	.p2align	8
	.type	_ZL32rocblas_syrkx_herkx_small_kernelIi19rocblas_complex_numIfELi16ELb0ELb0ELc78ELc85EKPKS1_KPS1_EviT_T0_PT6_S7_lSA_S7_lS8_PT7_S7_li,@function
_ZL32rocblas_syrkx_herkx_small_kernelIi19rocblas_complex_numIfELi16ELb0ELb0ELc78ELc85EKPKS1_KPS1_EviT_T0_PT6_S7_lSA_S7_lS8_PT7_S7_li: ; @_ZL32rocblas_syrkx_herkx_small_kernelIi19rocblas_complex_numIfELi16ELb0ELb0ELc78ELc85EKPKS1_KPS1_EviT_T0_PT6_S7_lSA_S7_lS8_PT7_S7_li
; %bb.0:
	s_clause 0x1
	s_load_b128 s[4:7], s[0:1], 0x40
	s_load_b64 s[18:19], s[0:1], 0x0
	s_mov_b32 s16, s15
	s_mov_b32 s17, 0
	v_dual_mov_b32 v17, 0 :: v_dual_and_b32 v12, 0x3ff, v0
	s_lshl_b64 s[20:21], s[16:17], 3
	v_bfe_u32 v13, v0, 10, 10
	v_mov_b32_e32 v18, 0
	s_delay_alu instid0(VALU_DEP_3) | instskip(NEXT) | instid1(VALU_DEP_3)
	v_lshl_add_u32 v0, s13, 4, v12
	v_lshl_add_u32 v2, s14, 4, v13
	s_delay_alu instid0(VALU_DEP_2)
	v_ashrrev_i32_e32 v1, 31, v0
	s_waitcnt lgkmcnt(0)
	s_add_u32 s2, s6, s20
	s_addc_u32 s3, s7, s21
	s_load_b128 s[8:11], s[0:1], 0x8
	s_load_b64 s[6:7], s[2:3], 0x0
	v_cmp_gt_i32_e32 vcc_lo, s18, v2
	s_cmp_lt_i32 s19, 1
	s_cbranch_scc1 .LBB677_9
; %bb.1:
	s_clause 0x2
	s_load_b32 s12, s[0:1], 0x18
	s_load_b32 s14, s[0:1], 0x30
	s_load_b64 s[22:23], s[0:1], 0x28
	v_ashrrev_i32_e32 v3, 31, v2
	v_lshlrev_b64 v[5:6], 3, v[0:1]
	v_dual_mov_b32 v4, 0 :: v_dual_lshlrev_b32 v11, 7, v13
	v_dual_mov_b32 v17, 0 :: v_dual_lshlrev_b32 v14, 3, v12
	s_delay_alu instid0(VALU_DEP_4) | instskip(NEXT) | instid1(VALU_DEP_3)
	v_lshlrev_b64 v[18:19], 3, v[2:3]
	v_add_nc_u32_e32 v15, 0x800, v11
	v_cmp_gt_i32_e64 s2, s18, v0
	s_delay_alu instid0(VALU_DEP_4)
	v_add_nc_u32_e32 v3, v14, v11
	s_waitcnt lgkmcnt(0)
	s_ashr_i32 s13, s12, 31
	s_ashr_i32 s15, s14, 31
	s_add_u32 s22, s22, s20
	s_addc_u32 s23, s23, s21
	v_mad_i64_i32 v[7:8], null, s14, v12, 0
	s_load_b64 s[22:23], s[22:23], 0x0
	s_add_u32 s10, s10, s20
	s_addc_u32 s11, s11, s21
	v_mad_i64_i32 v[9:10], null, s12, v13, 0
	s_load_b64 s[10:11], s[10:11], 0x0
	s_delay_alu instid0(VALU_DEP_2) | instskip(SKIP_1) | instid1(VALU_DEP_2)
	v_lshlrev_b64 v[7:8], 3, v[7:8]
	s_lshl_b64 s[12:13], s[12:13], 7
	v_lshlrev_b64 v[9:10], 3, v[9:10]
	s_delay_alu instid0(VALU_DEP_2) | instskip(SKIP_1) | instid1(VALU_DEP_4)
	v_add_co_u32 v7, s3, v7, v18
	v_mov_b32_e32 v18, 0
	v_add_co_ci_u32_e64 v8, s3, v8, v19, s3
	s_delay_alu instid0(VALU_DEP_4) | instskip(NEXT) | instid1(VALU_DEP_1)
	v_add_co_u32 v5, s3, v9, v5
	v_add_co_ci_u32_e64 v9, s3, v10, v6, s3
	s_waitcnt lgkmcnt(0)
	v_add_co_u32 v10, s3, v7, s22
	s_delay_alu instid0(VALU_DEP_1) | instskip(SKIP_1) | instid1(VALU_DEP_1)
	v_add_co_ci_u32_e64 v11, s3, s23, v8, s3
	v_add_co_u32 v6, s3, s10, v5
	v_add_co_ci_u32_e64 v7, s3, s11, v9, s3
	s_delay_alu instid0(VALU_DEP_4)
	v_add_co_u32 v8, s3, v10, 4
	v_add_nc_u32_e32 v16, v15, v14
	v_add_co_ci_u32_e64 v9, s3, 0, v11, s3
	s_lshl_b64 s[10:11], s[14:15], 7
	s_xor_b32 s3, s2, -1
	s_branch .LBB677_3
.LBB677_2:                              ;   in Loop: Header=BB677_3 Depth=1
	s_or_b32 exec_lo, exec_lo, s2
	s_waitcnt vmcnt(0)
	ds_store_b64 v16, v[10:11]
	s_waitcnt lgkmcnt(0)
	s_barrier
	buffer_gl0_inv
	ds_load_2addr_b64 v[19:22], v14 offset1:16
	ds_load_b128 v[23:26], v15
	ds_load_b128 v[27:30], v15 offset:16
	ds_load_2addr_b64 v[31:34], v14 offset0:32 offset1:48
	ds_load_2addr_b64 v[35:38], v14 offset0:64 offset1:80
	ds_load_b128 v[39:42], v15 offset:32
	ds_load_b128 v[43:46], v15 offset:48
	ds_load_2addr_b64 v[47:50], v14 offset0:96 offset1:112
	ds_load_2addr_b64 v[51:54], v14 offset0:128 offset1:144
	;; [unrolled: 1-line block ×3, first 2 shown]
	ds_load_b128 v[59:62], v15 offset:64
	ds_load_b128 v[63:66], v15 offset:80
	v_add_co_u32 v8, s2, v8, s10
	s_delay_alu instid0(VALU_DEP_1) | instskip(SKIP_1) | instid1(VALU_DEP_1)
	v_add_co_ci_u32_e64 v9, s2, s11, v9, s2
	v_add_co_u32 v6, s2, v6, s12
	v_add_co_ci_u32_e64 v7, s2, s13, v7, s2
	s_add_i32 s17, s17, 16
	s_waitcnt lgkmcnt(10)
	v_mul_f32_e32 v5, v24, v20
	v_dual_mul_f32 v10, v23, v20 :: v_dual_mul_f32 v11, v26, v22
	v_mul_f32_e32 v20, v25, v22
	s_waitcnt lgkmcnt(8)
	v_dual_mul_f32 v22, v28, v32 :: v_dual_mul_f32 v67, v30, v34
	v_fma_f32 v5, v23, v19, -v5
	v_mul_f32_e32 v32, v27, v32
	v_fma_f32 v11, v25, v21, -v11
	s_waitcnt lgkmcnt(6)
	v_dual_mul_f32 v34, v29, v34 :: v_dual_mul_f32 v23, v39, v36
	v_dual_add_f32 v5, v18, v5 :: v_dual_mul_f32 v68, v40, v36
	v_mul_f32_e32 v36, v42, v38
	v_fmac_f32_e32 v32, v28, v31
	v_mul_f32_e32 v18, v41, v38
	s_delay_alu instid0(VALU_DEP_4)
	v_add_f32_e32 v5, v5, v11
	v_fmac_f32_e32 v10, v24, v19
	v_fma_f32 v19, v29, v33, -v67
	s_waitcnt lgkmcnt(4)
	v_mul_f32_e32 v11, v44, v48
	v_fmac_f32_e32 v23, v40, v35
	s_cmp_ge_i32 s17, s19
	v_add_f32_e32 v10, v17, v10
	v_fma_f32 v17, v27, v31, -v22
	v_fma_f32 v11, v43, v47, -v11
	s_delay_alu instid0(VALU_DEP_2) | instskip(SKIP_3) | instid1(VALU_DEP_3)
	v_add_f32_e32 v5, v5, v17
	v_fmac_f32_e32 v20, v26, v21
	v_fma_f32 v21, v41, v37, -v36
	v_mul_f32_e32 v17, v43, v48
	v_dual_add_f32 v5, v5, v19 :: v_dual_add_f32 v10, v10, v20
	v_fma_f32 v20, v39, v35, -v68
	v_fmac_f32_e32 v34, v30, v33
	v_mul_f32_e32 v19, v46, v50
	v_fmac_f32_e32 v17, v44, v47
	s_waitcnt lgkmcnt(0)
	v_mul_f32_e32 v33, v63, v56
	v_add_f32_e32 v5, v5, v20
	v_mul_f32_e32 v20, v45, v50
	v_mul_f32_e32 v26, v61, v54
	;; [unrolled: 1-line block ×3, first 2 shown]
	v_fmac_f32_e32 v33, v64, v55
	v_dual_add_f32 v5, v5, v21 :: v_dual_add_f32 v10, v10, v32
	v_dual_fmac_f32 v18, v42, v37 :: v_dual_mul_f32 v21, v60, v52
	s_delay_alu instid0(VALU_DEP_2) | instskip(SKIP_1) | instid1(VALU_DEP_2)
	v_dual_add_f32 v5, v5, v11 :: v_dual_add_f32 v10, v10, v34
	v_dual_mul_f32 v11, v59, v52 :: v_dual_fmac_f32 v20, v46, v49
	v_add_f32_e32 v10, v10, v23
	s_delay_alu instid0(VALU_DEP_1) | instskip(SKIP_1) | instid1(VALU_DEP_2)
	v_dual_fmac_f32 v11, v60, v51 :: v_dual_add_f32 v10, v10, v18
	v_fma_f32 v18, v45, v49, -v19
	v_add_f32_e32 v10, v10, v17
	v_fma_f32 v17, v59, v51, -v21
	s_delay_alu instid0(VALU_DEP_2) | instskip(NEXT) | instid1(VALU_DEP_1)
	v_dual_add_f32 v5, v5, v18 :: v_dual_add_f32 v10, v10, v20
	v_add_f32_e32 v5, v5, v17
	ds_load_2addr_b64 v[17:20], v14 offset0:192 offset1:208
	ds_load_b128 v[21:24], v15 offset:96
	v_mul_f32_e32 v25, v62, v54
	v_add_f32_e32 v10, v10, v11
	v_fmac_f32_e32 v35, v66, v57
	s_delay_alu instid0(VALU_DEP_3) | instskip(SKIP_1) | instid1(VALU_DEP_2)
	v_fma_f32 v11, v61, v53, -v25
	v_dual_fmac_f32 v26, v62, v53 :: v_dual_mul_f32 v25, v64, v56
	v_add_f32_e32 v5, v5, v11
	s_delay_alu instid0(VALU_DEP_2) | instskip(NEXT) | instid1(VALU_DEP_3)
	v_fma_f32 v11, v63, v55, -v25
	v_add_f32_e32 v10, v10, v26
	ds_load_2addr_b64 v[25:28], v14 offset0:224 offset1:240
	ds_load_b128 v[29:32], v15 offset:112
	s_waitcnt lgkmcnt(0)
	s_barrier
	v_dual_add_f32 v5, v5, v11 :: v_dual_mul_f32 v34, v66, v58
	v_add_f32_e32 v10, v10, v33
	v_mul_f32_e32 v33, v22, v18
	v_mul_f32_e32 v18, v21, v18
	buffer_gl0_inv
	v_fma_f32 v11, v65, v57, -v34
	s_delay_alu instid0(VALU_DEP_1) | instskip(SKIP_3) | instid1(VALU_DEP_3)
	v_add_f32_e32 v5, v5, v11
	v_fma_f32 v11, v21, v17, -v33
	v_dual_fmac_f32 v18, v22, v17 :: v_dual_mul_f32 v17, v24, v20
	v_add_f32_e32 v10, v10, v35
	v_dual_mul_f32 v20, v23, v20 :: v_dual_add_f32 v5, v5, v11
	s_delay_alu instid0(VALU_DEP_3) | instskip(NEXT) | instid1(VALU_DEP_2)
	v_fma_f32 v11, v23, v19, -v17
	v_dual_mul_f32 v17, v30, v26 :: v_dual_fmac_f32 v20, v24, v19
	v_mul_f32_e32 v19, v31, v28
	s_delay_alu instid0(VALU_DEP_3) | instskip(NEXT) | instid1(VALU_DEP_3)
	v_add_f32_e32 v5, v5, v11
	v_fma_f32 v11, v29, v25, -v17
	v_dual_mul_f32 v17, v32, v28 :: v_dual_add_f32 v10, v10, v18
	s_delay_alu instid0(VALU_DEP_4) | instskip(NEXT) | instid1(VALU_DEP_2)
	v_dual_mul_f32 v18, v29, v26 :: v_dual_fmac_f32 v19, v32, v27
	v_add_f32_e32 v10, v10, v20
	s_delay_alu instid0(VALU_DEP_2) | instskip(NEXT) | instid1(VALU_DEP_4)
	v_dual_fmac_f32 v18, v30, v25 :: v_dual_add_f32 v5, v5, v11
	v_fma_f32 v11, v31, v27, -v17
	s_delay_alu instid0(VALU_DEP_2) | instskip(NEXT) | instid1(VALU_DEP_2)
	v_add_f32_e32 v10, v10, v18
	v_add_f32_e32 v18, v5, v11
	s_delay_alu instid0(VALU_DEP_2)
	v_add_f32_e32 v17, v10, v19
	s_cbranch_scc1 .LBB677_9
.LBB677_3:                              ; =>This Inner Loop Header: Depth=1
	v_add_nc_u32_e32 v5, s17, v13
	s_delay_alu instid0(VALU_DEP_1) | instskip(NEXT) | instid1(VALU_DEP_1)
	v_cmp_le_i32_e64 s2, s19, v5
	s_or_b32 s2, s3, s2
	s_delay_alu instid0(SALU_CYCLE_1) | instskip(NEXT) | instid1(SALU_CYCLE_1)
	s_and_saveexec_b32 s14, s2
	s_xor_b32 s2, exec_lo, s14
	s_cbranch_execz .LBB677_5
; %bb.4:                                ;   in Loop: Header=BB677_3 Depth=1
	v_mov_b32_e32 v5, v4
	ds_store_b64 v3, v[4:5]
.LBB677_5:                              ;   in Loop: Header=BB677_3 Depth=1
	s_and_not1_saveexec_b32 s2, s2
	s_cbranch_execz .LBB677_7
; %bb.6:                                ;   in Loop: Header=BB677_3 Depth=1
	global_load_b64 v[10:11], v[6:7], off
	s_waitcnt vmcnt(0)
	ds_store_b64 v3, v[10:11]
.LBB677_7:                              ;   in Loop: Header=BB677_3 Depth=1
	s_or_b32 exec_lo, exec_lo, s2
	v_dual_mov_b32 v10, 0 :: v_dual_add_nc_u32 v5, s17, v12
	v_mov_b32_e32 v11, 0
	s_delay_alu instid0(VALU_DEP_2) | instskip(NEXT) | instid1(VALU_DEP_1)
	v_cmp_gt_i32_e64 s2, s19, v5
	s_and_b32 s14, vcc_lo, s2
	s_delay_alu instid0(SALU_CYCLE_1)
	s_and_saveexec_b32 s2, s14
	s_cbranch_execz .LBB677_2
; %bb.8:                                ;   in Loop: Header=BB677_3 Depth=1
	global_load_b64 v[10:11], v[8:9], off offset:-4
	s_branch .LBB677_2
.LBB677_9:
	v_cmp_le_i32_e32 vcc_lo, v0, v2
	v_cmp_gt_i32_e64 s2, s18, v2
	s_delay_alu instid0(VALU_DEP_1) | instskip(NEXT) | instid1(SALU_CYCLE_1)
	s_and_b32 s2, vcc_lo, s2
	s_and_saveexec_b32 s3, s2
	s_cbranch_execz .LBB677_11
; %bb.10:
	s_load_b32 s0, s[0:1], 0x50
	v_lshlrev_b64 v[0:1], 3, v[0:1]
	s_waitcnt lgkmcnt(0)
	v_mad_i64_i32 v[3:4], null, s0, v2, 0
	s_delay_alu instid0(VALU_DEP_1) | instskip(NEXT) | instid1(VALU_DEP_1)
	v_lshlrev_b64 v[2:3], 3, v[3:4]
	v_add_co_u32 v2, vcc_lo, s6, v2
	s_delay_alu instid0(VALU_DEP_2) | instskip(NEXT) | instid1(VALU_DEP_2)
	v_add_co_ci_u32_e32 v3, vcc_lo, s7, v3, vcc_lo
	v_add_co_u32 v0, vcc_lo, v2, v0
	s_delay_alu instid0(VALU_DEP_2)
	v_add_co_ci_u32_e32 v1, vcc_lo, v3, v1, vcc_lo
	global_load_b64 v[2:3], v[0:1], off
	v_mul_f32_e32 v4, s9, v17
	s_waitcnt vmcnt(0)
	v_dual_mul_f32 v5, s8, v17 :: v_dual_mul_f32 v6, s5, v3
	v_mul_f32_e32 v3, s4, v3
	s_delay_alu instid0(VALU_DEP_3) | instskip(NEXT) | instid1(VALU_DEP_3)
	v_fma_f32 v4, v18, s8, -v4
	v_fmac_f32_e32 v5, s9, v18
	s_delay_alu instid0(VALU_DEP_4) | instskip(NEXT) | instid1(VALU_DEP_4)
	v_fma_f32 v6, v2, s4, -v6
	v_fmac_f32_e32 v3, s5, v2
	s_delay_alu instid0(VALU_DEP_1)
	v_dual_add_f32 v2, v4, v6 :: v_dual_add_f32 v3, v5, v3
	global_store_b64 v[0:1], v[2:3], off
.LBB677_11:
	s_nop 0
	s_sendmsg sendmsg(MSG_DEALLOC_VGPRS)
	s_endpgm
	.section	.rodata,"a",@progbits
	.p2align	6, 0x0
	.amdhsa_kernel _ZL32rocblas_syrkx_herkx_small_kernelIi19rocblas_complex_numIfELi16ELb0ELb0ELc78ELc85EKPKS1_KPS1_EviT_T0_PT6_S7_lSA_S7_lS8_PT7_S7_li
		.amdhsa_group_segment_fixed_size 4096
		.amdhsa_private_segment_fixed_size 0
		.amdhsa_kernarg_size 100
		.amdhsa_user_sgpr_count 13
		.amdhsa_user_sgpr_dispatch_ptr 0
		.amdhsa_user_sgpr_queue_ptr 0
		.amdhsa_user_sgpr_kernarg_segment_ptr 1
		.amdhsa_user_sgpr_dispatch_id 0
		.amdhsa_user_sgpr_private_segment_size 0
		.amdhsa_wavefront_size32 1
		.amdhsa_uses_dynamic_stack 0
		.amdhsa_enable_private_segment 0
		.amdhsa_system_sgpr_workgroup_id_x 1
		.amdhsa_system_sgpr_workgroup_id_y 1
		.amdhsa_system_sgpr_workgroup_id_z 1
		.amdhsa_system_sgpr_workgroup_info 0
		.amdhsa_system_vgpr_workitem_id 1
		.amdhsa_next_free_vgpr 69
		.amdhsa_next_free_sgpr 24
		.amdhsa_reserve_vcc 1
		.amdhsa_float_round_mode_32 0
		.amdhsa_float_round_mode_16_64 0
		.amdhsa_float_denorm_mode_32 3
		.amdhsa_float_denorm_mode_16_64 3
		.amdhsa_dx10_clamp 1
		.amdhsa_ieee_mode 1
		.amdhsa_fp16_overflow 0
		.amdhsa_workgroup_processor_mode 1
		.amdhsa_memory_ordered 1
		.amdhsa_forward_progress 0
		.amdhsa_shared_vgpr_count 0
		.amdhsa_exception_fp_ieee_invalid_op 0
		.amdhsa_exception_fp_denorm_src 0
		.amdhsa_exception_fp_ieee_div_zero 0
		.amdhsa_exception_fp_ieee_overflow 0
		.amdhsa_exception_fp_ieee_underflow 0
		.amdhsa_exception_fp_ieee_inexact 0
		.amdhsa_exception_int_div_zero 0
	.end_amdhsa_kernel
	.section	.text._ZL32rocblas_syrkx_herkx_small_kernelIi19rocblas_complex_numIfELi16ELb0ELb0ELc78ELc85EKPKS1_KPS1_EviT_T0_PT6_S7_lSA_S7_lS8_PT7_S7_li,"axG",@progbits,_ZL32rocblas_syrkx_herkx_small_kernelIi19rocblas_complex_numIfELi16ELb0ELb0ELc78ELc85EKPKS1_KPS1_EviT_T0_PT6_S7_lSA_S7_lS8_PT7_S7_li,comdat
.Lfunc_end677:
	.size	_ZL32rocblas_syrkx_herkx_small_kernelIi19rocblas_complex_numIfELi16ELb0ELb0ELc78ELc85EKPKS1_KPS1_EviT_T0_PT6_S7_lSA_S7_lS8_PT7_S7_li, .Lfunc_end677-_ZL32rocblas_syrkx_herkx_small_kernelIi19rocblas_complex_numIfELi16ELb0ELb0ELc78ELc85EKPKS1_KPS1_EviT_T0_PT6_S7_lSA_S7_lS8_PT7_S7_li
                                        ; -- End function
	.section	.AMDGPU.csdata,"",@progbits
; Kernel info:
; codeLenInByte = 1492
; NumSgprs: 26
; NumVgprs: 69
; ScratchSize: 0
; MemoryBound: 1
; FloatMode: 240
; IeeeMode: 1
; LDSByteSize: 4096 bytes/workgroup (compile time only)
; SGPRBlocks: 3
; VGPRBlocks: 8
; NumSGPRsForWavesPerEU: 26
; NumVGPRsForWavesPerEU: 69
; Occupancy: 16
; WaveLimiterHint : 1
; COMPUTE_PGM_RSRC2:SCRATCH_EN: 0
; COMPUTE_PGM_RSRC2:USER_SGPR: 13
; COMPUTE_PGM_RSRC2:TRAP_HANDLER: 0
; COMPUTE_PGM_RSRC2:TGID_X_EN: 1
; COMPUTE_PGM_RSRC2:TGID_Y_EN: 1
; COMPUTE_PGM_RSRC2:TGID_Z_EN: 1
; COMPUTE_PGM_RSRC2:TIDIG_COMP_CNT: 1
	.section	.text._ZL34rocblas_syrkx_herkx_general_kernelIi19rocblas_complex_numIfELi16ELi32ELi8ELb1ELb0ELc84ELc76EKPKS1_KPS1_EviT_T0_PT8_S7_lSA_S7_lS8_PT9_S7_li,"axG",@progbits,_ZL34rocblas_syrkx_herkx_general_kernelIi19rocblas_complex_numIfELi16ELi32ELi8ELb1ELb0ELc84ELc76EKPKS1_KPS1_EviT_T0_PT8_S7_lSA_S7_lS8_PT9_S7_li,comdat
	.globl	_ZL34rocblas_syrkx_herkx_general_kernelIi19rocblas_complex_numIfELi16ELi32ELi8ELb1ELb0ELc84ELc76EKPKS1_KPS1_EviT_T0_PT8_S7_lSA_S7_lS8_PT9_S7_li ; -- Begin function _ZL34rocblas_syrkx_herkx_general_kernelIi19rocblas_complex_numIfELi16ELi32ELi8ELb1ELb0ELc84ELc76EKPKS1_KPS1_EviT_T0_PT8_S7_lSA_S7_lS8_PT9_S7_li
	.p2align	8
	.type	_ZL34rocblas_syrkx_herkx_general_kernelIi19rocblas_complex_numIfELi16ELi32ELi8ELb1ELb0ELc84ELc76EKPKS1_KPS1_EviT_T0_PT8_S7_lSA_S7_lS8_PT9_S7_li,@function
_ZL34rocblas_syrkx_herkx_general_kernelIi19rocblas_complex_numIfELi16ELi32ELi8ELb1ELb0ELc84ELc76EKPKS1_KPS1_EviT_T0_PT8_S7_lSA_S7_lS8_PT9_S7_li: ; @_ZL34rocblas_syrkx_herkx_general_kernelIi19rocblas_complex_numIfELi16ELi32ELi8ELb1ELb0ELc84ELc76EKPKS1_KPS1_EviT_T0_PT8_S7_lSA_S7_lS8_PT9_S7_li
; %bb.0:
	s_clause 0x1
	s_load_b64 s[4:5], s[0:1], 0x48
	s_load_b64 s[10:11], s[0:1], 0x0
	s_mov_b32 s16, s15
	s_mov_b32 s17, 0
	v_dual_mov_b32 v21, 0 :: v_dual_and_b32 v6, 0x3ff, v0
	s_lshl_b64 s[2:3], s[16:17], 3
	v_bfe_u32 v7, v0, 10, 10
	v_dual_mov_b32 v20, 0 :: v_dual_mov_b32 v19, 0
	v_dual_mov_b32 v18, 0 :: v_dual_mov_b32 v17, 0
	;; [unrolled: 1-line block ×3, first 2 shown]
	v_mov_b32_e32 v14, 0
	s_waitcnt lgkmcnt(0)
	s_add_u32 s8, s4, s2
	s_addc_u32 s9, s5, s3
	s_load_b128 s[4:7], s[0:1], 0x8
	s_load_b64 s[8:9], s[8:9], 0x0
	s_lshl_b32 s12, s13, 5
	s_lshl_b32 s13, s14, 5
	s_cmp_lt_i32 s11, 1
	s_cbranch_scc1 .LBB678_11
; %bb.1:
	s_clause 0x1
	s_load_b64 s[14:15], s[0:1], 0x28
	s_load_b32 s16, s[0:1], 0x18
	v_lshl_add_u32 v0, v7, 4, v6
	s_load_b32 s18, s[0:1], 0x30
	v_and_b32_e32 v8, 7, v6
	v_lshlrev_b32_e32 v9, 3, v6
	v_lshl_add_u32 v10, v7, 6, 0x800
	v_and_b32_e32 v1, 31, v0
	v_lshrrev_b32_e32 v2, 3, v0
	v_lshrrev_b32_e32 v11, 5, v0
	v_dual_mov_b32 v19, 0 :: v_dual_mov_b32 v18, 0
	s_delay_alu instid0(VALU_DEP_4) | instskip(SKIP_4) | instid1(VALU_DEP_4)
	v_add_nc_u32_e32 v3, s12, v1
	v_or_b32_e32 v12, s12, v1
	v_dual_mov_b32 v20, 0 :: v_dual_lshlrev_b32 v13, 3, v1
	v_lshlrev_b32_e32 v15, 3, v11
	v_dual_mov_b32 v16, 0 :: v_dual_add_nc_u32 v5, s13, v2
	v_cmp_gt_i32_e32 vcc_lo, s10, v12
	s_waitcnt lgkmcnt(0)
	s_add_u32 s14, s14, s2
	v_mad_i64_i32 v[0:1], null, s16, v3, 0
	s_addc_u32 s15, s15, s3
	s_add_u32 s2, s6, s2
	s_addc_u32 s3, s7, s3
	s_load_b64 s[14:15], s[14:15], 0x0
	s_load_b64 s[6:7], s[2:3], 0x0
	v_cmp_gt_i32_e64 s2, s10, v5
	s_delay_alu instid0(VALU_DEP_2) | instskip(SKIP_4) | instid1(VALU_DEP_4)
	v_lshlrev_b64 v[0:1], 3, v[0:1]
	v_lshl_or_b32 v12, v11, 8, v13
	v_mov_b32_e32 v21, 0
	v_mov_b32_e32 v17, 0
	s_xor_b32 s2, s2, -1
	v_add_co_u32 v0, s3, v0, v15
	v_dual_mov_b32 v15, 0 :: v_dual_lshlrev_b32 v4, 3, v8
	v_add_co_ci_u32_e64 v1, s3, 0, v1, s3
	s_delay_alu instid0(VALU_DEP_2) | instskip(SKIP_1) | instid1(VALU_DEP_2)
	v_lshl_or_b32 v14, v2, 6, v4
	v_mad_i64_i32 v[2:3], null, s18, v5, 0
	v_dual_mov_b32 v14, 0 :: v_dual_add_nc_u32 v13, 0x800, v14
	s_delay_alu instid0(VALU_DEP_2) | instskip(NEXT) | instid1(VALU_DEP_1)
	v_lshlrev_b64 v[2:3], 3, v[2:3]
	v_add_co_u32 v2, s3, v2, v4
	s_delay_alu instid0(VALU_DEP_1) | instskip(SKIP_2) | instid1(VALU_DEP_1)
	v_add_co_ci_u32_e64 v3, s3, 0, v3, s3
	s_waitcnt lgkmcnt(0)
	v_add_co_u32 v0, s3, s6, v0
	v_add_co_ci_u32_e64 v1, s3, s7, v1, s3
	v_add_co_u32 v2, s3, s14, v2
	s_delay_alu instid0(VALU_DEP_1)
	v_add_co_ci_u32_e64 v3, s3, s15, v3, s3
	v_mov_b32_e32 v4, 0
	s_xor_b32 s3, vcc_lo, -1
	s_branch .LBB678_3
.LBB678_2:                              ;   in Loop: Header=BB678_3 Depth=1
	s_or_b32 exec_lo, exec_lo, s6
	s_waitcnt lgkmcnt(0)
	s_barrier
	buffer_gl0_inv
	ds_load_2addr_b64 v[22:25], v9 offset1:16
	ds_load_b128 v[26:29], v10
	ds_load_b128 v[30:33], v10 offset:1024
	ds_load_b128 v[34:37], v10 offset:16
	;; [unrolled: 1-line block ×4, first 2 shown]
	ds_load_2addr_b64 v[46:49], v9 offset0:32 offset1:48
	ds_load_b128 v[50:53], v10 offset:1040
	v_add_co_u32 v0, vcc_lo, v0, 64
	v_add_co_ci_u32_e32 v1, vcc_lo, 0, v1, vcc_lo
	v_add_co_u32 v2, vcc_lo, v2, 64
	v_add_co_ci_u32_e32 v3, vcc_lo, 0, v3, vcc_lo
	s_add_i32 s17, s17, 8
	s_delay_alu instid0(SALU_CYCLE_1)
	s_cmp_ge_i32 s17, s11
	s_waitcnt lgkmcnt(6)
	v_dual_mul_f32 v5, v27, v23 :: v_dual_mul_f32 v56, v26, v25
	v_dual_mul_f32 v54, v26, v23 :: v_dual_mul_f32 v55, v27, v25
	s_waitcnt lgkmcnt(5)
	v_mul_f32_e32 v58, v31, v25
	s_delay_alu instid0(VALU_DEP_3) | instskip(SKIP_3) | instid1(VALU_DEP_4)
	v_fma_f32 v5, v26, v22, -v5
	v_dual_mul_f32 v25, v30, v25 :: v_dual_fmac_f32 v56, v27, v24
	v_fmac_f32_e32 v54, v27, v22
	v_fma_f32 v26, v26, v24, -v55
	v_add_f32_e32 v5, v20, v5
	v_mul_f32_e32 v57, v31, v23
	s_delay_alu instid0(VALU_DEP_4) | instskip(SKIP_2) | instid1(VALU_DEP_4)
	v_dual_mul_f32 v23, v30, v23 :: v_dual_add_f32 v20, v21, v54
	v_fmac_f32_e32 v25, v31, v24
	v_dual_add_f32 v21, v18, v26 :: v_dual_add_f32 v26, v19, v56
	v_fma_f32 v27, v30, v22, -v57
	s_delay_alu instid0(VALU_DEP_4) | instskip(SKIP_3) | instid1(VALU_DEP_2)
	v_fmac_f32_e32 v23, v31, v22
	v_fma_f32 v22, v30, v24, -v58
	s_waitcnt lgkmcnt(1)
	v_mul_f32_e32 v30, v29, v47
	v_dual_add_f32 v27, v16, v27 :: v_dual_add_f32 v14, v14, v22
	v_dual_mul_f32 v22, v28, v47 :: v_dual_add_f32 v15, v15, v25
	v_mul_f32_e32 v25, v28, v49
	s_delay_alu instid0(VALU_DEP_4) | instskip(NEXT) | instid1(VALU_DEP_3)
	v_fma_f32 v24, v28, v46, -v30
	v_fmac_f32_e32 v22, v29, v46
	v_add_f32_e32 v23, v17, v23
	ds_load_2addr_b64 v[16:19], v9 offset0:64 offset1:80
	v_mul_f32_e32 v30, v29, v49
	v_fmac_f32_e32 v25, v29, v48
	v_add_f32_e32 v5, v5, v24
	s_delay_alu instid0(VALU_DEP_2) | instskip(SKIP_1) | instid1(VALU_DEP_1)
	v_add_f32_e32 v25, v26, v25
	v_mul_f32_e32 v26, v32, v49
	v_fmac_f32_e32 v26, v33, v48
	s_waitcnt lgkmcnt(0)
	s_delay_alu instid0(VALU_DEP_1) | instskip(SKIP_1) | instid1(VALU_DEP_2)
	v_dual_add_f32 v26, v15, v26 :: v_dual_mul_f32 v29, v34, v17
	v_mul_f32_e32 v15, v34, v19
	v_fmac_f32_e32 v29, v35, v16
	v_fma_f32 v24, v28, v48, -v30
	v_mul_f32_e32 v28, v33, v47
	v_add_f32_e32 v30, v20, v22
	v_mul_f32_e32 v20, v32, v47
	v_mul_f32_e32 v22, v33, v49
	v_add_f32_e32 v24, v21, v24
	v_fma_f32 v21, v32, v46, -v28
	s_delay_alu instid0(VALU_DEP_4) | instskip(SKIP_1) | instid1(VALU_DEP_3)
	v_dual_add_f32 v29, v30, v29 :: v_dual_fmac_f32 v20, v33, v46
	v_fmac_f32_e32 v15, v35, v18
	v_add_f32_e32 v27, v27, v21
	v_fma_f32 v21, v32, v48, -v22
	v_mul_f32_e32 v22, v35, v17
	v_mul_f32_e32 v32, v35, v19
	v_add_f32_e32 v28, v23, v20
	s_delay_alu instid0(VALU_DEP_4) | instskip(NEXT) | instid1(VALU_DEP_4)
	v_add_f32_e32 v14, v14, v21
	v_fma_f32 v31, v34, v16, -v22
	ds_load_2addr_b64 v[20:23], v9 offset0:96 offset1:112
	v_add_f32_e32 v5, v5, v31
	v_fma_f32 v31, v34, v18, -v32
	s_delay_alu instid0(VALU_DEP_1) | instskip(SKIP_3) | instid1(VALU_DEP_3)
	v_add_f32_e32 v24, v24, v31
	v_mul_f32_e32 v31, v51, v19
	v_mul_f32_e32 v19, v50, v19
	v_add_f32_e32 v32, v25, v15
	v_fma_f32 v15, v50, v18, -v31
	s_delay_alu instid0(VALU_DEP_3)
	v_fmac_f32_e32 v19, v51, v18
	v_mul_f32_e32 v30, v51, v17
	v_mul_f32_e32 v17, v50, v17
	s_waitcnt lgkmcnt(0)
	v_dual_mul_f32 v18, v37, v21 :: v_dual_add_f32 v31, v14, v15
	v_add_f32_e32 v33, v26, v19
	v_fma_f32 v30, v50, v16, -v30
	v_fmac_f32_e32 v17, v51, v16
	s_delay_alu instid0(VALU_DEP_4) | instskip(SKIP_1) | instid1(VALU_DEP_4)
	v_fma_f32 v18, v36, v20, -v18
	v_mul_f32_e32 v25, v36, v21
	v_dual_mul_f32 v19, v36, v23 :: v_dual_add_f32 v30, v27, v30
	s_delay_alu instid0(VALU_DEP_4) | instskip(SKIP_4) | instid1(VALU_DEP_2)
	v_add_f32_e32 v28, v28, v17
	ds_load_2addr_b64 v[14:17], v9 offset0:128 offset1:144
	v_add_f32_e32 v5, v5, v18
	v_mul_f32_e32 v18, v53, v21
	v_fmac_f32_e32 v19, v37, v22
	v_fma_f32 v18, v52, v20, -v18
	v_mul_f32_e32 v27, v37, v23
	s_delay_alu instid0(VALU_DEP_1) | instskip(NEXT) | instid1(VALU_DEP_3)
	v_fma_f32 v26, v36, v22, -v27
	v_add_f32_e32 v36, v30, v18
	s_waitcnt lgkmcnt(0)
	s_delay_alu instid0(VALU_DEP_2) | instskip(SKIP_2) | instid1(VALU_DEP_3)
	v_dual_add_f32 v35, v24, v26 :: v_dual_mul_f32 v46, v38, v15
	v_dual_fmac_f32 v25, v37, v20 :: v_dual_add_f32 v32, v32, v19
	v_mul_f32_e32 v18, v39, v15
	v_fmac_f32_e32 v46, v39, v14
	s_delay_alu instid0(VALU_DEP_3)
	v_add_f32_e32 v34, v29, v25
	v_mul_f32_e32 v29, v53, v23
	v_mul_f32_e32 v23, v52, v23
	ds_load_b128 v[24:27], v10 offset:1056
	v_add_f32_e32 v34, v34, v46
	v_fma_f32 v19, v52, v22, -v29
	v_mul_f32_e32 v21, v52, v21
	v_fmac_f32_e32 v23, v53, v22
	v_mul_f32_e32 v29, v39, v17
	s_delay_alu instid0(VALU_DEP_3) | instskip(NEXT) | instid1(VALU_DEP_3)
	v_dual_add_f32 v22, v31, v19 :: v_dual_fmac_f32 v21, v53, v20
	v_add_f32_e32 v23, v33, v23
	s_delay_alu instid0(VALU_DEP_2) | instskip(SKIP_4) | instid1(VALU_DEP_2)
	v_add_f32_e32 v37, v28, v21
	v_fma_f32 v28, v38, v14, -v18
	ds_load_2addr_b64 v[18:21], v9 offset0:160 offset1:176
	v_mul_f32_e32 v33, v38, v17
	v_fma_f32 v38, v38, v16, -v29
	v_fmac_f32_e32 v33, v39, v16
	s_delay_alu instid0(VALU_DEP_1)
	v_dual_add_f32 v35, v35, v38 :: v_dual_add_f32 v32, v32, v33
	v_add_f32_e32 v5, v5, v28
	ds_load_b128 v[28:31], v10 offset:1072
	s_waitcnt lgkmcnt(2)
	v_mul_f32_e32 v47, v25, v15
	v_mul_f32_e32 v15, v24, v15
	;; [unrolled: 1-line block ×4, first 2 shown]
	s_delay_alu instid0(VALU_DEP_4) | instskip(NEXT) | instid1(VALU_DEP_4)
	v_fma_f32 v38, v24, v14, -v47
	v_fmac_f32_e32 v15, v25, v14
	s_delay_alu instid0(VALU_DEP_4)
	v_fma_f32 v14, v24, v16, -v39
	s_waitcnt lgkmcnt(1)
	v_mul_f32_e32 v17, v41, v19
	v_dual_fmac_f32 v33, v25, v16 :: v_dual_add_f32 v36, v36, v38
	v_add_f32_e32 v24, v37, v15
	v_add_f32_e32 v22, v22, v14
	s_delay_alu instid0(VALU_DEP_4) | instskip(SKIP_2) | instid1(VALU_DEP_1)
	v_fma_f32 v37, v40, v18, -v17
	ds_load_2addr_b64 v[14:17], v9 offset0:192 offset1:208
	v_dual_mul_f32 v25, v40, v19 :: v_dual_mul_f32 v38, v41, v21
	v_fmac_f32_e32 v25, v41, v18
	s_delay_alu instid0(VALU_DEP_1) | instskip(SKIP_4) | instid1(VALU_DEP_3)
	v_add_f32_e32 v34, v34, v25
	v_add_f32_e32 v33, v23, v33
	v_mul_f32_e32 v23, v40, v21
	v_mul_f32_e32 v25, v27, v19
	;; [unrolled: 1-line block ×3, first 2 shown]
	v_fmac_f32_e32 v23, v41, v20
	s_delay_alu instid0(VALU_DEP_3) | instskip(NEXT) | instid1(VALU_DEP_2)
	v_fma_f32 v25, v26, v18, -v25
	v_dual_fmac_f32 v19, v27, v18 :: v_dual_add_f32 v18, v32, v23
	s_waitcnt lgkmcnt(0)
	v_dual_mul_f32 v32, v43, v15 :: v_dual_add_f32 v5, v5, v37
	v_fma_f32 v37, v40, v20, -v38
	s_delay_alu instid0(VALU_DEP_3) | instskip(NEXT) | instid1(VALU_DEP_3)
	v_add_f32_e32 v19, v24, v19
	v_fma_f32 v32, v42, v14, -v32
	s_delay_alu instid0(VALU_DEP_1) | instskip(NEXT) | instid1(VALU_DEP_4)
	v_add_f32_e32 v5, v5, v32
	v_add_f32_e32 v35, v35, v37
	v_mul_f32_e32 v37, v27, v21
	v_dual_mul_f32 v21, v26, v21 :: v_dual_mul_f32 v32, v29, v15
	s_delay_alu instid0(VALU_DEP_2) | instskip(NEXT) | instid1(VALU_DEP_2)
	v_fma_f32 v23, v26, v20, -v37
	v_dual_add_f32 v26, v36, v25 :: v_dual_fmac_f32 v21, v27, v20
	v_mul_f32_e32 v27, v42, v15
	v_mul_f32_e32 v15, v28, v15
	s_delay_alu instid0(VALU_DEP_4)
	v_add_f32_e32 v20, v22, v23
	ds_load_2addr_b64 v[22:25], v9 offset0:224 offset1:240
	v_fma_f32 v32, v28, v14, -v32
	v_dual_fmac_f32 v27, v43, v14 :: v_dual_mul_f32 v36, v42, v17
	v_fmac_f32_e32 v15, v29, v14
	s_waitcnt lgkmcnt(0)
	s_delay_alu instid0(VALU_DEP_3) | instskip(NEXT) | instid1(VALU_DEP_3)
	v_add_f32_e32 v14, v26, v32
	v_dual_add_f32 v27, v34, v27 :: v_dual_fmac_f32 v36, v43, v16
	s_delay_alu instid0(VALU_DEP_3)
	v_dual_mul_f32 v34, v29, v17 :: v_dual_add_f32 v15, v19, v15
	s_barrier
	buffer_gl0_inv
	v_mul_f32_e32 v26, v45, v23
	v_add_f32_e32 v21, v33, v21
	v_mul_f32_e32 v33, v43, v17
	v_mul_f32_e32 v17, v28, v17
	;; [unrolled: 1-line block ×3, first 2 shown]
	s_delay_alu instid0(VALU_DEP_3) | instskip(NEXT) | instid1(VALU_DEP_3)
	v_fma_f32 v33, v42, v16, -v33
	v_fmac_f32_e32 v17, v29, v16
	s_delay_alu instid0(VALU_DEP_3) | instskip(NEXT) | instid1(VALU_DEP_3)
	v_fmac_f32_e32 v19, v45, v24
	v_add_f32_e32 v33, v35, v33
	v_add_f32_e32 v35, v18, v36
	v_fma_f32 v18, v28, v16, -v34
	v_fma_f32 v16, v44, v22, -v26
	v_mul_f32_e32 v28, v44, v23
	v_dual_add_f32 v26, v21, v17 :: v_dual_mul_f32 v17, v30, v23
	s_delay_alu instid0(VALU_DEP_4) | instskip(NEXT) | instid1(VALU_DEP_4)
	v_dual_add_f32 v29, v20, v18 :: v_dual_mul_f32 v18, v45, v25
	v_add_f32_e32 v20, v5, v16
	v_mul_f32_e32 v16, v31, v23
	v_mul_f32_e32 v23, v31, v25
	;; [unrolled: 1-line block ×3, first 2 shown]
	v_fma_f32 v5, v44, v24, -v18
	v_fmac_f32_e32 v28, v45, v22
	v_fmac_f32_e32 v17, v31, v22
	v_add_f32_e32 v19, v35, v19
	s_delay_alu instid0(VALU_DEP_4)
	v_dual_fmac_f32 v25, v31, v24 :: v_dual_add_f32 v18, v33, v5
	v_fma_f32 v5, v30, v22, -v16
	v_fma_f32 v22, v30, v24, -v23
	v_add_f32_e32 v21, v27, v28
	v_add_f32_e32 v17, v15, v17
	;; [unrolled: 1-line block ×5, first 2 shown]
	s_cbranch_scc1 .LBB678_11
.LBB678_3:                              ; =>This Inner Loop Header: Depth=1
	v_add_nc_u32_e32 v5, s17, v11
	s_delay_alu instid0(VALU_DEP_1) | instskip(SKIP_1) | instid1(SALU_CYCLE_1)
	v_cmp_le_i32_e32 vcc_lo, s11, v5
	s_or_b32 s6, s3, vcc_lo
	s_and_saveexec_b32 s7, s6
	s_delay_alu instid0(SALU_CYCLE_1)
	s_xor_b32 s6, exec_lo, s7
	s_cbranch_execz .LBB678_5
; %bb.4:                                ;   in Loop: Header=BB678_3 Depth=1
	v_mov_b32_e32 v5, v4
	ds_store_b64 v12, v[4:5]
.LBB678_5:                              ;   in Loop: Header=BB678_3 Depth=1
	s_and_not1_saveexec_b32 s6, s6
	s_cbranch_execz .LBB678_7
; %bb.6:                                ;   in Loop: Header=BB678_3 Depth=1
	global_load_b64 v[22:23], v[0:1], off
	s_waitcnt vmcnt(0)
	ds_store_b64 v12, v[22:23]
.LBB678_7:                              ;   in Loop: Header=BB678_3 Depth=1
	s_or_b32 exec_lo, exec_lo, s6
	v_add_nc_u32_e32 v5, s17, v8
	s_delay_alu instid0(VALU_DEP_1) | instskip(SKIP_1) | instid1(SALU_CYCLE_1)
	v_cmp_le_i32_e32 vcc_lo, s11, v5
	s_or_b32 s6, vcc_lo, s2
	s_and_saveexec_b32 s7, s6
	s_delay_alu instid0(SALU_CYCLE_1)
	s_xor_b32 s6, exec_lo, s7
	s_cbranch_execz .LBB678_9
; %bb.8:                                ;   in Loop: Header=BB678_3 Depth=1
	v_mov_b32_e32 v5, v4
	ds_store_b64 v13, v[4:5]
.LBB678_9:                              ;   in Loop: Header=BB678_3 Depth=1
	s_and_not1_saveexec_b32 s6, s6
	s_cbranch_execz .LBB678_2
; %bb.10:                               ;   in Loop: Header=BB678_3 Depth=1
	global_load_b64 v[22:23], v[2:3], off
	s_waitcnt vmcnt(0)
	ds_store_b64 v13, v[22:23]
	s_branch .LBB678_2
.LBB678_11:
	s_load_b32 s2, s[0:1], 0x50
	v_add_nc_u32_e32 v4, s13, v7
	v_add_nc_u32_e32 v0, s12, v6
	s_delay_alu instid0(VALU_DEP_1) | instskip(SKIP_1) | instid1(VALU_DEP_2)
	v_cmp_le_i32_e64 s0, v4, v0
	v_cmp_gt_i32_e32 vcc_lo, s10, v0
	s_and_b32 s0, s0, vcc_lo
	s_waitcnt lgkmcnt(0)
	v_mad_i64_i32 v[1:2], null, v4, s2, 0
	s_delay_alu instid0(VALU_DEP_1) | instskip(NEXT) | instid1(VALU_DEP_1)
	v_lshlrev_b64 v[1:2], 3, v[1:2]
	v_add_co_u32 v5, s1, s8, v1
	s_delay_alu instid0(VALU_DEP_1)
	v_add_co_ci_u32_e64 v6, s1, s9, v2, s1
	s_and_saveexec_b32 s1, s0
	s_cbranch_execz .LBB678_13
; %bb.12:
	v_ashrrev_i32_e32 v1, 31, v0
	v_mul_f32_e32 v2, s4, v21
	v_mul_f32_e32 v3, s5, v21
	s_delay_alu instid0(VALU_DEP_3) | instskip(NEXT) | instid1(VALU_DEP_3)
	v_lshlrev_b64 v[7:8], 3, v[0:1]
	v_fmac_f32_e32 v2, s5, v20
	s_delay_alu instid0(VALU_DEP_3) | instskip(NEXT) | instid1(VALU_DEP_3)
	v_fma_f32 v1, v20, s4, -v3
	v_add_co_u32 v7, s0, v5, v7
	s_delay_alu instid0(VALU_DEP_1)
	v_add_co_ci_u32_e64 v8, s0, v6, v8, s0
	global_store_b64 v[7:8], v[1:2], off
.LBB678_13:
	s_or_b32 exec_lo, exec_lo, s1
	v_add_nc_u32_e32 v2, 16, v0
	s_delay_alu instid0(VALU_DEP_1) | instskip(SKIP_1) | instid1(VALU_DEP_1)
	v_cmp_le_i32_e64 s1, v4, v2
	v_cmp_gt_i32_e64 s0, s10, v2
	s_and_b32 s1, s1, s0
	s_delay_alu instid0(SALU_CYCLE_1)
	s_and_saveexec_b32 s3, s1
	s_cbranch_execz .LBB678_15
; %bb.14:
	v_ashrrev_i32_e32 v3, 31, v2
	v_mul_f32_e32 v8, s4, v19
	v_mul_f32_e32 v1, s5, v19
	s_delay_alu instid0(VALU_DEP_3) | instskip(NEXT) | instid1(VALU_DEP_3)
	v_lshlrev_b64 v[9:10], 3, v[2:3]
	v_fmac_f32_e32 v8, s5, v18
	s_delay_alu instid0(VALU_DEP_3) | instskip(NEXT) | instid1(VALU_DEP_3)
	v_fma_f32 v7, v18, s4, -v1
	v_add_co_u32 v5, s1, v5, v9
	s_delay_alu instid0(VALU_DEP_1)
	v_add_co_ci_u32_e64 v6, s1, v6, v10, s1
	global_store_b64 v[5:6], v[7:8], off
.LBB678_15:
	s_or_b32 exec_lo, exec_lo, s3
	v_add_nc_u32_e32 v3, 16, v4
	s_delay_alu instid0(VALU_DEP_1) | instskip(SKIP_1) | instid1(VALU_DEP_2)
	v_mad_i64_i32 v[4:5], null, v3, s2, 0
	v_cmp_le_i32_e64 s1, v3, v0
	v_lshlrev_b64 v[4:5], 3, v[4:5]
	s_delay_alu instid0(VALU_DEP_1) | instskip(NEXT) | instid1(VALU_DEP_1)
	v_add_co_u32 v4, s2, s8, v4
	v_add_co_ci_u32_e64 v5, s2, s9, v5, s2
	s_delay_alu instid0(VALU_DEP_4) | instskip(NEXT) | instid1(SALU_CYCLE_1)
	s_and_b32 s2, s1, vcc_lo
	s_and_saveexec_b32 s1, s2
	s_cbranch_execz .LBB678_17
; %bb.16:
	v_ashrrev_i32_e32 v1, 31, v0
	v_mul_f32_e32 v7, s4, v17
	v_mul_f32_e32 v6, s5, v17
	s_delay_alu instid0(VALU_DEP_3) | instskip(NEXT) | instid1(VALU_DEP_3)
	v_lshlrev_b64 v[0:1], 3, v[0:1]
	v_fmac_f32_e32 v7, s5, v16
	s_delay_alu instid0(VALU_DEP_3) | instskip(NEXT) | instid1(VALU_DEP_3)
	v_fma_f32 v6, v16, s4, -v6
	v_add_co_u32 v0, vcc_lo, v4, v0
	s_delay_alu instid0(VALU_DEP_4)
	v_add_co_ci_u32_e32 v1, vcc_lo, v5, v1, vcc_lo
	global_store_b64 v[0:1], v[6:7], off
.LBB678_17:
	s_or_b32 exec_lo, exec_lo, s1
	v_cmp_le_i32_e32 vcc_lo, v3, v2
	s_and_b32 s0, vcc_lo, s0
	s_delay_alu instid0(SALU_CYCLE_1)
	s_and_saveexec_b32 s1, s0
	s_cbranch_execz .LBB678_19
; %bb.18:
	v_ashrrev_i32_e32 v3, 31, v2
	v_mul_f32_e32 v1, s4, v15
	v_mul_f32_e32 v0, s5, v15
	s_delay_alu instid0(VALU_DEP_3) | instskip(NEXT) | instid1(VALU_DEP_3)
	v_lshlrev_b64 v[2:3], 3, v[2:3]
	v_fmac_f32_e32 v1, s5, v14
	s_delay_alu instid0(VALU_DEP_3) | instskip(NEXT) | instid1(VALU_DEP_3)
	v_fma_f32 v0, v14, s4, -v0
	v_add_co_u32 v2, vcc_lo, v4, v2
	s_delay_alu instid0(VALU_DEP_4)
	v_add_co_ci_u32_e32 v3, vcc_lo, v5, v3, vcc_lo
	global_store_b64 v[2:3], v[0:1], off
.LBB678_19:
	s_nop 0
	s_sendmsg sendmsg(MSG_DEALLOC_VGPRS)
	s_endpgm
	.section	.rodata,"a",@progbits
	.p2align	6, 0x0
	.amdhsa_kernel _ZL34rocblas_syrkx_herkx_general_kernelIi19rocblas_complex_numIfELi16ELi32ELi8ELb1ELb0ELc84ELc76EKPKS1_KPS1_EviT_T0_PT8_S7_lSA_S7_lS8_PT9_S7_li
		.amdhsa_group_segment_fixed_size 4096
		.amdhsa_private_segment_fixed_size 0
		.amdhsa_kernarg_size 100
		.amdhsa_user_sgpr_count 13
		.amdhsa_user_sgpr_dispatch_ptr 0
		.amdhsa_user_sgpr_queue_ptr 0
		.amdhsa_user_sgpr_kernarg_segment_ptr 1
		.amdhsa_user_sgpr_dispatch_id 0
		.amdhsa_user_sgpr_private_segment_size 0
		.amdhsa_wavefront_size32 1
		.amdhsa_uses_dynamic_stack 0
		.amdhsa_enable_private_segment 0
		.amdhsa_system_sgpr_workgroup_id_x 1
		.amdhsa_system_sgpr_workgroup_id_y 1
		.amdhsa_system_sgpr_workgroup_id_z 1
		.amdhsa_system_sgpr_workgroup_info 0
		.amdhsa_system_vgpr_workitem_id 1
		.amdhsa_next_free_vgpr 59
		.amdhsa_next_free_sgpr 19
		.amdhsa_reserve_vcc 1
		.amdhsa_float_round_mode_32 0
		.amdhsa_float_round_mode_16_64 0
		.amdhsa_float_denorm_mode_32 3
		.amdhsa_float_denorm_mode_16_64 3
		.amdhsa_dx10_clamp 1
		.amdhsa_ieee_mode 1
		.amdhsa_fp16_overflow 0
		.amdhsa_workgroup_processor_mode 1
		.amdhsa_memory_ordered 1
		.amdhsa_forward_progress 0
		.amdhsa_shared_vgpr_count 0
		.amdhsa_exception_fp_ieee_invalid_op 0
		.amdhsa_exception_fp_denorm_src 0
		.amdhsa_exception_fp_ieee_div_zero 0
		.amdhsa_exception_fp_ieee_overflow 0
		.amdhsa_exception_fp_ieee_underflow 0
		.amdhsa_exception_fp_ieee_inexact 0
		.amdhsa_exception_int_div_zero 0
	.end_amdhsa_kernel
	.section	.text._ZL34rocblas_syrkx_herkx_general_kernelIi19rocblas_complex_numIfELi16ELi32ELi8ELb1ELb0ELc84ELc76EKPKS1_KPS1_EviT_T0_PT8_S7_lSA_S7_lS8_PT9_S7_li,"axG",@progbits,_ZL34rocblas_syrkx_herkx_general_kernelIi19rocblas_complex_numIfELi16ELi32ELi8ELb1ELb0ELc84ELc76EKPKS1_KPS1_EviT_T0_PT8_S7_lSA_S7_lS8_PT9_S7_li,comdat
.Lfunc_end678:
	.size	_ZL34rocblas_syrkx_herkx_general_kernelIi19rocblas_complex_numIfELi16ELi32ELi8ELb1ELb0ELc84ELc76EKPKS1_KPS1_EviT_T0_PT8_S7_lSA_S7_lS8_PT9_S7_li, .Lfunc_end678-_ZL34rocblas_syrkx_herkx_general_kernelIi19rocblas_complex_numIfELi16ELi32ELi8ELb1ELb0ELc84ELc76EKPKS1_KPS1_EviT_T0_PT8_S7_lSA_S7_lS8_PT9_S7_li
                                        ; -- End function
	.section	.AMDGPU.csdata,"",@progbits
; Kernel info:
; codeLenInByte = 2384
; NumSgprs: 21
; NumVgprs: 59
; ScratchSize: 0
; MemoryBound: 1
; FloatMode: 240
; IeeeMode: 1
; LDSByteSize: 4096 bytes/workgroup (compile time only)
; SGPRBlocks: 2
; VGPRBlocks: 7
; NumSGPRsForWavesPerEU: 21
; NumVGPRsForWavesPerEU: 59
; Occupancy: 16
; WaveLimiterHint : 1
; COMPUTE_PGM_RSRC2:SCRATCH_EN: 0
; COMPUTE_PGM_RSRC2:USER_SGPR: 13
; COMPUTE_PGM_RSRC2:TRAP_HANDLER: 0
; COMPUTE_PGM_RSRC2:TGID_X_EN: 1
; COMPUTE_PGM_RSRC2:TGID_Y_EN: 1
; COMPUTE_PGM_RSRC2:TGID_Z_EN: 1
; COMPUTE_PGM_RSRC2:TIDIG_COMP_CNT: 1
	.section	.text._ZL34rocblas_syrkx_herkx_general_kernelIi19rocblas_complex_numIfELi16ELi32ELi8ELb1ELb0ELc67ELc76EKPKS1_KPS1_EviT_T0_PT8_S7_lSA_S7_lS8_PT9_S7_li,"axG",@progbits,_ZL34rocblas_syrkx_herkx_general_kernelIi19rocblas_complex_numIfELi16ELi32ELi8ELb1ELb0ELc67ELc76EKPKS1_KPS1_EviT_T0_PT8_S7_lSA_S7_lS8_PT9_S7_li,comdat
	.globl	_ZL34rocblas_syrkx_herkx_general_kernelIi19rocblas_complex_numIfELi16ELi32ELi8ELb1ELb0ELc67ELc76EKPKS1_KPS1_EviT_T0_PT8_S7_lSA_S7_lS8_PT9_S7_li ; -- Begin function _ZL34rocblas_syrkx_herkx_general_kernelIi19rocblas_complex_numIfELi16ELi32ELi8ELb1ELb0ELc67ELc76EKPKS1_KPS1_EviT_T0_PT8_S7_lSA_S7_lS8_PT9_S7_li
	.p2align	8
	.type	_ZL34rocblas_syrkx_herkx_general_kernelIi19rocblas_complex_numIfELi16ELi32ELi8ELb1ELb0ELc67ELc76EKPKS1_KPS1_EviT_T0_PT8_S7_lSA_S7_lS8_PT9_S7_li,@function
_ZL34rocblas_syrkx_herkx_general_kernelIi19rocblas_complex_numIfELi16ELi32ELi8ELb1ELb0ELc67ELc76EKPKS1_KPS1_EviT_T0_PT8_S7_lSA_S7_lS8_PT9_S7_li: ; @_ZL34rocblas_syrkx_herkx_general_kernelIi19rocblas_complex_numIfELi16ELi32ELi8ELb1ELb0ELc67ELc76EKPKS1_KPS1_EviT_T0_PT8_S7_lSA_S7_lS8_PT9_S7_li
; %bb.0:
	s_clause 0x1
	s_load_b64 s[4:5], s[0:1], 0x48
	s_load_b64 s[10:11], s[0:1], 0x0
	s_mov_b32 s16, s15
	s_mov_b32 s17, 0
	v_dual_mov_b32 v22, 0 :: v_dual_and_b32 v7, 0x3ff, v0
	s_lshl_b64 s[2:3], s[16:17], 3
	v_bfe_u32 v8, v0, 10, 10
	v_dual_mov_b32 v21, 0 :: v_dual_mov_b32 v20, 0
	v_dual_mov_b32 v19, 0 :: v_dual_mov_b32 v18, 0
	;; [unrolled: 1-line block ×3, first 2 shown]
	v_mov_b32_e32 v15, 0
	s_waitcnt lgkmcnt(0)
	s_add_u32 s8, s4, s2
	s_addc_u32 s9, s5, s3
	s_load_b128 s[4:7], s[0:1], 0x8
	s_load_b64 s[8:9], s[8:9], 0x0
	s_lshl_b32 s12, s13, 5
	s_lshl_b32 s13, s14, 5
	s_cmp_lt_i32 s11, 1
	s_cbranch_scc1 .LBB679_9
; %bb.1:
	s_clause 0x1
	s_load_b64 s[14:15], s[0:1], 0x28
	s_load_b32 s16, s[0:1], 0x18
	v_lshl_add_u32 v0, v8, 4, v7
	s_load_b32 s18, s[0:1], 0x30
	v_and_b32_e32 v9, 7, v7
	v_dual_mov_b32 v17, 0 :: v_dual_lshlrev_b32 v10, 3, v7
	s_delay_alu instid0(VALU_DEP_3) | instskip(SKIP_3) | instid1(VALU_DEP_4)
	v_and_b32_e32 v2, 31, v0
	v_lshrrev_b32_e32 v3, 3, v0
	v_lshrrev_b32_e32 v12, 5, v0
	v_dual_mov_b32 v19, 0 :: v_dual_lshlrev_b32 v4, 3, v9
	v_dual_mov_b32 v16, 0 :: v_dual_add_nc_u32 v5, s12, v2
	s_delay_alu instid0(VALU_DEP_4) | instskip(NEXT) | instid1(VALU_DEP_3)
	v_add_nc_u32_e32 v6, s13, v3
	v_lshl_or_b32 v14, v3, 6, v4
	v_dual_mov_b32 v18, 0 :: v_dual_lshlrev_b32 v15, 3, v12
	v_lshl_add_u32 v11, v8, 6, 0x800
	v_mov_b32_e32 v20, 0
	s_waitcnt lgkmcnt(0)
	s_add_u32 s14, s14, s2
	s_addc_u32 s15, s15, s3
	s_add_u32 s2, s6, s2
	s_addc_u32 s3, s7, s3
	v_mad_i64_i32 v[0:1], null, s16, v5, 0
	s_load_b64 s[6:7], s[2:3], 0x0
	v_or_b32_e32 v5, s12, v2
	v_dual_mov_b32 v21, 0 :: v_dual_lshlrev_b32 v2, 3, v2
	s_load_b64 s[14:15], s[14:15], 0x0
	v_cmp_gt_i32_e64 s2, s10, v6
	s_delay_alu instid0(VALU_DEP_4) | instskip(NEXT) | instid1(VALU_DEP_3)
	v_lshlrev_b64 v[0:1], 3, v[0:1]
	v_lshl_or_b32 v13, v12, 8, v2
	v_mad_i64_i32 v[2:3], null, s18, v6, 0
	v_cmp_gt_i32_e32 vcc_lo, s10, v5
	v_add_nc_u32_e32 v14, 0x800, v14
	v_add_co_u32 v5, s3, v0, v15
	s_delay_alu instid0(VALU_DEP_1) | instskip(SKIP_4) | instid1(VALU_DEP_1)
	v_add_co_ci_u32_e64 v6, s3, 0, v1, s3
	v_lshlrev_b64 v[0:1], 3, v[2:3]
	v_dual_mov_b32 v15, 0 :: v_dual_mov_b32 v22, 0
	s_waitcnt lgkmcnt(0)
	v_add_co_u32 v2, s3, v5, s6
	v_add_co_ci_u32_e64 v3, s3, s7, v6, s3
	s_delay_alu instid0(VALU_DEP_4) | instskip(NEXT) | instid1(VALU_DEP_1)
	v_add_co_u32 v4, s3, v0, v4
	v_add_co_ci_u32_e64 v5, s3, 0, v1, s3
	s_delay_alu instid0(VALU_DEP_4) | instskip(NEXT) | instid1(VALU_DEP_1)
	;; [unrolled: 3-line block ×3, first 2 shown]
	v_add_co_u32 v2, s3, s14, v4
	v_add_co_ci_u32_e64 v3, s3, s15, v5, s3
	v_mov_b32_e32 v4, 0
	s_xor_b32 s3, s2, -1
	s_branch .LBB679_3
.LBB679_2:                              ;   in Loop: Header=BB679_3 Depth=1
	s_or_b32 exec_lo, exec_lo, s2
	s_waitcnt lgkmcnt(0)
	s_barrier
	buffer_gl0_inv
	ds_load_2addr_b64 v[23:26], v10 offset1:16
	ds_load_b128 v[27:30], v11
	ds_load_b128 v[31:34], v11 offset:1024
	ds_load_b128 v[35:38], v11 offset:16
	ds_load_b128 v[39:42], v11 offset:32
	ds_load_b128 v[43:46], v11 offset:48
	ds_load_2addr_b64 v[47:50], v10 offset0:32 offset1:48
	ds_load_b128 v[51:54], v11 offset:1040
	v_add_co_u32 v0, s2, v0, 64
	s_delay_alu instid0(VALU_DEP_1) | instskip(SKIP_1) | instid1(VALU_DEP_1)
	v_add_co_ci_u32_e64 v1, s2, 0, v1, s2
	v_add_co_u32 v2, s2, v2, 64
	v_add_co_ci_u32_e64 v3, s2, 0, v3, s2
	s_add_i32 s17, s17, 8
	s_delay_alu instid0(SALU_CYCLE_1)
	s_cmp_ge_i32 s17, s11
	s_waitcnt lgkmcnt(6)
	v_dual_mul_f32 v5, v28, v24 :: v_dual_mul_f32 v56, v27, v26
	v_dual_mul_f32 v6, v27, v24 :: v_dual_mul_f32 v55, v28, v26
	s_waitcnt lgkmcnt(5)
	v_mul_f32_e32 v57, v32, v24
	s_delay_alu instid0(VALU_DEP_3)
	v_fma_f32 v5, v27, v23, -v5
	v_fmac_f32_e32 v56, v28, v25
	v_fmac_f32_e32 v6, v28, v23
	v_fma_f32 v27, v27, v25, -v55
	v_mul_f32_e32 v58, v32, v26
	v_mul_f32_e32 v26, v31, v26
	v_fma_f32 v28, v31, v23, -v57
	v_dual_mul_f32 v24, v31, v24 :: v_dual_add_f32 v5, v21, v5
	s_delay_alu instid0(VALU_DEP_3) | instskip(NEXT) | instid1(VALU_DEP_3)
	v_dual_add_f32 v21, v19, v27 :: v_dual_fmac_f32 v26, v32, v25
	v_add_f32_e32 v27, v17, v28
	s_waitcnt lgkmcnt(1)
	v_mul_f32_e32 v28, v30, v48
	v_fmac_f32_e32 v24, v32, v23
	v_fma_f32 v23, v31, v25, -v58
	s_delay_alu instid0(VALU_DEP_3) | instskip(SKIP_1) | instid1(VALU_DEP_3)
	v_fma_f32 v25, v29, v47, -v28
	v_mul_f32_e32 v28, v30, v50
	v_dual_add_f32 v6, v22, v6 :: v_dual_add_f32 v15, v15, v23
	v_mul_f32_e32 v23, v29, v48
	s_delay_alu instid0(VALU_DEP_4) | instskip(NEXT) | instid1(VALU_DEP_4)
	v_dual_add_f32 v5, v5, v25 :: v_dual_add_f32 v22, v20, v56
	v_fma_f32 v25, v29, v49, -v28
	v_add_f32_e32 v24, v18, v24
	ds_load_2addr_b64 v[17:20], v10 offset0:64 offset1:80
	v_fmac_f32_e32 v23, v30, v47
	v_dual_mul_f32 v28, v34, v48 :: v_dual_add_f32 v25, v21, v25
	s_delay_alu instid0(VALU_DEP_2)
	v_dual_add_f32 v6, v6, v23 :: v_dual_mul_f32 v23, v33, v48
	v_add_f32_e32 v16, v16, v26
	v_mul_f32_e32 v26, v29, v50
	v_mul_f32_e32 v29, v33, v50
	v_fma_f32 v21, v33, v47, -v28
	v_fmac_f32_e32 v23, v34, v47
	s_delay_alu instid0(VALU_DEP_3) | instskip(SKIP_1) | instid1(VALU_DEP_4)
	v_fmac_f32_e32 v29, v34, v49
	v_fmac_f32_e32 v26, v30, v49
	v_add_f32_e32 v27, v27, v21
	s_delay_alu instid0(VALU_DEP_2) | instskip(SKIP_2) | instid1(VALU_DEP_1)
	v_dual_add_f32 v29, v16, v29 :: v_dual_add_f32 v26, v22, v26
	s_waitcnt lgkmcnt(0)
	v_mul_f32_e32 v22, v36, v18
	v_fma_f32 v31, v35, v17, -v22
	s_delay_alu instid0(VALU_DEP_1) | instskip(NEXT) | instid1(VALU_DEP_1)
	v_dual_add_f32 v5, v5, v31 :: v_dual_mul_f32 v32, v36, v20
	v_fma_f32 v31, v35, v19, -v32
	s_delay_alu instid0(VALU_DEP_1) | instskip(NEXT) | instid1(VALU_DEP_1)
	v_dual_mul_f32 v28, v34, v50 :: v_dual_add_f32 v25, v25, v31
	v_fma_f32 v21, v33, v49, -v28
	v_add_f32_e32 v28, v24, v23
	v_mul_f32_e32 v16, v35, v20
	v_mul_f32_e32 v31, v52, v20
	;; [unrolled: 1-line block ×3, first 2 shown]
	v_add_f32_e32 v15, v15, v21
	ds_load_2addr_b64 v[21:24], v10 offset0:96 offset1:112
	v_mul_f32_e32 v30, v35, v18
	v_fmac_f32_e32 v16, v36, v19
	v_fmac_f32_e32 v20, v52, v19
	s_delay_alu instid0(VALU_DEP_3) | instskip(NEXT) | instid1(VALU_DEP_3)
	v_fmac_f32_e32 v30, v36, v17
	v_add_f32_e32 v32, v26, v16
	s_delay_alu instid0(VALU_DEP_3) | instskip(SKIP_1) | instid1(VALU_DEP_4)
	v_add_f32_e32 v29, v29, v20
	v_fma_f32 v16, v51, v19, -v31
	v_add_f32_e32 v6, v6, v30
	s_delay_alu instid0(VALU_DEP_2) | instskip(SKIP_3) | instid1(VALU_DEP_3)
	v_dual_mul_f32 v30, v52, v18 :: v_dual_add_f32 v33, v15, v16
	s_waitcnt lgkmcnt(0)
	v_mul_f32_e32 v35, v54, v24
	v_mul_f32_e32 v20, v37, v24
	v_fma_f32 v30, v51, v17, -v30
	v_mul_f32_e32 v19, v38, v22
	s_delay_alu instid0(VALU_DEP_3) | instskip(NEXT) | instid1(VALU_DEP_2)
	v_fmac_f32_e32 v20, v38, v23
	v_fma_f32 v19, v37, v21, -v19
	s_delay_alu instid0(VALU_DEP_2) | instskip(SKIP_2) | instid1(VALU_DEP_4)
	v_add_f32_e32 v36, v32, v20
	v_fma_f32 v20, v53, v23, -v35
	v_dual_add_f32 v30, v27, v30 :: v_dual_mul_f32 v27, v38, v24
	v_add_f32_e32 v5, v5, v19
	v_dual_mul_f32 v19, v54, v22 :: v_dual_mul_f32 v24, v53, v24
	s_delay_alu instid0(VALU_DEP_3) | instskip(NEXT) | instid1(VALU_DEP_2)
	v_fma_f32 v27, v37, v23, -v27
	v_fma_f32 v19, v53, v21, -v19
	s_delay_alu instid0(VALU_DEP_3) | instskip(SKIP_1) | instid1(VALU_DEP_4)
	v_dual_fmac_f32 v24, v54, v23 :: v_dual_add_f32 v23, v33, v20
	v_mul_f32_e32 v18, v51, v18
	v_add_f32_e32 v34, v25, v27
	v_mul_f32_e32 v26, v37, v22
	v_dual_mul_f32 v22, v53, v22 :: v_dual_add_f32 v35, v30, v19
	v_add_f32_e32 v24, v29, v24
	s_delay_alu instid0(VALU_DEP_2) | instskip(SKIP_1) | instid1(VALU_DEP_1)
	v_fmac_f32_e32 v22, v54, v21
	v_fmac_f32_e32 v18, v52, v17
	v_add_f32_e32 v31, v28, v18
	ds_load_2addr_b64 v[15:18], v10 offset0:128 offset1:144
	v_add_f32_e32 v37, v31, v22
	s_waitcnt lgkmcnt(0)
	v_mul_f32_e32 v19, v40, v16
	v_mul_f32_e32 v31, v40, v18
	;; [unrolled: 1-line block ×3, first 2 shown]
	s_delay_alu instid0(VALU_DEP_3)
	v_fma_f32 v30, v39, v15, -v19
	v_fmac_f32_e32 v26, v38, v21
	ds_load_2addr_b64 v[19:22], v10 offset0:160 offset1:176
	v_mul_f32_e32 v38, v39, v18
	v_fma_f32 v39, v39, v17, -v31
	v_add_f32_e32 v5, v5, v30
	v_add_f32_e32 v6, v6, v26
	ds_load_b128 v[25:28], v11 offset:1056
	ds_load_b128 v[29:32], v11 offset:1072
	v_fmac_f32_e32 v38, v40, v17
	v_fmac_f32_e32 v33, v40, v15
	s_delay_alu instid0(VALU_DEP_2) | instskip(SKIP_3) | instid1(VALU_DEP_2)
	v_add_f32_e32 v36, v36, v38
	s_waitcnt lgkmcnt(1)
	v_dual_mul_f32 v38, v25, v18 :: v_dual_mul_f32 v47, v26, v16
	v_mul_f32_e32 v16, v25, v16
	v_fmac_f32_e32 v38, v26, v17
	s_delay_alu instid0(VALU_DEP_1) | instskip(SKIP_1) | instid1(VALU_DEP_1)
	v_add_f32_e32 v38, v24, v38
	v_mul_f32_e32 v24, v41, v22
	v_fmac_f32_e32 v24, v42, v21
	v_add_f32_e32 v6, v6, v33
	v_add_f32_e32 v33, v34, v39
	v_fma_f32 v34, v25, v15, -v47
	v_mul_f32_e32 v39, v26, v18
	v_mul_f32_e32 v18, v42, v20
	s_delay_alu instid0(VALU_DEP_3) | instskip(NEXT) | instid1(VALU_DEP_2)
	v_add_f32_e32 v34, v35, v34
	v_fma_f32 v35, v41, v19, -v18
	s_delay_alu instid0(VALU_DEP_1) | instskip(SKIP_3) | instid1(VALU_DEP_3)
	v_add_f32_e32 v5, v5, v35
	v_fmac_f32_e32 v16, v26, v15
	v_fma_f32 v15, v25, v17, -v39
	v_mul_f32_e32 v26, v41, v20
	v_add_f32_e32 v25, v37, v16
	s_delay_alu instid0(VALU_DEP_3) | instskip(SKIP_3) | instid1(VALU_DEP_2)
	v_add_f32_e32 v23, v23, v15
	ds_load_2addr_b64 v[15:18], v10 offset0:192 offset1:208
	v_mul_f32_e32 v37, v42, v22
	v_fmac_f32_e32 v26, v42, v19
	v_fma_f32 v35, v41, v21, -v37
	s_delay_alu instid0(VALU_DEP_2) | instskip(SKIP_1) | instid1(VALU_DEP_3)
	v_add_f32_e32 v6, v6, v26
	v_mul_f32_e32 v26, v28, v20
	v_dual_mul_f32 v20, v27, v20 :: v_dual_add_f32 v33, v33, v35
	v_mul_f32_e32 v35, v28, v22
	s_delay_alu instid0(VALU_DEP_3) | instskip(NEXT) | instid1(VALU_DEP_3)
	v_fma_f32 v26, v27, v19, -v26
	v_fmac_f32_e32 v20, v28, v19
	v_dual_add_f32 v19, v36, v24 :: v_dual_mul_f32 v22, v27, v22
	s_delay_alu instid0(VALU_DEP_4) | instskip(NEXT) | instid1(VALU_DEP_3)
	v_fma_f32 v24, v27, v21, -v35
	v_dual_add_f32 v27, v34, v26 :: v_dual_add_f32 v20, v25, v20
	s_waitcnt lgkmcnt(0)
	v_mul_f32_e32 v34, v44, v16
	s_delay_alu instid0(VALU_DEP_3)
	v_dual_fmac_f32 v22, v28, v21 :: v_dual_add_f32 v21, v23, v24
	ds_load_2addr_b64 v[23:26], v10 offset0:224 offset1:240
	v_mul_f32_e32 v28, v43, v16
	v_fma_f32 v34, v43, v15, -v34
	v_mul_f32_e32 v35, v44, v18
	v_mul_f32_e32 v36, v43, v18
	s_waitcnt lgkmcnt(0)
	s_delay_alu instid0(VALU_DEP_3) | instskip(SKIP_3) | instid1(VALU_DEP_4)
	v_dual_fmac_f32 v28, v44, v15 :: v_dual_add_f32 v5, v5, v34
	v_mul_f32_e32 v34, v30, v16
	v_fma_f32 v35, v43, v17, -v35
	v_fmac_f32_e32 v36, v44, v17
	v_add_f32_e32 v6, v6, v28
	v_mul_f32_e32 v16, v29, v16
	v_fma_f32 v28, v29, v15, -v34
	v_dual_mul_f32 v34, v30, v18 :: v_dual_add_f32 v33, v33, v35
	s_delay_alu instid0(VALU_DEP_3) | instskip(NEXT) | instid1(VALU_DEP_3)
	v_dual_add_f32 v35, v19, v36 :: v_dual_fmac_f32 v16, v30, v15
	v_dual_add_f32 v15, v27, v28 :: v_dual_mul_f32 v18, v29, v18
	s_delay_alu instid0(VALU_DEP_3) | instskip(SKIP_3) | instid1(VALU_DEP_4)
	v_fma_f32 v19, v29, v17, -v34
	v_mul_f32_e32 v27, v46, v24
	v_mul_f32_e32 v28, v45, v24
	v_add_f32_e32 v16, v20, v16
	v_dual_fmac_f32 v18, v30, v17 :: v_dual_add_f32 v29, v21, v19
	s_delay_alu instid0(VALU_DEP_4)
	v_fma_f32 v17, v45, v23, -v27
	v_mul_f32_e32 v19, v46, v26
	v_fmac_f32_e32 v28, v46, v23
	v_mul_f32_e32 v20, v45, v26
	s_barrier
	v_add_f32_e32 v21, v5, v17
	v_mul_f32_e32 v17, v32, v26
	v_fma_f32 v5, v45, v25, -v19
	v_fmac_f32_e32 v20, v46, v25
	buffer_gl0_inv
	v_dual_add_f32 v19, v33, v5 :: v_dual_add_f32 v22, v38, v22
	s_delay_alu instid0(VALU_DEP_1) | instskip(SKIP_4) | instid1(VALU_DEP_3)
	v_dual_add_f32 v20, v35, v20 :: v_dual_add_f32 v27, v22, v18
	v_add_f32_e32 v22, v6, v28
	v_mul_f32_e32 v6, v32, v24
	v_mul_f32_e32 v18, v31, v24
	;; [unrolled: 1-line block ×3, first 2 shown]
	v_fma_f32 v5, v31, v23, -v6
	s_delay_alu instid0(VALU_DEP_3) | instskip(SKIP_1) | instid1(VALU_DEP_4)
	v_fmac_f32_e32 v18, v32, v23
	v_fma_f32 v6, v31, v25, -v17
	v_fmac_f32_e32 v24, v32, v25
	s_delay_alu instid0(VALU_DEP_3) | instskip(NEXT) | instid1(VALU_DEP_2)
	v_dual_add_f32 v17, v15, v5 :: v_dual_add_f32 v18, v16, v18
	v_dual_add_f32 v15, v29, v6 :: v_dual_add_f32 v16, v27, v24
	s_cbranch_scc1 .LBB679_9
.LBB679_3:                              ; =>This Inner Loop Header: Depth=1
	v_dual_mov_b32 v6, 0 :: v_dual_add_nc_u32 v5, s17, v12
	s_delay_alu instid0(VALU_DEP_1) | instskip(SKIP_1) | instid1(VALU_DEP_2)
	v_cmp_gt_i32_e64 s2, s11, v5
	v_mov_b32_e32 v5, 0
	s_and_b32 s6, vcc_lo, s2
	s_delay_alu instid0(SALU_CYCLE_1)
	s_and_saveexec_b32 s2, s6
	s_cbranch_execz .LBB679_5
; %bb.4:                                ;   in Loop: Header=BB679_3 Depth=1
	global_load_b64 v[5:6], v[0:1], off offset:-4
.LBB679_5:                              ;   in Loop: Header=BB679_3 Depth=1
	s_or_b32 exec_lo, exec_lo, s2
	v_add_nc_u32_e32 v23, s17, v9
	s_waitcnt vmcnt(0)
	ds_store_b64 v13, v[5:6]
	v_cmp_le_i32_e64 s2, s11, v23
	s_delay_alu instid0(VALU_DEP_1) | instskip(NEXT) | instid1(SALU_CYCLE_1)
	s_or_b32 s2, s2, s3
	s_and_saveexec_b32 s6, s2
	s_delay_alu instid0(SALU_CYCLE_1)
	s_xor_b32 s2, exec_lo, s6
	s_cbranch_execz .LBB679_7
; %bb.6:                                ;   in Loop: Header=BB679_3 Depth=1
	v_mov_b32_e32 v5, v4
	ds_store_b64 v14, v[4:5]
.LBB679_7:                              ;   in Loop: Header=BB679_3 Depth=1
	s_and_not1_saveexec_b32 s2, s2
	s_cbranch_execz .LBB679_2
; %bb.8:                                ;   in Loop: Header=BB679_3 Depth=1
	global_load_b64 v[5:6], v[2:3], off
	s_waitcnt vmcnt(0)
	ds_store_b64 v14, v[5:6]
	s_branch .LBB679_2
.LBB679_9:
	s_load_b32 s2, s[0:1], 0x50
	v_add_nc_u32_e32 v4, s13, v8
	v_add_nc_u32_e32 v0, s12, v7
	s_delay_alu instid0(VALU_DEP_1) | instskip(SKIP_1) | instid1(VALU_DEP_2)
	v_cmp_le_i32_e64 s0, v4, v0
	v_cmp_gt_i32_e32 vcc_lo, s10, v0
	s_and_b32 s0, s0, vcc_lo
	s_waitcnt lgkmcnt(0)
	v_mad_i64_i32 v[1:2], null, v4, s2, 0
	s_delay_alu instid0(VALU_DEP_1) | instskip(NEXT) | instid1(VALU_DEP_1)
	v_lshlrev_b64 v[1:2], 3, v[1:2]
	v_add_co_u32 v5, s1, s8, v1
	s_delay_alu instid0(VALU_DEP_1)
	v_add_co_ci_u32_e64 v6, s1, s9, v2, s1
	s_and_saveexec_b32 s1, s0
	s_cbranch_execz .LBB679_11
; %bb.10:
	v_ashrrev_i32_e32 v1, 31, v0
	v_mul_f32_e32 v2, s4, v22
	v_mul_f32_e32 v3, s5, v22
	s_delay_alu instid0(VALU_DEP_3) | instskip(NEXT) | instid1(VALU_DEP_3)
	v_lshlrev_b64 v[7:8], 3, v[0:1]
	v_fmac_f32_e32 v2, s5, v21
	s_delay_alu instid0(VALU_DEP_3) | instskip(NEXT) | instid1(VALU_DEP_3)
	v_fma_f32 v1, v21, s4, -v3
	v_add_co_u32 v7, s0, v5, v7
	s_delay_alu instid0(VALU_DEP_1)
	v_add_co_ci_u32_e64 v8, s0, v6, v8, s0
	global_store_b64 v[7:8], v[1:2], off
.LBB679_11:
	s_or_b32 exec_lo, exec_lo, s1
	v_add_nc_u32_e32 v2, 16, v0
	s_delay_alu instid0(VALU_DEP_1) | instskip(SKIP_1) | instid1(VALU_DEP_1)
	v_cmp_le_i32_e64 s1, v4, v2
	v_cmp_gt_i32_e64 s0, s10, v2
	s_and_b32 s1, s1, s0
	s_delay_alu instid0(SALU_CYCLE_1)
	s_and_saveexec_b32 s3, s1
	s_cbranch_execz .LBB679_13
; %bb.12:
	v_ashrrev_i32_e32 v3, 31, v2
	v_mul_f32_e32 v8, s4, v20
	v_mul_f32_e32 v1, s5, v20
	s_delay_alu instid0(VALU_DEP_3) | instskip(NEXT) | instid1(VALU_DEP_3)
	v_lshlrev_b64 v[9:10], 3, v[2:3]
	v_fmac_f32_e32 v8, s5, v19
	s_delay_alu instid0(VALU_DEP_3) | instskip(NEXT) | instid1(VALU_DEP_3)
	v_fma_f32 v7, v19, s4, -v1
	v_add_co_u32 v5, s1, v5, v9
	s_delay_alu instid0(VALU_DEP_1)
	v_add_co_ci_u32_e64 v6, s1, v6, v10, s1
	global_store_b64 v[5:6], v[7:8], off
.LBB679_13:
	s_or_b32 exec_lo, exec_lo, s3
	v_add_nc_u32_e32 v3, 16, v4
	s_delay_alu instid0(VALU_DEP_1) | instskip(SKIP_1) | instid1(VALU_DEP_2)
	v_mad_i64_i32 v[4:5], null, v3, s2, 0
	v_cmp_le_i32_e64 s1, v3, v0
	v_lshlrev_b64 v[4:5], 3, v[4:5]
	s_delay_alu instid0(VALU_DEP_1) | instskip(NEXT) | instid1(VALU_DEP_1)
	v_add_co_u32 v4, s2, s8, v4
	v_add_co_ci_u32_e64 v5, s2, s9, v5, s2
	s_delay_alu instid0(VALU_DEP_4) | instskip(NEXT) | instid1(SALU_CYCLE_1)
	s_and_b32 s2, s1, vcc_lo
	s_and_saveexec_b32 s1, s2
	s_cbranch_execz .LBB679_15
; %bb.14:
	v_ashrrev_i32_e32 v1, 31, v0
	v_mul_f32_e32 v7, s4, v18
	v_mul_f32_e32 v6, s5, v18
	s_delay_alu instid0(VALU_DEP_3) | instskip(NEXT) | instid1(VALU_DEP_3)
	v_lshlrev_b64 v[0:1], 3, v[0:1]
	v_fmac_f32_e32 v7, s5, v17
	s_delay_alu instid0(VALU_DEP_3) | instskip(NEXT) | instid1(VALU_DEP_3)
	v_fma_f32 v6, v17, s4, -v6
	v_add_co_u32 v0, vcc_lo, v4, v0
	s_delay_alu instid0(VALU_DEP_4)
	v_add_co_ci_u32_e32 v1, vcc_lo, v5, v1, vcc_lo
	global_store_b64 v[0:1], v[6:7], off
.LBB679_15:
	s_or_b32 exec_lo, exec_lo, s1
	v_cmp_le_i32_e32 vcc_lo, v3, v2
	s_and_b32 s0, vcc_lo, s0
	s_delay_alu instid0(SALU_CYCLE_1)
	s_and_saveexec_b32 s1, s0
	s_cbranch_execz .LBB679_17
; %bb.16:
	v_ashrrev_i32_e32 v3, 31, v2
	v_mul_f32_e32 v1, s4, v16
	v_mul_f32_e32 v0, s5, v16
	s_delay_alu instid0(VALU_DEP_3) | instskip(NEXT) | instid1(VALU_DEP_3)
	v_lshlrev_b64 v[2:3], 3, v[2:3]
	v_fmac_f32_e32 v1, s5, v15
	s_delay_alu instid0(VALU_DEP_3) | instskip(NEXT) | instid1(VALU_DEP_3)
	v_fma_f32 v0, v15, s4, -v0
	v_add_co_u32 v2, vcc_lo, v4, v2
	s_delay_alu instid0(VALU_DEP_4)
	v_add_co_ci_u32_e32 v3, vcc_lo, v5, v3, vcc_lo
	global_store_b64 v[2:3], v[0:1], off
.LBB679_17:
	s_nop 0
	s_sendmsg sendmsg(MSG_DEALLOC_VGPRS)
	s_endpgm
	.section	.rodata,"a",@progbits
	.p2align	6, 0x0
	.amdhsa_kernel _ZL34rocblas_syrkx_herkx_general_kernelIi19rocblas_complex_numIfELi16ELi32ELi8ELb1ELb0ELc67ELc76EKPKS1_KPS1_EviT_T0_PT8_S7_lSA_S7_lS8_PT9_S7_li
		.amdhsa_group_segment_fixed_size 4096
		.amdhsa_private_segment_fixed_size 0
		.amdhsa_kernarg_size 100
		.amdhsa_user_sgpr_count 13
		.amdhsa_user_sgpr_dispatch_ptr 0
		.amdhsa_user_sgpr_queue_ptr 0
		.amdhsa_user_sgpr_kernarg_segment_ptr 1
		.amdhsa_user_sgpr_dispatch_id 0
		.amdhsa_user_sgpr_private_segment_size 0
		.amdhsa_wavefront_size32 1
		.amdhsa_uses_dynamic_stack 0
		.amdhsa_enable_private_segment 0
		.amdhsa_system_sgpr_workgroup_id_x 1
		.amdhsa_system_sgpr_workgroup_id_y 1
		.amdhsa_system_sgpr_workgroup_id_z 1
		.amdhsa_system_sgpr_workgroup_info 0
		.amdhsa_system_vgpr_workitem_id 1
		.amdhsa_next_free_vgpr 59
		.amdhsa_next_free_sgpr 19
		.amdhsa_reserve_vcc 1
		.amdhsa_float_round_mode_32 0
		.amdhsa_float_round_mode_16_64 0
		.amdhsa_float_denorm_mode_32 3
		.amdhsa_float_denorm_mode_16_64 3
		.amdhsa_dx10_clamp 1
		.amdhsa_ieee_mode 1
		.amdhsa_fp16_overflow 0
		.amdhsa_workgroup_processor_mode 1
		.amdhsa_memory_ordered 1
		.amdhsa_forward_progress 0
		.amdhsa_shared_vgpr_count 0
		.amdhsa_exception_fp_ieee_invalid_op 0
		.amdhsa_exception_fp_denorm_src 0
		.amdhsa_exception_fp_ieee_div_zero 0
		.amdhsa_exception_fp_ieee_overflow 0
		.amdhsa_exception_fp_ieee_underflow 0
		.amdhsa_exception_fp_ieee_inexact 0
		.amdhsa_exception_int_div_zero 0
	.end_amdhsa_kernel
	.section	.text._ZL34rocblas_syrkx_herkx_general_kernelIi19rocblas_complex_numIfELi16ELi32ELi8ELb1ELb0ELc67ELc76EKPKS1_KPS1_EviT_T0_PT8_S7_lSA_S7_lS8_PT9_S7_li,"axG",@progbits,_ZL34rocblas_syrkx_herkx_general_kernelIi19rocblas_complex_numIfELi16ELi32ELi8ELb1ELb0ELc67ELc76EKPKS1_KPS1_EviT_T0_PT8_S7_lSA_S7_lS8_PT9_S7_li,comdat
.Lfunc_end679:
	.size	_ZL34rocblas_syrkx_herkx_general_kernelIi19rocblas_complex_numIfELi16ELi32ELi8ELb1ELb0ELc67ELc76EKPKS1_KPS1_EviT_T0_PT8_S7_lSA_S7_lS8_PT9_S7_li, .Lfunc_end679-_ZL34rocblas_syrkx_herkx_general_kernelIi19rocblas_complex_numIfELi16ELi32ELi8ELb1ELb0ELc67ELc76EKPKS1_KPS1_EviT_T0_PT8_S7_lSA_S7_lS8_PT9_S7_li
                                        ; -- End function
	.section	.AMDGPU.csdata,"",@progbits
; Kernel info:
; codeLenInByte = 2404
; NumSgprs: 21
; NumVgprs: 59
; ScratchSize: 0
; MemoryBound: 1
; FloatMode: 240
; IeeeMode: 1
; LDSByteSize: 4096 bytes/workgroup (compile time only)
; SGPRBlocks: 2
; VGPRBlocks: 7
; NumSGPRsForWavesPerEU: 21
; NumVGPRsForWavesPerEU: 59
; Occupancy: 16
; WaveLimiterHint : 1
; COMPUTE_PGM_RSRC2:SCRATCH_EN: 0
; COMPUTE_PGM_RSRC2:USER_SGPR: 13
; COMPUTE_PGM_RSRC2:TRAP_HANDLER: 0
; COMPUTE_PGM_RSRC2:TGID_X_EN: 1
; COMPUTE_PGM_RSRC2:TGID_Y_EN: 1
; COMPUTE_PGM_RSRC2:TGID_Z_EN: 1
; COMPUTE_PGM_RSRC2:TIDIG_COMP_CNT: 1
	.section	.text._ZL34rocblas_syrkx_herkx_general_kernelIi19rocblas_complex_numIfELi16ELi32ELi8ELb1ELb0ELc78ELc76EKPKS1_KPS1_EviT_T0_PT8_S7_lSA_S7_lS8_PT9_S7_li,"axG",@progbits,_ZL34rocblas_syrkx_herkx_general_kernelIi19rocblas_complex_numIfELi16ELi32ELi8ELb1ELb0ELc78ELc76EKPKS1_KPS1_EviT_T0_PT8_S7_lSA_S7_lS8_PT9_S7_li,comdat
	.globl	_ZL34rocblas_syrkx_herkx_general_kernelIi19rocblas_complex_numIfELi16ELi32ELi8ELb1ELb0ELc78ELc76EKPKS1_KPS1_EviT_T0_PT8_S7_lSA_S7_lS8_PT9_S7_li ; -- Begin function _ZL34rocblas_syrkx_herkx_general_kernelIi19rocblas_complex_numIfELi16ELi32ELi8ELb1ELb0ELc78ELc76EKPKS1_KPS1_EviT_T0_PT8_S7_lSA_S7_lS8_PT9_S7_li
	.p2align	8
	.type	_ZL34rocblas_syrkx_herkx_general_kernelIi19rocblas_complex_numIfELi16ELi32ELi8ELb1ELb0ELc78ELc76EKPKS1_KPS1_EviT_T0_PT8_S7_lSA_S7_lS8_PT9_S7_li,@function
_ZL34rocblas_syrkx_herkx_general_kernelIi19rocblas_complex_numIfELi16ELi32ELi8ELb1ELb0ELc78ELc76EKPKS1_KPS1_EviT_T0_PT8_S7_lSA_S7_lS8_PT9_S7_li: ; @_ZL34rocblas_syrkx_herkx_general_kernelIi19rocblas_complex_numIfELi16ELi32ELi8ELb1ELb0ELc78ELc76EKPKS1_KPS1_EviT_T0_PT8_S7_lSA_S7_lS8_PT9_S7_li
; %bb.0:
	s_clause 0x1
	s_load_b64 s[2:3], s[0:1], 0x48
	s_load_b64 s[10:11], s[0:1], 0x0
	s_mov_b32 s16, s15
	s_mov_b32 s17, 0
	v_dual_mov_b32 v22, 0 :: v_dual_and_b32 v7, 0x3ff, v0
	s_lshl_b64 s[18:19], s[16:17], 3
	v_bfe_u32 v8, v0, 10, 10
	v_dual_mov_b32 v21, 0 :: v_dual_mov_b32 v20, 0
	v_dual_mov_b32 v19, 0 :: v_dual_mov_b32 v18, 0
	;; [unrolled: 1-line block ×3, first 2 shown]
	v_mov_b32_e32 v15, 0
	s_waitcnt lgkmcnt(0)
	s_add_u32 s2, s2, s18
	s_addc_u32 s3, s3, s19
	s_load_b128 s[4:7], s[0:1], 0x8
	s_load_b64 s[8:9], s[2:3], 0x0
	s_lshl_b32 s16, s13, 5
	s_lshl_b32 s20, s14, 5
	s_cmp_lt_i32 s11, 1
	s_cbranch_scc1 .LBB680_9
; %bb.1:
	s_clause 0x2
	s_load_b32 s12, s[0:1], 0x18
	s_load_b32 s14, s[0:1], 0x30
	s_load_b64 s[22:23], s[0:1], 0x28
	v_lshl_add_u32 v0, v8, 4, v7
	v_and_b32_e32 v9, 7, v7
	v_dual_mov_b32 v22, 0 :: v_dual_lshlrev_b32 v13, 3, v7
	s_delay_alu instid0(VALU_DEP_3) | instskip(SKIP_3) | instid1(VALU_DEP_4)
	v_dual_mov_b32 v18, 0 :: v_dual_and_b32 v1, 31, v0
	v_lshrrev_b32_e32 v2, 3, v0
	v_lshrrev_b32_e32 v10, 5, v0
	v_dual_mov_b32 v20, 0 :: v_dual_lshlrev_b32 v3, 3, v9
	v_or_b32_e32 v4, s16, v1
	v_lshlrev_b32_e32 v5, 3, v1
	v_add_nc_u32_e32 v0, s20, v2
	s_delay_alu instid0(VALU_DEP_4)
	v_lshl_or_b32 v3, v2, 6, v3
	v_dual_mov_b32 v17, 0 :: v_dual_add_nc_u32 v2, s16, v1
	v_cmp_gt_i32_e64 s2, s10, v4
	s_waitcnt lgkmcnt(0)
	s_ashr_i32 s13, s12, 31
	s_ashr_i32 s15, s14, 31
	s_add_u32 s22, s22, s18
	s_addc_u32 s23, s23, s19
	s_add_u32 s6, s6, s18
	v_lshl_or_b32 v11, v10, 8, v5
	v_mad_i64_i32 v[4:5], null, s14, v9, 0
	s_addc_u32 s7, s7, s19
	s_load_b64 s[18:19], s[22:23], 0x0
	s_load_b64 s[6:7], s[6:7], 0x0
	v_ashrrev_i32_e32 v1, 31, v0
	v_mad_i64_i32 v[15:16], null, v10, s12, 0
	v_dual_mov_b32 v19, 0 :: v_dual_add_nc_u32 v12, 0x800, v3
	v_ashrrev_i32_e32 v3, 31, v2
	v_cmp_gt_i32_e32 vcc_lo, s10, v0
	v_lshlrev_b64 v[4:5], 3, v[4:5]
	v_lshlrev_b64 v[0:1], 3, v[0:1]
	v_lshlrev_b64 v[15:16], 3, v[15:16]
	v_lshlrev_b64 v[2:3], 3, v[2:3]
	v_lshl_add_u32 v14, v8, 6, 0x800
	v_mov_b32_e32 v21, 0
	v_add_co_u32 v0, s3, v4, v0
	s_delay_alu instid0(VALU_DEP_1) | instskip(SKIP_1) | instid1(VALU_DEP_1)
	v_add_co_ci_u32_e64 v1, s3, v5, v1, s3
	v_add_co_u32 v2, s3, v15, v2
	v_add_co_ci_u32_e64 v3, s3, v16, v3, s3
	s_waitcnt lgkmcnt(0)
	v_add_co_u32 v4, s3, v0, s18
	s_delay_alu instid0(VALU_DEP_1) | instskip(SKIP_1) | instid1(VALU_DEP_1)
	v_add_co_ci_u32_e64 v5, s3, s19, v1, s3
	v_add_co_u32 v0, s3, s6, v2
	v_add_co_ci_u32_e64 v1, s3, s7, v3, s3
	s_delay_alu instid0(VALU_DEP_4) | instskip(NEXT) | instid1(VALU_DEP_1)
	v_add_co_u32 v2, s3, v4, 4
	v_add_co_ci_u32_e64 v3, s3, 0, v5, s3
	v_mov_b32_e32 v4, 0
	v_dual_mov_b32 v16, 0 :: v_dual_mov_b32 v15, 0
	s_lshl_b64 s[6:7], s[12:13], 6
	s_lshl_b64 s[12:13], s[14:15], 6
	s_xor_b32 s3, s2, -1
	s_branch .LBB680_3
.LBB680_2:                              ;   in Loop: Header=BB680_3 Depth=1
	s_or_b32 exec_lo, exec_lo, s2
	s_waitcnt vmcnt(0)
	ds_store_b64 v12, v[5:6]
	s_waitcnt lgkmcnt(0)
	s_barrier
	buffer_gl0_inv
	ds_load_2addr_b64 v[23:26], v13 offset1:16
	ds_load_b128 v[27:30], v14
	ds_load_b128 v[31:34], v14 offset:1024
	ds_load_b128 v[35:38], v14 offset:16
	;; [unrolled: 1-line block ×4, first 2 shown]
	ds_load_2addr_b64 v[47:50], v13 offset0:32 offset1:48
	ds_load_b128 v[51:54], v14 offset:1040
	v_add_co_u32 v0, s2, v0, s6
	s_delay_alu instid0(VALU_DEP_1) | instskip(SKIP_1) | instid1(VALU_DEP_1)
	v_add_co_ci_u32_e64 v1, s2, s7, v1, s2
	v_add_co_u32 v2, s2, v2, s12
	v_add_co_ci_u32_e64 v3, s2, s13, v3, s2
	s_add_i32 s17, s17, 8
	s_delay_alu instid0(SALU_CYCLE_1)
	s_cmp_ge_i32 s17, s11
	s_waitcnt lgkmcnt(6)
	v_dual_mul_f32 v5, v28, v24 :: v_dual_mul_f32 v56, v27, v26
	v_dual_mul_f32 v6, v27, v24 :: v_dual_mul_f32 v55, v28, v26
	s_waitcnt lgkmcnt(5)
	v_mul_f32_e32 v57, v32, v24
	s_delay_alu instid0(VALU_DEP_3)
	v_fma_f32 v5, v27, v23, -v5
	v_fmac_f32_e32 v56, v28, v25
	v_fmac_f32_e32 v6, v28, v23
	v_fma_f32 v27, v27, v25, -v55
	v_mul_f32_e32 v58, v32, v26
	v_mul_f32_e32 v26, v31, v26
	v_fma_f32 v28, v31, v23, -v57
	v_dual_mul_f32 v24, v31, v24 :: v_dual_add_f32 v5, v21, v5
	s_delay_alu instid0(VALU_DEP_3) | instskip(NEXT) | instid1(VALU_DEP_3)
	v_dual_add_f32 v21, v19, v27 :: v_dual_fmac_f32 v26, v32, v25
	v_add_f32_e32 v27, v17, v28
	s_waitcnt lgkmcnt(1)
	v_mul_f32_e32 v28, v30, v48
	v_fmac_f32_e32 v24, v32, v23
	v_fma_f32 v23, v31, v25, -v58
	s_delay_alu instid0(VALU_DEP_3) | instskip(SKIP_1) | instid1(VALU_DEP_3)
	v_fma_f32 v25, v29, v47, -v28
	v_mul_f32_e32 v28, v30, v50
	v_dual_add_f32 v6, v22, v6 :: v_dual_add_f32 v15, v15, v23
	v_mul_f32_e32 v23, v29, v48
	s_delay_alu instid0(VALU_DEP_4) | instskip(NEXT) | instid1(VALU_DEP_4)
	v_dual_add_f32 v5, v5, v25 :: v_dual_add_f32 v22, v20, v56
	v_fma_f32 v25, v29, v49, -v28
	v_add_f32_e32 v24, v18, v24
	ds_load_2addr_b64 v[17:20], v13 offset0:64 offset1:80
	v_fmac_f32_e32 v23, v30, v47
	v_dual_mul_f32 v28, v34, v48 :: v_dual_add_f32 v25, v21, v25
	s_delay_alu instid0(VALU_DEP_2)
	v_dual_add_f32 v6, v6, v23 :: v_dual_mul_f32 v23, v33, v48
	v_add_f32_e32 v16, v16, v26
	v_mul_f32_e32 v26, v29, v50
	v_mul_f32_e32 v29, v33, v50
	v_fma_f32 v21, v33, v47, -v28
	v_fmac_f32_e32 v23, v34, v47
	s_delay_alu instid0(VALU_DEP_3) | instskip(SKIP_1) | instid1(VALU_DEP_4)
	v_fmac_f32_e32 v29, v34, v49
	v_fmac_f32_e32 v26, v30, v49
	v_add_f32_e32 v27, v27, v21
	s_delay_alu instid0(VALU_DEP_2) | instskip(SKIP_2) | instid1(VALU_DEP_1)
	v_dual_add_f32 v29, v16, v29 :: v_dual_add_f32 v26, v22, v26
	s_waitcnt lgkmcnt(0)
	v_mul_f32_e32 v22, v36, v18
	v_fma_f32 v31, v35, v17, -v22
	s_delay_alu instid0(VALU_DEP_1) | instskip(NEXT) | instid1(VALU_DEP_1)
	v_dual_add_f32 v5, v5, v31 :: v_dual_mul_f32 v32, v36, v20
	v_fma_f32 v31, v35, v19, -v32
	s_delay_alu instid0(VALU_DEP_1) | instskip(NEXT) | instid1(VALU_DEP_1)
	v_dual_mul_f32 v28, v34, v50 :: v_dual_add_f32 v25, v25, v31
	v_fma_f32 v21, v33, v49, -v28
	v_add_f32_e32 v28, v24, v23
	v_mul_f32_e32 v16, v35, v20
	v_mul_f32_e32 v31, v52, v20
	;; [unrolled: 1-line block ×3, first 2 shown]
	v_add_f32_e32 v15, v15, v21
	ds_load_2addr_b64 v[21:24], v13 offset0:96 offset1:112
	v_mul_f32_e32 v30, v35, v18
	v_fmac_f32_e32 v16, v36, v19
	v_fmac_f32_e32 v20, v52, v19
	s_delay_alu instid0(VALU_DEP_3) | instskip(NEXT) | instid1(VALU_DEP_3)
	v_fmac_f32_e32 v30, v36, v17
	v_add_f32_e32 v32, v26, v16
	s_delay_alu instid0(VALU_DEP_3) | instskip(SKIP_1) | instid1(VALU_DEP_4)
	v_add_f32_e32 v29, v29, v20
	v_fma_f32 v16, v51, v19, -v31
	v_add_f32_e32 v6, v6, v30
	s_delay_alu instid0(VALU_DEP_2) | instskip(SKIP_3) | instid1(VALU_DEP_3)
	v_dual_mul_f32 v30, v52, v18 :: v_dual_add_f32 v33, v15, v16
	s_waitcnt lgkmcnt(0)
	v_mul_f32_e32 v35, v54, v24
	v_mul_f32_e32 v20, v37, v24
	v_fma_f32 v30, v51, v17, -v30
	v_mul_f32_e32 v19, v38, v22
	s_delay_alu instid0(VALU_DEP_3) | instskip(NEXT) | instid1(VALU_DEP_2)
	v_fmac_f32_e32 v20, v38, v23
	v_fma_f32 v19, v37, v21, -v19
	s_delay_alu instid0(VALU_DEP_2) | instskip(SKIP_2) | instid1(VALU_DEP_4)
	v_add_f32_e32 v36, v32, v20
	v_fma_f32 v20, v53, v23, -v35
	v_dual_add_f32 v30, v27, v30 :: v_dual_mul_f32 v27, v38, v24
	v_add_f32_e32 v5, v5, v19
	v_dual_mul_f32 v19, v54, v22 :: v_dual_mul_f32 v24, v53, v24
	s_delay_alu instid0(VALU_DEP_3) | instskip(NEXT) | instid1(VALU_DEP_2)
	v_fma_f32 v27, v37, v23, -v27
	v_fma_f32 v19, v53, v21, -v19
	s_delay_alu instid0(VALU_DEP_3) | instskip(SKIP_1) | instid1(VALU_DEP_4)
	v_dual_fmac_f32 v24, v54, v23 :: v_dual_add_f32 v23, v33, v20
	v_mul_f32_e32 v18, v51, v18
	v_add_f32_e32 v34, v25, v27
	v_mul_f32_e32 v26, v37, v22
	v_dual_mul_f32 v22, v53, v22 :: v_dual_add_f32 v35, v30, v19
	v_add_f32_e32 v24, v29, v24
	s_delay_alu instid0(VALU_DEP_2) | instskip(SKIP_1) | instid1(VALU_DEP_1)
	v_fmac_f32_e32 v22, v54, v21
	v_fmac_f32_e32 v18, v52, v17
	v_add_f32_e32 v31, v28, v18
	ds_load_2addr_b64 v[15:18], v13 offset0:128 offset1:144
	v_add_f32_e32 v37, v31, v22
	s_waitcnt lgkmcnt(0)
	v_mul_f32_e32 v19, v40, v16
	v_mul_f32_e32 v31, v40, v18
	;; [unrolled: 1-line block ×3, first 2 shown]
	s_delay_alu instid0(VALU_DEP_3)
	v_fma_f32 v30, v39, v15, -v19
	v_fmac_f32_e32 v26, v38, v21
	ds_load_2addr_b64 v[19:22], v13 offset0:160 offset1:176
	v_mul_f32_e32 v38, v39, v18
	v_fma_f32 v39, v39, v17, -v31
	v_add_f32_e32 v5, v5, v30
	v_add_f32_e32 v6, v6, v26
	ds_load_b128 v[25:28], v14 offset:1056
	ds_load_b128 v[29:32], v14 offset:1072
	v_fmac_f32_e32 v38, v40, v17
	v_fmac_f32_e32 v33, v40, v15
	s_delay_alu instid0(VALU_DEP_2) | instskip(SKIP_3) | instid1(VALU_DEP_2)
	v_add_f32_e32 v36, v36, v38
	s_waitcnt lgkmcnt(1)
	v_dual_mul_f32 v38, v25, v18 :: v_dual_mul_f32 v47, v26, v16
	v_mul_f32_e32 v16, v25, v16
	v_fmac_f32_e32 v38, v26, v17
	s_delay_alu instid0(VALU_DEP_1) | instskip(SKIP_1) | instid1(VALU_DEP_1)
	v_add_f32_e32 v38, v24, v38
	v_mul_f32_e32 v24, v41, v22
	v_fmac_f32_e32 v24, v42, v21
	v_add_f32_e32 v6, v6, v33
	v_add_f32_e32 v33, v34, v39
	v_fma_f32 v34, v25, v15, -v47
	v_mul_f32_e32 v39, v26, v18
	v_mul_f32_e32 v18, v42, v20
	s_delay_alu instid0(VALU_DEP_3) | instskip(NEXT) | instid1(VALU_DEP_2)
	v_add_f32_e32 v34, v35, v34
	v_fma_f32 v35, v41, v19, -v18
	s_delay_alu instid0(VALU_DEP_1) | instskip(SKIP_3) | instid1(VALU_DEP_3)
	v_add_f32_e32 v5, v5, v35
	v_fmac_f32_e32 v16, v26, v15
	v_fma_f32 v15, v25, v17, -v39
	v_mul_f32_e32 v26, v41, v20
	v_add_f32_e32 v25, v37, v16
	s_delay_alu instid0(VALU_DEP_3) | instskip(SKIP_3) | instid1(VALU_DEP_2)
	v_add_f32_e32 v23, v23, v15
	ds_load_2addr_b64 v[15:18], v13 offset0:192 offset1:208
	v_mul_f32_e32 v37, v42, v22
	v_fmac_f32_e32 v26, v42, v19
	v_fma_f32 v35, v41, v21, -v37
	s_delay_alu instid0(VALU_DEP_2) | instskip(SKIP_1) | instid1(VALU_DEP_3)
	v_add_f32_e32 v6, v6, v26
	v_mul_f32_e32 v26, v28, v20
	v_dual_mul_f32 v20, v27, v20 :: v_dual_add_f32 v33, v33, v35
	v_mul_f32_e32 v35, v28, v22
	s_delay_alu instid0(VALU_DEP_3) | instskip(NEXT) | instid1(VALU_DEP_3)
	v_fma_f32 v26, v27, v19, -v26
	v_fmac_f32_e32 v20, v28, v19
	v_dual_add_f32 v19, v36, v24 :: v_dual_mul_f32 v22, v27, v22
	s_delay_alu instid0(VALU_DEP_4) | instskip(NEXT) | instid1(VALU_DEP_3)
	v_fma_f32 v24, v27, v21, -v35
	v_dual_add_f32 v27, v34, v26 :: v_dual_add_f32 v20, v25, v20
	s_waitcnt lgkmcnt(0)
	v_mul_f32_e32 v34, v44, v16
	s_delay_alu instid0(VALU_DEP_3)
	v_dual_fmac_f32 v22, v28, v21 :: v_dual_add_f32 v21, v23, v24
	ds_load_2addr_b64 v[23:26], v13 offset0:224 offset1:240
	v_mul_f32_e32 v28, v43, v16
	v_fma_f32 v34, v43, v15, -v34
	v_mul_f32_e32 v35, v44, v18
	v_mul_f32_e32 v36, v43, v18
	s_waitcnt lgkmcnt(0)
	s_delay_alu instid0(VALU_DEP_3) | instskip(SKIP_3) | instid1(VALU_DEP_4)
	v_dual_fmac_f32 v28, v44, v15 :: v_dual_add_f32 v5, v5, v34
	v_mul_f32_e32 v34, v30, v16
	v_fma_f32 v35, v43, v17, -v35
	v_fmac_f32_e32 v36, v44, v17
	v_add_f32_e32 v6, v6, v28
	v_mul_f32_e32 v16, v29, v16
	v_fma_f32 v28, v29, v15, -v34
	v_dual_mul_f32 v34, v30, v18 :: v_dual_add_f32 v33, v33, v35
	s_delay_alu instid0(VALU_DEP_3) | instskip(NEXT) | instid1(VALU_DEP_3)
	v_dual_add_f32 v35, v19, v36 :: v_dual_fmac_f32 v16, v30, v15
	v_dual_add_f32 v15, v27, v28 :: v_dual_mul_f32 v18, v29, v18
	s_delay_alu instid0(VALU_DEP_3) | instskip(SKIP_3) | instid1(VALU_DEP_4)
	v_fma_f32 v19, v29, v17, -v34
	v_mul_f32_e32 v27, v46, v24
	v_mul_f32_e32 v28, v45, v24
	v_add_f32_e32 v16, v20, v16
	v_dual_fmac_f32 v18, v30, v17 :: v_dual_add_f32 v29, v21, v19
	s_delay_alu instid0(VALU_DEP_4)
	v_fma_f32 v17, v45, v23, -v27
	v_mul_f32_e32 v19, v46, v26
	v_fmac_f32_e32 v28, v46, v23
	v_mul_f32_e32 v20, v45, v26
	s_barrier
	v_add_f32_e32 v21, v5, v17
	v_mul_f32_e32 v17, v32, v26
	v_fma_f32 v5, v45, v25, -v19
	v_fmac_f32_e32 v20, v46, v25
	buffer_gl0_inv
	v_dual_add_f32 v19, v33, v5 :: v_dual_add_f32 v22, v38, v22
	s_delay_alu instid0(VALU_DEP_1) | instskip(SKIP_4) | instid1(VALU_DEP_3)
	v_dual_add_f32 v20, v35, v20 :: v_dual_add_f32 v27, v22, v18
	v_add_f32_e32 v22, v6, v28
	v_mul_f32_e32 v6, v32, v24
	v_mul_f32_e32 v18, v31, v24
	;; [unrolled: 1-line block ×3, first 2 shown]
	v_fma_f32 v5, v31, v23, -v6
	s_delay_alu instid0(VALU_DEP_3) | instskip(SKIP_1) | instid1(VALU_DEP_4)
	v_fmac_f32_e32 v18, v32, v23
	v_fma_f32 v6, v31, v25, -v17
	v_fmac_f32_e32 v24, v32, v25
	s_delay_alu instid0(VALU_DEP_3) | instskip(NEXT) | instid1(VALU_DEP_2)
	v_dual_add_f32 v17, v15, v5 :: v_dual_add_f32 v18, v16, v18
	v_dual_add_f32 v15, v29, v6 :: v_dual_add_f32 v16, v27, v24
	s_cbranch_scc1 .LBB680_9
.LBB680_3:                              ; =>This Inner Loop Header: Depth=1
	v_add_nc_u32_e32 v5, s17, v10
	s_delay_alu instid0(VALU_DEP_1) | instskip(NEXT) | instid1(VALU_DEP_1)
	v_cmp_le_i32_e64 s2, s11, v5
	s_or_b32 s2, s3, s2
	s_delay_alu instid0(SALU_CYCLE_1) | instskip(NEXT) | instid1(SALU_CYCLE_1)
	s_and_saveexec_b32 s14, s2
	s_xor_b32 s2, exec_lo, s14
	s_cbranch_execz .LBB680_5
; %bb.4:                                ;   in Loop: Header=BB680_3 Depth=1
	v_mov_b32_e32 v5, v4
	ds_store_b64 v11, v[4:5]
.LBB680_5:                              ;   in Loop: Header=BB680_3 Depth=1
	s_and_not1_saveexec_b32 s2, s2
	s_cbranch_execz .LBB680_7
; %bb.6:                                ;   in Loop: Header=BB680_3 Depth=1
	global_load_b64 v[5:6], v[0:1], off
	s_waitcnt vmcnt(0)
	ds_store_b64 v11, v[5:6]
.LBB680_7:                              ;   in Loop: Header=BB680_3 Depth=1
	s_or_b32 exec_lo, exec_lo, s2
	v_dual_mov_b32 v6, 0 :: v_dual_add_nc_u32 v5, s17, v9
	s_delay_alu instid0(VALU_DEP_1) | instskip(SKIP_1) | instid1(VALU_DEP_2)
	v_cmp_gt_i32_e64 s2, s11, v5
	v_mov_b32_e32 v5, 0
	s_and_b32 s14, s2, vcc_lo
	s_delay_alu instid0(SALU_CYCLE_1)
	s_and_saveexec_b32 s2, s14
	s_cbranch_execz .LBB680_2
; %bb.8:                                ;   in Loop: Header=BB680_3 Depth=1
	global_load_b64 v[5:6], v[2:3], off offset:-4
	s_branch .LBB680_2
.LBB680_9:
	s_load_b32 s2, s[0:1], 0x50
	v_add_nc_u32_e32 v4, s20, v8
	v_add_nc_u32_e32 v0, s16, v7
	s_delay_alu instid0(VALU_DEP_1) | instskip(SKIP_1) | instid1(VALU_DEP_2)
	v_cmp_le_i32_e64 s0, v4, v0
	v_cmp_gt_i32_e32 vcc_lo, s10, v0
	s_and_b32 s0, s0, vcc_lo
	s_waitcnt lgkmcnt(0)
	v_mad_i64_i32 v[1:2], null, v4, s2, 0
	s_delay_alu instid0(VALU_DEP_1) | instskip(NEXT) | instid1(VALU_DEP_1)
	v_lshlrev_b64 v[1:2], 3, v[1:2]
	v_add_co_u32 v5, s1, s8, v1
	s_delay_alu instid0(VALU_DEP_1)
	v_add_co_ci_u32_e64 v6, s1, s9, v2, s1
	s_and_saveexec_b32 s1, s0
	s_cbranch_execz .LBB680_11
; %bb.10:
	v_ashrrev_i32_e32 v1, 31, v0
	v_mul_f32_e32 v2, s4, v22
	v_mul_f32_e32 v3, s5, v22
	s_delay_alu instid0(VALU_DEP_3) | instskip(NEXT) | instid1(VALU_DEP_3)
	v_lshlrev_b64 v[7:8], 3, v[0:1]
	v_fmac_f32_e32 v2, s5, v21
	s_delay_alu instid0(VALU_DEP_3) | instskip(NEXT) | instid1(VALU_DEP_3)
	v_fma_f32 v1, v21, s4, -v3
	v_add_co_u32 v7, s0, v5, v7
	s_delay_alu instid0(VALU_DEP_1)
	v_add_co_ci_u32_e64 v8, s0, v6, v8, s0
	global_store_b64 v[7:8], v[1:2], off
.LBB680_11:
	s_or_b32 exec_lo, exec_lo, s1
	v_add_nc_u32_e32 v2, 16, v0
	s_delay_alu instid0(VALU_DEP_1) | instskip(SKIP_1) | instid1(VALU_DEP_1)
	v_cmp_le_i32_e64 s1, v4, v2
	v_cmp_gt_i32_e64 s0, s10, v2
	s_and_b32 s1, s1, s0
	s_delay_alu instid0(SALU_CYCLE_1)
	s_and_saveexec_b32 s3, s1
	s_cbranch_execz .LBB680_13
; %bb.12:
	v_ashrrev_i32_e32 v3, 31, v2
	v_mul_f32_e32 v8, s4, v20
	v_mul_f32_e32 v1, s5, v20
	s_delay_alu instid0(VALU_DEP_3) | instskip(NEXT) | instid1(VALU_DEP_3)
	v_lshlrev_b64 v[9:10], 3, v[2:3]
	v_fmac_f32_e32 v8, s5, v19
	s_delay_alu instid0(VALU_DEP_3) | instskip(NEXT) | instid1(VALU_DEP_3)
	v_fma_f32 v7, v19, s4, -v1
	v_add_co_u32 v5, s1, v5, v9
	s_delay_alu instid0(VALU_DEP_1)
	v_add_co_ci_u32_e64 v6, s1, v6, v10, s1
	global_store_b64 v[5:6], v[7:8], off
.LBB680_13:
	s_or_b32 exec_lo, exec_lo, s3
	v_add_nc_u32_e32 v3, 16, v4
	s_delay_alu instid0(VALU_DEP_1) | instskip(SKIP_1) | instid1(VALU_DEP_2)
	v_mad_i64_i32 v[4:5], null, v3, s2, 0
	v_cmp_le_i32_e64 s1, v3, v0
	v_lshlrev_b64 v[4:5], 3, v[4:5]
	s_delay_alu instid0(VALU_DEP_1) | instskip(NEXT) | instid1(VALU_DEP_1)
	v_add_co_u32 v4, s2, s8, v4
	v_add_co_ci_u32_e64 v5, s2, s9, v5, s2
	s_delay_alu instid0(VALU_DEP_4) | instskip(NEXT) | instid1(SALU_CYCLE_1)
	s_and_b32 s2, s1, vcc_lo
	s_and_saveexec_b32 s1, s2
	s_cbranch_execz .LBB680_15
; %bb.14:
	v_ashrrev_i32_e32 v1, 31, v0
	v_mul_f32_e32 v7, s4, v18
	v_mul_f32_e32 v6, s5, v18
	s_delay_alu instid0(VALU_DEP_3) | instskip(NEXT) | instid1(VALU_DEP_3)
	v_lshlrev_b64 v[0:1], 3, v[0:1]
	v_fmac_f32_e32 v7, s5, v17
	s_delay_alu instid0(VALU_DEP_3) | instskip(NEXT) | instid1(VALU_DEP_3)
	v_fma_f32 v6, v17, s4, -v6
	v_add_co_u32 v0, vcc_lo, v4, v0
	s_delay_alu instid0(VALU_DEP_4)
	v_add_co_ci_u32_e32 v1, vcc_lo, v5, v1, vcc_lo
	global_store_b64 v[0:1], v[6:7], off
.LBB680_15:
	s_or_b32 exec_lo, exec_lo, s1
	v_cmp_le_i32_e32 vcc_lo, v3, v2
	s_and_b32 s0, vcc_lo, s0
	s_delay_alu instid0(SALU_CYCLE_1)
	s_and_saveexec_b32 s1, s0
	s_cbranch_execz .LBB680_17
; %bb.16:
	v_ashrrev_i32_e32 v3, 31, v2
	v_mul_f32_e32 v1, s4, v16
	v_mul_f32_e32 v0, s5, v16
	s_delay_alu instid0(VALU_DEP_3) | instskip(NEXT) | instid1(VALU_DEP_3)
	v_lshlrev_b64 v[2:3], 3, v[2:3]
	v_fmac_f32_e32 v1, s5, v15
	s_delay_alu instid0(VALU_DEP_3) | instskip(NEXT) | instid1(VALU_DEP_3)
	v_fma_f32 v0, v15, s4, -v0
	v_add_co_u32 v2, vcc_lo, v4, v2
	s_delay_alu instid0(VALU_DEP_4)
	v_add_co_ci_u32_e32 v3, vcc_lo, v5, v3, vcc_lo
	global_store_b64 v[2:3], v[0:1], off
.LBB680_17:
	s_nop 0
	s_sendmsg sendmsg(MSG_DEALLOC_VGPRS)
	s_endpgm
	.section	.rodata,"a",@progbits
	.p2align	6, 0x0
	.amdhsa_kernel _ZL34rocblas_syrkx_herkx_general_kernelIi19rocblas_complex_numIfELi16ELi32ELi8ELb1ELb0ELc78ELc76EKPKS1_KPS1_EviT_T0_PT8_S7_lSA_S7_lS8_PT9_S7_li
		.amdhsa_group_segment_fixed_size 4096
		.amdhsa_private_segment_fixed_size 0
		.amdhsa_kernarg_size 100
		.amdhsa_user_sgpr_count 13
		.amdhsa_user_sgpr_dispatch_ptr 0
		.amdhsa_user_sgpr_queue_ptr 0
		.amdhsa_user_sgpr_kernarg_segment_ptr 1
		.amdhsa_user_sgpr_dispatch_id 0
		.amdhsa_user_sgpr_private_segment_size 0
		.amdhsa_wavefront_size32 1
		.amdhsa_uses_dynamic_stack 0
		.amdhsa_enable_private_segment 0
		.amdhsa_system_sgpr_workgroup_id_x 1
		.amdhsa_system_sgpr_workgroup_id_y 1
		.amdhsa_system_sgpr_workgroup_id_z 1
		.amdhsa_system_sgpr_workgroup_info 0
		.amdhsa_system_vgpr_workitem_id 1
		.amdhsa_next_free_vgpr 59
		.amdhsa_next_free_sgpr 24
		.amdhsa_reserve_vcc 1
		.amdhsa_float_round_mode_32 0
		.amdhsa_float_round_mode_16_64 0
		.amdhsa_float_denorm_mode_32 3
		.amdhsa_float_denorm_mode_16_64 3
		.amdhsa_dx10_clamp 1
		.amdhsa_ieee_mode 1
		.amdhsa_fp16_overflow 0
		.amdhsa_workgroup_processor_mode 1
		.amdhsa_memory_ordered 1
		.amdhsa_forward_progress 0
		.amdhsa_shared_vgpr_count 0
		.amdhsa_exception_fp_ieee_invalid_op 0
		.amdhsa_exception_fp_denorm_src 0
		.amdhsa_exception_fp_ieee_div_zero 0
		.amdhsa_exception_fp_ieee_overflow 0
		.amdhsa_exception_fp_ieee_underflow 0
		.amdhsa_exception_fp_ieee_inexact 0
		.amdhsa_exception_int_div_zero 0
	.end_amdhsa_kernel
	.section	.text._ZL34rocblas_syrkx_herkx_general_kernelIi19rocblas_complex_numIfELi16ELi32ELi8ELb1ELb0ELc78ELc76EKPKS1_KPS1_EviT_T0_PT8_S7_lSA_S7_lS8_PT9_S7_li,"axG",@progbits,_ZL34rocblas_syrkx_herkx_general_kernelIi19rocblas_complex_numIfELi16ELi32ELi8ELb1ELb0ELc78ELc76EKPKS1_KPS1_EviT_T0_PT8_S7_lSA_S7_lS8_PT9_S7_li,comdat
.Lfunc_end680:
	.size	_ZL34rocblas_syrkx_herkx_general_kernelIi19rocblas_complex_numIfELi16ELi32ELi8ELb1ELb0ELc78ELc76EKPKS1_KPS1_EviT_T0_PT8_S7_lSA_S7_lS8_PT9_S7_li, .Lfunc_end680-_ZL34rocblas_syrkx_herkx_general_kernelIi19rocblas_complex_numIfELi16ELi32ELi8ELb1ELb0ELc78ELc76EKPKS1_KPS1_EviT_T0_PT8_S7_lSA_S7_lS8_PT9_S7_li
                                        ; -- End function
	.section	.AMDGPU.csdata,"",@progbits
; Kernel info:
; codeLenInByte = 2432
; NumSgprs: 26
; NumVgprs: 59
; ScratchSize: 0
; MemoryBound: 1
; FloatMode: 240
; IeeeMode: 1
; LDSByteSize: 4096 bytes/workgroup (compile time only)
; SGPRBlocks: 3
; VGPRBlocks: 7
; NumSGPRsForWavesPerEU: 26
; NumVGPRsForWavesPerEU: 59
; Occupancy: 16
; WaveLimiterHint : 1
; COMPUTE_PGM_RSRC2:SCRATCH_EN: 0
; COMPUTE_PGM_RSRC2:USER_SGPR: 13
; COMPUTE_PGM_RSRC2:TRAP_HANDLER: 0
; COMPUTE_PGM_RSRC2:TGID_X_EN: 1
; COMPUTE_PGM_RSRC2:TGID_Y_EN: 1
; COMPUTE_PGM_RSRC2:TGID_Z_EN: 1
; COMPUTE_PGM_RSRC2:TIDIG_COMP_CNT: 1
	.section	.text._ZL34rocblas_syrkx_herkx_general_kernelIi19rocblas_complex_numIfELi16ELi32ELi8ELb1ELb0ELc84ELc85EKPKS1_KPS1_EviT_T0_PT8_S7_lSA_S7_lS8_PT9_S7_li,"axG",@progbits,_ZL34rocblas_syrkx_herkx_general_kernelIi19rocblas_complex_numIfELi16ELi32ELi8ELb1ELb0ELc84ELc85EKPKS1_KPS1_EviT_T0_PT8_S7_lSA_S7_lS8_PT9_S7_li,comdat
	.globl	_ZL34rocblas_syrkx_herkx_general_kernelIi19rocblas_complex_numIfELi16ELi32ELi8ELb1ELb0ELc84ELc85EKPKS1_KPS1_EviT_T0_PT8_S7_lSA_S7_lS8_PT9_S7_li ; -- Begin function _ZL34rocblas_syrkx_herkx_general_kernelIi19rocblas_complex_numIfELi16ELi32ELi8ELb1ELb0ELc84ELc85EKPKS1_KPS1_EviT_T0_PT8_S7_lSA_S7_lS8_PT9_S7_li
	.p2align	8
	.type	_ZL34rocblas_syrkx_herkx_general_kernelIi19rocblas_complex_numIfELi16ELi32ELi8ELb1ELb0ELc84ELc85EKPKS1_KPS1_EviT_T0_PT8_S7_lSA_S7_lS8_PT9_S7_li,@function
_ZL34rocblas_syrkx_herkx_general_kernelIi19rocblas_complex_numIfELi16ELi32ELi8ELb1ELb0ELc84ELc85EKPKS1_KPS1_EviT_T0_PT8_S7_lSA_S7_lS8_PT9_S7_li: ; @_ZL34rocblas_syrkx_herkx_general_kernelIi19rocblas_complex_numIfELi16ELi32ELi8ELb1ELb0ELc84ELc85EKPKS1_KPS1_EviT_T0_PT8_S7_lSA_S7_lS8_PT9_S7_li
; %bb.0:
	s_clause 0x1
	s_load_b64 s[4:5], s[0:1], 0x48
	s_load_b64 s[8:9], s[0:1], 0x0
	s_mov_b32 s16, s15
	s_mov_b32 s17, 0
	v_dual_mov_b32 v21, 0 :: v_dual_and_b32 v6, 0x3ff, v0
	s_lshl_b64 s[2:3], s[16:17], 3
	v_bfe_u32 v7, v0, 10, 10
	v_dual_mov_b32 v20, 0 :: v_dual_mov_b32 v19, 0
	v_dual_mov_b32 v18, 0 :: v_dual_mov_b32 v17, 0
	;; [unrolled: 1-line block ×3, first 2 shown]
	v_mov_b32_e32 v14, 0
	s_waitcnt lgkmcnt(0)
	s_add_u32 s10, s4, s2
	s_addc_u32 s11, s5, s3
	s_load_b128 s[4:7], s[0:1], 0x8
	s_load_b64 s[10:11], s[10:11], 0x0
	s_lshl_b32 s12, s13, 5
	s_lshl_b32 s13, s14, 5
	s_cmp_lt_i32 s9, 1
	s_cbranch_scc1 .LBB681_11
; %bb.1:
	s_clause 0x1
	s_load_b64 s[14:15], s[0:1], 0x28
	s_load_b32 s16, s[0:1], 0x18
	v_lshl_add_u32 v0, v7, 4, v6
	s_load_b32 s18, s[0:1], 0x30
	v_and_b32_e32 v8, 7, v6
	v_lshlrev_b32_e32 v9, 3, v6
	v_lshl_add_u32 v10, v7, 6, 0x800
	v_and_b32_e32 v1, 31, v0
	v_lshrrev_b32_e32 v2, 3, v0
	v_lshrrev_b32_e32 v11, 5, v0
	v_dual_mov_b32 v19, 0 :: v_dual_mov_b32 v18, 0
	s_delay_alu instid0(VALU_DEP_4) | instskip(SKIP_4) | instid1(VALU_DEP_4)
	v_add_nc_u32_e32 v3, s12, v1
	v_or_b32_e32 v12, s12, v1
	v_dual_mov_b32 v20, 0 :: v_dual_lshlrev_b32 v13, 3, v1
	v_lshlrev_b32_e32 v15, 3, v11
	v_dual_mov_b32 v16, 0 :: v_dual_add_nc_u32 v5, s13, v2
	v_cmp_gt_i32_e32 vcc_lo, s8, v12
	s_waitcnt lgkmcnt(0)
	s_add_u32 s14, s14, s2
	v_mad_i64_i32 v[0:1], null, s16, v3, 0
	s_addc_u32 s15, s15, s3
	s_add_u32 s2, s6, s2
	s_addc_u32 s3, s7, s3
	s_load_b64 s[14:15], s[14:15], 0x0
	s_load_b64 s[6:7], s[2:3], 0x0
	v_cmp_gt_i32_e64 s2, s8, v5
	s_delay_alu instid0(VALU_DEP_2) | instskip(SKIP_4) | instid1(VALU_DEP_4)
	v_lshlrev_b64 v[0:1], 3, v[0:1]
	v_lshl_or_b32 v12, v11, 8, v13
	v_mov_b32_e32 v21, 0
	v_mov_b32_e32 v17, 0
	s_xor_b32 s2, s2, -1
	v_add_co_u32 v0, s3, v0, v15
	v_dual_mov_b32 v15, 0 :: v_dual_lshlrev_b32 v4, 3, v8
	v_add_co_ci_u32_e64 v1, s3, 0, v1, s3
	s_delay_alu instid0(VALU_DEP_2) | instskip(SKIP_1) | instid1(VALU_DEP_2)
	v_lshl_or_b32 v14, v2, 6, v4
	v_mad_i64_i32 v[2:3], null, s18, v5, 0
	v_dual_mov_b32 v14, 0 :: v_dual_add_nc_u32 v13, 0x800, v14
	s_delay_alu instid0(VALU_DEP_2) | instskip(NEXT) | instid1(VALU_DEP_1)
	v_lshlrev_b64 v[2:3], 3, v[2:3]
	v_add_co_u32 v2, s3, v2, v4
	s_delay_alu instid0(VALU_DEP_1) | instskip(SKIP_2) | instid1(VALU_DEP_1)
	v_add_co_ci_u32_e64 v3, s3, 0, v3, s3
	s_waitcnt lgkmcnt(0)
	v_add_co_u32 v0, s3, s6, v0
	v_add_co_ci_u32_e64 v1, s3, s7, v1, s3
	v_add_co_u32 v2, s3, s14, v2
	s_delay_alu instid0(VALU_DEP_1)
	v_add_co_ci_u32_e64 v3, s3, s15, v3, s3
	v_mov_b32_e32 v4, 0
	s_xor_b32 s3, vcc_lo, -1
	s_branch .LBB681_3
.LBB681_2:                              ;   in Loop: Header=BB681_3 Depth=1
	s_or_b32 exec_lo, exec_lo, s6
	s_waitcnt lgkmcnt(0)
	s_barrier
	buffer_gl0_inv
	ds_load_2addr_b64 v[22:25], v9 offset1:16
	ds_load_b128 v[26:29], v10
	ds_load_b128 v[30:33], v10 offset:1024
	ds_load_b128 v[34:37], v10 offset:16
	ds_load_b128 v[38:41], v10 offset:32
	ds_load_b128 v[42:45], v10 offset:48
	ds_load_2addr_b64 v[46:49], v9 offset0:32 offset1:48
	ds_load_b128 v[50:53], v10 offset:1040
	v_add_co_u32 v0, vcc_lo, v0, 64
	v_add_co_ci_u32_e32 v1, vcc_lo, 0, v1, vcc_lo
	v_add_co_u32 v2, vcc_lo, v2, 64
	v_add_co_ci_u32_e32 v3, vcc_lo, 0, v3, vcc_lo
	s_add_i32 s17, s17, 8
	s_delay_alu instid0(SALU_CYCLE_1)
	s_cmp_ge_i32 s17, s9
	s_waitcnt lgkmcnt(6)
	v_dual_mul_f32 v5, v27, v23 :: v_dual_mul_f32 v56, v26, v25
	v_dual_mul_f32 v54, v26, v23 :: v_dual_mul_f32 v55, v27, v25
	s_waitcnt lgkmcnt(5)
	v_mul_f32_e32 v58, v31, v25
	s_delay_alu instid0(VALU_DEP_3) | instskip(SKIP_3) | instid1(VALU_DEP_4)
	v_fma_f32 v5, v26, v22, -v5
	v_dual_mul_f32 v25, v30, v25 :: v_dual_fmac_f32 v56, v27, v24
	v_fmac_f32_e32 v54, v27, v22
	v_fma_f32 v26, v26, v24, -v55
	v_add_f32_e32 v5, v20, v5
	v_mul_f32_e32 v57, v31, v23
	s_delay_alu instid0(VALU_DEP_4) | instskip(SKIP_2) | instid1(VALU_DEP_4)
	v_dual_mul_f32 v23, v30, v23 :: v_dual_add_f32 v20, v21, v54
	v_fmac_f32_e32 v25, v31, v24
	v_dual_add_f32 v21, v18, v26 :: v_dual_add_f32 v26, v19, v56
	v_fma_f32 v27, v30, v22, -v57
	s_delay_alu instid0(VALU_DEP_4) | instskip(SKIP_3) | instid1(VALU_DEP_2)
	v_fmac_f32_e32 v23, v31, v22
	v_fma_f32 v22, v30, v24, -v58
	s_waitcnt lgkmcnt(1)
	v_mul_f32_e32 v30, v29, v47
	v_dual_add_f32 v27, v16, v27 :: v_dual_add_f32 v14, v14, v22
	v_dual_mul_f32 v22, v28, v47 :: v_dual_add_f32 v15, v15, v25
	v_mul_f32_e32 v25, v28, v49
	s_delay_alu instid0(VALU_DEP_4) | instskip(NEXT) | instid1(VALU_DEP_3)
	v_fma_f32 v24, v28, v46, -v30
	v_fmac_f32_e32 v22, v29, v46
	v_add_f32_e32 v23, v17, v23
	ds_load_2addr_b64 v[16:19], v9 offset0:64 offset1:80
	v_mul_f32_e32 v30, v29, v49
	v_fmac_f32_e32 v25, v29, v48
	v_add_f32_e32 v5, v5, v24
	s_delay_alu instid0(VALU_DEP_2) | instskip(SKIP_1) | instid1(VALU_DEP_1)
	v_add_f32_e32 v25, v26, v25
	v_mul_f32_e32 v26, v32, v49
	v_fmac_f32_e32 v26, v33, v48
	s_waitcnt lgkmcnt(0)
	s_delay_alu instid0(VALU_DEP_1) | instskip(SKIP_1) | instid1(VALU_DEP_2)
	v_dual_add_f32 v26, v15, v26 :: v_dual_mul_f32 v29, v34, v17
	v_mul_f32_e32 v15, v34, v19
	v_fmac_f32_e32 v29, v35, v16
	v_fma_f32 v24, v28, v48, -v30
	v_mul_f32_e32 v28, v33, v47
	v_add_f32_e32 v30, v20, v22
	v_mul_f32_e32 v20, v32, v47
	v_mul_f32_e32 v22, v33, v49
	v_add_f32_e32 v24, v21, v24
	v_fma_f32 v21, v32, v46, -v28
	s_delay_alu instid0(VALU_DEP_4) | instskip(SKIP_1) | instid1(VALU_DEP_3)
	v_dual_add_f32 v29, v30, v29 :: v_dual_fmac_f32 v20, v33, v46
	v_fmac_f32_e32 v15, v35, v18
	v_add_f32_e32 v27, v27, v21
	v_fma_f32 v21, v32, v48, -v22
	v_mul_f32_e32 v22, v35, v17
	v_mul_f32_e32 v32, v35, v19
	v_add_f32_e32 v28, v23, v20
	s_delay_alu instid0(VALU_DEP_4) | instskip(NEXT) | instid1(VALU_DEP_4)
	v_add_f32_e32 v14, v14, v21
	v_fma_f32 v31, v34, v16, -v22
	ds_load_2addr_b64 v[20:23], v9 offset0:96 offset1:112
	v_add_f32_e32 v5, v5, v31
	v_fma_f32 v31, v34, v18, -v32
	s_delay_alu instid0(VALU_DEP_1) | instskip(SKIP_3) | instid1(VALU_DEP_3)
	v_add_f32_e32 v24, v24, v31
	v_mul_f32_e32 v31, v51, v19
	v_mul_f32_e32 v19, v50, v19
	v_add_f32_e32 v32, v25, v15
	v_fma_f32 v15, v50, v18, -v31
	s_delay_alu instid0(VALU_DEP_3)
	v_fmac_f32_e32 v19, v51, v18
	v_mul_f32_e32 v30, v51, v17
	v_mul_f32_e32 v17, v50, v17
	s_waitcnt lgkmcnt(0)
	v_dual_mul_f32 v18, v37, v21 :: v_dual_add_f32 v31, v14, v15
	v_add_f32_e32 v33, v26, v19
	v_fma_f32 v30, v50, v16, -v30
	v_fmac_f32_e32 v17, v51, v16
	s_delay_alu instid0(VALU_DEP_4) | instskip(SKIP_1) | instid1(VALU_DEP_4)
	v_fma_f32 v18, v36, v20, -v18
	v_mul_f32_e32 v25, v36, v21
	v_dual_mul_f32 v19, v36, v23 :: v_dual_add_f32 v30, v27, v30
	s_delay_alu instid0(VALU_DEP_4) | instskip(SKIP_4) | instid1(VALU_DEP_2)
	v_add_f32_e32 v28, v28, v17
	ds_load_2addr_b64 v[14:17], v9 offset0:128 offset1:144
	v_add_f32_e32 v5, v5, v18
	v_mul_f32_e32 v18, v53, v21
	v_fmac_f32_e32 v19, v37, v22
	v_fma_f32 v18, v52, v20, -v18
	v_mul_f32_e32 v27, v37, v23
	s_delay_alu instid0(VALU_DEP_1) | instskip(NEXT) | instid1(VALU_DEP_3)
	v_fma_f32 v26, v36, v22, -v27
	v_add_f32_e32 v36, v30, v18
	s_waitcnt lgkmcnt(0)
	s_delay_alu instid0(VALU_DEP_2) | instskip(SKIP_2) | instid1(VALU_DEP_3)
	v_dual_add_f32 v35, v24, v26 :: v_dual_mul_f32 v46, v38, v15
	v_dual_fmac_f32 v25, v37, v20 :: v_dual_add_f32 v32, v32, v19
	v_mul_f32_e32 v18, v39, v15
	v_fmac_f32_e32 v46, v39, v14
	s_delay_alu instid0(VALU_DEP_3)
	v_add_f32_e32 v34, v29, v25
	v_mul_f32_e32 v29, v53, v23
	v_mul_f32_e32 v23, v52, v23
	ds_load_b128 v[24:27], v10 offset:1056
	v_add_f32_e32 v34, v34, v46
	v_fma_f32 v19, v52, v22, -v29
	v_mul_f32_e32 v21, v52, v21
	v_fmac_f32_e32 v23, v53, v22
	v_mul_f32_e32 v29, v39, v17
	s_delay_alu instid0(VALU_DEP_3) | instskip(NEXT) | instid1(VALU_DEP_3)
	v_dual_add_f32 v22, v31, v19 :: v_dual_fmac_f32 v21, v53, v20
	v_add_f32_e32 v23, v33, v23
	s_delay_alu instid0(VALU_DEP_2) | instskip(SKIP_4) | instid1(VALU_DEP_2)
	v_add_f32_e32 v37, v28, v21
	v_fma_f32 v28, v38, v14, -v18
	ds_load_2addr_b64 v[18:21], v9 offset0:160 offset1:176
	v_mul_f32_e32 v33, v38, v17
	v_fma_f32 v38, v38, v16, -v29
	v_fmac_f32_e32 v33, v39, v16
	s_delay_alu instid0(VALU_DEP_1)
	v_dual_add_f32 v35, v35, v38 :: v_dual_add_f32 v32, v32, v33
	v_add_f32_e32 v5, v5, v28
	ds_load_b128 v[28:31], v10 offset:1072
	s_waitcnt lgkmcnt(2)
	v_mul_f32_e32 v47, v25, v15
	v_mul_f32_e32 v15, v24, v15
	;; [unrolled: 1-line block ×4, first 2 shown]
	s_delay_alu instid0(VALU_DEP_4) | instskip(NEXT) | instid1(VALU_DEP_4)
	v_fma_f32 v38, v24, v14, -v47
	v_fmac_f32_e32 v15, v25, v14
	s_delay_alu instid0(VALU_DEP_4)
	v_fma_f32 v14, v24, v16, -v39
	s_waitcnt lgkmcnt(1)
	v_mul_f32_e32 v17, v41, v19
	v_dual_fmac_f32 v33, v25, v16 :: v_dual_add_f32 v36, v36, v38
	v_add_f32_e32 v24, v37, v15
	v_add_f32_e32 v22, v22, v14
	s_delay_alu instid0(VALU_DEP_4) | instskip(SKIP_2) | instid1(VALU_DEP_1)
	v_fma_f32 v37, v40, v18, -v17
	ds_load_2addr_b64 v[14:17], v9 offset0:192 offset1:208
	v_dual_mul_f32 v25, v40, v19 :: v_dual_mul_f32 v38, v41, v21
	v_fmac_f32_e32 v25, v41, v18
	s_delay_alu instid0(VALU_DEP_1) | instskip(SKIP_4) | instid1(VALU_DEP_3)
	v_add_f32_e32 v34, v34, v25
	v_add_f32_e32 v33, v23, v33
	v_mul_f32_e32 v23, v40, v21
	v_mul_f32_e32 v25, v27, v19
	;; [unrolled: 1-line block ×3, first 2 shown]
	v_fmac_f32_e32 v23, v41, v20
	s_delay_alu instid0(VALU_DEP_3) | instskip(NEXT) | instid1(VALU_DEP_2)
	v_fma_f32 v25, v26, v18, -v25
	v_dual_fmac_f32 v19, v27, v18 :: v_dual_add_f32 v18, v32, v23
	s_waitcnt lgkmcnt(0)
	v_dual_mul_f32 v32, v43, v15 :: v_dual_add_f32 v5, v5, v37
	v_fma_f32 v37, v40, v20, -v38
	s_delay_alu instid0(VALU_DEP_3) | instskip(NEXT) | instid1(VALU_DEP_3)
	v_add_f32_e32 v19, v24, v19
	v_fma_f32 v32, v42, v14, -v32
	s_delay_alu instid0(VALU_DEP_1) | instskip(NEXT) | instid1(VALU_DEP_4)
	v_add_f32_e32 v5, v5, v32
	v_add_f32_e32 v35, v35, v37
	v_mul_f32_e32 v37, v27, v21
	v_dual_mul_f32 v21, v26, v21 :: v_dual_mul_f32 v32, v29, v15
	s_delay_alu instid0(VALU_DEP_2) | instskip(NEXT) | instid1(VALU_DEP_2)
	v_fma_f32 v23, v26, v20, -v37
	v_dual_add_f32 v26, v36, v25 :: v_dual_fmac_f32 v21, v27, v20
	v_mul_f32_e32 v27, v42, v15
	v_mul_f32_e32 v15, v28, v15
	s_delay_alu instid0(VALU_DEP_4)
	v_add_f32_e32 v20, v22, v23
	ds_load_2addr_b64 v[22:25], v9 offset0:224 offset1:240
	v_fma_f32 v32, v28, v14, -v32
	v_dual_fmac_f32 v27, v43, v14 :: v_dual_mul_f32 v36, v42, v17
	v_fmac_f32_e32 v15, v29, v14
	s_waitcnt lgkmcnt(0)
	s_delay_alu instid0(VALU_DEP_3) | instskip(NEXT) | instid1(VALU_DEP_3)
	v_add_f32_e32 v14, v26, v32
	v_dual_add_f32 v27, v34, v27 :: v_dual_fmac_f32 v36, v43, v16
	s_delay_alu instid0(VALU_DEP_3)
	v_dual_mul_f32 v34, v29, v17 :: v_dual_add_f32 v15, v19, v15
	s_barrier
	buffer_gl0_inv
	v_mul_f32_e32 v26, v45, v23
	v_add_f32_e32 v21, v33, v21
	v_mul_f32_e32 v33, v43, v17
	v_mul_f32_e32 v17, v28, v17
	;; [unrolled: 1-line block ×3, first 2 shown]
	s_delay_alu instid0(VALU_DEP_3) | instskip(NEXT) | instid1(VALU_DEP_3)
	v_fma_f32 v33, v42, v16, -v33
	v_fmac_f32_e32 v17, v29, v16
	s_delay_alu instid0(VALU_DEP_3) | instskip(NEXT) | instid1(VALU_DEP_3)
	v_fmac_f32_e32 v19, v45, v24
	v_add_f32_e32 v33, v35, v33
	v_add_f32_e32 v35, v18, v36
	v_fma_f32 v18, v28, v16, -v34
	v_fma_f32 v16, v44, v22, -v26
	v_mul_f32_e32 v28, v44, v23
	v_dual_add_f32 v26, v21, v17 :: v_dual_mul_f32 v17, v30, v23
	s_delay_alu instid0(VALU_DEP_4) | instskip(NEXT) | instid1(VALU_DEP_4)
	v_dual_add_f32 v29, v20, v18 :: v_dual_mul_f32 v18, v45, v25
	v_add_f32_e32 v20, v5, v16
	v_mul_f32_e32 v16, v31, v23
	v_mul_f32_e32 v23, v31, v25
	;; [unrolled: 1-line block ×3, first 2 shown]
	v_fma_f32 v5, v44, v24, -v18
	v_fmac_f32_e32 v28, v45, v22
	v_fmac_f32_e32 v17, v31, v22
	v_add_f32_e32 v19, v35, v19
	s_delay_alu instid0(VALU_DEP_4)
	v_dual_fmac_f32 v25, v31, v24 :: v_dual_add_f32 v18, v33, v5
	v_fma_f32 v5, v30, v22, -v16
	v_fma_f32 v22, v30, v24, -v23
	v_add_f32_e32 v21, v27, v28
	v_add_f32_e32 v17, v15, v17
	;; [unrolled: 1-line block ×5, first 2 shown]
	s_cbranch_scc1 .LBB681_11
.LBB681_3:                              ; =>This Inner Loop Header: Depth=1
	v_add_nc_u32_e32 v5, s17, v11
	s_delay_alu instid0(VALU_DEP_1) | instskip(SKIP_1) | instid1(SALU_CYCLE_1)
	v_cmp_le_i32_e32 vcc_lo, s9, v5
	s_or_b32 s6, s3, vcc_lo
	s_and_saveexec_b32 s7, s6
	s_delay_alu instid0(SALU_CYCLE_1)
	s_xor_b32 s6, exec_lo, s7
	s_cbranch_execz .LBB681_5
; %bb.4:                                ;   in Loop: Header=BB681_3 Depth=1
	v_mov_b32_e32 v5, v4
	ds_store_b64 v12, v[4:5]
.LBB681_5:                              ;   in Loop: Header=BB681_3 Depth=1
	s_and_not1_saveexec_b32 s6, s6
	s_cbranch_execz .LBB681_7
; %bb.6:                                ;   in Loop: Header=BB681_3 Depth=1
	global_load_b64 v[22:23], v[0:1], off
	s_waitcnt vmcnt(0)
	ds_store_b64 v12, v[22:23]
.LBB681_7:                              ;   in Loop: Header=BB681_3 Depth=1
	s_or_b32 exec_lo, exec_lo, s6
	v_add_nc_u32_e32 v5, s17, v8
	s_delay_alu instid0(VALU_DEP_1) | instskip(SKIP_1) | instid1(SALU_CYCLE_1)
	v_cmp_le_i32_e32 vcc_lo, s9, v5
	s_or_b32 s6, vcc_lo, s2
	s_and_saveexec_b32 s7, s6
	s_delay_alu instid0(SALU_CYCLE_1)
	s_xor_b32 s6, exec_lo, s7
	s_cbranch_execz .LBB681_9
; %bb.8:                                ;   in Loop: Header=BB681_3 Depth=1
	v_mov_b32_e32 v5, v4
	ds_store_b64 v13, v[4:5]
.LBB681_9:                              ;   in Loop: Header=BB681_3 Depth=1
	s_and_not1_saveexec_b32 s6, s6
	s_cbranch_execz .LBB681_2
; %bb.10:                               ;   in Loop: Header=BB681_3 Depth=1
	global_load_b64 v[22:23], v[2:3], off
	s_waitcnt vmcnt(0)
	ds_store_b64 v13, v[22:23]
	s_branch .LBB681_2
.LBB681_11:
	s_load_b32 s2, s[0:1], 0x50
	v_add_nc_u32_e32 v4, s13, v7
	v_add_nc_u32_e32 v0, s12, v6
	s_delay_alu instid0(VALU_DEP_2) | instskip(NEXT) | instid1(VALU_DEP_2)
	v_cmp_gt_i32_e32 vcc_lo, s8, v4
	v_cmp_le_i32_e64 s0, v0, v4
	s_delay_alu instid0(VALU_DEP_1) | instskip(SKIP_2) | instid1(VALU_DEP_1)
	s_and_b32 s0, vcc_lo, s0
	s_waitcnt lgkmcnt(0)
	v_mad_i64_i32 v[1:2], null, v4, s2, 0
	v_lshlrev_b64 v[1:2], 3, v[1:2]
	s_delay_alu instid0(VALU_DEP_1) | instskip(NEXT) | instid1(VALU_DEP_1)
	v_add_co_u32 v5, s1, s10, v1
	v_add_co_ci_u32_e64 v6, s1, s11, v2, s1
	s_and_saveexec_b32 s1, s0
	s_cbranch_execz .LBB681_13
; %bb.12:
	v_ashrrev_i32_e32 v1, 31, v0
	v_mul_f32_e32 v2, s4, v21
	v_mul_f32_e32 v3, s5, v21
	s_delay_alu instid0(VALU_DEP_3) | instskip(NEXT) | instid1(VALU_DEP_3)
	v_lshlrev_b64 v[7:8], 3, v[0:1]
	v_fmac_f32_e32 v2, s5, v20
	s_delay_alu instid0(VALU_DEP_3) | instskip(NEXT) | instid1(VALU_DEP_3)
	v_fma_f32 v1, v20, s4, -v3
	v_add_co_u32 v7, s0, v5, v7
	s_delay_alu instid0(VALU_DEP_1)
	v_add_co_ci_u32_e64 v8, s0, v6, v8, s0
	global_store_b64 v[7:8], v[1:2], off
.LBB681_13:
	s_or_b32 exec_lo, exec_lo, s1
	v_add_nc_u32_e32 v2, 16, v0
	s_delay_alu instid0(VALU_DEP_1) | instskip(NEXT) | instid1(VALU_DEP_1)
	v_cmp_le_i32_e64 s0, v2, v4
	s_and_b32 s1, vcc_lo, s0
	s_delay_alu instid0(SALU_CYCLE_1)
	s_and_saveexec_b32 s0, s1
	s_cbranch_execz .LBB681_15
; %bb.14:
	v_ashrrev_i32_e32 v3, 31, v2
	v_mul_f32_e32 v8, s4, v19
	v_mul_f32_e32 v1, s5, v19
	s_delay_alu instid0(VALU_DEP_3) | instskip(NEXT) | instid1(VALU_DEP_3)
	v_lshlrev_b64 v[9:10], 3, v[2:3]
	v_fmac_f32_e32 v8, s5, v18
	s_delay_alu instid0(VALU_DEP_3) | instskip(NEXT) | instid1(VALU_DEP_3)
	v_fma_f32 v7, v18, s4, -v1
	v_add_co_u32 v5, vcc_lo, v5, v9
	s_delay_alu instid0(VALU_DEP_4)
	v_add_co_ci_u32_e32 v6, vcc_lo, v6, v10, vcc_lo
	global_store_b64 v[5:6], v[7:8], off
.LBB681_15:
	s_or_b32 exec_lo, exec_lo, s0
	v_add_nc_u32_e32 v3, 16, v4
	s_delay_alu instid0(VALU_DEP_1) | instskip(SKIP_2) | instid1(VALU_DEP_1)
	v_mad_i64_i32 v[4:5], null, v3, s2, 0
	v_cmp_gt_i32_e32 vcc_lo, s8, v3
	v_cmp_le_i32_e64 s0, v0, v3
	s_and_b32 s0, vcc_lo, s0
	s_delay_alu instid0(VALU_DEP_3) | instskip(NEXT) | instid1(VALU_DEP_1)
	v_lshlrev_b64 v[4:5], 3, v[4:5]
	v_add_co_u32 v4, s1, s10, v4
	s_delay_alu instid0(VALU_DEP_1)
	v_add_co_ci_u32_e64 v5, s1, s11, v5, s1
	s_and_saveexec_b32 s1, s0
	s_cbranch_execz .LBB681_17
; %bb.16:
	v_ashrrev_i32_e32 v1, 31, v0
	v_mul_f32_e32 v7, s4, v17
	v_mul_f32_e32 v6, s5, v17
	s_delay_alu instid0(VALU_DEP_3) | instskip(NEXT) | instid1(VALU_DEP_3)
	v_lshlrev_b64 v[0:1], 3, v[0:1]
	v_fmac_f32_e32 v7, s5, v16
	s_delay_alu instid0(VALU_DEP_3) | instskip(NEXT) | instid1(VALU_DEP_3)
	v_fma_f32 v6, v16, s4, -v6
	v_add_co_u32 v0, s0, v4, v0
	s_delay_alu instid0(VALU_DEP_1)
	v_add_co_ci_u32_e64 v1, s0, v5, v1, s0
	global_store_b64 v[0:1], v[6:7], off
.LBB681_17:
	s_or_b32 exec_lo, exec_lo, s1
	v_cmp_le_i32_e64 s0, v2, v3
	s_delay_alu instid0(VALU_DEP_1) | instskip(NEXT) | instid1(SALU_CYCLE_1)
	s_and_b32 s0, vcc_lo, s0
	s_and_saveexec_b32 s1, s0
	s_cbranch_execz .LBB681_19
; %bb.18:
	v_ashrrev_i32_e32 v3, 31, v2
	v_mul_f32_e32 v1, s4, v15
	v_mul_f32_e32 v0, s5, v15
	s_delay_alu instid0(VALU_DEP_3) | instskip(NEXT) | instid1(VALU_DEP_3)
	v_lshlrev_b64 v[2:3], 3, v[2:3]
	v_fmac_f32_e32 v1, s5, v14
	s_delay_alu instid0(VALU_DEP_3) | instskip(NEXT) | instid1(VALU_DEP_3)
	v_fma_f32 v0, v14, s4, -v0
	v_add_co_u32 v2, vcc_lo, v4, v2
	s_delay_alu instid0(VALU_DEP_4)
	v_add_co_ci_u32_e32 v3, vcc_lo, v5, v3, vcc_lo
	global_store_b64 v[2:3], v[0:1], off
.LBB681_19:
	s_nop 0
	s_sendmsg sendmsg(MSG_DEALLOC_VGPRS)
	s_endpgm
	.section	.rodata,"a",@progbits
	.p2align	6, 0x0
	.amdhsa_kernel _ZL34rocblas_syrkx_herkx_general_kernelIi19rocblas_complex_numIfELi16ELi32ELi8ELb1ELb0ELc84ELc85EKPKS1_KPS1_EviT_T0_PT8_S7_lSA_S7_lS8_PT9_S7_li
		.amdhsa_group_segment_fixed_size 4096
		.amdhsa_private_segment_fixed_size 0
		.amdhsa_kernarg_size 100
		.amdhsa_user_sgpr_count 13
		.amdhsa_user_sgpr_dispatch_ptr 0
		.amdhsa_user_sgpr_queue_ptr 0
		.amdhsa_user_sgpr_kernarg_segment_ptr 1
		.amdhsa_user_sgpr_dispatch_id 0
		.amdhsa_user_sgpr_private_segment_size 0
		.amdhsa_wavefront_size32 1
		.amdhsa_uses_dynamic_stack 0
		.amdhsa_enable_private_segment 0
		.amdhsa_system_sgpr_workgroup_id_x 1
		.amdhsa_system_sgpr_workgroup_id_y 1
		.amdhsa_system_sgpr_workgroup_id_z 1
		.amdhsa_system_sgpr_workgroup_info 0
		.amdhsa_system_vgpr_workitem_id 1
		.amdhsa_next_free_vgpr 59
		.amdhsa_next_free_sgpr 19
		.amdhsa_reserve_vcc 1
		.amdhsa_float_round_mode_32 0
		.amdhsa_float_round_mode_16_64 0
		.amdhsa_float_denorm_mode_32 3
		.amdhsa_float_denorm_mode_16_64 3
		.amdhsa_dx10_clamp 1
		.amdhsa_ieee_mode 1
		.amdhsa_fp16_overflow 0
		.amdhsa_workgroup_processor_mode 1
		.amdhsa_memory_ordered 1
		.amdhsa_forward_progress 0
		.amdhsa_shared_vgpr_count 0
		.amdhsa_exception_fp_ieee_invalid_op 0
		.amdhsa_exception_fp_denorm_src 0
		.amdhsa_exception_fp_ieee_div_zero 0
		.amdhsa_exception_fp_ieee_overflow 0
		.amdhsa_exception_fp_ieee_underflow 0
		.amdhsa_exception_fp_ieee_inexact 0
		.amdhsa_exception_int_div_zero 0
	.end_amdhsa_kernel
	.section	.text._ZL34rocblas_syrkx_herkx_general_kernelIi19rocblas_complex_numIfELi16ELi32ELi8ELb1ELb0ELc84ELc85EKPKS1_KPS1_EviT_T0_PT8_S7_lSA_S7_lS8_PT9_S7_li,"axG",@progbits,_ZL34rocblas_syrkx_herkx_general_kernelIi19rocblas_complex_numIfELi16ELi32ELi8ELb1ELb0ELc84ELc85EKPKS1_KPS1_EviT_T0_PT8_S7_lSA_S7_lS8_PT9_S7_li,comdat
.Lfunc_end681:
	.size	_ZL34rocblas_syrkx_herkx_general_kernelIi19rocblas_complex_numIfELi16ELi32ELi8ELb1ELb0ELc84ELc85EKPKS1_KPS1_EviT_T0_PT8_S7_lSA_S7_lS8_PT9_S7_li, .Lfunc_end681-_ZL34rocblas_syrkx_herkx_general_kernelIi19rocblas_complex_numIfELi16ELi32ELi8ELb1ELb0ELc84ELc85EKPKS1_KPS1_EviT_T0_PT8_S7_lSA_S7_lS8_PT9_S7_li
                                        ; -- End function
	.section	.AMDGPU.csdata,"",@progbits
; Kernel info:
; codeLenInByte = 2384
; NumSgprs: 21
; NumVgprs: 59
; ScratchSize: 0
; MemoryBound: 1
; FloatMode: 240
; IeeeMode: 1
; LDSByteSize: 4096 bytes/workgroup (compile time only)
; SGPRBlocks: 2
; VGPRBlocks: 7
; NumSGPRsForWavesPerEU: 21
; NumVGPRsForWavesPerEU: 59
; Occupancy: 16
; WaveLimiterHint : 1
; COMPUTE_PGM_RSRC2:SCRATCH_EN: 0
; COMPUTE_PGM_RSRC2:USER_SGPR: 13
; COMPUTE_PGM_RSRC2:TRAP_HANDLER: 0
; COMPUTE_PGM_RSRC2:TGID_X_EN: 1
; COMPUTE_PGM_RSRC2:TGID_Y_EN: 1
; COMPUTE_PGM_RSRC2:TGID_Z_EN: 1
; COMPUTE_PGM_RSRC2:TIDIG_COMP_CNT: 1
	.section	.text._ZL34rocblas_syrkx_herkx_general_kernelIi19rocblas_complex_numIfELi16ELi32ELi8ELb1ELb0ELc67ELc85EKPKS1_KPS1_EviT_T0_PT8_S7_lSA_S7_lS8_PT9_S7_li,"axG",@progbits,_ZL34rocblas_syrkx_herkx_general_kernelIi19rocblas_complex_numIfELi16ELi32ELi8ELb1ELb0ELc67ELc85EKPKS1_KPS1_EviT_T0_PT8_S7_lSA_S7_lS8_PT9_S7_li,comdat
	.globl	_ZL34rocblas_syrkx_herkx_general_kernelIi19rocblas_complex_numIfELi16ELi32ELi8ELb1ELb0ELc67ELc85EKPKS1_KPS1_EviT_T0_PT8_S7_lSA_S7_lS8_PT9_S7_li ; -- Begin function _ZL34rocblas_syrkx_herkx_general_kernelIi19rocblas_complex_numIfELi16ELi32ELi8ELb1ELb0ELc67ELc85EKPKS1_KPS1_EviT_T0_PT8_S7_lSA_S7_lS8_PT9_S7_li
	.p2align	8
	.type	_ZL34rocblas_syrkx_herkx_general_kernelIi19rocblas_complex_numIfELi16ELi32ELi8ELb1ELb0ELc67ELc85EKPKS1_KPS1_EviT_T0_PT8_S7_lSA_S7_lS8_PT9_S7_li,@function
_ZL34rocblas_syrkx_herkx_general_kernelIi19rocblas_complex_numIfELi16ELi32ELi8ELb1ELb0ELc67ELc85EKPKS1_KPS1_EviT_T0_PT8_S7_lSA_S7_lS8_PT9_S7_li: ; @_ZL34rocblas_syrkx_herkx_general_kernelIi19rocblas_complex_numIfELi16ELi32ELi8ELb1ELb0ELc67ELc85EKPKS1_KPS1_EviT_T0_PT8_S7_lSA_S7_lS8_PT9_S7_li
; %bb.0:
	s_clause 0x1
	s_load_b64 s[4:5], s[0:1], 0x48
	s_load_b64 s[8:9], s[0:1], 0x0
	s_mov_b32 s16, s15
	s_mov_b32 s17, 0
	v_dual_mov_b32 v22, 0 :: v_dual_and_b32 v7, 0x3ff, v0
	s_lshl_b64 s[2:3], s[16:17], 3
	v_bfe_u32 v8, v0, 10, 10
	v_dual_mov_b32 v21, 0 :: v_dual_mov_b32 v20, 0
	v_dual_mov_b32 v19, 0 :: v_dual_mov_b32 v18, 0
	;; [unrolled: 1-line block ×3, first 2 shown]
	v_mov_b32_e32 v15, 0
	s_waitcnt lgkmcnt(0)
	s_add_u32 s10, s4, s2
	s_addc_u32 s11, s5, s3
	s_load_b128 s[4:7], s[0:1], 0x8
	s_load_b64 s[10:11], s[10:11], 0x0
	s_lshl_b32 s12, s13, 5
	s_lshl_b32 s13, s14, 5
	s_cmp_lt_i32 s9, 1
	s_cbranch_scc1 .LBB682_9
; %bb.1:
	s_clause 0x1
	s_load_b64 s[14:15], s[0:1], 0x28
	s_load_b32 s16, s[0:1], 0x18
	v_lshl_add_u32 v0, v8, 4, v7
	s_load_b32 s18, s[0:1], 0x30
	v_and_b32_e32 v9, 7, v7
	v_dual_mov_b32 v17, 0 :: v_dual_lshlrev_b32 v10, 3, v7
	s_delay_alu instid0(VALU_DEP_3) | instskip(SKIP_3) | instid1(VALU_DEP_4)
	v_and_b32_e32 v2, 31, v0
	v_lshrrev_b32_e32 v3, 3, v0
	v_lshrrev_b32_e32 v12, 5, v0
	v_dual_mov_b32 v19, 0 :: v_dual_lshlrev_b32 v4, 3, v9
	v_dual_mov_b32 v16, 0 :: v_dual_add_nc_u32 v5, s12, v2
	s_delay_alu instid0(VALU_DEP_4) | instskip(NEXT) | instid1(VALU_DEP_3)
	v_add_nc_u32_e32 v6, s13, v3
	v_lshl_or_b32 v14, v3, 6, v4
	v_dual_mov_b32 v18, 0 :: v_dual_lshlrev_b32 v15, 3, v12
	v_lshl_add_u32 v11, v8, 6, 0x800
	v_mov_b32_e32 v20, 0
	s_waitcnt lgkmcnt(0)
	s_add_u32 s14, s14, s2
	s_addc_u32 s15, s15, s3
	s_add_u32 s2, s6, s2
	s_addc_u32 s3, s7, s3
	v_mad_i64_i32 v[0:1], null, s16, v5, 0
	s_load_b64 s[6:7], s[2:3], 0x0
	v_or_b32_e32 v5, s12, v2
	v_dual_mov_b32 v21, 0 :: v_dual_lshlrev_b32 v2, 3, v2
	s_load_b64 s[14:15], s[14:15], 0x0
	v_cmp_gt_i32_e64 s2, s8, v6
	s_delay_alu instid0(VALU_DEP_4) | instskip(NEXT) | instid1(VALU_DEP_3)
	v_lshlrev_b64 v[0:1], 3, v[0:1]
	v_lshl_or_b32 v13, v12, 8, v2
	v_mad_i64_i32 v[2:3], null, s18, v6, 0
	v_cmp_gt_i32_e32 vcc_lo, s8, v5
	v_add_nc_u32_e32 v14, 0x800, v14
	v_add_co_u32 v5, s3, v0, v15
	s_delay_alu instid0(VALU_DEP_1) | instskip(SKIP_4) | instid1(VALU_DEP_1)
	v_add_co_ci_u32_e64 v6, s3, 0, v1, s3
	v_lshlrev_b64 v[0:1], 3, v[2:3]
	v_dual_mov_b32 v15, 0 :: v_dual_mov_b32 v22, 0
	s_waitcnt lgkmcnt(0)
	v_add_co_u32 v2, s3, v5, s6
	v_add_co_ci_u32_e64 v3, s3, s7, v6, s3
	s_delay_alu instid0(VALU_DEP_4) | instskip(NEXT) | instid1(VALU_DEP_1)
	v_add_co_u32 v4, s3, v0, v4
	v_add_co_ci_u32_e64 v5, s3, 0, v1, s3
	s_delay_alu instid0(VALU_DEP_4) | instskip(NEXT) | instid1(VALU_DEP_1)
	;; [unrolled: 3-line block ×3, first 2 shown]
	v_add_co_u32 v2, s3, s14, v4
	v_add_co_ci_u32_e64 v3, s3, s15, v5, s3
	v_mov_b32_e32 v4, 0
	s_xor_b32 s3, s2, -1
	s_branch .LBB682_3
.LBB682_2:                              ;   in Loop: Header=BB682_3 Depth=1
	s_or_b32 exec_lo, exec_lo, s2
	s_waitcnt lgkmcnt(0)
	s_barrier
	buffer_gl0_inv
	ds_load_2addr_b64 v[23:26], v10 offset1:16
	ds_load_b128 v[27:30], v11
	ds_load_b128 v[31:34], v11 offset:1024
	ds_load_b128 v[35:38], v11 offset:16
	;; [unrolled: 1-line block ×4, first 2 shown]
	ds_load_2addr_b64 v[47:50], v10 offset0:32 offset1:48
	ds_load_b128 v[51:54], v11 offset:1040
	v_add_co_u32 v0, s2, v0, 64
	s_delay_alu instid0(VALU_DEP_1) | instskip(SKIP_1) | instid1(VALU_DEP_1)
	v_add_co_ci_u32_e64 v1, s2, 0, v1, s2
	v_add_co_u32 v2, s2, v2, 64
	v_add_co_ci_u32_e64 v3, s2, 0, v3, s2
	s_add_i32 s17, s17, 8
	s_delay_alu instid0(SALU_CYCLE_1)
	s_cmp_ge_i32 s17, s9
	s_waitcnt lgkmcnt(6)
	v_dual_mul_f32 v5, v28, v24 :: v_dual_mul_f32 v56, v27, v26
	v_dual_mul_f32 v6, v27, v24 :: v_dual_mul_f32 v55, v28, v26
	s_waitcnt lgkmcnt(5)
	v_mul_f32_e32 v57, v32, v24
	s_delay_alu instid0(VALU_DEP_3)
	v_fma_f32 v5, v27, v23, -v5
	v_fmac_f32_e32 v56, v28, v25
	v_fmac_f32_e32 v6, v28, v23
	v_fma_f32 v27, v27, v25, -v55
	v_mul_f32_e32 v58, v32, v26
	v_mul_f32_e32 v26, v31, v26
	v_fma_f32 v28, v31, v23, -v57
	v_dual_mul_f32 v24, v31, v24 :: v_dual_add_f32 v5, v21, v5
	s_delay_alu instid0(VALU_DEP_3) | instskip(NEXT) | instid1(VALU_DEP_3)
	v_dual_add_f32 v21, v19, v27 :: v_dual_fmac_f32 v26, v32, v25
	v_add_f32_e32 v27, v17, v28
	s_waitcnt lgkmcnt(1)
	v_mul_f32_e32 v28, v30, v48
	v_fmac_f32_e32 v24, v32, v23
	v_fma_f32 v23, v31, v25, -v58
	s_delay_alu instid0(VALU_DEP_3) | instskip(SKIP_1) | instid1(VALU_DEP_3)
	v_fma_f32 v25, v29, v47, -v28
	v_mul_f32_e32 v28, v30, v50
	v_dual_add_f32 v6, v22, v6 :: v_dual_add_f32 v15, v15, v23
	v_mul_f32_e32 v23, v29, v48
	s_delay_alu instid0(VALU_DEP_4) | instskip(NEXT) | instid1(VALU_DEP_4)
	v_dual_add_f32 v5, v5, v25 :: v_dual_add_f32 v22, v20, v56
	v_fma_f32 v25, v29, v49, -v28
	v_add_f32_e32 v24, v18, v24
	ds_load_2addr_b64 v[17:20], v10 offset0:64 offset1:80
	v_fmac_f32_e32 v23, v30, v47
	v_dual_mul_f32 v28, v34, v48 :: v_dual_add_f32 v25, v21, v25
	s_delay_alu instid0(VALU_DEP_2)
	v_dual_add_f32 v6, v6, v23 :: v_dual_mul_f32 v23, v33, v48
	v_add_f32_e32 v16, v16, v26
	v_mul_f32_e32 v26, v29, v50
	v_mul_f32_e32 v29, v33, v50
	v_fma_f32 v21, v33, v47, -v28
	v_fmac_f32_e32 v23, v34, v47
	s_delay_alu instid0(VALU_DEP_3) | instskip(SKIP_1) | instid1(VALU_DEP_4)
	v_fmac_f32_e32 v29, v34, v49
	v_fmac_f32_e32 v26, v30, v49
	v_add_f32_e32 v27, v27, v21
	s_delay_alu instid0(VALU_DEP_2) | instskip(SKIP_2) | instid1(VALU_DEP_1)
	v_dual_add_f32 v29, v16, v29 :: v_dual_add_f32 v26, v22, v26
	s_waitcnt lgkmcnt(0)
	v_mul_f32_e32 v22, v36, v18
	v_fma_f32 v31, v35, v17, -v22
	s_delay_alu instid0(VALU_DEP_1) | instskip(NEXT) | instid1(VALU_DEP_1)
	v_dual_add_f32 v5, v5, v31 :: v_dual_mul_f32 v32, v36, v20
	v_fma_f32 v31, v35, v19, -v32
	s_delay_alu instid0(VALU_DEP_1) | instskip(NEXT) | instid1(VALU_DEP_1)
	v_dual_mul_f32 v28, v34, v50 :: v_dual_add_f32 v25, v25, v31
	v_fma_f32 v21, v33, v49, -v28
	v_add_f32_e32 v28, v24, v23
	v_mul_f32_e32 v16, v35, v20
	v_mul_f32_e32 v31, v52, v20
	;; [unrolled: 1-line block ×3, first 2 shown]
	v_add_f32_e32 v15, v15, v21
	ds_load_2addr_b64 v[21:24], v10 offset0:96 offset1:112
	v_mul_f32_e32 v30, v35, v18
	v_fmac_f32_e32 v16, v36, v19
	v_fmac_f32_e32 v20, v52, v19
	s_delay_alu instid0(VALU_DEP_3) | instskip(NEXT) | instid1(VALU_DEP_3)
	v_fmac_f32_e32 v30, v36, v17
	v_add_f32_e32 v32, v26, v16
	s_delay_alu instid0(VALU_DEP_3) | instskip(SKIP_1) | instid1(VALU_DEP_4)
	v_add_f32_e32 v29, v29, v20
	v_fma_f32 v16, v51, v19, -v31
	v_add_f32_e32 v6, v6, v30
	s_delay_alu instid0(VALU_DEP_2) | instskip(SKIP_3) | instid1(VALU_DEP_3)
	v_dual_mul_f32 v30, v52, v18 :: v_dual_add_f32 v33, v15, v16
	s_waitcnt lgkmcnt(0)
	v_mul_f32_e32 v35, v54, v24
	v_mul_f32_e32 v20, v37, v24
	v_fma_f32 v30, v51, v17, -v30
	v_mul_f32_e32 v19, v38, v22
	s_delay_alu instid0(VALU_DEP_3) | instskip(NEXT) | instid1(VALU_DEP_2)
	v_fmac_f32_e32 v20, v38, v23
	v_fma_f32 v19, v37, v21, -v19
	s_delay_alu instid0(VALU_DEP_2) | instskip(SKIP_2) | instid1(VALU_DEP_4)
	v_add_f32_e32 v36, v32, v20
	v_fma_f32 v20, v53, v23, -v35
	v_dual_add_f32 v30, v27, v30 :: v_dual_mul_f32 v27, v38, v24
	v_add_f32_e32 v5, v5, v19
	v_dual_mul_f32 v19, v54, v22 :: v_dual_mul_f32 v24, v53, v24
	s_delay_alu instid0(VALU_DEP_3) | instskip(NEXT) | instid1(VALU_DEP_2)
	v_fma_f32 v27, v37, v23, -v27
	v_fma_f32 v19, v53, v21, -v19
	s_delay_alu instid0(VALU_DEP_3) | instskip(SKIP_1) | instid1(VALU_DEP_4)
	v_dual_fmac_f32 v24, v54, v23 :: v_dual_add_f32 v23, v33, v20
	v_mul_f32_e32 v18, v51, v18
	v_add_f32_e32 v34, v25, v27
	v_mul_f32_e32 v26, v37, v22
	v_dual_mul_f32 v22, v53, v22 :: v_dual_add_f32 v35, v30, v19
	v_add_f32_e32 v24, v29, v24
	s_delay_alu instid0(VALU_DEP_2) | instskip(SKIP_1) | instid1(VALU_DEP_1)
	v_fmac_f32_e32 v22, v54, v21
	v_fmac_f32_e32 v18, v52, v17
	v_add_f32_e32 v31, v28, v18
	ds_load_2addr_b64 v[15:18], v10 offset0:128 offset1:144
	v_add_f32_e32 v37, v31, v22
	s_waitcnt lgkmcnt(0)
	v_mul_f32_e32 v19, v40, v16
	v_mul_f32_e32 v31, v40, v18
	;; [unrolled: 1-line block ×3, first 2 shown]
	s_delay_alu instid0(VALU_DEP_3)
	v_fma_f32 v30, v39, v15, -v19
	v_fmac_f32_e32 v26, v38, v21
	ds_load_2addr_b64 v[19:22], v10 offset0:160 offset1:176
	v_mul_f32_e32 v38, v39, v18
	v_fma_f32 v39, v39, v17, -v31
	v_add_f32_e32 v5, v5, v30
	v_add_f32_e32 v6, v6, v26
	ds_load_b128 v[25:28], v11 offset:1056
	ds_load_b128 v[29:32], v11 offset:1072
	v_fmac_f32_e32 v38, v40, v17
	v_fmac_f32_e32 v33, v40, v15
	s_delay_alu instid0(VALU_DEP_2) | instskip(SKIP_3) | instid1(VALU_DEP_2)
	v_add_f32_e32 v36, v36, v38
	s_waitcnt lgkmcnt(1)
	v_dual_mul_f32 v38, v25, v18 :: v_dual_mul_f32 v47, v26, v16
	v_mul_f32_e32 v16, v25, v16
	v_fmac_f32_e32 v38, v26, v17
	s_delay_alu instid0(VALU_DEP_1) | instskip(SKIP_1) | instid1(VALU_DEP_1)
	v_add_f32_e32 v38, v24, v38
	v_mul_f32_e32 v24, v41, v22
	v_fmac_f32_e32 v24, v42, v21
	v_add_f32_e32 v6, v6, v33
	v_add_f32_e32 v33, v34, v39
	v_fma_f32 v34, v25, v15, -v47
	v_mul_f32_e32 v39, v26, v18
	v_mul_f32_e32 v18, v42, v20
	s_delay_alu instid0(VALU_DEP_3) | instskip(NEXT) | instid1(VALU_DEP_2)
	v_add_f32_e32 v34, v35, v34
	v_fma_f32 v35, v41, v19, -v18
	s_delay_alu instid0(VALU_DEP_1) | instskip(SKIP_3) | instid1(VALU_DEP_3)
	v_add_f32_e32 v5, v5, v35
	v_fmac_f32_e32 v16, v26, v15
	v_fma_f32 v15, v25, v17, -v39
	v_mul_f32_e32 v26, v41, v20
	v_add_f32_e32 v25, v37, v16
	s_delay_alu instid0(VALU_DEP_3) | instskip(SKIP_3) | instid1(VALU_DEP_2)
	v_add_f32_e32 v23, v23, v15
	ds_load_2addr_b64 v[15:18], v10 offset0:192 offset1:208
	v_mul_f32_e32 v37, v42, v22
	v_fmac_f32_e32 v26, v42, v19
	v_fma_f32 v35, v41, v21, -v37
	s_delay_alu instid0(VALU_DEP_2) | instskip(SKIP_1) | instid1(VALU_DEP_3)
	v_add_f32_e32 v6, v6, v26
	v_mul_f32_e32 v26, v28, v20
	v_dual_mul_f32 v20, v27, v20 :: v_dual_add_f32 v33, v33, v35
	v_mul_f32_e32 v35, v28, v22
	s_delay_alu instid0(VALU_DEP_3) | instskip(NEXT) | instid1(VALU_DEP_3)
	v_fma_f32 v26, v27, v19, -v26
	v_fmac_f32_e32 v20, v28, v19
	v_dual_add_f32 v19, v36, v24 :: v_dual_mul_f32 v22, v27, v22
	s_delay_alu instid0(VALU_DEP_4) | instskip(NEXT) | instid1(VALU_DEP_3)
	v_fma_f32 v24, v27, v21, -v35
	v_dual_add_f32 v27, v34, v26 :: v_dual_add_f32 v20, v25, v20
	s_waitcnt lgkmcnt(0)
	v_mul_f32_e32 v34, v44, v16
	s_delay_alu instid0(VALU_DEP_3)
	v_dual_fmac_f32 v22, v28, v21 :: v_dual_add_f32 v21, v23, v24
	ds_load_2addr_b64 v[23:26], v10 offset0:224 offset1:240
	v_mul_f32_e32 v28, v43, v16
	v_fma_f32 v34, v43, v15, -v34
	v_mul_f32_e32 v35, v44, v18
	v_mul_f32_e32 v36, v43, v18
	s_waitcnt lgkmcnt(0)
	s_delay_alu instid0(VALU_DEP_3) | instskip(SKIP_3) | instid1(VALU_DEP_4)
	v_dual_fmac_f32 v28, v44, v15 :: v_dual_add_f32 v5, v5, v34
	v_mul_f32_e32 v34, v30, v16
	v_fma_f32 v35, v43, v17, -v35
	v_fmac_f32_e32 v36, v44, v17
	v_add_f32_e32 v6, v6, v28
	v_mul_f32_e32 v16, v29, v16
	v_fma_f32 v28, v29, v15, -v34
	v_dual_mul_f32 v34, v30, v18 :: v_dual_add_f32 v33, v33, v35
	s_delay_alu instid0(VALU_DEP_3) | instskip(NEXT) | instid1(VALU_DEP_3)
	v_dual_add_f32 v35, v19, v36 :: v_dual_fmac_f32 v16, v30, v15
	v_dual_add_f32 v15, v27, v28 :: v_dual_mul_f32 v18, v29, v18
	s_delay_alu instid0(VALU_DEP_3) | instskip(SKIP_3) | instid1(VALU_DEP_4)
	v_fma_f32 v19, v29, v17, -v34
	v_mul_f32_e32 v27, v46, v24
	v_mul_f32_e32 v28, v45, v24
	v_add_f32_e32 v16, v20, v16
	v_dual_fmac_f32 v18, v30, v17 :: v_dual_add_f32 v29, v21, v19
	s_delay_alu instid0(VALU_DEP_4)
	v_fma_f32 v17, v45, v23, -v27
	v_mul_f32_e32 v19, v46, v26
	v_fmac_f32_e32 v28, v46, v23
	v_mul_f32_e32 v20, v45, v26
	s_barrier
	v_add_f32_e32 v21, v5, v17
	v_mul_f32_e32 v17, v32, v26
	v_fma_f32 v5, v45, v25, -v19
	v_fmac_f32_e32 v20, v46, v25
	buffer_gl0_inv
	v_dual_add_f32 v19, v33, v5 :: v_dual_add_f32 v22, v38, v22
	s_delay_alu instid0(VALU_DEP_1) | instskip(SKIP_4) | instid1(VALU_DEP_3)
	v_dual_add_f32 v20, v35, v20 :: v_dual_add_f32 v27, v22, v18
	v_add_f32_e32 v22, v6, v28
	v_mul_f32_e32 v6, v32, v24
	v_mul_f32_e32 v18, v31, v24
	;; [unrolled: 1-line block ×3, first 2 shown]
	v_fma_f32 v5, v31, v23, -v6
	s_delay_alu instid0(VALU_DEP_3) | instskip(SKIP_1) | instid1(VALU_DEP_4)
	v_fmac_f32_e32 v18, v32, v23
	v_fma_f32 v6, v31, v25, -v17
	v_fmac_f32_e32 v24, v32, v25
	s_delay_alu instid0(VALU_DEP_3) | instskip(NEXT) | instid1(VALU_DEP_2)
	v_dual_add_f32 v17, v15, v5 :: v_dual_add_f32 v18, v16, v18
	v_dual_add_f32 v15, v29, v6 :: v_dual_add_f32 v16, v27, v24
	s_cbranch_scc1 .LBB682_9
.LBB682_3:                              ; =>This Inner Loop Header: Depth=1
	v_dual_mov_b32 v6, 0 :: v_dual_add_nc_u32 v5, s17, v12
	s_delay_alu instid0(VALU_DEP_1) | instskip(SKIP_1) | instid1(VALU_DEP_2)
	v_cmp_gt_i32_e64 s2, s9, v5
	v_mov_b32_e32 v5, 0
	s_and_b32 s6, vcc_lo, s2
	s_delay_alu instid0(SALU_CYCLE_1)
	s_and_saveexec_b32 s2, s6
	s_cbranch_execz .LBB682_5
; %bb.4:                                ;   in Loop: Header=BB682_3 Depth=1
	global_load_b64 v[5:6], v[0:1], off offset:-4
.LBB682_5:                              ;   in Loop: Header=BB682_3 Depth=1
	s_or_b32 exec_lo, exec_lo, s2
	v_add_nc_u32_e32 v23, s17, v9
	s_waitcnt vmcnt(0)
	ds_store_b64 v13, v[5:6]
	v_cmp_le_i32_e64 s2, s9, v23
	s_delay_alu instid0(VALU_DEP_1) | instskip(NEXT) | instid1(SALU_CYCLE_1)
	s_or_b32 s2, s2, s3
	s_and_saveexec_b32 s6, s2
	s_delay_alu instid0(SALU_CYCLE_1)
	s_xor_b32 s2, exec_lo, s6
	s_cbranch_execz .LBB682_7
; %bb.6:                                ;   in Loop: Header=BB682_3 Depth=1
	v_mov_b32_e32 v5, v4
	ds_store_b64 v14, v[4:5]
.LBB682_7:                              ;   in Loop: Header=BB682_3 Depth=1
	s_and_not1_saveexec_b32 s2, s2
	s_cbranch_execz .LBB682_2
; %bb.8:                                ;   in Loop: Header=BB682_3 Depth=1
	global_load_b64 v[5:6], v[2:3], off
	s_waitcnt vmcnt(0)
	ds_store_b64 v14, v[5:6]
	s_branch .LBB682_2
.LBB682_9:
	s_load_b32 s2, s[0:1], 0x50
	v_add_nc_u32_e32 v4, s13, v8
	v_add_nc_u32_e32 v0, s12, v7
	s_delay_alu instid0(VALU_DEP_2) | instskip(NEXT) | instid1(VALU_DEP_2)
	v_cmp_gt_i32_e32 vcc_lo, s8, v4
	v_cmp_le_i32_e64 s0, v0, v4
	s_delay_alu instid0(VALU_DEP_1) | instskip(SKIP_2) | instid1(VALU_DEP_1)
	s_and_b32 s0, vcc_lo, s0
	s_waitcnt lgkmcnt(0)
	v_mad_i64_i32 v[1:2], null, v4, s2, 0
	v_lshlrev_b64 v[1:2], 3, v[1:2]
	s_delay_alu instid0(VALU_DEP_1) | instskip(NEXT) | instid1(VALU_DEP_1)
	v_add_co_u32 v5, s1, s10, v1
	v_add_co_ci_u32_e64 v6, s1, s11, v2, s1
	s_and_saveexec_b32 s1, s0
	s_cbranch_execz .LBB682_11
; %bb.10:
	v_ashrrev_i32_e32 v1, 31, v0
	v_mul_f32_e32 v2, s4, v22
	v_mul_f32_e32 v3, s5, v22
	s_delay_alu instid0(VALU_DEP_3) | instskip(NEXT) | instid1(VALU_DEP_3)
	v_lshlrev_b64 v[7:8], 3, v[0:1]
	v_fmac_f32_e32 v2, s5, v21
	s_delay_alu instid0(VALU_DEP_3) | instskip(NEXT) | instid1(VALU_DEP_3)
	v_fma_f32 v1, v21, s4, -v3
	v_add_co_u32 v7, s0, v5, v7
	s_delay_alu instid0(VALU_DEP_1)
	v_add_co_ci_u32_e64 v8, s0, v6, v8, s0
	global_store_b64 v[7:8], v[1:2], off
.LBB682_11:
	s_or_b32 exec_lo, exec_lo, s1
	v_add_nc_u32_e32 v2, 16, v0
	s_delay_alu instid0(VALU_DEP_1) | instskip(NEXT) | instid1(VALU_DEP_1)
	v_cmp_le_i32_e64 s0, v2, v4
	s_and_b32 s1, vcc_lo, s0
	s_delay_alu instid0(SALU_CYCLE_1)
	s_and_saveexec_b32 s0, s1
	s_cbranch_execz .LBB682_13
; %bb.12:
	v_ashrrev_i32_e32 v3, 31, v2
	v_mul_f32_e32 v8, s4, v20
	v_mul_f32_e32 v1, s5, v20
	s_delay_alu instid0(VALU_DEP_3) | instskip(NEXT) | instid1(VALU_DEP_3)
	v_lshlrev_b64 v[9:10], 3, v[2:3]
	v_fmac_f32_e32 v8, s5, v19
	s_delay_alu instid0(VALU_DEP_3) | instskip(NEXT) | instid1(VALU_DEP_3)
	v_fma_f32 v7, v19, s4, -v1
	v_add_co_u32 v5, vcc_lo, v5, v9
	s_delay_alu instid0(VALU_DEP_4)
	v_add_co_ci_u32_e32 v6, vcc_lo, v6, v10, vcc_lo
	global_store_b64 v[5:6], v[7:8], off
.LBB682_13:
	s_or_b32 exec_lo, exec_lo, s0
	v_add_nc_u32_e32 v3, 16, v4
	s_delay_alu instid0(VALU_DEP_1) | instskip(SKIP_2) | instid1(VALU_DEP_1)
	v_mad_i64_i32 v[4:5], null, v3, s2, 0
	v_cmp_gt_i32_e32 vcc_lo, s8, v3
	v_cmp_le_i32_e64 s0, v0, v3
	s_and_b32 s0, vcc_lo, s0
	s_delay_alu instid0(VALU_DEP_3) | instskip(NEXT) | instid1(VALU_DEP_1)
	v_lshlrev_b64 v[4:5], 3, v[4:5]
	v_add_co_u32 v4, s1, s10, v4
	s_delay_alu instid0(VALU_DEP_1)
	v_add_co_ci_u32_e64 v5, s1, s11, v5, s1
	s_and_saveexec_b32 s1, s0
	s_cbranch_execz .LBB682_15
; %bb.14:
	v_ashrrev_i32_e32 v1, 31, v0
	v_mul_f32_e32 v7, s4, v18
	v_mul_f32_e32 v6, s5, v18
	s_delay_alu instid0(VALU_DEP_3) | instskip(NEXT) | instid1(VALU_DEP_3)
	v_lshlrev_b64 v[0:1], 3, v[0:1]
	v_fmac_f32_e32 v7, s5, v17
	s_delay_alu instid0(VALU_DEP_3) | instskip(NEXT) | instid1(VALU_DEP_3)
	v_fma_f32 v6, v17, s4, -v6
	v_add_co_u32 v0, s0, v4, v0
	s_delay_alu instid0(VALU_DEP_1)
	v_add_co_ci_u32_e64 v1, s0, v5, v1, s0
	global_store_b64 v[0:1], v[6:7], off
.LBB682_15:
	s_or_b32 exec_lo, exec_lo, s1
	v_cmp_le_i32_e64 s0, v2, v3
	s_delay_alu instid0(VALU_DEP_1) | instskip(NEXT) | instid1(SALU_CYCLE_1)
	s_and_b32 s0, vcc_lo, s0
	s_and_saveexec_b32 s1, s0
	s_cbranch_execz .LBB682_17
; %bb.16:
	v_ashrrev_i32_e32 v3, 31, v2
	v_mul_f32_e32 v1, s4, v16
	v_mul_f32_e32 v0, s5, v16
	s_delay_alu instid0(VALU_DEP_3) | instskip(NEXT) | instid1(VALU_DEP_3)
	v_lshlrev_b64 v[2:3], 3, v[2:3]
	v_fmac_f32_e32 v1, s5, v15
	s_delay_alu instid0(VALU_DEP_3) | instskip(NEXT) | instid1(VALU_DEP_3)
	v_fma_f32 v0, v15, s4, -v0
	v_add_co_u32 v2, vcc_lo, v4, v2
	s_delay_alu instid0(VALU_DEP_4)
	v_add_co_ci_u32_e32 v3, vcc_lo, v5, v3, vcc_lo
	global_store_b64 v[2:3], v[0:1], off
.LBB682_17:
	s_nop 0
	s_sendmsg sendmsg(MSG_DEALLOC_VGPRS)
	s_endpgm
	.section	.rodata,"a",@progbits
	.p2align	6, 0x0
	.amdhsa_kernel _ZL34rocblas_syrkx_herkx_general_kernelIi19rocblas_complex_numIfELi16ELi32ELi8ELb1ELb0ELc67ELc85EKPKS1_KPS1_EviT_T0_PT8_S7_lSA_S7_lS8_PT9_S7_li
		.amdhsa_group_segment_fixed_size 4096
		.amdhsa_private_segment_fixed_size 0
		.amdhsa_kernarg_size 100
		.amdhsa_user_sgpr_count 13
		.amdhsa_user_sgpr_dispatch_ptr 0
		.amdhsa_user_sgpr_queue_ptr 0
		.amdhsa_user_sgpr_kernarg_segment_ptr 1
		.amdhsa_user_sgpr_dispatch_id 0
		.amdhsa_user_sgpr_private_segment_size 0
		.amdhsa_wavefront_size32 1
		.amdhsa_uses_dynamic_stack 0
		.amdhsa_enable_private_segment 0
		.amdhsa_system_sgpr_workgroup_id_x 1
		.amdhsa_system_sgpr_workgroup_id_y 1
		.amdhsa_system_sgpr_workgroup_id_z 1
		.amdhsa_system_sgpr_workgroup_info 0
		.amdhsa_system_vgpr_workitem_id 1
		.amdhsa_next_free_vgpr 59
		.amdhsa_next_free_sgpr 19
		.amdhsa_reserve_vcc 1
		.amdhsa_float_round_mode_32 0
		.amdhsa_float_round_mode_16_64 0
		.amdhsa_float_denorm_mode_32 3
		.amdhsa_float_denorm_mode_16_64 3
		.amdhsa_dx10_clamp 1
		.amdhsa_ieee_mode 1
		.amdhsa_fp16_overflow 0
		.amdhsa_workgroup_processor_mode 1
		.amdhsa_memory_ordered 1
		.amdhsa_forward_progress 0
		.amdhsa_shared_vgpr_count 0
		.amdhsa_exception_fp_ieee_invalid_op 0
		.amdhsa_exception_fp_denorm_src 0
		.amdhsa_exception_fp_ieee_div_zero 0
		.amdhsa_exception_fp_ieee_overflow 0
		.amdhsa_exception_fp_ieee_underflow 0
		.amdhsa_exception_fp_ieee_inexact 0
		.amdhsa_exception_int_div_zero 0
	.end_amdhsa_kernel
	.section	.text._ZL34rocblas_syrkx_herkx_general_kernelIi19rocblas_complex_numIfELi16ELi32ELi8ELb1ELb0ELc67ELc85EKPKS1_KPS1_EviT_T0_PT8_S7_lSA_S7_lS8_PT9_S7_li,"axG",@progbits,_ZL34rocblas_syrkx_herkx_general_kernelIi19rocblas_complex_numIfELi16ELi32ELi8ELb1ELb0ELc67ELc85EKPKS1_KPS1_EviT_T0_PT8_S7_lSA_S7_lS8_PT9_S7_li,comdat
.Lfunc_end682:
	.size	_ZL34rocblas_syrkx_herkx_general_kernelIi19rocblas_complex_numIfELi16ELi32ELi8ELb1ELb0ELc67ELc85EKPKS1_KPS1_EviT_T0_PT8_S7_lSA_S7_lS8_PT9_S7_li, .Lfunc_end682-_ZL34rocblas_syrkx_herkx_general_kernelIi19rocblas_complex_numIfELi16ELi32ELi8ELb1ELb0ELc67ELc85EKPKS1_KPS1_EviT_T0_PT8_S7_lSA_S7_lS8_PT9_S7_li
                                        ; -- End function
	.section	.AMDGPU.csdata,"",@progbits
; Kernel info:
; codeLenInByte = 2404
; NumSgprs: 21
; NumVgprs: 59
; ScratchSize: 0
; MemoryBound: 1
; FloatMode: 240
; IeeeMode: 1
; LDSByteSize: 4096 bytes/workgroup (compile time only)
; SGPRBlocks: 2
; VGPRBlocks: 7
; NumSGPRsForWavesPerEU: 21
; NumVGPRsForWavesPerEU: 59
; Occupancy: 16
; WaveLimiterHint : 1
; COMPUTE_PGM_RSRC2:SCRATCH_EN: 0
; COMPUTE_PGM_RSRC2:USER_SGPR: 13
; COMPUTE_PGM_RSRC2:TRAP_HANDLER: 0
; COMPUTE_PGM_RSRC2:TGID_X_EN: 1
; COMPUTE_PGM_RSRC2:TGID_Y_EN: 1
; COMPUTE_PGM_RSRC2:TGID_Z_EN: 1
; COMPUTE_PGM_RSRC2:TIDIG_COMP_CNT: 1
	.section	.text._ZL34rocblas_syrkx_herkx_general_kernelIi19rocblas_complex_numIfELi16ELi32ELi8ELb1ELb0ELc78ELc85EKPKS1_KPS1_EviT_T0_PT8_S7_lSA_S7_lS8_PT9_S7_li,"axG",@progbits,_ZL34rocblas_syrkx_herkx_general_kernelIi19rocblas_complex_numIfELi16ELi32ELi8ELb1ELb0ELc78ELc85EKPKS1_KPS1_EviT_T0_PT8_S7_lSA_S7_lS8_PT9_S7_li,comdat
	.globl	_ZL34rocblas_syrkx_herkx_general_kernelIi19rocblas_complex_numIfELi16ELi32ELi8ELb1ELb0ELc78ELc85EKPKS1_KPS1_EviT_T0_PT8_S7_lSA_S7_lS8_PT9_S7_li ; -- Begin function _ZL34rocblas_syrkx_herkx_general_kernelIi19rocblas_complex_numIfELi16ELi32ELi8ELb1ELb0ELc78ELc85EKPKS1_KPS1_EviT_T0_PT8_S7_lSA_S7_lS8_PT9_S7_li
	.p2align	8
	.type	_ZL34rocblas_syrkx_herkx_general_kernelIi19rocblas_complex_numIfELi16ELi32ELi8ELb1ELb0ELc78ELc85EKPKS1_KPS1_EviT_T0_PT8_S7_lSA_S7_lS8_PT9_S7_li,@function
_ZL34rocblas_syrkx_herkx_general_kernelIi19rocblas_complex_numIfELi16ELi32ELi8ELb1ELb0ELc78ELc85EKPKS1_KPS1_EviT_T0_PT8_S7_lSA_S7_lS8_PT9_S7_li: ; @_ZL34rocblas_syrkx_herkx_general_kernelIi19rocblas_complex_numIfELi16ELi32ELi8ELb1ELb0ELc78ELc85EKPKS1_KPS1_EviT_T0_PT8_S7_lSA_S7_lS8_PT9_S7_li
; %bb.0:
	s_clause 0x1
	s_load_b64 s[2:3], s[0:1], 0x48
	s_load_b64 s[8:9], s[0:1], 0x0
	s_mov_b32 s16, s15
	s_mov_b32 s17, 0
	v_dual_mov_b32 v22, 0 :: v_dual_and_b32 v7, 0x3ff, v0
	s_lshl_b64 s[18:19], s[16:17], 3
	v_bfe_u32 v8, v0, 10, 10
	v_dual_mov_b32 v21, 0 :: v_dual_mov_b32 v20, 0
	v_dual_mov_b32 v19, 0 :: v_dual_mov_b32 v18, 0
	v_dual_mov_b32 v17, 0 :: v_dual_mov_b32 v16, 0
	v_mov_b32_e32 v15, 0
	s_waitcnt lgkmcnt(0)
	s_add_u32 s2, s2, s18
	s_addc_u32 s3, s3, s19
	s_load_b128 s[4:7], s[0:1], 0x8
	s_load_b64 s[10:11], s[2:3], 0x0
	s_lshl_b32 s16, s13, 5
	s_lshl_b32 s20, s14, 5
	s_cmp_lt_i32 s9, 1
	s_cbranch_scc1 .LBB683_9
; %bb.1:
	s_clause 0x2
	s_load_b32 s12, s[0:1], 0x18
	s_load_b32 s14, s[0:1], 0x30
	s_load_b64 s[22:23], s[0:1], 0x28
	v_lshl_add_u32 v0, v8, 4, v7
	v_and_b32_e32 v9, 7, v7
	v_dual_mov_b32 v22, 0 :: v_dual_lshlrev_b32 v13, 3, v7
	s_delay_alu instid0(VALU_DEP_3) | instskip(SKIP_3) | instid1(VALU_DEP_4)
	v_dual_mov_b32 v18, 0 :: v_dual_and_b32 v1, 31, v0
	v_lshrrev_b32_e32 v2, 3, v0
	v_lshrrev_b32_e32 v10, 5, v0
	v_dual_mov_b32 v20, 0 :: v_dual_lshlrev_b32 v3, 3, v9
	v_or_b32_e32 v4, s16, v1
	v_lshlrev_b32_e32 v5, 3, v1
	v_add_nc_u32_e32 v0, s20, v2
	s_delay_alu instid0(VALU_DEP_4)
	v_lshl_or_b32 v3, v2, 6, v3
	v_dual_mov_b32 v17, 0 :: v_dual_add_nc_u32 v2, s16, v1
	v_cmp_gt_i32_e64 s2, s8, v4
	s_waitcnt lgkmcnt(0)
	s_ashr_i32 s13, s12, 31
	s_ashr_i32 s15, s14, 31
	s_add_u32 s22, s22, s18
	s_addc_u32 s23, s23, s19
	s_add_u32 s6, s6, s18
	v_lshl_or_b32 v11, v10, 8, v5
	v_mad_i64_i32 v[4:5], null, s14, v9, 0
	s_addc_u32 s7, s7, s19
	s_load_b64 s[18:19], s[22:23], 0x0
	s_load_b64 s[6:7], s[6:7], 0x0
	v_ashrrev_i32_e32 v1, 31, v0
	v_mad_i64_i32 v[15:16], null, v10, s12, 0
	v_dual_mov_b32 v19, 0 :: v_dual_add_nc_u32 v12, 0x800, v3
	v_ashrrev_i32_e32 v3, 31, v2
	v_cmp_gt_i32_e32 vcc_lo, s8, v0
	v_lshlrev_b64 v[4:5], 3, v[4:5]
	v_lshlrev_b64 v[0:1], 3, v[0:1]
	;; [unrolled: 1-line block ×4, first 2 shown]
	v_lshl_add_u32 v14, v8, 6, 0x800
	v_mov_b32_e32 v21, 0
	v_add_co_u32 v0, s3, v4, v0
	s_delay_alu instid0(VALU_DEP_1) | instskip(SKIP_1) | instid1(VALU_DEP_1)
	v_add_co_ci_u32_e64 v1, s3, v5, v1, s3
	v_add_co_u32 v2, s3, v15, v2
	v_add_co_ci_u32_e64 v3, s3, v16, v3, s3
	s_waitcnt lgkmcnt(0)
	v_add_co_u32 v4, s3, v0, s18
	s_delay_alu instid0(VALU_DEP_1) | instskip(SKIP_1) | instid1(VALU_DEP_1)
	v_add_co_ci_u32_e64 v5, s3, s19, v1, s3
	v_add_co_u32 v0, s3, s6, v2
	v_add_co_ci_u32_e64 v1, s3, s7, v3, s3
	s_delay_alu instid0(VALU_DEP_4) | instskip(NEXT) | instid1(VALU_DEP_1)
	v_add_co_u32 v2, s3, v4, 4
	v_add_co_ci_u32_e64 v3, s3, 0, v5, s3
	v_mov_b32_e32 v4, 0
	v_dual_mov_b32 v16, 0 :: v_dual_mov_b32 v15, 0
	s_lshl_b64 s[6:7], s[12:13], 6
	s_lshl_b64 s[12:13], s[14:15], 6
	s_xor_b32 s3, s2, -1
	s_branch .LBB683_3
.LBB683_2:                              ;   in Loop: Header=BB683_3 Depth=1
	s_or_b32 exec_lo, exec_lo, s2
	s_waitcnt vmcnt(0)
	ds_store_b64 v12, v[5:6]
	s_waitcnt lgkmcnt(0)
	s_barrier
	buffer_gl0_inv
	ds_load_2addr_b64 v[23:26], v13 offset1:16
	ds_load_b128 v[27:30], v14
	ds_load_b128 v[31:34], v14 offset:1024
	ds_load_b128 v[35:38], v14 offset:16
	;; [unrolled: 1-line block ×4, first 2 shown]
	ds_load_2addr_b64 v[47:50], v13 offset0:32 offset1:48
	ds_load_b128 v[51:54], v14 offset:1040
	v_add_co_u32 v0, s2, v0, s6
	s_delay_alu instid0(VALU_DEP_1) | instskip(SKIP_1) | instid1(VALU_DEP_1)
	v_add_co_ci_u32_e64 v1, s2, s7, v1, s2
	v_add_co_u32 v2, s2, v2, s12
	v_add_co_ci_u32_e64 v3, s2, s13, v3, s2
	s_add_i32 s17, s17, 8
	s_delay_alu instid0(SALU_CYCLE_1)
	s_cmp_ge_i32 s17, s9
	s_waitcnt lgkmcnt(6)
	v_dual_mul_f32 v5, v28, v24 :: v_dual_mul_f32 v56, v27, v26
	v_dual_mul_f32 v6, v27, v24 :: v_dual_mul_f32 v55, v28, v26
	s_waitcnt lgkmcnt(5)
	v_mul_f32_e32 v57, v32, v24
	s_delay_alu instid0(VALU_DEP_3)
	v_fma_f32 v5, v27, v23, -v5
	v_fmac_f32_e32 v56, v28, v25
	v_fmac_f32_e32 v6, v28, v23
	v_fma_f32 v27, v27, v25, -v55
	v_mul_f32_e32 v58, v32, v26
	v_mul_f32_e32 v26, v31, v26
	v_fma_f32 v28, v31, v23, -v57
	v_dual_mul_f32 v24, v31, v24 :: v_dual_add_f32 v5, v21, v5
	s_delay_alu instid0(VALU_DEP_3) | instskip(NEXT) | instid1(VALU_DEP_3)
	v_dual_add_f32 v21, v19, v27 :: v_dual_fmac_f32 v26, v32, v25
	v_add_f32_e32 v27, v17, v28
	s_waitcnt lgkmcnt(1)
	v_mul_f32_e32 v28, v30, v48
	v_fmac_f32_e32 v24, v32, v23
	v_fma_f32 v23, v31, v25, -v58
	s_delay_alu instid0(VALU_DEP_3) | instskip(SKIP_1) | instid1(VALU_DEP_3)
	v_fma_f32 v25, v29, v47, -v28
	v_mul_f32_e32 v28, v30, v50
	v_dual_add_f32 v6, v22, v6 :: v_dual_add_f32 v15, v15, v23
	v_mul_f32_e32 v23, v29, v48
	s_delay_alu instid0(VALU_DEP_4) | instskip(NEXT) | instid1(VALU_DEP_4)
	v_dual_add_f32 v5, v5, v25 :: v_dual_add_f32 v22, v20, v56
	v_fma_f32 v25, v29, v49, -v28
	v_add_f32_e32 v24, v18, v24
	ds_load_2addr_b64 v[17:20], v13 offset0:64 offset1:80
	v_fmac_f32_e32 v23, v30, v47
	v_dual_mul_f32 v28, v34, v48 :: v_dual_add_f32 v25, v21, v25
	s_delay_alu instid0(VALU_DEP_2)
	v_dual_add_f32 v6, v6, v23 :: v_dual_mul_f32 v23, v33, v48
	v_add_f32_e32 v16, v16, v26
	v_mul_f32_e32 v26, v29, v50
	v_mul_f32_e32 v29, v33, v50
	v_fma_f32 v21, v33, v47, -v28
	v_fmac_f32_e32 v23, v34, v47
	s_delay_alu instid0(VALU_DEP_3) | instskip(SKIP_1) | instid1(VALU_DEP_4)
	v_fmac_f32_e32 v29, v34, v49
	v_fmac_f32_e32 v26, v30, v49
	v_add_f32_e32 v27, v27, v21
	s_delay_alu instid0(VALU_DEP_2) | instskip(SKIP_2) | instid1(VALU_DEP_1)
	v_dual_add_f32 v29, v16, v29 :: v_dual_add_f32 v26, v22, v26
	s_waitcnt lgkmcnt(0)
	v_mul_f32_e32 v22, v36, v18
	v_fma_f32 v31, v35, v17, -v22
	s_delay_alu instid0(VALU_DEP_1) | instskip(NEXT) | instid1(VALU_DEP_1)
	v_dual_add_f32 v5, v5, v31 :: v_dual_mul_f32 v32, v36, v20
	v_fma_f32 v31, v35, v19, -v32
	s_delay_alu instid0(VALU_DEP_1) | instskip(NEXT) | instid1(VALU_DEP_1)
	v_dual_mul_f32 v28, v34, v50 :: v_dual_add_f32 v25, v25, v31
	v_fma_f32 v21, v33, v49, -v28
	v_add_f32_e32 v28, v24, v23
	v_mul_f32_e32 v16, v35, v20
	v_mul_f32_e32 v31, v52, v20
	;; [unrolled: 1-line block ×3, first 2 shown]
	v_add_f32_e32 v15, v15, v21
	ds_load_2addr_b64 v[21:24], v13 offset0:96 offset1:112
	v_mul_f32_e32 v30, v35, v18
	v_fmac_f32_e32 v16, v36, v19
	v_fmac_f32_e32 v20, v52, v19
	s_delay_alu instid0(VALU_DEP_3) | instskip(NEXT) | instid1(VALU_DEP_3)
	v_fmac_f32_e32 v30, v36, v17
	v_add_f32_e32 v32, v26, v16
	s_delay_alu instid0(VALU_DEP_3) | instskip(SKIP_1) | instid1(VALU_DEP_4)
	v_add_f32_e32 v29, v29, v20
	v_fma_f32 v16, v51, v19, -v31
	v_add_f32_e32 v6, v6, v30
	s_delay_alu instid0(VALU_DEP_2) | instskip(SKIP_3) | instid1(VALU_DEP_3)
	v_dual_mul_f32 v30, v52, v18 :: v_dual_add_f32 v33, v15, v16
	s_waitcnt lgkmcnt(0)
	v_mul_f32_e32 v35, v54, v24
	v_mul_f32_e32 v20, v37, v24
	v_fma_f32 v30, v51, v17, -v30
	v_mul_f32_e32 v19, v38, v22
	s_delay_alu instid0(VALU_DEP_3) | instskip(NEXT) | instid1(VALU_DEP_2)
	v_fmac_f32_e32 v20, v38, v23
	v_fma_f32 v19, v37, v21, -v19
	s_delay_alu instid0(VALU_DEP_2) | instskip(SKIP_2) | instid1(VALU_DEP_4)
	v_add_f32_e32 v36, v32, v20
	v_fma_f32 v20, v53, v23, -v35
	v_dual_add_f32 v30, v27, v30 :: v_dual_mul_f32 v27, v38, v24
	v_add_f32_e32 v5, v5, v19
	v_dual_mul_f32 v19, v54, v22 :: v_dual_mul_f32 v24, v53, v24
	s_delay_alu instid0(VALU_DEP_3) | instskip(NEXT) | instid1(VALU_DEP_2)
	v_fma_f32 v27, v37, v23, -v27
	v_fma_f32 v19, v53, v21, -v19
	s_delay_alu instid0(VALU_DEP_3) | instskip(SKIP_1) | instid1(VALU_DEP_4)
	v_dual_fmac_f32 v24, v54, v23 :: v_dual_add_f32 v23, v33, v20
	v_mul_f32_e32 v18, v51, v18
	v_add_f32_e32 v34, v25, v27
	v_mul_f32_e32 v26, v37, v22
	v_dual_mul_f32 v22, v53, v22 :: v_dual_add_f32 v35, v30, v19
	v_add_f32_e32 v24, v29, v24
	s_delay_alu instid0(VALU_DEP_2) | instskip(SKIP_1) | instid1(VALU_DEP_1)
	v_fmac_f32_e32 v22, v54, v21
	v_fmac_f32_e32 v18, v52, v17
	v_add_f32_e32 v31, v28, v18
	ds_load_2addr_b64 v[15:18], v13 offset0:128 offset1:144
	v_add_f32_e32 v37, v31, v22
	s_waitcnt lgkmcnt(0)
	v_mul_f32_e32 v19, v40, v16
	v_mul_f32_e32 v31, v40, v18
	;; [unrolled: 1-line block ×3, first 2 shown]
	s_delay_alu instid0(VALU_DEP_3)
	v_fma_f32 v30, v39, v15, -v19
	v_fmac_f32_e32 v26, v38, v21
	ds_load_2addr_b64 v[19:22], v13 offset0:160 offset1:176
	v_mul_f32_e32 v38, v39, v18
	v_fma_f32 v39, v39, v17, -v31
	v_add_f32_e32 v5, v5, v30
	v_add_f32_e32 v6, v6, v26
	ds_load_b128 v[25:28], v14 offset:1056
	ds_load_b128 v[29:32], v14 offset:1072
	v_fmac_f32_e32 v38, v40, v17
	v_fmac_f32_e32 v33, v40, v15
	s_delay_alu instid0(VALU_DEP_2) | instskip(SKIP_3) | instid1(VALU_DEP_2)
	v_add_f32_e32 v36, v36, v38
	s_waitcnt lgkmcnt(1)
	v_dual_mul_f32 v38, v25, v18 :: v_dual_mul_f32 v47, v26, v16
	v_mul_f32_e32 v16, v25, v16
	v_fmac_f32_e32 v38, v26, v17
	s_delay_alu instid0(VALU_DEP_1) | instskip(SKIP_1) | instid1(VALU_DEP_1)
	v_add_f32_e32 v38, v24, v38
	v_mul_f32_e32 v24, v41, v22
	v_fmac_f32_e32 v24, v42, v21
	v_add_f32_e32 v6, v6, v33
	v_add_f32_e32 v33, v34, v39
	v_fma_f32 v34, v25, v15, -v47
	v_mul_f32_e32 v39, v26, v18
	v_mul_f32_e32 v18, v42, v20
	s_delay_alu instid0(VALU_DEP_3) | instskip(NEXT) | instid1(VALU_DEP_2)
	v_add_f32_e32 v34, v35, v34
	v_fma_f32 v35, v41, v19, -v18
	s_delay_alu instid0(VALU_DEP_1) | instskip(SKIP_3) | instid1(VALU_DEP_3)
	v_add_f32_e32 v5, v5, v35
	v_fmac_f32_e32 v16, v26, v15
	v_fma_f32 v15, v25, v17, -v39
	v_mul_f32_e32 v26, v41, v20
	v_add_f32_e32 v25, v37, v16
	s_delay_alu instid0(VALU_DEP_3) | instskip(SKIP_3) | instid1(VALU_DEP_2)
	v_add_f32_e32 v23, v23, v15
	ds_load_2addr_b64 v[15:18], v13 offset0:192 offset1:208
	v_mul_f32_e32 v37, v42, v22
	v_fmac_f32_e32 v26, v42, v19
	v_fma_f32 v35, v41, v21, -v37
	s_delay_alu instid0(VALU_DEP_2) | instskip(SKIP_1) | instid1(VALU_DEP_3)
	v_add_f32_e32 v6, v6, v26
	v_mul_f32_e32 v26, v28, v20
	v_dual_mul_f32 v20, v27, v20 :: v_dual_add_f32 v33, v33, v35
	v_mul_f32_e32 v35, v28, v22
	s_delay_alu instid0(VALU_DEP_3) | instskip(NEXT) | instid1(VALU_DEP_3)
	v_fma_f32 v26, v27, v19, -v26
	v_fmac_f32_e32 v20, v28, v19
	v_dual_add_f32 v19, v36, v24 :: v_dual_mul_f32 v22, v27, v22
	s_delay_alu instid0(VALU_DEP_4) | instskip(NEXT) | instid1(VALU_DEP_3)
	v_fma_f32 v24, v27, v21, -v35
	v_dual_add_f32 v27, v34, v26 :: v_dual_add_f32 v20, v25, v20
	s_waitcnt lgkmcnt(0)
	v_mul_f32_e32 v34, v44, v16
	s_delay_alu instid0(VALU_DEP_3)
	v_dual_fmac_f32 v22, v28, v21 :: v_dual_add_f32 v21, v23, v24
	ds_load_2addr_b64 v[23:26], v13 offset0:224 offset1:240
	v_mul_f32_e32 v28, v43, v16
	v_fma_f32 v34, v43, v15, -v34
	v_mul_f32_e32 v35, v44, v18
	v_mul_f32_e32 v36, v43, v18
	s_waitcnt lgkmcnt(0)
	s_delay_alu instid0(VALU_DEP_3) | instskip(SKIP_3) | instid1(VALU_DEP_4)
	v_dual_fmac_f32 v28, v44, v15 :: v_dual_add_f32 v5, v5, v34
	v_mul_f32_e32 v34, v30, v16
	v_fma_f32 v35, v43, v17, -v35
	v_fmac_f32_e32 v36, v44, v17
	v_add_f32_e32 v6, v6, v28
	v_mul_f32_e32 v16, v29, v16
	v_fma_f32 v28, v29, v15, -v34
	v_dual_mul_f32 v34, v30, v18 :: v_dual_add_f32 v33, v33, v35
	s_delay_alu instid0(VALU_DEP_3) | instskip(NEXT) | instid1(VALU_DEP_3)
	v_dual_add_f32 v35, v19, v36 :: v_dual_fmac_f32 v16, v30, v15
	v_dual_add_f32 v15, v27, v28 :: v_dual_mul_f32 v18, v29, v18
	s_delay_alu instid0(VALU_DEP_3) | instskip(SKIP_3) | instid1(VALU_DEP_4)
	v_fma_f32 v19, v29, v17, -v34
	v_mul_f32_e32 v27, v46, v24
	v_mul_f32_e32 v28, v45, v24
	v_add_f32_e32 v16, v20, v16
	v_dual_fmac_f32 v18, v30, v17 :: v_dual_add_f32 v29, v21, v19
	s_delay_alu instid0(VALU_DEP_4)
	v_fma_f32 v17, v45, v23, -v27
	v_mul_f32_e32 v19, v46, v26
	v_fmac_f32_e32 v28, v46, v23
	v_mul_f32_e32 v20, v45, v26
	s_barrier
	v_add_f32_e32 v21, v5, v17
	v_mul_f32_e32 v17, v32, v26
	v_fma_f32 v5, v45, v25, -v19
	v_fmac_f32_e32 v20, v46, v25
	buffer_gl0_inv
	v_dual_add_f32 v19, v33, v5 :: v_dual_add_f32 v22, v38, v22
	s_delay_alu instid0(VALU_DEP_1) | instskip(SKIP_4) | instid1(VALU_DEP_3)
	v_dual_add_f32 v20, v35, v20 :: v_dual_add_f32 v27, v22, v18
	v_add_f32_e32 v22, v6, v28
	v_mul_f32_e32 v6, v32, v24
	v_mul_f32_e32 v18, v31, v24
	;; [unrolled: 1-line block ×3, first 2 shown]
	v_fma_f32 v5, v31, v23, -v6
	s_delay_alu instid0(VALU_DEP_3) | instskip(SKIP_1) | instid1(VALU_DEP_4)
	v_fmac_f32_e32 v18, v32, v23
	v_fma_f32 v6, v31, v25, -v17
	v_fmac_f32_e32 v24, v32, v25
	s_delay_alu instid0(VALU_DEP_3) | instskip(NEXT) | instid1(VALU_DEP_2)
	v_dual_add_f32 v17, v15, v5 :: v_dual_add_f32 v18, v16, v18
	v_dual_add_f32 v15, v29, v6 :: v_dual_add_f32 v16, v27, v24
	s_cbranch_scc1 .LBB683_9
.LBB683_3:                              ; =>This Inner Loop Header: Depth=1
	v_add_nc_u32_e32 v5, s17, v10
	s_delay_alu instid0(VALU_DEP_1) | instskip(NEXT) | instid1(VALU_DEP_1)
	v_cmp_le_i32_e64 s2, s9, v5
	s_or_b32 s2, s3, s2
	s_delay_alu instid0(SALU_CYCLE_1) | instskip(NEXT) | instid1(SALU_CYCLE_1)
	s_and_saveexec_b32 s14, s2
	s_xor_b32 s2, exec_lo, s14
	s_cbranch_execz .LBB683_5
; %bb.4:                                ;   in Loop: Header=BB683_3 Depth=1
	v_mov_b32_e32 v5, v4
	ds_store_b64 v11, v[4:5]
.LBB683_5:                              ;   in Loop: Header=BB683_3 Depth=1
	s_and_not1_saveexec_b32 s2, s2
	s_cbranch_execz .LBB683_7
; %bb.6:                                ;   in Loop: Header=BB683_3 Depth=1
	global_load_b64 v[5:6], v[0:1], off
	s_waitcnt vmcnt(0)
	ds_store_b64 v11, v[5:6]
.LBB683_7:                              ;   in Loop: Header=BB683_3 Depth=1
	s_or_b32 exec_lo, exec_lo, s2
	v_dual_mov_b32 v6, 0 :: v_dual_add_nc_u32 v5, s17, v9
	s_delay_alu instid0(VALU_DEP_1) | instskip(SKIP_1) | instid1(VALU_DEP_2)
	v_cmp_gt_i32_e64 s2, s9, v5
	v_mov_b32_e32 v5, 0
	s_and_b32 s14, s2, vcc_lo
	s_delay_alu instid0(SALU_CYCLE_1)
	s_and_saveexec_b32 s2, s14
	s_cbranch_execz .LBB683_2
; %bb.8:                                ;   in Loop: Header=BB683_3 Depth=1
	global_load_b64 v[5:6], v[2:3], off offset:-4
	s_branch .LBB683_2
.LBB683_9:
	s_load_b32 s2, s[0:1], 0x50
	v_add_nc_u32_e32 v4, s20, v8
	v_add_nc_u32_e32 v0, s16, v7
	s_delay_alu instid0(VALU_DEP_2) | instskip(NEXT) | instid1(VALU_DEP_2)
	v_cmp_gt_i32_e32 vcc_lo, s8, v4
	v_cmp_le_i32_e64 s0, v0, v4
	s_delay_alu instid0(VALU_DEP_1) | instskip(SKIP_2) | instid1(VALU_DEP_1)
	s_and_b32 s0, vcc_lo, s0
	s_waitcnt lgkmcnt(0)
	v_mad_i64_i32 v[1:2], null, v4, s2, 0
	v_lshlrev_b64 v[1:2], 3, v[1:2]
	s_delay_alu instid0(VALU_DEP_1) | instskip(NEXT) | instid1(VALU_DEP_1)
	v_add_co_u32 v5, s1, s10, v1
	v_add_co_ci_u32_e64 v6, s1, s11, v2, s1
	s_and_saveexec_b32 s1, s0
	s_cbranch_execz .LBB683_11
; %bb.10:
	v_ashrrev_i32_e32 v1, 31, v0
	v_mul_f32_e32 v2, s4, v22
	v_mul_f32_e32 v3, s5, v22
	s_delay_alu instid0(VALU_DEP_3) | instskip(NEXT) | instid1(VALU_DEP_3)
	v_lshlrev_b64 v[7:8], 3, v[0:1]
	v_fmac_f32_e32 v2, s5, v21
	s_delay_alu instid0(VALU_DEP_3) | instskip(NEXT) | instid1(VALU_DEP_3)
	v_fma_f32 v1, v21, s4, -v3
	v_add_co_u32 v7, s0, v5, v7
	s_delay_alu instid0(VALU_DEP_1)
	v_add_co_ci_u32_e64 v8, s0, v6, v8, s0
	global_store_b64 v[7:8], v[1:2], off
.LBB683_11:
	s_or_b32 exec_lo, exec_lo, s1
	v_add_nc_u32_e32 v2, 16, v0
	s_delay_alu instid0(VALU_DEP_1) | instskip(NEXT) | instid1(VALU_DEP_1)
	v_cmp_le_i32_e64 s0, v2, v4
	s_and_b32 s1, vcc_lo, s0
	s_delay_alu instid0(SALU_CYCLE_1)
	s_and_saveexec_b32 s0, s1
	s_cbranch_execz .LBB683_13
; %bb.12:
	v_ashrrev_i32_e32 v3, 31, v2
	v_mul_f32_e32 v8, s4, v20
	v_mul_f32_e32 v1, s5, v20
	s_delay_alu instid0(VALU_DEP_3) | instskip(NEXT) | instid1(VALU_DEP_3)
	v_lshlrev_b64 v[9:10], 3, v[2:3]
	v_fmac_f32_e32 v8, s5, v19
	s_delay_alu instid0(VALU_DEP_3) | instskip(NEXT) | instid1(VALU_DEP_3)
	v_fma_f32 v7, v19, s4, -v1
	v_add_co_u32 v5, vcc_lo, v5, v9
	s_delay_alu instid0(VALU_DEP_4)
	v_add_co_ci_u32_e32 v6, vcc_lo, v6, v10, vcc_lo
	global_store_b64 v[5:6], v[7:8], off
.LBB683_13:
	s_or_b32 exec_lo, exec_lo, s0
	v_add_nc_u32_e32 v3, 16, v4
	s_delay_alu instid0(VALU_DEP_1) | instskip(SKIP_2) | instid1(VALU_DEP_1)
	v_mad_i64_i32 v[4:5], null, v3, s2, 0
	v_cmp_gt_i32_e32 vcc_lo, s8, v3
	v_cmp_le_i32_e64 s0, v0, v3
	s_and_b32 s0, vcc_lo, s0
	s_delay_alu instid0(VALU_DEP_3) | instskip(NEXT) | instid1(VALU_DEP_1)
	v_lshlrev_b64 v[4:5], 3, v[4:5]
	v_add_co_u32 v4, s1, s10, v4
	s_delay_alu instid0(VALU_DEP_1)
	v_add_co_ci_u32_e64 v5, s1, s11, v5, s1
	s_and_saveexec_b32 s1, s0
	s_cbranch_execz .LBB683_15
; %bb.14:
	v_ashrrev_i32_e32 v1, 31, v0
	v_mul_f32_e32 v7, s4, v18
	v_mul_f32_e32 v6, s5, v18
	s_delay_alu instid0(VALU_DEP_3) | instskip(NEXT) | instid1(VALU_DEP_3)
	v_lshlrev_b64 v[0:1], 3, v[0:1]
	v_fmac_f32_e32 v7, s5, v17
	s_delay_alu instid0(VALU_DEP_3) | instskip(NEXT) | instid1(VALU_DEP_3)
	v_fma_f32 v6, v17, s4, -v6
	v_add_co_u32 v0, s0, v4, v0
	s_delay_alu instid0(VALU_DEP_1)
	v_add_co_ci_u32_e64 v1, s0, v5, v1, s0
	global_store_b64 v[0:1], v[6:7], off
.LBB683_15:
	s_or_b32 exec_lo, exec_lo, s1
	v_cmp_le_i32_e64 s0, v2, v3
	s_delay_alu instid0(VALU_DEP_1) | instskip(NEXT) | instid1(SALU_CYCLE_1)
	s_and_b32 s0, vcc_lo, s0
	s_and_saveexec_b32 s1, s0
	s_cbranch_execz .LBB683_17
; %bb.16:
	v_ashrrev_i32_e32 v3, 31, v2
	v_mul_f32_e32 v1, s4, v16
	v_mul_f32_e32 v0, s5, v16
	s_delay_alu instid0(VALU_DEP_3) | instskip(NEXT) | instid1(VALU_DEP_3)
	v_lshlrev_b64 v[2:3], 3, v[2:3]
	v_fmac_f32_e32 v1, s5, v15
	s_delay_alu instid0(VALU_DEP_3) | instskip(NEXT) | instid1(VALU_DEP_3)
	v_fma_f32 v0, v15, s4, -v0
	v_add_co_u32 v2, vcc_lo, v4, v2
	s_delay_alu instid0(VALU_DEP_4)
	v_add_co_ci_u32_e32 v3, vcc_lo, v5, v3, vcc_lo
	global_store_b64 v[2:3], v[0:1], off
.LBB683_17:
	s_nop 0
	s_sendmsg sendmsg(MSG_DEALLOC_VGPRS)
	s_endpgm
	.section	.rodata,"a",@progbits
	.p2align	6, 0x0
	.amdhsa_kernel _ZL34rocblas_syrkx_herkx_general_kernelIi19rocblas_complex_numIfELi16ELi32ELi8ELb1ELb0ELc78ELc85EKPKS1_KPS1_EviT_T0_PT8_S7_lSA_S7_lS8_PT9_S7_li
		.amdhsa_group_segment_fixed_size 4096
		.amdhsa_private_segment_fixed_size 0
		.amdhsa_kernarg_size 100
		.amdhsa_user_sgpr_count 13
		.amdhsa_user_sgpr_dispatch_ptr 0
		.amdhsa_user_sgpr_queue_ptr 0
		.amdhsa_user_sgpr_kernarg_segment_ptr 1
		.amdhsa_user_sgpr_dispatch_id 0
		.amdhsa_user_sgpr_private_segment_size 0
		.amdhsa_wavefront_size32 1
		.amdhsa_uses_dynamic_stack 0
		.amdhsa_enable_private_segment 0
		.amdhsa_system_sgpr_workgroup_id_x 1
		.amdhsa_system_sgpr_workgroup_id_y 1
		.amdhsa_system_sgpr_workgroup_id_z 1
		.amdhsa_system_sgpr_workgroup_info 0
		.amdhsa_system_vgpr_workitem_id 1
		.amdhsa_next_free_vgpr 59
		.amdhsa_next_free_sgpr 24
		.amdhsa_reserve_vcc 1
		.amdhsa_float_round_mode_32 0
		.amdhsa_float_round_mode_16_64 0
		.amdhsa_float_denorm_mode_32 3
		.amdhsa_float_denorm_mode_16_64 3
		.amdhsa_dx10_clamp 1
		.amdhsa_ieee_mode 1
		.amdhsa_fp16_overflow 0
		.amdhsa_workgroup_processor_mode 1
		.amdhsa_memory_ordered 1
		.amdhsa_forward_progress 0
		.amdhsa_shared_vgpr_count 0
		.amdhsa_exception_fp_ieee_invalid_op 0
		.amdhsa_exception_fp_denorm_src 0
		.amdhsa_exception_fp_ieee_div_zero 0
		.amdhsa_exception_fp_ieee_overflow 0
		.amdhsa_exception_fp_ieee_underflow 0
		.amdhsa_exception_fp_ieee_inexact 0
		.amdhsa_exception_int_div_zero 0
	.end_amdhsa_kernel
	.section	.text._ZL34rocblas_syrkx_herkx_general_kernelIi19rocblas_complex_numIfELi16ELi32ELi8ELb1ELb0ELc78ELc85EKPKS1_KPS1_EviT_T0_PT8_S7_lSA_S7_lS8_PT9_S7_li,"axG",@progbits,_ZL34rocblas_syrkx_herkx_general_kernelIi19rocblas_complex_numIfELi16ELi32ELi8ELb1ELb0ELc78ELc85EKPKS1_KPS1_EviT_T0_PT8_S7_lSA_S7_lS8_PT9_S7_li,comdat
.Lfunc_end683:
	.size	_ZL34rocblas_syrkx_herkx_general_kernelIi19rocblas_complex_numIfELi16ELi32ELi8ELb1ELb0ELc78ELc85EKPKS1_KPS1_EviT_T0_PT8_S7_lSA_S7_lS8_PT9_S7_li, .Lfunc_end683-_ZL34rocblas_syrkx_herkx_general_kernelIi19rocblas_complex_numIfELi16ELi32ELi8ELb1ELb0ELc78ELc85EKPKS1_KPS1_EviT_T0_PT8_S7_lSA_S7_lS8_PT9_S7_li
                                        ; -- End function
	.section	.AMDGPU.csdata,"",@progbits
; Kernel info:
; codeLenInByte = 2432
; NumSgprs: 26
; NumVgprs: 59
; ScratchSize: 0
; MemoryBound: 1
; FloatMode: 240
; IeeeMode: 1
; LDSByteSize: 4096 bytes/workgroup (compile time only)
; SGPRBlocks: 3
; VGPRBlocks: 7
; NumSGPRsForWavesPerEU: 26
; NumVGPRsForWavesPerEU: 59
; Occupancy: 16
; WaveLimiterHint : 1
; COMPUTE_PGM_RSRC2:SCRATCH_EN: 0
; COMPUTE_PGM_RSRC2:USER_SGPR: 13
; COMPUTE_PGM_RSRC2:TRAP_HANDLER: 0
; COMPUTE_PGM_RSRC2:TGID_X_EN: 1
; COMPUTE_PGM_RSRC2:TGID_Y_EN: 1
; COMPUTE_PGM_RSRC2:TGID_Z_EN: 1
; COMPUTE_PGM_RSRC2:TIDIG_COMP_CNT: 1
	.section	.text._ZL34rocblas_syrkx_herkx_general_kernelIi19rocblas_complex_numIfELi16ELi32ELi8ELb0ELb0ELc84ELc76EKPKS1_KPS1_EviT_T0_PT8_S7_lSA_S7_lS8_PT9_S7_li,"axG",@progbits,_ZL34rocblas_syrkx_herkx_general_kernelIi19rocblas_complex_numIfELi16ELi32ELi8ELb0ELb0ELc84ELc76EKPKS1_KPS1_EviT_T0_PT8_S7_lSA_S7_lS8_PT9_S7_li,comdat
	.globl	_ZL34rocblas_syrkx_herkx_general_kernelIi19rocblas_complex_numIfELi16ELi32ELi8ELb0ELb0ELc84ELc76EKPKS1_KPS1_EviT_T0_PT8_S7_lSA_S7_lS8_PT9_S7_li ; -- Begin function _ZL34rocblas_syrkx_herkx_general_kernelIi19rocblas_complex_numIfELi16ELi32ELi8ELb0ELb0ELc84ELc76EKPKS1_KPS1_EviT_T0_PT8_S7_lSA_S7_lS8_PT9_S7_li
	.p2align	8
	.type	_ZL34rocblas_syrkx_herkx_general_kernelIi19rocblas_complex_numIfELi16ELi32ELi8ELb0ELb0ELc84ELc76EKPKS1_KPS1_EviT_T0_PT8_S7_lSA_S7_lS8_PT9_S7_li,@function
_ZL34rocblas_syrkx_herkx_general_kernelIi19rocblas_complex_numIfELi16ELi32ELi8ELb0ELb0ELc84ELc76EKPKS1_KPS1_EviT_T0_PT8_S7_lSA_S7_lS8_PT9_S7_li: ; @_ZL34rocblas_syrkx_herkx_general_kernelIi19rocblas_complex_numIfELi16ELi32ELi8ELb0ELb0ELc84ELc76EKPKS1_KPS1_EviT_T0_PT8_S7_lSA_S7_lS8_PT9_S7_li
; %bb.0:
	s_clause 0x1
	s_load_b128 s[4:7], s[0:1], 0x40
	s_load_b64 s[16:17], s[0:1], 0x0
	s_mov_b32 s18, s15
	s_mov_b32 s19, 0
	v_dual_mov_b32 v21, 0 :: v_dual_and_b32 v6, 0x3ff, v0
	s_lshl_b64 s[2:3], s[18:19], 3
	v_bfe_u32 v7, v0, 10, 10
	v_dual_mov_b32 v20, 0 :: v_dual_mov_b32 v19, 0
	v_dual_mov_b32 v18, 0 :: v_dual_mov_b32 v17, 0
	;; [unrolled: 1-line block ×3, first 2 shown]
	v_mov_b32_e32 v14, 0
	s_waitcnt lgkmcnt(0)
	s_add_u32 s6, s6, s2
	s_addc_u32 s7, s7, s3
	s_load_b128 s[8:11], s[0:1], 0x8
	s_load_b64 s[6:7], s[6:7], 0x0
	s_lshl_b32 s12, s13, 5
	s_lshl_b32 s13, s14, 5
	s_cmp_lt_i32 s17, 1
	s_cbranch_scc1 .LBB684_11
; %bb.1:
	s_clause 0x1
	s_load_b64 s[14:15], s[0:1], 0x28
	s_load_b32 s18, s[0:1], 0x18
	v_lshl_add_u32 v0, v7, 4, v6
	s_load_b32 s20, s[0:1], 0x30
	v_and_b32_e32 v8, 7, v6
	v_lshlrev_b32_e32 v9, 3, v6
	v_lshl_add_u32 v10, v7, 6, 0x800
	v_and_b32_e32 v1, 31, v0
	v_lshrrev_b32_e32 v2, 3, v0
	v_lshrrev_b32_e32 v11, 5, v0
	v_dual_mov_b32 v19, 0 :: v_dual_mov_b32 v18, 0
	s_delay_alu instid0(VALU_DEP_4) | instskip(SKIP_4) | instid1(VALU_DEP_4)
	v_add_nc_u32_e32 v3, s12, v1
	v_or_b32_e32 v12, s12, v1
	v_dual_mov_b32 v20, 0 :: v_dual_lshlrev_b32 v13, 3, v1
	v_lshlrev_b32_e32 v15, 3, v11
	v_dual_mov_b32 v16, 0 :: v_dual_add_nc_u32 v5, s13, v2
	v_cmp_gt_i32_e32 vcc_lo, s16, v12
	s_waitcnt lgkmcnt(0)
	s_add_u32 s14, s14, s2
	v_mad_i64_i32 v[0:1], null, s18, v3, 0
	s_addc_u32 s15, s15, s3
	s_add_u32 s2, s10, s2
	s_addc_u32 s3, s11, s3
	s_load_b64 s[14:15], s[14:15], 0x0
	s_load_b64 s[10:11], s[2:3], 0x0
	v_cmp_gt_i32_e64 s2, s16, v5
	s_delay_alu instid0(VALU_DEP_2) | instskip(SKIP_4) | instid1(VALU_DEP_4)
	v_lshlrev_b64 v[0:1], 3, v[0:1]
	v_lshl_or_b32 v12, v11, 8, v13
	v_mov_b32_e32 v21, 0
	v_mov_b32_e32 v17, 0
	s_xor_b32 s2, s2, -1
	v_add_co_u32 v0, s3, v0, v15
	v_dual_mov_b32 v15, 0 :: v_dual_lshlrev_b32 v4, 3, v8
	v_add_co_ci_u32_e64 v1, s3, 0, v1, s3
	s_delay_alu instid0(VALU_DEP_2) | instskip(SKIP_1) | instid1(VALU_DEP_2)
	v_lshl_or_b32 v14, v2, 6, v4
	v_mad_i64_i32 v[2:3], null, s20, v5, 0
	v_dual_mov_b32 v14, 0 :: v_dual_add_nc_u32 v13, 0x800, v14
	s_delay_alu instid0(VALU_DEP_2) | instskip(NEXT) | instid1(VALU_DEP_1)
	v_lshlrev_b64 v[2:3], 3, v[2:3]
	v_add_co_u32 v2, s3, v2, v4
	s_delay_alu instid0(VALU_DEP_1) | instskip(SKIP_2) | instid1(VALU_DEP_1)
	v_add_co_ci_u32_e64 v3, s3, 0, v3, s3
	s_waitcnt lgkmcnt(0)
	v_add_co_u32 v0, s3, s10, v0
	v_add_co_ci_u32_e64 v1, s3, s11, v1, s3
	v_add_co_u32 v2, s3, s14, v2
	s_delay_alu instid0(VALU_DEP_1)
	v_add_co_ci_u32_e64 v3, s3, s15, v3, s3
	v_mov_b32_e32 v4, 0
	s_xor_b32 s3, vcc_lo, -1
	s_branch .LBB684_3
.LBB684_2:                              ;   in Loop: Header=BB684_3 Depth=1
	s_or_b32 exec_lo, exec_lo, s10
	s_waitcnt lgkmcnt(0)
	s_barrier
	buffer_gl0_inv
	ds_load_2addr_b64 v[22:25], v9 offset1:16
	ds_load_b128 v[26:29], v10
	ds_load_b128 v[30:33], v10 offset:1024
	ds_load_b128 v[34:37], v10 offset:16
	;; [unrolled: 1-line block ×4, first 2 shown]
	ds_load_2addr_b64 v[46:49], v9 offset0:32 offset1:48
	ds_load_b128 v[50:53], v10 offset:1040
	v_add_co_u32 v0, vcc_lo, v0, 64
	v_add_co_ci_u32_e32 v1, vcc_lo, 0, v1, vcc_lo
	v_add_co_u32 v2, vcc_lo, v2, 64
	v_add_co_ci_u32_e32 v3, vcc_lo, 0, v3, vcc_lo
	s_add_i32 s19, s19, 8
	s_delay_alu instid0(SALU_CYCLE_1)
	s_cmp_ge_i32 s19, s17
	s_waitcnt lgkmcnt(6)
	v_dual_mul_f32 v5, v27, v23 :: v_dual_mul_f32 v56, v26, v25
	v_dual_mul_f32 v54, v26, v23 :: v_dual_mul_f32 v55, v27, v25
	s_waitcnt lgkmcnt(5)
	v_mul_f32_e32 v58, v31, v25
	s_delay_alu instid0(VALU_DEP_3) | instskip(SKIP_3) | instid1(VALU_DEP_4)
	v_fma_f32 v5, v26, v22, -v5
	v_dual_mul_f32 v25, v30, v25 :: v_dual_fmac_f32 v56, v27, v24
	v_fmac_f32_e32 v54, v27, v22
	v_fma_f32 v26, v26, v24, -v55
	v_add_f32_e32 v5, v20, v5
	v_mul_f32_e32 v57, v31, v23
	s_delay_alu instid0(VALU_DEP_4) | instskip(SKIP_2) | instid1(VALU_DEP_4)
	v_dual_mul_f32 v23, v30, v23 :: v_dual_add_f32 v20, v21, v54
	v_fmac_f32_e32 v25, v31, v24
	v_dual_add_f32 v21, v18, v26 :: v_dual_add_f32 v26, v19, v56
	v_fma_f32 v27, v30, v22, -v57
	s_delay_alu instid0(VALU_DEP_4) | instskip(SKIP_3) | instid1(VALU_DEP_2)
	v_fmac_f32_e32 v23, v31, v22
	v_fma_f32 v22, v30, v24, -v58
	s_waitcnt lgkmcnt(1)
	v_mul_f32_e32 v30, v29, v47
	v_dual_add_f32 v27, v16, v27 :: v_dual_add_f32 v14, v14, v22
	v_dual_mul_f32 v22, v28, v47 :: v_dual_add_f32 v15, v15, v25
	v_mul_f32_e32 v25, v28, v49
	s_delay_alu instid0(VALU_DEP_4) | instskip(NEXT) | instid1(VALU_DEP_3)
	v_fma_f32 v24, v28, v46, -v30
	v_fmac_f32_e32 v22, v29, v46
	v_add_f32_e32 v23, v17, v23
	ds_load_2addr_b64 v[16:19], v9 offset0:64 offset1:80
	v_mul_f32_e32 v30, v29, v49
	v_fmac_f32_e32 v25, v29, v48
	v_add_f32_e32 v5, v5, v24
	s_delay_alu instid0(VALU_DEP_2) | instskip(SKIP_1) | instid1(VALU_DEP_1)
	v_add_f32_e32 v25, v26, v25
	v_mul_f32_e32 v26, v32, v49
	v_fmac_f32_e32 v26, v33, v48
	s_waitcnt lgkmcnt(0)
	s_delay_alu instid0(VALU_DEP_1) | instskip(SKIP_1) | instid1(VALU_DEP_2)
	v_dual_add_f32 v26, v15, v26 :: v_dual_mul_f32 v29, v34, v17
	v_mul_f32_e32 v15, v34, v19
	v_fmac_f32_e32 v29, v35, v16
	v_fma_f32 v24, v28, v48, -v30
	v_mul_f32_e32 v28, v33, v47
	v_add_f32_e32 v30, v20, v22
	v_mul_f32_e32 v20, v32, v47
	v_mul_f32_e32 v22, v33, v49
	v_add_f32_e32 v24, v21, v24
	v_fma_f32 v21, v32, v46, -v28
	s_delay_alu instid0(VALU_DEP_4) | instskip(SKIP_1) | instid1(VALU_DEP_3)
	v_dual_add_f32 v29, v30, v29 :: v_dual_fmac_f32 v20, v33, v46
	v_fmac_f32_e32 v15, v35, v18
	v_add_f32_e32 v27, v27, v21
	v_fma_f32 v21, v32, v48, -v22
	v_mul_f32_e32 v22, v35, v17
	v_mul_f32_e32 v32, v35, v19
	v_add_f32_e32 v28, v23, v20
	s_delay_alu instid0(VALU_DEP_4) | instskip(NEXT) | instid1(VALU_DEP_4)
	v_add_f32_e32 v14, v14, v21
	v_fma_f32 v31, v34, v16, -v22
	ds_load_2addr_b64 v[20:23], v9 offset0:96 offset1:112
	v_add_f32_e32 v5, v5, v31
	v_fma_f32 v31, v34, v18, -v32
	s_delay_alu instid0(VALU_DEP_1) | instskip(SKIP_3) | instid1(VALU_DEP_3)
	v_add_f32_e32 v24, v24, v31
	v_mul_f32_e32 v31, v51, v19
	v_mul_f32_e32 v19, v50, v19
	v_add_f32_e32 v32, v25, v15
	v_fma_f32 v15, v50, v18, -v31
	s_delay_alu instid0(VALU_DEP_3)
	v_fmac_f32_e32 v19, v51, v18
	v_mul_f32_e32 v30, v51, v17
	v_mul_f32_e32 v17, v50, v17
	s_waitcnt lgkmcnt(0)
	v_dual_mul_f32 v18, v37, v21 :: v_dual_add_f32 v31, v14, v15
	v_add_f32_e32 v33, v26, v19
	v_fma_f32 v30, v50, v16, -v30
	v_fmac_f32_e32 v17, v51, v16
	s_delay_alu instid0(VALU_DEP_4) | instskip(SKIP_1) | instid1(VALU_DEP_4)
	v_fma_f32 v18, v36, v20, -v18
	v_mul_f32_e32 v25, v36, v21
	v_dual_mul_f32 v19, v36, v23 :: v_dual_add_f32 v30, v27, v30
	s_delay_alu instid0(VALU_DEP_4) | instskip(SKIP_4) | instid1(VALU_DEP_2)
	v_add_f32_e32 v28, v28, v17
	ds_load_2addr_b64 v[14:17], v9 offset0:128 offset1:144
	v_add_f32_e32 v5, v5, v18
	v_mul_f32_e32 v18, v53, v21
	v_fmac_f32_e32 v19, v37, v22
	v_fma_f32 v18, v52, v20, -v18
	v_mul_f32_e32 v27, v37, v23
	s_delay_alu instid0(VALU_DEP_1) | instskip(NEXT) | instid1(VALU_DEP_3)
	v_fma_f32 v26, v36, v22, -v27
	v_add_f32_e32 v36, v30, v18
	s_waitcnt lgkmcnt(0)
	s_delay_alu instid0(VALU_DEP_2) | instskip(SKIP_2) | instid1(VALU_DEP_3)
	v_dual_add_f32 v35, v24, v26 :: v_dual_mul_f32 v46, v38, v15
	v_dual_fmac_f32 v25, v37, v20 :: v_dual_add_f32 v32, v32, v19
	v_mul_f32_e32 v18, v39, v15
	v_fmac_f32_e32 v46, v39, v14
	s_delay_alu instid0(VALU_DEP_3)
	v_add_f32_e32 v34, v29, v25
	v_mul_f32_e32 v29, v53, v23
	v_mul_f32_e32 v23, v52, v23
	ds_load_b128 v[24:27], v10 offset:1056
	v_add_f32_e32 v34, v34, v46
	v_fma_f32 v19, v52, v22, -v29
	v_mul_f32_e32 v21, v52, v21
	v_fmac_f32_e32 v23, v53, v22
	v_mul_f32_e32 v29, v39, v17
	s_delay_alu instid0(VALU_DEP_3) | instskip(NEXT) | instid1(VALU_DEP_3)
	v_dual_add_f32 v22, v31, v19 :: v_dual_fmac_f32 v21, v53, v20
	v_add_f32_e32 v23, v33, v23
	s_delay_alu instid0(VALU_DEP_2) | instskip(SKIP_4) | instid1(VALU_DEP_2)
	v_add_f32_e32 v37, v28, v21
	v_fma_f32 v28, v38, v14, -v18
	ds_load_2addr_b64 v[18:21], v9 offset0:160 offset1:176
	v_mul_f32_e32 v33, v38, v17
	v_fma_f32 v38, v38, v16, -v29
	v_fmac_f32_e32 v33, v39, v16
	s_delay_alu instid0(VALU_DEP_1)
	v_dual_add_f32 v35, v35, v38 :: v_dual_add_f32 v32, v32, v33
	v_add_f32_e32 v5, v5, v28
	ds_load_b128 v[28:31], v10 offset:1072
	s_waitcnt lgkmcnt(2)
	v_mul_f32_e32 v47, v25, v15
	v_mul_f32_e32 v15, v24, v15
	;; [unrolled: 1-line block ×4, first 2 shown]
	s_delay_alu instid0(VALU_DEP_4) | instskip(NEXT) | instid1(VALU_DEP_4)
	v_fma_f32 v38, v24, v14, -v47
	v_fmac_f32_e32 v15, v25, v14
	s_delay_alu instid0(VALU_DEP_4)
	v_fma_f32 v14, v24, v16, -v39
	s_waitcnt lgkmcnt(1)
	v_mul_f32_e32 v17, v41, v19
	v_dual_fmac_f32 v33, v25, v16 :: v_dual_add_f32 v36, v36, v38
	v_add_f32_e32 v24, v37, v15
	v_add_f32_e32 v22, v22, v14
	s_delay_alu instid0(VALU_DEP_4) | instskip(SKIP_2) | instid1(VALU_DEP_1)
	v_fma_f32 v37, v40, v18, -v17
	ds_load_2addr_b64 v[14:17], v9 offset0:192 offset1:208
	v_dual_mul_f32 v25, v40, v19 :: v_dual_mul_f32 v38, v41, v21
	v_fmac_f32_e32 v25, v41, v18
	s_delay_alu instid0(VALU_DEP_1) | instskip(SKIP_4) | instid1(VALU_DEP_3)
	v_add_f32_e32 v34, v34, v25
	v_add_f32_e32 v33, v23, v33
	v_mul_f32_e32 v23, v40, v21
	v_mul_f32_e32 v25, v27, v19
	;; [unrolled: 1-line block ×3, first 2 shown]
	v_fmac_f32_e32 v23, v41, v20
	s_delay_alu instid0(VALU_DEP_3) | instskip(NEXT) | instid1(VALU_DEP_2)
	v_fma_f32 v25, v26, v18, -v25
	v_dual_fmac_f32 v19, v27, v18 :: v_dual_add_f32 v18, v32, v23
	s_waitcnt lgkmcnt(0)
	v_dual_mul_f32 v32, v43, v15 :: v_dual_add_f32 v5, v5, v37
	v_fma_f32 v37, v40, v20, -v38
	s_delay_alu instid0(VALU_DEP_3) | instskip(NEXT) | instid1(VALU_DEP_3)
	v_add_f32_e32 v19, v24, v19
	v_fma_f32 v32, v42, v14, -v32
	s_delay_alu instid0(VALU_DEP_1) | instskip(NEXT) | instid1(VALU_DEP_4)
	v_add_f32_e32 v5, v5, v32
	v_add_f32_e32 v35, v35, v37
	v_mul_f32_e32 v37, v27, v21
	v_dual_mul_f32 v21, v26, v21 :: v_dual_mul_f32 v32, v29, v15
	s_delay_alu instid0(VALU_DEP_2) | instskip(NEXT) | instid1(VALU_DEP_2)
	v_fma_f32 v23, v26, v20, -v37
	v_dual_add_f32 v26, v36, v25 :: v_dual_fmac_f32 v21, v27, v20
	v_mul_f32_e32 v27, v42, v15
	v_mul_f32_e32 v15, v28, v15
	s_delay_alu instid0(VALU_DEP_4)
	v_add_f32_e32 v20, v22, v23
	ds_load_2addr_b64 v[22:25], v9 offset0:224 offset1:240
	v_fma_f32 v32, v28, v14, -v32
	v_dual_fmac_f32 v27, v43, v14 :: v_dual_mul_f32 v36, v42, v17
	v_fmac_f32_e32 v15, v29, v14
	s_waitcnt lgkmcnt(0)
	s_delay_alu instid0(VALU_DEP_3) | instskip(NEXT) | instid1(VALU_DEP_3)
	v_add_f32_e32 v14, v26, v32
	v_dual_add_f32 v27, v34, v27 :: v_dual_fmac_f32 v36, v43, v16
	s_delay_alu instid0(VALU_DEP_3)
	v_dual_mul_f32 v34, v29, v17 :: v_dual_add_f32 v15, v19, v15
	s_barrier
	buffer_gl0_inv
	v_mul_f32_e32 v26, v45, v23
	v_add_f32_e32 v21, v33, v21
	v_mul_f32_e32 v33, v43, v17
	v_mul_f32_e32 v17, v28, v17
	;; [unrolled: 1-line block ×3, first 2 shown]
	s_delay_alu instid0(VALU_DEP_3) | instskip(NEXT) | instid1(VALU_DEP_3)
	v_fma_f32 v33, v42, v16, -v33
	v_fmac_f32_e32 v17, v29, v16
	s_delay_alu instid0(VALU_DEP_3) | instskip(NEXT) | instid1(VALU_DEP_3)
	v_fmac_f32_e32 v19, v45, v24
	v_add_f32_e32 v33, v35, v33
	v_add_f32_e32 v35, v18, v36
	v_fma_f32 v18, v28, v16, -v34
	v_fma_f32 v16, v44, v22, -v26
	v_mul_f32_e32 v28, v44, v23
	v_dual_add_f32 v26, v21, v17 :: v_dual_mul_f32 v17, v30, v23
	s_delay_alu instid0(VALU_DEP_4) | instskip(NEXT) | instid1(VALU_DEP_4)
	v_dual_add_f32 v29, v20, v18 :: v_dual_mul_f32 v18, v45, v25
	v_add_f32_e32 v20, v5, v16
	v_mul_f32_e32 v16, v31, v23
	v_mul_f32_e32 v23, v31, v25
	;; [unrolled: 1-line block ×3, first 2 shown]
	v_fma_f32 v5, v44, v24, -v18
	v_fmac_f32_e32 v28, v45, v22
	v_fmac_f32_e32 v17, v31, v22
	v_add_f32_e32 v19, v35, v19
	s_delay_alu instid0(VALU_DEP_4)
	v_dual_fmac_f32 v25, v31, v24 :: v_dual_add_f32 v18, v33, v5
	v_fma_f32 v5, v30, v22, -v16
	v_fma_f32 v22, v30, v24, -v23
	v_add_f32_e32 v21, v27, v28
	v_add_f32_e32 v17, v15, v17
	v_add_f32_e32 v15, v26, v25
	v_add_f32_e32 v16, v14, v5
	v_add_f32_e32 v14, v29, v22
	s_cbranch_scc1 .LBB684_11
.LBB684_3:                              ; =>This Inner Loop Header: Depth=1
	v_add_nc_u32_e32 v5, s19, v11
	s_delay_alu instid0(VALU_DEP_1) | instskip(SKIP_1) | instid1(SALU_CYCLE_1)
	v_cmp_le_i32_e32 vcc_lo, s17, v5
	s_or_b32 s10, s3, vcc_lo
	s_and_saveexec_b32 s11, s10
	s_delay_alu instid0(SALU_CYCLE_1)
	s_xor_b32 s10, exec_lo, s11
	s_cbranch_execz .LBB684_5
; %bb.4:                                ;   in Loop: Header=BB684_3 Depth=1
	v_mov_b32_e32 v5, v4
	ds_store_b64 v12, v[4:5]
.LBB684_5:                              ;   in Loop: Header=BB684_3 Depth=1
	s_and_not1_saveexec_b32 s10, s10
	s_cbranch_execz .LBB684_7
; %bb.6:                                ;   in Loop: Header=BB684_3 Depth=1
	global_load_b64 v[22:23], v[0:1], off
	s_waitcnt vmcnt(0)
	ds_store_b64 v12, v[22:23]
.LBB684_7:                              ;   in Loop: Header=BB684_3 Depth=1
	s_or_b32 exec_lo, exec_lo, s10
	v_add_nc_u32_e32 v5, s19, v8
	s_delay_alu instid0(VALU_DEP_1) | instskip(SKIP_1) | instid1(SALU_CYCLE_1)
	v_cmp_le_i32_e32 vcc_lo, s17, v5
	s_or_b32 s10, vcc_lo, s2
	s_and_saveexec_b32 s11, s10
	s_delay_alu instid0(SALU_CYCLE_1)
	s_xor_b32 s10, exec_lo, s11
	s_cbranch_execz .LBB684_9
; %bb.8:                                ;   in Loop: Header=BB684_3 Depth=1
	v_mov_b32_e32 v5, v4
	ds_store_b64 v13, v[4:5]
.LBB684_9:                              ;   in Loop: Header=BB684_3 Depth=1
	s_and_not1_saveexec_b32 s10, s10
	s_cbranch_execz .LBB684_2
; %bb.10:                               ;   in Loop: Header=BB684_3 Depth=1
	global_load_b64 v[22:23], v[2:3], off
	s_waitcnt vmcnt(0)
	ds_store_b64 v13, v[22:23]
	s_branch .LBB684_2
.LBB684_11:
	s_load_b32 s2, s[0:1], 0x50
	v_add_nc_u32_e32 v4, s13, v7
	v_add_nc_u32_e32 v0, s12, v6
	s_delay_alu instid0(VALU_DEP_1) | instskip(SKIP_1) | instid1(VALU_DEP_2)
	v_cmp_le_i32_e64 s0, v4, v0
	v_cmp_gt_i32_e32 vcc_lo, s16, v0
	s_and_b32 s0, s0, vcc_lo
	s_waitcnt lgkmcnt(0)
	v_mad_i64_i32 v[1:2], null, v4, s2, 0
	s_delay_alu instid0(VALU_DEP_1) | instskip(NEXT) | instid1(VALU_DEP_1)
	v_lshlrev_b64 v[1:2], 3, v[1:2]
	v_add_co_u32 v5, s1, s6, v1
	s_delay_alu instid0(VALU_DEP_1)
	v_add_co_ci_u32_e64 v6, s1, s7, v2, s1
	s_and_saveexec_b32 s1, s0
	s_cbranch_execz .LBB684_13
; %bb.12:
	v_ashrrev_i32_e32 v1, 31, v0
	s_delay_alu instid0(VALU_DEP_1) | instskip(NEXT) | instid1(VALU_DEP_1)
	v_lshlrev_b64 v[1:2], 3, v[0:1]
	v_add_co_u32 v1, s0, v5, v1
	s_delay_alu instid0(VALU_DEP_1)
	v_add_co_ci_u32_e64 v2, s0, v6, v2, s0
	global_load_b64 v[7:8], v[1:2], off
	v_mul_f32_e32 v3, s9, v21
	s_waitcnt vmcnt(0)
	v_dual_mul_f32 v9, s8, v21 :: v_dual_mul_f32 v10, s5, v8
	v_mul_f32_e32 v8, s4, v8
	s_delay_alu instid0(VALU_DEP_3) | instskip(NEXT) | instid1(VALU_DEP_3)
	v_fma_f32 v3, v20, s8, -v3
	v_fmac_f32_e32 v9, s9, v20
	s_delay_alu instid0(VALU_DEP_4) | instskip(NEXT) | instid1(VALU_DEP_1)
	v_fma_f32 v10, v7, s4, -v10
	v_dual_fmac_f32 v8, s5, v7 :: v_dual_add_f32 v7, v3, v10
	s_delay_alu instid0(VALU_DEP_1)
	v_add_f32_e32 v8, v9, v8
	global_store_b64 v[1:2], v[7:8], off
.LBB684_13:
	s_or_b32 exec_lo, exec_lo, s1
	v_add_nc_u32_e32 v2, 16, v0
	s_delay_alu instid0(VALU_DEP_1) | instskip(SKIP_1) | instid1(VALU_DEP_1)
	v_cmp_le_i32_e64 s1, v4, v2
	v_cmp_gt_i32_e64 s0, s16, v2
	s_and_b32 s1, s1, s0
	s_delay_alu instid0(SALU_CYCLE_1)
	s_and_saveexec_b32 s3, s1
	s_cbranch_execz .LBB684_15
; %bb.14:
	v_ashrrev_i32_e32 v3, 31, v2
	s_delay_alu instid0(VALU_DEP_1) | instskip(SKIP_1) | instid1(VALU_DEP_1)
	v_lshlrev_b64 v[7:8], 3, v[2:3]
	v_mul_f32_e32 v3, s8, v19
	v_fmac_f32_e32 v3, s9, v18
	s_delay_alu instid0(VALU_DEP_3) | instskip(NEXT) | instid1(VALU_DEP_1)
	v_add_co_u32 v5, s1, v5, v7
	v_add_co_ci_u32_e64 v6, s1, v6, v8, s1
	global_load_b64 v[7:8], v[5:6], off
	v_mul_f32_e32 v1, s9, v19
	s_waitcnt vmcnt(0)
	v_mul_f32_e32 v9, s5, v8
	v_mul_f32_e32 v8, s4, v8
	s_delay_alu instid0(VALU_DEP_3) | instskip(NEXT) | instid1(VALU_DEP_2)
	v_fma_f32 v1, v18, s8, -v1
	v_fmac_f32_e32 v8, s5, v7
	s_delay_alu instid0(VALU_DEP_4) | instskip(NEXT) | instid1(VALU_DEP_1)
	v_fma_f32 v9, v7, s4, -v9
	v_dual_add_f32 v8, v3, v8 :: v_dual_add_f32 v7, v1, v9
	global_store_b64 v[5:6], v[7:8], off
.LBB684_15:
	s_or_b32 exec_lo, exec_lo, s3
	v_add_nc_u32_e32 v3, 16, v4
	s_delay_alu instid0(VALU_DEP_1) | instskip(SKIP_1) | instid1(VALU_DEP_2)
	v_mad_i64_i32 v[4:5], null, v3, s2, 0
	v_cmp_le_i32_e64 s1, v3, v0
	v_lshlrev_b64 v[4:5], 3, v[4:5]
	s_delay_alu instid0(VALU_DEP_1) | instskip(NEXT) | instid1(VALU_DEP_1)
	v_add_co_u32 v4, s2, s6, v4
	v_add_co_ci_u32_e64 v5, s2, s7, v5, s2
	s_delay_alu instid0(VALU_DEP_4) | instskip(NEXT) | instid1(SALU_CYCLE_1)
	s_and_b32 s2, s1, vcc_lo
	s_and_saveexec_b32 s1, s2
	s_cbranch_execz .LBB684_17
; %bb.16:
	v_ashrrev_i32_e32 v1, 31, v0
	s_delay_alu instid0(VALU_DEP_1) | instskip(NEXT) | instid1(VALU_DEP_1)
	v_lshlrev_b64 v[0:1], 3, v[0:1]
	v_add_co_u32 v0, vcc_lo, v4, v0
	s_delay_alu instid0(VALU_DEP_2)
	v_add_co_ci_u32_e32 v1, vcc_lo, v5, v1, vcc_lo
	global_load_b64 v[6:7], v[0:1], off
	v_mul_f32_e32 v8, s9, v17
	s_waitcnt vmcnt(0)
	v_dual_mul_f32 v9, s8, v17 :: v_dual_mul_f32 v10, s5, v7
	v_mul_f32_e32 v7, s4, v7
	s_delay_alu instid0(VALU_DEP_3) | instskip(NEXT) | instid1(VALU_DEP_3)
	v_fma_f32 v8, v16, s8, -v8
	v_fma_f32 v10, v6, s4, -v10
	s_delay_alu instid0(VALU_DEP_4) | instskip(NEXT) | instid1(VALU_DEP_4)
	v_fmac_f32_e32 v9, s9, v16
	v_fmac_f32_e32 v7, s5, v6
	s_delay_alu instid0(VALU_DEP_1)
	v_dual_add_f32 v6, v8, v10 :: v_dual_add_f32 v7, v9, v7
	global_store_b64 v[0:1], v[6:7], off
.LBB684_17:
	s_or_b32 exec_lo, exec_lo, s1
	v_cmp_le_i32_e32 vcc_lo, v3, v2
	s_and_b32 s0, vcc_lo, s0
	s_delay_alu instid0(SALU_CYCLE_1)
	s_and_saveexec_b32 s1, s0
	s_cbranch_execz .LBB684_19
; %bb.18:
	v_ashrrev_i32_e32 v3, 31, v2
	s_delay_alu instid0(VALU_DEP_1) | instskip(NEXT) | instid1(VALU_DEP_1)
	v_lshlrev_b64 v[0:1], 3, v[2:3]
	v_add_co_u32 v0, vcc_lo, v4, v0
	s_delay_alu instid0(VALU_DEP_2) | instskip(SKIP_4) | instid1(VALU_DEP_1)
	v_add_co_ci_u32_e32 v1, vcc_lo, v5, v1, vcc_lo
	global_load_b64 v[2:3], v[0:1], off
	s_waitcnt vmcnt(0)
	v_mul_f32_e32 v6, s5, v3
	v_mul_f32_e32 v3, s4, v3
	v_fmac_f32_e32 v3, s5, v2
	s_delay_alu instid0(VALU_DEP_3) | instskip(SKIP_1) | instid1(VALU_DEP_1)
	v_fma_f32 v6, v2, s4, -v6
	v_mul_f32_e32 v5, s8, v15
	v_dual_mul_f32 v4, s9, v15 :: v_dual_fmac_f32 v5, s9, v14
	s_delay_alu instid0(VALU_DEP_1) | instskip(NEXT) | instid1(VALU_DEP_1)
	v_fma_f32 v4, v14, s8, -v4
	v_dual_add_f32 v3, v5, v3 :: v_dual_add_f32 v2, v4, v6
	global_store_b64 v[0:1], v[2:3], off
.LBB684_19:
	s_nop 0
	s_sendmsg sendmsg(MSG_DEALLOC_VGPRS)
	s_endpgm
	.section	.rodata,"a",@progbits
	.p2align	6, 0x0
	.amdhsa_kernel _ZL34rocblas_syrkx_herkx_general_kernelIi19rocblas_complex_numIfELi16ELi32ELi8ELb0ELb0ELc84ELc76EKPKS1_KPS1_EviT_T0_PT8_S7_lSA_S7_lS8_PT9_S7_li
		.amdhsa_group_segment_fixed_size 4096
		.amdhsa_private_segment_fixed_size 0
		.amdhsa_kernarg_size 100
		.amdhsa_user_sgpr_count 13
		.amdhsa_user_sgpr_dispatch_ptr 0
		.amdhsa_user_sgpr_queue_ptr 0
		.amdhsa_user_sgpr_kernarg_segment_ptr 1
		.amdhsa_user_sgpr_dispatch_id 0
		.amdhsa_user_sgpr_private_segment_size 0
		.amdhsa_wavefront_size32 1
		.amdhsa_uses_dynamic_stack 0
		.amdhsa_enable_private_segment 0
		.amdhsa_system_sgpr_workgroup_id_x 1
		.amdhsa_system_sgpr_workgroup_id_y 1
		.amdhsa_system_sgpr_workgroup_id_z 1
		.amdhsa_system_sgpr_workgroup_info 0
		.amdhsa_system_vgpr_workitem_id 1
		.amdhsa_next_free_vgpr 59
		.amdhsa_next_free_sgpr 21
		.amdhsa_reserve_vcc 1
		.amdhsa_float_round_mode_32 0
		.amdhsa_float_round_mode_16_64 0
		.amdhsa_float_denorm_mode_32 3
		.amdhsa_float_denorm_mode_16_64 3
		.amdhsa_dx10_clamp 1
		.amdhsa_ieee_mode 1
		.amdhsa_fp16_overflow 0
		.amdhsa_workgroup_processor_mode 1
		.amdhsa_memory_ordered 1
		.amdhsa_forward_progress 0
		.amdhsa_shared_vgpr_count 0
		.amdhsa_exception_fp_ieee_invalid_op 0
		.amdhsa_exception_fp_denorm_src 0
		.amdhsa_exception_fp_ieee_div_zero 0
		.amdhsa_exception_fp_ieee_overflow 0
		.amdhsa_exception_fp_ieee_underflow 0
		.amdhsa_exception_fp_ieee_inexact 0
		.amdhsa_exception_int_div_zero 0
	.end_amdhsa_kernel
	.section	.text._ZL34rocblas_syrkx_herkx_general_kernelIi19rocblas_complex_numIfELi16ELi32ELi8ELb0ELb0ELc84ELc76EKPKS1_KPS1_EviT_T0_PT8_S7_lSA_S7_lS8_PT9_S7_li,"axG",@progbits,_ZL34rocblas_syrkx_herkx_general_kernelIi19rocblas_complex_numIfELi16ELi32ELi8ELb0ELb0ELc84ELc76EKPKS1_KPS1_EviT_T0_PT8_S7_lSA_S7_lS8_PT9_S7_li,comdat
.Lfunc_end684:
	.size	_ZL34rocblas_syrkx_herkx_general_kernelIi19rocblas_complex_numIfELi16ELi32ELi8ELb0ELb0ELc84ELc76EKPKS1_KPS1_EviT_T0_PT8_S7_lSA_S7_lS8_PT9_S7_li, .Lfunc_end684-_ZL34rocblas_syrkx_herkx_general_kernelIi19rocblas_complex_numIfELi16ELi32ELi8ELb0ELb0ELc84ELc76EKPKS1_KPS1_EviT_T0_PT8_S7_lSA_S7_lS8_PT9_S7_li
                                        ; -- End function
	.section	.AMDGPU.csdata,"",@progbits
; Kernel info:
; codeLenInByte = 2568
; NumSgprs: 23
; NumVgprs: 59
; ScratchSize: 0
; MemoryBound: 1
; FloatMode: 240
; IeeeMode: 1
; LDSByteSize: 4096 bytes/workgroup (compile time only)
; SGPRBlocks: 2
; VGPRBlocks: 7
; NumSGPRsForWavesPerEU: 23
; NumVGPRsForWavesPerEU: 59
; Occupancy: 16
; WaveLimiterHint : 1
; COMPUTE_PGM_RSRC2:SCRATCH_EN: 0
; COMPUTE_PGM_RSRC2:USER_SGPR: 13
; COMPUTE_PGM_RSRC2:TRAP_HANDLER: 0
; COMPUTE_PGM_RSRC2:TGID_X_EN: 1
; COMPUTE_PGM_RSRC2:TGID_Y_EN: 1
; COMPUTE_PGM_RSRC2:TGID_Z_EN: 1
; COMPUTE_PGM_RSRC2:TIDIG_COMP_CNT: 1
	.section	.text._ZL34rocblas_syrkx_herkx_general_kernelIi19rocblas_complex_numIfELi16ELi32ELi8ELb0ELb0ELc67ELc76EKPKS1_KPS1_EviT_T0_PT8_S7_lSA_S7_lS8_PT9_S7_li,"axG",@progbits,_ZL34rocblas_syrkx_herkx_general_kernelIi19rocblas_complex_numIfELi16ELi32ELi8ELb0ELb0ELc67ELc76EKPKS1_KPS1_EviT_T0_PT8_S7_lSA_S7_lS8_PT9_S7_li,comdat
	.globl	_ZL34rocblas_syrkx_herkx_general_kernelIi19rocblas_complex_numIfELi16ELi32ELi8ELb0ELb0ELc67ELc76EKPKS1_KPS1_EviT_T0_PT8_S7_lSA_S7_lS8_PT9_S7_li ; -- Begin function _ZL34rocblas_syrkx_herkx_general_kernelIi19rocblas_complex_numIfELi16ELi32ELi8ELb0ELb0ELc67ELc76EKPKS1_KPS1_EviT_T0_PT8_S7_lSA_S7_lS8_PT9_S7_li
	.p2align	8
	.type	_ZL34rocblas_syrkx_herkx_general_kernelIi19rocblas_complex_numIfELi16ELi32ELi8ELb0ELb0ELc67ELc76EKPKS1_KPS1_EviT_T0_PT8_S7_lSA_S7_lS8_PT9_S7_li,@function
_ZL34rocblas_syrkx_herkx_general_kernelIi19rocblas_complex_numIfELi16ELi32ELi8ELb0ELb0ELc67ELc76EKPKS1_KPS1_EviT_T0_PT8_S7_lSA_S7_lS8_PT9_S7_li: ; @_ZL34rocblas_syrkx_herkx_general_kernelIi19rocblas_complex_numIfELi16ELi32ELi8ELb0ELb0ELc67ELc76EKPKS1_KPS1_EviT_T0_PT8_S7_lSA_S7_lS8_PT9_S7_li
; %bb.0:
	s_clause 0x1
	s_load_b128 s[4:7], s[0:1], 0x40
	s_load_b64 s[16:17], s[0:1], 0x0
	s_mov_b32 s18, s15
	s_mov_b32 s19, 0
	v_dual_mov_b32 v22, 0 :: v_dual_and_b32 v7, 0x3ff, v0
	s_lshl_b64 s[2:3], s[18:19], 3
	v_bfe_u32 v8, v0, 10, 10
	v_dual_mov_b32 v21, 0 :: v_dual_mov_b32 v20, 0
	v_dual_mov_b32 v19, 0 :: v_dual_mov_b32 v18, 0
	;; [unrolled: 1-line block ×3, first 2 shown]
	v_mov_b32_e32 v15, 0
	s_waitcnt lgkmcnt(0)
	s_add_u32 s6, s6, s2
	s_addc_u32 s7, s7, s3
	s_load_b128 s[8:11], s[0:1], 0x8
	s_load_b64 s[6:7], s[6:7], 0x0
	s_lshl_b32 s12, s13, 5
	s_lshl_b32 s13, s14, 5
	s_cmp_lt_i32 s17, 1
	s_cbranch_scc1 .LBB685_9
; %bb.1:
	s_clause 0x1
	s_load_b64 s[14:15], s[0:1], 0x28
	s_load_b32 s18, s[0:1], 0x18
	v_lshl_add_u32 v0, v8, 4, v7
	s_load_b32 s20, s[0:1], 0x30
	v_and_b32_e32 v9, 7, v7
	v_dual_mov_b32 v17, 0 :: v_dual_lshlrev_b32 v10, 3, v7
	s_delay_alu instid0(VALU_DEP_3) | instskip(SKIP_3) | instid1(VALU_DEP_4)
	v_and_b32_e32 v2, 31, v0
	v_lshrrev_b32_e32 v3, 3, v0
	v_lshrrev_b32_e32 v12, 5, v0
	v_dual_mov_b32 v19, 0 :: v_dual_lshlrev_b32 v4, 3, v9
	v_dual_mov_b32 v16, 0 :: v_dual_add_nc_u32 v5, s12, v2
	s_delay_alu instid0(VALU_DEP_4) | instskip(NEXT) | instid1(VALU_DEP_3)
	v_add_nc_u32_e32 v6, s13, v3
	v_lshl_or_b32 v14, v3, 6, v4
	v_dual_mov_b32 v18, 0 :: v_dual_lshlrev_b32 v15, 3, v12
	v_lshl_add_u32 v11, v8, 6, 0x800
	v_mov_b32_e32 v20, 0
	s_waitcnt lgkmcnt(0)
	s_add_u32 s14, s14, s2
	s_addc_u32 s15, s15, s3
	s_add_u32 s2, s10, s2
	s_addc_u32 s3, s11, s3
	v_mad_i64_i32 v[0:1], null, s18, v5, 0
	s_load_b64 s[10:11], s[2:3], 0x0
	v_or_b32_e32 v5, s12, v2
	v_dual_mov_b32 v21, 0 :: v_dual_lshlrev_b32 v2, 3, v2
	s_load_b64 s[14:15], s[14:15], 0x0
	v_cmp_gt_i32_e64 s2, s16, v6
	s_delay_alu instid0(VALU_DEP_4) | instskip(NEXT) | instid1(VALU_DEP_3)
	v_lshlrev_b64 v[0:1], 3, v[0:1]
	v_lshl_or_b32 v13, v12, 8, v2
	v_mad_i64_i32 v[2:3], null, s20, v6, 0
	v_cmp_gt_i32_e32 vcc_lo, s16, v5
	v_add_nc_u32_e32 v14, 0x800, v14
	v_add_co_u32 v5, s3, v0, v15
	s_delay_alu instid0(VALU_DEP_1) | instskip(SKIP_4) | instid1(VALU_DEP_1)
	v_add_co_ci_u32_e64 v6, s3, 0, v1, s3
	v_lshlrev_b64 v[0:1], 3, v[2:3]
	v_dual_mov_b32 v15, 0 :: v_dual_mov_b32 v22, 0
	s_waitcnt lgkmcnt(0)
	v_add_co_u32 v2, s3, v5, s10
	v_add_co_ci_u32_e64 v3, s3, s11, v6, s3
	s_delay_alu instid0(VALU_DEP_4) | instskip(NEXT) | instid1(VALU_DEP_1)
	v_add_co_u32 v4, s3, v0, v4
	v_add_co_ci_u32_e64 v5, s3, 0, v1, s3
	s_delay_alu instid0(VALU_DEP_4) | instskip(NEXT) | instid1(VALU_DEP_1)
	;; [unrolled: 3-line block ×3, first 2 shown]
	v_add_co_u32 v2, s3, s14, v4
	v_add_co_ci_u32_e64 v3, s3, s15, v5, s3
	v_mov_b32_e32 v4, 0
	s_xor_b32 s3, s2, -1
	s_branch .LBB685_3
.LBB685_2:                              ;   in Loop: Header=BB685_3 Depth=1
	s_or_b32 exec_lo, exec_lo, s2
	s_waitcnt lgkmcnt(0)
	s_barrier
	buffer_gl0_inv
	ds_load_2addr_b64 v[23:26], v10 offset1:16
	ds_load_b128 v[27:30], v11
	ds_load_b128 v[31:34], v11 offset:1024
	ds_load_b128 v[35:38], v11 offset:16
	;; [unrolled: 1-line block ×4, first 2 shown]
	ds_load_2addr_b64 v[47:50], v10 offset0:32 offset1:48
	ds_load_b128 v[51:54], v11 offset:1040
	v_add_co_u32 v0, s2, v0, 64
	s_delay_alu instid0(VALU_DEP_1) | instskip(SKIP_1) | instid1(VALU_DEP_1)
	v_add_co_ci_u32_e64 v1, s2, 0, v1, s2
	v_add_co_u32 v2, s2, v2, 64
	v_add_co_ci_u32_e64 v3, s2, 0, v3, s2
	s_add_i32 s19, s19, 8
	s_delay_alu instid0(SALU_CYCLE_1)
	s_cmp_ge_i32 s19, s17
	s_waitcnt lgkmcnt(6)
	v_dual_mul_f32 v5, v28, v24 :: v_dual_mul_f32 v56, v27, v26
	v_dual_mul_f32 v6, v27, v24 :: v_dual_mul_f32 v55, v28, v26
	s_waitcnt lgkmcnt(5)
	v_mul_f32_e32 v57, v32, v24
	s_delay_alu instid0(VALU_DEP_3)
	v_fma_f32 v5, v27, v23, -v5
	v_fmac_f32_e32 v56, v28, v25
	v_fmac_f32_e32 v6, v28, v23
	v_fma_f32 v27, v27, v25, -v55
	v_mul_f32_e32 v58, v32, v26
	v_mul_f32_e32 v26, v31, v26
	v_fma_f32 v28, v31, v23, -v57
	v_dual_mul_f32 v24, v31, v24 :: v_dual_add_f32 v5, v21, v5
	s_delay_alu instid0(VALU_DEP_3) | instskip(NEXT) | instid1(VALU_DEP_3)
	v_dual_add_f32 v21, v19, v27 :: v_dual_fmac_f32 v26, v32, v25
	v_add_f32_e32 v27, v17, v28
	s_waitcnt lgkmcnt(1)
	v_mul_f32_e32 v28, v30, v48
	v_fmac_f32_e32 v24, v32, v23
	v_fma_f32 v23, v31, v25, -v58
	s_delay_alu instid0(VALU_DEP_3) | instskip(SKIP_1) | instid1(VALU_DEP_3)
	v_fma_f32 v25, v29, v47, -v28
	v_mul_f32_e32 v28, v30, v50
	v_dual_add_f32 v6, v22, v6 :: v_dual_add_f32 v15, v15, v23
	v_mul_f32_e32 v23, v29, v48
	s_delay_alu instid0(VALU_DEP_4) | instskip(NEXT) | instid1(VALU_DEP_4)
	v_dual_add_f32 v5, v5, v25 :: v_dual_add_f32 v22, v20, v56
	v_fma_f32 v25, v29, v49, -v28
	v_add_f32_e32 v24, v18, v24
	ds_load_2addr_b64 v[17:20], v10 offset0:64 offset1:80
	v_fmac_f32_e32 v23, v30, v47
	v_dual_mul_f32 v28, v34, v48 :: v_dual_add_f32 v25, v21, v25
	s_delay_alu instid0(VALU_DEP_2)
	v_dual_add_f32 v6, v6, v23 :: v_dual_mul_f32 v23, v33, v48
	v_add_f32_e32 v16, v16, v26
	v_mul_f32_e32 v26, v29, v50
	v_mul_f32_e32 v29, v33, v50
	v_fma_f32 v21, v33, v47, -v28
	v_fmac_f32_e32 v23, v34, v47
	s_delay_alu instid0(VALU_DEP_3) | instskip(SKIP_1) | instid1(VALU_DEP_4)
	v_fmac_f32_e32 v29, v34, v49
	v_fmac_f32_e32 v26, v30, v49
	v_add_f32_e32 v27, v27, v21
	s_delay_alu instid0(VALU_DEP_2) | instskip(SKIP_2) | instid1(VALU_DEP_1)
	v_dual_add_f32 v29, v16, v29 :: v_dual_add_f32 v26, v22, v26
	s_waitcnt lgkmcnt(0)
	v_mul_f32_e32 v22, v36, v18
	v_fma_f32 v31, v35, v17, -v22
	s_delay_alu instid0(VALU_DEP_1) | instskip(NEXT) | instid1(VALU_DEP_1)
	v_dual_add_f32 v5, v5, v31 :: v_dual_mul_f32 v32, v36, v20
	v_fma_f32 v31, v35, v19, -v32
	s_delay_alu instid0(VALU_DEP_1) | instskip(NEXT) | instid1(VALU_DEP_1)
	v_dual_mul_f32 v28, v34, v50 :: v_dual_add_f32 v25, v25, v31
	v_fma_f32 v21, v33, v49, -v28
	v_add_f32_e32 v28, v24, v23
	v_mul_f32_e32 v16, v35, v20
	v_mul_f32_e32 v31, v52, v20
	;; [unrolled: 1-line block ×3, first 2 shown]
	v_add_f32_e32 v15, v15, v21
	ds_load_2addr_b64 v[21:24], v10 offset0:96 offset1:112
	v_mul_f32_e32 v30, v35, v18
	v_fmac_f32_e32 v16, v36, v19
	v_fmac_f32_e32 v20, v52, v19
	s_delay_alu instid0(VALU_DEP_3) | instskip(NEXT) | instid1(VALU_DEP_3)
	v_fmac_f32_e32 v30, v36, v17
	v_add_f32_e32 v32, v26, v16
	s_delay_alu instid0(VALU_DEP_3) | instskip(SKIP_1) | instid1(VALU_DEP_4)
	v_add_f32_e32 v29, v29, v20
	v_fma_f32 v16, v51, v19, -v31
	v_add_f32_e32 v6, v6, v30
	s_delay_alu instid0(VALU_DEP_2) | instskip(SKIP_3) | instid1(VALU_DEP_3)
	v_dual_mul_f32 v30, v52, v18 :: v_dual_add_f32 v33, v15, v16
	s_waitcnt lgkmcnt(0)
	v_mul_f32_e32 v35, v54, v24
	v_mul_f32_e32 v20, v37, v24
	v_fma_f32 v30, v51, v17, -v30
	v_mul_f32_e32 v19, v38, v22
	s_delay_alu instid0(VALU_DEP_3) | instskip(NEXT) | instid1(VALU_DEP_2)
	v_fmac_f32_e32 v20, v38, v23
	v_fma_f32 v19, v37, v21, -v19
	s_delay_alu instid0(VALU_DEP_2) | instskip(SKIP_2) | instid1(VALU_DEP_4)
	v_add_f32_e32 v36, v32, v20
	v_fma_f32 v20, v53, v23, -v35
	v_dual_add_f32 v30, v27, v30 :: v_dual_mul_f32 v27, v38, v24
	v_add_f32_e32 v5, v5, v19
	v_dual_mul_f32 v19, v54, v22 :: v_dual_mul_f32 v24, v53, v24
	s_delay_alu instid0(VALU_DEP_3) | instskip(NEXT) | instid1(VALU_DEP_2)
	v_fma_f32 v27, v37, v23, -v27
	v_fma_f32 v19, v53, v21, -v19
	s_delay_alu instid0(VALU_DEP_3) | instskip(SKIP_1) | instid1(VALU_DEP_4)
	v_dual_fmac_f32 v24, v54, v23 :: v_dual_add_f32 v23, v33, v20
	v_mul_f32_e32 v18, v51, v18
	v_add_f32_e32 v34, v25, v27
	v_mul_f32_e32 v26, v37, v22
	v_dual_mul_f32 v22, v53, v22 :: v_dual_add_f32 v35, v30, v19
	v_add_f32_e32 v24, v29, v24
	s_delay_alu instid0(VALU_DEP_2) | instskip(SKIP_1) | instid1(VALU_DEP_1)
	v_fmac_f32_e32 v22, v54, v21
	v_fmac_f32_e32 v18, v52, v17
	v_add_f32_e32 v31, v28, v18
	ds_load_2addr_b64 v[15:18], v10 offset0:128 offset1:144
	v_add_f32_e32 v37, v31, v22
	s_waitcnt lgkmcnt(0)
	v_mul_f32_e32 v19, v40, v16
	v_mul_f32_e32 v31, v40, v18
	;; [unrolled: 1-line block ×3, first 2 shown]
	s_delay_alu instid0(VALU_DEP_3)
	v_fma_f32 v30, v39, v15, -v19
	v_fmac_f32_e32 v26, v38, v21
	ds_load_2addr_b64 v[19:22], v10 offset0:160 offset1:176
	v_mul_f32_e32 v38, v39, v18
	v_fma_f32 v39, v39, v17, -v31
	v_add_f32_e32 v5, v5, v30
	v_add_f32_e32 v6, v6, v26
	ds_load_b128 v[25:28], v11 offset:1056
	ds_load_b128 v[29:32], v11 offset:1072
	v_fmac_f32_e32 v38, v40, v17
	v_fmac_f32_e32 v33, v40, v15
	s_delay_alu instid0(VALU_DEP_2) | instskip(SKIP_3) | instid1(VALU_DEP_2)
	v_add_f32_e32 v36, v36, v38
	s_waitcnt lgkmcnt(1)
	v_dual_mul_f32 v38, v25, v18 :: v_dual_mul_f32 v47, v26, v16
	v_mul_f32_e32 v16, v25, v16
	v_fmac_f32_e32 v38, v26, v17
	s_delay_alu instid0(VALU_DEP_1) | instskip(SKIP_1) | instid1(VALU_DEP_1)
	v_add_f32_e32 v38, v24, v38
	v_mul_f32_e32 v24, v41, v22
	v_fmac_f32_e32 v24, v42, v21
	v_add_f32_e32 v6, v6, v33
	v_add_f32_e32 v33, v34, v39
	v_fma_f32 v34, v25, v15, -v47
	v_mul_f32_e32 v39, v26, v18
	v_mul_f32_e32 v18, v42, v20
	s_delay_alu instid0(VALU_DEP_3) | instskip(NEXT) | instid1(VALU_DEP_2)
	v_add_f32_e32 v34, v35, v34
	v_fma_f32 v35, v41, v19, -v18
	s_delay_alu instid0(VALU_DEP_1) | instskip(SKIP_3) | instid1(VALU_DEP_3)
	v_add_f32_e32 v5, v5, v35
	v_fmac_f32_e32 v16, v26, v15
	v_fma_f32 v15, v25, v17, -v39
	v_mul_f32_e32 v26, v41, v20
	v_add_f32_e32 v25, v37, v16
	s_delay_alu instid0(VALU_DEP_3) | instskip(SKIP_3) | instid1(VALU_DEP_2)
	v_add_f32_e32 v23, v23, v15
	ds_load_2addr_b64 v[15:18], v10 offset0:192 offset1:208
	v_mul_f32_e32 v37, v42, v22
	v_fmac_f32_e32 v26, v42, v19
	v_fma_f32 v35, v41, v21, -v37
	s_delay_alu instid0(VALU_DEP_2) | instskip(SKIP_1) | instid1(VALU_DEP_3)
	v_add_f32_e32 v6, v6, v26
	v_mul_f32_e32 v26, v28, v20
	v_dual_mul_f32 v20, v27, v20 :: v_dual_add_f32 v33, v33, v35
	v_mul_f32_e32 v35, v28, v22
	s_delay_alu instid0(VALU_DEP_3) | instskip(NEXT) | instid1(VALU_DEP_3)
	v_fma_f32 v26, v27, v19, -v26
	v_fmac_f32_e32 v20, v28, v19
	v_dual_add_f32 v19, v36, v24 :: v_dual_mul_f32 v22, v27, v22
	s_delay_alu instid0(VALU_DEP_4) | instskip(NEXT) | instid1(VALU_DEP_3)
	v_fma_f32 v24, v27, v21, -v35
	v_dual_add_f32 v27, v34, v26 :: v_dual_add_f32 v20, v25, v20
	s_waitcnt lgkmcnt(0)
	v_mul_f32_e32 v34, v44, v16
	s_delay_alu instid0(VALU_DEP_3)
	v_dual_fmac_f32 v22, v28, v21 :: v_dual_add_f32 v21, v23, v24
	ds_load_2addr_b64 v[23:26], v10 offset0:224 offset1:240
	v_mul_f32_e32 v28, v43, v16
	v_fma_f32 v34, v43, v15, -v34
	v_mul_f32_e32 v35, v44, v18
	v_mul_f32_e32 v36, v43, v18
	s_waitcnt lgkmcnt(0)
	s_delay_alu instid0(VALU_DEP_3) | instskip(SKIP_3) | instid1(VALU_DEP_4)
	v_dual_fmac_f32 v28, v44, v15 :: v_dual_add_f32 v5, v5, v34
	v_mul_f32_e32 v34, v30, v16
	v_fma_f32 v35, v43, v17, -v35
	v_fmac_f32_e32 v36, v44, v17
	v_add_f32_e32 v6, v6, v28
	v_mul_f32_e32 v16, v29, v16
	v_fma_f32 v28, v29, v15, -v34
	v_dual_mul_f32 v34, v30, v18 :: v_dual_add_f32 v33, v33, v35
	s_delay_alu instid0(VALU_DEP_3) | instskip(NEXT) | instid1(VALU_DEP_3)
	v_dual_add_f32 v35, v19, v36 :: v_dual_fmac_f32 v16, v30, v15
	v_dual_add_f32 v15, v27, v28 :: v_dual_mul_f32 v18, v29, v18
	s_delay_alu instid0(VALU_DEP_3) | instskip(SKIP_3) | instid1(VALU_DEP_4)
	v_fma_f32 v19, v29, v17, -v34
	v_mul_f32_e32 v27, v46, v24
	v_mul_f32_e32 v28, v45, v24
	v_add_f32_e32 v16, v20, v16
	v_dual_fmac_f32 v18, v30, v17 :: v_dual_add_f32 v29, v21, v19
	s_delay_alu instid0(VALU_DEP_4)
	v_fma_f32 v17, v45, v23, -v27
	v_mul_f32_e32 v19, v46, v26
	v_fmac_f32_e32 v28, v46, v23
	v_mul_f32_e32 v20, v45, v26
	s_barrier
	v_add_f32_e32 v21, v5, v17
	v_mul_f32_e32 v17, v32, v26
	v_fma_f32 v5, v45, v25, -v19
	v_fmac_f32_e32 v20, v46, v25
	buffer_gl0_inv
	v_dual_add_f32 v19, v33, v5 :: v_dual_add_f32 v22, v38, v22
	s_delay_alu instid0(VALU_DEP_1) | instskip(SKIP_4) | instid1(VALU_DEP_3)
	v_dual_add_f32 v20, v35, v20 :: v_dual_add_f32 v27, v22, v18
	v_add_f32_e32 v22, v6, v28
	v_mul_f32_e32 v6, v32, v24
	v_mul_f32_e32 v18, v31, v24
	;; [unrolled: 1-line block ×3, first 2 shown]
	v_fma_f32 v5, v31, v23, -v6
	s_delay_alu instid0(VALU_DEP_3) | instskip(SKIP_1) | instid1(VALU_DEP_4)
	v_fmac_f32_e32 v18, v32, v23
	v_fma_f32 v6, v31, v25, -v17
	v_fmac_f32_e32 v24, v32, v25
	s_delay_alu instid0(VALU_DEP_3) | instskip(NEXT) | instid1(VALU_DEP_2)
	v_dual_add_f32 v17, v15, v5 :: v_dual_add_f32 v18, v16, v18
	v_dual_add_f32 v15, v29, v6 :: v_dual_add_f32 v16, v27, v24
	s_cbranch_scc1 .LBB685_9
.LBB685_3:                              ; =>This Inner Loop Header: Depth=1
	v_dual_mov_b32 v6, 0 :: v_dual_add_nc_u32 v5, s19, v12
	s_delay_alu instid0(VALU_DEP_1) | instskip(SKIP_1) | instid1(VALU_DEP_2)
	v_cmp_gt_i32_e64 s2, s17, v5
	v_mov_b32_e32 v5, 0
	s_and_b32 s10, vcc_lo, s2
	s_delay_alu instid0(SALU_CYCLE_1)
	s_and_saveexec_b32 s2, s10
	s_cbranch_execz .LBB685_5
; %bb.4:                                ;   in Loop: Header=BB685_3 Depth=1
	global_load_b64 v[5:6], v[0:1], off offset:-4
.LBB685_5:                              ;   in Loop: Header=BB685_3 Depth=1
	s_or_b32 exec_lo, exec_lo, s2
	v_add_nc_u32_e32 v23, s19, v9
	s_waitcnt vmcnt(0)
	ds_store_b64 v13, v[5:6]
	v_cmp_le_i32_e64 s2, s17, v23
	s_delay_alu instid0(VALU_DEP_1) | instskip(NEXT) | instid1(SALU_CYCLE_1)
	s_or_b32 s2, s2, s3
	s_and_saveexec_b32 s10, s2
	s_delay_alu instid0(SALU_CYCLE_1)
	s_xor_b32 s2, exec_lo, s10
	s_cbranch_execz .LBB685_7
; %bb.6:                                ;   in Loop: Header=BB685_3 Depth=1
	v_mov_b32_e32 v5, v4
	ds_store_b64 v14, v[4:5]
.LBB685_7:                              ;   in Loop: Header=BB685_3 Depth=1
	s_and_not1_saveexec_b32 s2, s2
	s_cbranch_execz .LBB685_2
; %bb.8:                                ;   in Loop: Header=BB685_3 Depth=1
	global_load_b64 v[5:6], v[2:3], off
	s_waitcnt vmcnt(0)
	ds_store_b64 v14, v[5:6]
	s_branch .LBB685_2
.LBB685_9:
	s_load_b32 s2, s[0:1], 0x50
	v_add_nc_u32_e32 v4, s13, v8
	v_add_nc_u32_e32 v0, s12, v7
	s_delay_alu instid0(VALU_DEP_1) | instskip(SKIP_1) | instid1(VALU_DEP_2)
	v_cmp_le_i32_e64 s0, v4, v0
	v_cmp_gt_i32_e32 vcc_lo, s16, v0
	s_and_b32 s0, s0, vcc_lo
	s_waitcnt lgkmcnt(0)
	v_mad_i64_i32 v[1:2], null, v4, s2, 0
	s_delay_alu instid0(VALU_DEP_1) | instskip(NEXT) | instid1(VALU_DEP_1)
	v_lshlrev_b64 v[1:2], 3, v[1:2]
	v_add_co_u32 v5, s1, s6, v1
	s_delay_alu instid0(VALU_DEP_1)
	v_add_co_ci_u32_e64 v6, s1, s7, v2, s1
	s_and_saveexec_b32 s1, s0
	s_cbranch_execz .LBB685_11
; %bb.10:
	v_ashrrev_i32_e32 v1, 31, v0
	s_delay_alu instid0(VALU_DEP_1) | instskip(NEXT) | instid1(VALU_DEP_1)
	v_lshlrev_b64 v[1:2], 3, v[0:1]
	v_add_co_u32 v1, s0, v5, v1
	s_delay_alu instid0(VALU_DEP_1)
	v_add_co_ci_u32_e64 v2, s0, v6, v2, s0
	global_load_b64 v[7:8], v[1:2], off
	v_mul_f32_e32 v3, s9, v22
	s_waitcnt vmcnt(0)
	v_dual_mul_f32 v9, s8, v22 :: v_dual_mul_f32 v10, s5, v8
	v_mul_f32_e32 v8, s4, v8
	s_delay_alu instid0(VALU_DEP_3) | instskip(NEXT) | instid1(VALU_DEP_3)
	v_fma_f32 v3, v21, s8, -v3
	v_fmac_f32_e32 v9, s9, v21
	s_delay_alu instid0(VALU_DEP_4) | instskip(NEXT) | instid1(VALU_DEP_1)
	v_fma_f32 v10, v7, s4, -v10
	v_dual_fmac_f32 v8, s5, v7 :: v_dual_add_f32 v7, v3, v10
	s_delay_alu instid0(VALU_DEP_1)
	v_add_f32_e32 v8, v9, v8
	global_store_b64 v[1:2], v[7:8], off
.LBB685_11:
	s_or_b32 exec_lo, exec_lo, s1
	v_add_nc_u32_e32 v2, 16, v0
	s_delay_alu instid0(VALU_DEP_1) | instskip(SKIP_1) | instid1(VALU_DEP_1)
	v_cmp_le_i32_e64 s1, v4, v2
	v_cmp_gt_i32_e64 s0, s16, v2
	s_and_b32 s1, s1, s0
	s_delay_alu instid0(SALU_CYCLE_1)
	s_and_saveexec_b32 s3, s1
	s_cbranch_execz .LBB685_13
; %bb.12:
	v_ashrrev_i32_e32 v3, 31, v2
	s_delay_alu instid0(VALU_DEP_1) | instskip(SKIP_1) | instid1(VALU_DEP_2)
	v_lshlrev_b64 v[7:8], 3, v[2:3]
	v_mul_f32_e32 v3, s8, v20
	v_add_co_u32 v5, s1, v5, v7
	s_delay_alu instid0(VALU_DEP_1) | instskip(NEXT) | instid1(VALU_DEP_3)
	v_add_co_ci_u32_e64 v6, s1, v6, v8, s1
	v_fmac_f32_e32 v3, s9, v19
	global_load_b64 v[7:8], v[5:6], off
	s_waitcnt vmcnt(0)
	v_mul_f32_e32 v9, s5, v8
	v_mul_f32_e32 v8, s4, v8
	;; [unrolled: 1-line block ×3, first 2 shown]
	s_delay_alu instid0(VALU_DEP_3) | instskip(NEXT) | instid1(VALU_DEP_3)
	v_fma_f32 v9, v7, s4, -v9
	v_fmac_f32_e32 v8, s5, v7
	s_delay_alu instid0(VALU_DEP_3) | instskip(NEXT) | instid1(VALU_DEP_1)
	v_fma_f32 v1, v19, s8, -v1
	v_dual_add_f32 v8, v3, v8 :: v_dual_add_f32 v7, v1, v9
	global_store_b64 v[5:6], v[7:8], off
.LBB685_13:
	s_or_b32 exec_lo, exec_lo, s3
	v_add_nc_u32_e32 v3, 16, v4
	s_delay_alu instid0(VALU_DEP_1) | instskip(SKIP_1) | instid1(VALU_DEP_2)
	v_mad_i64_i32 v[4:5], null, v3, s2, 0
	v_cmp_le_i32_e64 s1, v3, v0
	v_lshlrev_b64 v[4:5], 3, v[4:5]
	s_delay_alu instid0(VALU_DEP_1) | instskip(NEXT) | instid1(VALU_DEP_1)
	v_add_co_u32 v4, s2, s6, v4
	v_add_co_ci_u32_e64 v5, s2, s7, v5, s2
	s_delay_alu instid0(VALU_DEP_4) | instskip(NEXT) | instid1(SALU_CYCLE_1)
	s_and_b32 s2, s1, vcc_lo
	s_and_saveexec_b32 s1, s2
	s_cbranch_execz .LBB685_15
; %bb.14:
	v_ashrrev_i32_e32 v1, 31, v0
	s_delay_alu instid0(VALU_DEP_1) | instskip(NEXT) | instid1(VALU_DEP_1)
	v_lshlrev_b64 v[0:1], 3, v[0:1]
	v_add_co_u32 v0, vcc_lo, v4, v0
	s_delay_alu instid0(VALU_DEP_2)
	v_add_co_ci_u32_e32 v1, vcc_lo, v5, v1, vcc_lo
	global_load_b64 v[6:7], v[0:1], off
	v_mul_f32_e32 v8, s9, v18
	s_waitcnt vmcnt(0)
	v_dual_mul_f32 v9, s8, v18 :: v_dual_mul_f32 v10, s5, v7
	v_mul_f32_e32 v7, s4, v7
	s_delay_alu instid0(VALU_DEP_3) | instskip(NEXT) | instid1(VALU_DEP_3)
	v_fma_f32 v8, v17, s8, -v8
	v_fma_f32 v10, v6, s4, -v10
	s_delay_alu instid0(VALU_DEP_4) | instskip(NEXT) | instid1(VALU_DEP_4)
	v_fmac_f32_e32 v9, s9, v17
	v_fmac_f32_e32 v7, s5, v6
	s_delay_alu instid0(VALU_DEP_1)
	v_dual_add_f32 v6, v8, v10 :: v_dual_add_f32 v7, v9, v7
	global_store_b64 v[0:1], v[6:7], off
.LBB685_15:
	s_or_b32 exec_lo, exec_lo, s1
	v_cmp_le_i32_e32 vcc_lo, v3, v2
	s_and_b32 s0, vcc_lo, s0
	s_delay_alu instid0(SALU_CYCLE_1)
	s_and_saveexec_b32 s1, s0
	s_cbranch_execz .LBB685_17
; %bb.16:
	v_ashrrev_i32_e32 v3, 31, v2
	s_delay_alu instid0(VALU_DEP_1) | instskip(NEXT) | instid1(VALU_DEP_1)
	v_lshlrev_b64 v[0:1], 3, v[2:3]
	v_add_co_u32 v0, vcc_lo, v4, v0
	s_delay_alu instid0(VALU_DEP_2)
	v_add_co_ci_u32_e32 v1, vcc_lo, v5, v1, vcc_lo
	global_load_b64 v[2:3], v[0:1], off
	v_mul_f32_e32 v4, s9, v16
	s_waitcnt vmcnt(0)
	v_dual_mul_f32 v5, s8, v16 :: v_dual_mul_f32 v6, s5, v3
	v_mul_f32_e32 v3, s4, v3
	s_delay_alu instid0(VALU_DEP_3) | instskip(NEXT) | instid1(VALU_DEP_3)
	v_fma_f32 v4, v15, s8, -v4
	v_fma_f32 v6, v2, s4, -v6
	s_delay_alu instid0(VALU_DEP_4) | instskip(NEXT) | instid1(VALU_DEP_4)
	v_fmac_f32_e32 v5, s9, v15
	v_fmac_f32_e32 v3, s5, v2
	s_delay_alu instid0(VALU_DEP_1)
	v_dual_add_f32 v2, v4, v6 :: v_dual_add_f32 v3, v5, v3
	global_store_b64 v[0:1], v[2:3], off
.LBB685_17:
	s_nop 0
	s_sendmsg sendmsg(MSG_DEALLOC_VGPRS)
	s_endpgm
	.section	.rodata,"a",@progbits
	.p2align	6, 0x0
	.amdhsa_kernel _ZL34rocblas_syrkx_herkx_general_kernelIi19rocblas_complex_numIfELi16ELi32ELi8ELb0ELb0ELc67ELc76EKPKS1_KPS1_EviT_T0_PT8_S7_lSA_S7_lS8_PT9_S7_li
		.amdhsa_group_segment_fixed_size 4096
		.amdhsa_private_segment_fixed_size 0
		.amdhsa_kernarg_size 100
		.amdhsa_user_sgpr_count 13
		.amdhsa_user_sgpr_dispatch_ptr 0
		.amdhsa_user_sgpr_queue_ptr 0
		.amdhsa_user_sgpr_kernarg_segment_ptr 1
		.amdhsa_user_sgpr_dispatch_id 0
		.amdhsa_user_sgpr_private_segment_size 0
		.amdhsa_wavefront_size32 1
		.amdhsa_uses_dynamic_stack 0
		.amdhsa_enable_private_segment 0
		.amdhsa_system_sgpr_workgroup_id_x 1
		.amdhsa_system_sgpr_workgroup_id_y 1
		.amdhsa_system_sgpr_workgroup_id_z 1
		.amdhsa_system_sgpr_workgroup_info 0
		.amdhsa_system_vgpr_workitem_id 1
		.amdhsa_next_free_vgpr 59
		.amdhsa_next_free_sgpr 21
		.amdhsa_reserve_vcc 1
		.amdhsa_float_round_mode_32 0
		.amdhsa_float_round_mode_16_64 0
		.amdhsa_float_denorm_mode_32 3
		.amdhsa_float_denorm_mode_16_64 3
		.amdhsa_dx10_clamp 1
		.amdhsa_ieee_mode 1
		.amdhsa_fp16_overflow 0
		.amdhsa_workgroup_processor_mode 1
		.amdhsa_memory_ordered 1
		.amdhsa_forward_progress 0
		.amdhsa_shared_vgpr_count 0
		.amdhsa_exception_fp_ieee_invalid_op 0
		.amdhsa_exception_fp_denorm_src 0
		.amdhsa_exception_fp_ieee_div_zero 0
		.amdhsa_exception_fp_ieee_overflow 0
		.amdhsa_exception_fp_ieee_underflow 0
		.amdhsa_exception_fp_ieee_inexact 0
		.amdhsa_exception_int_div_zero 0
	.end_amdhsa_kernel
	.section	.text._ZL34rocblas_syrkx_herkx_general_kernelIi19rocblas_complex_numIfELi16ELi32ELi8ELb0ELb0ELc67ELc76EKPKS1_KPS1_EviT_T0_PT8_S7_lSA_S7_lS8_PT9_S7_li,"axG",@progbits,_ZL34rocblas_syrkx_herkx_general_kernelIi19rocblas_complex_numIfELi16ELi32ELi8ELb0ELb0ELc67ELc76EKPKS1_KPS1_EviT_T0_PT8_S7_lSA_S7_lS8_PT9_S7_li,comdat
.Lfunc_end685:
	.size	_ZL34rocblas_syrkx_herkx_general_kernelIi19rocblas_complex_numIfELi16ELi32ELi8ELb0ELb0ELc67ELc76EKPKS1_KPS1_EviT_T0_PT8_S7_lSA_S7_lS8_PT9_S7_li, .Lfunc_end685-_ZL34rocblas_syrkx_herkx_general_kernelIi19rocblas_complex_numIfELi16ELi32ELi8ELb0ELb0ELc67ELc76EKPKS1_KPS1_EviT_T0_PT8_S7_lSA_S7_lS8_PT9_S7_li
                                        ; -- End function
	.section	.AMDGPU.csdata,"",@progbits
; Kernel info:
; codeLenInByte = 2592
; NumSgprs: 23
; NumVgprs: 59
; ScratchSize: 0
; MemoryBound: 1
; FloatMode: 240
; IeeeMode: 1
; LDSByteSize: 4096 bytes/workgroup (compile time only)
; SGPRBlocks: 2
; VGPRBlocks: 7
; NumSGPRsForWavesPerEU: 23
; NumVGPRsForWavesPerEU: 59
; Occupancy: 16
; WaveLimiterHint : 1
; COMPUTE_PGM_RSRC2:SCRATCH_EN: 0
; COMPUTE_PGM_RSRC2:USER_SGPR: 13
; COMPUTE_PGM_RSRC2:TRAP_HANDLER: 0
; COMPUTE_PGM_RSRC2:TGID_X_EN: 1
; COMPUTE_PGM_RSRC2:TGID_Y_EN: 1
; COMPUTE_PGM_RSRC2:TGID_Z_EN: 1
; COMPUTE_PGM_RSRC2:TIDIG_COMP_CNT: 1
	.section	.text._ZL34rocblas_syrkx_herkx_general_kernelIi19rocblas_complex_numIfELi16ELi32ELi8ELb0ELb0ELc78ELc76EKPKS1_KPS1_EviT_T0_PT8_S7_lSA_S7_lS8_PT9_S7_li,"axG",@progbits,_ZL34rocblas_syrkx_herkx_general_kernelIi19rocblas_complex_numIfELi16ELi32ELi8ELb0ELb0ELc78ELc76EKPKS1_KPS1_EviT_T0_PT8_S7_lSA_S7_lS8_PT9_S7_li,comdat
	.globl	_ZL34rocblas_syrkx_herkx_general_kernelIi19rocblas_complex_numIfELi16ELi32ELi8ELb0ELb0ELc78ELc76EKPKS1_KPS1_EviT_T0_PT8_S7_lSA_S7_lS8_PT9_S7_li ; -- Begin function _ZL34rocblas_syrkx_herkx_general_kernelIi19rocblas_complex_numIfELi16ELi32ELi8ELb0ELb0ELc78ELc76EKPKS1_KPS1_EviT_T0_PT8_S7_lSA_S7_lS8_PT9_S7_li
	.p2align	8
	.type	_ZL34rocblas_syrkx_herkx_general_kernelIi19rocblas_complex_numIfELi16ELi32ELi8ELb0ELb0ELc78ELc76EKPKS1_KPS1_EviT_T0_PT8_S7_lSA_S7_lS8_PT9_S7_li,@function
_ZL34rocblas_syrkx_herkx_general_kernelIi19rocblas_complex_numIfELi16ELi32ELi8ELb0ELb0ELc78ELc76EKPKS1_KPS1_EviT_T0_PT8_S7_lSA_S7_lS8_PT9_S7_li: ; @_ZL34rocblas_syrkx_herkx_general_kernelIi19rocblas_complex_numIfELi16ELi32ELi8ELb0ELb0ELc78ELc76EKPKS1_KPS1_EviT_T0_PT8_S7_lSA_S7_lS8_PT9_S7_li
; %bb.0:
	s_clause 0x1
	s_load_b128 s[4:7], s[0:1], 0x40
	s_load_b64 s[16:17], s[0:1], 0x0
	s_mov_b32 s18, s15
	s_mov_b32 s19, 0
	v_dual_mov_b32 v22, 0 :: v_dual_and_b32 v7, 0x3ff, v0
	s_lshl_b64 s[20:21], s[18:19], 3
	v_bfe_u32 v8, v0, 10, 10
	v_dual_mov_b32 v21, 0 :: v_dual_mov_b32 v20, 0
	v_dual_mov_b32 v19, 0 :: v_dual_mov_b32 v18, 0
	;; [unrolled: 1-line block ×3, first 2 shown]
	v_mov_b32_e32 v15, 0
	s_waitcnt lgkmcnt(0)
	s_add_u32 s2, s6, s20
	s_addc_u32 s3, s7, s21
	s_load_b128 s[8:11], s[0:1], 0x8
	s_load_b64 s[6:7], s[2:3], 0x0
	s_lshl_b32 s18, s13, 5
	s_lshl_b32 s22, s14, 5
	s_cmp_lt_i32 s17, 1
	s_cbranch_scc1 .LBB686_9
; %bb.1:
	s_clause 0x2
	s_load_b32 s12, s[0:1], 0x18
	s_load_b32 s14, s[0:1], 0x30
	s_load_b64 s[24:25], s[0:1], 0x28
	v_lshl_add_u32 v0, v8, 4, v7
	v_and_b32_e32 v9, 7, v7
	v_dual_mov_b32 v22, 0 :: v_dual_lshlrev_b32 v13, 3, v7
	s_delay_alu instid0(VALU_DEP_3) | instskip(SKIP_3) | instid1(VALU_DEP_4)
	v_dual_mov_b32 v18, 0 :: v_dual_and_b32 v1, 31, v0
	v_lshrrev_b32_e32 v2, 3, v0
	v_lshrrev_b32_e32 v10, 5, v0
	v_dual_mov_b32 v20, 0 :: v_dual_lshlrev_b32 v3, 3, v9
	v_or_b32_e32 v4, s18, v1
	v_lshlrev_b32_e32 v5, 3, v1
	v_add_nc_u32_e32 v0, s22, v2
	s_delay_alu instid0(VALU_DEP_4)
	v_lshl_or_b32 v3, v2, 6, v3
	v_dual_mov_b32 v17, 0 :: v_dual_add_nc_u32 v2, s18, v1
	v_cmp_gt_i32_e64 s2, s16, v4
	s_waitcnt lgkmcnt(0)
	s_ashr_i32 s13, s12, 31
	s_ashr_i32 s15, s14, 31
	s_add_u32 s24, s24, s20
	s_addc_u32 s25, s25, s21
	s_add_u32 s10, s10, s20
	v_lshl_or_b32 v11, v10, 8, v5
	v_mad_i64_i32 v[4:5], null, s14, v9, 0
	s_addc_u32 s11, s11, s21
	s_load_b64 s[20:21], s[24:25], 0x0
	s_load_b64 s[10:11], s[10:11], 0x0
	v_ashrrev_i32_e32 v1, 31, v0
	v_mad_i64_i32 v[15:16], null, v10, s12, 0
	v_dual_mov_b32 v19, 0 :: v_dual_add_nc_u32 v12, 0x800, v3
	v_ashrrev_i32_e32 v3, 31, v2
	v_cmp_gt_i32_e32 vcc_lo, s16, v0
	v_lshlrev_b64 v[4:5], 3, v[4:5]
	v_lshlrev_b64 v[0:1], 3, v[0:1]
	;; [unrolled: 1-line block ×4, first 2 shown]
	v_lshl_add_u32 v14, v8, 6, 0x800
	v_mov_b32_e32 v21, 0
	v_add_co_u32 v0, s3, v4, v0
	s_delay_alu instid0(VALU_DEP_1) | instskip(SKIP_1) | instid1(VALU_DEP_1)
	v_add_co_ci_u32_e64 v1, s3, v5, v1, s3
	v_add_co_u32 v2, s3, v15, v2
	v_add_co_ci_u32_e64 v3, s3, v16, v3, s3
	s_waitcnt lgkmcnt(0)
	v_add_co_u32 v4, s3, v0, s20
	s_delay_alu instid0(VALU_DEP_1) | instskip(SKIP_1) | instid1(VALU_DEP_1)
	v_add_co_ci_u32_e64 v5, s3, s21, v1, s3
	v_add_co_u32 v0, s3, s10, v2
	v_add_co_ci_u32_e64 v1, s3, s11, v3, s3
	s_delay_alu instid0(VALU_DEP_4) | instskip(NEXT) | instid1(VALU_DEP_1)
	v_add_co_u32 v2, s3, v4, 4
	v_add_co_ci_u32_e64 v3, s3, 0, v5, s3
	v_mov_b32_e32 v4, 0
	v_dual_mov_b32 v16, 0 :: v_dual_mov_b32 v15, 0
	s_lshl_b64 s[10:11], s[12:13], 6
	s_lshl_b64 s[12:13], s[14:15], 6
	s_xor_b32 s3, s2, -1
	s_branch .LBB686_3
.LBB686_2:                              ;   in Loop: Header=BB686_3 Depth=1
	s_or_b32 exec_lo, exec_lo, s2
	s_waitcnt vmcnt(0)
	ds_store_b64 v12, v[5:6]
	s_waitcnt lgkmcnt(0)
	s_barrier
	buffer_gl0_inv
	ds_load_2addr_b64 v[23:26], v13 offset1:16
	ds_load_b128 v[27:30], v14
	ds_load_b128 v[31:34], v14 offset:1024
	ds_load_b128 v[35:38], v14 offset:16
	;; [unrolled: 1-line block ×4, first 2 shown]
	ds_load_2addr_b64 v[47:50], v13 offset0:32 offset1:48
	ds_load_b128 v[51:54], v14 offset:1040
	v_add_co_u32 v0, s2, v0, s10
	s_delay_alu instid0(VALU_DEP_1) | instskip(SKIP_1) | instid1(VALU_DEP_1)
	v_add_co_ci_u32_e64 v1, s2, s11, v1, s2
	v_add_co_u32 v2, s2, v2, s12
	v_add_co_ci_u32_e64 v3, s2, s13, v3, s2
	s_add_i32 s19, s19, 8
	s_delay_alu instid0(SALU_CYCLE_1)
	s_cmp_ge_i32 s19, s17
	s_waitcnt lgkmcnt(6)
	v_dual_mul_f32 v5, v28, v24 :: v_dual_mul_f32 v56, v27, v26
	v_dual_mul_f32 v6, v27, v24 :: v_dual_mul_f32 v55, v28, v26
	s_waitcnt lgkmcnt(5)
	v_mul_f32_e32 v57, v32, v24
	s_delay_alu instid0(VALU_DEP_3)
	v_fma_f32 v5, v27, v23, -v5
	v_fmac_f32_e32 v56, v28, v25
	v_fmac_f32_e32 v6, v28, v23
	v_fma_f32 v27, v27, v25, -v55
	v_mul_f32_e32 v58, v32, v26
	v_mul_f32_e32 v26, v31, v26
	v_fma_f32 v28, v31, v23, -v57
	v_dual_mul_f32 v24, v31, v24 :: v_dual_add_f32 v5, v21, v5
	s_delay_alu instid0(VALU_DEP_3) | instskip(NEXT) | instid1(VALU_DEP_3)
	v_dual_add_f32 v21, v19, v27 :: v_dual_fmac_f32 v26, v32, v25
	v_add_f32_e32 v27, v17, v28
	s_waitcnt lgkmcnt(1)
	v_mul_f32_e32 v28, v30, v48
	v_fmac_f32_e32 v24, v32, v23
	v_fma_f32 v23, v31, v25, -v58
	s_delay_alu instid0(VALU_DEP_3) | instskip(SKIP_1) | instid1(VALU_DEP_3)
	v_fma_f32 v25, v29, v47, -v28
	v_mul_f32_e32 v28, v30, v50
	v_dual_add_f32 v6, v22, v6 :: v_dual_add_f32 v15, v15, v23
	v_mul_f32_e32 v23, v29, v48
	s_delay_alu instid0(VALU_DEP_4) | instskip(NEXT) | instid1(VALU_DEP_4)
	v_dual_add_f32 v5, v5, v25 :: v_dual_add_f32 v22, v20, v56
	v_fma_f32 v25, v29, v49, -v28
	v_add_f32_e32 v24, v18, v24
	ds_load_2addr_b64 v[17:20], v13 offset0:64 offset1:80
	v_fmac_f32_e32 v23, v30, v47
	v_dual_mul_f32 v28, v34, v48 :: v_dual_add_f32 v25, v21, v25
	s_delay_alu instid0(VALU_DEP_2)
	v_dual_add_f32 v6, v6, v23 :: v_dual_mul_f32 v23, v33, v48
	v_add_f32_e32 v16, v16, v26
	v_mul_f32_e32 v26, v29, v50
	v_mul_f32_e32 v29, v33, v50
	v_fma_f32 v21, v33, v47, -v28
	v_fmac_f32_e32 v23, v34, v47
	s_delay_alu instid0(VALU_DEP_3) | instskip(SKIP_1) | instid1(VALU_DEP_4)
	v_fmac_f32_e32 v29, v34, v49
	v_fmac_f32_e32 v26, v30, v49
	v_add_f32_e32 v27, v27, v21
	s_delay_alu instid0(VALU_DEP_2) | instskip(SKIP_2) | instid1(VALU_DEP_1)
	v_dual_add_f32 v29, v16, v29 :: v_dual_add_f32 v26, v22, v26
	s_waitcnt lgkmcnt(0)
	v_mul_f32_e32 v22, v36, v18
	v_fma_f32 v31, v35, v17, -v22
	s_delay_alu instid0(VALU_DEP_1) | instskip(NEXT) | instid1(VALU_DEP_1)
	v_dual_add_f32 v5, v5, v31 :: v_dual_mul_f32 v32, v36, v20
	v_fma_f32 v31, v35, v19, -v32
	s_delay_alu instid0(VALU_DEP_1) | instskip(NEXT) | instid1(VALU_DEP_1)
	v_dual_mul_f32 v28, v34, v50 :: v_dual_add_f32 v25, v25, v31
	v_fma_f32 v21, v33, v49, -v28
	v_add_f32_e32 v28, v24, v23
	v_mul_f32_e32 v16, v35, v20
	v_mul_f32_e32 v31, v52, v20
	;; [unrolled: 1-line block ×3, first 2 shown]
	v_add_f32_e32 v15, v15, v21
	ds_load_2addr_b64 v[21:24], v13 offset0:96 offset1:112
	v_mul_f32_e32 v30, v35, v18
	v_fmac_f32_e32 v16, v36, v19
	v_fmac_f32_e32 v20, v52, v19
	s_delay_alu instid0(VALU_DEP_3) | instskip(NEXT) | instid1(VALU_DEP_3)
	v_fmac_f32_e32 v30, v36, v17
	v_add_f32_e32 v32, v26, v16
	s_delay_alu instid0(VALU_DEP_3) | instskip(SKIP_1) | instid1(VALU_DEP_4)
	v_add_f32_e32 v29, v29, v20
	v_fma_f32 v16, v51, v19, -v31
	v_add_f32_e32 v6, v6, v30
	s_delay_alu instid0(VALU_DEP_2) | instskip(SKIP_3) | instid1(VALU_DEP_3)
	v_dual_mul_f32 v30, v52, v18 :: v_dual_add_f32 v33, v15, v16
	s_waitcnt lgkmcnt(0)
	v_mul_f32_e32 v35, v54, v24
	v_mul_f32_e32 v20, v37, v24
	v_fma_f32 v30, v51, v17, -v30
	v_mul_f32_e32 v19, v38, v22
	s_delay_alu instid0(VALU_DEP_3) | instskip(NEXT) | instid1(VALU_DEP_2)
	v_fmac_f32_e32 v20, v38, v23
	v_fma_f32 v19, v37, v21, -v19
	s_delay_alu instid0(VALU_DEP_2) | instskip(SKIP_2) | instid1(VALU_DEP_4)
	v_add_f32_e32 v36, v32, v20
	v_fma_f32 v20, v53, v23, -v35
	v_dual_add_f32 v30, v27, v30 :: v_dual_mul_f32 v27, v38, v24
	v_add_f32_e32 v5, v5, v19
	v_dual_mul_f32 v19, v54, v22 :: v_dual_mul_f32 v24, v53, v24
	s_delay_alu instid0(VALU_DEP_3) | instskip(NEXT) | instid1(VALU_DEP_2)
	v_fma_f32 v27, v37, v23, -v27
	v_fma_f32 v19, v53, v21, -v19
	s_delay_alu instid0(VALU_DEP_3) | instskip(SKIP_1) | instid1(VALU_DEP_4)
	v_dual_fmac_f32 v24, v54, v23 :: v_dual_add_f32 v23, v33, v20
	v_mul_f32_e32 v18, v51, v18
	v_add_f32_e32 v34, v25, v27
	v_mul_f32_e32 v26, v37, v22
	v_dual_mul_f32 v22, v53, v22 :: v_dual_add_f32 v35, v30, v19
	v_add_f32_e32 v24, v29, v24
	s_delay_alu instid0(VALU_DEP_2) | instskip(SKIP_1) | instid1(VALU_DEP_1)
	v_fmac_f32_e32 v22, v54, v21
	v_fmac_f32_e32 v18, v52, v17
	v_add_f32_e32 v31, v28, v18
	ds_load_2addr_b64 v[15:18], v13 offset0:128 offset1:144
	v_add_f32_e32 v37, v31, v22
	s_waitcnt lgkmcnt(0)
	v_mul_f32_e32 v19, v40, v16
	v_mul_f32_e32 v31, v40, v18
	;; [unrolled: 1-line block ×3, first 2 shown]
	s_delay_alu instid0(VALU_DEP_3)
	v_fma_f32 v30, v39, v15, -v19
	v_fmac_f32_e32 v26, v38, v21
	ds_load_2addr_b64 v[19:22], v13 offset0:160 offset1:176
	v_mul_f32_e32 v38, v39, v18
	v_fma_f32 v39, v39, v17, -v31
	v_add_f32_e32 v5, v5, v30
	v_add_f32_e32 v6, v6, v26
	ds_load_b128 v[25:28], v14 offset:1056
	ds_load_b128 v[29:32], v14 offset:1072
	v_fmac_f32_e32 v38, v40, v17
	v_fmac_f32_e32 v33, v40, v15
	s_delay_alu instid0(VALU_DEP_2) | instskip(SKIP_3) | instid1(VALU_DEP_2)
	v_add_f32_e32 v36, v36, v38
	s_waitcnt lgkmcnt(1)
	v_dual_mul_f32 v38, v25, v18 :: v_dual_mul_f32 v47, v26, v16
	v_mul_f32_e32 v16, v25, v16
	v_fmac_f32_e32 v38, v26, v17
	s_delay_alu instid0(VALU_DEP_1) | instskip(SKIP_1) | instid1(VALU_DEP_1)
	v_add_f32_e32 v38, v24, v38
	v_mul_f32_e32 v24, v41, v22
	v_fmac_f32_e32 v24, v42, v21
	v_add_f32_e32 v6, v6, v33
	v_add_f32_e32 v33, v34, v39
	v_fma_f32 v34, v25, v15, -v47
	v_mul_f32_e32 v39, v26, v18
	v_mul_f32_e32 v18, v42, v20
	s_delay_alu instid0(VALU_DEP_3) | instskip(NEXT) | instid1(VALU_DEP_2)
	v_add_f32_e32 v34, v35, v34
	v_fma_f32 v35, v41, v19, -v18
	s_delay_alu instid0(VALU_DEP_1) | instskip(SKIP_3) | instid1(VALU_DEP_3)
	v_add_f32_e32 v5, v5, v35
	v_fmac_f32_e32 v16, v26, v15
	v_fma_f32 v15, v25, v17, -v39
	v_mul_f32_e32 v26, v41, v20
	v_add_f32_e32 v25, v37, v16
	s_delay_alu instid0(VALU_DEP_3) | instskip(SKIP_3) | instid1(VALU_DEP_2)
	v_add_f32_e32 v23, v23, v15
	ds_load_2addr_b64 v[15:18], v13 offset0:192 offset1:208
	v_mul_f32_e32 v37, v42, v22
	v_fmac_f32_e32 v26, v42, v19
	v_fma_f32 v35, v41, v21, -v37
	s_delay_alu instid0(VALU_DEP_2) | instskip(SKIP_1) | instid1(VALU_DEP_3)
	v_add_f32_e32 v6, v6, v26
	v_mul_f32_e32 v26, v28, v20
	v_dual_mul_f32 v20, v27, v20 :: v_dual_add_f32 v33, v33, v35
	v_mul_f32_e32 v35, v28, v22
	s_delay_alu instid0(VALU_DEP_3) | instskip(NEXT) | instid1(VALU_DEP_3)
	v_fma_f32 v26, v27, v19, -v26
	v_fmac_f32_e32 v20, v28, v19
	v_dual_add_f32 v19, v36, v24 :: v_dual_mul_f32 v22, v27, v22
	s_delay_alu instid0(VALU_DEP_4) | instskip(NEXT) | instid1(VALU_DEP_3)
	v_fma_f32 v24, v27, v21, -v35
	v_dual_add_f32 v27, v34, v26 :: v_dual_add_f32 v20, v25, v20
	s_waitcnt lgkmcnt(0)
	v_mul_f32_e32 v34, v44, v16
	s_delay_alu instid0(VALU_DEP_3)
	v_dual_fmac_f32 v22, v28, v21 :: v_dual_add_f32 v21, v23, v24
	ds_load_2addr_b64 v[23:26], v13 offset0:224 offset1:240
	v_mul_f32_e32 v28, v43, v16
	v_fma_f32 v34, v43, v15, -v34
	v_mul_f32_e32 v35, v44, v18
	v_mul_f32_e32 v36, v43, v18
	s_waitcnt lgkmcnt(0)
	s_delay_alu instid0(VALU_DEP_3) | instskip(SKIP_3) | instid1(VALU_DEP_4)
	v_dual_fmac_f32 v28, v44, v15 :: v_dual_add_f32 v5, v5, v34
	v_mul_f32_e32 v34, v30, v16
	v_fma_f32 v35, v43, v17, -v35
	v_fmac_f32_e32 v36, v44, v17
	v_add_f32_e32 v6, v6, v28
	v_mul_f32_e32 v16, v29, v16
	v_fma_f32 v28, v29, v15, -v34
	v_dual_mul_f32 v34, v30, v18 :: v_dual_add_f32 v33, v33, v35
	s_delay_alu instid0(VALU_DEP_3) | instskip(NEXT) | instid1(VALU_DEP_3)
	v_dual_add_f32 v35, v19, v36 :: v_dual_fmac_f32 v16, v30, v15
	v_dual_add_f32 v15, v27, v28 :: v_dual_mul_f32 v18, v29, v18
	s_delay_alu instid0(VALU_DEP_3) | instskip(SKIP_3) | instid1(VALU_DEP_4)
	v_fma_f32 v19, v29, v17, -v34
	v_mul_f32_e32 v27, v46, v24
	v_mul_f32_e32 v28, v45, v24
	v_add_f32_e32 v16, v20, v16
	v_dual_fmac_f32 v18, v30, v17 :: v_dual_add_f32 v29, v21, v19
	s_delay_alu instid0(VALU_DEP_4)
	v_fma_f32 v17, v45, v23, -v27
	v_mul_f32_e32 v19, v46, v26
	v_fmac_f32_e32 v28, v46, v23
	v_mul_f32_e32 v20, v45, v26
	s_barrier
	v_add_f32_e32 v21, v5, v17
	v_mul_f32_e32 v17, v32, v26
	v_fma_f32 v5, v45, v25, -v19
	v_fmac_f32_e32 v20, v46, v25
	buffer_gl0_inv
	v_dual_add_f32 v19, v33, v5 :: v_dual_add_f32 v22, v38, v22
	s_delay_alu instid0(VALU_DEP_1) | instskip(SKIP_4) | instid1(VALU_DEP_3)
	v_dual_add_f32 v20, v35, v20 :: v_dual_add_f32 v27, v22, v18
	v_add_f32_e32 v22, v6, v28
	v_mul_f32_e32 v6, v32, v24
	v_mul_f32_e32 v18, v31, v24
	;; [unrolled: 1-line block ×3, first 2 shown]
	v_fma_f32 v5, v31, v23, -v6
	s_delay_alu instid0(VALU_DEP_3) | instskip(SKIP_1) | instid1(VALU_DEP_4)
	v_fmac_f32_e32 v18, v32, v23
	v_fma_f32 v6, v31, v25, -v17
	v_fmac_f32_e32 v24, v32, v25
	s_delay_alu instid0(VALU_DEP_3) | instskip(NEXT) | instid1(VALU_DEP_2)
	v_dual_add_f32 v17, v15, v5 :: v_dual_add_f32 v18, v16, v18
	v_dual_add_f32 v15, v29, v6 :: v_dual_add_f32 v16, v27, v24
	s_cbranch_scc1 .LBB686_9
.LBB686_3:                              ; =>This Inner Loop Header: Depth=1
	v_add_nc_u32_e32 v5, s19, v10
	s_delay_alu instid0(VALU_DEP_1) | instskip(NEXT) | instid1(VALU_DEP_1)
	v_cmp_le_i32_e64 s2, s17, v5
	s_or_b32 s2, s3, s2
	s_delay_alu instid0(SALU_CYCLE_1) | instskip(NEXT) | instid1(SALU_CYCLE_1)
	s_and_saveexec_b32 s14, s2
	s_xor_b32 s2, exec_lo, s14
	s_cbranch_execz .LBB686_5
; %bb.4:                                ;   in Loop: Header=BB686_3 Depth=1
	v_mov_b32_e32 v5, v4
	ds_store_b64 v11, v[4:5]
.LBB686_5:                              ;   in Loop: Header=BB686_3 Depth=1
	s_and_not1_saveexec_b32 s2, s2
	s_cbranch_execz .LBB686_7
; %bb.6:                                ;   in Loop: Header=BB686_3 Depth=1
	global_load_b64 v[5:6], v[0:1], off
	s_waitcnt vmcnt(0)
	ds_store_b64 v11, v[5:6]
.LBB686_7:                              ;   in Loop: Header=BB686_3 Depth=1
	s_or_b32 exec_lo, exec_lo, s2
	v_dual_mov_b32 v6, 0 :: v_dual_add_nc_u32 v5, s19, v9
	s_delay_alu instid0(VALU_DEP_1) | instskip(SKIP_1) | instid1(VALU_DEP_2)
	v_cmp_gt_i32_e64 s2, s17, v5
	v_mov_b32_e32 v5, 0
	s_and_b32 s14, s2, vcc_lo
	s_delay_alu instid0(SALU_CYCLE_1)
	s_and_saveexec_b32 s2, s14
	s_cbranch_execz .LBB686_2
; %bb.8:                                ;   in Loop: Header=BB686_3 Depth=1
	global_load_b64 v[5:6], v[2:3], off offset:-4
	s_branch .LBB686_2
.LBB686_9:
	s_load_b32 s2, s[0:1], 0x50
	v_add_nc_u32_e32 v4, s22, v8
	v_add_nc_u32_e32 v0, s18, v7
	s_delay_alu instid0(VALU_DEP_1) | instskip(SKIP_1) | instid1(VALU_DEP_2)
	v_cmp_le_i32_e64 s0, v4, v0
	v_cmp_gt_i32_e32 vcc_lo, s16, v0
	s_and_b32 s0, s0, vcc_lo
	s_waitcnt lgkmcnt(0)
	v_mad_i64_i32 v[1:2], null, v4, s2, 0
	s_delay_alu instid0(VALU_DEP_1) | instskip(NEXT) | instid1(VALU_DEP_1)
	v_lshlrev_b64 v[1:2], 3, v[1:2]
	v_add_co_u32 v5, s1, s6, v1
	s_delay_alu instid0(VALU_DEP_1)
	v_add_co_ci_u32_e64 v6, s1, s7, v2, s1
	s_and_saveexec_b32 s1, s0
	s_cbranch_execz .LBB686_11
; %bb.10:
	v_ashrrev_i32_e32 v1, 31, v0
	s_delay_alu instid0(VALU_DEP_1) | instskip(NEXT) | instid1(VALU_DEP_1)
	v_lshlrev_b64 v[1:2], 3, v[0:1]
	v_add_co_u32 v1, s0, v5, v1
	s_delay_alu instid0(VALU_DEP_1)
	v_add_co_ci_u32_e64 v2, s0, v6, v2, s0
	global_load_b64 v[7:8], v[1:2], off
	v_mul_f32_e32 v3, s9, v22
	s_waitcnt vmcnt(0)
	v_dual_mul_f32 v9, s8, v22 :: v_dual_mul_f32 v10, s5, v8
	v_mul_f32_e32 v8, s4, v8
	s_delay_alu instid0(VALU_DEP_3) | instskip(NEXT) | instid1(VALU_DEP_3)
	v_fma_f32 v3, v21, s8, -v3
	v_fmac_f32_e32 v9, s9, v21
	s_delay_alu instid0(VALU_DEP_4) | instskip(NEXT) | instid1(VALU_DEP_1)
	v_fma_f32 v10, v7, s4, -v10
	v_dual_fmac_f32 v8, s5, v7 :: v_dual_add_f32 v7, v3, v10
	s_delay_alu instid0(VALU_DEP_1)
	v_add_f32_e32 v8, v9, v8
	global_store_b64 v[1:2], v[7:8], off
.LBB686_11:
	s_or_b32 exec_lo, exec_lo, s1
	v_add_nc_u32_e32 v2, 16, v0
	s_delay_alu instid0(VALU_DEP_1) | instskip(SKIP_1) | instid1(VALU_DEP_1)
	v_cmp_le_i32_e64 s1, v4, v2
	v_cmp_gt_i32_e64 s0, s16, v2
	s_and_b32 s1, s1, s0
	s_delay_alu instid0(SALU_CYCLE_1)
	s_and_saveexec_b32 s3, s1
	s_cbranch_execz .LBB686_13
; %bb.12:
	v_ashrrev_i32_e32 v3, 31, v2
	s_delay_alu instid0(VALU_DEP_1) | instskip(SKIP_1) | instid1(VALU_DEP_2)
	v_lshlrev_b64 v[7:8], 3, v[2:3]
	v_mul_f32_e32 v3, s8, v20
	v_add_co_u32 v5, s1, v5, v7
	s_delay_alu instid0(VALU_DEP_1) | instskip(NEXT) | instid1(VALU_DEP_3)
	v_add_co_ci_u32_e64 v6, s1, v6, v8, s1
	v_fmac_f32_e32 v3, s9, v19
	global_load_b64 v[7:8], v[5:6], off
	s_waitcnt vmcnt(0)
	v_mul_f32_e32 v9, s5, v8
	v_mul_f32_e32 v8, s4, v8
	;; [unrolled: 1-line block ×3, first 2 shown]
	s_delay_alu instid0(VALU_DEP_3) | instskip(NEXT) | instid1(VALU_DEP_3)
	v_fma_f32 v9, v7, s4, -v9
	v_fmac_f32_e32 v8, s5, v7
	s_delay_alu instid0(VALU_DEP_3) | instskip(NEXT) | instid1(VALU_DEP_1)
	v_fma_f32 v1, v19, s8, -v1
	v_dual_add_f32 v8, v3, v8 :: v_dual_add_f32 v7, v1, v9
	global_store_b64 v[5:6], v[7:8], off
.LBB686_13:
	s_or_b32 exec_lo, exec_lo, s3
	v_add_nc_u32_e32 v3, 16, v4
	s_delay_alu instid0(VALU_DEP_1) | instskip(SKIP_1) | instid1(VALU_DEP_2)
	v_mad_i64_i32 v[4:5], null, v3, s2, 0
	v_cmp_le_i32_e64 s1, v3, v0
	v_lshlrev_b64 v[4:5], 3, v[4:5]
	s_delay_alu instid0(VALU_DEP_1) | instskip(NEXT) | instid1(VALU_DEP_1)
	v_add_co_u32 v4, s2, s6, v4
	v_add_co_ci_u32_e64 v5, s2, s7, v5, s2
	s_delay_alu instid0(VALU_DEP_4) | instskip(NEXT) | instid1(SALU_CYCLE_1)
	s_and_b32 s2, s1, vcc_lo
	s_and_saveexec_b32 s1, s2
	s_cbranch_execz .LBB686_15
; %bb.14:
	v_ashrrev_i32_e32 v1, 31, v0
	s_delay_alu instid0(VALU_DEP_1) | instskip(NEXT) | instid1(VALU_DEP_1)
	v_lshlrev_b64 v[0:1], 3, v[0:1]
	v_add_co_u32 v0, vcc_lo, v4, v0
	s_delay_alu instid0(VALU_DEP_2)
	v_add_co_ci_u32_e32 v1, vcc_lo, v5, v1, vcc_lo
	global_load_b64 v[6:7], v[0:1], off
	v_mul_f32_e32 v8, s9, v18
	s_waitcnt vmcnt(0)
	v_dual_mul_f32 v9, s8, v18 :: v_dual_mul_f32 v10, s5, v7
	v_mul_f32_e32 v7, s4, v7
	s_delay_alu instid0(VALU_DEP_3) | instskip(NEXT) | instid1(VALU_DEP_3)
	v_fma_f32 v8, v17, s8, -v8
	v_fma_f32 v10, v6, s4, -v10
	s_delay_alu instid0(VALU_DEP_4) | instskip(NEXT) | instid1(VALU_DEP_4)
	v_fmac_f32_e32 v9, s9, v17
	v_fmac_f32_e32 v7, s5, v6
	s_delay_alu instid0(VALU_DEP_1)
	v_dual_add_f32 v6, v8, v10 :: v_dual_add_f32 v7, v9, v7
	global_store_b64 v[0:1], v[6:7], off
.LBB686_15:
	s_or_b32 exec_lo, exec_lo, s1
	v_cmp_le_i32_e32 vcc_lo, v3, v2
	s_and_b32 s0, vcc_lo, s0
	s_delay_alu instid0(SALU_CYCLE_1)
	s_and_saveexec_b32 s1, s0
	s_cbranch_execz .LBB686_17
; %bb.16:
	v_ashrrev_i32_e32 v3, 31, v2
	s_delay_alu instid0(VALU_DEP_1) | instskip(NEXT) | instid1(VALU_DEP_1)
	v_lshlrev_b64 v[0:1], 3, v[2:3]
	v_add_co_u32 v0, vcc_lo, v4, v0
	s_delay_alu instid0(VALU_DEP_2)
	v_add_co_ci_u32_e32 v1, vcc_lo, v5, v1, vcc_lo
	global_load_b64 v[2:3], v[0:1], off
	v_mul_f32_e32 v4, s9, v16
	s_waitcnt vmcnt(0)
	v_dual_mul_f32 v5, s8, v16 :: v_dual_mul_f32 v6, s5, v3
	v_mul_f32_e32 v3, s4, v3
	s_delay_alu instid0(VALU_DEP_3) | instskip(NEXT) | instid1(VALU_DEP_3)
	v_fma_f32 v4, v15, s8, -v4
	v_fma_f32 v6, v2, s4, -v6
	s_delay_alu instid0(VALU_DEP_4) | instskip(NEXT) | instid1(VALU_DEP_4)
	v_fmac_f32_e32 v5, s9, v15
	v_fmac_f32_e32 v3, s5, v2
	s_delay_alu instid0(VALU_DEP_1)
	v_dual_add_f32 v2, v4, v6 :: v_dual_add_f32 v3, v5, v3
	global_store_b64 v[0:1], v[2:3], off
.LBB686_17:
	s_nop 0
	s_sendmsg sendmsg(MSG_DEALLOC_VGPRS)
	s_endpgm
	.section	.rodata,"a",@progbits
	.p2align	6, 0x0
	.amdhsa_kernel _ZL34rocblas_syrkx_herkx_general_kernelIi19rocblas_complex_numIfELi16ELi32ELi8ELb0ELb0ELc78ELc76EKPKS1_KPS1_EviT_T0_PT8_S7_lSA_S7_lS8_PT9_S7_li
		.amdhsa_group_segment_fixed_size 4096
		.amdhsa_private_segment_fixed_size 0
		.amdhsa_kernarg_size 100
		.amdhsa_user_sgpr_count 13
		.amdhsa_user_sgpr_dispatch_ptr 0
		.amdhsa_user_sgpr_queue_ptr 0
		.amdhsa_user_sgpr_kernarg_segment_ptr 1
		.amdhsa_user_sgpr_dispatch_id 0
		.amdhsa_user_sgpr_private_segment_size 0
		.amdhsa_wavefront_size32 1
		.amdhsa_uses_dynamic_stack 0
		.amdhsa_enable_private_segment 0
		.amdhsa_system_sgpr_workgroup_id_x 1
		.amdhsa_system_sgpr_workgroup_id_y 1
		.amdhsa_system_sgpr_workgroup_id_z 1
		.amdhsa_system_sgpr_workgroup_info 0
		.amdhsa_system_vgpr_workitem_id 1
		.amdhsa_next_free_vgpr 59
		.amdhsa_next_free_sgpr 26
		.amdhsa_reserve_vcc 1
		.amdhsa_float_round_mode_32 0
		.amdhsa_float_round_mode_16_64 0
		.amdhsa_float_denorm_mode_32 3
		.amdhsa_float_denorm_mode_16_64 3
		.amdhsa_dx10_clamp 1
		.amdhsa_ieee_mode 1
		.amdhsa_fp16_overflow 0
		.amdhsa_workgroup_processor_mode 1
		.amdhsa_memory_ordered 1
		.amdhsa_forward_progress 0
		.amdhsa_shared_vgpr_count 0
		.amdhsa_exception_fp_ieee_invalid_op 0
		.amdhsa_exception_fp_denorm_src 0
		.amdhsa_exception_fp_ieee_div_zero 0
		.amdhsa_exception_fp_ieee_overflow 0
		.amdhsa_exception_fp_ieee_underflow 0
		.amdhsa_exception_fp_ieee_inexact 0
		.amdhsa_exception_int_div_zero 0
	.end_amdhsa_kernel
	.section	.text._ZL34rocblas_syrkx_herkx_general_kernelIi19rocblas_complex_numIfELi16ELi32ELi8ELb0ELb0ELc78ELc76EKPKS1_KPS1_EviT_T0_PT8_S7_lSA_S7_lS8_PT9_S7_li,"axG",@progbits,_ZL34rocblas_syrkx_herkx_general_kernelIi19rocblas_complex_numIfELi16ELi32ELi8ELb0ELb0ELc78ELc76EKPKS1_KPS1_EviT_T0_PT8_S7_lSA_S7_lS8_PT9_S7_li,comdat
.Lfunc_end686:
	.size	_ZL34rocblas_syrkx_herkx_general_kernelIi19rocblas_complex_numIfELi16ELi32ELi8ELb0ELb0ELc78ELc76EKPKS1_KPS1_EviT_T0_PT8_S7_lSA_S7_lS8_PT9_S7_li, .Lfunc_end686-_ZL34rocblas_syrkx_herkx_general_kernelIi19rocblas_complex_numIfELi16ELi32ELi8ELb0ELb0ELc78ELc76EKPKS1_KPS1_EviT_T0_PT8_S7_lSA_S7_lS8_PT9_S7_li
                                        ; -- End function
	.section	.AMDGPU.csdata,"",@progbits
; Kernel info:
; codeLenInByte = 2620
; NumSgprs: 28
; NumVgprs: 59
; ScratchSize: 0
; MemoryBound: 1
; FloatMode: 240
; IeeeMode: 1
; LDSByteSize: 4096 bytes/workgroup (compile time only)
; SGPRBlocks: 3
; VGPRBlocks: 7
; NumSGPRsForWavesPerEU: 28
; NumVGPRsForWavesPerEU: 59
; Occupancy: 16
; WaveLimiterHint : 1
; COMPUTE_PGM_RSRC2:SCRATCH_EN: 0
; COMPUTE_PGM_RSRC2:USER_SGPR: 13
; COMPUTE_PGM_RSRC2:TRAP_HANDLER: 0
; COMPUTE_PGM_RSRC2:TGID_X_EN: 1
; COMPUTE_PGM_RSRC2:TGID_Y_EN: 1
; COMPUTE_PGM_RSRC2:TGID_Z_EN: 1
; COMPUTE_PGM_RSRC2:TIDIG_COMP_CNT: 1
	.section	.text._ZL34rocblas_syrkx_herkx_general_kernelIi19rocblas_complex_numIfELi16ELi32ELi8ELb0ELb0ELc84ELc85EKPKS1_KPS1_EviT_T0_PT8_S7_lSA_S7_lS8_PT9_S7_li,"axG",@progbits,_ZL34rocblas_syrkx_herkx_general_kernelIi19rocblas_complex_numIfELi16ELi32ELi8ELb0ELb0ELc84ELc85EKPKS1_KPS1_EviT_T0_PT8_S7_lSA_S7_lS8_PT9_S7_li,comdat
	.globl	_ZL34rocblas_syrkx_herkx_general_kernelIi19rocblas_complex_numIfELi16ELi32ELi8ELb0ELb0ELc84ELc85EKPKS1_KPS1_EviT_T0_PT8_S7_lSA_S7_lS8_PT9_S7_li ; -- Begin function _ZL34rocblas_syrkx_herkx_general_kernelIi19rocblas_complex_numIfELi16ELi32ELi8ELb0ELb0ELc84ELc85EKPKS1_KPS1_EviT_T0_PT8_S7_lSA_S7_lS8_PT9_S7_li
	.p2align	8
	.type	_ZL34rocblas_syrkx_herkx_general_kernelIi19rocblas_complex_numIfELi16ELi32ELi8ELb0ELb0ELc84ELc85EKPKS1_KPS1_EviT_T0_PT8_S7_lSA_S7_lS8_PT9_S7_li,@function
_ZL34rocblas_syrkx_herkx_general_kernelIi19rocblas_complex_numIfELi16ELi32ELi8ELb0ELb0ELc84ELc85EKPKS1_KPS1_EviT_T0_PT8_S7_lSA_S7_lS8_PT9_S7_li: ; @_ZL34rocblas_syrkx_herkx_general_kernelIi19rocblas_complex_numIfELi16ELi32ELi8ELb0ELb0ELc84ELc85EKPKS1_KPS1_EviT_T0_PT8_S7_lSA_S7_lS8_PT9_S7_li
; %bb.0:
	s_clause 0x1
	s_load_b128 s[4:7], s[0:1], 0x40
	s_load_b64 s[16:17], s[0:1], 0x0
	s_mov_b32 s18, s15
	s_mov_b32 s19, 0
	v_dual_mov_b32 v21, 0 :: v_dual_and_b32 v6, 0x3ff, v0
	s_lshl_b64 s[2:3], s[18:19], 3
	v_bfe_u32 v7, v0, 10, 10
	v_dual_mov_b32 v20, 0 :: v_dual_mov_b32 v19, 0
	v_dual_mov_b32 v18, 0 :: v_dual_mov_b32 v17, 0
	;; [unrolled: 1-line block ×3, first 2 shown]
	v_mov_b32_e32 v14, 0
	s_waitcnt lgkmcnt(0)
	s_add_u32 s6, s6, s2
	s_addc_u32 s7, s7, s3
	s_load_b128 s[8:11], s[0:1], 0x8
	s_load_b64 s[6:7], s[6:7], 0x0
	s_lshl_b32 s12, s13, 5
	s_lshl_b32 s13, s14, 5
	s_cmp_lt_i32 s17, 1
	s_cbranch_scc1 .LBB687_11
; %bb.1:
	s_clause 0x1
	s_load_b64 s[14:15], s[0:1], 0x28
	s_load_b32 s18, s[0:1], 0x18
	v_lshl_add_u32 v0, v7, 4, v6
	s_load_b32 s20, s[0:1], 0x30
	v_and_b32_e32 v8, 7, v6
	v_lshlrev_b32_e32 v9, 3, v6
	v_lshl_add_u32 v10, v7, 6, 0x800
	v_and_b32_e32 v1, 31, v0
	v_lshrrev_b32_e32 v2, 3, v0
	v_lshrrev_b32_e32 v11, 5, v0
	v_dual_mov_b32 v19, 0 :: v_dual_mov_b32 v18, 0
	s_delay_alu instid0(VALU_DEP_4) | instskip(SKIP_4) | instid1(VALU_DEP_4)
	v_add_nc_u32_e32 v3, s12, v1
	v_or_b32_e32 v12, s12, v1
	v_dual_mov_b32 v20, 0 :: v_dual_lshlrev_b32 v13, 3, v1
	v_lshlrev_b32_e32 v15, 3, v11
	v_dual_mov_b32 v16, 0 :: v_dual_add_nc_u32 v5, s13, v2
	v_cmp_gt_i32_e32 vcc_lo, s16, v12
	s_waitcnt lgkmcnt(0)
	s_add_u32 s14, s14, s2
	v_mad_i64_i32 v[0:1], null, s18, v3, 0
	s_addc_u32 s15, s15, s3
	s_add_u32 s2, s10, s2
	s_addc_u32 s3, s11, s3
	s_load_b64 s[14:15], s[14:15], 0x0
	s_load_b64 s[10:11], s[2:3], 0x0
	v_cmp_gt_i32_e64 s2, s16, v5
	s_delay_alu instid0(VALU_DEP_2) | instskip(SKIP_4) | instid1(VALU_DEP_4)
	v_lshlrev_b64 v[0:1], 3, v[0:1]
	v_lshl_or_b32 v12, v11, 8, v13
	v_mov_b32_e32 v21, 0
	v_mov_b32_e32 v17, 0
	s_xor_b32 s2, s2, -1
	v_add_co_u32 v0, s3, v0, v15
	v_dual_mov_b32 v15, 0 :: v_dual_lshlrev_b32 v4, 3, v8
	v_add_co_ci_u32_e64 v1, s3, 0, v1, s3
	s_delay_alu instid0(VALU_DEP_2) | instskip(SKIP_1) | instid1(VALU_DEP_2)
	v_lshl_or_b32 v14, v2, 6, v4
	v_mad_i64_i32 v[2:3], null, s20, v5, 0
	v_dual_mov_b32 v14, 0 :: v_dual_add_nc_u32 v13, 0x800, v14
	s_delay_alu instid0(VALU_DEP_2) | instskip(NEXT) | instid1(VALU_DEP_1)
	v_lshlrev_b64 v[2:3], 3, v[2:3]
	v_add_co_u32 v2, s3, v2, v4
	s_delay_alu instid0(VALU_DEP_1) | instskip(SKIP_2) | instid1(VALU_DEP_1)
	v_add_co_ci_u32_e64 v3, s3, 0, v3, s3
	s_waitcnt lgkmcnt(0)
	v_add_co_u32 v0, s3, s10, v0
	v_add_co_ci_u32_e64 v1, s3, s11, v1, s3
	v_add_co_u32 v2, s3, s14, v2
	s_delay_alu instid0(VALU_DEP_1)
	v_add_co_ci_u32_e64 v3, s3, s15, v3, s3
	v_mov_b32_e32 v4, 0
	s_xor_b32 s3, vcc_lo, -1
	s_branch .LBB687_3
.LBB687_2:                              ;   in Loop: Header=BB687_3 Depth=1
	s_or_b32 exec_lo, exec_lo, s10
	s_waitcnt lgkmcnt(0)
	s_barrier
	buffer_gl0_inv
	ds_load_2addr_b64 v[22:25], v9 offset1:16
	ds_load_b128 v[26:29], v10
	ds_load_b128 v[30:33], v10 offset:1024
	ds_load_b128 v[34:37], v10 offset:16
	;; [unrolled: 1-line block ×4, first 2 shown]
	ds_load_2addr_b64 v[46:49], v9 offset0:32 offset1:48
	ds_load_b128 v[50:53], v10 offset:1040
	v_add_co_u32 v0, vcc_lo, v0, 64
	v_add_co_ci_u32_e32 v1, vcc_lo, 0, v1, vcc_lo
	v_add_co_u32 v2, vcc_lo, v2, 64
	v_add_co_ci_u32_e32 v3, vcc_lo, 0, v3, vcc_lo
	s_add_i32 s19, s19, 8
	s_delay_alu instid0(SALU_CYCLE_1)
	s_cmp_ge_i32 s19, s17
	s_waitcnt lgkmcnt(6)
	v_dual_mul_f32 v5, v27, v23 :: v_dual_mul_f32 v56, v26, v25
	v_dual_mul_f32 v54, v26, v23 :: v_dual_mul_f32 v55, v27, v25
	s_waitcnt lgkmcnt(5)
	v_mul_f32_e32 v58, v31, v25
	s_delay_alu instid0(VALU_DEP_3) | instskip(SKIP_3) | instid1(VALU_DEP_4)
	v_fma_f32 v5, v26, v22, -v5
	v_dual_mul_f32 v25, v30, v25 :: v_dual_fmac_f32 v56, v27, v24
	v_fmac_f32_e32 v54, v27, v22
	v_fma_f32 v26, v26, v24, -v55
	v_add_f32_e32 v5, v20, v5
	v_mul_f32_e32 v57, v31, v23
	s_delay_alu instid0(VALU_DEP_4) | instskip(SKIP_2) | instid1(VALU_DEP_4)
	v_dual_mul_f32 v23, v30, v23 :: v_dual_add_f32 v20, v21, v54
	v_fmac_f32_e32 v25, v31, v24
	v_dual_add_f32 v21, v18, v26 :: v_dual_add_f32 v26, v19, v56
	v_fma_f32 v27, v30, v22, -v57
	s_delay_alu instid0(VALU_DEP_4) | instskip(SKIP_3) | instid1(VALU_DEP_2)
	v_fmac_f32_e32 v23, v31, v22
	v_fma_f32 v22, v30, v24, -v58
	s_waitcnt lgkmcnt(1)
	v_mul_f32_e32 v30, v29, v47
	v_dual_add_f32 v27, v16, v27 :: v_dual_add_f32 v14, v14, v22
	v_dual_mul_f32 v22, v28, v47 :: v_dual_add_f32 v15, v15, v25
	v_mul_f32_e32 v25, v28, v49
	s_delay_alu instid0(VALU_DEP_4) | instskip(NEXT) | instid1(VALU_DEP_3)
	v_fma_f32 v24, v28, v46, -v30
	v_fmac_f32_e32 v22, v29, v46
	v_add_f32_e32 v23, v17, v23
	ds_load_2addr_b64 v[16:19], v9 offset0:64 offset1:80
	v_mul_f32_e32 v30, v29, v49
	v_fmac_f32_e32 v25, v29, v48
	v_add_f32_e32 v5, v5, v24
	s_delay_alu instid0(VALU_DEP_2) | instskip(SKIP_1) | instid1(VALU_DEP_1)
	v_add_f32_e32 v25, v26, v25
	v_mul_f32_e32 v26, v32, v49
	v_fmac_f32_e32 v26, v33, v48
	s_waitcnt lgkmcnt(0)
	s_delay_alu instid0(VALU_DEP_1) | instskip(SKIP_1) | instid1(VALU_DEP_2)
	v_dual_add_f32 v26, v15, v26 :: v_dual_mul_f32 v29, v34, v17
	v_mul_f32_e32 v15, v34, v19
	v_fmac_f32_e32 v29, v35, v16
	v_fma_f32 v24, v28, v48, -v30
	v_mul_f32_e32 v28, v33, v47
	v_add_f32_e32 v30, v20, v22
	v_mul_f32_e32 v20, v32, v47
	v_mul_f32_e32 v22, v33, v49
	v_add_f32_e32 v24, v21, v24
	v_fma_f32 v21, v32, v46, -v28
	s_delay_alu instid0(VALU_DEP_4) | instskip(SKIP_1) | instid1(VALU_DEP_3)
	v_dual_add_f32 v29, v30, v29 :: v_dual_fmac_f32 v20, v33, v46
	v_fmac_f32_e32 v15, v35, v18
	v_add_f32_e32 v27, v27, v21
	v_fma_f32 v21, v32, v48, -v22
	v_mul_f32_e32 v22, v35, v17
	v_mul_f32_e32 v32, v35, v19
	v_add_f32_e32 v28, v23, v20
	s_delay_alu instid0(VALU_DEP_4) | instskip(NEXT) | instid1(VALU_DEP_4)
	v_add_f32_e32 v14, v14, v21
	v_fma_f32 v31, v34, v16, -v22
	ds_load_2addr_b64 v[20:23], v9 offset0:96 offset1:112
	v_add_f32_e32 v5, v5, v31
	v_fma_f32 v31, v34, v18, -v32
	s_delay_alu instid0(VALU_DEP_1) | instskip(SKIP_3) | instid1(VALU_DEP_3)
	v_add_f32_e32 v24, v24, v31
	v_mul_f32_e32 v31, v51, v19
	v_mul_f32_e32 v19, v50, v19
	v_add_f32_e32 v32, v25, v15
	v_fma_f32 v15, v50, v18, -v31
	s_delay_alu instid0(VALU_DEP_3)
	v_fmac_f32_e32 v19, v51, v18
	v_mul_f32_e32 v30, v51, v17
	v_mul_f32_e32 v17, v50, v17
	s_waitcnt lgkmcnt(0)
	v_dual_mul_f32 v18, v37, v21 :: v_dual_add_f32 v31, v14, v15
	v_add_f32_e32 v33, v26, v19
	v_fma_f32 v30, v50, v16, -v30
	v_fmac_f32_e32 v17, v51, v16
	s_delay_alu instid0(VALU_DEP_4) | instskip(SKIP_1) | instid1(VALU_DEP_4)
	v_fma_f32 v18, v36, v20, -v18
	v_mul_f32_e32 v25, v36, v21
	v_dual_mul_f32 v19, v36, v23 :: v_dual_add_f32 v30, v27, v30
	s_delay_alu instid0(VALU_DEP_4) | instskip(SKIP_4) | instid1(VALU_DEP_2)
	v_add_f32_e32 v28, v28, v17
	ds_load_2addr_b64 v[14:17], v9 offset0:128 offset1:144
	v_add_f32_e32 v5, v5, v18
	v_mul_f32_e32 v18, v53, v21
	v_fmac_f32_e32 v19, v37, v22
	v_fma_f32 v18, v52, v20, -v18
	v_mul_f32_e32 v27, v37, v23
	s_delay_alu instid0(VALU_DEP_1) | instskip(NEXT) | instid1(VALU_DEP_3)
	v_fma_f32 v26, v36, v22, -v27
	v_add_f32_e32 v36, v30, v18
	s_waitcnt lgkmcnt(0)
	s_delay_alu instid0(VALU_DEP_2) | instskip(SKIP_2) | instid1(VALU_DEP_3)
	v_dual_add_f32 v35, v24, v26 :: v_dual_mul_f32 v46, v38, v15
	v_dual_fmac_f32 v25, v37, v20 :: v_dual_add_f32 v32, v32, v19
	v_mul_f32_e32 v18, v39, v15
	v_fmac_f32_e32 v46, v39, v14
	s_delay_alu instid0(VALU_DEP_3)
	v_add_f32_e32 v34, v29, v25
	v_mul_f32_e32 v29, v53, v23
	v_mul_f32_e32 v23, v52, v23
	ds_load_b128 v[24:27], v10 offset:1056
	v_add_f32_e32 v34, v34, v46
	v_fma_f32 v19, v52, v22, -v29
	v_mul_f32_e32 v21, v52, v21
	v_fmac_f32_e32 v23, v53, v22
	v_mul_f32_e32 v29, v39, v17
	s_delay_alu instid0(VALU_DEP_3) | instskip(NEXT) | instid1(VALU_DEP_3)
	v_dual_add_f32 v22, v31, v19 :: v_dual_fmac_f32 v21, v53, v20
	v_add_f32_e32 v23, v33, v23
	s_delay_alu instid0(VALU_DEP_2) | instskip(SKIP_4) | instid1(VALU_DEP_2)
	v_add_f32_e32 v37, v28, v21
	v_fma_f32 v28, v38, v14, -v18
	ds_load_2addr_b64 v[18:21], v9 offset0:160 offset1:176
	v_mul_f32_e32 v33, v38, v17
	v_fma_f32 v38, v38, v16, -v29
	v_fmac_f32_e32 v33, v39, v16
	s_delay_alu instid0(VALU_DEP_1)
	v_dual_add_f32 v35, v35, v38 :: v_dual_add_f32 v32, v32, v33
	v_add_f32_e32 v5, v5, v28
	ds_load_b128 v[28:31], v10 offset:1072
	s_waitcnt lgkmcnt(2)
	v_mul_f32_e32 v47, v25, v15
	v_mul_f32_e32 v15, v24, v15
	;; [unrolled: 1-line block ×4, first 2 shown]
	s_delay_alu instid0(VALU_DEP_4) | instskip(NEXT) | instid1(VALU_DEP_4)
	v_fma_f32 v38, v24, v14, -v47
	v_fmac_f32_e32 v15, v25, v14
	s_delay_alu instid0(VALU_DEP_4)
	v_fma_f32 v14, v24, v16, -v39
	s_waitcnt lgkmcnt(1)
	v_mul_f32_e32 v17, v41, v19
	v_dual_fmac_f32 v33, v25, v16 :: v_dual_add_f32 v36, v36, v38
	v_add_f32_e32 v24, v37, v15
	v_add_f32_e32 v22, v22, v14
	s_delay_alu instid0(VALU_DEP_4) | instskip(SKIP_2) | instid1(VALU_DEP_1)
	v_fma_f32 v37, v40, v18, -v17
	ds_load_2addr_b64 v[14:17], v9 offset0:192 offset1:208
	v_dual_mul_f32 v25, v40, v19 :: v_dual_mul_f32 v38, v41, v21
	v_fmac_f32_e32 v25, v41, v18
	s_delay_alu instid0(VALU_DEP_1) | instskip(SKIP_4) | instid1(VALU_DEP_3)
	v_add_f32_e32 v34, v34, v25
	v_add_f32_e32 v33, v23, v33
	v_mul_f32_e32 v23, v40, v21
	v_mul_f32_e32 v25, v27, v19
	;; [unrolled: 1-line block ×3, first 2 shown]
	v_fmac_f32_e32 v23, v41, v20
	s_delay_alu instid0(VALU_DEP_3) | instskip(NEXT) | instid1(VALU_DEP_2)
	v_fma_f32 v25, v26, v18, -v25
	v_dual_fmac_f32 v19, v27, v18 :: v_dual_add_f32 v18, v32, v23
	s_waitcnt lgkmcnt(0)
	v_dual_mul_f32 v32, v43, v15 :: v_dual_add_f32 v5, v5, v37
	v_fma_f32 v37, v40, v20, -v38
	s_delay_alu instid0(VALU_DEP_3) | instskip(NEXT) | instid1(VALU_DEP_3)
	v_add_f32_e32 v19, v24, v19
	v_fma_f32 v32, v42, v14, -v32
	s_delay_alu instid0(VALU_DEP_1) | instskip(NEXT) | instid1(VALU_DEP_4)
	v_add_f32_e32 v5, v5, v32
	v_add_f32_e32 v35, v35, v37
	v_mul_f32_e32 v37, v27, v21
	v_dual_mul_f32 v21, v26, v21 :: v_dual_mul_f32 v32, v29, v15
	s_delay_alu instid0(VALU_DEP_2) | instskip(NEXT) | instid1(VALU_DEP_2)
	v_fma_f32 v23, v26, v20, -v37
	v_dual_add_f32 v26, v36, v25 :: v_dual_fmac_f32 v21, v27, v20
	v_mul_f32_e32 v27, v42, v15
	v_mul_f32_e32 v15, v28, v15
	s_delay_alu instid0(VALU_DEP_4)
	v_add_f32_e32 v20, v22, v23
	ds_load_2addr_b64 v[22:25], v9 offset0:224 offset1:240
	v_fma_f32 v32, v28, v14, -v32
	v_dual_fmac_f32 v27, v43, v14 :: v_dual_mul_f32 v36, v42, v17
	v_fmac_f32_e32 v15, v29, v14
	s_waitcnt lgkmcnt(0)
	s_delay_alu instid0(VALU_DEP_3) | instskip(NEXT) | instid1(VALU_DEP_3)
	v_add_f32_e32 v14, v26, v32
	v_dual_add_f32 v27, v34, v27 :: v_dual_fmac_f32 v36, v43, v16
	s_delay_alu instid0(VALU_DEP_3)
	v_dual_mul_f32 v34, v29, v17 :: v_dual_add_f32 v15, v19, v15
	s_barrier
	buffer_gl0_inv
	v_mul_f32_e32 v26, v45, v23
	v_add_f32_e32 v21, v33, v21
	v_mul_f32_e32 v33, v43, v17
	v_mul_f32_e32 v17, v28, v17
	;; [unrolled: 1-line block ×3, first 2 shown]
	s_delay_alu instid0(VALU_DEP_3) | instskip(NEXT) | instid1(VALU_DEP_3)
	v_fma_f32 v33, v42, v16, -v33
	v_fmac_f32_e32 v17, v29, v16
	s_delay_alu instid0(VALU_DEP_3) | instskip(NEXT) | instid1(VALU_DEP_3)
	v_fmac_f32_e32 v19, v45, v24
	v_add_f32_e32 v33, v35, v33
	v_add_f32_e32 v35, v18, v36
	v_fma_f32 v18, v28, v16, -v34
	v_fma_f32 v16, v44, v22, -v26
	v_mul_f32_e32 v28, v44, v23
	v_dual_add_f32 v26, v21, v17 :: v_dual_mul_f32 v17, v30, v23
	s_delay_alu instid0(VALU_DEP_4) | instskip(NEXT) | instid1(VALU_DEP_4)
	v_dual_add_f32 v29, v20, v18 :: v_dual_mul_f32 v18, v45, v25
	v_add_f32_e32 v20, v5, v16
	v_mul_f32_e32 v16, v31, v23
	v_mul_f32_e32 v23, v31, v25
	;; [unrolled: 1-line block ×3, first 2 shown]
	v_fma_f32 v5, v44, v24, -v18
	v_fmac_f32_e32 v28, v45, v22
	v_fmac_f32_e32 v17, v31, v22
	v_add_f32_e32 v19, v35, v19
	s_delay_alu instid0(VALU_DEP_4)
	v_dual_fmac_f32 v25, v31, v24 :: v_dual_add_f32 v18, v33, v5
	v_fma_f32 v5, v30, v22, -v16
	v_fma_f32 v22, v30, v24, -v23
	v_add_f32_e32 v21, v27, v28
	v_add_f32_e32 v17, v15, v17
	;; [unrolled: 1-line block ×5, first 2 shown]
	s_cbranch_scc1 .LBB687_11
.LBB687_3:                              ; =>This Inner Loop Header: Depth=1
	v_add_nc_u32_e32 v5, s19, v11
	s_delay_alu instid0(VALU_DEP_1) | instskip(SKIP_1) | instid1(SALU_CYCLE_1)
	v_cmp_le_i32_e32 vcc_lo, s17, v5
	s_or_b32 s10, s3, vcc_lo
	s_and_saveexec_b32 s11, s10
	s_delay_alu instid0(SALU_CYCLE_1)
	s_xor_b32 s10, exec_lo, s11
	s_cbranch_execz .LBB687_5
; %bb.4:                                ;   in Loop: Header=BB687_3 Depth=1
	v_mov_b32_e32 v5, v4
	ds_store_b64 v12, v[4:5]
.LBB687_5:                              ;   in Loop: Header=BB687_3 Depth=1
	s_and_not1_saveexec_b32 s10, s10
	s_cbranch_execz .LBB687_7
; %bb.6:                                ;   in Loop: Header=BB687_3 Depth=1
	global_load_b64 v[22:23], v[0:1], off
	s_waitcnt vmcnt(0)
	ds_store_b64 v12, v[22:23]
.LBB687_7:                              ;   in Loop: Header=BB687_3 Depth=1
	s_or_b32 exec_lo, exec_lo, s10
	v_add_nc_u32_e32 v5, s19, v8
	s_delay_alu instid0(VALU_DEP_1) | instskip(SKIP_1) | instid1(SALU_CYCLE_1)
	v_cmp_le_i32_e32 vcc_lo, s17, v5
	s_or_b32 s10, vcc_lo, s2
	s_and_saveexec_b32 s11, s10
	s_delay_alu instid0(SALU_CYCLE_1)
	s_xor_b32 s10, exec_lo, s11
	s_cbranch_execz .LBB687_9
; %bb.8:                                ;   in Loop: Header=BB687_3 Depth=1
	v_mov_b32_e32 v5, v4
	ds_store_b64 v13, v[4:5]
.LBB687_9:                              ;   in Loop: Header=BB687_3 Depth=1
	s_and_not1_saveexec_b32 s10, s10
	s_cbranch_execz .LBB687_2
; %bb.10:                               ;   in Loop: Header=BB687_3 Depth=1
	global_load_b64 v[22:23], v[2:3], off
	s_waitcnt vmcnt(0)
	ds_store_b64 v13, v[22:23]
	s_branch .LBB687_2
.LBB687_11:
	s_load_b32 s2, s[0:1], 0x50
	v_add_nc_u32_e32 v4, s13, v7
	v_add_nc_u32_e32 v0, s12, v6
	s_delay_alu instid0(VALU_DEP_2) | instskip(NEXT) | instid1(VALU_DEP_2)
	v_cmp_gt_i32_e32 vcc_lo, s16, v4
	v_cmp_le_i32_e64 s0, v0, v4
	s_delay_alu instid0(VALU_DEP_1) | instskip(SKIP_2) | instid1(VALU_DEP_1)
	s_and_b32 s0, vcc_lo, s0
	s_waitcnt lgkmcnt(0)
	v_mad_i64_i32 v[1:2], null, v4, s2, 0
	v_lshlrev_b64 v[1:2], 3, v[1:2]
	s_delay_alu instid0(VALU_DEP_1) | instskip(NEXT) | instid1(VALU_DEP_1)
	v_add_co_u32 v5, s1, s6, v1
	v_add_co_ci_u32_e64 v6, s1, s7, v2, s1
	s_and_saveexec_b32 s1, s0
	s_cbranch_execz .LBB687_13
; %bb.12:
	v_ashrrev_i32_e32 v1, 31, v0
	s_delay_alu instid0(VALU_DEP_1) | instskip(NEXT) | instid1(VALU_DEP_1)
	v_lshlrev_b64 v[1:2], 3, v[0:1]
	v_add_co_u32 v1, s0, v5, v1
	s_delay_alu instid0(VALU_DEP_1)
	v_add_co_ci_u32_e64 v2, s0, v6, v2, s0
	global_load_b64 v[7:8], v[1:2], off
	v_mul_f32_e32 v3, s9, v21
	s_waitcnt vmcnt(0)
	v_dual_mul_f32 v9, s8, v21 :: v_dual_mul_f32 v10, s5, v8
	v_mul_f32_e32 v8, s4, v8
	s_delay_alu instid0(VALU_DEP_3) | instskip(NEXT) | instid1(VALU_DEP_3)
	v_fma_f32 v3, v20, s8, -v3
	v_fmac_f32_e32 v9, s9, v20
	s_delay_alu instid0(VALU_DEP_4) | instskip(NEXT) | instid1(VALU_DEP_1)
	v_fma_f32 v10, v7, s4, -v10
	v_dual_fmac_f32 v8, s5, v7 :: v_dual_add_f32 v7, v3, v10
	s_delay_alu instid0(VALU_DEP_1)
	v_add_f32_e32 v8, v9, v8
	global_store_b64 v[1:2], v[7:8], off
.LBB687_13:
	s_or_b32 exec_lo, exec_lo, s1
	v_add_nc_u32_e32 v2, 16, v0
	s_delay_alu instid0(VALU_DEP_1) | instskip(NEXT) | instid1(VALU_DEP_1)
	v_cmp_le_i32_e64 s0, v2, v4
	s_and_b32 s1, vcc_lo, s0
	s_delay_alu instid0(SALU_CYCLE_1)
	s_and_saveexec_b32 s0, s1
	s_cbranch_execz .LBB687_15
; %bb.14:
	v_ashrrev_i32_e32 v3, 31, v2
	s_delay_alu instid0(VALU_DEP_1) | instskip(SKIP_1) | instid1(VALU_DEP_1)
	v_lshlrev_b64 v[7:8], 3, v[2:3]
	v_mul_f32_e32 v3, s8, v19
	v_fmac_f32_e32 v3, s9, v18
	s_delay_alu instid0(VALU_DEP_3) | instskip(NEXT) | instid1(VALU_DEP_4)
	v_add_co_u32 v5, vcc_lo, v5, v7
	v_add_co_ci_u32_e32 v6, vcc_lo, v6, v8, vcc_lo
	global_load_b64 v[7:8], v[5:6], off
	v_mul_f32_e32 v1, s9, v19
	s_waitcnt vmcnt(0)
	v_mul_f32_e32 v9, s5, v8
	v_mul_f32_e32 v8, s4, v8
	s_delay_alu instid0(VALU_DEP_3) | instskip(NEXT) | instid1(VALU_DEP_2)
	v_fma_f32 v1, v18, s8, -v1
	v_fmac_f32_e32 v8, s5, v7
	s_delay_alu instid0(VALU_DEP_4) | instskip(NEXT) | instid1(VALU_DEP_1)
	v_fma_f32 v9, v7, s4, -v9
	v_dual_add_f32 v8, v3, v8 :: v_dual_add_f32 v7, v1, v9
	global_store_b64 v[5:6], v[7:8], off
.LBB687_15:
	s_or_b32 exec_lo, exec_lo, s0
	v_add_nc_u32_e32 v3, 16, v4
	s_delay_alu instid0(VALU_DEP_1) | instskip(SKIP_2) | instid1(VALU_DEP_1)
	v_mad_i64_i32 v[4:5], null, v3, s2, 0
	v_cmp_gt_i32_e32 vcc_lo, s16, v3
	v_cmp_le_i32_e64 s0, v0, v3
	s_and_b32 s0, vcc_lo, s0
	s_delay_alu instid0(VALU_DEP_3) | instskip(NEXT) | instid1(VALU_DEP_1)
	v_lshlrev_b64 v[4:5], 3, v[4:5]
	v_add_co_u32 v4, s1, s6, v4
	s_delay_alu instid0(VALU_DEP_1)
	v_add_co_ci_u32_e64 v5, s1, s7, v5, s1
	s_and_saveexec_b32 s1, s0
	s_cbranch_execz .LBB687_17
; %bb.16:
	v_ashrrev_i32_e32 v1, 31, v0
	s_delay_alu instid0(VALU_DEP_1) | instskip(NEXT) | instid1(VALU_DEP_1)
	v_lshlrev_b64 v[0:1], 3, v[0:1]
	v_add_co_u32 v0, s0, v4, v0
	s_delay_alu instid0(VALU_DEP_1)
	v_add_co_ci_u32_e64 v1, s0, v5, v1, s0
	global_load_b64 v[6:7], v[0:1], off
	v_mul_f32_e32 v8, s9, v17
	s_waitcnt vmcnt(0)
	v_dual_mul_f32 v9, s8, v17 :: v_dual_mul_f32 v10, s5, v7
	v_mul_f32_e32 v7, s4, v7
	s_delay_alu instid0(VALU_DEP_3) | instskip(NEXT) | instid1(VALU_DEP_3)
	v_fma_f32 v8, v16, s8, -v8
	v_fma_f32 v10, v6, s4, -v10
	s_delay_alu instid0(VALU_DEP_4) | instskip(NEXT) | instid1(VALU_DEP_4)
	v_fmac_f32_e32 v9, s9, v16
	v_fmac_f32_e32 v7, s5, v6
	s_delay_alu instid0(VALU_DEP_1)
	v_dual_add_f32 v6, v8, v10 :: v_dual_add_f32 v7, v9, v7
	global_store_b64 v[0:1], v[6:7], off
.LBB687_17:
	s_or_b32 exec_lo, exec_lo, s1
	v_cmp_le_i32_e64 s0, v2, v3
	s_delay_alu instid0(VALU_DEP_1) | instskip(NEXT) | instid1(SALU_CYCLE_1)
	s_and_b32 s0, vcc_lo, s0
	s_and_saveexec_b32 s1, s0
	s_cbranch_execz .LBB687_19
; %bb.18:
	v_ashrrev_i32_e32 v3, 31, v2
	s_delay_alu instid0(VALU_DEP_1) | instskip(NEXT) | instid1(VALU_DEP_1)
	v_lshlrev_b64 v[0:1], 3, v[2:3]
	v_add_co_u32 v0, vcc_lo, v4, v0
	s_delay_alu instid0(VALU_DEP_2) | instskip(SKIP_4) | instid1(VALU_DEP_1)
	v_add_co_ci_u32_e32 v1, vcc_lo, v5, v1, vcc_lo
	global_load_b64 v[2:3], v[0:1], off
	s_waitcnt vmcnt(0)
	v_mul_f32_e32 v6, s5, v3
	v_mul_f32_e32 v3, s4, v3
	v_fmac_f32_e32 v3, s5, v2
	s_delay_alu instid0(VALU_DEP_3) | instskip(SKIP_1) | instid1(VALU_DEP_1)
	v_fma_f32 v6, v2, s4, -v6
	v_mul_f32_e32 v5, s8, v15
	v_dual_mul_f32 v4, s9, v15 :: v_dual_fmac_f32 v5, s9, v14
	s_delay_alu instid0(VALU_DEP_1) | instskip(NEXT) | instid1(VALU_DEP_1)
	v_fma_f32 v4, v14, s8, -v4
	v_dual_add_f32 v3, v5, v3 :: v_dual_add_f32 v2, v4, v6
	global_store_b64 v[0:1], v[2:3], off
.LBB687_19:
	s_nop 0
	s_sendmsg sendmsg(MSG_DEALLOC_VGPRS)
	s_endpgm
	.section	.rodata,"a",@progbits
	.p2align	6, 0x0
	.amdhsa_kernel _ZL34rocblas_syrkx_herkx_general_kernelIi19rocblas_complex_numIfELi16ELi32ELi8ELb0ELb0ELc84ELc85EKPKS1_KPS1_EviT_T0_PT8_S7_lSA_S7_lS8_PT9_S7_li
		.amdhsa_group_segment_fixed_size 4096
		.amdhsa_private_segment_fixed_size 0
		.amdhsa_kernarg_size 100
		.amdhsa_user_sgpr_count 13
		.amdhsa_user_sgpr_dispatch_ptr 0
		.amdhsa_user_sgpr_queue_ptr 0
		.amdhsa_user_sgpr_kernarg_segment_ptr 1
		.amdhsa_user_sgpr_dispatch_id 0
		.amdhsa_user_sgpr_private_segment_size 0
		.amdhsa_wavefront_size32 1
		.amdhsa_uses_dynamic_stack 0
		.amdhsa_enable_private_segment 0
		.amdhsa_system_sgpr_workgroup_id_x 1
		.amdhsa_system_sgpr_workgroup_id_y 1
		.amdhsa_system_sgpr_workgroup_id_z 1
		.amdhsa_system_sgpr_workgroup_info 0
		.amdhsa_system_vgpr_workitem_id 1
		.amdhsa_next_free_vgpr 59
		.amdhsa_next_free_sgpr 21
		.amdhsa_reserve_vcc 1
		.amdhsa_float_round_mode_32 0
		.amdhsa_float_round_mode_16_64 0
		.amdhsa_float_denorm_mode_32 3
		.amdhsa_float_denorm_mode_16_64 3
		.amdhsa_dx10_clamp 1
		.amdhsa_ieee_mode 1
		.amdhsa_fp16_overflow 0
		.amdhsa_workgroup_processor_mode 1
		.amdhsa_memory_ordered 1
		.amdhsa_forward_progress 0
		.amdhsa_shared_vgpr_count 0
		.amdhsa_exception_fp_ieee_invalid_op 0
		.amdhsa_exception_fp_denorm_src 0
		.amdhsa_exception_fp_ieee_div_zero 0
		.amdhsa_exception_fp_ieee_overflow 0
		.amdhsa_exception_fp_ieee_underflow 0
		.amdhsa_exception_fp_ieee_inexact 0
		.amdhsa_exception_int_div_zero 0
	.end_amdhsa_kernel
	.section	.text._ZL34rocblas_syrkx_herkx_general_kernelIi19rocblas_complex_numIfELi16ELi32ELi8ELb0ELb0ELc84ELc85EKPKS1_KPS1_EviT_T0_PT8_S7_lSA_S7_lS8_PT9_S7_li,"axG",@progbits,_ZL34rocblas_syrkx_herkx_general_kernelIi19rocblas_complex_numIfELi16ELi32ELi8ELb0ELb0ELc84ELc85EKPKS1_KPS1_EviT_T0_PT8_S7_lSA_S7_lS8_PT9_S7_li,comdat
.Lfunc_end687:
	.size	_ZL34rocblas_syrkx_herkx_general_kernelIi19rocblas_complex_numIfELi16ELi32ELi8ELb0ELb0ELc84ELc85EKPKS1_KPS1_EviT_T0_PT8_S7_lSA_S7_lS8_PT9_S7_li, .Lfunc_end687-_ZL34rocblas_syrkx_herkx_general_kernelIi19rocblas_complex_numIfELi16ELi32ELi8ELb0ELb0ELc84ELc85EKPKS1_KPS1_EviT_T0_PT8_S7_lSA_S7_lS8_PT9_S7_li
                                        ; -- End function
	.section	.AMDGPU.csdata,"",@progbits
; Kernel info:
; codeLenInByte = 2568
; NumSgprs: 23
; NumVgprs: 59
; ScratchSize: 0
; MemoryBound: 1
; FloatMode: 240
; IeeeMode: 1
; LDSByteSize: 4096 bytes/workgroup (compile time only)
; SGPRBlocks: 2
; VGPRBlocks: 7
; NumSGPRsForWavesPerEU: 23
; NumVGPRsForWavesPerEU: 59
; Occupancy: 16
; WaveLimiterHint : 1
; COMPUTE_PGM_RSRC2:SCRATCH_EN: 0
; COMPUTE_PGM_RSRC2:USER_SGPR: 13
; COMPUTE_PGM_RSRC2:TRAP_HANDLER: 0
; COMPUTE_PGM_RSRC2:TGID_X_EN: 1
; COMPUTE_PGM_RSRC2:TGID_Y_EN: 1
; COMPUTE_PGM_RSRC2:TGID_Z_EN: 1
; COMPUTE_PGM_RSRC2:TIDIG_COMP_CNT: 1
	.section	.text._ZL34rocblas_syrkx_herkx_general_kernelIi19rocblas_complex_numIfELi16ELi32ELi8ELb0ELb0ELc67ELc85EKPKS1_KPS1_EviT_T0_PT8_S7_lSA_S7_lS8_PT9_S7_li,"axG",@progbits,_ZL34rocblas_syrkx_herkx_general_kernelIi19rocblas_complex_numIfELi16ELi32ELi8ELb0ELb0ELc67ELc85EKPKS1_KPS1_EviT_T0_PT8_S7_lSA_S7_lS8_PT9_S7_li,comdat
	.globl	_ZL34rocblas_syrkx_herkx_general_kernelIi19rocblas_complex_numIfELi16ELi32ELi8ELb0ELb0ELc67ELc85EKPKS1_KPS1_EviT_T0_PT8_S7_lSA_S7_lS8_PT9_S7_li ; -- Begin function _ZL34rocblas_syrkx_herkx_general_kernelIi19rocblas_complex_numIfELi16ELi32ELi8ELb0ELb0ELc67ELc85EKPKS1_KPS1_EviT_T0_PT8_S7_lSA_S7_lS8_PT9_S7_li
	.p2align	8
	.type	_ZL34rocblas_syrkx_herkx_general_kernelIi19rocblas_complex_numIfELi16ELi32ELi8ELb0ELb0ELc67ELc85EKPKS1_KPS1_EviT_T0_PT8_S7_lSA_S7_lS8_PT9_S7_li,@function
_ZL34rocblas_syrkx_herkx_general_kernelIi19rocblas_complex_numIfELi16ELi32ELi8ELb0ELb0ELc67ELc85EKPKS1_KPS1_EviT_T0_PT8_S7_lSA_S7_lS8_PT9_S7_li: ; @_ZL34rocblas_syrkx_herkx_general_kernelIi19rocblas_complex_numIfELi16ELi32ELi8ELb0ELb0ELc67ELc85EKPKS1_KPS1_EviT_T0_PT8_S7_lSA_S7_lS8_PT9_S7_li
; %bb.0:
	s_clause 0x1
	s_load_b128 s[4:7], s[0:1], 0x40
	s_load_b64 s[16:17], s[0:1], 0x0
	s_mov_b32 s18, s15
	s_mov_b32 s19, 0
	v_dual_mov_b32 v22, 0 :: v_dual_and_b32 v7, 0x3ff, v0
	s_lshl_b64 s[2:3], s[18:19], 3
	v_bfe_u32 v8, v0, 10, 10
	v_dual_mov_b32 v21, 0 :: v_dual_mov_b32 v20, 0
	v_dual_mov_b32 v19, 0 :: v_dual_mov_b32 v18, 0
	;; [unrolled: 1-line block ×3, first 2 shown]
	v_mov_b32_e32 v15, 0
	s_waitcnt lgkmcnt(0)
	s_add_u32 s6, s6, s2
	s_addc_u32 s7, s7, s3
	s_load_b128 s[8:11], s[0:1], 0x8
	s_load_b64 s[6:7], s[6:7], 0x0
	s_lshl_b32 s12, s13, 5
	s_lshl_b32 s13, s14, 5
	s_cmp_lt_i32 s17, 1
	s_cbranch_scc1 .LBB688_9
; %bb.1:
	s_clause 0x1
	s_load_b64 s[14:15], s[0:1], 0x28
	s_load_b32 s18, s[0:1], 0x18
	v_lshl_add_u32 v0, v8, 4, v7
	s_load_b32 s20, s[0:1], 0x30
	v_and_b32_e32 v9, 7, v7
	v_dual_mov_b32 v17, 0 :: v_dual_lshlrev_b32 v10, 3, v7
	s_delay_alu instid0(VALU_DEP_3) | instskip(SKIP_3) | instid1(VALU_DEP_4)
	v_and_b32_e32 v2, 31, v0
	v_lshrrev_b32_e32 v3, 3, v0
	v_lshrrev_b32_e32 v12, 5, v0
	v_dual_mov_b32 v19, 0 :: v_dual_lshlrev_b32 v4, 3, v9
	v_dual_mov_b32 v16, 0 :: v_dual_add_nc_u32 v5, s12, v2
	s_delay_alu instid0(VALU_DEP_4) | instskip(NEXT) | instid1(VALU_DEP_3)
	v_add_nc_u32_e32 v6, s13, v3
	v_lshl_or_b32 v14, v3, 6, v4
	v_dual_mov_b32 v18, 0 :: v_dual_lshlrev_b32 v15, 3, v12
	v_lshl_add_u32 v11, v8, 6, 0x800
	v_mov_b32_e32 v20, 0
	s_waitcnt lgkmcnt(0)
	s_add_u32 s14, s14, s2
	s_addc_u32 s15, s15, s3
	s_add_u32 s2, s10, s2
	s_addc_u32 s3, s11, s3
	v_mad_i64_i32 v[0:1], null, s18, v5, 0
	s_load_b64 s[10:11], s[2:3], 0x0
	v_or_b32_e32 v5, s12, v2
	v_dual_mov_b32 v21, 0 :: v_dual_lshlrev_b32 v2, 3, v2
	s_load_b64 s[14:15], s[14:15], 0x0
	v_cmp_gt_i32_e64 s2, s16, v6
	s_delay_alu instid0(VALU_DEP_4) | instskip(NEXT) | instid1(VALU_DEP_3)
	v_lshlrev_b64 v[0:1], 3, v[0:1]
	v_lshl_or_b32 v13, v12, 8, v2
	v_mad_i64_i32 v[2:3], null, s20, v6, 0
	v_cmp_gt_i32_e32 vcc_lo, s16, v5
	v_add_nc_u32_e32 v14, 0x800, v14
	v_add_co_u32 v5, s3, v0, v15
	s_delay_alu instid0(VALU_DEP_1) | instskip(SKIP_4) | instid1(VALU_DEP_1)
	v_add_co_ci_u32_e64 v6, s3, 0, v1, s3
	v_lshlrev_b64 v[0:1], 3, v[2:3]
	v_dual_mov_b32 v15, 0 :: v_dual_mov_b32 v22, 0
	s_waitcnt lgkmcnt(0)
	v_add_co_u32 v2, s3, v5, s10
	v_add_co_ci_u32_e64 v3, s3, s11, v6, s3
	s_delay_alu instid0(VALU_DEP_4) | instskip(NEXT) | instid1(VALU_DEP_1)
	v_add_co_u32 v4, s3, v0, v4
	v_add_co_ci_u32_e64 v5, s3, 0, v1, s3
	s_delay_alu instid0(VALU_DEP_4) | instskip(NEXT) | instid1(VALU_DEP_1)
	;; [unrolled: 3-line block ×3, first 2 shown]
	v_add_co_u32 v2, s3, s14, v4
	v_add_co_ci_u32_e64 v3, s3, s15, v5, s3
	v_mov_b32_e32 v4, 0
	s_xor_b32 s3, s2, -1
	s_branch .LBB688_3
.LBB688_2:                              ;   in Loop: Header=BB688_3 Depth=1
	s_or_b32 exec_lo, exec_lo, s2
	s_waitcnt lgkmcnt(0)
	s_barrier
	buffer_gl0_inv
	ds_load_2addr_b64 v[23:26], v10 offset1:16
	ds_load_b128 v[27:30], v11
	ds_load_b128 v[31:34], v11 offset:1024
	ds_load_b128 v[35:38], v11 offset:16
	ds_load_b128 v[39:42], v11 offset:32
	ds_load_b128 v[43:46], v11 offset:48
	ds_load_2addr_b64 v[47:50], v10 offset0:32 offset1:48
	ds_load_b128 v[51:54], v11 offset:1040
	v_add_co_u32 v0, s2, v0, 64
	s_delay_alu instid0(VALU_DEP_1) | instskip(SKIP_1) | instid1(VALU_DEP_1)
	v_add_co_ci_u32_e64 v1, s2, 0, v1, s2
	v_add_co_u32 v2, s2, v2, 64
	v_add_co_ci_u32_e64 v3, s2, 0, v3, s2
	s_add_i32 s19, s19, 8
	s_delay_alu instid0(SALU_CYCLE_1)
	s_cmp_ge_i32 s19, s17
	s_waitcnt lgkmcnt(6)
	v_dual_mul_f32 v5, v28, v24 :: v_dual_mul_f32 v56, v27, v26
	v_dual_mul_f32 v6, v27, v24 :: v_dual_mul_f32 v55, v28, v26
	s_waitcnt lgkmcnt(5)
	v_mul_f32_e32 v57, v32, v24
	s_delay_alu instid0(VALU_DEP_3)
	v_fma_f32 v5, v27, v23, -v5
	v_fmac_f32_e32 v56, v28, v25
	v_fmac_f32_e32 v6, v28, v23
	v_fma_f32 v27, v27, v25, -v55
	v_mul_f32_e32 v58, v32, v26
	v_mul_f32_e32 v26, v31, v26
	v_fma_f32 v28, v31, v23, -v57
	v_dual_mul_f32 v24, v31, v24 :: v_dual_add_f32 v5, v21, v5
	s_delay_alu instid0(VALU_DEP_3) | instskip(NEXT) | instid1(VALU_DEP_3)
	v_dual_add_f32 v21, v19, v27 :: v_dual_fmac_f32 v26, v32, v25
	v_add_f32_e32 v27, v17, v28
	s_waitcnt lgkmcnt(1)
	v_mul_f32_e32 v28, v30, v48
	v_fmac_f32_e32 v24, v32, v23
	v_fma_f32 v23, v31, v25, -v58
	s_delay_alu instid0(VALU_DEP_3) | instskip(SKIP_1) | instid1(VALU_DEP_3)
	v_fma_f32 v25, v29, v47, -v28
	v_mul_f32_e32 v28, v30, v50
	v_dual_add_f32 v6, v22, v6 :: v_dual_add_f32 v15, v15, v23
	v_mul_f32_e32 v23, v29, v48
	s_delay_alu instid0(VALU_DEP_4) | instskip(NEXT) | instid1(VALU_DEP_4)
	v_dual_add_f32 v5, v5, v25 :: v_dual_add_f32 v22, v20, v56
	v_fma_f32 v25, v29, v49, -v28
	v_add_f32_e32 v24, v18, v24
	ds_load_2addr_b64 v[17:20], v10 offset0:64 offset1:80
	v_fmac_f32_e32 v23, v30, v47
	v_dual_mul_f32 v28, v34, v48 :: v_dual_add_f32 v25, v21, v25
	s_delay_alu instid0(VALU_DEP_2)
	v_dual_add_f32 v6, v6, v23 :: v_dual_mul_f32 v23, v33, v48
	v_add_f32_e32 v16, v16, v26
	v_mul_f32_e32 v26, v29, v50
	v_mul_f32_e32 v29, v33, v50
	v_fma_f32 v21, v33, v47, -v28
	v_fmac_f32_e32 v23, v34, v47
	s_delay_alu instid0(VALU_DEP_3) | instskip(SKIP_1) | instid1(VALU_DEP_4)
	v_fmac_f32_e32 v29, v34, v49
	v_fmac_f32_e32 v26, v30, v49
	v_add_f32_e32 v27, v27, v21
	s_delay_alu instid0(VALU_DEP_2) | instskip(SKIP_2) | instid1(VALU_DEP_1)
	v_dual_add_f32 v29, v16, v29 :: v_dual_add_f32 v26, v22, v26
	s_waitcnt lgkmcnt(0)
	v_mul_f32_e32 v22, v36, v18
	v_fma_f32 v31, v35, v17, -v22
	s_delay_alu instid0(VALU_DEP_1) | instskip(NEXT) | instid1(VALU_DEP_1)
	v_dual_add_f32 v5, v5, v31 :: v_dual_mul_f32 v32, v36, v20
	v_fma_f32 v31, v35, v19, -v32
	s_delay_alu instid0(VALU_DEP_1) | instskip(NEXT) | instid1(VALU_DEP_1)
	v_dual_mul_f32 v28, v34, v50 :: v_dual_add_f32 v25, v25, v31
	v_fma_f32 v21, v33, v49, -v28
	v_add_f32_e32 v28, v24, v23
	v_mul_f32_e32 v16, v35, v20
	v_mul_f32_e32 v31, v52, v20
	;; [unrolled: 1-line block ×3, first 2 shown]
	v_add_f32_e32 v15, v15, v21
	ds_load_2addr_b64 v[21:24], v10 offset0:96 offset1:112
	v_mul_f32_e32 v30, v35, v18
	v_fmac_f32_e32 v16, v36, v19
	v_fmac_f32_e32 v20, v52, v19
	s_delay_alu instid0(VALU_DEP_3) | instskip(NEXT) | instid1(VALU_DEP_3)
	v_fmac_f32_e32 v30, v36, v17
	v_add_f32_e32 v32, v26, v16
	s_delay_alu instid0(VALU_DEP_3) | instskip(SKIP_1) | instid1(VALU_DEP_4)
	v_add_f32_e32 v29, v29, v20
	v_fma_f32 v16, v51, v19, -v31
	v_add_f32_e32 v6, v6, v30
	s_delay_alu instid0(VALU_DEP_2) | instskip(SKIP_3) | instid1(VALU_DEP_3)
	v_dual_mul_f32 v30, v52, v18 :: v_dual_add_f32 v33, v15, v16
	s_waitcnt lgkmcnt(0)
	v_mul_f32_e32 v35, v54, v24
	v_mul_f32_e32 v20, v37, v24
	v_fma_f32 v30, v51, v17, -v30
	v_mul_f32_e32 v19, v38, v22
	s_delay_alu instid0(VALU_DEP_3) | instskip(NEXT) | instid1(VALU_DEP_2)
	v_fmac_f32_e32 v20, v38, v23
	v_fma_f32 v19, v37, v21, -v19
	s_delay_alu instid0(VALU_DEP_2) | instskip(SKIP_2) | instid1(VALU_DEP_4)
	v_add_f32_e32 v36, v32, v20
	v_fma_f32 v20, v53, v23, -v35
	v_dual_add_f32 v30, v27, v30 :: v_dual_mul_f32 v27, v38, v24
	v_add_f32_e32 v5, v5, v19
	v_dual_mul_f32 v19, v54, v22 :: v_dual_mul_f32 v24, v53, v24
	s_delay_alu instid0(VALU_DEP_3) | instskip(NEXT) | instid1(VALU_DEP_2)
	v_fma_f32 v27, v37, v23, -v27
	v_fma_f32 v19, v53, v21, -v19
	s_delay_alu instid0(VALU_DEP_3) | instskip(SKIP_1) | instid1(VALU_DEP_4)
	v_dual_fmac_f32 v24, v54, v23 :: v_dual_add_f32 v23, v33, v20
	v_mul_f32_e32 v18, v51, v18
	v_add_f32_e32 v34, v25, v27
	v_mul_f32_e32 v26, v37, v22
	v_dual_mul_f32 v22, v53, v22 :: v_dual_add_f32 v35, v30, v19
	v_add_f32_e32 v24, v29, v24
	s_delay_alu instid0(VALU_DEP_2) | instskip(SKIP_1) | instid1(VALU_DEP_1)
	v_fmac_f32_e32 v22, v54, v21
	v_fmac_f32_e32 v18, v52, v17
	v_add_f32_e32 v31, v28, v18
	ds_load_2addr_b64 v[15:18], v10 offset0:128 offset1:144
	v_add_f32_e32 v37, v31, v22
	s_waitcnt lgkmcnt(0)
	v_mul_f32_e32 v19, v40, v16
	v_mul_f32_e32 v31, v40, v18
	;; [unrolled: 1-line block ×3, first 2 shown]
	s_delay_alu instid0(VALU_DEP_3)
	v_fma_f32 v30, v39, v15, -v19
	v_fmac_f32_e32 v26, v38, v21
	ds_load_2addr_b64 v[19:22], v10 offset0:160 offset1:176
	v_mul_f32_e32 v38, v39, v18
	v_fma_f32 v39, v39, v17, -v31
	v_add_f32_e32 v5, v5, v30
	v_add_f32_e32 v6, v6, v26
	ds_load_b128 v[25:28], v11 offset:1056
	ds_load_b128 v[29:32], v11 offset:1072
	v_fmac_f32_e32 v38, v40, v17
	v_fmac_f32_e32 v33, v40, v15
	s_delay_alu instid0(VALU_DEP_2) | instskip(SKIP_3) | instid1(VALU_DEP_2)
	v_add_f32_e32 v36, v36, v38
	s_waitcnt lgkmcnt(1)
	v_dual_mul_f32 v38, v25, v18 :: v_dual_mul_f32 v47, v26, v16
	v_mul_f32_e32 v16, v25, v16
	v_fmac_f32_e32 v38, v26, v17
	s_delay_alu instid0(VALU_DEP_1) | instskip(SKIP_1) | instid1(VALU_DEP_1)
	v_add_f32_e32 v38, v24, v38
	v_mul_f32_e32 v24, v41, v22
	v_fmac_f32_e32 v24, v42, v21
	v_add_f32_e32 v6, v6, v33
	v_add_f32_e32 v33, v34, v39
	v_fma_f32 v34, v25, v15, -v47
	v_mul_f32_e32 v39, v26, v18
	v_mul_f32_e32 v18, v42, v20
	s_delay_alu instid0(VALU_DEP_3) | instskip(NEXT) | instid1(VALU_DEP_2)
	v_add_f32_e32 v34, v35, v34
	v_fma_f32 v35, v41, v19, -v18
	s_delay_alu instid0(VALU_DEP_1) | instskip(SKIP_3) | instid1(VALU_DEP_3)
	v_add_f32_e32 v5, v5, v35
	v_fmac_f32_e32 v16, v26, v15
	v_fma_f32 v15, v25, v17, -v39
	v_mul_f32_e32 v26, v41, v20
	v_add_f32_e32 v25, v37, v16
	s_delay_alu instid0(VALU_DEP_3) | instskip(SKIP_3) | instid1(VALU_DEP_2)
	v_add_f32_e32 v23, v23, v15
	ds_load_2addr_b64 v[15:18], v10 offset0:192 offset1:208
	v_mul_f32_e32 v37, v42, v22
	v_fmac_f32_e32 v26, v42, v19
	v_fma_f32 v35, v41, v21, -v37
	s_delay_alu instid0(VALU_DEP_2) | instskip(SKIP_1) | instid1(VALU_DEP_3)
	v_add_f32_e32 v6, v6, v26
	v_mul_f32_e32 v26, v28, v20
	v_dual_mul_f32 v20, v27, v20 :: v_dual_add_f32 v33, v33, v35
	v_mul_f32_e32 v35, v28, v22
	s_delay_alu instid0(VALU_DEP_3) | instskip(NEXT) | instid1(VALU_DEP_3)
	v_fma_f32 v26, v27, v19, -v26
	v_fmac_f32_e32 v20, v28, v19
	v_dual_add_f32 v19, v36, v24 :: v_dual_mul_f32 v22, v27, v22
	s_delay_alu instid0(VALU_DEP_4) | instskip(NEXT) | instid1(VALU_DEP_3)
	v_fma_f32 v24, v27, v21, -v35
	v_dual_add_f32 v27, v34, v26 :: v_dual_add_f32 v20, v25, v20
	s_waitcnt lgkmcnt(0)
	v_mul_f32_e32 v34, v44, v16
	s_delay_alu instid0(VALU_DEP_3)
	v_dual_fmac_f32 v22, v28, v21 :: v_dual_add_f32 v21, v23, v24
	ds_load_2addr_b64 v[23:26], v10 offset0:224 offset1:240
	v_mul_f32_e32 v28, v43, v16
	v_fma_f32 v34, v43, v15, -v34
	v_mul_f32_e32 v35, v44, v18
	v_mul_f32_e32 v36, v43, v18
	s_waitcnt lgkmcnt(0)
	s_delay_alu instid0(VALU_DEP_3) | instskip(SKIP_3) | instid1(VALU_DEP_4)
	v_dual_fmac_f32 v28, v44, v15 :: v_dual_add_f32 v5, v5, v34
	v_mul_f32_e32 v34, v30, v16
	v_fma_f32 v35, v43, v17, -v35
	v_fmac_f32_e32 v36, v44, v17
	v_add_f32_e32 v6, v6, v28
	v_mul_f32_e32 v16, v29, v16
	v_fma_f32 v28, v29, v15, -v34
	v_dual_mul_f32 v34, v30, v18 :: v_dual_add_f32 v33, v33, v35
	s_delay_alu instid0(VALU_DEP_3) | instskip(NEXT) | instid1(VALU_DEP_3)
	v_dual_add_f32 v35, v19, v36 :: v_dual_fmac_f32 v16, v30, v15
	v_dual_add_f32 v15, v27, v28 :: v_dual_mul_f32 v18, v29, v18
	s_delay_alu instid0(VALU_DEP_3) | instskip(SKIP_3) | instid1(VALU_DEP_4)
	v_fma_f32 v19, v29, v17, -v34
	v_mul_f32_e32 v27, v46, v24
	v_mul_f32_e32 v28, v45, v24
	v_add_f32_e32 v16, v20, v16
	v_dual_fmac_f32 v18, v30, v17 :: v_dual_add_f32 v29, v21, v19
	s_delay_alu instid0(VALU_DEP_4)
	v_fma_f32 v17, v45, v23, -v27
	v_mul_f32_e32 v19, v46, v26
	v_fmac_f32_e32 v28, v46, v23
	v_mul_f32_e32 v20, v45, v26
	s_barrier
	v_add_f32_e32 v21, v5, v17
	v_mul_f32_e32 v17, v32, v26
	v_fma_f32 v5, v45, v25, -v19
	v_fmac_f32_e32 v20, v46, v25
	buffer_gl0_inv
	v_dual_add_f32 v19, v33, v5 :: v_dual_add_f32 v22, v38, v22
	s_delay_alu instid0(VALU_DEP_1) | instskip(SKIP_4) | instid1(VALU_DEP_3)
	v_dual_add_f32 v20, v35, v20 :: v_dual_add_f32 v27, v22, v18
	v_add_f32_e32 v22, v6, v28
	v_mul_f32_e32 v6, v32, v24
	v_mul_f32_e32 v18, v31, v24
	;; [unrolled: 1-line block ×3, first 2 shown]
	v_fma_f32 v5, v31, v23, -v6
	s_delay_alu instid0(VALU_DEP_3) | instskip(SKIP_1) | instid1(VALU_DEP_4)
	v_fmac_f32_e32 v18, v32, v23
	v_fma_f32 v6, v31, v25, -v17
	v_fmac_f32_e32 v24, v32, v25
	s_delay_alu instid0(VALU_DEP_3) | instskip(NEXT) | instid1(VALU_DEP_2)
	v_dual_add_f32 v17, v15, v5 :: v_dual_add_f32 v18, v16, v18
	v_dual_add_f32 v15, v29, v6 :: v_dual_add_f32 v16, v27, v24
	s_cbranch_scc1 .LBB688_9
.LBB688_3:                              ; =>This Inner Loop Header: Depth=1
	v_dual_mov_b32 v6, 0 :: v_dual_add_nc_u32 v5, s19, v12
	s_delay_alu instid0(VALU_DEP_1) | instskip(SKIP_1) | instid1(VALU_DEP_2)
	v_cmp_gt_i32_e64 s2, s17, v5
	v_mov_b32_e32 v5, 0
	s_and_b32 s10, vcc_lo, s2
	s_delay_alu instid0(SALU_CYCLE_1)
	s_and_saveexec_b32 s2, s10
	s_cbranch_execz .LBB688_5
; %bb.4:                                ;   in Loop: Header=BB688_3 Depth=1
	global_load_b64 v[5:6], v[0:1], off offset:-4
.LBB688_5:                              ;   in Loop: Header=BB688_3 Depth=1
	s_or_b32 exec_lo, exec_lo, s2
	v_add_nc_u32_e32 v23, s19, v9
	s_waitcnt vmcnt(0)
	ds_store_b64 v13, v[5:6]
	v_cmp_le_i32_e64 s2, s17, v23
	s_delay_alu instid0(VALU_DEP_1) | instskip(NEXT) | instid1(SALU_CYCLE_1)
	s_or_b32 s2, s2, s3
	s_and_saveexec_b32 s10, s2
	s_delay_alu instid0(SALU_CYCLE_1)
	s_xor_b32 s2, exec_lo, s10
	s_cbranch_execz .LBB688_7
; %bb.6:                                ;   in Loop: Header=BB688_3 Depth=1
	v_mov_b32_e32 v5, v4
	ds_store_b64 v14, v[4:5]
.LBB688_7:                              ;   in Loop: Header=BB688_3 Depth=1
	s_and_not1_saveexec_b32 s2, s2
	s_cbranch_execz .LBB688_2
; %bb.8:                                ;   in Loop: Header=BB688_3 Depth=1
	global_load_b64 v[5:6], v[2:3], off
	s_waitcnt vmcnt(0)
	ds_store_b64 v14, v[5:6]
	s_branch .LBB688_2
.LBB688_9:
	s_load_b32 s2, s[0:1], 0x50
	v_add_nc_u32_e32 v4, s13, v8
	v_add_nc_u32_e32 v0, s12, v7
	s_delay_alu instid0(VALU_DEP_2) | instskip(NEXT) | instid1(VALU_DEP_2)
	v_cmp_gt_i32_e32 vcc_lo, s16, v4
	v_cmp_le_i32_e64 s0, v0, v4
	s_delay_alu instid0(VALU_DEP_1) | instskip(SKIP_2) | instid1(VALU_DEP_1)
	s_and_b32 s0, vcc_lo, s0
	s_waitcnt lgkmcnt(0)
	v_mad_i64_i32 v[1:2], null, v4, s2, 0
	v_lshlrev_b64 v[1:2], 3, v[1:2]
	s_delay_alu instid0(VALU_DEP_1) | instskip(NEXT) | instid1(VALU_DEP_1)
	v_add_co_u32 v5, s1, s6, v1
	v_add_co_ci_u32_e64 v6, s1, s7, v2, s1
	s_and_saveexec_b32 s1, s0
	s_cbranch_execz .LBB688_11
; %bb.10:
	v_ashrrev_i32_e32 v1, 31, v0
	s_delay_alu instid0(VALU_DEP_1) | instskip(NEXT) | instid1(VALU_DEP_1)
	v_lshlrev_b64 v[1:2], 3, v[0:1]
	v_add_co_u32 v1, s0, v5, v1
	s_delay_alu instid0(VALU_DEP_1)
	v_add_co_ci_u32_e64 v2, s0, v6, v2, s0
	global_load_b64 v[7:8], v[1:2], off
	v_mul_f32_e32 v3, s9, v22
	s_waitcnt vmcnt(0)
	v_dual_mul_f32 v9, s8, v22 :: v_dual_mul_f32 v10, s5, v8
	v_mul_f32_e32 v8, s4, v8
	s_delay_alu instid0(VALU_DEP_3) | instskip(NEXT) | instid1(VALU_DEP_3)
	v_fma_f32 v3, v21, s8, -v3
	v_fmac_f32_e32 v9, s9, v21
	s_delay_alu instid0(VALU_DEP_4) | instskip(NEXT) | instid1(VALU_DEP_1)
	v_fma_f32 v10, v7, s4, -v10
	v_dual_fmac_f32 v8, s5, v7 :: v_dual_add_f32 v7, v3, v10
	s_delay_alu instid0(VALU_DEP_1)
	v_add_f32_e32 v8, v9, v8
	global_store_b64 v[1:2], v[7:8], off
.LBB688_11:
	s_or_b32 exec_lo, exec_lo, s1
	v_add_nc_u32_e32 v2, 16, v0
	s_delay_alu instid0(VALU_DEP_1) | instskip(NEXT) | instid1(VALU_DEP_1)
	v_cmp_le_i32_e64 s0, v2, v4
	s_and_b32 s1, vcc_lo, s0
	s_delay_alu instid0(SALU_CYCLE_1)
	s_and_saveexec_b32 s0, s1
	s_cbranch_execz .LBB688_13
; %bb.12:
	v_ashrrev_i32_e32 v3, 31, v2
	s_delay_alu instid0(VALU_DEP_1) | instskip(SKIP_1) | instid1(VALU_DEP_2)
	v_lshlrev_b64 v[7:8], 3, v[2:3]
	v_mul_f32_e32 v3, s8, v20
	v_add_co_u32 v5, vcc_lo, v5, v7
	s_delay_alu instid0(VALU_DEP_3) | instskip(NEXT) | instid1(VALU_DEP_3)
	v_add_co_ci_u32_e32 v6, vcc_lo, v6, v8, vcc_lo
	v_fmac_f32_e32 v3, s9, v19
	global_load_b64 v[7:8], v[5:6], off
	s_waitcnt vmcnt(0)
	v_mul_f32_e32 v9, s5, v8
	v_mul_f32_e32 v8, s4, v8
	;; [unrolled: 1-line block ×3, first 2 shown]
	s_delay_alu instid0(VALU_DEP_3) | instskip(NEXT) | instid1(VALU_DEP_3)
	v_fma_f32 v9, v7, s4, -v9
	v_fmac_f32_e32 v8, s5, v7
	s_delay_alu instid0(VALU_DEP_3) | instskip(NEXT) | instid1(VALU_DEP_1)
	v_fma_f32 v1, v19, s8, -v1
	v_dual_add_f32 v8, v3, v8 :: v_dual_add_f32 v7, v1, v9
	global_store_b64 v[5:6], v[7:8], off
.LBB688_13:
	s_or_b32 exec_lo, exec_lo, s0
	v_add_nc_u32_e32 v3, 16, v4
	s_delay_alu instid0(VALU_DEP_1) | instskip(SKIP_2) | instid1(VALU_DEP_1)
	v_mad_i64_i32 v[4:5], null, v3, s2, 0
	v_cmp_gt_i32_e32 vcc_lo, s16, v3
	v_cmp_le_i32_e64 s0, v0, v3
	s_and_b32 s0, vcc_lo, s0
	s_delay_alu instid0(VALU_DEP_3) | instskip(NEXT) | instid1(VALU_DEP_1)
	v_lshlrev_b64 v[4:5], 3, v[4:5]
	v_add_co_u32 v4, s1, s6, v4
	s_delay_alu instid0(VALU_DEP_1)
	v_add_co_ci_u32_e64 v5, s1, s7, v5, s1
	s_and_saveexec_b32 s1, s0
	s_cbranch_execz .LBB688_15
; %bb.14:
	v_ashrrev_i32_e32 v1, 31, v0
	s_delay_alu instid0(VALU_DEP_1) | instskip(NEXT) | instid1(VALU_DEP_1)
	v_lshlrev_b64 v[0:1], 3, v[0:1]
	v_add_co_u32 v0, s0, v4, v0
	s_delay_alu instid0(VALU_DEP_1)
	v_add_co_ci_u32_e64 v1, s0, v5, v1, s0
	global_load_b64 v[6:7], v[0:1], off
	v_mul_f32_e32 v8, s9, v18
	s_waitcnt vmcnt(0)
	v_dual_mul_f32 v9, s8, v18 :: v_dual_mul_f32 v10, s5, v7
	v_mul_f32_e32 v7, s4, v7
	s_delay_alu instid0(VALU_DEP_3) | instskip(NEXT) | instid1(VALU_DEP_3)
	v_fma_f32 v8, v17, s8, -v8
	v_fma_f32 v10, v6, s4, -v10
	s_delay_alu instid0(VALU_DEP_4) | instskip(NEXT) | instid1(VALU_DEP_4)
	v_fmac_f32_e32 v9, s9, v17
	v_fmac_f32_e32 v7, s5, v6
	s_delay_alu instid0(VALU_DEP_1)
	v_dual_add_f32 v6, v8, v10 :: v_dual_add_f32 v7, v9, v7
	global_store_b64 v[0:1], v[6:7], off
.LBB688_15:
	s_or_b32 exec_lo, exec_lo, s1
	v_cmp_le_i32_e64 s0, v2, v3
	s_delay_alu instid0(VALU_DEP_1) | instskip(NEXT) | instid1(SALU_CYCLE_1)
	s_and_b32 s0, vcc_lo, s0
	s_and_saveexec_b32 s1, s0
	s_cbranch_execz .LBB688_17
; %bb.16:
	v_ashrrev_i32_e32 v3, 31, v2
	s_delay_alu instid0(VALU_DEP_1) | instskip(NEXT) | instid1(VALU_DEP_1)
	v_lshlrev_b64 v[0:1], 3, v[2:3]
	v_add_co_u32 v0, vcc_lo, v4, v0
	s_delay_alu instid0(VALU_DEP_2)
	v_add_co_ci_u32_e32 v1, vcc_lo, v5, v1, vcc_lo
	global_load_b64 v[2:3], v[0:1], off
	v_mul_f32_e32 v4, s9, v16
	s_waitcnt vmcnt(0)
	v_dual_mul_f32 v5, s8, v16 :: v_dual_mul_f32 v6, s5, v3
	v_mul_f32_e32 v3, s4, v3
	s_delay_alu instid0(VALU_DEP_3) | instskip(NEXT) | instid1(VALU_DEP_3)
	v_fma_f32 v4, v15, s8, -v4
	v_fma_f32 v6, v2, s4, -v6
	s_delay_alu instid0(VALU_DEP_4) | instskip(NEXT) | instid1(VALU_DEP_4)
	v_fmac_f32_e32 v5, s9, v15
	v_fmac_f32_e32 v3, s5, v2
	s_delay_alu instid0(VALU_DEP_1)
	v_dual_add_f32 v2, v4, v6 :: v_dual_add_f32 v3, v5, v3
	global_store_b64 v[0:1], v[2:3], off
.LBB688_17:
	s_nop 0
	s_sendmsg sendmsg(MSG_DEALLOC_VGPRS)
	s_endpgm
	.section	.rodata,"a",@progbits
	.p2align	6, 0x0
	.amdhsa_kernel _ZL34rocblas_syrkx_herkx_general_kernelIi19rocblas_complex_numIfELi16ELi32ELi8ELb0ELb0ELc67ELc85EKPKS1_KPS1_EviT_T0_PT8_S7_lSA_S7_lS8_PT9_S7_li
		.amdhsa_group_segment_fixed_size 4096
		.amdhsa_private_segment_fixed_size 0
		.amdhsa_kernarg_size 100
		.amdhsa_user_sgpr_count 13
		.amdhsa_user_sgpr_dispatch_ptr 0
		.amdhsa_user_sgpr_queue_ptr 0
		.amdhsa_user_sgpr_kernarg_segment_ptr 1
		.amdhsa_user_sgpr_dispatch_id 0
		.amdhsa_user_sgpr_private_segment_size 0
		.amdhsa_wavefront_size32 1
		.amdhsa_uses_dynamic_stack 0
		.amdhsa_enable_private_segment 0
		.amdhsa_system_sgpr_workgroup_id_x 1
		.amdhsa_system_sgpr_workgroup_id_y 1
		.amdhsa_system_sgpr_workgroup_id_z 1
		.amdhsa_system_sgpr_workgroup_info 0
		.amdhsa_system_vgpr_workitem_id 1
		.amdhsa_next_free_vgpr 59
		.amdhsa_next_free_sgpr 21
		.amdhsa_reserve_vcc 1
		.amdhsa_float_round_mode_32 0
		.amdhsa_float_round_mode_16_64 0
		.amdhsa_float_denorm_mode_32 3
		.amdhsa_float_denorm_mode_16_64 3
		.amdhsa_dx10_clamp 1
		.amdhsa_ieee_mode 1
		.amdhsa_fp16_overflow 0
		.amdhsa_workgroup_processor_mode 1
		.amdhsa_memory_ordered 1
		.amdhsa_forward_progress 0
		.amdhsa_shared_vgpr_count 0
		.amdhsa_exception_fp_ieee_invalid_op 0
		.amdhsa_exception_fp_denorm_src 0
		.amdhsa_exception_fp_ieee_div_zero 0
		.amdhsa_exception_fp_ieee_overflow 0
		.amdhsa_exception_fp_ieee_underflow 0
		.amdhsa_exception_fp_ieee_inexact 0
		.amdhsa_exception_int_div_zero 0
	.end_amdhsa_kernel
	.section	.text._ZL34rocblas_syrkx_herkx_general_kernelIi19rocblas_complex_numIfELi16ELi32ELi8ELb0ELb0ELc67ELc85EKPKS1_KPS1_EviT_T0_PT8_S7_lSA_S7_lS8_PT9_S7_li,"axG",@progbits,_ZL34rocblas_syrkx_herkx_general_kernelIi19rocblas_complex_numIfELi16ELi32ELi8ELb0ELb0ELc67ELc85EKPKS1_KPS1_EviT_T0_PT8_S7_lSA_S7_lS8_PT9_S7_li,comdat
.Lfunc_end688:
	.size	_ZL34rocblas_syrkx_herkx_general_kernelIi19rocblas_complex_numIfELi16ELi32ELi8ELb0ELb0ELc67ELc85EKPKS1_KPS1_EviT_T0_PT8_S7_lSA_S7_lS8_PT9_S7_li, .Lfunc_end688-_ZL34rocblas_syrkx_herkx_general_kernelIi19rocblas_complex_numIfELi16ELi32ELi8ELb0ELb0ELc67ELc85EKPKS1_KPS1_EviT_T0_PT8_S7_lSA_S7_lS8_PT9_S7_li
                                        ; -- End function
	.section	.AMDGPU.csdata,"",@progbits
; Kernel info:
; codeLenInByte = 2592
; NumSgprs: 23
; NumVgprs: 59
; ScratchSize: 0
; MemoryBound: 1
; FloatMode: 240
; IeeeMode: 1
; LDSByteSize: 4096 bytes/workgroup (compile time only)
; SGPRBlocks: 2
; VGPRBlocks: 7
; NumSGPRsForWavesPerEU: 23
; NumVGPRsForWavesPerEU: 59
; Occupancy: 16
; WaveLimiterHint : 1
; COMPUTE_PGM_RSRC2:SCRATCH_EN: 0
; COMPUTE_PGM_RSRC2:USER_SGPR: 13
; COMPUTE_PGM_RSRC2:TRAP_HANDLER: 0
; COMPUTE_PGM_RSRC2:TGID_X_EN: 1
; COMPUTE_PGM_RSRC2:TGID_Y_EN: 1
; COMPUTE_PGM_RSRC2:TGID_Z_EN: 1
; COMPUTE_PGM_RSRC2:TIDIG_COMP_CNT: 1
	.section	.text._ZL34rocblas_syrkx_herkx_general_kernelIi19rocblas_complex_numIfELi16ELi32ELi8ELb0ELb0ELc78ELc85EKPKS1_KPS1_EviT_T0_PT8_S7_lSA_S7_lS8_PT9_S7_li,"axG",@progbits,_ZL34rocblas_syrkx_herkx_general_kernelIi19rocblas_complex_numIfELi16ELi32ELi8ELb0ELb0ELc78ELc85EKPKS1_KPS1_EviT_T0_PT8_S7_lSA_S7_lS8_PT9_S7_li,comdat
	.globl	_ZL34rocblas_syrkx_herkx_general_kernelIi19rocblas_complex_numIfELi16ELi32ELi8ELb0ELb0ELc78ELc85EKPKS1_KPS1_EviT_T0_PT8_S7_lSA_S7_lS8_PT9_S7_li ; -- Begin function _ZL34rocblas_syrkx_herkx_general_kernelIi19rocblas_complex_numIfELi16ELi32ELi8ELb0ELb0ELc78ELc85EKPKS1_KPS1_EviT_T0_PT8_S7_lSA_S7_lS8_PT9_S7_li
	.p2align	8
	.type	_ZL34rocblas_syrkx_herkx_general_kernelIi19rocblas_complex_numIfELi16ELi32ELi8ELb0ELb0ELc78ELc85EKPKS1_KPS1_EviT_T0_PT8_S7_lSA_S7_lS8_PT9_S7_li,@function
_ZL34rocblas_syrkx_herkx_general_kernelIi19rocblas_complex_numIfELi16ELi32ELi8ELb0ELb0ELc78ELc85EKPKS1_KPS1_EviT_T0_PT8_S7_lSA_S7_lS8_PT9_S7_li: ; @_ZL34rocblas_syrkx_herkx_general_kernelIi19rocblas_complex_numIfELi16ELi32ELi8ELb0ELb0ELc78ELc85EKPKS1_KPS1_EviT_T0_PT8_S7_lSA_S7_lS8_PT9_S7_li
; %bb.0:
	s_clause 0x1
	s_load_b128 s[4:7], s[0:1], 0x40
	s_load_b64 s[16:17], s[0:1], 0x0
	s_mov_b32 s18, s15
	s_mov_b32 s19, 0
	v_dual_mov_b32 v22, 0 :: v_dual_and_b32 v7, 0x3ff, v0
	s_lshl_b64 s[20:21], s[18:19], 3
	v_bfe_u32 v8, v0, 10, 10
	v_dual_mov_b32 v21, 0 :: v_dual_mov_b32 v20, 0
	v_dual_mov_b32 v19, 0 :: v_dual_mov_b32 v18, 0
	;; [unrolled: 1-line block ×3, first 2 shown]
	v_mov_b32_e32 v15, 0
	s_waitcnt lgkmcnt(0)
	s_add_u32 s2, s6, s20
	s_addc_u32 s3, s7, s21
	s_load_b128 s[8:11], s[0:1], 0x8
	s_load_b64 s[6:7], s[2:3], 0x0
	s_lshl_b32 s18, s13, 5
	s_lshl_b32 s22, s14, 5
	s_cmp_lt_i32 s17, 1
	s_cbranch_scc1 .LBB689_9
; %bb.1:
	s_clause 0x2
	s_load_b32 s12, s[0:1], 0x18
	s_load_b32 s14, s[0:1], 0x30
	s_load_b64 s[24:25], s[0:1], 0x28
	v_lshl_add_u32 v0, v8, 4, v7
	v_and_b32_e32 v9, 7, v7
	v_dual_mov_b32 v22, 0 :: v_dual_lshlrev_b32 v13, 3, v7
	s_delay_alu instid0(VALU_DEP_3) | instskip(SKIP_3) | instid1(VALU_DEP_4)
	v_dual_mov_b32 v18, 0 :: v_dual_and_b32 v1, 31, v0
	v_lshrrev_b32_e32 v2, 3, v0
	v_lshrrev_b32_e32 v10, 5, v0
	v_dual_mov_b32 v20, 0 :: v_dual_lshlrev_b32 v3, 3, v9
	v_or_b32_e32 v4, s18, v1
	v_lshlrev_b32_e32 v5, 3, v1
	v_add_nc_u32_e32 v0, s22, v2
	s_delay_alu instid0(VALU_DEP_4)
	v_lshl_or_b32 v3, v2, 6, v3
	v_dual_mov_b32 v17, 0 :: v_dual_add_nc_u32 v2, s18, v1
	v_cmp_gt_i32_e64 s2, s16, v4
	s_waitcnt lgkmcnt(0)
	s_ashr_i32 s13, s12, 31
	s_ashr_i32 s15, s14, 31
	s_add_u32 s24, s24, s20
	s_addc_u32 s25, s25, s21
	s_add_u32 s10, s10, s20
	v_lshl_or_b32 v11, v10, 8, v5
	v_mad_i64_i32 v[4:5], null, s14, v9, 0
	s_addc_u32 s11, s11, s21
	s_load_b64 s[20:21], s[24:25], 0x0
	s_load_b64 s[10:11], s[10:11], 0x0
	v_ashrrev_i32_e32 v1, 31, v0
	v_mad_i64_i32 v[15:16], null, v10, s12, 0
	v_dual_mov_b32 v19, 0 :: v_dual_add_nc_u32 v12, 0x800, v3
	v_ashrrev_i32_e32 v3, 31, v2
	v_cmp_gt_i32_e32 vcc_lo, s16, v0
	v_lshlrev_b64 v[4:5], 3, v[4:5]
	v_lshlrev_b64 v[0:1], 3, v[0:1]
	v_lshlrev_b64 v[15:16], 3, v[15:16]
	v_lshlrev_b64 v[2:3], 3, v[2:3]
	v_lshl_add_u32 v14, v8, 6, 0x800
	v_mov_b32_e32 v21, 0
	v_add_co_u32 v0, s3, v4, v0
	s_delay_alu instid0(VALU_DEP_1) | instskip(SKIP_1) | instid1(VALU_DEP_1)
	v_add_co_ci_u32_e64 v1, s3, v5, v1, s3
	v_add_co_u32 v2, s3, v15, v2
	v_add_co_ci_u32_e64 v3, s3, v16, v3, s3
	s_waitcnt lgkmcnt(0)
	v_add_co_u32 v4, s3, v0, s20
	s_delay_alu instid0(VALU_DEP_1) | instskip(SKIP_1) | instid1(VALU_DEP_1)
	v_add_co_ci_u32_e64 v5, s3, s21, v1, s3
	v_add_co_u32 v0, s3, s10, v2
	v_add_co_ci_u32_e64 v1, s3, s11, v3, s3
	s_delay_alu instid0(VALU_DEP_4) | instskip(NEXT) | instid1(VALU_DEP_1)
	v_add_co_u32 v2, s3, v4, 4
	v_add_co_ci_u32_e64 v3, s3, 0, v5, s3
	v_mov_b32_e32 v4, 0
	v_dual_mov_b32 v16, 0 :: v_dual_mov_b32 v15, 0
	s_lshl_b64 s[10:11], s[12:13], 6
	s_lshl_b64 s[12:13], s[14:15], 6
	s_xor_b32 s3, s2, -1
	s_branch .LBB689_3
.LBB689_2:                              ;   in Loop: Header=BB689_3 Depth=1
	s_or_b32 exec_lo, exec_lo, s2
	s_waitcnt vmcnt(0)
	ds_store_b64 v12, v[5:6]
	s_waitcnt lgkmcnt(0)
	s_barrier
	buffer_gl0_inv
	ds_load_2addr_b64 v[23:26], v13 offset1:16
	ds_load_b128 v[27:30], v14
	ds_load_b128 v[31:34], v14 offset:1024
	ds_load_b128 v[35:38], v14 offset:16
	;; [unrolled: 1-line block ×4, first 2 shown]
	ds_load_2addr_b64 v[47:50], v13 offset0:32 offset1:48
	ds_load_b128 v[51:54], v14 offset:1040
	v_add_co_u32 v0, s2, v0, s10
	s_delay_alu instid0(VALU_DEP_1) | instskip(SKIP_1) | instid1(VALU_DEP_1)
	v_add_co_ci_u32_e64 v1, s2, s11, v1, s2
	v_add_co_u32 v2, s2, v2, s12
	v_add_co_ci_u32_e64 v3, s2, s13, v3, s2
	s_add_i32 s19, s19, 8
	s_delay_alu instid0(SALU_CYCLE_1)
	s_cmp_ge_i32 s19, s17
	s_waitcnt lgkmcnt(6)
	v_dual_mul_f32 v5, v28, v24 :: v_dual_mul_f32 v56, v27, v26
	v_dual_mul_f32 v6, v27, v24 :: v_dual_mul_f32 v55, v28, v26
	s_waitcnt lgkmcnt(5)
	v_mul_f32_e32 v57, v32, v24
	s_delay_alu instid0(VALU_DEP_3)
	v_fma_f32 v5, v27, v23, -v5
	v_fmac_f32_e32 v56, v28, v25
	v_fmac_f32_e32 v6, v28, v23
	v_fma_f32 v27, v27, v25, -v55
	v_mul_f32_e32 v58, v32, v26
	v_mul_f32_e32 v26, v31, v26
	v_fma_f32 v28, v31, v23, -v57
	v_dual_mul_f32 v24, v31, v24 :: v_dual_add_f32 v5, v21, v5
	s_delay_alu instid0(VALU_DEP_3) | instskip(NEXT) | instid1(VALU_DEP_3)
	v_dual_add_f32 v21, v19, v27 :: v_dual_fmac_f32 v26, v32, v25
	v_add_f32_e32 v27, v17, v28
	s_waitcnt lgkmcnt(1)
	v_mul_f32_e32 v28, v30, v48
	v_fmac_f32_e32 v24, v32, v23
	v_fma_f32 v23, v31, v25, -v58
	s_delay_alu instid0(VALU_DEP_3) | instskip(SKIP_1) | instid1(VALU_DEP_3)
	v_fma_f32 v25, v29, v47, -v28
	v_mul_f32_e32 v28, v30, v50
	v_dual_add_f32 v6, v22, v6 :: v_dual_add_f32 v15, v15, v23
	v_mul_f32_e32 v23, v29, v48
	s_delay_alu instid0(VALU_DEP_4) | instskip(NEXT) | instid1(VALU_DEP_4)
	v_dual_add_f32 v5, v5, v25 :: v_dual_add_f32 v22, v20, v56
	v_fma_f32 v25, v29, v49, -v28
	v_add_f32_e32 v24, v18, v24
	ds_load_2addr_b64 v[17:20], v13 offset0:64 offset1:80
	v_fmac_f32_e32 v23, v30, v47
	v_dual_mul_f32 v28, v34, v48 :: v_dual_add_f32 v25, v21, v25
	s_delay_alu instid0(VALU_DEP_2)
	v_dual_add_f32 v6, v6, v23 :: v_dual_mul_f32 v23, v33, v48
	v_add_f32_e32 v16, v16, v26
	v_mul_f32_e32 v26, v29, v50
	v_mul_f32_e32 v29, v33, v50
	v_fma_f32 v21, v33, v47, -v28
	v_fmac_f32_e32 v23, v34, v47
	s_delay_alu instid0(VALU_DEP_3) | instskip(SKIP_1) | instid1(VALU_DEP_4)
	v_fmac_f32_e32 v29, v34, v49
	v_fmac_f32_e32 v26, v30, v49
	v_add_f32_e32 v27, v27, v21
	s_delay_alu instid0(VALU_DEP_2) | instskip(SKIP_2) | instid1(VALU_DEP_1)
	v_dual_add_f32 v29, v16, v29 :: v_dual_add_f32 v26, v22, v26
	s_waitcnt lgkmcnt(0)
	v_mul_f32_e32 v22, v36, v18
	v_fma_f32 v31, v35, v17, -v22
	s_delay_alu instid0(VALU_DEP_1) | instskip(NEXT) | instid1(VALU_DEP_1)
	v_dual_add_f32 v5, v5, v31 :: v_dual_mul_f32 v32, v36, v20
	v_fma_f32 v31, v35, v19, -v32
	s_delay_alu instid0(VALU_DEP_1) | instskip(NEXT) | instid1(VALU_DEP_1)
	v_dual_mul_f32 v28, v34, v50 :: v_dual_add_f32 v25, v25, v31
	v_fma_f32 v21, v33, v49, -v28
	v_add_f32_e32 v28, v24, v23
	v_mul_f32_e32 v16, v35, v20
	v_mul_f32_e32 v31, v52, v20
	;; [unrolled: 1-line block ×3, first 2 shown]
	v_add_f32_e32 v15, v15, v21
	ds_load_2addr_b64 v[21:24], v13 offset0:96 offset1:112
	v_mul_f32_e32 v30, v35, v18
	v_fmac_f32_e32 v16, v36, v19
	v_fmac_f32_e32 v20, v52, v19
	s_delay_alu instid0(VALU_DEP_3) | instskip(NEXT) | instid1(VALU_DEP_3)
	v_fmac_f32_e32 v30, v36, v17
	v_add_f32_e32 v32, v26, v16
	s_delay_alu instid0(VALU_DEP_3) | instskip(SKIP_1) | instid1(VALU_DEP_4)
	v_add_f32_e32 v29, v29, v20
	v_fma_f32 v16, v51, v19, -v31
	v_add_f32_e32 v6, v6, v30
	s_delay_alu instid0(VALU_DEP_2) | instskip(SKIP_3) | instid1(VALU_DEP_3)
	v_dual_mul_f32 v30, v52, v18 :: v_dual_add_f32 v33, v15, v16
	s_waitcnt lgkmcnt(0)
	v_mul_f32_e32 v35, v54, v24
	v_mul_f32_e32 v20, v37, v24
	v_fma_f32 v30, v51, v17, -v30
	v_mul_f32_e32 v19, v38, v22
	s_delay_alu instid0(VALU_DEP_3) | instskip(NEXT) | instid1(VALU_DEP_2)
	v_fmac_f32_e32 v20, v38, v23
	v_fma_f32 v19, v37, v21, -v19
	s_delay_alu instid0(VALU_DEP_2) | instskip(SKIP_2) | instid1(VALU_DEP_4)
	v_add_f32_e32 v36, v32, v20
	v_fma_f32 v20, v53, v23, -v35
	v_dual_add_f32 v30, v27, v30 :: v_dual_mul_f32 v27, v38, v24
	v_add_f32_e32 v5, v5, v19
	v_dual_mul_f32 v19, v54, v22 :: v_dual_mul_f32 v24, v53, v24
	s_delay_alu instid0(VALU_DEP_3) | instskip(NEXT) | instid1(VALU_DEP_2)
	v_fma_f32 v27, v37, v23, -v27
	v_fma_f32 v19, v53, v21, -v19
	s_delay_alu instid0(VALU_DEP_3) | instskip(SKIP_1) | instid1(VALU_DEP_4)
	v_dual_fmac_f32 v24, v54, v23 :: v_dual_add_f32 v23, v33, v20
	v_mul_f32_e32 v18, v51, v18
	v_add_f32_e32 v34, v25, v27
	v_mul_f32_e32 v26, v37, v22
	v_dual_mul_f32 v22, v53, v22 :: v_dual_add_f32 v35, v30, v19
	v_add_f32_e32 v24, v29, v24
	s_delay_alu instid0(VALU_DEP_2) | instskip(SKIP_1) | instid1(VALU_DEP_1)
	v_fmac_f32_e32 v22, v54, v21
	v_fmac_f32_e32 v18, v52, v17
	v_add_f32_e32 v31, v28, v18
	ds_load_2addr_b64 v[15:18], v13 offset0:128 offset1:144
	v_add_f32_e32 v37, v31, v22
	s_waitcnt lgkmcnt(0)
	v_mul_f32_e32 v19, v40, v16
	v_mul_f32_e32 v31, v40, v18
	v_mul_f32_e32 v33, v39, v16
	s_delay_alu instid0(VALU_DEP_3)
	v_fma_f32 v30, v39, v15, -v19
	v_fmac_f32_e32 v26, v38, v21
	ds_load_2addr_b64 v[19:22], v13 offset0:160 offset1:176
	v_mul_f32_e32 v38, v39, v18
	v_fma_f32 v39, v39, v17, -v31
	v_add_f32_e32 v5, v5, v30
	v_add_f32_e32 v6, v6, v26
	ds_load_b128 v[25:28], v14 offset:1056
	ds_load_b128 v[29:32], v14 offset:1072
	v_fmac_f32_e32 v38, v40, v17
	v_fmac_f32_e32 v33, v40, v15
	s_delay_alu instid0(VALU_DEP_2) | instskip(SKIP_3) | instid1(VALU_DEP_2)
	v_add_f32_e32 v36, v36, v38
	s_waitcnt lgkmcnt(1)
	v_dual_mul_f32 v38, v25, v18 :: v_dual_mul_f32 v47, v26, v16
	v_mul_f32_e32 v16, v25, v16
	v_fmac_f32_e32 v38, v26, v17
	s_delay_alu instid0(VALU_DEP_1) | instskip(SKIP_1) | instid1(VALU_DEP_1)
	v_add_f32_e32 v38, v24, v38
	v_mul_f32_e32 v24, v41, v22
	v_fmac_f32_e32 v24, v42, v21
	v_add_f32_e32 v6, v6, v33
	v_add_f32_e32 v33, v34, v39
	v_fma_f32 v34, v25, v15, -v47
	v_mul_f32_e32 v39, v26, v18
	v_mul_f32_e32 v18, v42, v20
	s_delay_alu instid0(VALU_DEP_3) | instskip(NEXT) | instid1(VALU_DEP_2)
	v_add_f32_e32 v34, v35, v34
	v_fma_f32 v35, v41, v19, -v18
	s_delay_alu instid0(VALU_DEP_1) | instskip(SKIP_3) | instid1(VALU_DEP_3)
	v_add_f32_e32 v5, v5, v35
	v_fmac_f32_e32 v16, v26, v15
	v_fma_f32 v15, v25, v17, -v39
	v_mul_f32_e32 v26, v41, v20
	v_add_f32_e32 v25, v37, v16
	s_delay_alu instid0(VALU_DEP_3) | instskip(SKIP_3) | instid1(VALU_DEP_2)
	v_add_f32_e32 v23, v23, v15
	ds_load_2addr_b64 v[15:18], v13 offset0:192 offset1:208
	v_mul_f32_e32 v37, v42, v22
	v_fmac_f32_e32 v26, v42, v19
	v_fma_f32 v35, v41, v21, -v37
	s_delay_alu instid0(VALU_DEP_2) | instskip(SKIP_1) | instid1(VALU_DEP_3)
	v_add_f32_e32 v6, v6, v26
	v_mul_f32_e32 v26, v28, v20
	v_dual_mul_f32 v20, v27, v20 :: v_dual_add_f32 v33, v33, v35
	v_mul_f32_e32 v35, v28, v22
	s_delay_alu instid0(VALU_DEP_3) | instskip(NEXT) | instid1(VALU_DEP_3)
	v_fma_f32 v26, v27, v19, -v26
	v_fmac_f32_e32 v20, v28, v19
	v_dual_add_f32 v19, v36, v24 :: v_dual_mul_f32 v22, v27, v22
	s_delay_alu instid0(VALU_DEP_4) | instskip(NEXT) | instid1(VALU_DEP_3)
	v_fma_f32 v24, v27, v21, -v35
	v_dual_add_f32 v27, v34, v26 :: v_dual_add_f32 v20, v25, v20
	s_waitcnt lgkmcnt(0)
	v_mul_f32_e32 v34, v44, v16
	s_delay_alu instid0(VALU_DEP_3)
	v_dual_fmac_f32 v22, v28, v21 :: v_dual_add_f32 v21, v23, v24
	ds_load_2addr_b64 v[23:26], v13 offset0:224 offset1:240
	v_mul_f32_e32 v28, v43, v16
	v_fma_f32 v34, v43, v15, -v34
	v_mul_f32_e32 v35, v44, v18
	v_mul_f32_e32 v36, v43, v18
	s_waitcnt lgkmcnt(0)
	s_delay_alu instid0(VALU_DEP_3) | instskip(SKIP_3) | instid1(VALU_DEP_4)
	v_dual_fmac_f32 v28, v44, v15 :: v_dual_add_f32 v5, v5, v34
	v_mul_f32_e32 v34, v30, v16
	v_fma_f32 v35, v43, v17, -v35
	v_fmac_f32_e32 v36, v44, v17
	v_add_f32_e32 v6, v6, v28
	v_mul_f32_e32 v16, v29, v16
	v_fma_f32 v28, v29, v15, -v34
	v_dual_mul_f32 v34, v30, v18 :: v_dual_add_f32 v33, v33, v35
	s_delay_alu instid0(VALU_DEP_3) | instskip(NEXT) | instid1(VALU_DEP_3)
	v_dual_add_f32 v35, v19, v36 :: v_dual_fmac_f32 v16, v30, v15
	v_dual_add_f32 v15, v27, v28 :: v_dual_mul_f32 v18, v29, v18
	s_delay_alu instid0(VALU_DEP_3) | instskip(SKIP_3) | instid1(VALU_DEP_4)
	v_fma_f32 v19, v29, v17, -v34
	v_mul_f32_e32 v27, v46, v24
	v_mul_f32_e32 v28, v45, v24
	v_add_f32_e32 v16, v20, v16
	v_dual_fmac_f32 v18, v30, v17 :: v_dual_add_f32 v29, v21, v19
	s_delay_alu instid0(VALU_DEP_4)
	v_fma_f32 v17, v45, v23, -v27
	v_mul_f32_e32 v19, v46, v26
	v_fmac_f32_e32 v28, v46, v23
	v_mul_f32_e32 v20, v45, v26
	s_barrier
	v_add_f32_e32 v21, v5, v17
	v_mul_f32_e32 v17, v32, v26
	v_fma_f32 v5, v45, v25, -v19
	v_fmac_f32_e32 v20, v46, v25
	buffer_gl0_inv
	v_dual_add_f32 v19, v33, v5 :: v_dual_add_f32 v22, v38, v22
	s_delay_alu instid0(VALU_DEP_1) | instskip(SKIP_4) | instid1(VALU_DEP_3)
	v_dual_add_f32 v20, v35, v20 :: v_dual_add_f32 v27, v22, v18
	v_add_f32_e32 v22, v6, v28
	v_mul_f32_e32 v6, v32, v24
	v_mul_f32_e32 v18, v31, v24
	;; [unrolled: 1-line block ×3, first 2 shown]
	v_fma_f32 v5, v31, v23, -v6
	s_delay_alu instid0(VALU_DEP_3) | instskip(SKIP_1) | instid1(VALU_DEP_4)
	v_fmac_f32_e32 v18, v32, v23
	v_fma_f32 v6, v31, v25, -v17
	v_fmac_f32_e32 v24, v32, v25
	s_delay_alu instid0(VALU_DEP_3) | instskip(NEXT) | instid1(VALU_DEP_2)
	v_dual_add_f32 v17, v15, v5 :: v_dual_add_f32 v18, v16, v18
	v_dual_add_f32 v15, v29, v6 :: v_dual_add_f32 v16, v27, v24
	s_cbranch_scc1 .LBB689_9
.LBB689_3:                              ; =>This Inner Loop Header: Depth=1
	v_add_nc_u32_e32 v5, s19, v10
	s_delay_alu instid0(VALU_DEP_1) | instskip(NEXT) | instid1(VALU_DEP_1)
	v_cmp_le_i32_e64 s2, s17, v5
	s_or_b32 s2, s3, s2
	s_delay_alu instid0(SALU_CYCLE_1) | instskip(NEXT) | instid1(SALU_CYCLE_1)
	s_and_saveexec_b32 s14, s2
	s_xor_b32 s2, exec_lo, s14
	s_cbranch_execz .LBB689_5
; %bb.4:                                ;   in Loop: Header=BB689_3 Depth=1
	v_mov_b32_e32 v5, v4
	ds_store_b64 v11, v[4:5]
.LBB689_5:                              ;   in Loop: Header=BB689_3 Depth=1
	s_and_not1_saveexec_b32 s2, s2
	s_cbranch_execz .LBB689_7
; %bb.6:                                ;   in Loop: Header=BB689_3 Depth=1
	global_load_b64 v[5:6], v[0:1], off
	s_waitcnt vmcnt(0)
	ds_store_b64 v11, v[5:6]
.LBB689_7:                              ;   in Loop: Header=BB689_3 Depth=1
	s_or_b32 exec_lo, exec_lo, s2
	v_dual_mov_b32 v6, 0 :: v_dual_add_nc_u32 v5, s19, v9
	s_delay_alu instid0(VALU_DEP_1) | instskip(SKIP_1) | instid1(VALU_DEP_2)
	v_cmp_gt_i32_e64 s2, s17, v5
	v_mov_b32_e32 v5, 0
	s_and_b32 s14, s2, vcc_lo
	s_delay_alu instid0(SALU_CYCLE_1)
	s_and_saveexec_b32 s2, s14
	s_cbranch_execz .LBB689_2
; %bb.8:                                ;   in Loop: Header=BB689_3 Depth=1
	global_load_b64 v[5:6], v[2:3], off offset:-4
	s_branch .LBB689_2
.LBB689_9:
	s_load_b32 s2, s[0:1], 0x50
	v_add_nc_u32_e32 v4, s22, v8
	v_add_nc_u32_e32 v0, s18, v7
	s_delay_alu instid0(VALU_DEP_2) | instskip(NEXT) | instid1(VALU_DEP_2)
	v_cmp_gt_i32_e32 vcc_lo, s16, v4
	v_cmp_le_i32_e64 s0, v0, v4
	s_delay_alu instid0(VALU_DEP_1) | instskip(SKIP_2) | instid1(VALU_DEP_1)
	s_and_b32 s0, vcc_lo, s0
	s_waitcnt lgkmcnt(0)
	v_mad_i64_i32 v[1:2], null, v4, s2, 0
	v_lshlrev_b64 v[1:2], 3, v[1:2]
	s_delay_alu instid0(VALU_DEP_1) | instskip(NEXT) | instid1(VALU_DEP_1)
	v_add_co_u32 v5, s1, s6, v1
	v_add_co_ci_u32_e64 v6, s1, s7, v2, s1
	s_and_saveexec_b32 s1, s0
	s_cbranch_execz .LBB689_11
; %bb.10:
	v_ashrrev_i32_e32 v1, 31, v0
	s_delay_alu instid0(VALU_DEP_1) | instskip(NEXT) | instid1(VALU_DEP_1)
	v_lshlrev_b64 v[1:2], 3, v[0:1]
	v_add_co_u32 v1, s0, v5, v1
	s_delay_alu instid0(VALU_DEP_1)
	v_add_co_ci_u32_e64 v2, s0, v6, v2, s0
	global_load_b64 v[7:8], v[1:2], off
	v_mul_f32_e32 v3, s9, v22
	s_waitcnt vmcnt(0)
	v_dual_mul_f32 v9, s8, v22 :: v_dual_mul_f32 v10, s5, v8
	v_mul_f32_e32 v8, s4, v8
	s_delay_alu instid0(VALU_DEP_3) | instskip(NEXT) | instid1(VALU_DEP_3)
	v_fma_f32 v3, v21, s8, -v3
	v_fmac_f32_e32 v9, s9, v21
	s_delay_alu instid0(VALU_DEP_4) | instskip(NEXT) | instid1(VALU_DEP_1)
	v_fma_f32 v10, v7, s4, -v10
	v_dual_fmac_f32 v8, s5, v7 :: v_dual_add_f32 v7, v3, v10
	s_delay_alu instid0(VALU_DEP_1)
	v_add_f32_e32 v8, v9, v8
	global_store_b64 v[1:2], v[7:8], off
.LBB689_11:
	s_or_b32 exec_lo, exec_lo, s1
	v_add_nc_u32_e32 v2, 16, v0
	s_delay_alu instid0(VALU_DEP_1) | instskip(NEXT) | instid1(VALU_DEP_1)
	v_cmp_le_i32_e64 s0, v2, v4
	s_and_b32 s1, vcc_lo, s0
	s_delay_alu instid0(SALU_CYCLE_1)
	s_and_saveexec_b32 s0, s1
	s_cbranch_execz .LBB689_13
; %bb.12:
	v_ashrrev_i32_e32 v3, 31, v2
	s_delay_alu instid0(VALU_DEP_1) | instskip(SKIP_1) | instid1(VALU_DEP_2)
	v_lshlrev_b64 v[7:8], 3, v[2:3]
	v_mul_f32_e32 v3, s8, v20
	v_add_co_u32 v5, vcc_lo, v5, v7
	s_delay_alu instid0(VALU_DEP_3) | instskip(NEXT) | instid1(VALU_DEP_3)
	v_add_co_ci_u32_e32 v6, vcc_lo, v6, v8, vcc_lo
	v_fmac_f32_e32 v3, s9, v19
	global_load_b64 v[7:8], v[5:6], off
	s_waitcnt vmcnt(0)
	v_mul_f32_e32 v9, s5, v8
	v_mul_f32_e32 v8, s4, v8
	;; [unrolled: 1-line block ×3, first 2 shown]
	s_delay_alu instid0(VALU_DEP_3) | instskip(NEXT) | instid1(VALU_DEP_3)
	v_fma_f32 v9, v7, s4, -v9
	v_fmac_f32_e32 v8, s5, v7
	s_delay_alu instid0(VALU_DEP_3) | instskip(NEXT) | instid1(VALU_DEP_1)
	v_fma_f32 v1, v19, s8, -v1
	v_dual_add_f32 v8, v3, v8 :: v_dual_add_f32 v7, v1, v9
	global_store_b64 v[5:6], v[7:8], off
.LBB689_13:
	s_or_b32 exec_lo, exec_lo, s0
	v_add_nc_u32_e32 v3, 16, v4
	s_delay_alu instid0(VALU_DEP_1) | instskip(SKIP_2) | instid1(VALU_DEP_1)
	v_mad_i64_i32 v[4:5], null, v3, s2, 0
	v_cmp_gt_i32_e32 vcc_lo, s16, v3
	v_cmp_le_i32_e64 s0, v0, v3
	s_and_b32 s0, vcc_lo, s0
	s_delay_alu instid0(VALU_DEP_3) | instskip(NEXT) | instid1(VALU_DEP_1)
	v_lshlrev_b64 v[4:5], 3, v[4:5]
	v_add_co_u32 v4, s1, s6, v4
	s_delay_alu instid0(VALU_DEP_1)
	v_add_co_ci_u32_e64 v5, s1, s7, v5, s1
	s_and_saveexec_b32 s1, s0
	s_cbranch_execz .LBB689_15
; %bb.14:
	v_ashrrev_i32_e32 v1, 31, v0
	s_delay_alu instid0(VALU_DEP_1) | instskip(NEXT) | instid1(VALU_DEP_1)
	v_lshlrev_b64 v[0:1], 3, v[0:1]
	v_add_co_u32 v0, s0, v4, v0
	s_delay_alu instid0(VALU_DEP_1)
	v_add_co_ci_u32_e64 v1, s0, v5, v1, s0
	global_load_b64 v[6:7], v[0:1], off
	v_mul_f32_e32 v8, s9, v18
	s_waitcnt vmcnt(0)
	v_dual_mul_f32 v9, s8, v18 :: v_dual_mul_f32 v10, s5, v7
	v_mul_f32_e32 v7, s4, v7
	s_delay_alu instid0(VALU_DEP_3) | instskip(NEXT) | instid1(VALU_DEP_3)
	v_fma_f32 v8, v17, s8, -v8
	v_fma_f32 v10, v6, s4, -v10
	s_delay_alu instid0(VALU_DEP_4) | instskip(NEXT) | instid1(VALU_DEP_4)
	v_fmac_f32_e32 v9, s9, v17
	v_fmac_f32_e32 v7, s5, v6
	s_delay_alu instid0(VALU_DEP_1)
	v_dual_add_f32 v6, v8, v10 :: v_dual_add_f32 v7, v9, v7
	global_store_b64 v[0:1], v[6:7], off
.LBB689_15:
	s_or_b32 exec_lo, exec_lo, s1
	v_cmp_le_i32_e64 s0, v2, v3
	s_delay_alu instid0(VALU_DEP_1) | instskip(NEXT) | instid1(SALU_CYCLE_1)
	s_and_b32 s0, vcc_lo, s0
	s_and_saveexec_b32 s1, s0
	s_cbranch_execz .LBB689_17
; %bb.16:
	v_ashrrev_i32_e32 v3, 31, v2
	s_delay_alu instid0(VALU_DEP_1) | instskip(NEXT) | instid1(VALU_DEP_1)
	v_lshlrev_b64 v[0:1], 3, v[2:3]
	v_add_co_u32 v0, vcc_lo, v4, v0
	s_delay_alu instid0(VALU_DEP_2)
	v_add_co_ci_u32_e32 v1, vcc_lo, v5, v1, vcc_lo
	global_load_b64 v[2:3], v[0:1], off
	v_mul_f32_e32 v4, s9, v16
	s_waitcnt vmcnt(0)
	v_dual_mul_f32 v5, s8, v16 :: v_dual_mul_f32 v6, s5, v3
	v_mul_f32_e32 v3, s4, v3
	s_delay_alu instid0(VALU_DEP_3) | instskip(NEXT) | instid1(VALU_DEP_3)
	v_fma_f32 v4, v15, s8, -v4
	v_fma_f32 v6, v2, s4, -v6
	s_delay_alu instid0(VALU_DEP_4) | instskip(NEXT) | instid1(VALU_DEP_4)
	v_fmac_f32_e32 v5, s9, v15
	v_fmac_f32_e32 v3, s5, v2
	s_delay_alu instid0(VALU_DEP_1)
	v_dual_add_f32 v2, v4, v6 :: v_dual_add_f32 v3, v5, v3
	global_store_b64 v[0:1], v[2:3], off
.LBB689_17:
	s_nop 0
	s_sendmsg sendmsg(MSG_DEALLOC_VGPRS)
	s_endpgm
	.section	.rodata,"a",@progbits
	.p2align	6, 0x0
	.amdhsa_kernel _ZL34rocblas_syrkx_herkx_general_kernelIi19rocblas_complex_numIfELi16ELi32ELi8ELb0ELb0ELc78ELc85EKPKS1_KPS1_EviT_T0_PT8_S7_lSA_S7_lS8_PT9_S7_li
		.amdhsa_group_segment_fixed_size 4096
		.amdhsa_private_segment_fixed_size 0
		.amdhsa_kernarg_size 100
		.amdhsa_user_sgpr_count 13
		.amdhsa_user_sgpr_dispatch_ptr 0
		.amdhsa_user_sgpr_queue_ptr 0
		.amdhsa_user_sgpr_kernarg_segment_ptr 1
		.amdhsa_user_sgpr_dispatch_id 0
		.amdhsa_user_sgpr_private_segment_size 0
		.amdhsa_wavefront_size32 1
		.amdhsa_uses_dynamic_stack 0
		.amdhsa_enable_private_segment 0
		.amdhsa_system_sgpr_workgroup_id_x 1
		.amdhsa_system_sgpr_workgroup_id_y 1
		.amdhsa_system_sgpr_workgroup_id_z 1
		.amdhsa_system_sgpr_workgroup_info 0
		.amdhsa_system_vgpr_workitem_id 1
		.amdhsa_next_free_vgpr 59
		.amdhsa_next_free_sgpr 26
		.amdhsa_reserve_vcc 1
		.amdhsa_float_round_mode_32 0
		.amdhsa_float_round_mode_16_64 0
		.amdhsa_float_denorm_mode_32 3
		.amdhsa_float_denorm_mode_16_64 3
		.amdhsa_dx10_clamp 1
		.amdhsa_ieee_mode 1
		.amdhsa_fp16_overflow 0
		.amdhsa_workgroup_processor_mode 1
		.amdhsa_memory_ordered 1
		.amdhsa_forward_progress 0
		.amdhsa_shared_vgpr_count 0
		.amdhsa_exception_fp_ieee_invalid_op 0
		.amdhsa_exception_fp_denorm_src 0
		.amdhsa_exception_fp_ieee_div_zero 0
		.amdhsa_exception_fp_ieee_overflow 0
		.amdhsa_exception_fp_ieee_underflow 0
		.amdhsa_exception_fp_ieee_inexact 0
		.amdhsa_exception_int_div_zero 0
	.end_amdhsa_kernel
	.section	.text._ZL34rocblas_syrkx_herkx_general_kernelIi19rocblas_complex_numIfELi16ELi32ELi8ELb0ELb0ELc78ELc85EKPKS1_KPS1_EviT_T0_PT8_S7_lSA_S7_lS8_PT9_S7_li,"axG",@progbits,_ZL34rocblas_syrkx_herkx_general_kernelIi19rocblas_complex_numIfELi16ELi32ELi8ELb0ELb0ELc78ELc85EKPKS1_KPS1_EviT_T0_PT8_S7_lSA_S7_lS8_PT9_S7_li,comdat
.Lfunc_end689:
	.size	_ZL34rocblas_syrkx_herkx_general_kernelIi19rocblas_complex_numIfELi16ELi32ELi8ELb0ELb0ELc78ELc85EKPKS1_KPS1_EviT_T0_PT8_S7_lSA_S7_lS8_PT9_S7_li, .Lfunc_end689-_ZL34rocblas_syrkx_herkx_general_kernelIi19rocblas_complex_numIfELi16ELi32ELi8ELb0ELb0ELc78ELc85EKPKS1_KPS1_EviT_T0_PT8_S7_lSA_S7_lS8_PT9_S7_li
                                        ; -- End function
	.section	.AMDGPU.csdata,"",@progbits
; Kernel info:
; codeLenInByte = 2620
; NumSgprs: 28
; NumVgprs: 59
; ScratchSize: 0
; MemoryBound: 1
; FloatMode: 240
; IeeeMode: 1
; LDSByteSize: 4096 bytes/workgroup (compile time only)
; SGPRBlocks: 3
; VGPRBlocks: 7
; NumSGPRsForWavesPerEU: 28
; NumVGPRsForWavesPerEU: 59
; Occupancy: 16
; WaveLimiterHint : 1
; COMPUTE_PGM_RSRC2:SCRATCH_EN: 0
; COMPUTE_PGM_RSRC2:USER_SGPR: 13
; COMPUTE_PGM_RSRC2:TRAP_HANDLER: 0
; COMPUTE_PGM_RSRC2:TGID_X_EN: 1
; COMPUTE_PGM_RSRC2:TGID_Y_EN: 1
; COMPUTE_PGM_RSRC2:TGID_Z_EN: 1
; COMPUTE_PGM_RSRC2:TIDIG_COMP_CNT: 1
	.section	.text._ZL26rocblas_syr2k_scale_kernelIiLi128ELi8ELb0E19rocblas_complex_numIfES1_PKPS1_EvbiT_T3_T4_T5_S5_li,"axG",@progbits,_ZL26rocblas_syr2k_scale_kernelIiLi128ELi8ELb0E19rocblas_complex_numIfES1_PKPS1_EvbiT_T3_T4_T5_S5_li,comdat
	.globl	_ZL26rocblas_syr2k_scale_kernelIiLi128ELi8ELb0E19rocblas_complex_numIfES1_PKPS1_EvbiT_T3_T4_T5_S5_li ; -- Begin function _ZL26rocblas_syr2k_scale_kernelIiLi128ELi8ELb0E19rocblas_complex_numIfES1_PKPS1_EvbiT_T3_T4_T5_S5_li
	.p2align	8
	.type	_ZL26rocblas_syr2k_scale_kernelIiLi128ELi8ELb0E19rocblas_complex_numIfES1_PKPS1_EvbiT_T3_T4_T5_S5_li,@function
_ZL26rocblas_syr2k_scale_kernelIiLi128ELi8ELb0E19rocblas_complex_numIfES1_PKPS1_EvbiT_T3_T4_T5_S5_li: ; @_ZL26rocblas_syr2k_scale_kernelIiLi128ELi8ELb0E19rocblas_complex_numIfES1_PKPS1_EvbiT_T3_T4_T5_S5_li
; %bb.0:
	s_load_b64 s[4:5], s[0:1], 0x14
	s_waitcnt lgkmcnt(0)
	v_cmp_eq_f32_e64 s2, s4, 1.0
	v_cmp_eq_f32_e64 s3, s5, 0
	s_delay_alu instid0(VALU_DEP_1) | instskip(NEXT) | instid1(SALU_CYCLE_1)
	s_and_b32 s2, s2, s3
	s_and_b32 vcc_lo, exec_lo, s2
	s_cbranch_vccnz .LBB690_5
; %bb.1:
	s_clause 0x1
	s_load_b64 s[2:3], s[0:1], 0x0
	s_load_b32 s7, s[0:1], 0x4c
	v_and_b32_e32 v2, 0x3ff, v0
	v_bfe_u32 v3, v0, 10, 10
	s_waitcnt lgkmcnt(0)
	s_bitcmp1_b32 s2, 0
	s_cselect_b32 vcc_lo, -1, 0
	s_lshr_b32 s2, s7, 16
	s_and_b32 s7, s7, 0xffff
	s_delay_alu instid0(SALU_CYCLE_1) | instskip(SKIP_1) | instid1(VALU_DEP_1)
	v_mad_u64_u32 v[0:1], null, s13, s7, v[2:3]
	v_mad_u64_u32 v[1:2], null, s14, s2, v[3:4]
	v_cndmask_b32_e32 v2, v1, v0, vcc_lo
	v_max_u32_e32 v3, v0, v1
	v_cndmask_b32_e32 v4, v0, v1, vcc_lo
	s_delay_alu instid0(VALU_DEP_2) | instskip(NEXT) | instid1(VALU_DEP_2)
	v_cmp_gt_u32_e32 vcc_lo, s3, v3
	v_cmp_le_i32_e64 s2, v2, v4
	s_delay_alu instid0(VALU_DEP_1) | instskip(NEXT) | instid1(SALU_CYCLE_1)
	s_and_b32 s2, vcc_lo, s2
	s_and_saveexec_b32 s3, s2
	s_cbranch_execz .LBB690_5
; %bb.2:
	s_clause 0x2
	s_load_b32 s8, s[0:1], 0x28
	s_load_b64 s[2:3], s[0:1], 0x20
	s_load_b64 s[0:1], s[0:1], 0x30
	s_mov_b32 s6, s15
	s_mov_b32 s7, 0
	s_delay_alu instid0(SALU_CYCLE_1)
	s_lshl_b64 s[6:7], s[6:7], 3
	s_waitcnt lgkmcnt(0)
	v_mad_u64_u32 v[2:3], null, v1, s8, 0
	s_ashr_i32 s8, s8, 31
	s_add_u32 s2, s2, s6
	s_addc_u32 s3, s3, s7
	s_lshl_b64 s[0:1], s[0:1], 3
	s_load_b64 s[2:3], s[2:3], 0x0
	s_delay_alu instid0(VALU_DEP_1) | instskip(SKIP_1) | instid1(VALU_DEP_2)
	v_mad_u64_u32 v[4:5], null, v1, s8, v[3:4]
	v_mov_b32_e32 v1, 0
	v_mov_b32_e32 v3, v4
	s_delay_alu instid0(VALU_DEP_2) | instskip(NEXT) | instid1(VALU_DEP_2)
	v_lshlrev_b64 v[4:5], 3, v[0:1]
	v_lshlrev_b64 v[2:3], 3, v[2:3]
	s_waitcnt lgkmcnt(0)
	s_add_u32 s0, s2, s0
	s_addc_u32 s1, s3, s1
	s_delay_alu instid0(VALU_DEP_1) | instskip(NEXT) | instid1(VALU_DEP_2)
	v_add_co_u32 v0, vcc_lo, s0, v2
	v_add_co_ci_u32_e32 v3, vcc_lo, s1, v3, vcc_lo
	s_or_b32 s2, s4, s5
	s_delay_alu instid0(VALU_DEP_2) | instskip(SKIP_1) | instid1(VALU_DEP_3)
	v_add_co_u32 v2, vcc_lo, v0, v4
	v_mov_b32_e32 v0, v1
	v_add_co_ci_u32_e32 v3, vcc_lo, v3, v5, vcc_lo
	s_bitset0_b32 s2, 31
	s_delay_alu instid0(SALU_CYCLE_1)
	s_cmp_eq_u32 s2, 0
	s_cbranch_scc1 .LBB690_4
; %bb.3:
	global_load_b64 v[4:5], v[2:3], off
	s_waitcnt vmcnt(0)
	v_mul_f32_e32 v1, s4, v5
	s_delay_alu instid0(VALU_DEP_1) | instskip(NEXT) | instid1(VALU_DEP_1)
	v_dual_mul_f32 v0, s5, v5 :: v_dual_fmac_f32 v1, s5, v4
	v_fma_f32 v0, v4, s4, -v0
.LBB690_4:
	global_store_b64 v[2:3], v[0:1], off
.LBB690_5:
	s_nop 0
	s_sendmsg sendmsg(MSG_DEALLOC_VGPRS)
	s_endpgm
	.section	.rodata,"a",@progbits
	.p2align	6, 0x0
	.amdhsa_kernel _ZL26rocblas_syr2k_scale_kernelIiLi128ELi8ELb0E19rocblas_complex_numIfES1_PKPS1_EvbiT_T3_T4_T5_S5_li
		.amdhsa_group_segment_fixed_size 0
		.amdhsa_private_segment_fixed_size 0
		.amdhsa_kernarg_size 320
		.amdhsa_user_sgpr_count 13
		.amdhsa_user_sgpr_dispatch_ptr 0
		.amdhsa_user_sgpr_queue_ptr 0
		.amdhsa_user_sgpr_kernarg_segment_ptr 1
		.amdhsa_user_sgpr_dispatch_id 0
		.amdhsa_user_sgpr_private_segment_size 0
		.amdhsa_wavefront_size32 1
		.amdhsa_uses_dynamic_stack 0
		.amdhsa_enable_private_segment 0
		.amdhsa_system_sgpr_workgroup_id_x 1
		.amdhsa_system_sgpr_workgroup_id_y 1
		.amdhsa_system_sgpr_workgroup_id_z 1
		.amdhsa_system_sgpr_workgroup_info 0
		.amdhsa_system_vgpr_workitem_id 1
		.amdhsa_next_free_vgpr 6
		.amdhsa_next_free_sgpr 16
		.amdhsa_reserve_vcc 1
		.amdhsa_float_round_mode_32 0
		.amdhsa_float_round_mode_16_64 0
		.amdhsa_float_denorm_mode_32 3
		.amdhsa_float_denorm_mode_16_64 3
		.amdhsa_dx10_clamp 1
		.amdhsa_ieee_mode 1
		.amdhsa_fp16_overflow 0
		.amdhsa_workgroup_processor_mode 1
		.amdhsa_memory_ordered 1
		.amdhsa_forward_progress 0
		.amdhsa_shared_vgpr_count 0
		.amdhsa_exception_fp_ieee_invalid_op 0
		.amdhsa_exception_fp_denorm_src 0
		.amdhsa_exception_fp_ieee_div_zero 0
		.amdhsa_exception_fp_ieee_overflow 0
		.amdhsa_exception_fp_ieee_underflow 0
		.amdhsa_exception_fp_ieee_inexact 0
		.amdhsa_exception_int_div_zero 0
	.end_amdhsa_kernel
	.section	.text._ZL26rocblas_syr2k_scale_kernelIiLi128ELi8ELb0E19rocblas_complex_numIfES1_PKPS1_EvbiT_T3_T4_T5_S5_li,"axG",@progbits,_ZL26rocblas_syr2k_scale_kernelIiLi128ELi8ELb0E19rocblas_complex_numIfES1_PKPS1_EvbiT_T3_T4_T5_S5_li,comdat
.Lfunc_end690:
	.size	_ZL26rocblas_syr2k_scale_kernelIiLi128ELi8ELb0E19rocblas_complex_numIfES1_PKPS1_EvbiT_T3_T4_T5_S5_li, .Lfunc_end690-_ZL26rocblas_syr2k_scale_kernelIiLi128ELi8ELb0E19rocblas_complex_numIfES1_PKPS1_EvbiT_T3_T4_T5_S5_li
                                        ; -- End function
	.section	.AMDGPU.csdata,"",@progbits
; Kernel info:
; codeLenInByte = 412
; NumSgprs: 18
; NumVgprs: 6
; ScratchSize: 0
; MemoryBound: 0
; FloatMode: 240
; IeeeMode: 1
; LDSByteSize: 0 bytes/workgroup (compile time only)
; SGPRBlocks: 2
; VGPRBlocks: 0
; NumSGPRsForWavesPerEU: 18
; NumVGPRsForWavesPerEU: 6
; Occupancy: 16
; WaveLimiterHint : 1
; COMPUTE_PGM_RSRC2:SCRATCH_EN: 0
; COMPUTE_PGM_RSRC2:USER_SGPR: 13
; COMPUTE_PGM_RSRC2:TRAP_HANDLER: 0
; COMPUTE_PGM_RSRC2:TGID_X_EN: 1
; COMPUTE_PGM_RSRC2:TGID_Y_EN: 1
; COMPUTE_PGM_RSRC2:TGID_Z_EN: 1
; COMPUTE_PGM_RSRC2:TIDIG_COMP_CNT: 1
	.section	.text._ZL26rocblas_syr2k_her2k_kernelIiLb0ELb0ELb0ELi32EPK19rocblas_complex_numIfEPKS3_PKPS1_EvbiT_T4_T5_S9_lSB_S9_lT6_S9_li,"axG",@progbits,_ZL26rocblas_syr2k_her2k_kernelIiLb0ELb0ELb0ELi32EPK19rocblas_complex_numIfEPKS3_PKPS1_EvbiT_T4_T5_S9_lSB_S9_lT6_S9_li,comdat
	.globl	_ZL26rocblas_syr2k_her2k_kernelIiLb0ELb0ELb0ELi32EPK19rocblas_complex_numIfEPKS3_PKPS1_EvbiT_T4_T5_S9_lSB_S9_lT6_S9_li ; -- Begin function _ZL26rocblas_syr2k_her2k_kernelIiLb0ELb0ELb0ELi32EPK19rocblas_complex_numIfEPKS3_PKPS1_EvbiT_T4_T5_S9_lSB_S9_lT6_S9_li
	.p2align	8
	.type	_ZL26rocblas_syr2k_her2k_kernelIiLb0ELb0ELb0ELi32EPK19rocblas_complex_numIfEPKS3_PKPS1_EvbiT_T4_T5_S9_lSB_S9_lT6_S9_li,@function
_ZL26rocblas_syr2k_her2k_kernelIiLb0ELb0ELb0ELi32EPK19rocblas_complex_numIfEPKS3_PKPS1_EvbiT_T4_T5_S9_lSB_S9_lT6_S9_li: ; @_ZL26rocblas_syr2k_her2k_kernelIiLb0ELb0ELb0ELi32EPK19rocblas_complex_numIfEPKS3_PKPS1_EvbiT_T4_T5_S9_lSB_S9_lT6_S9_li
; %bb.0:
	s_load_b128 s[16:19], s[0:1], 0x10
	s_waitcnt lgkmcnt(0)
	s_load_b64 s[16:17], s[16:17], 0x0
	s_waitcnt lgkmcnt(0)
	v_cmp_eq_f32_e64 s3, s16, 0
	v_cmp_eq_f32_e64 s4, s17, 0
	s_delay_alu instid0(VALU_DEP_1) | instskip(NEXT) | instid1(SALU_CYCLE_1)
	s_and_b32 s3, s3, s4
	s_and_b32 vcc_lo, exec_lo, s3
	s_cbranch_vccnz .LBB691_11
; %bb.1:
	s_load_b128 s[4:7], s[0:1], 0x0
	s_lshl_b32 s20, s14, 5
	s_lshl_b32 s21, s13, 5
	s_waitcnt lgkmcnt(0)
	s_and_b32 s3, 1, s4
	s_delay_alu instid0(SALU_CYCLE_1) | instskip(SKIP_1) | instid1(SALU_CYCLE_1)
	s_cmp_eq_u32 s3, 1
	s_cselect_b32 vcc_lo, -1, 0
	s_and_b32 s3, vcc_lo, exec_lo
	s_cselect_b32 s3, s21, s20
	s_cselect_b32 s4, s20, s21
	s_delay_alu instid0(SALU_CYCLE_1)
	s_cmp_gt_i32 s3, s4
	s_cbranch_scc1 .LBB691_11
; %bb.2:
	s_cmp_lt_i32 s6, 1
	s_cbranch_scc1 .LBB691_11
; %bb.3:
	s_mov_b32 s2, s15
	s_clause 0x4
	s_load_b128 s[12:15], s[0:1], 0x28
	s_load_b32 s4, s[0:1], 0x20
	s_load_b32 s7, s[0:1], 0x38
	s_load_b128 s[8:11], s[0:1], 0x40
	s_load_b32 s26, s[0:1], 0x50
	s_mov_b32 s3, 0
	s_load_b64 s[24:25], s[0:1], 0x58
	s_lshl_b64 s[22:23], s[2:3], 3
	v_and_b32_e32 v6, 0x3ff, v0
	s_add_u32 s0, s18, s22
	s_addc_u32 s1, s19, s23
	v_bfe_u32 v7, v0, 10, 10
	s_load_b64 s[18:19], s[0:1], 0x0
	v_add_nc_u32_e32 v2, s21, v6
	s_delay_alu instid0(VALU_DEP_2) | instskip(SKIP_1) | instid1(VALU_DEP_3)
	v_add_nc_u32_e32 v0, s20, v7
	v_lshlrev_b32_e32 v4, 3, v7
	v_ashrrev_i32_e32 v3, 31, v2
	s_waitcnt lgkmcnt(0)
	s_add_u32 s0, s14, s22
	v_cndmask_b32_e32 v17, v0, v2, vcc_lo
	s_addc_u32 s1, s15, s23
	v_lshlrev_b32_e32 v8, 8, v6
	s_load_b64 s[14:15], s[0:1], 0x0
	s_add_u32 s0, s10, s22
	s_addc_u32 s1, s11, s23
	v_ashrrev_i32_e32 v1, 31, v0
	s_load_b64 s[10:11], s[0:1], 0x0
	v_mad_i64_i32 v[13:14], null, s26, v0, 0
	v_or_b32_e32 v10, 0x2000, v4
	v_cndmask_b32_e32 v16, v2, v0, vcc_lo
	v_cmp_gt_i32_e32 vcc_lo, s5, v2
	v_lshlrev_b64 v[2:3], 3, v[2:3]
	s_lshl_b64 s[12:13], s[12:13], 3
	v_add_nc_u32_e32 v9, v8, v4
	v_lshlrev_b64 v[4:5], 3, v[0:1]
	s_add_u32 s1, s18, s12
	s_addc_u32 s2, s19, s13
	s_lshl_b64 s[8:9], s[8:9], 3
	v_cmp_gt_i32_e64 s0, s5, v0
	v_add_co_u32 v11, s1, s1, v2
	v_lshlrev_b64 v[0:1], 3, v[13:14]
	s_waitcnt lgkmcnt(0)
	s_add_u32 s5, s14, s8
	s_addc_u32 s12, s15, s9
	s_lshl_b64 s[8:9], s[24:25], 3
	v_add_co_ci_u32_e64 v12, s1, s2, v3, s1
	v_add_co_u32 v13, s1, s5, v4
	s_add_u32 s2, s10, s8
	v_add_co_ci_u32_e64 v14, s1, s12, v5, s1
	s_addc_u32 s8, s11, s9
	v_add_co_u32 v0, s1, s2, v0
	s_delay_alu instid0(VALU_DEP_1) | instskip(SKIP_2) | instid1(VALU_DEP_4)
	v_add_co_ci_u32_e64 v1, s1, s8, v1, s1
	v_cmp_le_i32_e64 s1, v17, v16
	v_add_nc_u32_e32 v17, 0x1000, v10
	v_add_co_u32 v0, s2, v0, v2
	v_add_nc_u32_e32 v15, v10, v8
	v_add_co_ci_u32_e64 v1, s2, v1, v3, s2
	v_add_nc_u32_e32 v16, 0x800, v10
	v_add_nc_u32_e32 v18, 0x1800, v10
	s_and_b32 s2, s0, vcc_lo
	s_delay_alu instid0(SALU_CYCLE_1)
	s_and_b32 s2, s2, s1
	s_branch .LBB691_5
.LBB691_4:                              ;   in Loop: Header=BB691_5 Depth=1
	s_or_b32 exec_lo, exec_lo, s1
	s_add_i32 s3, s3, 32
	s_waitcnt_vscnt null, 0x0
	s_cmp_lt_i32 s3, s6
	s_barrier
	buffer_gl0_inv
	s_cbranch_scc0 .LBB691_11
.LBB691_5:                              ; =>This Inner Loop Header: Depth=1
	v_dual_mov_b32 v2, 0 :: v_dual_add_nc_u32 v3, s3, v7
	v_dual_mov_b32 v4, 0 :: v_dual_mov_b32 v5, 0
	s_delay_alu instid0(VALU_DEP_2) | instskip(NEXT) | instid1(VALU_DEP_1)
	v_cmp_gt_i32_e64 s1, s6, v3
	s_and_b32 s1, vcc_lo, s1
	s_delay_alu instid0(SALU_CYCLE_1)
	s_and_saveexec_b32 s5, s1
	s_cbranch_execz .LBB691_7
; %bb.6:                                ;   in Loop: Header=BB691_5 Depth=1
	v_mad_i64_i32 v[4:5], null, v3, s4, 0
	s_delay_alu instid0(VALU_DEP_1) | instskip(NEXT) | instid1(VALU_DEP_1)
	v_lshlrev_b64 v[3:4], 3, v[4:5]
	v_add_co_u32 v3, s1, v11, v3
	s_delay_alu instid0(VALU_DEP_1)
	v_add_co_ci_u32_e64 v4, s1, v12, v4, s1
	global_load_b64 v[4:5], v[3:4], off
.LBB691_7:                              ;   in Loop: Header=BB691_5 Depth=1
	s_or_b32 exec_lo, exec_lo, s5
	v_add_nc_u32_e32 v19, s3, v6
	v_mov_b32_e32 v3, 0
	s_waitcnt vmcnt(0)
	ds_store_b64 v9, v[4:5]
	v_cmp_gt_i32_e64 s1, s6, v19
	s_delay_alu instid0(VALU_DEP_1) | instskip(NEXT) | instid1(SALU_CYCLE_1)
	s_and_b32 s1, s0, s1
	s_and_saveexec_b32 s5, s1
	s_cbranch_execz .LBB691_9
; %bb.8:                                ;   in Loop: Header=BB691_5 Depth=1
	v_mad_i64_i32 v[2:3], null, v19, s7, 0
	s_delay_alu instid0(VALU_DEP_1) | instskip(NEXT) | instid1(VALU_DEP_1)
	v_lshlrev_b64 v[2:3], 3, v[2:3]
	v_add_co_u32 v2, s1, v13, v2
	s_delay_alu instid0(VALU_DEP_1)
	v_add_co_ci_u32_e64 v3, s1, v14, v3, s1
	global_load_b64 v[2:3], v[2:3], off
.LBB691_9:                              ;   in Loop: Header=BB691_5 Depth=1
	s_or_b32 exec_lo, exec_lo, s5
	s_waitcnt vmcnt(0)
	ds_store_b64 v15, v[2:3]
	s_waitcnt lgkmcnt(0)
	s_barrier
	buffer_gl0_inv
	s_and_saveexec_b32 s1, s2
	s_cbranch_execz .LBB691_4
; %bb.10:                               ;   in Loop: Header=BB691_5 Depth=1
	global_load_b64 v[91:92], v[0:1], off
	ds_load_2addr_b64 v[2:5], v10 offset1:32
	ds_load_b128 v[19:22], v8
	ds_load_b128 v[23:26], v8 offset:16
	ds_load_b128 v[27:30], v8 offset:32
	;; [unrolled: 1-line block ×3, first 2 shown]
	ds_load_2addr_b64 v[35:38], v10 offset0:64 offset1:96
	ds_load_2addr_b64 v[39:42], v10 offset0:128 offset1:160
	;; [unrolled: 1-line block ×3, first 2 shown]
	ds_load_2addr_b64 v[47:50], v16 offset1:32
	ds_load_b128 v[51:54], v8 offset:64
	ds_load_b128 v[55:58], v8 offset:80
	ds_load_2addr_b64 v[59:62], v16 offset0:64 offset1:96
	ds_load_2addr_b64 v[63:66], v16 offset0:128 offset1:160
	ds_load_b128 v[67:70], v8 offset:96
	ds_load_b128 v[71:74], v8 offset:112
	ds_load_2addr_b64 v[75:78], v16 offset0:192 offset1:224
	ds_load_2addr_b64 v[79:82], v17 offset1:32
	ds_load_b128 v[83:86], v8 offset:128
	ds_load_b128 v[87:90], v8 offset:144
	s_waitcnt lgkmcnt(17)
	v_mul_f32_e32 v93, v3, v20
	v_dual_mul_f32 v94, v2, v20 :: v_dual_mul_f32 v95, v4, v22
	s_waitcnt lgkmcnt(13)
	v_dual_mul_f32 v20, v5, v22 :: v_dual_mul_f32 v97, v35, v24
	v_mul_f32_e32 v98, v37, v26
	v_fma_f32 v93, v2, v19, -v93
	v_dual_fmac_f32 v94, v3, v19 :: v_dual_fmac_f32 v95, v5, v21
	v_mul_f32_e32 v19, v36, v24
	v_fma_f32 v96, v4, v21, -v20
	v_mul_f32_e32 v20, v38, v26
	s_waitcnt lgkmcnt(12)
	v_mul_f32_e32 v24, v40, v28
	v_dual_mul_f32 v99, v39, v28 :: v_dual_mul_f32 v26, v42, v30
	v_fma_f32 v100, v35, v23, -v19
	v_mul_f32_e32 v102, v41, v30
	v_add_f32_e32 v35, 0, v94
	s_delay_alu instid0(VALU_DEP_4) | instskip(SKIP_1) | instid1(VALU_DEP_3)
	v_fmac_f32_e32 v99, v40, v27
	v_dual_fmac_f32 v97, v36, v23 :: v_dual_fmac_f32 v98, v38, v25
	v_dual_fmac_f32 v102, v42, v29 :: v_dual_add_f32 v35, v35, v95
	v_fma_f32 v103, v41, v29, -v26
	s_waitcnt lgkmcnt(11)
	v_dual_mul_f32 v36, v44, v32 :: v_dual_mul_f32 v95, v45, v34
	v_mul_f32_e32 v94, v43, v32
	v_dual_mul_f32 v32, v46, v34 :: v_dual_add_f32 v41, v35, v97
	v_add_f32_e32 v34, 0, v93
	v_fma_f32 v101, v37, v25, -v20
	s_waitcnt lgkmcnt(9)
	v_mul_f32_e32 v97, v49, v54
	v_fma_f32 v39, v39, v27, -v24
	v_dual_add_f32 v41, v41, v98 :: v_dual_add_f32 v40, v34, v96
	v_mul_f32_e32 v42, v48, v52
	s_delay_alu instid0(VALU_DEP_4) | instskip(SKIP_1) | instid1(VALU_DEP_4)
	v_dual_mul_f32 v96, v47, v52 :: v_dual_fmac_f32 v97, v50, v53
	v_fma_f32 v93, v43, v31, -v36
	v_dual_add_f32 v40, v40, v100 :: v_dual_fmac_f32 v95, v46, v33
	v_dual_fmac_f32 v94, v44, v31 :: v_dual_mul_f32 v43, v50, v54
	s_delay_alu instid0(VALU_DEP_2) | instskip(SKIP_4) | instid1(VALU_DEP_3)
	v_dual_add_f32 v41, v41, v99 :: v_dual_add_f32 v40, v40, v101
	s_waitcnt lgkmcnt(7)
	v_dual_mul_f32 v101, v61, v58 :: v_dual_mul_f32 v98, v59, v56
	v_fma_f32 v99, v47, v51, -v42
	v_dual_mul_f32 v47, v62, v58 :: v_dual_fmac_f32 v96, v48, v51
	v_fmac_f32_e32 v101, v62, v57
	v_add_f32_e32 v51, v40, v39
	v_mul_f32_e32 v52, v60, v56
	v_fma_f32 v100, v49, v53, -v43
	v_add_f32_e32 v53, v41, v102
	v_fma_f32 v104, v45, v33, -v32
	s_waitcnt lgkmcnt(5)
	v_dual_add_f32 v51, v51, v103 :: v_dual_mul_f32 v56, v66, v70
	v_fma_f32 v102, v59, v55, -v52
	v_fmac_f32_e32 v98, v60, v55
	v_fma_f32 v105, v61, v57, -v47
	s_delay_alu instid0(VALU_DEP_4)
	v_add_f32_e32 v57, v51, v93
	v_dual_mul_f32 v55, v64, v68 :: v_dual_add_f32 v52, v53, v94
	v_mul_f32_e32 v68, v63, v68
	v_mul_f32_e32 v70, v65, v70
	ds_load_2addr_b64 v[2:5], v17 offset0:64 offset1:96
	v_fma_f32 v94, v63, v67, -v55
	v_add_f32_e32 v93, v52, v95
	v_dual_fmac_f32 v68, v64, v67 :: v_dual_add_f32 v63, v57, v104
	v_fma_f32 v67, v65, v69, -v56
	s_waitcnt lgkmcnt(4)
	v_dual_mul_f32 v65, v76, v72 :: v_dual_fmac_f32 v70, v66, v69
	v_mul_f32_e32 v69, v75, v72
	v_dual_add_f32 v64, v93, v96 :: v_dual_add_f32 v63, v63, v99
	ds_load_2addr_b64 v[19:22], v17 offset0:128 offset1:160
	ds_load_b128 v[23:26], v8 offset:160
	ds_load_b128 v[27:30], v8 offset:176
	ds_load_2addr_b64 v[31:34], v17 offset0:192 offset1:224
	v_dual_mul_f32 v66, v78, v74 :: v_dual_fmac_f32 v69, v76, v71
	v_add_f32_e32 v76, v63, v100
	v_fma_f32 v75, v75, v71, -v65
	ds_load_2addr_b64 v[35:38], v18 offset1:32
	v_fma_f32 v71, v77, v73, -v66
	ds_load_b128 v[39:42], v8 offset:192
	ds_load_b128 v[43:46], v8 offset:208
	v_add_f32_e32 v76, v76, v102
	ds_load_2addr_b64 v[47:50], v18 offset0:64 offset1:96
	v_mul_f32_e32 v74, v77, v74
	s_waitcnt lgkmcnt(10)
	v_dual_add_f32 v72, v64, v97 :: v_dual_mul_f32 v77, v79, v84
	v_add_f32_e32 v76, v76, v105
	ds_load_2addr_b64 v[51:54], v18 offset0:128 offset1:160
	v_dual_fmac_f32 v74, v78, v73 :: v_dual_mul_f32 v73, v80, v84
	v_mul_f32_e32 v84, v81, v86
	v_add_f32_e32 v76, v76, v94
	v_mul_f32_e32 v78, v82, v86
	s_waitcnt lgkmcnt(9)
	v_dual_mul_f32 v86, v3, v88 :: v_dual_fmac_f32 v77, v80, v83
	v_fma_f32 v73, v79, v83, -v73
	v_add_f32_e32 v67, v76, v67
	v_add_f32_e32 v72, v72, v98
	s_waitcnt lgkmcnt(7)
	v_mul_f32_e32 v93, v20, v24
	v_mul_f32_e32 v24, v19, v24
	ds_load_b128 v[55:58], v8 offset:224
	ds_load_b128 v[59:62], v8 offset:240
	v_add_f32_e32 v67, v67, v75
	ds_load_2addr_b64 v[63:66], v18 offset0:192 offset1:224
	s_waitcnt lgkmcnt(8)
	v_dual_mul_f32 v75, v34, v30 :: v_dual_fmac_f32 v24, v20, v23
	v_fma_f32 v19, v19, v23, -v93
	v_dual_add_f32 v67, v67, v71 :: v_dual_mul_f32 v88, v2, v88
	s_waitcnt lgkmcnt(6)
	v_mul_f32_e32 v71, v36, v40
	v_mul_f32_e32 v40, v35, v40
	v_fma_f32 v2, v2, v87, -v86
	v_add_f32_e32 v67, v67, v73
	v_add_f32_e32 v72, v72, v101
	v_fmac_f32_e32 v88, v3, v87
	v_fmac_f32_e32 v40, v36, v39
	v_fma_f32 v23, v35, v39, -v71
	s_delay_alu instid0(VALU_DEP_4) | instskip(SKIP_2) | instid1(VALU_DEP_3)
	v_add_f32_e32 v68, v72, v68
	v_mul_f32_e32 v72, v5, v90
	v_mul_f32_e32 v90, v4, v90
	v_add_f32_e32 v68, v68, v70
	s_delay_alu instid0(VALU_DEP_3) | instskip(SKIP_1) | instid1(VALU_DEP_3)
	v_fma_f32 v4, v4, v89, -v72
	s_waitcnt lgkmcnt(4)
	v_dual_fmac_f32 v90, v5, v89 :: v_dual_mul_f32 v5, v47, v44
	v_mul_f32_e32 v30, v33, v30
	v_add_f32_e32 v68, v68, v69
	v_mul_f32_e32 v69, v32, v28
	s_delay_alu instid0(VALU_DEP_4) | instskip(SKIP_1) | instid1(VALU_DEP_4)
	v_dual_mul_f32 v28, v31, v28 :: v_dual_fmac_f32 v5, v48, v43
	v_mul_f32_e32 v76, v38, v42
	v_add_f32_e32 v68, v68, v74
	v_fma_f32 v74, v81, v85, -v78
	v_mul_f32_e32 v42, v37, v42
	v_fmac_f32_e32 v30, v34, v29
	s_delay_alu instid0(VALU_DEP_3) | instskip(NEXT) | instid1(VALU_DEP_3)
	v_dual_fmac_f32 v84, v82, v85 :: v_dual_add_f32 v67, v67, v74
	v_fmac_f32_e32 v42, v38, v41
	v_add_f32_e32 v68, v68, v77
	v_mul_f32_e32 v70, v22, v26
	v_mul_f32_e32 v26, v21, v26
	s_delay_alu instid0(VALU_DEP_3) | instskip(NEXT) | instid1(VALU_DEP_3)
	v_dual_add_f32 v2, v67, v2 :: v_dual_add_f32 v3, v68, v84
	v_fma_f32 v20, v21, v25, -v70
	v_fma_f32 v21, v31, v27, -v69
	s_delay_alu instid0(VALU_DEP_3) | instskip(NEXT) | instid1(VALU_DEP_1)
	v_add_f32_e32 v2, v2, v4
	v_dual_add_f32 v2, v2, v19 :: v_dual_mul_f32 v19, v49, v46
	s_delay_alu instid0(VALU_DEP_1) | instskip(SKIP_1) | instid1(VALU_DEP_2)
	v_add_f32_e32 v2, v2, v20
	s_waitcnt lgkmcnt(2)
	v_dual_fmac_f32 v19, v50, v45 :: v_dual_mul_f32 v20, v52, v56
	s_delay_alu instid0(VALU_DEP_2) | instskip(SKIP_2) | instid1(VALU_DEP_4)
	v_dual_add_f32 v2, v2, v21 :: v_dual_mul_f32 v21, v51, v56
	v_fmac_f32_e32 v26, v22, v25
	v_fma_f32 v22, v33, v29, -v75
	v_fma_f32 v20, v51, v55, -v20
	s_delay_alu instid0(VALU_DEP_2) | instskip(SKIP_1) | instid1(VALU_DEP_2)
	v_dual_fmac_f32 v21, v52, v55 :: v_dual_add_f32 v2, v2, v22
	v_mul_f32_e32 v22, v54, v58
	v_dual_add_f32 v2, v2, v23 :: v_dual_mul_f32 v23, v53, v58
	s_delay_alu instid0(VALU_DEP_1) | instskip(SKIP_1) | instid1(VALU_DEP_1)
	v_dual_fmac_f32 v28, v32, v27 :: v_dual_fmac_f32 v23, v54, v57
	v_add_f32_e32 v3, v3, v88
	v_add_f32_e32 v3, v3, v90
	s_delay_alu instid0(VALU_DEP_1) | instskip(NEXT) | instid1(VALU_DEP_1)
	v_add_f32_e32 v3, v3, v24
	v_add_f32_e32 v3, v3, v26
	s_delay_alu instid0(VALU_DEP_1) | instskip(NEXT) | instid1(VALU_DEP_1)
	;; [unrolled: 3-line block ×3, first 2 shown]
	v_add_f32_e32 v3, v3, v40
	v_add_f32_e32 v3, v3, v42
	s_delay_alu instid0(VALU_DEP_1) | instskip(SKIP_3) | instid1(VALU_DEP_3)
	v_dual_add_f32 v3, v3, v5 :: v_dual_mul_f32 v68, v48, v44
	v_fma_f32 v24, v37, v41, -v76
	s_waitcnt lgkmcnt(0)
	v_mul_f32_e32 v5, v63, v60
	v_add_f32_e32 v3, v3, v19
	v_fma_f32 v25, v47, v43, -v68
	s_delay_alu instid0(VALU_DEP_3) | instskip(NEXT) | instid1(VALU_DEP_3)
	v_dual_add_f32 v2, v2, v24 :: v_dual_fmac_f32 v5, v64, v59
	v_dual_mul_f32 v24, v64, v60 :: v_dual_add_f32 v3, v3, v21
	v_fma_f32 v19, v53, v57, -v22
	s_delay_alu instid0(VALU_DEP_3) | instskip(NEXT) | instid1(VALU_DEP_3)
	v_add_f32_e32 v2, v2, v25
	v_fma_f32 v21, v63, v59, -v24
	s_delay_alu instid0(VALU_DEP_4) | instskip(NEXT) | instid1(VALU_DEP_1)
	v_dual_add_f32 v3, v3, v23 :: v_dual_mul_f32 v4, v50, v46
	v_add_f32_e32 v3, v3, v5
	s_delay_alu instid0(VALU_DEP_2) | instskip(NEXT) | instid1(VALU_DEP_1)
	v_fma_f32 v4, v49, v45, -v4
	v_add_f32_e32 v2, v2, v4
	v_mul_f32_e32 v4, v66, v62
	s_delay_alu instid0(VALU_DEP_2) | instskip(SKIP_1) | instid1(VALU_DEP_3)
	v_add_f32_e32 v2, v2, v20
	v_mul_f32_e32 v20, v65, v62
	v_fma_f32 v4, v65, v61, -v4
	s_delay_alu instid0(VALU_DEP_3) | instskip(NEXT) | instid1(VALU_DEP_3)
	v_add_f32_e32 v2, v2, v19
	v_fmac_f32_e32 v20, v66, v61
	s_delay_alu instid0(VALU_DEP_1) | instskip(NEXT) | instid1(VALU_DEP_1)
	v_dual_add_f32 v2, v2, v21 :: v_dual_add_f32 v3, v3, v20
	v_add_f32_e32 v2, v2, v4
	s_delay_alu instid0(VALU_DEP_1) | instskip(NEXT) | instid1(VALU_DEP_1)
	v_dual_mul_f32 v4, s17, v3 :: v_dual_mul_f32 v5, s17, v2
	v_fma_f32 v2, s16, v2, -v4
	s_waitcnt vmcnt(0)
	s_delay_alu instid0(VALU_DEP_1) | instskip(NEXT) | instid1(VALU_DEP_1)
	v_dual_fmac_f32 v5, s16, v3 :: v_dual_add_f32 v2, v91, v2
	v_add_f32_e32 v3, v92, v5
	global_store_b64 v[0:1], v[2:3], off
	s_branch .LBB691_4
.LBB691_11:
	s_endpgm
	.section	.rodata,"a",@progbits
	.p2align	6, 0x0
	.amdhsa_kernel _ZL26rocblas_syr2k_her2k_kernelIiLb0ELb0ELb0ELi32EPK19rocblas_complex_numIfEPKS3_PKPS1_EvbiT_T4_T5_S9_lSB_S9_lT6_S9_li
		.amdhsa_group_segment_fixed_size 16384
		.amdhsa_private_segment_fixed_size 0
		.amdhsa_kernarg_size 100
		.amdhsa_user_sgpr_count 13
		.amdhsa_user_sgpr_dispatch_ptr 0
		.amdhsa_user_sgpr_queue_ptr 0
		.amdhsa_user_sgpr_kernarg_segment_ptr 1
		.amdhsa_user_sgpr_dispatch_id 0
		.amdhsa_user_sgpr_private_segment_size 0
		.amdhsa_wavefront_size32 1
		.amdhsa_uses_dynamic_stack 0
		.amdhsa_enable_private_segment 0
		.amdhsa_system_sgpr_workgroup_id_x 1
		.amdhsa_system_sgpr_workgroup_id_y 1
		.amdhsa_system_sgpr_workgroup_id_z 1
		.amdhsa_system_sgpr_workgroup_info 0
		.amdhsa_system_vgpr_workitem_id 1
		.amdhsa_next_free_vgpr 106
		.amdhsa_next_free_sgpr 27
		.amdhsa_reserve_vcc 1
		.amdhsa_float_round_mode_32 0
		.amdhsa_float_round_mode_16_64 0
		.amdhsa_float_denorm_mode_32 3
		.amdhsa_float_denorm_mode_16_64 3
		.amdhsa_dx10_clamp 1
		.amdhsa_ieee_mode 1
		.amdhsa_fp16_overflow 0
		.amdhsa_workgroup_processor_mode 1
		.amdhsa_memory_ordered 1
		.amdhsa_forward_progress 0
		.amdhsa_shared_vgpr_count 0
		.amdhsa_exception_fp_ieee_invalid_op 0
		.amdhsa_exception_fp_denorm_src 0
		.amdhsa_exception_fp_ieee_div_zero 0
		.amdhsa_exception_fp_ieee_overflow 0
		.amdhsa_exception_fp_ieee_underflow 0
		.amdhsa_exception_fp_ieee_inexact 0
		.amdhsa_exception_int_div_zero 0
	.end_amdhsa_kernel
	.section	.text._ZL26rocblas_syr2k_her2k_kernelIiLb0ELb0ELb0ELi32EPK19rocblas_complex_numIfEPKS3_PKPS1_EvbiT_T4_T5_S9_lSB_S9_lT6_S9_li,"axG",@progbits,_ZL26rocblas_syr2k_her2k_kernelIiLb0ELb0ELb0ELi32EPK19rocblas_complex_numIfEPKS3_PKPS1_EvbiT_T4_T5_S9_lSB_S9_lT6_S9_li,comdat
.Lfunc_end691:
	.size	_ZL26rocblas_syr2k_her2k_kernelIiLb0ELb0ELb0ELi32EPK19rocblas_complex_numIfEPKS3_PKPS1_EvbiT_T4_T5_S9_lSB_S9_lT6_S9_li, .Lfunc_end691-_ZL26rocblas_syr2k_her2k_kernelIiLb0ELb0ELb0ELi32EPK19rocblas_complex_numIfEPKS3_PKPS1_EvbiT_T4_T5_S9_lSB_S9_lT6_S9_li
                                        ; -- End function
	.section	.AMDGPU.csdata,"",@progbits
; Kernel info:
; codeLenInByte = 2148
; NumSgprs: 29
; NumVgprs: 106
; ScratchSize: 0
; MemoryBound: 0
; FloatMode: 240
; IeeeMode: 1
; LDSByteSize: 16384 bytes/workgroup (compile time only)
; SGPRBlocks: 3
; VGPRBlocks: 13
; NumSGPRsForWavesPerEU: 29
; NumVGPRsForWavesPerEU: 106
; Occupancy: 12
; WaveLimiterHint : 1
; COMPUTE_PGM_RSRC2:SCRATCH_EN: 0
; COMPUTE_PGM_RSRC2:USER_SGPR: 13
; COMPUTE_PGM_RSRC2:TRAP_HANDLER: 0
; COMPUTE_PGM_RSRC2:TGID_X_EN: 1
; COMPUTE_PGM_RSRC2:TGID_Y_EN: 1
; COMPUTE_PGM_RSRC2:TGID_Z_EN: 1
; COMPUTE_PGM_RSRC2:TIDIG_COMP_CNT: 1
	.section	.text._ZL26rocblas_syr2k_her2k_kernelIiLb0ELb0ELb1ELi32EPK19rocblas_complex_numIfEPKS3_PKPS1_EvbiT_T4_T5_S9_lSB_S9_lT6_S9_li,"axG",@progbits,_ZL26rocblas_syr2k_her2k_kernelIiLb0ELb0ELb1ELi32EPK19rocblas_complex_numIfEPKS3_PKPS1_EvbiT_T4_T5_S9_lSB_S9_lT6_S9_li,comdat
	.globl	_ZL26rocblas_syr2k_her2k_kernelIiLb0ELb0ELb1ELi32EPK19rocblas_complex_numIfEPKS3_PKPS1_EvbiT_T4_T5_S9_lSB_S9_lT6_S9_li ; -- Begin function _ZL26rocblas_syr2k_her2k_kernelIiLb0ELb0ELb1ELi32EPK19rocblas_complex_numIfEPKS3_PKPS1_EvbiT_T4_T5_S9_lSB_S9_lT6_S9_li
	.p2align	8
	.type	_ZL26rocblas_syr2k_her2k_kernelIiLb0ELb0ELb1ELi32EPK19rocblas_complex_numIfEPKS3_PKPS1_EvbiT_T4_T5_S9_lSB_S9_lT6_S9_li,@function
_ZL26rocblas_syr2k_her2k_kernelIiLb0ELb0ELb1ELi32EPK19rocblas_complex_numIfEPKS3_PKPS1_EvbiT_T4_T5_S9_lSB_S9_lT6_S9_li: ; @_ZL26rocblas_syr2k_her2k_kernelIiLb0ELb0ELb1ELi32EPK19rocblas_complex_numIfEPKS3_PKPS1_EvbiT_T4_T5_S9_lSB_S9_lT6_S9_li
; %bb.0:
	s_load_b128 s[16:19], s[0:1], 0x10
	s_waitcnt lgkmcnt(0)
	s_load_b64 s[16:17], s[16:17], 0x0
	s_waitcnt lgkmcnt(0)
	v_cmp_eq_f32_e64 s3, s16, 0
	v_cmp_eq_f32_e64 s4, s17, 0
	s_delay_alu instid0(VALU_DEP_1) | instskip(NEXT) | instid1(SALU_CYCLE_1)
	s_and_b32 s3, s3, s4
	s_and_b32 vcc_lo, exec_lo, s3
	s_cbranch_vccnz .LBB692_11
; %bb.1:
	s_load_b128 s[4:7], s[0:1], 0x0
	s_waitcnt lgkmcnt(0)
	s_lshl_b32 s7, s14, 5
	s_and_b32 s3, 1, s4
	s_lshl_b32 s4, s13, 5
	s_cmp_eq_u32 s3, 1
	s_cselect_b32 vcc_lo, -1, 0
	s_delay_alu instid0(SALU_CYCLE_1) | instskip(SKIP_2) | instid1(SALU_CYCLE_1)
	s_and_b32 s3, vcc_lo, exec_lo
	s_cselect_b32 s3, s4, s7
	s_cselect_b32 s8, s7, s4
	s_cmp_gt_i32 s3, s8
	s_cbranch_scc1 .LBB692_11
; %bb.2:
	s_cmp_lt_i32 s6, 1
	s_cbranch_scc1 .LBB692_11
; %bb.3:
	s_mov_b32 s2, s15
	s_clause 0x4
	s_load_b128 s[12:15], s[0:1], 0x28
	s_load_b32 s22, s[0:1], 0x20
	s_load_b32 s23, s[0:1], 0x38
	s_load_b128 s[8:11], s[0:1], 0x40
	s_load_b32 s24, s[0:1], 0x50
	s_mov_b32 s3, 0
	v_and_b32_e32 v8, 0x3ff, v0
	s_lshl_b64 s[20:21], s[2:3], 3
	s_load_b64 s[0:1], s[0:1], 0x58
	s_add_u32 s18, s18, s20
	s_addc_u32 s19, s19, s21
	v_bfe_u32 v9, v0, 10, 10
	s_load_b64 s[18:19], s[18:19], 0x0
	v_add_nc_u32_e32 v0, s4, v8
	v_lshlrev_b32_e32 v10, 8, v8
	s_delay_alu instid0(VALU_DEP_3) | instskip(SKIP_1) | instid1(VALU_DEP_4)
	v_add_nc_u32_e32 v14, s7, v9
	v_lshlrev_b32_e32 v15, 3, v9
	v_ashrrev_i32_e32 v1, 31, v0
	s_waitcnt lgkmcnt(0)
	s_add_u32 s14, s14, s20
	v_cndmask_b32_e32 v18, v0, v14, vcc_lo
	s_addc_u32 s15, s15, s21
	s_add_u32 s10, s10, s20
	s_load_b64 s[14:15], s[14:15], 0x0
	s_addc_u32 s11, s11, s21
	v_mad_i64_i32 v[2:3], null, s22, v0, 0
	s_load_b64 s[10:11], s[10:11], 0x0
	v_mad_i64_i32 v[4:5], null, s23, v14, 0
	s_lshl_b64 s[12:13], s[12:13], 3
	v_mad_i64_i32 v[6:7], null, s24, v14, 0
	s_delay_alu instid0(VALU_DEP_3) | instskip(SKIP_3) | instid1(VALU_DEP_3)
	v_lshlrev_b64 v[2:3], 3, v[2:3]
	s_add_u32 s2, s18, s12
	s_addc_u32 s4, s19, s13
	s_lshl_b64 s[8:9], s[8:9], 3
	v_lshlrev_b64 v[4:5], 3, v[4:5]
	v_cndmask_b32_e32 v19, v14, v0, vcc_lo
	v_add_nc_u32_e32 v13, v10, v15
	v_cmp_gt_i32_e32 vcc_lo, s5, v0
	v_lshlrev_b64 v[0:1], 3, v[0:1]
	s_waitcnt lgkmcnt(0)
	s_add_u32 s7, s14, s8
	s_addc_u32 s12, s15, s9
	s_lshl_b64 s[8:9], s[0:1], 3
	v_add_co_u32 v11, s0, s2, v2
	s_delay_alu instid0(VALU_DEP_1)
	v_add_co_ci_u32_e64 v12, s0, s4, v3, s0
	v_lshlrev_b64 v[2:3], 3, v[6:7]
	v_cmp_gt_i32_e64 s0, s5, v14
	v_or_b32_e32 v14, 0x2000, v15
	v_add_co_u32 v15, s1, s7, v4
	s_add_u32 s2, s10, s8
	v_add_co_ci_u32_e64 v16, s1, s12, v5, s1
	s_addc_u32 s4, s11, s9
	v_add_co_u32 v2, s1, s2, v2
	s_delay_alu instid0(VALU_DEP_1) | instskip(SKIP_2) | instid1(VALU_DEP_4)
	v_add_co_ci_u32_e64 v3, s1, s4, v3, s1
	v_cmp_le_i32_e64 s1, v19, v18
	v_add_nc_u32_e32 v18, 0x800, v14
	v_add_co_u32 v0, s2, v2, v0
	v_add_nc_u32_e32 v17, v14, v10
	v_add_co_ci_u32_e64 v1, s2, v3, v1, s2
	v_add_nc_u32_e32 v19, 0x1000, v14
	v_add_nc_u32_e32 v20, 0x1800, v14
	s_and_b32 s2, s0, vcc_lo
	s_delay_alu instid0(SALU_CYCLE_1)
	s_and_b32 s2, s2, s1
	s_branch .LBB692_5
.LBB692_4:                              ;   in Loop: Header=BB692_5 Depth=1
	s_or_b32 exec_lo, exec_lo, s1
	s_add_i32 s3, s3, 32
	s_waitcnt_vscnt null, 0x0
	s_cmp_lt_i32 s3, s6
	s_barrier
	buffer_gl0_inv
	s_cbranch_scc0 .LBB692_11
.LBB692_5:                              ; =>This Inner Loop Header: Depth=1
	v_dual_mov_b32 v2, 0 :: v_dual_add_nc_u32 v3, s3, v9
	v_dual_mov_b32 v4, 0 :: v_dual_mov_b32 v5, 0
	s_delay_alu instid0(VALU_DEP_2) | instskip(NEXT) | instid1(VALU_DEP_1)
	v_cmp_gt_i32_e64 s1, s6, v3
	s_and_b32 s1, vcc_lo, s1
	s_delay_alu instid0(SALU_CYCLE_1)
	s_and_saveexec_b32 s4, s1
	s_cbranch_execz .LBB692_7
; %bb.6:                                ;   in Loop: Header=BB692_5 Depth=1
	v_ashrrev_i32_e32 v4, 31, v3
	s_delay_alu instid0(VALU_DEP_1) | instskip(NEXT) | instid1(VALU_DEP_1)
	v_lshlrev_b64 v[3:4], 3, v[3:4]
	v_add_co_u32 v3, s1, v11, v3
	s_delay_alu instid0(VALU_DEP_1)
	v_add_co_ci_u32_e64 v4, s1, v12, v4, s1
	global_load_b64 v[4:5], v[3:4], off
.LBB692_7:                              ;   in Loop: Header=BB692_5 Depth=1
	s_or_b32 exec_lo, exec_lo, s4
	v_dual_mov_b32 v3, 0 :: v_dual_add_nc_u32 v6, s3, v8
	s_waitcnt vmcnt(0)
	ds_store_b64 v13, v[4:5]
	v_cmp_gt_i32_e64 s1, s6, v6
	s_delay_alu instid0(VALU_DEP_1) | instskip(NEXT) | instid1(SALU_CYCLE_1)
	s_and_b32 s1, s0, s1
	s_and_saveexec_b32 s4, s1
	s_cbranch_execz .LBB692_9
; %bb.8:                                ;   in Loop: Header=BB692_5 Depth=1
	v_ashrrev_i32_e32 v7, 31, v6
	s_delay_alu instid0(VALU_DEP_1) | instskip(NEXT) | instid1(VALU_DEP_1)
	v_lshlrev_b64 v[2:3], 3, v[6:7]
	v_add_co_u32 v2, s1, v15, v2
	s_delay_alu instid0(VALU_DEP_1)
	v_add_co_ci_u32_e64 v3, s1, v16, v3, s1
	global_load_b64 v[2:3], v[2:3], off
.LBB692_9:                              ;   in Loop: Header=BB692_5 Depth=1
	s_or_b32 exec_lo, exec_lo, s4
	s_waitcnt vmcnt(0)
	ds_store_b64 v17, v[2:3]
	s_waitcnt lgkmcnt(0)
	s_barrier
	buffer_gl0_inv
	s_and_saveexec_b32 s1, s2
	s_cbranch_execz .LBB692_4
; %bb.10:                               ;   in Loop: Header=BB692_5 Depth=1
	global_load_b64 v[6:7], v[0:1], off
	ds_load_2addr_b64 v[2:5], v14 offset1:32
	ds_load_b128 v[21:24], v10
	ds_load_b128 v[25:28], v10 offset:16
	ds_load_b128 v[29:32], v10 offset:32
	;; [unrolled: 1-line block ×3, first 2 shown]
	ds_load_2addr_b64 v[37:40], v14 offset0:64 offset1:96
	ds_load_2addr_b64 v[41:44], v14 offset0:128 offset1:160
	;; [unrolled: 1-line block ×3, first 2 shown]
	ds_load_2addr_b64 v[49:52], v18 offset1:32
	ds_load_b128 v[53:56], v10 offset:64
	ds_load_b128 v[57:60], v10 offset:80
	ds_load_2addr_b64 v[61:64], v18 offset0:64 offset1:96
	ds_load_2addr_b64 v[65:68], v18 offset0:128 offset1:160
	ds_load_b128 v[69:72], v10 offset:96
	ds_load_b128 v[73:76], v10 offset:112
	ds_load_2addr_b64 v[77:80], v18 offset0:192 offset1:224
	ds_load_2addr_b64 v[81:84], v19 offset1:32
	ds_load_b128 v[85:88], v10 offset:128
	ds_load_b128 v[89:92], v10 offset:144
	s_waitcnt lgkmcnt(17)
	v_mul_f32_e32 v93, v3, v22
	v_dual_mul_f32 v94, v2, v22 :: v_dual_mul_f32 v95, v4, v24
	v_mul_f32_e32 v22, v5, v24
	s_waitcnt lgkmcnt(13)
	v_dual_mul_f32 v97, v37, v26 :: v_dual_mul_f32 v98, v39, v28
	v_fma_f32 v93, v2, v21, -v93
	v_dual_fmac_f32 v94, v3, v21 :: v_dual_fmac_f32 v95, v5, v23
	v_fma_f32 v96, v4, v23, -v22
	v_dual_mul_f32 v21, v38, v26 :: v_dual_mul_f32 v22, v40, v28
	s_waitcnt lgkmcnt(12)
	v_dual_mul_f32 v99, v41, v30 :: v_dual_mul_f32 v28, v44, v32
	v_mul_f32_e32 v102, v43, v32
	s_delay_alu instid0(VALU_DEP_3) | instskip(SKIP_1) | instid1(VALU_DEP_4)
	v_fma_f32 v100, v37, v25, -v21
	v_add_f32_e32 v37, 0, v94
	v_fmac_f32_e32 v99, v42, v29
	v_mul_f32_e32 v26, v42, v30
	v_dual_fmac_f32 v102, v44, v31 :: v_dual_fmac_f32 v97, v38, v25
	v_fmac_f32_e32 v98, v40, v27
	v_add_f32_e32 v37, v37, v95
	v_fma_f32 v103, v43, v31, -v28
	s_waitcnt lgkmcnt(11)
	v_dual_mul_f32 v38, v46, v34 :: v_dual_mul_f32 v95, v47, v36
	v_mul_f32_e32 v94, v45, v34
	v_dual_mul_f32 v34, v48, v36 :: v_dual_add_f32 v43, v37, v97
	v_add_f32_e32 v36, 0, v93
	v_fma_f32 v101, v39, v27, -v22
	s_waitcnt lgkmcnt(9)
	v_dual_mul_f32 v44, v50, v54 :: v_dual_mul_f32 v97, v51, v56
	s_delay_alu instid0(VALU_DEP_3) | instskip(SKIP_1) | instid1(VALU_DEP_3)
	v_dual_add_f32 v43, v43, v98 :: v_dual_add_f32 v42, v36, v96
	v_fma_f32 v41, v41, v29, -v26
	v_dual_mul_f32 v96, v49, v54 :: v_dual_fmac_f32 v97, v52, v55
	s_delay_alu instid0(VALU_DEP_3) | instskip(SKIP_2) | instid1(VALU_DEP_3)
	v_dual_add_f32 v43, v43, v99 :: v_dual_add_f32 v42, v42, v100
	v_fma_f32 v93, v45, v33, -v38
	v_dual_fmac_f32 v95, v48, v35 :: v_dual_fmac_f32 v94, v46, v33
	v_dual_mul_f32 v45, v52, v56 :: v_dual_add_f32 v42, v42, v101
	s_waitcnt lgkmcnt(7)
	v_dual_mul_f32 v101, v63, v60 :: v_dual_mul_f32 v98, v61, v58
	v_fma_f32 v99, v49, v53, -v44
	v_dual_mul_f32 v49, v64, v60 :: v_dual_fmac_f32 v96, v50, v53
	v_add_f32_e32 v53, v42, v41
	s_delay_alu instid0(VALU_DEP_4) | instskip(SKIP_2) | instid1(VALU_DEP_4)
	v_dual_mul_f32 v54, v62, v58 :: v_dual_fmac_f32 v101, v64, v59
	v_fma_f32 v100, v51, v55, -v45
	v_dual_add_f32 v55, v43, v102 :: v_dual_fmac_f32 v98, v62, v57
	v_add_f32_e32 v53, v53, v103
	ds_load_2addr_b64 v[21:24], v19 offset0:128 offset1:160
	v_fma_f32 v104, v47, v35, -v34
	v_fma_f32 v102, v61, v57, -v54
	;; [unrolled: 1-line block ×3, first 2 shown]
	s_waitcnt lgkmcnt(6)
	v_dual_mul_f32 v57, v66, v70 :: v_dual_mul_f32 v58, v68, v72
	v_dual_add_f32 v54, v55, v94 :: v_dual_add_f32 v59, v53, v93
	v_mul_f32_e32 v70, v65, v70
	ds_load_2addr_b64 v[2:5], v19 offset0:64 offset1:96
	ds_load_b128 v[25:28], v10 offset:160
	ds_load_b128 v[29:32], v10 offset:176
	v_dual_add_f32 v93, v54, v95 :: v_dual_mul_f32 v72, v67, v72
	v_fma_f32 v94, v65, v69, -v57
	v_dual_fmac_f32 v70, v66, v69 :: v_dual_add_f32 v65, v59, v104
	v_fma_f32 v69, v67, v71, -v58
	s_waitcnt lgkmcnt(7)
	v_dual_mul_f32 v67, v78, v74 :: v_dual_fmac_f32 v72, v68, v71
	v_mul_f32_e32 v71, v77, v74
	v_dual_add_f32 v65, v65, v99 :: v_dual_mul_f32 v68, v80, v76
	v_add_f32_e32 v66, v93, v96
	ds_load_2addr_b64 v[33:36], v19 offset0:192 offset1:224
	v_dual_fmac_f32 v71, v78, v73 :: v_dual_add_f32 v78, v65, v100
	v_mul_f32_e32 v76, v79, v76
	v_add_f32_e32 v74, v66, v97
	v_fma_f32 v77, v77, v73, -v67
	s_waitcnt lgkmcnt(2)
	v_mul_f32_e32 v93, v22, v26
	v_add_f32_e32 v78, v78, v102
	ds_load_2addr_b64 v[37:40], v20 offset1:32
	v_fma_f32 v73, v79, v75, -v68
	v_mul_f32_e32 v79, v81, v86
	ds_load_b128 v[41:44], v10 offset:192
	ds_load_b128 v[45:48], v10 offset:208
	v_add_f32_e32 v78, v78, v105
	ds_load_2addr_b64 v[49:52], v20 offset0:64 offset1:96
	ds_load_2addr_b64 v[53:56], v20 offset0:128 offset1:160
	v_fmac_f32_e32 v79, v82, v85
	ds_load_b128 v[57:60], v10 offset:224
	ds_load_b128 v[61:64], v10 offset:240
	v_add_f32_e32 v78, v78, v94
	v_dual_fmac_f32 v76, v80, v75 :: v_dual_mul_f32 v75, v82, v86
	v_mul_f32_e32 v80, v84, v88
	ds_load_2addr_b64 v[65:68], v20 offset0:192 offset1:224
	v_add_f32_e32 v69, v78, v69
	v_add_f32_e32 v74, v74, v98
	v_fma_f32 v75, v81, v85, -v75
	s_delay_alu instid0(VALU_DEP_3)
	v_dual_add_f32 v69, v69, v77 :: v_dual_mul_f32 v86, v83, v88
	s_waitcnt lgkmcnt(8)
	v_mul_f32_e32 v77, v36, v32
	v_mul_f32_e32 v32, v35, v32
	s_waitcnt lgkmcnt(6)
	v_dual_mul_f32 v78, v40, v44 :: v_dual_add_f32 v69, v69, v73
	v_add_f32_e32 v74, v74, v101
	v_mul_f32_e32 v44, v39, v44
	v_fmac_f32_e32 v32, v36, v31
	v_mul_f32_e32 v26, v21, v26
	s_delay_alu instid0(VALU_DEP_4) | instskip(SKIP_2) | instid1(VALU_DEP_4)
	v_dual_add_f32 v69, v69, v75 :: v_dual_add_f32 v70, v74, v70
	v_mul_f32_e32 v88, v3, v90
	v_dual_mul_f32 v74, v5, v92 :: v_dual_mul_f32 v73, v38, v42
	v_fmac_f32_e32 v26, v22, v25
	s_delay_alu instid0(VALU_DEP_4)
	v_add_f32_e32 v70, v70, v72
	v_fmac_f32_e32 v44, v40, v43
	v_mul_f32_e32 v42, v37, v42
	v_mul_f32_e32 v72, v24, v28
	v_fma_f32 v21, v21, v25, -v93
	v_add_f32_e32 v70, v70, v71
	v_mul_f32_e32 v71, v34, v30
	v_fmac_f32_e32 v42, v38, v41
	v_fmac_f32_e32 v86, v84, v87
	v_mul_f32_e32 v28, v23, v28
	v_add_f32_e32 v70, v70, v76
	v_fma_f32 v76, v83, v87, -v80
	v_fma_f32 v25, v37, v41, -v73
	v_mul_f32_e32 v30, v33, v30
	s_delay_alu instid0(VALU_DEP_4) | instskip(SKIP_3) | instid1(VALU_DEP_3)
	v_add_f32_e32 v70, v70, v79
	v_mul_f32_e32 v92, v4, v92
	v_add_f32_e32 v69, v69, v76
	v_fma_f32 v4, v4, v91, -v74
	v_fmac_f32_e32 v92, v5, v91
	v_mul_f32_e32 v90, v2, v90
	v_fma_f32 v2, v2, v89, -v88
	s_waitcnt lgkmcnt(4)
	v_mul_f32_e32 v5, v49, v46
	v_fma_f32 v22, v23, v27, -v72
	v_fma_f32 v23, v33, v29, -v71
	s_delay_alu instid0(VALU_DEP_3) | instskip(NEXT) | instid1(VALU_DEP_1)
	v_dual_add_f32 v2, v69, v2 :: v_dual_fmac_f32 v5, v50, v45
	v_add_f32_e32 v2, v2, v4
	s_delay_alu instid0(VALU_DEP_1) | instskip(NEXT) | instid1(VALU_DEP_1)
	v_dual_add_f32 v2, v2, v21 :: v_dual_mul_f32 v21, v51, v48
	v_dual_add_f32 v2, v2, v22 :: v_dual_fmac_f32 v21, v52, v47
	s_waitcnt lgkmcnt(2)
	v_mul_f32_e32 v22, v54, v58
	s_delay_alu instid0(VALU_DEP_2) | instskip(SKIP_2) | instid1(VALU_DEP_4)
	v_dual_add_f32 v2, v2, v23 :: v_dual_mul_f32 v23, v53, v58
	v_fmac_f32_e32 v28, v24, v27
	v_fma_f32 v24, v35, v31, -v77
	v_fma_f32 v22, v53, v57, -v22
	s_delay_alu instid0(VALU_DEP_4) | instskip(NEXT) | instid1(VALU_DEP_3)
	v_fmac_f32_e32 v23, v54, v57
	v_add_f32_e32 v2, v2, v24
	v_mul_f32_e32 v24, v56, v60
	s_delay_alu instid0(VALU_DEP_2) | instskip(SKIP_1) | instid1(VALU_DEP_2)
	v_dual_add_f32 v2, v2, v25 :: v_dual_mul_f32 v25, v55, v60
	v_dual_fmac_f32 v90, v3, v89 :: v_dual_add_f32 v3, v70, v86
	v_dual_fmac_f32 v30, v34, v29 :: v_dual_fmac_f32 v25, v56, v59
	s_delay_alu instid0(VALU_DEP_2) | instskip(NEXT) | instid1(VALU_DEP_1)
	v_add_f32_e32 v3, v3, v90
	v_add_f32_e32 v3, v3, v92
	s_delay_alu instid0(VALU_DEP_1) | instskip(NEXT) | instid1(VALU_DEP_1)
	v_add_f32_e32 v3, v3, v26
	v_add_f32_e32 v3, v3, v28
	s_delay_alu instid0(VALU_DEP_1) | instskip(NEXT) | instid1(VALU_DEP_1)
	v_add_f32_e32 v3, v3, v30
	v_add_f32_e32 v3, v3, v32
	s_delay_alu instid0(VALU_DEP_1) | instskip(NEXT) | instid1(VALU_DEP_1)
	v_add_f32_e32 v3, v3, v42
	v_add_f32_e32 v3, v3, v44
	s_delay_alu instid0(VALU_DEP_1) | instskip(SKIP_3) | instid1(VALU_DEP_3)
	v_dual_add_f32 v3, v3, v5 :: v_dual_mul_f32 v70, v50, v46
	v_fma_f32 v26, v39, v43, -v78
	s_waitcnt lgkmcnt(0)
	v_dual_mul_f32 v5, v65, v62 :: v_dual_mul_f32 v4, v52, v48
	v_add_f32_e32 v3, v3, v21
	v_fma_f32 v27, v49, v45, -v70
	v_add_f32_e32 v2, v2, v26
	s_delay_alu instid0(VALU_DEP_4)
	v_fmac_f32_e32 v5, v66, v61
	v_fma_f32 v4, v51, v47, -v4
	v_mul_f32_e32 v26, v66, v62
	v_fma_f32 v21, v55, v59, -v24
	v_add_f32_e32 v2, v2, v27
	v_add_f32_e32 v3, v3, v23
	s_delay_alu instid0(VALU_DEP_4) | instskip(NEXT) | instid1(VALU_DEP_3)
	v_fma_f32 v23, v65, v61, -v26
	v_add_f32_e32 v2, v2, v4
	s_delay_alu instid0(VALU_DEP_3) | instskip(NEXT) | instid1(VALU_DEP_2)
	v_dual_mul_f32 v4, v68, v64 :: v_dual_add_f32 v3, v3, v25
	v_add_f32_e32 v2, v2, v22
	v_mul_f32_e32 v22, v67, v64
	s_delay_alu instid0(VALU_DEP_3) | instskip(NEXT) | instid1(VALU_DEP_4)
	v_fma_f32 v4, v67, v63, -v4
	v_add_f32_e32 v3, v3, v5
	s_delay_alu instid0(VALU_DEP_4) | instskip(NEXT) | instid1(VALU_DEP_4)
	v_add_f32_e32 v2, v2, v21
	v_fmac_f32_e32 v22, v68, v63
	s_delay_alu instid0(VALU_DEP_1) | instskip(NEXT) | instid1(VALU_DEP_1)
	v_dual_add_f32 v2, v2, v23 :: v_dual_add_f32 v3, v3, v22
	v_add_f32_e32 v2, v2, v4
	s_delay_alu instid0(VALU_DEP_1) | instskip(NEXT) | instid1(VALU_DEP_1)
	v_dual_mul_f32 v4, s17, v3 :: v_dual_mul_f32 v5, s17, v2
	v_fma_f32 v2, s16, v2, -v4
	s_waitcnt vmcnt(0)
	s_delay_alu instid0(VALU_DEP_1) | instskip(NEXT) | instid1(VALU_DEP_1)
	v_dual_fmac_f32 v5, s16, v3 :: v_dual_add_f32 v2, v6, v2
	v_add_f32_e32 v3, v7, v5
	global_store_b64 v[0:1], v[2:3], off
	s_branch .LBB692_4
.LBB692_11:
	s_endpgm
	.section	.rodata,"a",@progbits
	.p2align	6, 0x0
	.amdhsa_kernel _ZL26rocblas_syr2k_her2k_kernelIiLb0ELb0ELb1ELi32EPK19rocblas_complex_numIfEPKS3_PKPS1_EvbiT_T4_T5_S9_lSB_S9_lT6_S9_li
		.amdhsa_group_segment_fixed_size 16384
		.amdhsa_private_segment_fixed_size 0
		.amdhsa_kernarg_size 100
		.amdhsa_user_sgpr_count 13
		.amdhsa_user_sgpr_dispatch_ptr 0
		.amdhsa_user_sgpr_queue_ptr 0
		.amdhsa_user_sgpr_kernarg_segment_ptr 1
		.amdhsa_user_sgpr_dispatch_id 0
		.amdhsa_user_sgpr_private_segment_size 0
		.amdhsa_wavefront_size32 1
		.amdhsa_uses_dynamic_stack 0
		.amdhsa_enable_private_segment 0
		.amdhsa_system_sgpr_workgroup_id_x 1
		.amdhsa_system_sgpr_workgroup_id_y 1
		.amdhsa_system_sgpr_workgroup_id_z 1
		.amdhsa_system_sgpr_workgroup_info 0
		.amdhsa_system_vgpr_workitem_id 1
		.amdhsa_next_free_vgpr 106
		.amdhsa_next_free_sgpr 25
		.amdhsa_reserve_vcc 1
		.amdhsa_float_round_mode_32 0
		.amdhsa_float_round_mode_16_64 0
		.amdhsa_float_denorm_mode_32 3
		.amdhsa_float_denorm_mode_16_64 3
		.amdhsa_dx10_clamp 1
		.amdhsa_ieee_mode 1
		.amdhsa_fp16_overflow 0
		.amdhsa_workgroup_processor_mode 1
		.amdhsa_memory_ordered 1
		.amdhsa_forward_progress 0
		.amdhsa_shared_vgpr_count 0
		.amdhsa_exception_fp_ieee_invalid_op 0
		.amdhsa_exception_fp_denorm_src 0
		.amdhsa_exception_fp_ieee_div_zero 0
		.amdhsa_exception_fp_ieee_overflow 0
		.amdhsa_exception_fp_ieee_underflow 0
		.amdhsa_exception_fp_ieee_inexact 0
		.amdhsa_exception_int_div_zero 0
	.end_amdhsa_kernel
	.section	.text._ZL26rocblas_syr2k_her2k_kernelIiLb0ELb0ELb1ELi32EPK19rocblas_complex_numIfEPKS3_PKPS1_EvbiT_T4_T5_S9_lSB_S9_lT6_S9_li,"axG",@progbits,_ZL26rocblas_syr2k_her2k_kernelIiLb0ELb0ELb1ELi32EPK19rocblas_complex_numIfEPKS3_PKPS1_EvbiT_T4_T5_S9_lSB_S9_lT6_S9_li,comdat
.Lfunc_end692:
	.size	_ZL26rocblas_syr2k_her2k_kernelIiLb0ELb0ELb1ELi32EPK19rocblas_complex_numIfEPKS3_PKPS1_EvbiT_T4_T5_S9_lSB_S9_lT6_S9_li, .Lfunc_end692-_ZL26rocblas_syr2k_her2k_kernelIiLb0ELb0ELb1ELi32EPK19rocblas_complex_numIfEPKS3_PKPS1_EvbiT_T4_T5_S9_lSB_S9_lT6_S9_li
                                        ; -- End function
	.section	.AMDGPU.csdata,"",@progbits
; Kernel info:
; codeLenInByte = 2152
; NumSgprs: 27
; NumVgprs: 106
; ScratchSize: 0
; MemoryBound: 0
; FloatMode: 240
; IeeeMode: 1
; LDSByteSize: 16384 bytes/workgroup (compile time only)
; SGPRBlocks: 3
; VGPRBlocks: 13
; NumSGPRsForWavesPerEU: 27
; NumVGPRsForWavesPerEU: 106
; Occupancy: 12
; WaveLimiterHint : 1
; COMPUTE_PGM_RSRC2:SCRATCH_EN: 0
; COMPUTE_PGM_RSRC2:USER_SGPR: 13
; COMPUTE_PGM_RSRC2:TRAP_HANDLER: 0
; COMPUTE_PGM_RSRC2:TGID_X_EN: 1
; COMPUTE_PGM_RSRC2:TGID_Y_EN: 1
; COMPUTE_PGM_RSRC2:TGID_Z_EN: 1
; COMPUTE_PGM_RSRC2:TIDIG_COMP_CNT: 1
	.section	.text._ZL26rocblas_syr2k_her2k_kernelIiLb0ELb0ELb0ELi32E19rocblas_complex_numIdEPKPKS1_PKPS1_EvbiT_T4_T5_S9_lSB_S9_lT6_S9_li,"axG",@progbits,_ZL26rocblas_syr2k_her2k_kernelIiLb0ELb0ELb0ELi32E19rocblas_complex_numIdEPKPKS1_PKPS1_EvbiT_T4_T5_S9_lSB_S9_lT6_S9_li,comdat
	.globl	_ZL26rocblas_syr2k_her2k_kernelIiLb0ELb0ELb0ELi32E19rocblas_complex_numIdEPKPKS1_PKPS1_EvbiT_T4_T5_S9_lSB_S9_lT6_S9_li ; -- Begin function _ZL26rocblas_syr2k_her2k_kernelIiLb0ELb0ELb0ELi32E19rocblas_complex_numIdEPKPKS1_PKPS1_EvbiT_T4_T5_S9_lSB_S9_lT6_S9_li
	.p2align	8
	.type	_ZL26rocblas_syr2k_her2k_kernelIiLb0ELb0ELb0ELi32E19rocblas_complex_numIdEPKPKS1_PKPS1_EvbiT_T4_T5_S9_lSB_S9_lT6_S9_li,@function
_ZL26rocblas_syr2k_her2k_kernelIiLb0ELb0ELb0ELi32E19rocblas_complex_numIdEPKPKS1_PKPS1_EvbiT_T4_T5_S9_lSB_S9_lT6_S9_li: ; @_ZL26rocblas_syr2k_her2k_kernelIiLb0ELb0ELb0ELi32E19rocblas_complex_numIdEPKPKS1_PKPS1_EvbiT_T4_T5_S9_lSB_S9_lT6_S9_li
; %bb.0:
	s_load_b128 s[4:7], s[0:1], 0x10
	s_waitcnt lgkmcnt(0)
	v_cmp_eq_f64_e64 s3, s[4:5], 0
	v_cmp_eq_f64_e64 s8, s[6:7], 0
	s_delay_alu instid0(VALU_DEP_1) | instskip(NEXT) | instid1(SALU_CYCLE_1)
	s_and_b32 s3, s3, s8
	s_and_b32 vcc_lo, exec_lo, s3
	s_cbranch_vccnz .LBB693_11
; %bb.1:
	s_load_b128 s[8:11], s[0:1], 0x0
	s_lshl_b32 s20, s14, 5
	s_lshl_b32 s21, s13, 5
	s_waitcnt lgkmcnt(0)
	s_and_b32 s3, 1, s8
	s_delay_alu instid0(SALU_CYCLE_1) | instskip(SKIP_1) | instid1(SALU_CYCLE_1)
	s_cmp_eq_u32 s3, 1
	s_cselect_b32 vcc_lo, -1, 0
	s_and_b32 s3, vcc_lo, exec_lo
	s_cselect_b32 s3, s21, s20
	s_cselect_b32 s8, s20, s21
	s_delay_alu instid0(SALU_CYCLE_1)
	s_cmp_gt_i32 s3, s8
	s_cbranch_scc1 .LBB693_11
; %bb.2:
	s_cmp_lt_i32 s10, 1
	s_cbranch_scc1 .LBB693_11
; %bb.3:
	s_mov_b32 s2, s15
	s_clause 0x5
	s_load_b64 s[22:23], s[0:1], 0x20
	s_load_b128 s[16:19], s[0:1], 0x30
	s_load_b32 s8, s[0:1], 0x28
	s_load_b32 s11, s[0:1], 0x40
	s_load_b128 s[12:15], s[0:1], 0x48
	s_load_b32 s26, s[0:1], 0x58
	v_bfe_u32 v10, v0, 10, 10
	v_and_b32_e32 v11, 0x3ff, v0
	s_mov_b32 s3, 0
	s_load_b64 s[24:25], s[0:1], 0x60
	s_lshl_b64 s[0:1], s[2:3], 3
	v_add_nc_u32_e32 v0, s20, v10
	v_add_nc_u32_e32 v2, s21, v11
	v_lshlrev_b32_e32 v6, 4, v10
	s_delay_alu instid0(VALU_DEP_3) | instskip(NEXT) | instid1(VALU_DEP_3)
	v_ashrrev_i32_e32 v1, 31, v0
	v_cndmask_b32_e32 v7, v2, v0, vcc_lo
	v_ashrrev_i32_e32 v3, 31, v2
	v_cndmask_b32_e32 v8, v0, v2, vcc_lo
	s_waitcnt lgkmcnt(0)
	s_add_u32 s20, s22, s0
	s_addc_u32 s21, s23, s1
	s_add_u32 s18, s18, s0
	s_load_b64 s[20:21], s[20:21], 0x0
	s_addc_u32 s19, s19, s1
	s_add_u32 s0, s14, s0
	s_load_b64 s[18:19], s[18:19], 0x0
	s_addc_u32 s1, s15, s1
	v_mad_i64_i32 v[4:5], null, s26, v0, 0
	s_load_b64 s[14:15], s[0:1], 0x0
	v_cmp_gt_i32_e32 vcc_lo, s9, v2
	v_lshlrev_b64 v[2:3], 4, v[2:3]
	s_lshl_b64 s[16:17], s[16:17], 4
	v_cmp_gt_i32_e64 s0, s9, v0
	v_lshlrev_b64 v[0:1], 4, v[0:1]
	v_lshlrev_b64 v[4:5], 4, v[4:5]
	v_lshlrev_b32_e32 v12, 9, v11
	v_or_b32_e32 v14, 0x4000, v6
	s_delay_alu instid0(VALU_DEP_2)
	v_add_nc_u32_e32 v13, v12, v6
	s_waitcnt lgkmcnt(0)
	s_add_u32 s1, s20, s16
	s_addc_u32 s2, s21, s17
	s_lshl_b64 s[12:13], s[12:13], 4
	v_add_co_u32 v15, s1, s1, v2
	s_add_u32 s9, s18, s12
	s_addc_u32 s16, s19, s13
	s_lshl_b64 s[12:13], s[24:25], 4
	v_add_co_ci_u32_e64 v16, s1, s2, v3, s1
	v_add_co_u32 v17, s1, s9, v0
	s_add_u32 s2, s14, s12
	v_add_co_ci_u32_e64 v18, s1, s16, v1, s1
	s_addc_u32 s12, s15, s13
	v_add_co_u32 v0, s1, s2, v4
	s_delay_alu instid0(VALU_DEP_1) | instskip(SKIP_1) | instid1(VALU_DEP_3)
	v_add_co_ci_u32_e64 v1, s1, s12, v5, s1
	v_cmp_le_i32_e64 s1, v8, v7
	v_add_co_u32 v8, s2, v0, v2
	v_add_nc_u32_e32 v19, v14, v12
	s_delay_alu instid0(VALU_DEP_4) | instskip(SKIP_1) | instid1(SALU_CYCLE_1)
	v_add_co_ci_u32_e64 v9, s2, v1, v3, s2
	s_and_b32 s2, s0, vcc_lo
	s_and_b32 s2, s2, s1
	s_branch .LBB693_5
.LBB693_4:                              ;   in Loop: Header=BB693_5 Depth=1
	s_or_b32 exec_lo, exec_lo, s1
	s_add_i32 s3, s3, 32
	s_waitcnt_vscnt null, 0x0
	s_cmp_lt_i32 s3, s10
	s_barrier
	buffer_gl0_inv
	s_cbranch_scc0 .LBB693_11
.LBB693_5:                              ; =>This Inner Loop Header: Depth=1
	v_add_nc_u32_e32 v2, s3, v10
	v_mov_b32_e32 v0, 0
	v_mov_b32_e32 v1, 0
	s_delay_alu instid0(VALU_DEP_3) | instskip(NEXT) | instid1(VALU_DEP_2)
	v_cmp_gt_i32_e64 s1, s10, v2
	v_dual_mov_b32 v5, v1 :: v_dual_mov_b32 v4, v0
	v_dual_mov_b32 v7, v1 :: v_dual_mov_b32 v6, v0
	s_delay_alu instid0(VALU_DEP_3) | instskip(NEXT) | instid1(SALU_CYCLE_1)
	s_and_b32 s1, vcc_lo, s1
	s_and_saveexec_b32 s9, s1
	s_cbranch_execz .LBB693_7
; %bb.6:                                ;   in Loop: Header=BB693_5 Depth=1
	v_mad_i64_i32 v[3:4], null, v2, s8, 0
	s_delay_alu instid0(VALU_DEP_1) | instskip(NEXT) | instid1(VALU_DEP_1)
	v_lshlrev_b64 v[2:3], 4, v[3:4]
	v_add_co_u32 v2, s1, v15, v2
	s_delay_alu instid0(VALU_DEP_1)
	v_add_co_ci_u32_e64 v3, s1, v16, v3, s1
	global_load_b128 v[4:7], v[2:3], off
.LBB693_7:                              ;   in Loop: Header=BB693_5 Depth=1
	s_or_b32 exec_lo, exec_lo, s9
	v_dual_mov_b32 v3, v1 :: v_dual_add_nc_u32 v20, s3, v11
	v_mov_b32_e32 v2, v0
	s_waitcnt vmcnt(0)
	ds_store_b128 v13, v[4:7]
	v_cmp_gt_i32_e64 s1, s10, v20
	s_delay_alu instid0(VALU_DEP_1) | instskip(NEXT) | instid1(SALU_CYCLE_1)
	s_and_b32 s1, s0, s1
	s_and_saveexec_b32 s9, s1
	s_cbranch_execz .LBB693_9
; %bb.8:                                ;   in Loop: Header=BB693_5 Depth=1
	v_mad_i64_i32 v[0:1], null, v20, s11, 0
	s_delay_alu instid0(VALU_DEP_1) | instskip(NEXT) | instid1(VALU_DEP_1)
	v_lshlrev_b64 v[0:1], 4, v[0:1]
	v_add_co_u32 v0, s1, v17, v0
	s_delay_alu instid0(VALU_DEP_1)
	v_add_co_ci_u32_e64 v1, s1, v18, v1, s1
	global_load_b128 v[0:3], v[0:1], off
.LBB693_9:                              ;   in Loop: Header=BB693_5 Depth=1
	s_or_b32 exec_lo, exec_lo, s9
	s_waitcnt vmcnt(0)
	ds_store_b128 v19, v[0:3]
	s_waitcnt lgkmcnt(0)
	s_barrier
	buffer_gl0_inv
	s_and_saveexec_b32 s1, s2
	s_cbranch_execz .LBB693_4
; %bb.10:                               ;   in Loop: Header=BB693_5 Depth=1
	ds_load_b128 v[0:3], v14
	ds_load_b128 v[4:7], v12
	ds_load_b128 v[20:23], v12 offset:16
	ds_load_b128 v[24:27], v14 offset:512
	s_waitcnt lgkmcnt(2)
	v_mul_f64 v[28:29], v[0:1], v[6:7]
	v_mul_f64 v[6:7], v[2:3], v[6:7]
	s_waitcnt lgkmcnt(0)
	v_mul_f64 v[36:37], v[26:27], v[22:23]
	v_mul_f64 v[22:23], v[24:25], v[22:23]
	s_delay_alu instid0(VALU_DEP_4) | instskip(NEXT) | instid1(VALU_DEP_4)
	v_fma_f64 v[38:39], v[2:3], v[4:5], v[28:29]
	v_fma_f64 v[40:41], v[0:1], v[4:5], -v[6:7]
	ds_load_b128 v[0:3], v14 offset:1024
	ds_load_b128 v[4:7], v12 offset:32
	;; [unrolled: 1-line block ×4, first 2 shown]
	v_fma_f64 v[24:25], v[24:25], v[20:21], -v[36:37]
	v_fma_f64 v[20:21], v[26:27], v[20:21], v[22:23]
	s_waitcnt lgkmcnt(2)
	v_mul_f64 v[42:43], v[2:3], v[6:7]
	v_mul_f64 v[6:7], v[0:1], v[6:7]
	s_waitcnt lgkmcnt(0)
	v_mul_f64 v[36:37], v[34:35], v[30:31]
	v_mul_f64 v[30:31], v[32:33], v[30:31]
	v_add_f64 v[22:23], v[38:39], 0
	v_add_f64 v[26:27], v[40:41], 0
	v_fma_f64 v[38:39], v[0:1], v[4:5], -v[42:43]
	v_fma_f64 v[40:41], v[2:3], v[4:5], v[6:7]
	v_fma_f64 v[32:33], v[32:33], v[28:29], -v[36:37]
	v_fma_f64 v[28:29], v[34:35], v[28:29], v[30:31]
	v_add_f64 v[42:43], v[22:23], v[20:21]
	v_add_f64 v[44:45], v[26:27], v[24:25]
	ds_load_b128 v[0:3], v12 offset:64
	ds_load_b128 v[4:7], v14 offset:2048
	ds_load_b128 v[20:23], v14 offset:2560
	ds_load_b128 v[24:27], v12 offset:80
	s_waitcnt lgkmcnt(2)
	v_mul_f64 v[46:47], v[6:7], v[2:3]
	v_mul_f64 v[2:3], v[4:5], v[2:3]
	s_waitcnt lgkmcnt(0)
	v_mul_f64 v[36:37], v[22:23], v[26:27]
	v_add_f64 v[30:31], v[42:43], v[40:41]
	v_add_f64 v[34:35], v[44:45], v[38:39]
	v_mul_f64 v[38:39], v[20:21], v[26:27]
	v_fma_f64 v[40:41], v[4:5], v[0:1], -v[46:47]
	v_fma_f64 v[42:43], v[6:7], v[0:1], v[2:3]
	v_fma_f64 v[20:21], v[20:21], v[24:25], -v[36:37]
	v_add_f64 v[44:45], v[30:31], v[28:29]
	v_add_f64 v[34:35], v[34:35], v[32:33]
	ds_load_b128 v[0:3], v12 offset:96
	ds_load_b128 v[4:7], v14 offset:3072
	ds_load_b128 v[26:29], v14 offset:3584
	ds_load_b128 v[30:33], v12 offset:112
	v_fma_f64 v[22:23], v[22:23], v[24:25], v[38:39]
	s_waitcnt lgkmcnt(2)
	v_mul_f64 v[46:47], v[6:7], v[2:3]
	v_mul_f64 v[2:3], v[4:5], v[2:3]
	s_waitcnt lgkmcnt(0)
	v_mul_f64 v[36:37], v[28:29], v[32:33]
	v_mul_f64 v[38:39], v[26:27], v[32:33]
	v_add_f64 v[24:25], v[44:45], v[42:43]
	v_add_f64 v[34:35], v[34:35], v[40:41]
	v_fma_f64 v[40:41], v[4:5], v[0:1], -v[46:47]
	v_fma_f64 v[42:43], v[6:7], v[0:1], v[2:3]
	v_fma_f64 v[26:27], v[26:27], v[30:31], -v[36:37]
	v_fma_f64 v[28:29], v[28:29], v[30:31], v[38:39]
	v_add_f64 v[24:25], v[24:25], v[22:23]
	v_add_f64 v[44:45], v[34:35], v[20:21]
	ds_load_b128 v[0:3], v12 offset:128
	ds_load_b128 v[4:7], v14 offset:4096
	ds_load_b128 v[20:23], v14 offset:4608
	ds_load_b128 v[32:35], v12 offset:144
	s_waitcnt lgkmcnt(2)
	v_mul_f64 v[46:47], v[6:7], v[2:3]
	v_mul_f64 v[2:3], v[4:5], v[2:3]
	s_waitcnt lgkmcnt(0)
	v_mul_f64 v[36:37], v[22:23], v[34:35]
	v_mul_f64 v[34:35], v[20:21], v[34:35]
	v_add_f64 v[24:25], v[24:25], v[42:43]
	v_add_f64 v[30:31], v[44:45], v[40:41]
	v_fma_f64 v[38:39], v[4:5], v[0:1], -v[46:47]
	v_fma_f64 v[40:41], v[6:7], v[0:1], v[2:3]
	v_fma_f64 v[20:21], v[20:21], v[32:33], -v[36:37]
	v_fma_f64 v[22:23], v[22:23], v[32:33], v[34:35]
	v_add_f64 v[42:43], v[24:25], v[28:29]
	v_add_f64 v[44:45], v[30:31], v[26:27]
	ds_load_b128 v[0:3], v12 offset:160
	ds_load_b128 v[4:7], v14 offset:5120
	ds_load_b128 v[24:27], v14 offset:5632
	ds_load_b128 v[28:31], v12 offset:176
	s_waitcnt lgkmcnt(2)
	v_mul_f64 v[46:47], v[6:7], v[2:3]
	v_mul_f64 v[2:3], v[4:5], v[2:3]
	s_waitcnt lgkmcnt(0)
	v_mul_f64 v[36:37], v[26:27], v[30:31]
	v_add_f64 v[32:33], v[42:43], v[40:41]
	v_add_f64 v[34:35], v[44:45], v[38:39]
	v_mul_f64 v[38:39], v[24:25], v[30:31]
	v_fma_f64 v[40:41], v[4:5], v[0:1], -v[46:47]
	v_fma_f64 v[42:43], v[6:7], v[0:1], v[2:3]
	v_fma_f64 v[24:25], v[24:25], v[28:29], -v[36:37]
	v_add_f64 v[44:45], v[32:33], v[22:23]
	v_add_f64 v[34:35], v[34:35], v[20:21]
	ds_load_b128 v[0:3], v12 offset:192
	ds_load_b128 v[4:7], v14 offset:6144
	ds_load_b128 v[20:23], v14 offset:6656
	ds_load_b128 v[30:33], v12 offset:208
	v_fma_f64 v[26:27], v[26:27], v[28:29], v[38:39]
	s_waitcnt lgkmcnt(2)
	v_mul_f64 v[46:47], v[6:7], v[2:3]
	v_mul_f64 v[2:3], v[4:5], v[2:3]
	s_waitcnt lgkmcnt(0)
	v_mul_f64 v[36:37], v[22:23], v[32:33]
	v_mul_f64 v[38:39], v[20:21], v[32:33]
	v_add_f64 v[28:29], v[44:45], v[42:43]
	v_add_f64 v[34:35], v[34:35], v[40:41]
	v_fma_f64 v[40:41], v[4:5], v[0:1], -v[46:47]
	v_fma_f64 v[42:43], v[6:7], v[0:1], v[2:3]
	v_fma_f64 v[20:21], v[20:21], v[30:31], -v[36:37]
	v_fma_f64 v[22:23], v[22:23], v[30:31], v[38:39]
	v_add_f64 v[28:29], v[28:29], v[26:27]
	v_add_f64 v[44:45], v[34:35], v[24:25]
	ds_load_b128 v[0:3], v12 offset:224
	ds_load_b128 v[4:7], v14 offset:7168
	ds_load_b128 v[24:27], v14 offset:7680
	ds_load_b128 v[32:35], v12 offset:240
	;; [unrolled: 54-line block ×4, first 2 shown]
	s_waitcnt lgkmcnt(2)
	v_mul_f64 v[46:47], v[6:7], v[2:3]
	v_mul_f64 v[2:3], v[4:5], v[2:3]
	s_waitcnt lgkmcnt(0)
	v_mul_f64 v[38:39], v[26:27], v[34:35]
	v_add_f64 v[28:29], v[28:29], v[42:43]
	v_add_f64 v[30:31], v[44:45], v[40:41]
	v_mul_f64 v[40:41], v[24:25], v[34:35]
	v_fma_f64 v[42:43], v[4:5], v[0:1], -v[46:47]
	v_fma_f64 v[44:45], v[6:7], v[0:1], v[2:3]
	ds_load_b128 v[0:3], v12 offset:448
	ds_load_b128 v[4:7], v14 offset:14336
	v_fma_f64 v[24:25], v[24:25], v[32:33], -v[38:39]
	v_add_f64 v[46:47], v[28:29], v[22:23]
	v_add_f64 v[48:49], v[30:31], v[20:21]
	global_load_b128 v[20:23], v[8:9], off
	v_fma_f64 v[26:27], v[26:27], v[32:33], v[40:41]
	s_waitcnt lgkmcnt(0)
	v_mul_f64 v[50:51], v[6:7], v[2:3]
	v_mul_f64 v[2:3], v[4:5], v[2:3]
	ds_load_b128 v[28:31], v14 offset:14848
	ds_load_b128 v[34:37], v12 offset:464
	s_waitcnt lgkmcnt(0)
	v_mul_f64 v[40:41], v[30:31], v[36:37]
	v_add_f64 v[32:33], v[46:47], v[44:45]
	v_add_f64 v[38:39], v[48:49], v[42:43]
	v_mul_f64 v[42:43], v[28:29], v[36:37]
	v_fma_f64 v[44:45], v[4:5], v[0:1], -v[50:51]
	v_fma_f64 v[46:47], v[6:7], v[0:1], v[2:3]
	v_fma_f64 v[28:29], v[28:29], v[34:35], -v[40:41]
	v_add_f64 v[32:33], v[32:33], v[26:27]
	v_add_f64 v[48:49], v[38:39], v[24:25]
	ds_load_b128 v[0:3], v12 offset:480
	ds_load_b128 v[4:7], v14 offset:15360
	;; [unrolled: 1-line block ×4, first 2 shown]
	v_fma_f64 v[30:31], v[30:31], v[34:35], v[42:43]
	s_waitcnt lgkmcnt(2)
	v_mul_f64 v[50:51], v[6:7], v[2:3]
	v_mul_f64 v[2:3], v[4:5], v[2:3]
	s_waitcnt lgkmcnt(0)
	v_mul_f64 v[40:41], v[26:27], v[38:39]
	v_mul_f64 v[38:39], v[24:25], v[38:39]
	v_add_f64 v[32:33], v[32:33], v[46:47]
	v_add_f64 v[34:35], v[48:49], v[44:45]
	v_fma_f64 v[4:5], v[4:5], v[0:1], -v[50:51]
	v_fma_f64 v[0:1], v[6:7], v[0:1], v[2:3]
	v_fma_f64 v[24:25], v[24:25], v[36:37], -v[40:41]
	v_fma_f64 v[26:27], v[26:27], v[36:37], v[38:39]
	v_add_f64 v[2:3], v[32:33], v[30:31]
	v_add_f64 v[6:7], v[34:35], v[28:29]
	s_delay_alu instid0(VALU_DEP_2) | instskip(NEXT) | instid1(VALU_DEP_2)
	v_add_f64 v[0:1], v[2:3], v[0:1]
	v_add_f64 v[2:3], v[6:7], v[4:5]
	s_delay_alu instid0(VALU_DEP_2) | instskip(NEXT) | instid1(VALU_DEP_2)
	v_add_f64 v[0:1], v[0:1], v[26:27]
	v_add_f64 v[2:3], v[2:3], v[24:25]
	s_delay_alu instid0(VALU_DEP_2) | instskip(NEXT) | instid1(VALU_DEP_2)
	v_mul_f64 v[4:5], s[6:7], v[0:1]
	v_mul_f64 v[6:7], s[6:7], v[2:3]
	s_delay_alu instid0(VALU_DEP_2) | instskip(NEXT) | instid1(VALU_DEP_2)
	v_fma_f64 v[2:3], s[4:5], v[2:3], -v[4:5]
	v_fma_f64 v[4:5], s[4:5], v[0:1], v[6:7]
	s_waitcnt vmcnt(0)
	s_delay_alu instid0(VALU_DEP_2) | instskip(NEXT) | instid1(VALU_DEP_2)
	v_add_f64 v[0:1], v[20:21], v[2:3]
	v_add_f64 v[2:3], v[22:23], v[4:5]
	global_store_b128 v[8:9], v[0:3], off
	s_branch .LBB693_4
.LBB693_11:
	s_endpgm
	.section	.rodata,"a",@progbits
	.p2align	6, 0x0
	.amdhsa_kernel _ZL26rocblas_syr2k_her2k_kernelIiLb0ELb0ELb0ELi32E19rocblas_complex_numIdEPKPKS1_PKPS1_EvbiT_T4_T5_S9_lSB_S9_lT6_S9_li
		.amdhsa_group_segment_fixed_size 32768
		.amdhsa_private_segment_fixed_size 0
		.amdhsa_kernarg_size 108
		.amdhsa_user_sgpr_count 13
		.amdhsa_user_sgpr_dispatch_ptr 0
		.amdhsa_user_sgpr_queue_ptr 0
		.amdhsa_user_sgpr_kernarg_segment_ptr 1
		.amdhsa_user_sgpr_dispatch_id 0
		.amdhsa_user_sgpr_private_segment_size 0
		.amdhsa_wavefront_size32 1
		.amdhsa_uses_dynamic_stack 0
		.amdhsa_enable_private_segment 0
		.amdhsa_system_sgpr_workgroup_id_x 1
		.amdhsa_system_sgpr_workgroup_id_y 1
		.amdhsa_system_sgpr_workgroup_id_z 1
		.amdhsa_system_sgpr_workgroup_info 0
		.amdhsa_system_vgpr_workitem_id 1
		.amdhsa_next_free_vgpr 52
		.amdhsa_next_free_sgpr 27
		.amdhsa_reserve_vcc 1
		.amdhsa_float_round_mode_32 0
		.amdhsa_float_round_mode_16_64 0
		.amdhsa_float_denorm_mode_32 3
		.amdhsa_float_denorm_mode_16_64 3
		.amdhsa_dx10_clamp 1
		.amdhsa_ieee_mode 1
		.amdhsa_fp16_overflow 0
		.amdhsa_workgroup_processor_mode 1
		.amdhsa_memory_ordered 1
		.amdhsa_forward_progress 0
		.amdhsa_shared_vgpr_count 0
		.amdhsa_exception_fp_ieee_invalid_op 0
		.amdhsa_exception_fp_denorm_src 0
		.amdhsa_exception_fp_ieee_div_zero 0
		.amdhsa_exception_fp_ieee_overflow 0
		.amdhsa_exception_fp_ieee_underflow 0
		.amdhsa_exception_fp_ieee_inexact 0
		.amdhsa_exception_int_div_zero 0
	.end_amdhsa_kernel
	.section	.text._ZL26rocblas_syr2k_her2k_kernelIiLb0ELb0ELb0ELi32E19rocblas_complex_numIdEPKPKS1_PKPS1_EvbiT_T4_T5_S9_lSB_S9_lT6_S9_li,"axG",@progbits,_ZL26rocblas_syr2k_her2k_kernelIiLb0ELb0ELb0ELi32E19rocblas_complex_numIdEPKPKS1_PKPS1_EvbiT_T4_T5_S9_lSB_S9_lT6_S9_li,comdat
.Lfunc_end693:
	.size	_ZL26rocblas_syr2k_her2k_kernelIiLb0ELb0ELb0ELi32E19rocblas_complex_numIdEPKPKS1_PKPS1_EvbiT_T4_T5_S9_lSB_S9_lT6_S9_li, .Lfunc_end693-_ZL26rocblas_syr2k_her2k_kernelIiLb0ELb0ELb0ELi32E19rocblas_complex_numIdEPKPKS1_PKPS1_EvbiT_T4_T5_S9_lSB_S9_lT6_S9_li
                                        ; -- End function
	.section	.AMDGPU.csdata,"",@progbits
; Kernel info:
; codeLenInByte = 3036
; NumSgprs: 29
; NumVgprs: 52
; ScratchSize: 0
; MemoryBound: 1
; FloatMode: 240
; IeeeMode: 1
; LDSByteSize: 32768 bytes/workgroup (compile time only)
; SGPRBlocks: 3
; VGPRBlocks: 6
; NumSGPRsForWavesPerEU: 29
; NumVGPRsForWavesPerEU: 52
; Occupancy: 16
; WaveLimiterHint : 1
; COMPUTE_PGM_RSRC2:SCRATCH_EN: 0
; COMPUTE_PGM_RSRC2:USER_SGPR: 13
; COMPUTE_PGM_RSRC2:TRAP_HANDLER: 0
; COMPUTE_PGM_RSRC2:TGID_X_EN: 1
; COMPUTE_PGM_RSRC2:TGID_Y_EN: 1
; COMPUTE_PGM_RSRC2:TGID_Z_EN: 1
; COMPUTE_PGM_RSRC2:TIDIG_COMP_CNT: 1
	.section	.text._ZL26rocblas_syr2k_her2k_kernelIiLb0ELb0ELb1ELi32E19rocblas_complex_numIdEPKPKS1_PKPS1_EvbiT_T4_T5_S9_lSB_S9_lT6_S9_li,"axG",@progbits,_ZL26rocblas_syr2k_her2k_kernelIiLb0ELb0ELb1ELi32E19rocblas_complex_numIdEPKPKS1_PKPS1_EvbiT_T4_T5_S9_lSB_S9_lT6_S9_li,comdat
	.globl	_ZL26rocblas_syr2k_her2k_kernelIiLb0ELb0ELb1ELi32E19rocblas_complex_numIdEPKPKS1_PKPS1_EvbiT_T4_T5_S9_lSB_S9_lT6_S9_li ; -- Begin function _ZL26rocblas_syr2k_her2k_kernelIiLb0ELb0ELb1ELi32E19rocblas_complex_numIdEPKPKS1_PKPS1_EvbiT_T4_T5_S9_lSB_S9_lT6_S9_li
	.p2align	8
	.type	_ZL26rocblas_syr2k_her2k_kernelIiLb0ELb0ELb1ELi32E19rocblas_complex_numIdEPKPKS1_PKPS1_EvbiT_T4_T5_S9_lSB_S9_lT6_S9_li,@function
_ZL26rocblas_syr2k_her2k_kernelIiLb0ELb0ELb1ELi32E19rocblas_complex_numIdEPKPKS1_PKPS1_EvbiT_T4_T5_S9_lSB_S9_lT6_S9_li: ; @_ZL26rocblas_syr2k_her2k_kernelIiLb0ELb0ELb1ELi32E19rocblas_complex_numIdEPKPKS1_PKPS1_EvbiT_T4_T5_S9_lSB_S9_lT6_S9_li
; %bb.0:
	s_load_b128 s[4:7], s[0:1], 0x10
	s_waitcnt lgkmcnt(0)
	v_cmp_eq_f64_e64 s3, s[4:5], 0
	v_cmp_eq_f64_e64 s8, s[6:7], 0
	s_delay_alu instid0(VALU_DEP_1) | instskip(NEXT) | instid1(SALU_CYCLE_1)
	s_and_b32 s3, s3, s8
	s_and_b32 vcc_lo, exec_lo, s3
	s_cbranch_vccnz .LBB694_11
; %bb.1:
	s_load_b128 s[8:11], s[0:1], 0x0
	s_waitcnt lgkmcnt(0)
	s_lshl_b32 s11, s14, 5
	s_and_b32 s3, 1, s8
	s_lshl_b32 s8, s13, 5
	s_cmp_eq_u32 s3, 1
	s_cselect_b32 vcc_lo, -1, 0
	s_delay_alu instid0(SALU_CYCLE_1) | instskip(SKIP_2) | instid1(SALU_CYCLE_1)
	s_and_b32 s3, vcc_lo, exec_lo
	s_cselect_b32 s3, s8, s11
	s_cselect_b32 s12, s11, s8
	s_cmp_gt_i32 s3, s12
	s_cbranch_scc1 .LBB694_11
; %bb.2:
	s_cmp_lt_i32 s10, 1
	s_cbranch_scc1 .LBB694_11
; %bb.3:
	s_mov_b32 s2, s15
	s_clause 0x5
	s_load_b64 s[20:21], s[0:1], 0x20
	s_load_b128 s[16:19], s[0:1], 0x30
	s_load_b32 s24, s[0:1], 0x28
	s_load_b32 s25, s[0:1], 0x40
	s_load_b128 s[12:15], s[0:1], 0x48
	s_load_b32 s26, s[0:1], 0x58
	s_mov_b32 s3, 0
	s_load_b64 s[22:23], s[0:1], 0x60
	s_lshl_b64 s[0:1], s[2:3], 3
	v_and_b32_e32 v13, 0x3ff, v0
	v_bfe_u32 v12, v0, 10, 10
	s_delay_alu instid0(VALU_DEP_2) | instskip(NEXT) | instid1(VALU_DEP_2)
	v_add_nc_u32_e32 v0, s8, v13
	v_add_nc_u32_e32 v8, s11, v12
	v_lshlrev_b32_e32 v9, 4, v12
	v_lshlrev_b32_e32 v14, 9, v13
	s_delay_alu instid0(VALU_DEP_4) | instskip(NEXT) | instid1(VALU_DEP_4)
	v_ashrrev_i32_e32 v1, 31, v0
	v_cndmask_b32_e32 v11, v8, v0, vcc_lo
	s_waitcnt lgkmcnt(0)
	s_add_u32 s20, s20, s0
	s_addc_u32 s21, s21, s1
	s_add_u32 s18, s18, s0
	s_load_b64 s[20:21], s[20:21], 0x0
	s_addc_u32 s19, s19, s1
	s_add_u32 s0, s14, s0
	s_load_b64 s[18:19], s[18:19], 0x0
	s_addc_u32 s1, s15, s1
	v_mad_i64_i32 v[2:3], null, s24, v0, 0
	s_load_b64 s[14:15], s[0:1], 0x0
	v_mad_i64_i32 v[4:5], null, s25, v8, 0
	v_mad_i64_i32 v[6:7], null, s26, v8, 0
	v_dual_cndmask_b32 v10, v0, v8 :: v_dual_add_nc_u32 v15, v14, v9
	s_delay_alu instid0(VALU_DEP_4)
	v_lshlrev_b64 v[2:3], 4, v[2:3]
	v_cmp_gt_i32_e32 vcc_lo, s9, v0
	v_cmp_gt_i32_e64 s0, s9, v8
	s_lshl_b64 s[8:9], s[16:17], 4
	v_lshlrev_b64 v[4:5], 4, v[4:5]
	v_lshlrev_b64 v[0:1], 4, v[0:1]
	s_waitcnt lgkmcnt(0)
	s_add_u32 s1, s20, s8
	s_addc_u32 s2, s21, s9
	v_add_co_u32 v16, s1, s1, v2
	s_lshl_b64 s[8:9], s[12:13], 4
	v_add_co_ci_u32_e64 v17, s1, s2, v3, s1
	v_lshlrev_b64 v[2:3], 4, v[6:7]
	s_add_u32 s11, s18, s8
	s_addc_u32 s12, s19, s9
	s_lshl_b64 s[8:9], s[22:23], 4
	v_add_co_u32 v19, s1, s11, v4
	s_add_u32 s2, s14, s8
	v_add_co_ci_u32_e64 v20, s1, s12, v5, s1
	s_addc_u32 s8, s15, s9
	v_add_co_u32 v2, s1, s2, v2
	v_or_b32_e32 v18, 0x4000, v9
	v_add_co_ci_u32_e64 v3, s1, s8, v3, s1
	v_cmp_le_i32_e64 s1, v11, v10
	s_delay_alu instid0(VALU_DEP_4) | instskip(NEXT) | instid1(VALU_DEP_4)
	v_add_co_u32 v8, s2, v2, v0
	v_add_nc_u32_e32 v21, v18, v14
	s_delay_alu instid0(VALU_DEP_4) | instskip(SKIP_1) | instid1(SALU_CYCLE_1)
	v_add_co_ci_u32_e64 v9, s2, v3, v1, s2
	s_and_b32 s2, s0, vcc_lo
	s_and_b32 s2, s2, s1
	s_branch .LBB694_5
.LBB694_4:                              ;   in Loop: Header=BB694_5 Depth=1
	s_or_b32 exec_lo, exec_lo, s1
	s_add_i32 s3, s3, 32
	s_waitcnt_vscnt null, 0x0
	s_cmp_lt_i32 s3, s10
	s_barrier
	buffer_gl0_inv
	s_cbranch_scc0 .LBB694_11
.LBB694_5:                              ; =>This Inner Loop Header: Depth=1
	v_add_nc_u32_e32 v2, s3, v12
	v_mov_b32_e32 v0, 0
	v_mov_b32_e32 v1, 0
	s_delay_alu instid0(VALU_DEP_3) | instskip(NEXT) | instid1(VALU_DEP_2)
	v_cmp_gt_i32_e64 s1, s10, v2
	v_dual_mov_b32 v5, v1 :: v_dual_mov_b32 v4, v0
	v_dual_mov_b32 v7, v1 :: v_dual_mov_b32 v6, v0
	s_delay_alu instid0(VALU_DEP_3) | instskip(NEXT) | instid1(SALU_CYCLE_1)
	s_and_b32 s1, vcc_lo, s1
	s_and_saveexec_b32 s8, s1
	s_cbranch_execz .LBB694_7
; %bb.6:                                ;   in Loop: Header=BB694_5 Depth=1
	v_ashrrev_i32_e32 v3, 31, v2
	s_delay_alu instid0(VALU_DEP_1) | instskip(NEXT) | instid1(VALU_DEP_1)
	v_lshlrev_b64 v[2:3], 4, v[2:3]
	v_add_co_u32 v2, s1, v16, v2
	s_delay_alu instid0(VALU_DEP_1)
	v_add_co_ci_u32_e64 v3, s1, v17, v3, s1
	global_load_b128 v[4:7], v[2:3], off
.LBB694_7:                              ;   in Loop: Header=BB694_5 Depth=1
	s_or_b32 exec_lo, exec_lo, s8
	v_dual_mov_b32 v3, v1 :: v_dual_add_nc_u32 v10, s3, v13
	v_mov_b32_e32 v2, v0
	s_waitcnt vmcnt(0)
	ds_store_b128 v15, v[4:7]
	v_cmp_gt_i32_e64 s1, s10, v10
	s_delay_alu instid0(VALU_DEP_1) | instskip(NEXT) | instid1(SALU_CYCLE_1)
	s_and_b32 s1, s0, s1
	s_and_saveexec_b32 s8, s1
	s_cbranch_execz .LBB694_9
; %bb.8:                                ;   in Loop: Header=BB694_5 Depth=1
	v_ashrrev_i32_e32 v11, 31, v10
	s_delay_alu instid0(VALU_DEP_1) | instskip(NEXT) | instid1(VALU_DEP_1)
	v_lshlrev_b64 v[0:1], 4, v[10:11]
	v_add_co_u32 v0, s1, v19, v0
	s_delay_alu instid0(VALU_DEP_1)
	v_add_co_ci_u32_e64 v1, s1, v20, v1, s1
	global_load_b128 v[0:3], v[0:1], off
.LBB694_9:                              ;   in Loop: Header=BB694_5 Depth=1
	s_or_b32 exec_lo, exec_lo, s8
	s_waitcnt vmcnt(0)
	ds_store_b128 v21, v[0:3]
	s_waitcnt lgkmcnt(0)
	s_barrier
	buffer_gl0_inv
	s_and_saveexec_b32 s1, s2
	s_cbranch_execz .LBB694_4
; %bb.10:                               ;   in Loop: Header=BB694_5 Depth=1
	ds_load_b128 v[0:3], v18
	ds_load_b128 v[4:7], v14
	ds_load_b128 v[22:25], v14 offset:16
	ds_load_b128 v[26:29], v18 offset:512
	s_waitcnt lgkmcnt(2)
	v_mul_f64 v[10:11], v[0:1], v[6:7]
	v_mul_f64 v[6:7], v[2:3], v[6:7]
	s_waitcnt lgkmcnt(0)
	v_mul_f64 v[38:39], v[28:29], v[24:25]
	v_mul_f64 v[24:25], v[26:27], v[24:25]
	s_delay_alu instid0(VALU_DEP_4) | instskip(NEXT) | instid1(VALU_DEP_4)
	v_fma_f64 v[10:11], v[2:3], v[4:5], v[10:11]
	v_fma_f64 v[40:41], v[0:1], v[4:5], -v[6:7]
	ds_load_b128 v[0:3], v18 offset:1024
	ds_load_b128 v[4:7], v14 offset:32
	;; [unrolled: 1-line block ×4, first 2 shown]
	v_fma_f64 v[26:27], v[26:27], v[22:23], -v[38:39]
	v_fma_f64 v[22:23], v[28:29], v[22:23], v[24:25]
	s_waitcnt lgkmcnt(2)
	v_mul_f64 v[42:43], v[2:3], v[6:7]
	v_mul_f64 v[6:7], v[0:1], v[6:7]
	s_waitcnt lgkmcnt(0)
	v_mul_f64 v[38:39], v[36:37], v[32:33]
	v_mul_f64 v[32:33], v[34:35], v[32:33]
	v_add_f64 v[10:11], v[10:11], 0
	v_add_f64 v[24:25], v[40:41], 0
	v_fma_f64 v[40:41], v[0:1], v[4:5], -v[42:43]
	v_fma_f64 v[42:43], v[2:3], v[4:5], v[6:7]
	v_fma_f64 v[34:35], v[34:35], v[30:31], -v[38:39]
	v_fma_f64 v[30:31], v[36:37], v[30:31], v[32:33]
	v_add_f64 v[10:11], v[10:11], v[22:23]
	v_add_f64 v[44:45], v[24:25], v[26:27]
	ds_load_b128 v[0:3], v14 offset:64
	ds_load_b128 v[4:7], v18 offset:2048
	ds_load_b128 v[22:25], v18 offset:2560
	ds_load_b128 v[26:29], v14 offset:80
	s_waitcnt lgkmcnt(2)
	v_mul_f64 v[46:47], v[6:7], v[2:3]
	v_mul_f64 v[2:3], v[4:5], v[2:3]
	s_waitcnt lgkmcnt(0)
	v_mul_f64 v[36:37], v[24:25], v[28:29]
	v_mul_f64 v[38:39], v[22:23], v[28:29]
	v_add_f64 v[10:11], v[10:11], v[42:43]
	v_add_f64 v[32:33], v[44:45], v[40:41]
	v_fma_f64 v[40:41], v[4:5], v[0:1], -v[46:47]
	v_fma_f64 v[42:43], v[6:7], v[0:1], v[2:3]
	v_fma_f64 v[22:23], v[22:23], v[26:27], -v[36:37]
	v_fma_f64 v[24:25], v[24:25], v[26:27], v[38:39]
	v_add_f64 v[10:11], v[10:11], v[30:31]
	v_add_f64 v[44:45], v[32:33], v[34:35]
	ds_load_b128 v[0:3], v14 offset:96
	ds_load_b128 v[4:7], v18 offset:3072
	ds_load_b128 v[28:31], v18 offset:3584
	ds_load_b128 v[32:35], v14 offset:112
	s_waitcnt lgkmcnt(2)
	v_mul_f64 v[46:47], v[6:7], v[2:3]
	v_mul_f64 v[2:3], v[4:5], v[2:3]
	s_waitcnt lgkmcnt(0)
	v_mul_f64 v[38:39], v[30:31], v[34:35]
	v_add_f64 v[10:11], v[10:11], v[42:43]
	v_add_f64 v[26:27], v[44:45], v[40:41]
	v_mul_f64 v[40:41], v[28:29], v[34:35]
	v_fma_f64 v[42:43], v[4:5], v[0:1], -v[46:47]
	v_fma_f64 v[44:45], v[6:7], v[0:1], v[2:3]
	v_fma_f64 v[28:29], v[28:29], v[32:33], -v[38:39]
	v_add_f64 v[10:11], v[10:11], v[24:25]
	v_add_f64 v[26:27], v[26:27], v[22:23]
	ds_load_b128 v[0:3], v14 offset:128
	ds_load_b128 v[4:7], v18 offset:4096
	ds_load_b128 v[22:25], v18 offset:4608
	ds_load_b128 v[34:37], v14 offset:144
	v_fma_f64 v[30:31], v[30:31], v[32:33], v[40:41]
	s_waitcnt lgkmcnt(2)
	v_mul_f64 v[46:47], v[6:7], v[2:3]
	v_mul_f64 v[2:3], v[4:5], v[2:3]
	s_waitcnt lgkmcnt(0)
	v_mul_f64 v[38:39], v[24:25], v[36:37]
	v_mul_f64 v[36:37], v[22:23], v[36:37]
	v_add_f64 v[10:11], v[10:11], v[44:45]
	v_add_f64 v[26:27], v[26:27], v[42:43]
	v_fma_f64 v[40:41], v[4:5], v[0:1], -v[46:47]
	v_fma_f64 v[42:43], v[6:7], v[0:1], v[2:3]
	v_fma_f64 v[22:23], v[22:23], v[34:35], -v[38:39]
	v_fma_f64 v[24:25], v[24:25], v[34:35], v[36:37]
	v_add_f64 v[10:11], v[10:11], v[30:31]
	v_add_f64 v[44:45], v[26:27], v[28:29]
	ds_load_b128 v[0:3], v14 offset:160
	ds_load_b128 v[4:7], v18 offset:5120
	ds_load_b128 v[26:29], v18 offset:5632
	ds_load_b128 v[30:33], v14 offset:176
	s_waitcnt lgkmcnt(2)
	v_mul_f64 v[46:47], v[6:7], v[2:3]
	v_mul_f64 v[2:3], v[4:5], v[2:3]
	s_waitcnt lgkmcnt(0)
	v_mul_f64 v[36:37], v[28:29], v[32:33]
	v_mul_f64 v[38:39], v[26:27], v[32:33]
	v_add_f64 v[10:11], v[10:11], v[42:43]
	v_add_f64 v[34:35], v[44:45], v[40:41]
	v_fma_f64 v[40:41], v[4:5], v[0:1], -v[46:47]
	v_fma_f64 v[42:43], v[6:7], v[0:1], v[2:3]
	v_fma_f64 v[26:27], v[26:27], v[30:31], -v[36:37]
	v_fma_f64 v[28:29], v[28:29], v[30:31], v[38:39]
	v_add_f64 v[10:11], v[10:11], v[24:25]
	v_add_f64 v[44:45], v[34:35], v[22:23]
	ds_load_b128 v[0:3], v14 offset:192
	ds_load_b128 v[4:7], v18 offset:6144
	ds_load_b128 v[22:25], v18 offset:6656
	ds_load_b128 v[32:35], v14 offset:208
	s_waitcnt lgkmcnt(2)
	v_mul_f64 v[46:47], v[6:7], v[2:3]
	v_mul_f64 v[2:3], v[4:5], v[2:3]
	s_waitcnt lgkmcnt(0)
	v_mul_f64 v[38:39], v[24:25], v[34:35]
	v_add_f64 v[10:11], v[10:11], v[42:43]
	v_add_f64 v[30:31], v[44:45], v[40:41]
	v_mul_f64 v[40:41], v[22:23], v[34:35]
	v_fma_f64 v[42:43], v[4:5], v[0:1], -v[46:47]
	v_fma_f64 v[44:45], v[6:7], v[0:1], v[2:3]
	v_fma_f64 v[22:23], v[22:23], v[32:33], -v[38:39]
	v_add_f64 v[10:11], v[10:11], v[28:29]
	v_add_f64 v[30:31], v[30:31], v[26:27]
	ds_load_b128 v[0:3], v14 offset:224
	ds_load_b128 v[4:7], v18 offset:7168
	ds_load_b128 v[26:29], v18 offset:7680
	ds_load_b128 v[34:37], v14 offset:240
	;; [unrolled: 54-line block ×4, first 2 shown]
	v_fma_f64 v[24:25], v[24:25], v[32:33], v[40:41]
	s_waitcnt lgkmcnt(2)
	v_mul_f64 v[46:47], v[6:7], v[2:3]
	v_mul_f64 v[2:3], v[4:5], v[2:3]
	s_waitcnt lgkmcnt(0)
	v_mul_f64 v[40:41], v[28:29], v[36:37]
	v_add_f64 v[10:11], v[10:11], v[44:45]
	v_add_f64 v[30:31], v[30:31], v[42:43]
	v_mul_f64 v[42:43], v[26:27], v[36:37]
	v_fma_f64 v[44:45], v[4:5], v[0:1], -v[46:47]
	v_fma_f64 v[46:47], v[6:7], v[0:1], v[2:3]
	ds_load_b128 v[0:3], v14 offset:448
	ds_load_b128 v[4:7], v18 offset:14336
	v_fma_f64 v[26:27], v[26:27], v[34:35], -v[40:41]
	v_add_f64 v[10:11], v[10:11], v[24:25]
	v_add_f64 v[48:49], v[30:31], v[22:23]
	global_load_b128 v[22:25], v[8:9], off
	v_fma_f64 v[28:29], v[28:29], v[34:35], v[42:43]
	s_waitcnt lgkmcnt(0)
	v_mul_f64 v[50:51], v[6:7], v[2:3]
	v_mul_f64 v[2:3], v[4:5], v[2:3]
	ds_load_b128 v[30:33], v18 offset:14848
	ds_load_b128 v[36:39], v14 offset:464
	s_waitcnt lgkmcnt(0)
	v_mul_f64 v[42:43], v[32:33], v[38:39]
	v_add_f64 v[10:11], v[10:11], v[46:47]
	v_add_f64 v[34:35], v[48:49], v[44:45]
	v_mul_f64 v[44:45], v[30:31], v[38:39]
	v_fma_f64 v[46:47], v[4:5], v[0:1], -v[50:51]
	v_fma_f64 v[48:49], v[6:7], v[0:1], v[2:3]
	v_fma_f64 v[30:31], v[30:31], v[36:37], -v[42:43]
	v_add_f64 v[10:11], v[10:11], v[28:29]
	v_add_f64 v[34:35], v[34:35], v[26:27]
	ds_load_b128 v[0:3], v14 offset:480
	ds_load_b128 v[4:7], v18 offset:15360
	;; [unrolled: 1-line block ×4, first 2 shown]
	v_fma_f64 v[32:33], v[32:33], v[36:37], v[44:45]
	s_waitcnt lgkmcnt(2)
	v_mul_f64 v[50:51], v[6:7], v[2:3]
	v_mul_f64 v[2:3], v[4:5], v[2:3]
	s_waitcnt lgkmcnt(0)
	v_mul_f64 v[36:37], v[28:29], v[40:41]
	v_mul_f64 v[40:41], v[26:27], v[40:41]
	v_add_f64 v[10:11], v[10:11], v[48:49]
	v_add_f64 v[34:35], v[34:35], v[46:47]
	v_fma_f64 v[4:5], v[4:5], v[0:1], -v[50:51]
	v_fma_f64 v[0:1], v[6:7], v[0:1], v[2:3]
	s_delay_alu instid0(VALU_DEP_4) | instskip(NEXT) | instid1(VALU_DEP_4)
	v_add_f64 v[2:3], v[10:11], v[32:33]
	v_add_f64 v[6:7], v[34:35], v[30:31]
	v_fma_f64 v[10:11], v[26:27], v[38:39], -v[36:37]
	v_fma_f64 v[26:27], v[28:29], v[38:39], v[40:41]
	s_delay_alu instid0(VALU_DEP_4) | instskip(NEXT) | instid1(VALU_DEP_4)
	v_add_f64 v[0:1], v[2:3], v[0:1]
	v_add_f64 v[2:3], v[6:7], v[4:5]
	s_delay_alu instid0(VALU_DEP_2) | instskip(NEXT) | instid1(VALU_DEP_2)
	v_add_f64 v[0:1], v[0:1], v[26:27]
	v_add_f64 v[2:3], v[2:3], v[10:11]
	s_delay_alu instid0(VALU_DEP_2) | instskip(NEXT) | instid1(VALU_DEP_2)
	v_mul_f64 v[4:5], s[6:7], v[0:1]
	v_mul_f64 v[6:7], s[6:7], v[2:3]
	s_delay_alu instid0(VALU_DEP_2) | instskip(NEXT) | instid1(VALU_DEP_2)
	v_fma_f64 v[2:3], s[4:5], v[2:3], -v[4:5]
	v_fma_f64 v[4:5], s[4:5], v[0:1], v[6:7]
	s_waitcnt vmcnt(0)
	s_delay_alu instid0(VALU_DEP_2) | instskip(NEXT) | instid1(VALU_DEP_2)
	v_add_f64 v[0:1], v[22:23], v[2:3]
	v_add_f64 v[2:3], v[24:25], v[4:5]
	global_store_b128 v[8:9], v[0:3], off
	s_branch .LBB694_4
.LBB694_11:
	s_endpgm
	.section	.rodata,"a",@progbits
	.p2align	6, 0x0
	.amdhsa_kernel _ZL26rocblas_syr2k_her2k_kernelIiLb0ELb0ELb1ELi32E19rocblas_complex_numIdEPKPKS1_PKPS1_EvbiT_T4_T5_S9_lSB_S9_lT6_S9_li
		.amdhsa_group_segment_fixed_size 32768
		.amdhsa_private_segment_fixed_size 0
		.amdhsa_kernarg_size 108
		.amdhsa_user_sgpr_count 13
		.amdhsa_user_sgpr_dispatch_ptr 0
		.amdhsa_user_sgpr_queue_ptr 0
		.amdhsa_user_sgpr_kernarg_segment_ptr 1
		.amdhsa_user_sgpr_dispatch_id 0
		.amdhsa_user_sgpr_private_segment_size 0
		.amdhsa_wavefront_size32 1
		.amdhsa_uses_dynamic_stack 0
		.amdhsa_enable_private_segment 0
		.amdhsa_system_sgpr_workgroup_id_x 1
		.amdhsa_system_sgpr_workgroup_id_y 1
		.amdhsa_system_sgpr_workgroup_id_z 1
		.amdhsa_system_sgpr_workgroup_info 0
		.amdhsa_system_vgpr_workitem_id 1
		.amdhsa_next_free_vgpr 52
		.amdhsa_next_free_sgpr 27
		.amdhsa_reserve_vcc 1
		.amdhsa_float_round_mode_32 0
		.amdhsa_float_round_mode_16_64 0
		.amdhsa_float_denorm_mode_32 3
		.amdhsa_float_denorm_mode_16_64 3
		.amdhsa_dx10_clamp 1
		.amdhsa_ieee_mode 1
		.amdhsa_fp16_overflow 0
		.amdhsa_workgroup_processor_mode 1
		.amdhsa_memory_ordered 1
		.amdhsa_forward_progress 0
		.amdhsa_shared_vgpr_count 0
		.amdhsa_exception_fp_ieee_invalid_op 0
		.amdhsa_exception_fp_denorm_src 0
		.amdhsa_exception_fp_ieee_div_zero 0
		.amdhsa_exception_fp_ieee_overflow 0
		.amdhsa_exception_fp_ieee_underflow 0
		.amdhsa_exception_fp_ieee_inexact 0
		.amdhsa_exception_int_div_zero 0
	.end_amdhsa_kernel
	.section	.text._ZL26rocblas_syr2k_her2k_kernelIiLb0ELb0ELb1ELi32E19rocblas_complex_numIdEPKPKS1_PKPS1_EvbiT_T4_T5_S9_lSB_S9_lT6_S9_li,"axG",@progbits,_ZL26rocblas_syr2k_her2k_kernelIiLb0ELb0ELb1ELi32E19rocblas_complex_numIdEPKPKS1_PKPS1_EvbiT_T4_T5_S9_lSB_S9_lT6_S9_li,comdat
.Lfunc_end694:
	.size	_ZL26rocblas_syr2k_her2k_kernelIiLb0ELb0ELb1ELi32E19rocblas_complex_numIdEPKPKS1_PKPS1_EvbiT_T4_T5_S9_lSB_S9_lT6_S9_li, .Lfunc_end694-_ZL26rocblas_syr2k_her2k_kernelIiLb0ELb0ELb1ELi32E19rocblas_complex_numIdEPKPKS1_PKPS1_EvbiT_T4_T5_S9_lSB_S9_lT6_S9_li
                                        ; -- End function
	.section	.AMDGPU.csdata,"",@progbits
; Kernel info:
; codeLenInByte = 3052
; NumSgprs: 29
; NumVgprs: 52
; ScratchSize: 0
; MemoryBound: 1
; FloatMode: 240
; IeeeMode: 1
; LDSByteSize: 32768 bytes/workgroup (compile time only)
; SGPRBlocks: 3
; VGPRBlocks: 6
; NumSGPRsForWavesPerEU: 29
; NumVGPRsForWavesPerEU: 52
; Occupancy: 16
; WaveLimiterHint : 1
; COMPUTE_PGM_RSRC2:SCRATCH_EN: 0
; COMPUTE_PGM_RSRC2:USER_SGPR: 13
; COMPUTE_PGM_RSRC2:TRAP_HANDLER: 0
; COMPUTE_PGM_RSRC2:TGID_X_EN: 1
; COMPUTE_PGM_RSRC2:TGID_Y_EN: 1
; COMPUTE_PGM_RSRC2:TGID_Z_EN: 1
; COMPUTE_PGM_RSRC2:TIDIG_COMP_CNT: 1
	.section	.text._ZL37rocblas_syrkx_herkx_restricted_kernelIi19rocblas_complex_numIdELi16ELi32ELi8ELi1ELi1ELb0ELc84ELc76EKPKS1_KPS1_EviT_PT9_S7_lS9_S7_lPT10_S7_li,"axG",@progbits,_ZL37rocblas_syrkx_herkx_restricted_kernelIi19rocblas_complex_numIdELi16ELi32ELi8ELi1ELi1ELb0ELc84ELc76EKPKS1_KPS1_EviT_PT9_S7_lS9_S7_lPT10_S7_li,comdat
	.globl	_ZL37rocblas_syrkx_herkx_restricted_kernelIi19rocblas_complex_numIdELi16ELi32ELi8ELi1ELi1ELb0ELc84ELc76EKPKS1_KPS1_EviT_PT9_S7_lS9_S7_lPT10_S7_li ; -- Begin function _ZL37rocblas_syrkx_herkx_restricted_kernelIi19rocblas_complex_numIdELi16ELi32ELi8ELi1ELi1ELb0ELc84ELc76EKPKS1_KPS1_EviT_PT9_S7_lS9_S7_lPT10_S7_li
	.p2align	8
	.type	_ZL37rocblas_syrkx_herkx_restricted_kernelIi19rocblas_complex_numIdELi16ELi32ELi8ELi1ELi1ELb0ELc84ELc76EKPKS1_KPS1_EviT_PT9_S7_lS9_S7_lPT10_S7_li,@function
_ZL37rocblas_syrkx_herkx_restricted_kernelIi19rocblas_complex_numIdELi16ELi32ELi8ELi1ELi1ELb0ELc84ELc76EKPKS1_KPS1_EviT_PT9_S7_lS9_S7_lPT10_S7_li: ; @_ZL37rocblas_syrkx_herkx_restricted_kernelIi19rocblas_complex_numIdELi16ELi32ELi8ELi1ELi1ELb0ELc84ELc76EKPKS1_KPS1_EviT_PT9_S7_lS9_S7_lPT10_S7_li
; %bb.0:
	s_clause 0x1
	s_load_b64 s[2:3], s[0:1], 0x38
	s_load_b64 s[4:5], s[0:1], 0x0
	s_mov_b32 s6, s15
	s_mov_b32 s7, 0
	v_mov_b32_e32 v16, 0
	s_lshl_b64 s[8:9], s[6:7], 3
	v_dual_mov_b32 v17, 0 :: v_dual_and_b32 v20, 0x3ff, v0
	v_bfe_u32 v21, v0, 10, 10
	s_delay_alu instid0(VALU_DEP_3) | instskip(NEXT) | instid1(VALU_DEP_3)
	v_mov_b32_e32 v14, v16
	v_dual_mov_b32 v12, v16 :: v_dual_mov_b32 v13, v17
	v_dual_mov_b32 v19, v17 :: v_dual_mov_b32 v18, v16
	;; [unrolled: 1-line block ×5, first 2 shown]
	v_mov_b32_e32 v7, v17
	s_waitcnt lgkmcnt(0)
	s_add_u32 s2, s2, s8
	s_addc_u32 s3, s3, s9
	v_dual_mov_b32 v4, v16 :: v_dual_mov_b32 v5, v17
	s_load_b64 s[2:3], s[2:3], 0x0
	s_lshl_b32 s6, s13, 5
	s_lshl_b32 s10, s14, 5
	s_cmp_lt_i32 s5, 1
	s_cbranch_scc1 .LBB695_3
; %bb.1:
	s_clause 0x3
	s_load_b64 s[12:13], s[0:1], 0x8
	s_load_b64 s[14:15], s[0:1], 0x20
	s_load_b32 s11, s[0:1], 0x10
	s_load_b32 s16, s[0:1], 0x28
	v_lshl_add_u32 v2, v21, 4, v20
	v_dual_mov_b32 v1, 0 :: v_dual_and_b32 v0, 7, v20
	v_mov_b32_e32 v4, 0
	v_dual_mov_b32 v5, 0 :: v_dual_lshlrev_b32 v22, 4, v20
	s_delay_alu instid0(VALU_DEP_4)
	v_and_b32_e32 v7, 31, v2
	v_lshrrev_b32_e32 v6, 3, v2
	v_lshrrev_b32_e32 v2, 5, v2
	v_mov_b32_e32 v3, v1
	v_lshl_add_u32 v23, v21, 7, 0x1000
	v_add_nc_u32_e32 v10, s6, v7
	v_dual_mov_b32 v15, v5 :: v_dual_add_nc_u32 v12, s10, v6
	v_dual_mov_b32 v14, v4 :: v_dual_mov_b32 v19, v5
	v_mov_b32_e32 v18, v4
	s_waitcnt lgkmcnt(0)
	s_add_u32 s12, s12, s8
	s_addc_u32 s13, s13, s9
	s_add_u32 s8, s14, s8
	s_load_b64 s[12:13], s[12:13], 0x0
	s_addc_u32 s9, s15, s9
	v_mad_i64_i32 v[8:9], null, s11, v10, v[2:3]
	s_load_b64 s[8:9], s[8:9], 0x0
	v_lshlrev_b32_e32 v3, 4, v0
	v_mad_i64_i32 v[10:11], null, s16, v12, v[0:1]
	v_dual_mov_b32 v17, v5 :: v_dual_lshlrev_b32 v12, 4, v7
	v_mov_b32_e32 v16, v4
	s_delay_alu instid0(VALU_DEP_4) | instskip(SKIP_3) | instid1(VALU_DEP_4)
	v_lshl_or_b32 v3, v6, 7, v3
	v_lshlrev_b64 v[0:1], 4, v[8:9]
	v_dual_mov_b32 v9, v5 :: v_dual_mov_b32 v8, v4
	v_lshl_or_b32 v24, v2, 9, v12
	v_add_nc_u32_e32 v25, 0x1000, v3
	v_lshlrev_b64 v[2:3], 4, v[10:11]
	v_dual_mov_b32 v7, v5 :: v_dual_mov_b32 v6, v4
	s_waitcnt lgkmcnt(0)
	v_add_co_u32 v0, vcc_lo, v0, s12
	v_add_co_ci_u32_e32 v1, vcc_lo, s13, v1, vcc_lo
	s_delay_alu instid0(VALU_DEP_4) | instskip(SKIP_1) | instid1(VALU_DEP_4)
	v_add_co_u32 v2, vcc_lo, v2, s8
	v_add_co_ci_u32_e32 v3, vcc_lo, s9, v3, vcc_lo
	v_add_co_u32 v0, vcc_lo, v0, 8
	s_delay_alu instid0(VALU_DEP_4) | instskip(NEXT) | instid1(VALU_DEP_4)
	v_add_co_ci_u32_e32 v1, vcc_lo, 0, v1, vcc_lo
	v_add_co_u32 v2, vcc_lo, v2, 8
	s_delay_alu instid0(VALU_DEP_4)
	v_add_co_ci_u32_e32 v3, vcc_lo, 0, v3, vcc_lo
	v_dual_mov_b32 v11, v5 :: v_dual_mov_b32 v10, v4
	v_dual_mov_b32 v13, v5 :: v_dual_mov_b32 v12, v4
.LBB695_2:                              ; =>This Inner Loop Header: Depth=1
	global_load_b128 v[26:29], v[0:1], off offset:-8
	global_load_b128 v[30:33], v[2:3], off offset:-8
	v_add_co_u32 v0, vcc_lo, 0x80, v0
	v_add_co_ci_u32_e32 v1, vcc_lo, 0, v1, vcc_lo
	v_add_co_u32 v2, vcc_lo, 0x80, v2
	v_add_co_ci_u32_e32 v3, vcc_lo, 0, v3, vcc_lo
	s_add_i32 s7, s7, 8
	s_waitcnt vmcnt(1)
	ds_store_b128 v24, v[26:29]
	s_waitcnt vmcnt(0)
	ds_store_b128 v25, v[30:33]
	s_waitcnt lgkmcnt(0)
	s_barrier
	buffer_gl0_inv
	ds_load_b128 v[26:29], v23
	ds_load_b128 v[30:33], v22
	ds_load_b128 v[34:37], v22 offset:256
	ds_load_b128 v[38:41], v23 offset:2048
	;; [unrolled: 1-line block ×13, first 2 shown]
	s_cmp_ge_i32 s7, s5
	s_waitcnt lgkmcnt(13)
	v_mul_f64 v[86:87], v[28:29], v[32:33]
	v_mul_f64 v[88:89], v[26:27], v[32:33]
	s_waitcnt lgkmcnt(12)
	v_mul_f64 v[90:91], v[28:29], v[36:37]
	v_mul_f64 v[92:93], v[26:27], v[36:37]
	;; [unrolled: 3-line block ×3, first 2 shown]
	v_mul_f64 v[96:97], v[40:41], v[36:37]
	v_mul_f64 v[36:37], v[38:39], v[36:37]
	s_waitcnt lgkmcnt(8)
	v_mul_f64 v[98:99], v[44:45], v[52:53]
	v_mul_f64 v[100:101], v[42:43], v[52:53]
	s_waitcnt lgkmcnt(7)
	v_mul_f64 v[102:103], v[44:45], v[56:57]
	v_mul_f64 v[104:105], v[42:43], v[56:57]
	;; [unrolled: 1-line block ×6, first 2 shown]
	s_waitcnt lgkmcnt(3)
	v_mul_f64 v[112:113], v[58:59], v[72:73]
	s_waitcnt lgkmcnt(2)
	v_mul_f64 v[114:115], v[76:77], v[68:69]
	v_mul_f64 v[116:117], v[76:77], v[72:73]
	v_fma_f64 v[86:87], v[26:27], v[30:31], -v[86:87]
	v_fma_f64 v[88:89], v[28:29], v[30:31], v[88:89]
	v_fma_f64 v[90:91], v[26:27], v[34:35], -v[90:91]
	v_fma_f64 v[92:93], v[28:29], v[34:35], v[92:93]
	;; [unrolled: 2-line block ×4, first 2 shown]
	v_mul_f64 v[36:37], v[60:61], v[68:69]
	v_mul_f64 v[40:41], v[58:59], v[68:69]
	;; [unrolled: 1-line block ×5, first 2 shown]
	v_fma_f64 v[98:99], v[42:43], v[50:51], -v[98:99]
	v_fma_f64 v[100:101], v[44:45], v[50:51], v[100:101]
	v_fma_f64 v[42:43], v[42:43], v[54:55], -v[102:103]
	v_fma_f64 v[44:45], v[44:45], v[54:55], v[104:105]
	;; [unrolled: 2-line block ×4, first 2 shown]
	ds_load_b128 v[26:29], v22 offset:1792
	ds_load_b128 v[30:33], v22 offset:2048
	s_waitcnt lgkmcnt(2)
	v_mul_f64 v[56:57], v[64:65], v[84:85]
	v_add_f64 v[16:17], v[16:17], v[86:87]
	v_add_f64 v[18:19], v[18:19], v[88:89]
	;; [unrolled: 1-line block ×8, first 2 shown]
	v_mul_f64 v[86:87], v[62:63], v[84:85]
	s_waitcnt lgkmcnt(1)
	v_mul_f64 v[88:89], v[64:65], v[28:29]
	v_mul_f64 v[90:91], v[62:63], v[28:29]
	;; [unrolled: 1-line block ×6, first 2 shown]
	v_fma_f64 v[104:105], v[58:59], v[66:67], -v[36:37]
	v_fma_f64 v[106:107], v[60:61], v[66:67], v[40:41]
	v_fma_f64 v[58:59], v[58:59], v[70:71], -v[96:97]
	v_fma_f64 v[60:61], v[60:61], v[70:71], v[112:113]
	;; [unrolled: 2-line block ×4, first 2 shown]
	ds_load_b128 v[4:7], v22 offset:2304
	ds_load_b128 v[8:11], v23 offset:64
	v_fma_f64 v[56:57], v[62:63], v[82:83], -v[56:57]
	v_add_f64 v[72:73], v[16:17], v[98:99]
	v_add_f64 v[74:75], v[18:19], v[100:101]
	v_add_f64 v[42:43], v[14:15], v[42:43]
	v_add_f64 v[44:45], v[12:13], v[44:45]
	v_add_f64 v[52:53], v[52:53], v[102:103]
	v_add_f64 v[50:51], v[54:55], v[50:51]
	v_add_f64 v[46:47], v[38:39], v[46:47]
	v_add_f64 v[48:49], v[34:35], v[48:49]
	ds_load_b128 v[12:15], v23 offset:2112
	ds_load_b128 v[16:19], v23 offset:80
	;; [unrolled: 1-line block ×4, first 2 shown]
	s_waitcnt lgkmcnt(4)
	v_mul_f64 v[54:55], v[10:11], v[32:33]
	v_mul_f64 v[76:77], v[8:9], v[32:33]
	v_mul_f64 v[98:99], v[10:11], v[6:7]
	v_mul_f64 v[100:101], v[8:9], v[6:7]
	v_fma_f64 v[86:87], v[64:65], v[82:83], v[86:87]
	v_fma_f64 v[62:63], v[62:63], v[26:27], -v[88:89]
	v_fma_f64 v[64:65], v[64:65], v[26:27], v[90:91]
	v_fma_f64 v[88:89], v[78:79], v[82:83], -v[92:93]
	;; [unrolled: 2-line block ×3, first 2 shown]
	v_fma_f64 v[80:81], v[80:81], v[26:27], v[28:29]
	s_waitcnt lgkmcnt(3)
	v_mul_f64 v[102:103], v[14:15], v[32:33]
	v_mul_f64 v[32:33], v[12:13], v[32:33]
	;; [unrolled: 1-line block ×4, first 2 shown]
	s_waitcnt lgkmcnt(0)
	v_mul_f64 v[90:91], v[18:19], v[40:41]
	v_mul_f64 v[92:93], v[16:17], v[40:41]
	v_add_f64 v[72:73], v[72:73], v[104:105]
	v_add_f64 v[74:75], v[74:75], v[106:107]
	;; [unrolled: 1-line block ×8, first 2 shown]
	ds_load_b128 v[26:29], v22 offset:2816
	ds_load_b128 v[42:45], v22 offset:3072
	;; [unrolled: 1-line block ×4, first 2 shown]
	v_mul_f64 v[104:105], v[36:37], v[40:41]
	v_mul_f64 v[40:41], v[34:35], v[40:41]
	v_fma_f64 v[54:55], v[8:9], v[30:31], -v[54:55]
	v_fma_f64 v[76:77], v[10:11], v[30:31], v[76:77]
	v_fma_f64 v[98:99], v[8:9], v[4:5], -v[98:99]
	v_fma_f64 v[100:101], v[10:11], v[4:5], v[100:101]
	s_waitcnt lgkmcnt(3)
	v_mul_f64 v[94:95], v[18:19], v[28:29]
	v_mul_f64 v[96:97], v[16:17], v[28:29]
	;; [unrolled: 1-line block ×4, first 2 shown]
	v_fma_f64 v[102:103], v[12:13], v[30:31], -v[102:103]
	v_fma_f64 v[32:33], v[14:15], v[30:31], v[32:33]
	v_fma_f64 v[108:109], v[12:13], v[4:5], -v[108:109]
	v_fma_f64 v[112:113], v[14:15], v[4:5], v[6:7]
	ds_load_b128 v[4:7], v23 offset:2144
	ds_load_b128 v[8:11], v23 offset:112
	;; [unrolled: 1-line block ×4, first 2 shown]
	v_add_f64 v[56:57], v[72:73], v[56:57]
	v_add_f64 v[72:73], v[74:75], v[86:87]
	;; [unrolled: 1-line block ×8, first 2 shown]
	s_waitcnt lgkmcnt(4)
	v_mul_f64 v[70:71], v[52:53], v[44:45]
	v_mul_f64 v[74:75], v[50:51], v[44:45]
	;; [unrolled: 1-line block ×4, first 2 shown]
	s_waitcnt lgkmcnt(3)
	v_mul_f64 v[82:83], v[6:7], v[44:45]
	v_mul_f64 v[44:45], v[4:5], v[44:45]
	;; [unrolled: 1-line block ×4, first 2 shown]
	v_fma_f64 v[86:87], v[16:17], v[38:39], -v[90:91]
	v_fma_f64 v[88:89], v[18:19], v[38:39], v[92:93]
	v_fma_f64 v[90:91], v[16:17], v[26:27], -v[94:95]
	v_fma_f64 v[92:93], v[18:19], v[26:27], v[96:97]
	;; [unrolled: 2-line block ×4, first 2 shown]
	ds_load_b128 v[16:19], v22 offset:3840
	s_waitcnt lgkmcnt(0)
	s_barrier
	buffer_gl0_inv
	v_add_f64 v[36:37], v[56:57], v[54:55]
	v_add_f64 v[40:41], v[72:73], v[76:77]
	;; [unrolled: 1-line block ×8, first 2 shown]
	v_mul_f64 v[64:65], v[10:11], v[30:31]
	v_mul_f64 v[66:67], v[8:9], v[30:31]
	;; [unrolled: 1-line block ×4, first 2 shown]
	v_fma_f64 v[70:71], v[50:51], v[42:43], -v[70:71]
	v_mul_f64 v[68:69], v[10:11], v[18:19]
	v_mul_f64 v[72:73], v[8:9], v[18:19]
	;; [unrolled: 1-line block ×4, first 2 shown]
	v_fma_f64 v[74:75], v[52:53], v[42:43], v[74:75]
	v_fma_f64 v[50:51], v[50:51], v[46:47], -v[78:79]
	v_fma_f64 v[52:53], v[52:53], v[46:47], v[80:81]
	v_fma_f64 v[78:79], v[4:5], v[42:43], -v[82:83]
	;; [unrolled: 2-line block ×3, first 2 shown]
	v_fma_f64 v[6:7], v[6:7], v[46:47], v[48:49]
	v_add_f64 v[36:37], v[36:37], v[86:87]
	v_add_f64 v[40:41], v[40:41], v[88:89]
	;; [unrolled: 1-line block ×8, first 2 shown]
	v_fma_f64 v[38:39], v[8:9], v[28:29], -v[64:65]
	v_fma_f64 v[54:55], v[10:11], v[28:29], v[66:67]
	v_fma_f64 v[56:57], v[12:13], v[28:29], -v[76:77]
	v_fma_f64 v[28:29], v[14:15], v[28:29], v[30:31]
	;; [unrolled: 2-line block ×4, first 2 shown]
	v_add_f64 v[12:13], v[36:37], v[70:71]
	v_add_f64 v[14:15], v[40:41], v[74:75]
	;; [unrolled: 1-line block ×16, first 2 shown]
	s_cbranch_scc0 .LBB695_2
.LBB695_3:
	s_load_b32 s5, s[0:1], 0x40
	v_add_nc_u32_e32 v21, s10, v21
	v_add_nc_u32_e32 v0, s6, v20
	s_delay_alu instid0(VALU_DEP_1) | instskip(SKIP_1) | instid1(VALU_DEP_2)
	v_cmp_le_i32_e64 s0, v21, v0
	v_cmp_gt_i32_e32 vcc_lo, s4, v0
	s_and_b32 s0, s0, vcc_lo
	s_waitcnt lgkmcnt(0)
	v_mad_i64_i32 v[1:2], null, v21, s5, 0
	s_delay_alu instid0(VALU_DEP_1) | instskip(NEXT) | instid1(VALU_DEP_1)
	v_lshlrev_b64 v[1:2], 4, v[1:2]
	v_add_co_u32 v20, s1, s2, v1
	s_delay_alu instid0(VALU_DEP_1)
	v_add_co_ci_u32_e64 v22, s1, s3, v2, s1
	s_and_saveexec_b32 s1, s0
	s_cbranch_execz .LBB695_5
; %bb.4:
	v_ashrrev_i32_e32 v1, 31, v0
	s_delay_alu instid0(VALU_DEP_1) | instskip(NEXT) | instid1(VALU_DEP_1)
	v_lshlrev_b64 v[1:2], 4, v[0:1]
	v_add_co_u32 v1, s0, v20, v1
	s_delay_alu instid0(VALU_DEP_1)
	v_add_co_ci_u32_e64 v2, s0, v22, v2, s0
	global_load_b128 v[23:26], v[1:2], off
	s_waitcnt vmcnt(0)
	v_add_f64 v[16:17], v[16:17], v[23:24]
	v_add_f64 v[18:19], v[18:19], v[25:26]
	global_store_b128 v[1:2], v[16:19], off
.LBB695_5:
	s_or_b32 exec_lo, exec_lo, s1
	v_add_nc_u32_e32 v2, 16, v0
	s_delay_alu instid0(VALU_DEP_1) | instskip(SKIP_1) | instid1(VALU_DEP_1)
	v_cmp_le_i32_e64 s1, v21, v2
	v_cmp_gt_i32_e64 s0, s4, v2
	s_and_b32 s1, s1, s0
	s_delay_alu instid0(SALU_CYCLE_1)
	s_and_saveexec_b32 s4, s1
	s_cbranch_execz .LBB695_7
; %bb.6:
	v_ashrrev_i32_e32 v3, 31, v2
	s_delay_alu instid0(VALU_DEP_1) | instskip(NEXT) | instid1(VALU_DEP_1)
	v_lshlrev_b64 v[16:17], 4, v[2:3]
	v_add_co_u32 v23, s1, v20, v16
	s_delay_alu instid0(VALU_DEP_1)
	v_add_co_ci_u32_e64 v24, s1, v22, v17, s1
	global_load_b128 v[16:19], v[23:24], off
	s_waitcnt vmcnt(0)
	v_add_f64 v[14:15], v[14:15], v[16:17]
	v_add_f64 v[16:17], v[12:13], v[18:19]
	global_store_b128 v[23:24], v[14:17], off
.LBB695_7:
	s_or_b32 exec_lo, exec_lo, s4
	v_add_nc_u32_e32 v3, 16, v21
	s_delay_alu instid0(VALU_DEP_1) | instskip(SKIP_1) | instid1(VALU_DEP_2)
	v_mad_i64_i32 v[12:13], null, v3, s5, 0
	v_cmp_le_i32_e64 s1, v3, v0
	v_lshlrev_b64 v[12:13], 4, v[12:13]
	s_delay_alu instid0(VALU_DEP_1) | instskip(NEXT) | instid1(VALU_DEP_1)
	v_add_co_u32 v12, s2, s2, v12
	v_add_co_ci_u32_e64 v13, s2, s3, v13, s2
	s_delay_alu instid0(VALU_DEP_4) | instskip(NEXT) | instid1(SALU_CYCLE_1)
	s_and_b32 s2, s1, vcc_lo
	s_and_saveexec_b32 s1, s2
	s_cbranch_execz .LBB695_9
; %bb.8:
	v_ashrrev_i32_e32 v1, 31, v0
	s_delay_alu instid0(VALU_DEP_1) | instskip(NEXT) | instid1(VALU_DEP_1)
	v_lshlrev_b64 v[0:1], 4, v[0:1]
	v_add_co_u32 v0, vcc_lo, v12, v0
	s_delay_alu instid0(VALU_DEP_2)
	v_add_co_ci_u32_e32 v1, vcc_lo, v13, v1, vcc_lo
	global_load_b128 v[14:17], v[0:1], off
	s_waitcnt vmcnt(0)
	v_add_f64 v[14:15], v[10:11], v[14:15]
	v_add_f64 v[16:17], v[8:9], v[16:17]
	global_store_b128 v[0:1], v[14:17], off
.LBB695_9:
	s_or_b32 exec_lo, exec_lo, s1
	v_cmp_le_i32_e32 vcc_lo, v3, v2
	s_and_b32 s0, vcc_lo, s0
	s_delay_alu instid0(SALU_CYCLE_1)
	s_and_saveexec_b32 s1, s0
	s_cbranch_execz .LBB695_11
; %bb.10:
	v_ashrrev_i32_e32 v3, 31, v2
	s_delay_alu instid0(VALU_DEP_1) | instskip(NEXT) | instid1(VALU_DEP_1)
	v_lshlrev_b64 v[0:1], 4, v[2:3]
	v_add_co_u32 v8, vcc_lo, v12, v0
	s_delay_alu instid0(VALU_DEP_2)
	v_add_co_ci_u32_e32 v9, vcc_lo, v13, v1, vcc_lo
	global_load_b128 v[0:3], v[8:9], off
	s_waitcnt vmcnt(0)
	v_add_f64 v[0:1], v[6:7], v[0:1]
	v_add_f64 v[2:3], v[4:5], v[2:3]
	global_store_b128 v[8:9], v[0:3], off
.LBB695_11:
	s_nop 0
	s_sendmsg sendmsg(MSG_DEALLOC_VGPRS)
	s_endpgm
	.section	.rodata,"a",@progbits
	.p2align	6, 0x0
	.amdhsa_kernel _ZL37rocblas_syrkx_herkx_restricted_kernelIi19rocblas_complex_numIdELi16ELi32ELi8ELi1ELi1ELb0ELc84ELc76EKPKS1_KPS1_EviT_PT9_S7_lS9_S7_lPT10_S7_li
		.amdhsa_group_segment_fixed_size 8192
		.amdhsa_private_segment_fixed_size 0
		.amdhsa_kernarg_size 84
		.amdhsa_user_sgpr_count 13
		.amdhsa_user_sgpr_dispatch_ptr 0
		.amdhsa_user_sgpr_queue_ptr 0
		.amdhsa_user_sgpr_kernarg_segment_ptr 1
		.amdhsa_user_sgpr_dispatch_id 0
		.amdhsa_user_sgpr_private_segment_size 0
		.amdhsa_wavefront_size32 1
		.amdhsa_uses_dynamic_stack 0
		.amdhsa_enable_private_segment 0
		.amdhsa_system_sgpr_workgroup_id_x 1
		.amdhsa_system_sgpr_workgroup_id_y 1
		.amdhsa_system_sgpr_workgroup_id_z 1
		.amdhsa_system_sgpr_workgroup_info 0
		.amdhsa_system_vgpr_workitem_id 1
		.amdhsa_next_free_vgpr 118
		.amdhsa_next_free_sgpr 17
		.amdhsa_reserve_vcc 1
		.amdhsa_float_round_mode_32 0
		.amdhsa_float_round_mode_16_64 0
		.amdhsa_float_denorm_mode_32 3
		.amdhsa_float_denorm_mode_16_64 3
		.amdhsa_dx10_clamp 1
		.amdhsa_ieee_mode 1
		.amdhsa_fp16_overflow 0
		.amdhsa_workgroup_processor_mode 1
		.amdhsa_memory_ordered 1
		.amdhsa_forward_progress 0
		.amdhsa_shared_vgpr_count 0
		.amdhsa_exception_fp_ieee_invalid_op 0
		.amdhsa_exception_fp_denorm_src 0
		.amdhsa_exception_fp_ieee_div_zero 0
		.amdhsa_exception_fp_ieee_overflow 0
		.amdhsa_exception_fp_ieee_underflow 0
		.amdhsa_exception_fp_ieee_inexact 0
		.amdhsa_exception_int_div_zero 0
	.end_amdhsa_kernel
	.section	.text._ZL37rocblas_syrkx_herkx_restricted_kernelIi19rocblas_complex_numIdELi16ELi32ELi8ELi1ELi1ELb0ELc84ELc76EKPKS1_KPS1_EviT_PT9_S7_lS9_S7_lPT10_S7_li,"axG",@progbits,_ZL37rocblas_syrkx_herkx_restricted_kernelIi19rocblas_complex_numIdELi16ELi32ELi8ELi1ELi1ELb0ELc84ELc76EKPKS1_KPS1_EviT_PT9_S7_lS9_S7_lPT10_S7_li,comdat
.Lfunc_end695:
	.size	_ZL37rocblas_syrkx_herkx_restricted_kernelIi19rocblas_complex_numIdELi16ELi32ELi8ELi1ELi1ELb0ELc84ELc76EKPKS1_KPS1_EviT_PT9_S7_lS9_S7_lPT10_S7_li, .Lfunc_end695-_ZL37rocblas_syrkx_herkx_restricted_kernelIi19rocblas_complex_numIdELi16ELi32ELi8ELi1ELi1ELb0ELc84ELc76EKPKS1_KPS1_EviT_PT9_S7_lS9_S7_lPT10_S7_li
                                        ; -- End function
	.section	.AMDGPU.csdata,"",@progbits
; Kernel info:
; codeLenInByte = 2968
; NumSgprs: 19
; NumVgprs: 118
; ScratchSize: 0
; MemoryBound: 0
; FloatMode: 240
; IeeeMode: 1
; LDSByteSize: 8192 bytes/workgroup (compile time only)
; SGPRBlocks: 2
; VGPRBlocks: 14
; NumSGPRsForWavesPerEU: 19
; NumVGPRsForWavesPerEU: 118
; Occupancy: 12
; WaveLimiterHint : 1
; COMPUTE_PGM_RSRC2:SCRATCH_EN: 0
; COMPUTE_PGM_RSRC2:USER_SGPR: 13
; COMPUTE_PGM_RSRC2:TRAP_HANDLER: 0
; COMPUTE_PGM_RSRC2:TGID_X_EN: 1
; COMPUTE_PGM_RSRC2:TGID_Y_EN: 1
; COMPUTE_PGM_RSRC2:TGID_Z_EN: 1
; COMPUTE_PGM_RSRC2:TIDIG_COMP_CNT: 1
	.section	.text._ZL37rocblas_syrkx_herkx_restricted_kernelIi19rocblas_complex_numIdELi16ELi32ELi8ELi1ELi1ELb0ELc67ELc76EKPKS1_KPS1_EviT_PT9_S7_lS9_S7_lPT10_S7_li,"axG",@progbits,_ZL37rocblas_syrkx_herkx_restricted_kernelIi19rocblas_complex_numIdELi16ELi32ELi8ELi1ELi1ELb0ELc67ELc76EKPKS1_KPS1_EviT_PT9_S7_lS9_S7_lPT10_S7_li,comdat
	.globl	_ZL37rocblas_syrkx_herkx_restricted_kernelIi19rocblas_complex_numIdELi16ELi32ELi8ELi1ELi1ELb0ELc67ELc76EKPKS1_KPS1_EviT_PT9_S7_lS9_S7_lPT10_S7_li ; -- Begin function _ZL37rocblas_syrkx_herkx_restricted_kernelIi19rocblas_complex_numIdELi16ELi32ELi8ELi1ELi1ELb0ELc67ELc76EKPKS1_KPS1_EviT_PT9_S7_lS9_S7_lPT10_S7_li
	.p2align	8
	.type	_ZL37rocblas_syrkx_herkx_restricted_kernelIi19rocblas_complex_numIdELi16ELi32ELi8ELi1ELi1ELb0ELc67ELc76EKPKS1_KPS1_EviT_PT9_S7_lS9_S7_lPT10_S7_li,@function
_ZL37rocblas_syrkx_herkx_restricted_kernelIi19rocblas_complex_numIdELi16ELi32ELi8ELi1ELi1ELb0ELc67ELc76EKPKS1_KPS1_EviT_PT9_S7_lS9_S7_lPT10_S7_li: ; @_ZL37rocblas_syrkx_herkx_restricted_kernelIi19rocblas_complex_numIdELi16ELi32ELi8ELi1ELi1ELb0ELc67ELc76EKPKS1_KPS1_EviT_PT9_S7_lS9_S7_lPT10_S7_li
; %bb.0:
	s_clause 0x1
	s_load_b64 s[2:3], s[0:1], 0x38
	s_load_b64 s[4:5], s[0:1], 0x0
	s_mov_b32 s6, s15
	s_mov_b32 s7, 0
	v_mov_b32_e32 v16, 0
	s_lshl_b64 s[8:9], s[6:7], 3
	v_dual_mov_b32 v17, 0 :: v_dual_and_b32 v20, 0x3ff, v0
	v_bfe_u32 v21, v0, 10, 10
	s_delay_alu instid0(VALU_DEP_3) | instskip(NEXT) | instid1(VALU_DEP_3)
	v_mov_b32_e32 v14, v16
	v_dual_mov_b32 v12, v16 :: v_dual_mov_b32 v13, v17
	v_dual_mov_b32 v19, v17 :: v_dual_mov_b32 v18, v16
	;; [unrolled: 1-line block ×5, first 2 shown]
	v_mov_b32_e32 v7, v17
	s_waitcnt lgkmcnt(0)
	s_add_u32 s2, s2, s8
	s_addc_u32 s3, s3, s9
	v_dual_mov_b32 v4, v16 :: v_dual_mov_b32 v5, v17
	s_load_b64 s[2:3], s[2:3], 0x0
	s_lshl_b32 s6, s13, 5
	s_lshl_b32 s10, s14, 5
	s_cmp_lt_i32 s5, 1
	s_cbranch_scc1 .LBB696_3
; %bb.1:
	s_clause 0x3
	s_load_b64 s[12:13], s[0:1], 0x8
	s_load_b64 s[14:15], s[0:1], 0x20
	s_load_b32 s11, s[0:1], 0x10
	s_load_b32 s16, s[0:1], 0x28
	v_lshl_add_u32 v2, v21, 4, v20
	v_dual_mov_b32 v1, 0 :: v_dual_and_b32 v0, 7, v20
	v_mov_b32_e32 v4, 0
	v_dual_mov_b32 v5, 0 :: v_dual_lshlrev_b32 v22, 4, v20
	s_delay_alu instid0(VALU_DEP_4)
	v_and_b32_e32 v7, 31, v2
	v_lshrrev_b32_e32 v6, 3, v2
	v_lshrrev_b32_e32 v2, 5, v2
	v_mov_b32_e32 v3, v1
	v_lshl_add_u32 v23, v21, 7, 0x1000
	v_add_nc_u32_e32 v10, s6, v7
	v_dual_mov_b32 v15, v5 :: v_dual_add_nc_u32 v12, s10, v6
	v_dual_mov_b32 v14, v4 :: v_dual_mov_b32 v19, v5
	v_mov_b32_e32 v18, v4
	s_waitcnt lgkmcnt(0)
	s_add_u32 s12, s12, s8
	s_addc_u32 s13, s13, s9
	s_add_u32 s8, s14, s8
	s_load_b64 s[12:13], s[12:13], 0x0
	s_addc_u32 s9, s15, s9
	v_mad_i64_i32 v[8:9], null, s11, v10, v[2:3]
	s_load_b64 s[8:9], s[8:9], 0x0
	v_lshlrev_b32_e32 v3, 4, v0
	v_mad_i64_i32 v[10:11], null, s16, v12, v[0:1]
	v_dual_mov_b32 v17, v5 :: v_dual_lshlrev_b32 v12, 4, v7
	v_mov_b32_e32 v16, v4
	s_delay_alu instid0(VALU_DEP_4) | instskip(SKIP_3) | instid1(VALU_DEP_4)
	v_lshl_or_b32 v3, v6, 7, v3
	v_lshlrev_b64 v[0:1], 4, v[8:9]
	v_dual_mov_b32 v9, v5 :: v_dual_mov_b32 v8, v4
	v_lshl_or_b32 v24, v2, 9, v12
	v_add_nc_u32_e32 v25, 0x1000, v3
	v_lshlrev_b64 v[2:3], 4, v[10:11]
	v_dual_mov_b32 v7, v5 :: v_dual_mov_b32 v6, v4
	s_waitcnt lgkmcnt(0)
	v_add_co_u32 v0, vcc_lo, v0, s12
	v_add_co_ci_u32_e32 v1, vcc_lo, s13, v1, vcc_lo
	s_delay_alu instid0(VALU_DEP_4) | instskip(SKIP_1) | instid1(VALU_DEP_4)
	v_add_co_u32 v2, vcc_lo, v2, s8
	v_add_co_ci_u32_e32 v3, vcc_lo, s9, v3, vcc_lo
	v_add_co_u32 v0, vcc_lo, v0, 8
	s_delay_alu instid0(VALU_DEP_4) | instskip(NEXT) | instid1(VALU_DEP_4)
	v_add_co_ci_u32_e32 v1, vcc_lo, 0, v1, vcc_lo
	v_add_co_u32 v2, vcc_lo, v2, 8
	s_delay_alu instid0(VALU_DEP_4)
	v_add_co_ci_u32_e32 v3, vcc_lo, 0, v3, vcc_lo
	v_dual_mov_b32 v11, v5 :: v_dual_mov_b32 v10, v4
	v_dual_mov_b32 v13, v5 :: v_dual_mov_b32 v12, v4
.LBB696_2:                              ; =>This Inner Loop Header: Depth=1
	global_load_b128 v[26:29], v[0:1], off offset:-8
	global_load_b128 v[30:33], v[2:3], off offset:-8
	v_add_co_u32 v0, vcc_lo, 0x80, v0
	v_add_co_ci_u32_e32 v1, vcc_lo, 0, v1, vcc_lo
	v_add_co_u32 v2, vcc_lo, 0x80, v2
	v_add_co_ci_u32_e32 v3, vcc_lo, 0, v3, vcc_lo
	s_add_i32 s7, s7, 8
	s_waitcnt vmcnt(1)
	ds_store_b128 v24, v[26:29]
	s_waitcnt vmcnt(0)
	ds_store_b128 v25, v[30:33]
	s_waitcnt lgkmcnt(0)
	s_barrier
	buffer_gl0_inv
	ds_load_b128 v[26:29], v23
	ds_load_b128 v[30:33], v22
	ds_load_b128 v[34:37], v22 offset:256
	ds_load_b128 v[38:41], v23 offset:2048
	;; [unrolled: 1-line block ×13, first 2 shown]
	s_cmp_ge_i32 s7, s5
	s_waitcnt lgkmcnt(13)
	v_mul_f64 v[86:87], v[28:29], v[32:33]
	v_mul_f64 v[88:89], v[26:27], v[32:33]
	s_waitcnt lgkmcnt(12)
	v_mul_f64 v[90:91], v[28:29], v[36:37]
	v_mul_f64 v[92:93], v[26:27], v[36:37]
	;; [unrolled: 3-line block ×3, first 2 shown]
	v_mul_f64 v[96:97], v[40:41], v[36:37]
	v_mul_f64 v[36:37], v[38:39], v[36:37]
	s_waitcnt lgkmcnt(8)
	v_mul_f64 v[98:99], v[44:45], v[52:53]
	v_mul_f64 v[100:101], v[42:43], v[52:53]
	s_waitcnt lgkmcnt(7)
	v_mul_f64 v[102:103], v[44:45], v[56:57]
	v_mul_f64 v[104:105], v[42:43], v[56:57]
	;; [unrolled: 1-line block ×6, first 2 shown]
	s_waitcnt lgkmcnt(3)
	v_mul_f64 v[112:113], v[58:59], v[72:73]
	s_waitcnt lgkmcnt(2)
	v_mul_f64 v[114:115], v[76:77], v[68:69]
	v_mul_f64 v[116:117], v[76:77], v[72:73]
	v_fma_f64 v[86:87], v[26:27], v[30:31], -v[86:87]
	v_fma_f64 v[88:89], v[28:29], v[30:31], v[88:89]
	v_fma_f64 v[90:91], v[26:27], v[34:35], -v[90:91]
	v_fma_f64 v[92:93], v[28:29], v[34:35], v[92:93]
	;; [unrolled: 2-line block ×4, first 2 shown]
	v_mul_f64 v[36:37], v[60:61], v[68:69]
	v_mul_f64 v[40:41], v[58:59], v[68:69]
	;; [unrolled: 1-line block ×5, first 2 shown]
	v_fma_f64 v[98:99], v[42:43], v[50:51], -v[98:99]
	v_fma_f64 v[100:101], v[44:45], v[50:51], v[100:101]
	v_fma_f64 v[42:43], v[42:43], v[54:55], -v[102:103]
	v_fma_f64 v[44:45], v[44:45], v[54:55], v[104:105]
	;; [unrolled: 2-line block ×4, first 2 shown]
	ds_load_b128 v[26:29], v22 offset:1792
	ds_load_b128 v[30:33], v22 offset:2048
	s_waitcnt lgkmcnt(2)
	v_mul_f64 v[56:57], v[64:65], v[84:85]
	v_add_f64 v[16:17], v[16:17], v[86:87]
	v_add_f64 v[18:19], v[18:19], v[88:89]
	;; [unrolled: 1-line block ×8, first 2 shown]
	v_mul_f64 v[86:87], v[62:63], v[84:85]
	s_waitcnt lgkmcnt(1)
	v_mul_f64 v[88:89], v[64:65], v[28:29]
	v_mul_f64 v[90:91], v[62:63], v[28:29]
	;; [unrolled: 1-line block ×6, first 2 shown]
	v_fma_f64 v[104:105], v[58:59], v[66:67], -v[36:37]
	v_fma_f64 v[106:107], v[60:61], v[66:67], v[40:41]
	v_fma_f64 v[58:59], v[58:59], v[70:71], -v[96:97]
	v_fma_f64 v[60:61], v[60:61], v[70:71], v[112:113]
	;; [unrolled: 2-line block ×4, first 2 shown]
	ds_load_b128 v[4:7], v22 offset:2304
	ds_load_b128 v[8:11], v23 offset:64
	v_fma_f64 v[56:57], v[62:63], v[82:83], -v[56:57]
	v_add_f64 v[72:73], v[16:17], v[98:99]
	v_add_f64 v[74:75], v[18:19], v[100:101]
	;; [unrolled: 1-line block ×8, first 2 shown]
	ds_load_b128 v[12:15], v23 offset:2112
	ds_load_b128 v[16:19], v23 offset:80
	;; [unrolled: 1-line block ×4, first 2 shown]
	s_waitcnt lgkmcnt(4)
	v_mul_f64 v[54:55], v[10:11], v[32:33]
	v_mul_f64 v[76:77], v[8:9], v[32:33]
	;; [unrolled: 1-line block ×4, first 2 shown]
	v_fma_f64 v[86:87], v[64:65], v[82:83], v[86:87]
	v_fma_f64 v[62:63], v[62:63], v[26:27], -v[88:89]
	v_fma_f64 v[64:65], v[64:65], v[26:27], v[90:91]
	v_fma_f64 v[88:89], v[78:79], v[82:83], -v[92:93]
	;; [unrolled: 2-line block ×3, first 2 shown]
	v_fma_f64 v[80:81], v[80:81], v[26:27], v[28:29]
	s_waitcnt lgkmcnt(3)
	v_mul_f64 v[102:103], v[14:15], v[32:33]
	v_mul_f64 v[32:33], v[12:13], v[32:33]
	;; [unrolled: 1-line block ×4, first 2 shown]
	s_waitcnt lgkmcnt(0)
	v_mul_f64 v[90:91], v[18:19], v[40:41]
	v_mul_f64 v[92:93], v[16:17], v[40:41]
	v_add_f64 v[72:73], v[72:73], v[104:105]
	v_add_f64 v[74:75], v[74:75], v[106:107]
	;; [unrolled: 1-line block ×8, first 2 shown]
	ds_load_b128 v[26:29], v22 offset:2816
	ds_load_b128 v[42:45], v22 offset:3072
	;; [unrolled: 1-line block ×4, first 2 shown]
	v_mul_f64 v[104:105], v[36:37], v[40:41]
	v_mul_f64 v[40:41], v[34:35], v[40:41]
	v_fma_f64 v[54:55], v[8:9], v[30:31], -v[54:55]
	v_fma_f64 v[76:77], v[10:11], v[30:31], v[76:77]
	v_fma_f64 v[98:99], v[8:9], v[4:5], -v[98:99]
	v_fma_f64 v[100:101], v[10:11], v[4:5], v[100:101]
	s_waitcnt lgkmcnt(3)
	v_mul_f64 v[94:95], v[18:19], v[28:29]
	v_mul_f64 v[96:97], v[16:17], v[28:29]
	v_mul_f64 v[106:107], v[36:37], v[28:29]
	v_mul_f64 v[110:111], v[34:35], v[28:29]
	v_fma_f64 v[102:103], v[12:13], v[30:31], -v[102:103]
	v_fma_f64 v[32:33], v[14:15], v[30:31], v[32:33]
	v_fma_f64 v[108:109], v[12:13], v[4:5], -v[108:109]
	v_fma_f64 v[112:113], v[14:15], v[4:5], v[6:7]
	ds_load_b128 v[4:7], v23 offset:2144
	ds_load_b128 v[8:11], v23 offset:112
	;; [unrolled: 1-line block ×4, first 2 shown]
	v_add_f64 v[56:57], v[72:73], v[56:57]
	v_add_f64 v[72:73], v[74:75], v[86:87]
	;; [unrolled: 1-line block ×8, first 2 shown]
	s_waitcnt lgkmcnt(4)
	v_mul_f64 v[70:71], v[52:53], v[44:45]
	v_mul_f64 v[74:75], v[50:51], v[44:45]
	;; [unrolled: 1-line block ×4, first 2 shown]
	s_waitcnt lgkmcnt(3)
	v_mul_f64 v[82:83], v[6:7], v[44:45]
	v_mul_f64 v[44:45], v[4:5], v[44:45]
	;; [unrolled: 1-line block ×4, first 2 shown]
	v_fma_f64 v[86:87], v[16:17], v[38:39], -v[90:91]
	v_fma_f64 v[88:89], v[18:19], v[38:39], v[92:93]
	v_fma_f64 v[90:91], v[16:17], v[26:27], -v[94:95]
	v_fma_f64 v[92:93], v[18:19], v[26:27], v[96:97]
	;; [unrolled: 2-line block ×4, first 2 shown]
	ds_load_b128 v[16:19], v22 offset:3840
	s_waitcnt lgkmcnt(0)
	s_barrier
	buffer_gl0_inv
	v_add_f64 v[36:37], v[56:57], v[54:55]
	v_add_f64 v[40:41], v[72:73], v[76:77]
	v_add_f64 v[54:55], v[58:59], v[98:99]
	v_add_f64 v[56:57], v[60:61], v[100:101]
	v_add_f64 v[58:59], v[62:63], v[102:103]
	v_add_f64 v[32:33], v[64:65], v[32:33]
	v_add_f64 v[60:61], v[66:67], v[108:109]
	v_add_f64 v[62:63], v[68:69], v[112:113]
	v_mul_f64 v[64:65], v[10:11], v[30:31]
	v_mul_f64 v[66:67], v[8:9], v[30:31]
	;; [unrolled: 1-line block ×4, first 2 shown]
	v_fma_f64 v[70:71], v[50:51], v[42:43], -v[70:71]
	v_mul_f64 v[68:69], v[10:11], v[18:19]
	v_mul_f64 v[72:73], v[8:9], v[18:19]
	v_mul_f64 v[96:97], v[14:15], v[18:19]
	v_mul_f64 v[18:19], v[12:13], v[18:19]
	v_fma_f64 v[74:75], v[52:53], v[42:43], v[74:75]
	v_fma_f64 v[50:51], v[50:51], v[46:47], -v[78:79]
	v_fma_f64 v[52:53], v[52:53], v[46:47], v[80:81]
	v_fma_f64 v[78:79], v[4:5], v[42:43], -v[82:83]
	;; [unrolled: 2-line block ×3, first 2 shown]
	v_fma_f64 v[6:7], v[6:7], v[46:47], v[48:49]
	v_add_f64 v[36:37], v[36:37], v[86:87]
	v_add_f64 v[40:41], v[40:41], v[88:89]
	;; [unrolled: 1-line block ×8, first 2 shown]
	v_fma_f64 v[38:39], v[8:9], v[28:29], -v[64:65]
	v_fma_f64 v[54:55], v[10:11], v[28:29], v[66:67]
	v_fma_f64 v[56:57], v[12:13], v[28:29], -v[76:77]
	v_fma_f64 v[28:29], v[14:15], v[28:29], v[30:31]
	;; [unrolled: 2-line block ×4, first 2 shown]
	v_add_f64 v[12:13], v[36:37], v[70:71]
	v_add_f64 v[14:15], v[40:41], v[74:75]
	;; [unrolled: 1-line block ×16, first 2 shown]
	s_cbranch_scc0 .LBB696_2
.LBB696_3:
	s_load_b32 s5, s[0:1], 0x40
	v_add_nc_u32_e32 v21, s10, v21
	v_add_nc_u32_e32 v0, s6, v20
	s_delay_alu instid0(VALU_DEP_1) | instskip(SKIP_1) | instid1(VALU_DEP_2)
	v_cmp_le_i32_e64 s0, v21, v0
	v_cmp_gt_i32_e32 vcc_lo, s4, v0
	s_and_b32 s0, s0, vcc_lo
	s_waitcnt lgkmcnt(0)
	v_mad_i64_i32 v[1:2], null, v21, s5, 0
	s_delay_alu instid0(VALU_DEP_1) | instskip(NEXT) | instid1(VALU_DEP_1)
	v_lshlrev_b64 v[1:2], 4, v[1:2]
	v_add_co_u32 v20, s1, s2, v1
	s_delay_alu instid0(VALU_DEP_1)
	v_add_co_ci_u32_e64 v22, s1, s3, v2, s1
	s_and_saveexec_b32 s1, s0
	s_cbranch_execz .LBB696_5
; %bb.4:
	v_ashrrev_i32_e32 v1, 31, v0
	s_delay_alu instid0(VALU_DEP_1) | instskip(NEXT) | instid1(VALU_DEP_1)
	v_lshlrev_b64 v[1:2], 4, v[0:1]
	v_add_co_u32 v1, s0, v20, v1
	s_delay_alu instid0(VALU_DEP_1)
	v_add_co_ci_u32_e64 v2, s0, v22, v2, s0
	global_load_b128 v[23:26], v[1:2], off
	s_waitcnt vmcnt(0)
	v_add_f64 v[16:17], v[16:17], v[23:24]
	v_add_f64 v[18:19], v[18:19], v[25:26]
	global_store_b128 v[1:2], v[16:19], off
.LBB696_5:
	s_or_b32 exec_lo, exec_lo, s1
	v_add_nc_u32_e32 v2, 16, v0
	s_delay_alu instid0(VALU_DEP_1) | instskip(SKIP_1) | instid1(VALU_DEP_1)
	v_cmp_le_i32_e64 s1, v21, v2
	v_cmp_gt_i32_e64 s0, s4, v2
	s_and_b32 s1, s1, s0
	s_delay_alu instid0(SALU_CYCLE_1)
	s_and_saveexec_b32 s4, s1
	s_cbranch_execz .LBB696_7
; %bb.6:
	v_ashrrev_i32_e32 v3, 31, v2
	s_delay_alu instid0(VALU_DEP_1) | instskip(NEXT) | instid1(VALU_DEP_1)
	v_lshlrev_b64 v[16:17], 4, v[2:3]
	v_add_co_u32 v23, s1, v20, v16
	s_delay_alu instid0(VALU_DEP_1)
	v_add_co_ci_u32_e64 v24, s1, v22, v17, s1
	global_load_b128 v[16:19], v[23:24], off
	s_waitcnt vmcnt(0)
	v_add_f64 v[14:15], v[14:15], v[16:17]
	v_add_f64 v[16:17], v[12:13], v[18:19]
	global_store_b128 v[23:24], v[14:17], off
.LBB696_7:
	s_or_b32 exec_lo, exec_lo, s4
	v_add_nc_u32_e32 v3, 16, v21
	s_delay_alu instid0(VALU_DEP_1) | instskip(SKIP_1) | instid1(VALU_DEP_2)
	v_mad_i64_i32 v[12:13], null, v3, s5, 0
	v_cmp_le_i32_e64 s1, v3, v0
	v_lshlrev_b64 v[12:13], 4, v[12:13]
	s_delay_alu instid0(VALU_DEP_1) | instskip(NEXT) | instid1(VALU_DEP_1)
	v_add_co_u32 v12, s2, s2, v12
	v_add_co_ci_u32_e64 v13, s2, s3, v13, s2
	s_delay_alu instid0(VALU_DEP_4) | instskip(NEXT) | instid1(SALU_CYCLE_1)
	s_and_b32 s2, s1, vcc_lo
	s_and_saveexec_b32 s1, s2
	s_cbranch_execz .LBB696_9
; %bb.8:
	v_ashrrev_i32_e32 v1, 31, v0
	s_delay_alu instid0(VALU_DEP_1) | instskip(NEXT) | instid1(VALU_DEP_1)
	v_lshlrev_b64 v[0:1], 4, v[0:1]
	v_add_co_u32 v0, vcc_lo, v12, v0
	s_delay_alu instid0(VALU_DEP_2)
	v_add_co_ci_u32_e32 v1, vcc_lo, v13, v1, vcc_lo
	global_load_b128 v[14:17], v[0:1], off
	s_waitcnt vmcnt(0)
	v_add_f64 v[14:15], v[10:11], v[14:15]
	v_add_f64 v[16:17], v[8:9], v[16:17]
	global_store_b128 v[0:1], v[14:17], off
.LBB696_9:
	s_or_b32 exec_lo, exec_lo, s1
	v_cmp_le_i32_e32 vcc_lo, v3, v2
	s_and_b32 s0, vcc_lo, s0
	s_delay_alu instid0(SALU_CYCLE_1)
	s_and_saveexec_b32 s1, s0
	s_cbranch_execz .LBB696_11
; %bb.10:
	v_ashrrev_i32_e32 v3, 31, v2
	s_delay_alu instid0(VALU_DEP_1) | instskip(NEXT) | instid1(VALU_DEP_1)
	v_lshlrev_b64 v[0:1], 4, v[2:3]
	v_add_co_u32 v8, vcc_lo, v12, v0
	s_delay_alu instid0(VALU_DEP_2)
	v_add_co_ci_u32_e32 v9, vcc_lo, v13, v1, vcc_lo
	global_load_b128 v[0:3], v[8:9], off
	s_waitcnt vmcnt(0)
	v_add_f64 v[0:1], v[6:7], v[0:1]
	v_add_f64 v[2:3], v[4:5], v[2:3]
	global_store_b128 v[8:9], v[0:3], off
.LBB696_11:
	s_nop 0
	s_sendmsg sendmsg(MSG_DEALLOC_VGPRS)
	s_endpgm
	.section	.rodata,"a",@progbits
	.p2align	6, 0x0
	.amdhsa_kernel _ZL37rocblas_syrkx_herkx_restricted_kernelIi19rocblas_complex_numIdELi16ELi32ELi8ELi1ELi1ELb0ELc67ELc76EKPKS1_KPS1_EviT_PT9_S7_lS9_S7_lPT10_S7_li
		.amdhsa_group_segment_fixed_size 8192
		.amdhsa_private_segment_fixed_size 0
		.amdhsa_kernarg_size 84
		.amdhsa_user_sgpr_count 13
		.amdhsa_user_sgpr_dispatch_ptr 0
		.amdhsa_user_sgpr_queue_ptr 0
		.amdhsa_user_sgpr_kernarg_segment_ptr 1
		.amdhsa_user_sgpr_dispatch_id 0
		.amdhsa_user_sgpr_private_segment_size 0
		.amdhsa_wavefront_size32 1
		.amdhsa_uses_dynamic_stack 0
		.amdhsa_enable_private_segment 0
		.amdhsa_system_sgpr_workgroup_id_x 1
		.amdhsa_system_sgpr_workgroup_id_y 1
		.amdhsa_system_sgpr_workgroup_id_z 1
		.amdhsa_system_sgpr_workgroup_info 0
		.amdhsa_system_vgpr_workitem_id 1
		.amdhsa_next_free_vgpr 118
		.amdhsa_next_free_sgpr 17
		.amdhsa_reserve_vcc 1
		.amdhsa_float_round_mode_32 0
		.amdhsa_float_round_mode_16_64 0
		.amdhsa_float_denorm_mode_32 3
		.amdhsa_float_denorm_mode_16_64 3
		.amdhsa_dx10_clamp 1
		.amdhsa_ieee_mode 1
		.amdhsa_fp16_overflow 0
		.amdhsa_workgroup_processor_mode 1
		.amdhsa_memory_ordered 1
		.amdhsa_forward_progress 0
		.amdhsa_shared_vgpr_count 0
		.amdhsa_exception_fp_ieee_invalid_op 0
		.amdhsa_exception_fp_denorm_src 0
		.amdhsa_exception_fp_ieee_div_zero 0
		.amdhsa_exception_fp_ieee_overflow 0
		.amdhsa_exception_fp_ieee_underflow 0
		.amdhsa_exception_fp_ieee_inexact 0
		.amdhsa_exception_int_div_zero 0
	.end_amdhsa_kernel
	.section	.text._ZL37rocblas_syrkx_herkx_restricted_kernelIi19rocblas_complex_numIdELi16ELi32ELi8ELi1ELi1ELb0ELc67ELc76EKPKS1_KPS1_EviT_PT9_S7_lS9_S7_lPT10_S7_li,"axG",@progbits,_ZL37rocblas_syrkx_herkx_restricted_kernelIi19rocblas_complex_numIdELi16ELi32ELi8ELi1ELi1ELb0ELc67ELc76EKPKS1_KPS1_EviT_PT9_S7_lS9_S7_lPT10_S7_li,comdat
.Lfunc_end696:
	.size	_ZL37rocblas_syrkx_herkx_restricted_kernelIi19rocblas_complex_numIdELi16ELi32ELi8ELi1ELi1ELb0ELc67ELc76EKPKS1_KPS1_EviT_PT9_S7_lS9_S7_lPT10_S7_li, .Lfunc_end696-_ZL37rocblas_syrkx_herkx_restricted_kernelIi19rocblas_complex_numIdELi16ELi32ELi8ELi1ELi1ELb0ELc67ELc76EKPKS1_KPS1_EviT_PT9_S7_lS9_S7_lPT10_S7_li
                                        ; -- End function
	.section	.AMDGPU.csdata,"",@progbits
; Kernel info:
; codeLenInByte = 2968
; NumSgprs: 19
; NumVgprs: 118
; ScratchSize: 0
; MemoryBound: 0
; FloatMode: 240
; IeeeMode: 1
; LDSByteSize: 8192 bytes/workgroup (compile time only)
; SGPRBlocks: 2
; VGPRBlocks: 14
; NumSGPRsForWavesPerEU: 19
; NumVGPRsForWavesPerEU: 118
; Occupancy: 12
; WaveLimiterHint : 1
; COMPUTE_PGM_RSRC2:SCRATCH_EN: 0
; COMPUTE_PGM_RSRC2:USER_SGPR: 13
; COMPUTE_PGM_RSRC2:TRAP_HANDLER: 0
; COMPUTE_PGM_RSRC2:TGID_X_EN: 1
; COMPUTE_PGM_RSRC2:TGID_Y_EN: 1
; COMPUTE_PGM_RSRC2:TGID_Z_EN: 1
; COMPUTE_PGM_RSRC2:TIDIG_COMP_CNT: 1
	.section	.text._ZL37rocblas_syrkx_herkx_restricted_kernelIi19rocblas_complex_numIdELi16ELi32ELi8ELi1ELi1ELb0ELc78ELc76EKPKS1_KPS1_EviT_PT9_S7_lS9_S7_lPT10_S7_li,"axG",@progbits,_ZL37rocblas_syrkx_herkx_restricted_kernelIi19rocblas_complex_numIdELi16ELi32ELi8ELi1ELi1ELb0ELc78ELc76EKPKS1_KPS1_EviT_PT9_S7_lS9_S7_lPT10_S7_li,comdat
	.globl	_ZL37rocblas_syrkx_herkx_restricted_kernelIi19rocblas_complex_numIdELi16ELi32ELi8ELi1ELi1ELb0ELc78ELc76EKPKS1_KPS1_EviT_PT9_S7_lS9_S7_lPT10_S7_li ; -- Begin function _ZL37rocblas_syrkx_herkx_restricted_kernelIi19rocblas_complex_numIdELi16ELi32ELi8ELi1ELi1ELb0ELc78ELc76EKPKS1_KPS1_EviT_PT9_S7_lS9_S7_lPT10_S7_li
	.p2align	8
	.type	_ZL37rocblas_syrkx_herkx_restricted_kernelIi19rocblas_complex_numIdELi16ELi32ELi8ELi1ELi1ELb0ELc78ELc76EKPKS1_KPS1_EviT_PT9_S7_lS9_S7_lPT10_S7_li,@function
_ZL37rocblas_syrkx_herkx_restricted_kernelIi19rocblas_complex_numIdELi16ELi32ELi8ELi1ELi1ELb0ELc78ELc76EKPKS1_KPS1_EviT_PT9_S7_lS9_S7_lPT10_S7_li: ; @_ZL37rocblas_syrkx_herkx_restricted_kernelIi19rocblas_complex_numIdELi16ELi32ELi8ELi1ELi1ELb0ELc78ELc76EKPKS1_KPS1_EviT_PT9_S7_lS9_S7_lPT10_S7_li
; %bb.0:
	s_clause 0x1
	s_load_b64 s[2:3], s[0:1], 0x38
	s_load_b64 s[4:5], s[0:1], 0x0
	s_mov_b32 s6, s15
	s_mov_b32 s7, 0
	v_mov_b32_e32 v16, 0
	s_lshl_b64 s[8:9], s[6:7], 3
	v_dual_mov_b32 v17, 0 :: v_dual_and_b32 v20, 0x3ff, v0
	v_bfe_u32 v21, v0, 10, 10
	s_delay_alu instid0(VALU_DEP_3) | instskip(NEXT) | instid1(VALU_DEP_3)
	v_mov_b32_e32 v14, v16
	v_dual_mov_b32 v12, v16 :: v_dual_mov_b32 v13, v17
	v_dual_mov_b32 v19, v17 :: v_dual_mov_b32 v18, v16
	;; [unrolled: 1-line block ×5, first 2 shown]
	v_mov_b32_e32 v7, v17
	s_waitcnt lgkmcnt(0)
	s_add_u32 s2, s2, s8
	s_addc_u32 s3, s3, s9
	v_dual_mov_b32 v4, v16 :: v_dual_mov_b32 v5, v17
	s_load_b64 s[2:3], s[2:3], 0x0
	s_lshl_b32 s6, s13, 5
	s_lshl_b32 s12, s14, 5
	s_cmp_lt_i32 s5, 1
	s_cbranch_scc1 .LBB697_3
; %bb.1:
	s_clause 0x3
	s_load_b32 s10, s[0:1], 0x10
	s_load_b32 s14, s[0:1], 0x28
	s_load_b64 s[16:17], s[0:1], 0x8
	s_load_b64 s[18:19], s[0:1], 0x20
	v_lshl_add_u32 v0, v21, 4, v20
	v_and_b32_e32 v10, 7, v20
	v_lshl_add_u32 v23, v21, 7, 0x1000
	v_mov_b32_e32 v4, 0
	v_mov_b32_e32 v5, 0
	v_and_b32_e32 v9, 31, v0
	v_lshrrev_b32_e32 v8, 3, v0
	v_lshlrev_b32_e32 v12, 4, v10
	v_lshrrev_b32_e32 v11, 5, v0
	s_delay_alu instid0(VALU_DEP_4) | instskip(NEXT) | instid1(VALU_DEP_4)
	v_dual_mov_b32 v15, v5 :: v_dual_add_nc_u32 v2, s6, v9
	v_add_nc_u32_e32 v0, s12, v8
	v_lshlrev_b32_e32 v9, 4, v9
	v_lshl_or_b32 v8, v8, 7, v12
	v_lshlrev_b32_e32 v22, 4, v20
	v_ashrrev_i32_e32 v3, 31, v2
	s_waitcnt lgkmcnt(0)
	s_ashr_i32 s11, s10, 31
	s_ashr_i32 s15, s14, 31
	s_add_u32 s16, s16, s8
	s_addc_u32 s17, s17, s9
	s_add_u32 s8, s18, s8
	s_load_b64 s[16:17], s[16:17], 0x0
	s_addc_u32 s9, s19, s9
	v_lshl_or_b32 v24, v11, 9, v9
	s_load_b64 s[8:9], s[8:9], 0x0
	v_add_nc_u32_e32 v25, 0x1000, v8
	v_dual_mov_b32 v9, v5 :: v_dual_mov_b32 v8, v4
	v_ashrrev_i32_e32 v1, 31, v0
	v_mad_i64_i32 v[6:7], null, s10, v11, v[2:3]
	v_dual_mov_b32 v13, v5 :: v_dual_mov_b32 v12, v4
	v_mov_b32_e32 v19, v5
	s_delay_alu instid0(VALU_DEP_4)
	v_mad_i64_i32 v[2:3], null, s14, v10, v[0:1]
	v_mov_b32_e32 v11, v5
	v_lshlrev_b64 v[0:1], 4, v[6:7]
	v_dual_mov_b32 v10, v4 :: v_dual_mov_b32 v7, v5
	v_dual_mov_b32 v14, v4 :: v_dual_mov_b32 v17, v5
	v_lshlrev_b64 v[2:3], 4, v[2:3]
	s_waitcnt lgkmcnt(0)
	s_delay_alu instid0(VALU_DEP_4) | instskip(SKIP_2) | instid1(VALU_DEP_4)
	v_add_co_u32 v0, vcc_lo, v0, s16
	v_add_co_ci_u32_e32 v1, vcc_lo, s17, v1, vcc_lo
	v_mov_b32_e32 v6, v4
	v_add_co_u32 v2, vcc_lo, v2, s8
	v_add_co_ci_u32_e32 v3, vcc_lo, s9, v3, vcc_lo
	v_add_co_u32 v0, vcc_lo, v0, 8
	v_add_co_ci_u32_e32 v1, vcc_lo, 0, v1, vcc_lo
	s_delay_alu instid0(VALU_DEP_4) | instskip(NEXT) | instid1(VALU_DEP_4)
	v_add_co_u32 v2, vcc_lo, v2, 8
	v_add_co_ci_u32_e32 v3, vcc_lo, 0, v3, vcc_lo
	v_mov_b32_e32 v18, v4
	v_mov_b32_e32 v16, v4
	s_lshl_b64 s[8:9], s[10:11], 7
	s_lshl_b64 s[10:11], s[14:15], 7
.LBB697_2:                              ; =>This Inner Loop Header: Depth=1
	global_load_b128 v[26:29], v[0:1], off offset:-8
	global_load_b128 v[30:33], v[2:3], off offset:-8
	v_add_co_u32 v0, vcc_lo, v0, s8
	v_add_co_ci_u32_e32 v1, vcc_lo, s9, v1, vcc_lo
	v_add_co_u32 v2, vcc_lo, v2, s10
	v_add_co_ci_u32_e32 v3, vcc_lo, s11, v3, vcc_lo
	s_add_i32 s7, s7, 8
	s_waitcnt vmcnt(1)
	ds_store_b128 v24, v[26:29]
	s_waitcnt vmcnt(0)
	ds_store_b128 v25, v[30:33]
	s_waitcnt lgkmcnt(0)
	s_barrier
	buffer_gl0_inv
	ds_load_b128 v[26:29], v23
	ds_load_b128 v[30:33], v22
	ds_load_b128 v[34:37], v22 offset:256
	ds_load_b128 v[38:41], v23 offset:2048
	;; [unrolled: 1-line block ×13, first 2 shown]
	s_cmp_ge_i32 s7, s5
	s_waitcnt lgkmcnt(13)
	v_mul_f64 v[86:87], v[28:29], v[32:33]
	v_mul_f64 v[88:89], v[26:27], v[32:33]
	s_waitcnt lgkmcnt(12)
	v_mul_f64 v[90:91], v[28:29], v[36:37]
	v_mul_f64 v[92:93], v[26:27], v[36:37]
	;; [unrolled: 3-line block ×3, first 2 shown]
	v_mul_f64 v[96:97], v[40:41], v[36:37]
	v_mul_f64 v[36:37], v[38:39], v[36:37]
	s_waitcnt lgkmcnt(8)
	v_mul_f64 v[98:99], v[44:45], v[52:53]
	v_mul_f64 v[100:101], v[42:43], v[52:53]
	s_waitcnt lgkmcnt(7)
	v_mul_f64 v[102:103], v[44:45], v[56:57]
	v_mul_f64 v[104:105], v[42:43], v[56:57]
	;; [unrolled: 1-line block ×6, first 2 shown]
	s_waitcnt lgkmcnt(3)
	v_mul_f64 v[112:113], v[58:59], v[72:73]
	s_waitcnt lgkmcnt(2)
	v_mul_f64 v[114:115], v[76:77], v[68:69]
	v_mul_f64 v[116:117], v[76:77], v[72:73]
	v_fma_f64 v[86:87], v[26:27], v[30:31], -v[86:87]
	v_fma_f64 v[88:89], v[28:29], v[30:31], v[88:89]
	v_fma_f64 v[90:91], v[26:27], v[34:35], -v[90:91]
	v_fma_f64 v[92:93], v[28:29], v[34:35], v[92:93]
	v_fma_f64 v[94:95], v[38:39], v[30:31], -v[94:95]
	v_fma_f64 v[110:111], v[40:41], v[30:31], v[32:33]
	v_fma_f64 v[38:39], v[38:39], v[34:35], -v[96:97]
	v_fma_f64 v[34:35], v[40:41], v[34:35], v[36:37]
	v_mul_f64 v[36:37], v[60:61], v[68:69]
	v_mul_f64 v[40:41], v[58:59], v[68:69]
	;; [unrolled: 1-line block ×5, first 2 shown]
	v_fma_f64 v[98:99], v[42:43], v[50:51], -v[98:99]
	v_fma_f64 v[100:101], v[44:45], v[50:51], v[100:101]
	v_fma_f64 v[42:43], v[42:43], v[54:55], -v[102:103]
	v_fma_f64 v[44:45], v[44:45], v[54:55], v[104:105]
	;; [unrolled: 2-line block ×4, first 2 shown]
	ds_load_b128 v[26:29], v22 offset:1792
	ds_load_b128 v[30:33], v22 offset:2048
	s_waitcnt lgkmcnt(2)
	v_mul_f64 v[56:57], v[64:65], v[84:85]
	v_add_f64 v[16:17], v[16:17], v[86:87]
	v_add_f64 v[18:19], v[18:19], v[88:89]
	;; [unrolled: 1-line block ×8, first 2 shown]
	v_mul_f64 v[86:87], v[62:63], v[84:85]
	s_waitcnt lgkmcnt(1)
	v_mul_f64 v[88:89], v[64:65], v[28:29]
	v_mul_f64 v[90:91], v[62:63], v[28:29]
	;; [unrolled: 1-line block ×6, first 2 shown]
	v_fma_f64 v[104:105], v[58:59], v[66:67], -v[36:37]
	v_fma_f64 v[106:107], v[60:61], v[66:67], v[40:41]
	v_fma_f64 v[58:59], v[58:59], v[70:71], -v[96:97]
	v_fma_f64 v[60:61], v[60:61], v[70:71], v[112:113]
	;; [unrolled: 2-line block ×4, first 2 shown]
	ds_load_b128 v[4:7], v22 offset:2304
	ds_load_b128 v[8:11], v23 offset:64
	v_fma_f64 v[56:57], v[62:63], v[82:83], -v[56:57]
	v_add_f64 v[72:73], v[16:17], v[98:99]
	v_add_f64 v[74:75], v[18:19], v[100:101]
	;; [unrolled: 1-line block ×8, first 2 shown]
	ds_load_b128 v[12:15], v23 offset:2112
	ds_load_b128 v[16:19], v23 offset:80
	;; [unrolled: 1-line block ×4, first 2 shown]
	s_waitcnt lgkmcnt(4)
	v_mul_f64 v[54:55], v[10:11], v[32:33]
	v_mul_f64 v[76:77], v[8:9], v[32:33]
	;; [unrolled: 1-line block ×4, first 2 shown]
	v_fma_f64 v[86:87], v[64:65], v[82:83], v[86:87]
	v_fma_f64 v[62:63], v[62:63], v[26:27], -v[88:89]
	v_fma_f64 v[64:65], v[64:65], v[26:27], v[90:91]
	v_fma_f64 v[88:89], v[78:79], v[82:83], -v[92:93]
	;; [unrolled: 2-line block ×3, first 2 shown]
	v_fma_f64 v[80:81], v[80:81], v[26:27], v[28:29]
	s_waitcnt lgkmcnt(3)
	v_mul_f64 v[102:103], v[14:15], v[32:33]
	v_mul_f64 v[32:33], v[12:13], v[32:33]
	;; [unrolled: 1-line block ×4, first 2 shown]
	s_waitcnt lgkmcnt(0)
	v_mul_f64 v[90:91], v[18:19], v[40:41]
	v_mul_f64 v[92:93], v[16:17], v[40:41]
	v_add_f64 v[72:73], v[72:73], v[104:105]
	v_add_f64 v[74:75], v[74:75], v[106:107]
	;; [unrolled: 1-line block ×8, first 2 shown]
	ds_load_b128 v[26:29], v22 offset:2816
	ds_load_b128 v[42:45], v22 offset:3072
	;; [unrolled: 1-line block ×4, first 2 shown]
	v_mul_f64 v[104:105], v[36:37], v[40:41]
	v_mul_f64 v[40:41], v[34:35], v[40:41]
	v_fma_f64 v[54:55], v[8:9], v[30:31], -v[54:55]
	v_fma_f64 v[76:77], v[10:11], v[30:31], v[76:77]
	v_fma_f64 v[98:99], v[8:9], v[4:5], -v[98:99]
	v_fma_f64 v[100:101], v[10:11], v[4:5], v[100:101]
	s_waitcnt lgkmcnt(3)
	v_mul_f64 v[94:95], v[18:19], v[28:29]
	v_mul_f64 v[96:97], v[16:17], v[28:29]
	;; [unrolled: 1-line block ×4, first 2 shown]
	v_fma_f64 v[102:103], v[12:13], v[30:31], -v[102:103]
	v_fma_f64 v[32:33], v[14:15], v[30:31], v[32:33]
	v_fma_f64 v[108:109], v[12:13], v[4:5], -v[108:109]
	v_fma_f64 v[112:113], v[14:15], v[4:5], v[6:7]
	ds_load_b128 v[4:7], v23 offset:2144
	ds_load_b128 v[8:11], v23 offset:112
	;; [unrolled: 1-line block ×4, first 2 shown]
	v_add_f64 v[56:57], v[72:73], v[56:57]
	v_add_f64 v[72:73], v[74:75], v[86:87]
	;; [unrolled: 1-line block ×8, first 2 shown]
	s_waitcnt lgkmcnt(4)
	v_mul_f64 v[70:71], v[52:53], v[44:45]
	v_mul_f64 v[74:75], v[50:51], v[44:45]
	;; [unrolled: 1-line block ×4, first 2 shown]
	s_waitcnt lgkmcnt(3)
	v_mul_f64 v[82:83], v[6:7], v[44:45]
	v_mul_f64 v[44:45], v[4:5], v[44:45]
	;; [unrolled: 1-line block ×4, first 2 shown]
	v_fma_f64 v[86:87], v[16:17], v[38:39], -v[90:91]
	v_fma_f64 v[88:89], v[18:19], v[38:39], v[92:93]
	v_fma_f64 v[90:91], v[16:17], v[26:27], -v[94:95]
	v_fma_f64 v[92:93], v[18:19], v[26:27], v[96:97]
	;; [unrolled: 2-line block ×4, first 2 shown]
	ds_load_b128 v[16:19], v22 offset:3840
	s_waitcnt lgkmcnt(0)
	s_barrier
	buffer_gl0_inv
	v_add_f64 v[36:37], v[56:57], v[54:55]
	v_add_f64 v[40:41], v[72:73], v[76:77]
	v_add_f64 v[54:55], v[58:59], v[98:99]
	v_add_f64 v[56:57], v[60:61], v[100:101]
	v_add_f64 v[58:59], v[62:63], v[102:103]
	v_add_f64 v[32:33], v[64:65], v[32:33]
	v_add_f64 v[60:61], v[66:67], v[108:109]
	v_add_f64 v[62:63], v[68:69], v[112:113]
	v_mul_f64 v[64:65], v[10:11], v[30:31]
	v_mul_f64 v[66:67], v[8:9], v[30:31]
	;; [unrolled: 1-line block ×4, first 2 shown]
	v_fma_f64 v[70:71], v[50:51], v[42:43], -v[70:71]
	v_mul_f64 v[68:69], v[10:11], v[18:19]
	v_mul_f64 v[72:73], v[8:9], v[18:19]
	;; [unrolled: 1-line block ×4, first 2 shown]
	v_fma_f64 v[74:75], v[52:53], v[42:43], v[74:75]
	v_fma_f64 v[50:51], v[50:51], v[46:47], -v[78:79]
	v_fma_f64 v[52:53], v[52:53], v[46:47], v[80:81]
	v_fma_f64 v[78:79], v[4:5], v[42:43], -v[82:83]
	;; [unrolled: 2-line block ×3, first 2 shown]
	v_fma_f64 v[6:7], v[6:7], v[46:47], v[48:49]
	v_add_f64 v[36:37], v[36:37], v[86:87]
	v_add_f64 v[40:41], v[40:41], v[88:89]
	;; [unrolled: 1-line block ×8, first 2 shown]
	v_fma_f64 v[38:39], v[8:9], v[28:29], -v[64:65]
	v_fma_f64 v[54:55], v[10:11], v[28:29], v[66:67]
	v_fma_f64 v[56:57], v[12:13], v[28:29], -v[76:77]
	v_fma_f64 v[28:29], v[14:15], v[28:29], v[30:31]
	;; [unrolled: 2-line block ×4, first 2 shown]
	v_add_f64 v[12:13], v[36:37], v[70:71]
	v_add_f64 v[14:15], v[40:41], v[74:75]
	;; [unrolled: 1-line block ×16, first 2 shown]
	s_cbranch_scc0 .LBB697_2
.LBB697_3:
	s_load_b32 s5, s[0:1], 0x40
	v_add_nc_u32_e32 v21, s12, v21
	v_add_nc_u32_e32 v0, s6, v20
	s_delay_alu instid0(VALU_DEP_1) | instskip(SKIP_1) | instid1(VALU_DEP_2)
	v_cmp_le_i32_e64 s0, v21, v0
	v_cmp_gt_i32_e32 vcc_lo, s4, v0
	s_and_b32 s0, s0, vcc_lo
	s_waitcnt lgkmcnt(0)
	v_mad_i64_i32 v[1:2], null, v21, s5, 0
	s_delay_alu instid0(VALU_DEP_1) | instskip(NEXT) | instid1(VALU_DEP_1)
	v_lshlrev_b64 v[1:2], 4, v[1:2]
	v_add_co_u32 v20, s1, s2, v1
	s_delay_alu instid0(VALU_DEP_1)
	v_add_co_ci_u32_e64 v22, s1, s3, v2, s1
	s_and_saveexec_b32 s1, s0
	s_cbranch_execz .LBB697_5
; %bb.4:
	v_ashrrev_i32_e32 v1, 31, v0
	s_delay_alu instid0(VALU_DEP_1) | instskip(NEXT) | instid1(VALU_DEP_1)
	v_lshlrev_b64 v[1:2], 4, v[0:1]
	v_add_co_u32 v1, s0, v20, v1
	s_delay_alu instid0(VALU_DEP_1)
	v_add_co_ci_u32_e64 v2, s0, v22, v2, s0
	global_load_b128 v[23:26], v[1:2], off
	s_waitcnt vmcnt(0)
	v_add_f64 v[16:17], v[16:17], v[23:24]
	v_add_f64 v[18:19], v[18:19], v[25:26]
	global_store_b128 v[1:2], v[16:19], off
.LBB697_5:
	s_or_b32 exec_lo, exec_lo, s1
	v_add_nc_u32_e32 v2, 16, v0
	s_delay_alu instid0(VALU_DEP_1) | instskip(SKIP_1) | instid1(VALU_DEP_1)
	v_cmp_le_i32_e64 s1, v21, v2
	v_cmp_gt_i32_e64 s0, s4, v2
	s_and_b32 s1, s1, s0
	s_delay_alu instid0(SALU_CYCLE_1)
	s_and_saveexec_b32 s4, s1
	s_cbranch_execz .LBB697_7
; %bb.6:
	v_ashrrev_i32_e32 v3, 31, v2
	s_delay_alu instid0(VALU_DEP_1) | instskip(NEXT) | instid1(VALU_DEP_1)
	v_lshlrev_b64 v[16:17], 4, v[2:3]
	v_add_co_u32 v23, s1, v20, v16
	s_delay_alu instid0(VALU_DEP_1)
	v_add_co_ci_u32_e64 v24, s1, v22, v17, s1
	global_load_b128 v[16:19], v[23:24], off
	s_waitcnt vmcnt(0)
	v_add_f64 v[14:15], v[14:15], v[16:17]
	v_add_f64 v[16:17], v[12:13], v[18:19]
	global_store_b128 v[23:24], v[14:17], off
.LBB697_7:
	s_or_b32 exec_lo, exec_lo, s4
	v_add_nc_u32_e32 v3, 16, v21
	s_delay_alu instid0(VALU_DEP_1) | instskip(SKIP_1) | instid1(VALU_DEP_2)
	v_mad_i64_i32 v[12:13], null, v3, s5, 0
	v_cmp_le_i32_e64 s1, v3, v0
	v_lshlrev_b64 v[12:13], 4, v[12:13]
	s_delay_alu instid0(VALU_DEP_1) | instskip(NEXT) | instid1(VALU_DEP_1)
	v_add_co_u32 v12, s2, s2, v12
	v_add_co_ci_u32_e64 v13, s2, s3, v13, s2
	s_delay_alu instid0(VALU_DEP_4) | instskip(NEXT) | instid1(SALU_CYCLE_1)
	s_and_b32 s2, s1, vcc_lo
	s_and_saveexec_b32 s1, s2
	s_cbranch_execz .LBB697_9
; %bb.8:
	v_ashrrev_i32_e32 v1, 31, v0
	s_delay_alu instid0(VALU_DEP_1) | instskip(NEXT) | instid1(VALU_DEP_1)
	v_lshlrev_b64 v[0:1], 4, v[0:1]
	v_add_co_u32 v0, vcc_lo, v12, v0
	s_delay_alu instid0(VALU_DEP_2)
	v_add_co_ci_u32_e32 v1, vcc_lo, v13, v1, vcc_lo
	global_load_b128 v[14:17], v[0:1], off
	s_waitcnt vmcnt(0)
	v_add_f64 v[14:15], v[10:11], v[14:15]
	v_add_f64 v[16:17], v[8:9], v[16:17]
	global_store_b128 v[0:1], v[14:17], off
.LBB697_9:
	s_or_b32 exec_lo, exec_lo, s1
	v_cmp_le_i32_e32 vcc_lo, v3, v2
	s_and_b32 s0, vcc_lo, s0
	s_delay_alu instid0(SALU_CYCLE_1)
	s_and_saveexec_b32 s1, s0
	s_cbranch_execz .LBB697_11
; %bb.10:
	v_ashrrev_i32_e32 v3, 31, v2
	s_delay_alu instid0(VALU_DEP_1) | instskip(NEXT) | instid1(VALU_DEP_1)
	v_lshlrev_b64 v[0:1], 4, v[2:3]
	v_add_co_u32 v8, vcc_lo, v12, v0
	s_delay_alu instid0(VALU_DEP_2)
	v_add_co_ci_u32_e32 v9, vcc_lo, v13, v1, vcc_lo
	global_load_b128 v[0:3], v[8:9], off
	s_waitcnt vmcnt(0)
	v_add_f64 v[0:1], v[6:7], v[0:1]
	v_add_f64 v[2:3], v[4:5], v[2:3]
	global_store_b128 v[8:9], v[0:3], off
.LBB697_11:
	s_nop 0
	s_sendmsg sendmsg(MSG_DEALLOC_VGPRS)
	s_endpgm
	.section	.rodata,"a",@progbits
	.p2align	6, 0x0
	.amdhsa_kernel _ZL37rocblas_syrkx_herkx_restricted_kernelIi19rocblas_complex_numIdELi16ELi32ELi8ELi1ELi1ELb0ELc78ELc76EKPKS1_KPS1_EviT_PT9_S7_lS9_S7_lPT10_S7_li
		.amdhsa_group_segment_fixed_size 8192
		.amdhsa_private_segment_fixed_size 0
		.amdhsa_kernarg_size 84
		.amdhsa_user_sgpr_count 13
		.amdhsa_user_sgpr_dispatch_ptr 0
		.amdhsa_user_sgpr_queue_ptr 0
		.amdhsa_user_sgpr_kernarg_segment_ptr 1
		.amdhsa_user_sgpr_dispatch_id 0
		.amdhsa_user_sgpr_private_segment_size 0
		.amdhsa_wavefront_size32 1
		.amdhsa_uses_dynamic_stack 0
		.amdhsa_enable_private_segment 0
		.amdhsa_system_sgpr_workgroup_id_x 1
		.amdhsa_system_sgpr_workgroup_id_y 1
		.amdhsa_system_sgpr_workgroup_id_z 1
		.amdhsa_system_sgpr_workgroup_info 0
		.amdhsa_system_vgpr_workitem_id 1
		.amdhsa_next_free_vgpr 118
		.amdhsa_next_free_sgpr 20
		.amdhsa_reserve_vcc 1
		.amdhsa_float_round_mode_32 0
		.amdhsa_float_round_mode_16_64 0
		.amdhsa_float_denorm_mode_32 3
		.amdhsa_float_denorm_mode_16_64 3
		.amdhsa_dx10_clamp 1
		.amdhsa_ieee_mode 1
		.amdhsa_fp16_overflow 0
		.amdhsa_workgroup_processor_mode 1
		.amdhsa_memory_ordered 1
		.amdhsa_forward_progress 0
		.amdhsa_shared_vgpr_count 0
		.amdhsa_exception_fp_ieee_invalid_op 0
		.amdhsa_exception_fp_denorm_src 0
		.amdhsa_exception_fp_ieee_div_zero 0
		.amdhsa_exception_fp_ieee_overflow 0
		.amdhsa_exception_fp_ieee_underflow 0
		.amdhsa_exception_fp_ieee_inexact 0
		.amdhsa_exception_int_div_zero 0
	.end_amdhsa_kernel
	.section	.text._ZL37rocblas_syrkx_herkx_restricted_kernelIi19rocblas_complex_numIdELi16ELi32ELi8ELi1ELi1ELb0ELc78ELc76EKPKS1_KPS1_EviT_PT9_S7_lS9_S7_lPT10_S7_li,"axG",@progbits,_ZL37rocblas_syrkx_herkx_restricted_kernelIi19rocblas_complex_numIdELi16ELi32ELi8ELi1ELi1ELb0ELc78ELc76EKPKS1_KPS1_EviT_PT9_S7_lS9_S7_lPT10_S7_li,comdat
.Lfunc_end697:
	.size	_ZL37rocblas_syrkx_herkx_restricted_kernelIi19rocblas_complex_numIdELi16ELi32ELi8ELi1ELi1ELb0ELc78ELc76EKPKS1_KPS1_EviT_PT9_S7_lS9_S7_lPT10_S7_li, .Lfunc_end697-_ZL37rocblas_syrkx_herkx_restricted_kernelIi19rocblas_complex_numIdELi16ELi32ELi8ELi1ELi1ELb0ELc78ELc76EKPKS1_KPS1_EviT_PT9_S7_lS9_S7_lPT10_S7_li
                                        ; -- End function
	.section	.AMDGPU.csdata,"",@progbits
; Kernel info:
; codeLenInByte = 2972
; NumSgprs: 22
; NumVgprs: 118
; ScratchSize: 0
; MemoryBound: 0
; FloatMode: 240
; IeeeMode: 1
; LDSByteSize: 8192 bytes/workgroup (compile time only)
; SGPRBlocks: 2
; VGPRBlocks: 14
; NumSGPRsForWavesPerEU: 22
; NumVGPRsForWavesPerEU: 118
; Occupancy: 12
; WaveLimiterHint : 1
; COMPUTE_PGM_RSRC2:SCRATCH_EN: 0
; COMPUTE_PGM_RSRC2:USER_SGPR: 13
; COMPUTE_PGM_RSRC2:TRAP_HANDLER: 0
; COMPUTE_PGM_RSRC2:TGID_X_EN: 1
; COMPUTE_PGM_RSRC2:TGID_Y_EN: 1
; COMPUTE_PGM_RSRC2:TGID_Z_EN: 1
; COMPUTE_PGM_RSRC2:TIDIG_COMP_CNT: 1
	.section	.text._ZL37rocblas_syrkx_herkx_restricted_kernelIi19rocblas_complex_numIdELi16ELi32ELi8ELi1ELi1ELb0ELc84ELc85EKPKS1_KPS1_EviT_PT9_S7_lS9_S7_lPT10_S7_li,"axG",@progbits,_ZL37rocblas_syrkx_herkx_restricted_kernelIi19rocblas_complex_numIdELi16ELi32ELi8ELi1ELi1ELb0ELc84ELc85EKPKS1_KPS1_EviT_PT9_S7_lS9_S7_lPT10_S7_li,comdat
	.globl	_ZL37rocblas_syrkx_herkx_restricted_kernelIi19rocblas_complex_numIdELi16ELi32ELi8ELi1ELi1ELb0ELc84ELc85EKPKS1_KPS1_EviT_PT9_S7_lS9_S7_lPT10_S7_li ; -- Begin function _ZL37rocblas_syrkx_herkx_restricted_kernelIi19rocblas_complex_numIdELi16ELi32ELi8ELi1ELi1ELb0ELc84ELc85EKPKS1_KPS1_EviT_PT9_S7_lS9_S7_lPT10_S7_li
	.p2align	8
	.type	_ZL37rocblas_syrkx_herkx_restricted_kernelIi19rocblas_complex_numIdELi16ELi32ELi8ELi1ELi1ELb0ELc84ELc85EKPKS1_KPS1_EviT_PT9_S7_lS9_S7_lPT10_S7_li,@function
_ZL37rocblas_syrkx_herkx_restricted_kernelIi19rocblas_complex_numIdELi16ELi32ELi8ELi1ELi1ELb0ELc84ELc85EKPKS1_KPS1_EviT_PT9_S7_lS9_S7_lPT10_S7_li: ; @_ZL37rocblas_syrkx_herkx_restricted_kernelIi19rocblas_complex_numIdELi16ELi32ELi8ELi1ELi1ELb0ELc84ELc85EKPKS1_KPS1_EviT_PT9_S7_lS9_S7_lPT10_S7_li
; %bb.0:
	s_clause 0x1
	s_load_b64 s[4:5], s[0:1], 0x38
	s_load_b64 s[2:3], s[0:1], 0x0
	s_mov_b32 s6, s15
	s_mov_b32 s7, 0
	v_mov_b32_e32 v16, 0
	s_lshl_b64 s[8:9], s[6:7], 3
	v_dual_mov_b32 v17, 0 :: v_dual_and_b32 v20, 0x3ff, v0
	v_bfe_u32 v21, v0, 10, 10
	s_delay_alu instid0(VALU_DEP_3) | instskip(NEXT) | instid1(VALU_DEP_3)
	v_mov_b32_e32 v14, v16
	v_dual_mov_b32 v12, v16 :: v_dual_mov_b32 v13, v17
	v_dual_mov_b32 v19, v17 :: v_dual_mov_b32 v18, v16
	;; [unrolled: 1-line block ×5, first 2 shown]
	v_mov_b32_e32 v7, v17
	s_waitcnt lgkmcnt(0)
	s_add_u32 s4, s4, s8
	s_addc_u32 s5, s5, s9
	v_dual_mov_b32 v4, v16 :: v_dual_mov_b32 v5, v17
	s_load_b64 s[4:5], s[4:5], 0x0
	s_lshl_b32 s6, s13, 5
	s_lshl_b32 s10, s14, 5
	s_cmp_lt_i32 s3, 1
	s_cbranch_scc1 .LBB698_3
; %bb.1:
	s_clause 0x3
	s_load_b64 s[12:13], s[0:1], 0x8
	s_load_b64 s[14:15], s[0:1], 0x20
	s_load_b32 s11, s[0:1], 0x10
	s_load_b32 s16, s[0:1], 0x28
	v_lshl_add_u32 v2, v21, 4, v20
	v_dual_mov_b32 v1, 0 :: v_dual_and_b32 v0, 7, v20
	v_mov_b32_e32 v4, 0
	v_dual_mov_b32 v5, 0 :: v_dual_lshlrev_b32 v22, 4, v20
	s_delay_alu instid0(VALU_DEP_4)
	v_and_b32_e32 v7, 31, v2
	v_lshrrev_b32_e32 v6, 3, v2
	v_lshrrev_b32_e32 v2, 5, v2
	v_mov_b32_e32 v3, v1
	v_lshl_add_u32 v23, v21, 7, 0x1000
	v_add_nc_u32_e32 v10, s6, v7
	v_dual_mov_b32 v15, v5 :: v_dual_add_nc_u32 v12, s10, v6
	v_dual_mov_b32 v14, v4 :: v_dual_mov_b32 v19, v5
	v_mov_b32_e32 v18, v4
	s_waitcnt lgkmcnt(0)
	s_add_u32 s12, s12, s8
	s_addc_u32 s13, s13, s9
	s_add_u32 s8, s14, s8
	s_load_b64 s[12:13], s[12:13], 0x0
	s_addc_u32 s9, s15, s9
	v_mad_i64_i32 v[8:9], null, s11, v10, v[2:3]
	s_load_b64 s[8:9], s[8:9], 0x0
	v_lshlrev_b32_e32 v3, 4, v0
	v_mad_i64_i32 v[10:11], null, s16, v12, v[0:1]
	v_dual_mov_b32 v17, v5 :: v_dual_lshlrev_b32 v12, 4, v7
	v_mov_b32_e32 v16, v4
	s_delay_alu instid0(VALU_DEP_4) | instskip(SKIP_3) | instid1(VALU_DEP_4)
	v_lshl_or_b32 v3, v6, 7, v3
	v_lshlrev_b64 v[0:1], 4, v[8:9]
	v_dual_mov_b32 v9, v5 :: v_dual_mov_b32 v8, v4
	v_lshl_or_b32 v24, v2, 9, v12
	v_add_nc_u32_e32 v25, 0x1000, v3
	v_lshlrev_b64 v[2:3], 4, v[10:11]
	v_dual_mov_b32 v7, v5 :: v_dual_mov_b32 v6, v4
	s_waitcnt lgkmcnt(0)
	v_add_co_u32 v0, vcc_lo, v0, s12
	v_add_co_ci_u32_e32 v1, vcc_lo, s13, v1, vcc_lo
	s_delay_alu instid0(VALU_DEP_4) | instskip(SKIP_1) | instid1(VALU_DEP_4)
	v_add_co_u32 v2, vcc_lo, v2, s8
	v_add_co_ci_u32_e32 v3, vcc_lo, s9, v3, vcc_lo
	v_add_co_u32 v0, vcc_lo, v0, 8
	s_delay_alu instid0(VALU_DEP_4) | instskip(NEXT) | instid1(VALU_DEP_4)
	v_add_co_ci_u32_e32 v1, vcc_lo, 0, v1, vcc_lo
	v_add_co_u32 v2, vcc_lo, v2, 8
	s_delay_alu instid0(VALU_DEP_4)
	v_add_co_ci_u32_e32 v3, vcc_lo, 0, v3, vcc_lo
	v_dual_mov_b32 v11, v5 :: v_dual_mov_b32 v10, v4
	v_dual_mov_b32 v13, v5 :: v_dual_mov_b32 v12, v4
.LBB698_2:                              ; =>This Inner Loop Header: Depth=1
	global_load_b128 v[26:29], v[0:1], off offset:-8
	global_load_b128 v[30:33], v[2:3], off offset:-8
	v_add_co_u32 v0, vcc_lo, 0x80, v0
	v_add_co_ci_u32_e32 v1, vcc_lo, 0, v1, vcc_lo
	v_add_co_u32 v2, vcc_lo, 0x80, v2
	v_add_co_ci_u32_e32 v3, vcc_lo, 0, v3, vcc_lo
	s_add_i32 s7, s7, 8
	s_waitcnt vmcnt(1)
	ds_store_b128 v24, v[26:29]
	s_waitcnt vmcnt(0)
	ds_store_b128 v25, v[30:33]
	s_waitcnt lgkmcnt(0)
	s_barrier
	buffer_gl0_inv
	ds_load_b128 v[26:29], v23
	ds_load_b128 v[30:33], v22
	ds_load_b128 v[34:37], v22 offset:256
	ds_load_b128 v[38:41], v23 offset:2048
	ds_load_b128 v[42:45], v23 offset:16
	ds_load_b128 v[46:49], v23 offset:2064
	ds_load_b128 v[50:53], v22 offset:512
	ds_load_b128 v[54:57], v22 offset:768
	ds_load_b128 v[58:61], v23 offset:32
	ds_load_b128 v[62:65], v23 offset:48
	ds_load_b128 v[66:69], v22 offset:1024
	ds_load_b128 v[70:73], v22 offset:1280
	ds_load_b128 v[74:77], v23 offset:2080
	ds_load_b128 v[78:81], v23 offset:2096
	ds_load_b128 v[82:85], v22 offset:1536
	s_cmp_ge_i32 s7, s3
	s_waitcnt lgkmcnt(13)
	v_mul_f64 v[86:87], v[28:29], v[32:33]
	v_mul_f64 v[88:89], v[26:27], v[32:33]
	s_waitcnt lgkmcnt(12)
	v_mul_f64 v[90:91], v[28:29], v[36:37]
	v_mul_f64 v[92:93], v[26:27], v[36:37]
	;; [unrolled: 3-line block ×3, first 2 shown]
	v_mul_f64 v[96:97], v[40:41], v[36:37]
	v_mul_f64 v[36:37], v[38:39], v[36:37]
	s_waitcnt lgkmcnt(8)
	v_mul_f64 v[98:99], v[44:45], v[52:53]
	v_mul_f64 v[100:101], v[42:43], v[52:53]
	s_waitcnt lgkmcnt(7)
	v_mul_f64 v[102:103], v[44:45], v[56:57]
	v_mul_f64 v[104:105], v[42:43], v[56:57]
	;; [unrolled: 1-line block ×6, first 2 shown]
	s_waitcnt lgkmcnt(3)
	v_mul_f64 v[112:113], v[58:59], v[72:73]
	s_waitcnt lgkmcnt(2)
	v_mul_f64 v[114:115], v[76:77], v[68:69]
	v_mul_f64 v[116:117], v[76:77], v[72:73]
	v_fma_f64 v[86:87], v[26:27], v[30:31], -v[86:87]
	v_fma_f64 v[88:89], v[28:29], v[30:31], v[88:89]
	v_fma_f64 v[90:91], v[26:27], v[34:35], -v[90:91]
	v_fma_f64 v[92:93], v[28:29], v[34:35], v[92:93]
	;; [unrolled: 2-line block ×4, first 2 shown]
	v_mul_f64 v[36:37], v[60:61], v[68:69]
	v_mul_f64 v[40:41], v[58:59], v[68:69]
	;; [unrolled: 1-line block ×5, first 2 shown]
	v_fma_f64 v[98:99], v[42:43], v[50:51], -v[98:99]
	v_fma_f64 v[100:101], v[44:45], v[50:51], v[100:101]
	v_fma_f64 v[42:43], v[42:43], v[54:55], -v[102:103]
	v_fma_f64 v[44:45], v[44:45], v[54:55], v[104:105]
	;; [unrolled: 2-line block ×4, first 2 shown]
	ds_load_b128 v[26:29], v22 offset:1792
	ds_load_b128 v[30:33], v22 offset:2048
	s_waitcnt lgkmcnt(2)
	v_mul_f64 v[56:57], v[64:65], v[84:85]
	v_add_f64 v[16:17], v[16:17], v[86:87]
	v_add_f64 v[18:19], v[18:19], v[88:89]
	;; [unrolled: 1-line block ×8, first 2 shown]
	v_mul_f64 v[86:87], v[62:63], v[84:85]
	s_waitcnt lgkmcnt(1)
	v_mul_f64 v[88:89], v[64:65], v[28:29]
	v_mul_f64 v[90:91], v[62:63], v[28:29]
	;; [unrolled: 1-line block ×6, first 2 shown]
	v_fma_f64 v[104:105], v[58:59], v[66:67], -v[36:37]
	v_fma_f64 v[106:107], v[60:61], v[66:67], v[40:41]
	v_fma_f64 v[58:59], v[58:59], v[70:71], -v[96:97]
	v_fma_f64 v[60:61], v[60:61], v[70:71], v[112:113]
	;; [unrolled: 2-line block ×4, first 2 shown]
	ds_load_b128 v[4:7], v22 offset:2304
	ds_load_b128 v[8:11], v23 offset:64
	v_fma_f64 v[56:57], v[62:63], v[82:83], -v[56:57]
	v_add_f64 v[72:73], v[16:17], v[98:99]
	v_add_f64 v[74:75], v[18:19], v[100:101]
	;; [unrolled: 1-line block ×8, first 2 shown]
	ds_load_b128 v[12:15], v23 offset:2112
	ds_load_b128 v[16:19], v23 offset:80
	;; [unrolled: 1-line block ×4, first 2 shown]
	s_waitcnt lgkmcnt(4)
	v_mul_f64 v[54:55], v[10:11], v[32:33]
	v_mul_f64 v[76:77], v[8:9], v[32:33]
	;; [unrolled: 1-line block ×4, first 2 shown]
	v_fma_f64 v[86:87], v[64:65], v[82:83], v[86:87]
	v_fma_f64 v[62:63], v[62:63], v[26:27], -v[88:89]
	v_fma_f64 v[64:65], v[64:65], v[26:27], v[90:91]
	v_fma_f64 v[88:89], v[78:79], v[82:83], -v[92:93]
	v_fma_f64 v[82:83], v[80:81], v[82:83], v[84:85]
	v_fma_f64 v[78:79], v[78:79], v[26:27], -v[94:95]
	v_fma_f64 v[80:81], v[80:81], v[26:27], v[28:29]
	s_waitcnt lgkmcnt(3)
	v_mul_f64 v[102:103], v[14:15], v[32:33]
	v_mul_f64 v[32:33], v[12:13], v[32:33]
	v_mul_f64 v[108:109], v[14:15], v[6:7]
	v_mul_f64 v[6:7], v[12:13], v[6:7]
	s_waitcnt lgkmcnt(0)
	v_mul_f64 v[90:91], v[18:19], v[40:41]
	v_mul_f64 v[92:93], v[16:17], v[40:41]
	v_add_f64 v[72:73], v[72:73], v[104:105]
	v_add_f64 v[74:75], v[74:75], v[106:107]
	;; [unrolled: 1-line block ×8, first 2 shown]
	ds_load_b128 v[26:29], v22 offset:2816
	ds_load_b128 v[42:45], v22 offset:3072
	;; [unrolled: 1-line block ×4, first 2 shown]
	v_mul_f64 v[104:105], v[36:37], v[40:41]
	v_mul_f64 v[40:41], v[34:35], v[40:41]
	v_fma_f64 v[54:55], v[8:9], v[30:31], -v[54:55]
	v_fma_f64 v[76:77], v[10:11], v[30:31], v[76:77]
	v_fma_f64 v[98:99], v[8:9], v[4:5], -v[98:99]
	v_fma_f64 v[100:101], v[10:11], v[4:5], v[100:101]
	s_waitcnt lgkmcnt(3)
	v_mul_f64 v[94:95], v[18:19], v[28:29]
	v_mul_f64 v[96:97], v[16:17], v[28:29]
	;; [unrolled: 1-line block ×4, first 2 shown]
	v_fma_f64 v[102:103], v[12:13], v[30:31], -v[102:103]
	v_fma_f64 v[32:33], v[14:15], v[30:31], v[32:33]
	v_fma_f64 v[108:109], v[12:13], v[4:5], -v[108:109]
	v_fma_f64 v[112:113], v[14:15], v[4:5], v[6:7]
	ds_load_b128 v[4:7], v23 offset:2144
	ds_load_b128 v[8:11], v23 offset:112
	ds_load_b128 v[12:15], v23 offset:2160
	ds_load_b128 v[28:31], v22 offset:3584
	v_add_f64 v[56:57], v[72:73], v[56:57]
	v_add_f64 v[72:73], v[74:75], v[86:87]
	;; [unrolled: 1-line block ×8, first 2 shown]
	s_waitcnt lgkmcnt(4)
	v_mul_f64 v[70:71], v[52:53], v[44:45]
	v_mul_f64 v[74:75], v[50:51], v[44:45]
	;; [unrolled: 1-line block ×4, first 2 shown]
	s_waitcnt lgkmcnt(3)
	v_mul_f64 v[82:83], v[6:7], v[44:45]
	v_mul_f64 v[44:45], v[4:5], v[44:45]
	;; [unrolled: 1-line block ×4, first 2 shown]
	v_fma_f64 v[86:87], v[16:17], v[38:39], -v[90:91]
	v_fma_f64 v[88:89], v[18:19], v[38:39], v[92:93]
	v_fma_f64 v[90:91], v[16:17], v[26:27], -v[94:95]
	v_fma_f64 v[92:93], v[18:19], v[26:27], v[96:97]
	;; [unrolled: 2-line block ×4, first 2 shown]
	ds_load_b128 v[16:19], v22 offset:3840
	s_waitcnt lgkmcnt(0)
	s_barrier
	buffer_gl0_inv
	v_add_f64 v[36:37], v[56:57], v[54:55]
	v_add_f64 v[40:41], v[72:73], v[76:77]
	;; [unrolled: 1-line block ×8, first 2 shown]
	v_mul_f64 v[64:65], v[10:11], v[30:31]
	v_mul_f64 v[66:67], v[8:9], v[30:31]
	;; [unrolled: 1-line block ×4, first 2 shown]
	v_fma_f64 v[70:71], v[50:51], v[42:43], -v[70:71]
	v_mul_f64 v[68:69], v[10:11], v[18:19]
	v_mul_f64 v[72:73], v[8:9], v[18:19]
	;; [unrolled: 1-line block ×4, first 2 shown]
	v_fma_f64 v[74:75], v[52:53], v[42:43], v[74:75]
	v_fma_f64 v[50:51], v[50:51], v[46:47], -v[78:79]
	v_fma_f64 v[52:53], v[52:53], v[46:47], v[80:81]
	v_fma_f64 v[78:79], v[4:5], v[42:43], -v[82:83]
	;; [unrolled: 2-line block ×3, first 2 shown]
	v_fma_f64 v[6:7], v[6:7], v[46:47], v[48:49]
	v_add_f64 v[36:37], v[36:37], v[86:87]
	v_add_f64 v[40:41], v[40:41], v[88:89]
	;; [unrolled: 1-line block ×8, first 2 shown]
	v_fma_f64 v[38:39], v[8:9], v[28:29], -v[64:65]
	v_fma_f64 v[54:55], v[10:11], v[28:29], v[66:67]
	v_fma_f64 v[56:57], v[12:13], v[28:29], -v[76:77]
	v_fma_f64 v[28:29], v[14:15], v[28:29], v[30:31]
	;; [unrolled: 2-line block ×4, first 2 shown]
	v_add_f64 v[12:13], v[36:37], v[70:71]
	v_add_f64 v[14:15], v[40:41], v[74:75]
	v_add_f64 v[36:37], v[44:45], v[50:51]
	v_add_f64 v[40:41], v[46:47], v[52:53]
	v_add_f64 v[44:45], v[48:49], v[78:79]
	v_add_f64 v[32:33], v[32:33], v[42:43]
	v_add_f64 v[4:5], v[34:35], v[4:5]
	v_add_f64 v[26:27], v[26:27], v[6:7]
	v_add_f64 v[16:17], v[12:13], v[38:39]
	v_add_f64 v[18:19], v[14:15], v[54:55]
	v_add_f64 v[14:15], v[36:37], v[8:9]
	v_add_f64 v[12:13], v[40:41], v[10:11]
	v_add_f64 v[10:11], v[44:45], v[56:57]
	v_add_f64 v[8:9], v[32:33], v[28:29]
	v_add_f64 v[6:7], v[4:5], v[30:31]
	v_add_f64 v[4:5], v[26:27], v[58:59]
	s_cbranch_scc0 .LBB698_2
.LBB698_3:
	s_load_b32 s3, s[0:1], 0x40
	v_add_nc_u32_e32 v21, s10, v21
	v_add_nc_u32_e32 v0, s6, v20
	s_delay_alu instid0(VALU_DEP_2) | instskip(NEXT) | instid1(VALU_DEP_2)
	v_cmp_gt_i32_e32 vcc_lo, s2, v21
	v_cmp_le_i32_e64 s0, v0, v21
	s_delay_alu instid0(VALU_DEP_1) | instskip(SKIP_2) | instid1(VALU_DEP_1)
	s_and_b32 s0, vcc_lo, s0
	s_waitcnt lgkmcnt(0)
	v_mad_i64_i32 v[1:2], null, v21, s3, 0
	v_lshlrev_b64 v[1:2], 4, v[1:2]
	s_delay_alu instid0(VALU_DEP_1) | instskip(NEXT) | instid1(VALU_DEP_1)
	v_add_co_u32 v20, s1, s4, v1
	v_add_co_ci_u32_e64 v22, s1, s5, v2, s1
	s_and_saveexec_b32 s1, s0
	s_cbranch_execz .LBB698_5
; %bb.4:
	v_ashrrev_i32_e32 v1, 31, v0
	s_delay_alu instid0(VALU_DEP_1) | instskip(NEXT) | instid1(VALU_DEP_1)
	v_lshlrev_b64 v[1:2], 4, v[0:1]
	v_add_co_u32 v1, s0, v20, v1
	s_delay_alu instid0(VALU_DEP_1)
	v_add_co_ci_u32_e64 v2, s0, v22, v2, s0
	global_load_b128 v[23:26], v[1:2], off
	s_waitcnt vmcnt(0)
	v_add_f64 v[16:17], v[16:17], v[23:24]
	v_add_f64 v[18:19], v[18:19], v[25:26]
	global_store_b128 v[1:2], v[16:19], off
.LBB698_5:
	s_or_b32 exec_lo, exec_lo, s1
	v_add_nc_u32_e32 v2, 16, v0
	s_delay_alu instid0(VALU_DEP_1) | instskip(NEXT) | instid1(VALU_DEP_1)
	v_cmp_le_i32_e64 s0, v2, v21
	s_and_b32 s1, vcc_lo, s0
	s_delay_alu instid0(SALU_CYCLE_1)
	s_and_saveexec_b32 s0, s1
	s_cbranch_execz .LBB698_7
; %bb.6:
	v_ashrrev_i32_e32 v3, 31, v2
	s_delay_alu instid0(VALU_DEP_1) | instskip(NEXT) | instid1(VALU_DEP_1)
	v_lshlrev_b64 v[16:17], 4, v[2:3]
	v_add_co_u32 v23, vcc_lo, v20, v16
	s_delay_alu instid0(VALU_DEP_2)
	v_add_co_ci_u32_e32 v24, vcc_lo, v22, v17, vcc_lo
	global_load_b128 v[16:19], v[23:24], off
	s_waitcnt vmcnt(0)
	v_add_f64 v[14:15], v[14:15], v[16:17]
	v_add_f64 v[16:17], v[12:13], v[18:19]
	global_store_b128 v[23:24], v[14:17], off
.LBB698_7:
	s_or_b32 exec_lo, exec_lo, s0
	v_add_nc_u32_e32 v3, 16, v21
	s_delay_alu instid0(VALU_DEP_1) | instskip(SKIP_2) | instid1(VALU_DEP_1)
	v_mad_i64_i32 v[12:13], null, v3, s3, 0
	v_cmp_gt_i32_e32 vcc_lo, s2, v3
	v_cmp_le_i32_e64 s0, v0, v3
	s_and_b32 s0, vcc_lo, s0
	s_delay_alu instid0(VALU_DEP_3) | instskip(NEXT) | instid1(VALU_DEP_1)
	v_lshlrev_b64 v[12:13], 4, v[12:13]
	v_add_co_u32 v12, s1, s4, v12
	s_delay_alu instid0(VALU_DEP_1)
	v_add_co_ci_u32_e64 v13, s1, s5, v13, s1
	s_and_saveexec_b32 s1, s0
	s_cbranch_execz .LBB698_9
; %bb.8:
	v_ashrrev_i32_e32 v1, 31, v0
	s_delay_alu instid0(VALU_DEP_1) | instskip(NEXT) | instid1(VALU_DEP_1)
	v_lshlrev_b64 v[0:1], 4, v[0:1]
	v_add_co_u32 v0, s0, v12, v0
	s_delay_alu instid0(VALU_DEP_1)
	v_add_co_ci_u32_e64 v1, s0, v13, v1, s0
	global_load_b128 v[14:17], v[0:1], off
	s_waitcnt vmcnt(0)
	v_add_f64 v[14:15], v[10:11], v[14:15]
	v_add_f64 v[16:17], v[8:9], v[16:17]
	global_store_b128 v[0:1], v[14:17], off
.LBB698_9:
	s_or_b32 exec_lo, exec_lo, s1
	v_cmp_le_i32_e64 s0, v2, v3
	s_delay_alu instid0(VALU_DEP_1) | instskip(NEXT) | instid1(SALU_CYCLE_1)
	s_and_b32 s0, vcc_lo, s0
	s_and_saveexec_b32 s1, s0
	s_cbranch_execz .LBB698_11
; %bb.10:
	v_ashrrev_i32_e32 v3, 31, v2
	s_delay_alu instid0(VALU_DEP_1) | instskip(NEXT) | instid1(VALU_DEP_1)
	v_lshlrev_b64 v[0:1], 4, v[2:3]
	v_add_co_u32 v8, vcc_lo, v12, v0
	s_delay_alu instid0(VALU_DEP_2)
	v_add_co_ci_u32_e32 v9, vcc_lo, v13, v1, vcc_lo
	global_load_b128 v[0:3], v[8:9], off
	s_waitcnt vmcnt(0)
	v_add_f64 v[0:1], v[6:7], v[0:1]
	v_add_f64 v[2:3], v[4:5], v[2:3]
	global_store_b128 v[8:9], v[0:3], off
.LBB698_11:
	s_nop 0
	s_sendmsg sendmsg(MSG_DEALLOC_VGPRS)
	s_endpgm
	.section	.rodata,"a",@progbits
	.p2align	6, 0x0
	.amdhsa_kernel _ZL37rocblas_syrkx_herkx_restricted_kernelIi19rocblas_complex_numIdELi16ELi32ELi8ELi1ELi1ELb0ELc84ELc85EKPKS1_KPS1_EviT_PT9_S7_lS9_S7_lPT10_S7_li
		.amdhsa_group_segment_fixed_size 8192
		.amdhsa_private_segment_fixed_size 0
		.amdhsa_kernarg_size 84
		.amdhsa_user_sgpr_count 13
		.amdhsa_user_sgpr_dispatch_ptr 0
		.amdhsa_user_sgpr_queue_ptr 0
		.amdhsa_user_sgpr_kernarg_segment_ptr 1
		.amdhsa_user_sgpr_dispatch_id 0
		.amdhsa_user_sgpr_private_segment_size 0
		.amdhsa_wavefront_size32 1
		.amdhsa_uses_dynamic_stack 0
		.amdhsa_enable_private_segment 0
		.amdhsa_system_sgpr_workgroup_id_x 1
		.amdhsa_system_sgpr_workgroup_id_y 1
		.amdhsa_system_sgpr_workgroup_id_z 1
		.amdhsa_system_sgpr_workgroup_info 0
		.amdhsa_system_vgpr_workitem_id 1
		.amdhsa_next_free_vgpr 118
		.amdhsa_next_free_sgpr 17
		.amdhsa_reserve_vcc 1
		.amdhsa_float_round_mode_32 0
		.amdhsa_float_round_mode_16_64 0
		.amdhsa_float_denorm_mode_32 3
		.amdhsa_float_denorm_mode_16_64 3
		.amdhsa_dx10_clamp 1
		.amdhsa_ieee_mode 1
		.amdhsa_fp16_overflow 0
		.amdhsa_workgroup_processor_mode 1
		.amdhsa_memory_ordered 1
		.amdhsa_forward_progress 0
		.amdhsa_shared_vgpr_count 0
		.amdhsa_exception_fp_ieee_invalid_op 0
		.amdhsa_exception_fp_denorm_src 0
		.amdhsa_exception_fp_ieee_div_zero 0
		.amdhsa_exception_fp_ieee_overflow 0
		.amdhsa_exception_fp_ieee_underflow 0
		.amdhsa_exception_fp_ieee_inexact 0
		.amdhsa_exception_int_div_zero 0
	.end_amdhsa_kernel
	.section	.text._ZL37rocblas_syrkx_herkx_restricted_kernelIi19rocblas_complex_numIdELi16ELi32ELi8ELi1ELi1ELb0ELc84ELc85EKPKS1_KPS1_EviT_PT9_S7_lS9_S7_lPT10_S7_li,"axG",@progbits,_ZL37rocblas_syrkx_herkx_restricted_kernelIi19rocblas_complex_numIdELi16ELi32ELi8ELi1ELi1ELb0ELc84ELc85EKPKS1_KPS1_EviT_PT9_S7_lS9_S7_lPT10_S7_li,comdat
.Lfunc_end698:
	.size	_ZL37rocblas_syrkx_herkx_restricted_kernelIi19rocblas_complex_numIdELi16ELi32ELi8ELi1ELi1ELb0ELc84ELc85EKPKS1_KPS1_EviT_PT9_S7_lS9_S7_lPT10_S7_li, .Lfunc_end698-_ZL37rocblas_syrkx_herkx_restricted_kernelIi19rocblas_complex_numIdELi16ELi32ELi8ELi1ELi1ELb0ELc84ELc85EKPKS1_KPS1_EviT_PT9_S7_lS9_S7_lPT10_S7_li
                                        ; -- End function
	.section	.AMDGPU.csdata,"",@progbits
; Kernel info:
; codeLenInByte = 2968
; NumSgprs: 19
; NumVgprs: 118
; ScratchSize: 0
; MemoryBound: 0
; FloatMode: 240
; IeeeMode: 1
; LDSByteSize: 8192 bytes/workgroup (compile time only)
; SGPRBlocks: 2
; VGPRBlocks: 14
; NumSGPRsForWavesPerEU: 19
; NumVGPRsForWavesPerEU: 118
; Occupancy: 12
; WaveLimiterHint : 1
; COMPUTE_PGM_RSRC2:SCRATCH_EN: 0
; COMPUTE_PGM_RSRC2:USER_SGPR: 13
; COMPUTE_PGM_RSRC2:TRAP_HANDLER: 0
; COMPUTE_PGM_RSRC2:TGID_X_EN: 1
; COMPUTE_PGM_RSRC2:TGID_Y_EN: 1
; COMPUTE_PGM_RSRC2:TGID_Z_EN: 1
; COMPUTE_PGM_RSRC2:TIDIG_COMP_CNT: 1
	.section	.text._ZL37rocblas_syrkx_herkx_restricted_kernelIi19rocblas_complex_numIdELi16ELi32ELi8ELi1ELi1ELb0ELc67ELc85EKPKS1_KPS1_EviT_PT9_S7_lS9_S7_lPT10_S7_li,"axG",@progbits,_ZL37rocblas_syrkx_herkx_restricted_kernelIi19rocblas_complex_numIdELi16ELi32ELi8ELi1ELi1ELb0ELc67ELc85EKPKS1_KPS1_EviT_PT9_S7_lS9_S7_lPT10_S7_li,comdat
	.globl	_ZL37rocblas_syrkx_herkx_restricted_kernelIi19rocblas_complex_numIdELi16ELi32ELi8ELi1ELi1ELb0ELc67ELc85EKPKS1_KPS1_EviT_PT9_S7_lS9_S7_lPT10_S7_li ; -- Begin function _ZL37rocblas_syrkx_herkx_restricted_kernelIi19rocblas_complex_numIdELi16ELi32ELi8ELi1ELi1ELb0ELc67ELc85EKPKS1_KPS1_EviT_PT9_S7_lS9_S7_lPT10_S7_li
	.p2align	8
	.type	_ZL37rocblas_syrkx_herkx_restricted_kernelIi19rocblas_complex_numIdELi16ELi32ELi8ELi1ELi1ELb0ELc67ELc85EKPKS1_KPS1_EviT_PT9_S7_lS9_S7_lPT10_S7_li,@function
_ZL37rocblas_syrkx_herkx_restricted_kernelIi19rocblas_complex_numIdELi16ELi32ELi8ELi1ELi1ELb0ELc67ELc85EKPKS1_KPS1_EviT_PT9_S7_lS9_S7_lPT10_S7_li: ; @_ZL37rocblas_syrkx_herkx_restricted_kernelIi19rocblas_complex_numIdELi16ELi32ELi8ELi1ELi1ELb0ELc67ELc85EKPKS1_KPS1_EviT_PT9_S7_lS9_S7_lPT10_S7_li
; %bb.0:
	s_clause 0x1
	s_load_b64 s[4:5], s[0:1], 0x38
	s_load_b64 s[2:3], s[0:1], 0x0
	s_mov_b32 s6, s15
	s_mov_b32 s7, 0
	v_mov_b32_e32 v16, 0
	s_lshl_b64 s[8:9], s[6:7], 3
	v_dual_mov_b32 v17, 0 :: v_dual_and_b32 v20, 0x3ff, v0
	v_bfe_u32 v21, v0, 10, 10
	s_delay_alu instid0(VALU_DEP_3) | instskip(NEXT) | instid1(VALU_DEP_3)
	v_mov_b32_e32 v14, v16
	v_dual_mov_b32 v12, v16 :: v_dual_mov_b32 v13, v17
	v_dual_mov_b32 v19, v17 :: v_dual_mov_b32 v18, v16
	;; [unrolled: 1-line block ×5, first 2 shown]
	v_mov_b32_e32 v7, v17
	s_waitcnt lgkmcnt(0)
	s_add_u32 s4, s4, s8
	s_addc_u32 s5, s5, s9
	v_dual_mov_b32 v4, v16 :: v_dual_mov_b32 v5, v17
	s_load_b64 s[4:5], s[4:5], 0x0
	s_lshl_b32 s6, s13, 5
	s_lshl_b32 s10, s14, 5
	s_cmp_lt_i32 s3, 1
	s_cbranch_scc1 .LBB699_3
; %bb.1:
	s_clause 0x3
	s_load_b64 s[12:13], s[0:1], 0x8
	s_load_b64 s[14:15], s[0:1], 0x20
	s_load_b32 s11, s[0:1], 0x10
	s_load_b32 s16, s[0:1], 0x28
	v_lshl_add_u32 v2, v21, 4, v20
	v_dual_mov_b32 v1, 0 :: v_dual_and_b32 v0, 7, v20
	v_mov_b32_e32 v4, 0
	v_dual_mov_b32 v5, 0 :: v_dual_lshlrev_b32 v22, 4, v20
	s_delay_alu instid0(VALU_DEP_4)
	v_and_b32_e32 v7, 31, v2
	v_lshrrev_b32_e32 v6, 3, v2
	v_lshrrev_b32_e32 v2, 5, v2
	v_mov_b32_e32 v3, v1
	v_lshl_add_u32 v23, v21, 7, 0x1000
	v_add_nc_u32_e32 v10, s6, v7
	v_dual_mov_b32 v15, v5 :: v_dual_add_nc_u32 v12, s10, v6
	v_dual_mov_b32 v14, v4 :: v_dual_mov_b32 v19, v5
	v_mov_b32_e32 v18, v4
	s_waitcnt lgkmcnt(0)
	s_add_u32 s12, s12, s8
	s_addc_u32 s13, s13, s9
	s_add_u32 s8, s14, s8
	s_load_b64 s[12:13], s[12:13], 0x0
	s_addc_u32 s9, s15, s9
	v_mad_i64_i32 v[8:9], null, s11, v10, v[2:3]
	s_load_b64 s[8:9], s[8:9], 0x0
	v_lshlrev_b32_e32 v3, 4, v0
	v_mad_i64_i32 v[10:11], null, s16, v12, v[0:1]
	v_dual_mov_b32 v17, v5 :: v_dual_lshlrev_b32 v12, 4, v7
	v_mov_b32_e32 v16, v4
	s_delay_alu instid0(VALU_DEP_4) | instskip(SKIP_3) | instid1(VALU_DEP_4)
	v_lshl_or_b32 v3, v6, 7, v3
	v_lshlrev_b64 v[0:1], 4, v[8:9]
	v_dual_mov_b32 v9, v5 :: v_dual_mov_b32 v8, v4
	v_lshl_or_b32 v24, v2, 9, v12
	v_add_nc_u32_e32 v25, 0x1000, v3
	v_lshlrev_b64 v[2:3], 4, v[10:11]
	v_dual_mov_b32 v7, v5 :: v_dual_mov_b32 v6, v4
	s_waitcnt lgkmcnt(0)
	v_add_co_u32 v0, vcc_lo, v0, s12
	v_add_co_ci_u32_e32 v1, vcc_lo, s13, v1, vcc_lo
	s_delay_alu instid0(VALU_DEP_4) | instskip(SKIP_1) | instid1(VALU_DEP_4)
	v_add_co_u32 v2, vcc_lo, v2, s8
	v_add_co_ci_u32_e32 v3, vcc_lo, s9, v3, vcc_lo
	v_add_co_u32 v0, vcc_lo, v0, 8
	s_delay_alu instid0(VALU_DEP_4) | instskip(NEXT) | instid1(VALU_DEP_4)
	v_add_co_ci_u32_e32 v1, vcc_lo, 0, v1, vcc_lo
	v_add_co_u32 v2, vcc_lo, v2, 8
	s_delay_alu instid0(VALU_DEP_4)
	v_add_co_ci_u32_e32 v3, vcc_lo, 0, v3, vcc_lo
	v_dual_mov_b32 v11, v5 :: v_dual_mov_b32 v10, v4
	v_dual_mov_b32 v13, v5 :: v_dual_mov_b32 v12, v4
.LBB699_2:                              ; =>This Inner Loop Header: Depth=1
	global_load_b128 v[26:29], v[0:1], off offset:-8
	global_load_b128 v[30:33], v[2:3], off offset:-8
	v_add_co_u32 v0, vcc_lo, 0x80, v0
	v_add_co_ci_u32_e32 v1, vcc_lo, 0, v1, vcc_lo
	v_add_co_u32 v2, vcc_lo, 0x80, v2
	v_add_co_ci_u32_e32 v3, vcc_lo, 0, v3, vcc_lo
	s_add_i32 s7, s7, 8
	s_waitcnt vmcnt(1)
	ds_store_b128 v24, v[26:29]
	s_waitcnt vmcnt(0)
	ds_store_b128 v25, v[30:33]
	s_waitcnt lgkmcnt(0)
	s_barrier
	buffer_gl0_inv
	ds_load_b128 v[26:29], v23
	ds_load_b128 v[30:33], v22
	ds_load_b128 v[34:37], v22 offset:256
	ds_load_b128 v[38:41], v23 offset:2048
	;; [unrolled: 1-line block ×13, first 2 shown]
	s_cmp_ge_i32 s7, s3
	s_waitcnt lgkmcnt(13)
	v_mul_f64 v[86:87], v[28:29], v[32:33]
	v_mul_f64 v[88:89], v[26:27], v[32:33]
	s_waitcnt lgkmcnt(12)
	v_mul_f64 v[90:91], v[28:29], v[36:37]
	v_mul_f64 v[92:93], v[26:27], v[36:37]
	;; [unrolled: 3-line block ×3, first 2 shown]
	v_mul_f64 v[96:97], v[40:41], v[36:37]
	v_mul_f64 v[36:37], v[38:39], v[36:37]
	s_waitcnt lgkmcnt(8)
	v_mul_f64 v[98:99], v[44:45], v[52:53]
	v_mul_f64 v[100:101], v[42:43], v[52:53]
	s_waitcnt lgkmcnt(7)
	v_mul_f64 v[102:103], v[44:45], v[56:57]
	v_mul_f64 v[104:105], v[42:43], v[56:57]
	;; [unrolled: 1-line block ×6, first 2 shown]
	s_waitcnt lgkmcnt(3)
	v_mul_f64 v[112:113], v[58:59], v[72:73]
	s_waitcnt lgkmcnt(2)
	v_mul_f64 v[114:115], v[76:77], v[68:69]
	v_mul_f64 v[116:117], v[76:77], v[72:73]
	v_fma_f64 v[86:87], v[26:27], v[30:31], -v[86:87]
	v_fma_f64 v[88:89], v[28:29], v[30:31], v[88:89]
	v_fma_f64 v[90:91], v[26:27], v[34:35], -v[90:91]
	v_fma_f64 v[92:93], v[28:29], v[34:35], v[92:93]
	v_fma_f64 v[94:95], v[38:39], v[30:31], -v[94:95]
	v_fma_f64 v[110:111], v[40:41], v[30:31], v[32:33]
	v_fma_f64 v[38:39], v[38:39], v[34:35], -v[96:97]
	v_fma_f64 v[34:35], v[40:41], v[34:35], v[36:37]
	v_mul_f64 v[36:37], v[60:61], v[68:69]
	v_mul_f64 v[40:41], v[58:59], v[68:69]
	;; [unrolled: 1-line block ×5, first 2 shown]
	v_fma_f64 v[98:99], v[42:43], v[50:51], -v[98:99]
	v_fma_f64 v[100:101], v[44:45], v[50:51], v[100:101]
	v_fma_f64 v[42:43], v[42:43], v[54:55], -v[102:103]
	v_fma_f64 v[44:45], v[44:45], v[54:55], v[104:105]
	;; [unrolled: 2-line block ×4, first 2 shown]
	ds_load_b128 v[26:29], v22 offset:1792
	ds_load_b128 v[30:33], v22 offset:2048
	s_waitcnt lgkmcnt(2)
	v_mul_f64 v[56:57], v[64:65], v[84:85]
	v_add_f64 v[16:17], v[16:17], v[86:87]
	v_add_f64 v[18:19], v[18:19], v[88:89]
	;; [unrolled: 1-line block ×8, first 2 shown]
	v_mul_f64 v[86:87], v[62:63], v[84:85]
	s_waitcnt lgkmcnt(1)
	v_mul_f64 v[88:89], v[64:65], v[28:29]
	v_mul_f64 v[90:91], v[62:63], v[28:29]
	;; [unrolled: 1-line block ×6, first 2 shown]
	v_fma_f64 v[104:105], v[58:59], v[66:67], -v[36:37]
	v_fma_f64 v[106:107], v[60:61], v[66:67], v[40:41]
	v_fma_f64 v[58:59], v[58:59], v[70:71], -v[96:97]
	v_fma_f64 v[60:61], v[60:61], v[70:71], v[112:113]
	v_fma_f64 v[96:97], v[74:75], v[66:67], -v[114:115]
	v_fma_f64 v[66:67], v[76:77], v[66:67], v[68:69]
	v_fma_f64 v[68:69], v[74:75], v[70:71], -v[116:117]
	v_fma_f64 v[70:71], v[76:77], v[70:71], v[72:73]
	ds_load_b128 v[4:7], v22 offset:2304
	ds_load_b128 v[8:11], v23 offset:64
	v_fma_f64 v[56:57], v[62:63], v[82:83], -v[56:57]
	v_add_f64 v[72:73], v[16:17], v[98:99]
	v_add_f64 v[74:75], v[18:19], v[100:101]
	;; [unrolled: 1-line block ×8, first 2 shown]
	ds_load_b128 v[12:15], v23 offset:2112
	ds_load_b128 v[16:19], v23 offset:80
	;; [unrolled: 1-line block ×4, first 2 shown]
	s_waitcnt lgkmcnt(4)
	v_mul_f64 v[54:55], v[10:11], v[32:33]
	v_mul_f64 v[76:77], v[8:9], v[32:33]
	;; [unrolled: 1-line block ×4, first 2 shown]
	v_fma_f64 v[86:87], v[64:65], v[82:83], v[86:87]
	v_fma_f64 v[62:63], v[62:63], v[26:27], -v[88:89]
	v_fma_f64 v[64:65], v[64:65], v[26:27], v[90:91]
	v_fma_f64 v[88:89], v[78:79], v[82:83], -v[92:93]
	;; [unrolled: 2-line block ×3, first 2 shown]
	v_fma_f64 v[80:81], v[80:81], v[26:27], v[28:29]
	s_waitcnt lgkmcnt(3)
	v_mul_f64 v[102:103], v[14:15], v[32:33]
	v_mul_f64 v[32:33], v[12:13], v[32:33]
	;; [unrolled: 1-line block ×4, first 2 shown]
	s_waitcnt lgkmcnt(0)
	v_mul_f64 v[90:91], v[18:19], v[40:41]
	v_mul_f64 v[92:93], v[16:17], v[40:41]
	v_add_f64 v[72:73], v[72:73], v[104:105]
	v_add_f64 v[74:75], v[74:75], v[106:107]
	;; [unrolled: 1-line block ×8, first 2 shown]
	ds_load_b128 v[26:29], v22 offset:2816
	ds_load_b128 v[42:45], v22 offset:3072
	;; [unrolled: 1-line block ×4, first 2 shown]
	v_mul_f64 v[104:105], v[36:37], v[40:41]
	v_mul_f64 v[40:41], v[34:35], v[40:41]
	v_fma_f64 v[54:55], v[8:9], v[30:31], -v[54:55]
	v_fma_f64 v[76:77], v[10:11], v[30:31], v[76:77]
	v_fma_f64 v[98:99], v[8:9], v[4:5], -v[98:99]
	v_fma_f64 v[100:101], v[10:11], v[4:5], v[100:101]
	s_waitcnt lgkmcnt(3)
	v_mul_f64 v[94:95], v[18:19], v[28:29]
	v_mul_f64 v[96:97], v[16:17], v[28:29]
	;; [unrolled: 1-line block ×4, first 2 shown]
	v_fma_f64 v[102:103], v[12:13], v[30:31], -v[102:103]
	v_fma_f64 v[32:33], v[14:15], v[30:31], v[32:33]
	v_fma_f64 v[108:109], v[12:13], v[4:5], -v[108:109]
	v_fma_f64 v[112:113], v[14:15], v[4:5], v[6:7]
	ds_load_b128 v[4:7], v23 offset:2144
	ds_load_b128 v[8:11], v23 offset:112
	;; [unrolled: 1-line block ×4, first 2 shown]
	v_add_f64 v[56:57], v[72:73], v[56:57]
	v_add_f64 v[72:73], v[74:75], v[86:87]
	;; [unrolled: 1-line block ×8, first 2 shown]
	s_waitcnt lgkmcnt(4)
	v_mul_f64 v[70:71], v[52:53], v[44:45]
	v_mul_f64 v[74:75], v[50:51], v[44:45]
	;; [unrolled: 1-line block ×4, first 2 shown]
	s_waitcnt lgkmcnt(3)
	v_mul_f64 v[82:83], v[6:7], v[44:45]
	v_mul_f64 v[44:45], v[4:5], v[44:45]
	v_mul_f64 v[84:85], v[6:7], v[48:49]
	v_mul_f64 v[48:49], v[4:5], v[48:49]
	v_fma_f64 v[86:87], v[16:17], v[38:39], -v[90:91]
	v_fma_f64 v[88:89], v[18:19], v[38:39], v[92:93]
	v_fma_f64 v[90:91], v[16:17], v[26:27], -v[94:95]
	v_fma_f64 v[92:93], v[18:19], v[26:27], v[96:97]
	;; [unrolled: 2-line block ×4, first 2 shown]
	ds_load_b128 v[16:19], v22 offset:3840
	s_waitcnt lgkmcnt(0)
	s_barrier
	buffer_gl0_inv
	v_add_f64 v[36:37], v[56:57], v[54:55]
	v_add_f64 v[40:41], v[72:73], v[76:77]
	;; [unrolled: 1-line block ×8, first 2 shown]
	v_mul_f64 v[64:65], v[10:11], v[30:31]
	v_mul_f64 v[66:67], v[8:9], v[30:31]
	;; [unrolled: 1-line block ×4, first 2 shown]
	v_fma_f64 v[70:71], v[50:51], v[42:43], -v[70:71]
	v_mul_f64 v[68:69], v[10:11], v[18:19]
	v_mul_f64 v[72:73], v[8:9], v[18:19]
	;; [unrolled: 1-line block ×4, first 2 shown]
	v_fma_f64 v[74:75], v[52:53], v[42:43], v[74:75]
	v_fma_f64 v[50:51], v[50:51], v[46:47], -v[78:79]
	v_fma_f64 v[52:53], v[52:53], v[46:47], v[80:81]
	v_fma_f64 v[78:79], v[4:5], v[42:43], -v[82:83]
	;; [unrolled: 2-line block ×3, first 2 shown]
	v_fma_f64 v[6:7], v[6:7], v[46:47], v[48:49]
	v_add_f64 v[36:37], v[36:37], v[86:87]
	v_add_f64 v[40:41], v[40:41], v[88:89]
	;; [unrolled: 1-line block ×8, first 2 shown]
	v_fma_f64 v[38:39], v[8:9], v[28:29], -v[64:65]
	v_fma_f64 v[54:55], v[10:11], v[28:29], v[66:67]
	v_fma_f64 v[56:57], v[12:13], v[28:29], -v[76:77]
	v_fma_f64 v[28:29], v[14:15], v[28:29], v[30:31]
	;; [unrolled: 2-line block ×4, first 2 shown]
	v_add_f64 v[12:13], v[36:37], v[70:71]
	v_add_f64 v[14:15], v[40:41], v[74:75]
	;; [unrolled: 1-line block ×16, first 2 shown]
	s_cbranch_scc0 .LBB699_2
.LBB699_3:
	s_load_b32 s3, s[0:1], 0x40
	v_add_nc_u32_e32 v21, s10, v21
	v_add_nc_u32_e32 v0, s6, v20
	s_delay_alu instid0(VALU_DEP_2) | instskip(NEXT) | instid1(VALU_DEP_2)
	v_cmp_gt_i32_e32 vcc_lo, s2, v21
	v_cmp_le_i32_e64 s0, v0, v21
	s_delay_alu instid0(VALU_DEP_1) | instskip(SKIP_2) | instid1(VALU_DEP_1)
	s_and_b32 s0, vcc_lo, s0
	s_waitcnt lgkmcnt(0)
	v_mad_i64_i32 v[1:2], null, v21, s3, 0
	v_lshlrev_b64 v[1:2], 4, v[1:2]
	s_delay_alu instid0(VALU_DEP_1) | instskip(NEXT) | instid1(VALU_DEP_1)
	v_add_co_u32 v20, s1, s4, v1
	v_add_co_ci_u32_e64 v22, s1, s5, v2, s1
	s_and_saveexec_b32 s1, s0
	s_cbranch_execz .LBB699_5
; %bb.4:
	v_ashrrev_i32_e32 v1, 31, v0
	s_delay_alu instid0(VALU_DEP_1) | instskip(NEXT) | instid1(VALU_DEP_1)
	v_lshlrev_b64 v[1:2], 4, v[0:1]
	v_add_co_u32 v1, s0, v20, v1
	s_delay_alu instid0(VALU_DEP_1)
	v_add_co_ci_u32_e64 v2, s0, v22, v2, s0
	global_load_b128 v[23:26], v[1:2], off
	s_waitcnt vmcnt(0)
	v_add_f64 v[16:17], v[16:17], v[23:24]
	v_add_f64 v[18:19], v[18:19], v[25:26]
	global_store_b128 v[1:2], v[16:19], off
.LBB699_5:
	s_or_b32 exec_lo, exec_lo, s1
	v_add_nc_u32_e32 v2, 16, v0
	s_delay_alu instid0(VALU_DEP_1) | instskip(NEXT) | instid1(VALU_DEP_1)
	v_cmp_le_i32_e64 s0, v2, v21
	s_and_b32 s1, vcc_lo, s0
	s_delay_alu instid0(SALU_CYCLE_1)
	s_and_saveexec_b32 s0, s1
	s_cbranch_execz .LBB699_7
; %bb.6:
	v_ashrrev_i32_e32 v3, 31, v2
	s_delay_alu instid0(VALU_DEP_1) | instskip(NEXT) | instid1(VALU_DEP_1)
	v_lshlrev_b64 v[16:17], 4, v[2:3]
	v_add_co_u32 v23, vcc_lo, v20, v16
	s_delay_alu instid0(VALU_DEP_2)
	v_add_co_ci_u32_e32 v24, vcc_lo, v22, v17, vcc_lo
	global_load_b128 v[16:19], v[23:24], off
	s_waitcnt vmcnt(0)
	v_add_f64 v[14:15], v[14:15], v[16:17]
	v_add_f64 v[16:17], v[12:13], v[18:19]
	global_store_b128 v[23:24], v[14:17], off
.LBB699_7:
	s_or_b32 exec_lo, exec_lo, s0
	v_add_nc_u32_e32 v3, 16, v21
	s_delay_alu instid0(VALU_DEP_1) | instskip(SKIP_2) | instid1(VALU_DEP_1)
	v_mad_i64_i32 v[12:13], null, v3, s3, 0
	v_cmp_gt_i32_e32 vcc_lo, s2, v3
	v_cmp_le_i32_e64 s0, v0, v3
	s_and_b32 s0, vcc_lo, s0
	s_delay_alu instid0(VALU_DEP_3) | instskip(NEXT) | instid1(VALU_DEP_1)
	v_lshlrev_b64 v[12:13], 4, v[12:13]
	v_add_co_u32 v12, s1, s4, v12
	s_delay_alu instid0(VALU_DEP_1)
	v_add_co_ci_u32_e64 v13, s1, s5, v13, s1
	s_and_saveexec_b32 s1, s0
	s_cbranch_execz .LBB699_9
; %bb.8:
	v_ashrrev_i32_e32 v1, 31, v0
	s_delay_alu instid0(VALU_DEP_1) | instskip(NEXT) | instid1(VALU_DEP_1)
	v_lshlrev_b64 v[0:1], 4, v[0:1]
	v_add_co_u32 v0, s0, v12, v0
	s_delay_alu instid0(VALU_DEP_1)
	v_add_co_ci_u32_e64 v1, s0, v13, v1, s0
	global_load_b128 v[14:17], v[0:1], off
	s_waitcnt vmcnt(0)
	v_add_f64 v[14:15], v[10:11], v[14:15]
	v_add_f64 v[16:17], v[8:9], v[16:17]
	global_store_b128 v[0:1], v[14:17], off
.LBB699_9:
	s_or_b32 exec_lo, exec_lo, s1
	v_cmp_le_i32_e64 s0, v2, v3
	s_delay_alu instid0(VALU_DEP_1) | instskip(NEXT) | instid1(SALU_CYCLE_1)
	s_and_b32 s0, vcc_lo, s0
	s_and_saveexec_b32 s1, s0
	s_cbranch_execz .LBB699_11
; %bb.10:
	v_ashrrev_i32_e32 v3, 31, v2
	s_delay_alu instid0(VALU_DEP_1) | instskip(NEXT) | instid1(VALU_DEP_1)
	v_lshlrev_b64 v[0:1], 4, v[2:3]
	v_add_co_u32 v8, vcc_lo, v12, v0
	s_delay_alu instid0(VALU_DEP_2)
	v_add_co_ci_u32_e32 v9, vcc_lo, v13, v1, vcc_lo
	global_load_b128 v[0:3], v[8:9], off
	s_waitcnt vmcnt(0)
	v_add_f64 v[0:1], v[6:7], v[0:1]
	v_add_f64 v[2:3], v[4:5], v[2:3]
	global_store_b128 v[8:9], v[0:3], off
.LBB699_11:
	s_nop 0
	s_sendmsg sendmsg(MSG_DEALLOC_VGPRS)
	s_endpgm
	.section	.rodata,"a",@progbits
	.p2align	6, 0x0
	.amdhsa_kernel _ZL37rocblas_syrkx_herkx_restricted_kernelIi19rocblas_complex_numIdELi16ELi32ELi8ELi1ELi1ELb0ELc67ELc85EKPKS1_KPS1_EviT_PT9_S7_lS9_S7_lPT10_S7_li
		.amdhsa_group_segment_fixed_size 8192
		.amdhsa_private_segment_fixed_size 0
		.amdhsa_kernarg_size 84
		.amdhsa_user_sgpr_count 13
		.amdhsa_user_sgpr_dispatch_ptr 0
		.amdhsa_user_sgpr_queue_ptr 0
		.amdhsa_user_sgpr_kernarg_segment_ptr 1
		.amdhsa_user_sgpr_dispatch_id 0
		.amdhsa_user_sgpr_private_segment_size 0
		.amdhsa_wavefront_size32 1
		.amdhsa_uses_dynamic_stack 0
		.amdhsa_enable_private_segment 0
		.amdhsa_system_sgpr_workgroup_id_x 1
		.amdhsa_system_sgpr_workgroup_id_y 1
		.amdhsa_system_sgpr_workgroup_id_z 1
		.amdhsa_system_sgpr_workgroup_info 0
		.amdhsa_system_vgpr_workitem_id 1
		.amdhsa_next_free_vgpr 118
		.amdhsa_next_free_sgpr 17
		.amdhsa_reserve_vcc 1
		.amdhsa_float_round_mode_32 0
		.amdhsa_float_round_mode_16_64 0
		.amdhsa_float_denorm_mode_32 3
		.amdhsa_float_denorm_mode_16_64 3
		.amdhsa_dx10_clamp 1
		.amdhsa_ieee_mode 1
		.amdhsa_fp16_overflow 0
		.amdhsa_workgroup_processor_mode 1
		.amdhsa_memory_ordered 1
		.amdhsa_forward_progress 0
		.amdhsa_shared_vgpr_count 0
		.amdhsa_exception_fp_ieee_invalid_op 0
		.amdhsa_exception_fp_denorm_src 0
		.amdhsa_exception_fp_ieee_div_zero 0
		.amdhsa_exception_fp_ieee_overflow 0
		.amdhsa_exception_fp_ieee_underflow 0
		.amdhsa_exception_fp_ieee_inexact 0
		.amdhsa_exception_int_div_zero 0
	.end_amdhsa_kernel
	.section	.text._ZL37rocblas_syrkx_herkx_restricted_kernelIi19rocblas_complex_numIdELi16ELi32ELi8ELi1ELi1ELb0ELc67ELc85EKPKS1_KPS1_EviT_PT9_S7_lS9_S7_lPT10_S7_li,"axG",@progbits,_ZL37rocblas_syrkx_herkx_restricted_kernelIi19rocblas_complex_numIdELi16ELi32ELi8ELi1ELi1ELb0ELc67ELc85EKPKS1_KPS1_EviT_PT9_S7_lS9_S7_lPT10_S7_li,comdat
.Lfunc_end699:
	.size	_ZL37rocblas_syrkx_herkx_restricted_kernelIi19rocblas_complex_numIdELi16ELi32ELi8ELi1ELi1ELb0ELc67ELc85EKPKS1_KPS1_EviT_PT9_S7_lS9_S7_lPT10_S7_li, .Lfunc_end699-_ZL37rocblas_syrkx_herkx_restricted_kernelIi19rocblas_complex_numIdELi16ELi32ELi8ELi1ELi1ELb0ELc67ELc85EKPKS1_KPS1_EviT_PT9_S7_lS9_S7_lPT10_S7_li
                                        ; -- End function
	.section	.AMDGPU.csdata,"",@progbits
; Kernel info:
; codeLenInByte = 2968
; NumSgprs: 19
; NumVgprs: 118
; ScratchSize: 0
; MemoryBound: 0
; FloatMode: 240
; IeeeMode: 1
; LDSByteSize: 8192 bytes/workgroup (compile time only)
; SGPRBlocks: 2
; VGPRBlocks: 14
; NumSGPRsForWavesPerEU: 19
; NumVGPRsForWavesPerEU: 118
; Occupancy: 12
; WaveLimiterHint : 1
; COMPUTE_PGM_RSRC2:SCRATCH_EN: 0
; COMPUTE_PGM_RSRC2:USER_SGPR: 13
; COMPUTE_PGM_RSRC2:TRAP_HANDLER: 0
; COMPUTE_PGM_RSRC2:TGID_X_EN: 1
; COMPUTE_PGM_RSRC2:TGID_Y_EN: 1
; COMPUTE_PGM_RSRC2:TGID_Z_EN: 1
; COMPUTE_PGM_RSRC2:TIDIG_COMP_CNT: 1
	.section	.text._ZL37rocblas_syrkx_herkx_restricted_kernelIi19rocblas_complex_numIdELi16ELi32ELi8ELi1ELi1ELb0ELc78ELc85EKPKS1_KPS1_EviT_PT9_S7_lS9_S7_lPT10_S7_li,"axG",@progbits,_ZL37rocblas_syrkx_herkx_restricted_kernelIi19rocblas_complex_numIdELi16ELi32ELi8ELi1ELi1ELb0ELc78ELc85EKPKS1_KPS1_EviT_PT9_S7_lS9_S7_lPT10_S7_li,comdat
	.globl	_ZL37rocblas_syrkx_herkx_restricted_kernelIi19rocblas_complex_numIdELi16ELi32ELi8ELi1ELi1ELb0ELc78ELc85EKPKS1_KPS1_EviT_PT9_S7_lS9_S7_lPT10_S7_li ; -- Begin function _ZL37rocblas_syrkx_herkx_restricted_kernelIi19rocblas_complex_numIdELi16ELi32ELi8ELi1ELi1ELb0ELc78ELc85EKPKS1_KPS1_EviT_PT9_S7_lS9_S7_lPT10_S7_li
	.p2align	8
	.type	_ZL37rocblas_syrkx_herkx_restricted_kernelIi19rocblas_complex_numIdELi16ELi32ELi8ELi1ELi1ELb0ELc78ELc85EKPKS1_KPS1_EviT_PT9_S7_lS9_S7_lPT10_S7_li,@function
_ZL37rocblas_syrkx_herkx_restricted_kernelIi19rocblas_complex_numIdELi16ELi32ELi8ELi1ELi1ELb0ELc78ELc85EKPKS1_KPS1_EviT_PT9_S7_lS9_S7_lPT10_S7_li: ; @_ZL37rocblas_syrkx_herkx_restricted_kernelIi19rocblas_complex_numIdELi16ELi32ELi8ELi1ELi1ELb0ELc78ELc85EKPKS1_KPS1_EviT_PT9_S7_lS9_S7_lPT10_S7_li
; %bb.0:
	s_clause 0x1
	s_load_b64 s[4:5], s[0:1], 0x38
	s_load_b64 s[2:3], s[0:1], 0x0
	s_mov_b32 s6, s15
	s_mov_b32 s7, 0
	v_mov_b32_e32 v16, 0
	s_lshl_b64 s[8:9], s[6:7], 3
	v_dual_mov_b32 v17, 0 :: v_dual_and_b32 v20, 0x3ff, v0
	v_bfe_u32 v21, v0, 10, 10
	s_delay_alu instid0(VALU_DEP_3) | instskip(NEXT) | instid1(VALU_DEP_3)
	v_mov_b32_e32 v14, v16
	v_dual_mov_b32 v12, v16 :: v_dual_mov_b32 v13, v17
	v_dual_mov_b32 v19, v17 :: v_dual_mov_b32 v18, v16
	;; [unrolled: 1-line block ×5, first 2 shown]
	v_mov_b32_e32 v7, v17
	s_waitcnt lgkmcnt(0)
	s_add_u32 s4, s4, s8
	s_addc_u32 s5, s5, s9
	v_dual_mov_b32 v4, v16 :: v_dual_mov_b32 v5, v17
	s_load_b64 s[4:5], s[4:5], 0x0
	s_lshl_b32 s6, s13, 5
	s_lshl_b32 s12, s14, 5
	s_cmp_lt_i32 s3, 1
	s_cbranch_scc1 .LBB700_3
; %bb.1:
	s_clause 0x3
	s_load_b32 s10, s[0:1], 0x10
	s_load_b32 s14, s[0:1], 0x28
	s_load_b64 s[16:17], s[0:1], 0x8
	s_load_b64 s[18:19], s[0:1], 0x20
	v_lshl_add_u32 v0, v21, 4, v20
	v_and_b32_e32 v10, 7, v20
	v_lshl_add_u32 v23, v21, 7, 0x1000
	v_mov_b32_e32 v4, 0
	v_mov_b32_e32 v5, 0
	v_and_b32_e32 v9, 31, v0
	v_lshrrev_b32_e32 v8, 3, v0
	v_lshlrev_b32_e32 v12, 4, v10
	v_lshrrev_b32_e32 v11, 5, v0
	s_delay_alu instid0(VALU_DEP_4) | instskip(NEXT) | instid1(VALU_DEP_4)
	v_dual_mov_b32 v15, v5 :: v_dual_add_nc_u32 v2, s6, v9
	v_add_nc_u32_e32 v0, s12, v8
	v_lshlrev_b32_e32 v9, 4, v9
	v_lshl_or_b32 v8, v8, 7, v12
	v_lshlrev_b32_e32 v22, 4, v20
	v_ashrrev_i32_e32 v3, 31, v2
	s_waitcnt lgkmcnt(0)
	s_ashr_i32 s11, s10, 31
	s_ashr_i32 s15, s14, 31
	s_add_u32 s16, s16, s8
	s_addc_u32 s17, s17, s9
	s_add_u32 s8, s18, s8
	s_load_b64 s[16:17], s[16:17], 0x0
	s_addc_u32 s9, s19, s9
	v_lshl_or_b32 v24, v11, 9, v9
	s_load_b64 s[8:9], s[8:9], 0x0
	v_add_nc_u32_e32 v25, 0x1000, v8
	v_dual_mov_b32 v9, v5 :: v_dual_mov_b32 v8, v4
	v_ashrrev_i32_e32 v1, 31, v0
	v_mad_i64_i32 v[6:7], null, s10, v11, v[2:3]
	v_dual_mov_b32 v13, v5 :: v_dual_mov_b32 v12, v4
	v_mov_b32_e32 v19, v5
	s_delay_alu instid0(VALU_DEP_4)
	v_mad_i64_i32 v[2:3], null, s14, v10, v[0:1]
	v_mov_b32_e32 v11, v5
	v_lshlrev_b64 v[0:1], 4, v[6:7]
	v_dual_mov_b32 v10, v4 :: v_dual_mov_b32 v7, v5
	v_dual_mov_b32 v14, v4 :: v_dual_mov_b32 v17, v5
	v_lshlrev_b64 v[2:3], 4, v[2:3]
	s_waitcnt lgkmcnt(0)
	s_delay_alu instid0(VALU_DEP_4) | instskip(SKIP_2) | instid1(VALU_DEP_4)
	v_add_co_u32 v0, vcc_lo, v0, s16
	v_add_co_ci_u32_e32 v1, vcc_lo, s17, v1, vcc_lo
	v_mov_b32_e32 v6, v4
	v_add_co_u32 v2, vcc_lo, v2, s8
	v_add_co_ci_u32_e32 v3, vcc_lo, s9, v3, vcc_lo
	v_add_co_u32 v0, vcc_lo, v0, 8
	v_add_co_ci_u32_e32 v1, vcc_lo, 0, v1, vcc_lo
	s_delay_alu instid0(VALU_DEP_4) | instskip(NEXT) | instid1(VALU_DEP_4)
	v_add_co_u32 v2, vcc_lo, v2, 8
	v_add_co_ci_u32_e32 v3, vcc_lo, 0, v3, vcc_lo
	v_mov_b32_e32 v18, v4
	v_mov_b32_e32 v16, v4
	s_lshl_b64 s[8:9], s[10:11], 7
	s_lshl_b64 s[10:11], s[14:15], 7
.LBB700_2:                              ; =>This Inner Loop Header: Depth=1
	global_load_b128 v[26:29], v[0:1], off offset:-8
	global_load_b128 v[30:33], v[2:3], off offset:-8
	v_add_co_u32 v0, vcc_lo, v0, s8
	v_add_co_ci_u32_e32 v1, vcc_lo, s9, v1, vcc_lo
	v_add_co_u32 v2, vcc_lo, v2, s10
	v_add_co_ci_u32_e32 v3, vcc_lo, s11, v3, vcc_lo
	s_add_i32 s7, s7, 8
	s_waitcnt vmcnt(1)
	ds_store_b128 v24, v[26:29]
	s_waitcnt vmcnt(0)
	ds_store_b128 v25, v[30:33]
	s_waitcnt lgkmcnt(0)
	s_barrier
	buffer_gl0_inv
	ds_load_b128 v[26:29], v23
	ds_load_b128 v[30:33], v22
	ds_load_b128 v[34:37], v22 offset:256
	ds_load_b128 v[38:41], v23 offset:2048
	;; [unrolled: 1-line block ×13, first 2 shown]
	s_cmp_ge_i32 s7, s3
	s_waitcnt lgkmcnt(13)
	v_mul_f64 v[86:87], v[28:29], v[32:33]
	v_mul_f64 v[88:89], v[26:27], v[32:33]
	s_waitcnt lgkmcnt(12)
	v_mul_f64 v[90:91], v[28:29], v[36:37]
	v_mul_f64 v[92:93], v[26:27], v[36:37]
	;; [unrolled: 3-line block ×3, first 2 shown]
	v_mul_f64 v[96:97], v[40:41], v[36:37]
	v_mul_f64 v[36:37], v[38:39], v[36:37]
	s_waitcnt lgkmcnt(8)
	v_mul_f64 v[98:99], v[44:45], v[52:53]
	v_mul_f64 v[100:101], v[42:43], v[52:53]
	s_waitcnt lgkmcnt(7)
	v_mul_f64 v[102:103], v[44:45], v[56:57]
	v_mul_f64 v[104:105], v[42:43], v[56:57]
	;; [unrolled: 1-line block ×6, first 2 shown]
	s_waitcnt lgkmcnt(3)
	v_mul_f64 v[112:113], v[58:59], v[72:73]
	s_waitcnt lgkmcnt(2)
	v_mul_f64 v[114:115], v[76:77], v[68:69]
	v_mul_f64 v[116:117], v[76:77], v[72:73]
	v_fma_f64 v[86:87], v[26:27], v[30:31], -v[86:87]
	v_fma_f64 v[88:89], v[28:29], v[30:31], v[88:89]
	v_fma_f64 v[90:91], v[26:27], v[34:35], -v[90:91]
	v_fma_f64 v[92:93], v[28:29], v[34:35], v[92:93]
	;; [unrolled: 2-line block ×4, first 2 shown]
	v_mul_f64 v[36:37], v[60:61], v[68:69]
	v_mul_f64 v[40:41], v[58:59], v[68:69]
	;; [unrolled: 1-line block ×5, first 2 shown]
	v_fma_f64 v[98:99], v[42:43], v[50:51], -v[98:99]
	v_fma_f64 v[100:101], v[44:45], v[50:51], v[100:101]
	v_fma_f64 v[42:43], v[42:43], v[54:55], -v[102:103]
	v_fma_f64 v[44:45], v[44:45], v[54:55], v[104:105]
	;; [unrolled: 2-line block ×4, first 2 shown]
	ds_load_b128 v[26:29], v22 offset:1792
	ds_load_b128 v[30:33], v22 offset:2048
	s_waitcnt lgkmcnt(2)
	v_mul_f64 v[56:57], v[64:65], v[84:85]
	v_add_f64 v[16:17], v[16:17], v[86:87]
	v_add_f64 v[18:19], v[18:19], v[88:89]
	;; [unrolled: 1-line block ×8, first 2 shown]
	v_mul_f64 v[86:87], v[62:63], v[84:85]
	s_waitcnt lgkmcnt(1)
	v_mul_f64 v[88:89], v[64:65], v[28:29]
	v_mul_f64 v[90:91], v[62:63], v[28:29]
	;; [unrolled: 1-line block ×6, first 2 shown]
	v_fma_f64 v[104:105], v[58:59], v[66:67], -v[36:37]
	v_fma_f64 v[106:107], v[60:61], v[66:67], v[40:41]
	v_fma_f64 v[58:59], v[58:59], v[70:71], -v[96:97]
	v_fma_f64 v[60:61], v[60:61], v[70:71], v[112:113]
	;; [unrolled: 2-line block ×4, first 2 shown]
	ds_load_b128 v[4:7], v22 offset:2304
	ds_load_b128 v[8:11], v23 offset:64
	v_fma_f64 v[56:57], v[62:63], v[82:83], -v[56:57]
	v_add_f64 v[72:73], v[16:17], v[98:99]
	v_add_f64 v[74:75], v[18:19], v[100:101]
	;; [unrolled: 1-line block ×8, first 2 shown]
	ds_load_b128 v[12:15], v23 offset:2112
	ds_load_b128 v[16:19], v23 offset:80
	;; [unrolled: 1-line block ×4, first 2 shown]
	s_waitcnt lgkmcnt(4)
	v_mul_f64 v[54:55], v[10:11], v[32:33]
	v_mul_f64 v[76:77], v[8:9], v[32:33]
	;; [unrolled: 1-line block ×4, first 2 shown]
	v_fma_f64 v[86:87], v[64:65], v[82:83], v[86:87]
	v_fma_f64 v[62:63], v[62:63], v[26:27], -v[88:89]
	v_fma_f64 v[64:65], v[64:65], v[26:27], v[90:91]
	v_fma_f64 v[88:89], v[78:79], v[82:83], -v[92:93]
	;; [unrolled: 2-line block ×3, first 2 shown]
	v_fma_f64 v[80:81], v[80:81], v[26:27], v[28:29]
	s_waitcnt lgkmcnt(3)
	v_mul_f64 v[102:103], v[14:15], v[32:33]
	v_mul_f64 v[32:33], v[12:13], v[32:33]
	v_mul_f64 v[108:109], v[14:15], v[6:7]
	v_mul_f64 v[6:7], v[12:13], v[6:7]
	s_waitcnt lgkmcnt(0)
	v_mul_f64 v[90:91], v[18:19], v[40:41]
	v_mul_f64 v[92:93], v[16:17], v[40:41]
	v_add_f64 v[72:73], v[72:73], v[104:105]
	v_add_f64 v[74:75], v[74:75], v[106:107]
	;; [unrolled: 1-line block ×8, first 2 shown]
	ds_load_b128 v[26:29], v22 offset:2816
	ds_load_b128 v[42:45], v22 offset:3072
	;; [unrolled: 1-line block ×4, first 2 shown]
	v_mul_f64 v[104:105], v[36:37], v[40:41]
	v_mul_f64 v[40:41], v[34:35], v[40:41]
	v_fma_f64 v[54:55], v[8:9], v[30:31], -v[54:55]
	v_fma_f64 v[76:77], v[10:11], v[30:31], v[76:77]
	v_fma_f64 v[98:99], v[8:9], v[4:5], -v[98:99]
	v_fma_f64 v[100:101], v[10:11], v[4:5], v[100:101]
	s_waitcnt lgkmcnt(3)
	v_mul_f64 v[94:95], v[18:19], v[28:29]
	v_mul_f64 v[96:97], v[16:17], v[28:29]
	;; [unrolled: 1-line block ×4, first 2 shown]
	v_fma_f64 v[102:103], v[12:13], v[30:31], -v[102:103]
	v_fma_f64 v[32:33], v[14:15], v[30:31], v[32:33]
	v_fma_f64 v[108:109], v[12:13], v[4:5], -v[108:109]
	v_fma_f64 v[112:113], v[14:15], v[4:5], v[6:7]
	ds_load_b128 v[4:7], v23 offset:2144
	ds_load_b128 v[8:11], v23 offset:112
	;; [unrolled: 1-line block ×4, first 2 shown]
	v_add_f64 v[56:57], v[72:73], v[56:57]
	v_add_f64 v[72:73], v[74:75], v[86:87]
	;; [unrolled: 1-line block ×8, first 2 shown]
	s_waitcnt lgkmcnt(4)
	v_mul_f64 v[70:71], v[52:53], v[44:45]
	v_mul_f64 v[74:75], v[50:51], v[44:45]
	;; [unrolled: 1-line block ×4, first 2 shown]
	s_waitcnt lgkmcnt(3)
	v_mul_f64 v[82:83], v[6:7], v[44:45]
	v_mul_f64 v[44:45], v[4:5], v[44:45]
	v_mul_f64 v[84:85], v[6:7], v[48:49]
	v_mul_f64 v[48:49], v[4:5], v[48:49]
	v_fma_f64 v[86:87], v[16:17], v[38:39], -v[90:91]
	v_fma_f64 v[88:89], v[18:19], v[38:39], v[92:93]
	v_fma_f64 v[90:91], v[16:17], v[26:27], -v[94:95]
	v_fma_f64 v[92:93], v[18:19], v[26:27], v[96:97]
	;; [unrolled: 2-line block ×4, first 2 shown]
	ds_load_b128 v[16:19], v22 offset:3840
	s_waitcnt lgkmcnt(0)
	s_barrier
	buffer_gl0_inv
	v_add_f64 v[36:37], v[56:57], v[54:55]
	v_add_f64 v[40:41], v[72:73], v[76:77]
	;; [unrolled: 1-line block ×8, first 2 shown]
	v_mul_f64 v[64:65], v[10:11], v[30:31]
	v_mul_f64 v[66:67], v[8:9], v[30:31]
	;; [unrolled: 1-line block ×4, first 2 shown]
	v_fma_f64 v[70:71], v[50:51], v[42:43], -v[70:71]
	v_mul_f64 v[68:69], v[10:11], v[18:19]
	v_mul_f64 v[72:73], v[8:9], v[18:19]
	;; [unrolled: 1-line block ×4, first 2 shown]
	v_fma_f64 v[74:75], v[52:53], v[42:43], v[74:75]
	v_fma_f64 v[50:51], v[50:51], v[46:47], -v[78:79]
	v_fma_f64 v[52:53], v[52:53], v[46:47], v[80:81]
	v_fma_f64 v[78:79], v[4:5], v[42:43], -v[82:83]
	;; [unrolled: 2-line block ×3, first 2 shown]
	v_fma_f64 v[6:7], v[6:7], v[46:47], v[48:49]
	v_add_f64 v[36:37], v[36:37], v[86:87]
	v_add_f64 v[40:41], v[40:41], v[88:89]
	;; [unrolled: 1-line block ×8, first 2 shown]
	v_fma_f64 v[38:39], v[8:9], v[28:29], -v[64:65]
	v_fma_f64 v[54:55], v[10:11], v[28:29], v[66:67]
	v_fma_f64 v[56:57], v[12:13], v[28:29], -v[76:77]
	v_fma_f64 v[28:29], v[14:15], v[28:29], v[30:31]
	;; [unrolled: 2-line block ×4, first 2 shown]
	v_add_f64 v[12:13], v[36:37], v[70:71]
	v_add_f64 v[14:15], v[40:41], v[74:75]
	;; [unrolled: 1-line block ×16, first 2 shown]
	s_cbranch_scc0 .LBB700_2
.LBB700_3:
	s_load_b32 s3, s[0:1], 0x40
	v_add_nc_u32_e32 v21, s12, v21
	v_add_nc_u32_e32 v0, s6, v20
	s_delay_alu instid0(VALU_DEP_2) | instskip(NEXT) | instid1(VALU_DEP_2)
	v_cmp_gt_i32_e32 vcc_lo, s2, v21
	v_cmp_le_i32_e64 s0, v0, v21
	s_delay_alu instid0(VALU_DEP_1) | instskip(SKIP_2) | instid1(VALU_DEP_1)
	s_and_b32 s0, vcc_lo, s0
	s_waitcnt lgkmcnt(0)
	v_mad_i64_i32 v[1:2], null, v21, s3, 0
	v_lshlrev_b64 v[1:2], 4, v[1:2]
	s_delay_alu instid0(VALU_DEP_1) | instskip(NEXT) | instid1(VALU_DEP_1)
	v_add_co_u32 v20, s1, s4, v1
	v_add_co_ci_u32_e64 v22, s1, s5, v2, s1
	s_and_saveexec_b32 s1, s0
	s_cbranch_execz .LBB700_5
; %bb.4:
	v_ashrrev_i32_e32 v1, 31, v0
	s_delay_alu instid0(VALU_DEP_1) | instskip(NEXT) | instid1(VALU_DEP_1)
	v_lshlrev_b64 v[1:2], 4, v[0:1]
	v_add_co_u32 v1, s0, v20, v1
	s_delay_alu instid0(VALU_DEP_1)
	v_add_co_ci_u32_e64 v2, s0, v22, v2, s0
	global_load_b128 v[23:26], v[1:2], off
	s_waitcnt vmcnt(0)
	v_add_f64 v[16:17], v[16:17], v[23:24]
	v_add_f64 v[18:19], v[18:19], v[25:26]
	global_store_b128 v[1:2], v[16:19], off
.LBB700_5:
	s_or_b32 exec_lo, exec_lo, s1
	v_add_nc_u32_e32 v2, 16, v0
	s_delay_alu instid0(VALU_DEP_1) | instskip(NEXT) | instid1(VALU_DEP_1)
	v_cmp_le_i32_e64 s0, v2, v21
	s_and_b32 s1, vcc_lo, s0
	s_delay_alu instid0(SALU_CYCLE_1)
	s_and_saveexec_b32 s0, s1
	s_cbranch_execz .LBB700_7
; %bb.6:
	v_ashrrev_i32_e32 v3, 31, v2
	s_delay_alu instid0(VALU_DEP_1) | instskip(NEXT) | instid1(VALU_DEP_1)
	v_lshlrev_b64 v[16:17], 4, v[2:3]
	v_add_co_u32 v23, vcc_lo, v20, v16
	s_delay_alu instid0(VALU_DEP_2)
	v_add_co_ci_u32_e32 v24, vcc_lo, v22, v17, vcc_lo
	global_load_b128 v[16:19], v[23:24], off
	s_waitcnt vmcnt(0)
	v_add_f64 v[14:15], v[14:15], v[16:17]
	v_add_f64 v[16:17], v[12:13], v[18:19]
	global_store_b128 v[23:24], v[14:17], off
.LBB700_7:
	s_or_b32 exec_lo, exec_lo, s0
	v_add_nc_u32_e32 v3, 16, v21
	s_delay_alu instid0(VALU_DEP_1) | instskip(SKIP_2) | instid1(VALU_DEP_1)
	v_mad_i64_i32 v[12:13], null, v3, s3, 0
	v_cmp_gt_i32_e32 vcc_lo, s2, v3
	v_cmp_le_i32_e64 s0, v0, v3
	s_and_b32 s0, vcc_lo, s0
	s_delay_alu instid0(VALU_DEP_3) | instskip(NEXT) | instid1(VALU_DEP_1)
	v_lshlrev_b64 v[12:13], 4, v[12:13]
	v_add_co_u32 v12, s1, s4, v12
	s_delay_alu instid0(VALU_DEP_1)
	v_add_co_ci_u32_e64 v13, s1, s5, v13, s1
	s_and_saveexec_b32 s1, s0
	s_cbranch_execz .LBB700_9
; %bb.8:
	v_ashrrev_i32_e32 v1, 31, v0
	s_delay_alu instid0(VALU_DEP_1) | instskip(NEXT) | instid1(VALU_DEP_1)
	v_lshlrev_b64 v[0:1], 4, v[0:1]
	v_add_co_u32 v0, s0, v12, v0
	s_delay_alu instid0(VALU_DEP_1)
	v_add_co_ci_u32_e64 v1, s0, v13, v1, s0
	global_load_b128 v[14:17], v[0:1], off
	s_waitcnt vmcnt(0)
	v_add_f64 v[14:15], v[10:11], v[14:15]
	v_add_f64 v[16:17], v[8:9], v[16:17]
	global_store_b128 v[0:1], v[14:17], off
.LBB700_9:
	s_or_b32 exec_lo, exec_lo, s1
	v_cmp_le_i32_e64 s0, v2, v3
	s_delay_alu instid0(VALU_DEP_1) | instskip(NEXT) | instid1(SALU_CYCLE_1)
	s_and_b32 s0, vcc_lo, s0
	s_and_saveexec_b32 s1, s0
	s_cbranch_execz .LBB700_11
; %bb.10:
	v_ashrrev_i32_e32 v3, 31, v2
	s_delay_alu instid0(VALU_DEP_1) | instskip(NEXT) | instid1(VALU_DEP_1)
	v_lshlrev_b64 v[0:1], 4, v[2:3]
	v_add_co_u32 v8, vcc_lo, v12, v0
	s_delay_alu instid0(VALU_DEP_2)
	v_add_co_ci_u32_e32 v9, vcc_lo, v13, v1, vcc_lo
	global_load_b128 v[0:3], v[8:9], off
	s_waitcnt vmcnt(0)
	v_add_f64 v[0:1], v[6:7], v[0:1]
	v_add_f64 v[2:3], v[4:5], v[2:3]
	global_store_b128 v[8:9], v[0:3], off
.LBB700_11:
	s_nop 0
	s_sendmsg sendmsg(MSG_DEALLOC_VGPRS)
	s_endpgm
	.section	.rodata,"a",@progbits
	.p2align	6, 0x0
	.amdhsa_kernel _ZL37rocblas_syrkx_herkx_restricted_kernelIi19rocblas_complex_numIdELi16ELi32ELi8ELi1ELi1ELb0ELc78ELc85EKPKS1_KPS1_EviT_PT9_S7_lS9_S7_lPT10_S7_li
		.amdhsa_group_segment_fixed_size 8192
		.amdhsa_private_segment_fixed_size 0
		.amdhsa_kernarg_size 84
		.amdhsa_user_sgpr_count 13
		.amdhsa_user_sgpr_dispatch_ptr 0
		.amdhsa_user_sgpr_queue_ptr 0
		.amdhsa_user_sgpr_kernarg_segment_ptr 1
		.amdhsa_user_sgpr_dispatch_id 0
		.amdhsa_user_sgpr_private_segment_size 0
		.amdhsa_wavefront_size32 1
		.amdhsa_uses_dynamic_stack 0
		.amdhsa_enable_private_segment 0
		.amdhsa_system_sgpr_workgroup_id_x 1
		.amdhsa_system_sgpr_workgroup_id_y 1
		.amdhsa_system_sgpr_workgroup_id_z 1
		.amdhsa_system_sgpr_workgroup_info 0
		.amdhsa_system_vgpr_workitem_id 1
		.amdhsa_next_free_vgpr 118
		.amdhsa_next_free_sgpr 20
		.amdhsa_reserve_vcc 1
		.amdhsa_float_round_mode_32 0
		.amdhsa_float_round_mode_16_64 0
		.amdhsa_float_denorm_mode_32 3
		.amdhsa_float_denorm_mode_16_64 3
		.amdhsa_dx10_clamp 1
		.amdhsa_ieee_mode 1
		.amdhsa_fp16_overflow 0
		.amdhsa_workgroup_processor_mode 1
		.amdhsa_memory_ordered 1
		.amdhsa_forward_progress 0
		.amdhsa_shared_vgpr_count 0
		.amdhsa_exception_fp_ieee_invalid_op 0
		.amdhsa_exception_fp_denorm_src 0
		.amdhsa_exception_fp_ieee_div_zero 0
		.amdhsa_exception_fp_ieee_overflow 0
		.amdhsa_exception_fp_ieee_underflow 0
		.amdhsa_exception_fp_ieee_inexact 0
		.amdhsa_exception_int_div_zero 0
	.end_amdhsa_kernel
	.section	.text._ZL37rocblas_syrkx_herkx_restricted_kernelIi19rocblas_complex_numIdELi16ELi32ELi8ELi1ELi1ELb0ELc78ELc85EKPKS1_KPS1_EviT_PT9_S7_lS9_S7_lPT10_S7_li,"axG",@progbits,_ZL37rocblas_syrkx_herkx_restricted_kernelIi19rocblas_complex_numIdELi16ELi32ELi8ELi1ELi1ELb0ELc78ELc85EKPKS1_KPS1_EviT_PT9_S7_lS9_S7_lPT10_S7_li,comdat
.Lfunc_end700:
	.size	_ZL37rocblas_syrkx_herkx_restricted_kernelIi19rocblas_complex_numIdELi16ELi32ELi8ELi1ELi1ELb0ELc78ELc85EKPKS1_KPS1_EviT_PT9_S7_lS9_S7_lPT10_S7_li, .Lfunc_end700-_ZL37rocblas_syrkx_herkx_restricted_kernelIi19rocblas_complex_numIdELi16ELi32ELi8ELi1ELi1ELb0ELc78ELc85EKPKS1_KPS1_EviT_PT9_S7_lS9_S7_lPT10_S7_li
                                        ; -- End function
	.section	.AMDGPU.csdata,"",@progbits
; Kernel info:
; codeLenInByte = 2972
; NumSgprs: 22
; NumVgprs: 118
; ScratchSize: 0
; MemoryBound: 0
; FloatMode: 240
; IeeeMode: 1
; LDSByteSize: 8192 bytes/workgroup (compile time only)
; SGPRBlocks: 2
; VGPRBlocks: 14
; NumSGPRsForWavesPerEU: 22
; NumVGPRsForWavesPerEU: 118
; Occupancy: 12
; WaveLimiterHint : 1
; COMPUTE_PGM_RSRC2:SCRATCH_EN: 0
; COMPUTE_PGM_RSRC2:USER_SGPR: 13
; COMPUTE_PGM_RSRC2:TRAP_HANDLER: 0
; COMPUTE_PGM_RSRC2:TGID_X_EN: 1
; COMPUTE_PGM_RSRC2:TGID_Y_EN: 1
; COMPUTE_PGM_RSRC2:TGID_Z_EN: 1
; COMPUTE_PGM_RSRC2:TIDIG_COMP_CNT: 1
	.section	.text._ZL37rocblas_syrkx_herkx_restricted_kernelIi19rocblas_complex_numIdELi16ELi32ELi8ELi1ELin1ELb0ELc84ELc76EKPKS1_KPS1_EviT_PT9_S7_lS9_S7_lPT10_S7_li,"axG",@progbits,_ZL37rocblas_syrkx_herkx_restricted_kernelIi19rocblas_complex_numIdELi16ELi32ELi8ELi1ELin1ELb0ELc84ELc76EKPKS1_KPS1_EviT_PT9_S7_lS9_S7_lPT10_S7_li,comdat
	.globl	_ZL37rocblas_syrkx_herkx_restricted_kernelIi19rocblas_complex_numIdELi16ELi32ELi8ELi1ELin1ELb0ELc84ELc76EKPKS1_KPS1_EviT_PT9_S7_lS9_S7_lPT10_S7_li ; -- Begin function _ZL37rocblas_syrkx_herkx_restricted_kernelIi19rocblas_complex_numIdELi16ELi32ELi8ELi1ELin1ELb0ELc84ELc76EKPKS1_KPS1_EviT_PT9_S7_lS9_S7_lPT10_S7_li
	.p2align	8
	.type	_ZL37rocblas_syrkx_herkx_restricted_kernelIi19rocblas_complex_numIdELi16ELi32ELi8ELi1ELin1ELb0ELc84ELc76EKPKS1_KPS1_EviT_PT9_S7_lS9_S7_lPT10_S7_li,@function
_ZL37rocblas_syrkx_herkx_restricted_kernelIi19rocblas_complex_numIdELi16ELi32ELi8ELi1ELin1ELb0ELc84ELc76EKPKS1_KPS1_EviT_PT9_S7_lS9_S7_lPT10_S7_li: ; @_ZL37rocblas_syrkx_herkx_restricted_kernelIi19rocblas_complex_numIdELi16ELi32ELi8ELi1ELin1ELb0ELc84ELc76EKPKS1_KPS1_EviT_PT9_S7_lS9_S7_lPT10_S7_li
; %bb.0:
	s_clause 0x1
	s_load_b64 s[2:3], s[0:1], 0x38
	s_load_b64 s[4:5], s[0:1], 0x0
	s_mov_b32 s6, s15
	s_mov_b32 s7, 0
	v_mov_b32_e32 v16, 0
	s_lshl_b64 s[8:9], s[6:7], 3
	v_dual_mov_b32 v17, 0 :: v_dual_and_b32 v20, 0x3ff, v0
	v_bfe_u32 v21, v0, 10, 10
	s_delay_alu instid0(VALU_DEP_3) | instskip(NEXT) | instid1(VALU_DEP_3)
	v_mov_b32_e32 v14, v16
	v_dual_mov_b32 v12, v16 :: v_dual_mov_b32 v13, v17
	v_dual_mov_b32 v19, v17 :: v_dual_mov_b32 v18, v16
	;; [unrolled: 1-line block ×5, first 2 shown]
	v_mov_b32_e32 v7, v17
	s_waitcnt lgkmcnt(0)
	s_add_u32 s2, s2, s8
	s_addc_u32 s3, s3, s9
	v_dual_mov_b32 v4, v16 :: v_dual_mov_b32 v5, v17
	s_load_b64 s[2:3], s[2:3], 0x0
	s_lshl_b32 s6, s13, 5
	s_lshl_b32 s10, s14, 5
	s_cmp_lt_i32 s5, 1
	s_cbranch_scc1 .LBB701_3
; %bb.1:
	s_clause 0x3
	s_load_b64 s[12:13], s[0:1], 0x8
	s_load_b64 s[14:15], s[0:1], 0x20
	s_load_b32 s11, s[0:1], 0x10
	s_load_b32 s16, s[0:1], 0x28
	v_lshl_add_u32 v2, v21, 4, v20
	v_dual_mov_b32 v1, 0 :: v_dual_and_b32 v0, 7, v20
	v_mov_b32_e32 v4, 0
	v_dual_mov_b32 v5, 0 :: v_dual_lshlrev_b32 v22, 4, v20
	s_delay_alu instid0(VALU_DEP_4)
	v_and_b32_e32 v7, 31, v2
	v_lshrrev_b32_e32 v6, 3, v2
	v_lshrrev_b32_e32 v2, 5, v2
	v_mov_b32_e32 v3, v1
	v_lshl_add_u32 v23, v21, 7, 0x1000
	v_add_nc_u32_e32 v10, s6, v7
	v_dual_mov_b32 v15, v5 :: v_dual_add_nc_u32 v12, s10, v6
	v_dual_mov_b32 v14, v4 :: v_dual_mov_b32 v19, v5
	v_mov_b32_e32 v18, v4
	s_waitcnt lgkmcnt(0)
	s_add_u32 s12, s12, s8
	s_addc_u32 s13, s13, s9
	s_add_u32 s8, s14, s8
	s_load_b64 s[12:13], s[12:13], 0x0
	s_addc_u32 s9, s15, s9
	v_mad_i64_i32 v[8:9], null, s11, v10, v[2:3]
	s_load_b64 s[8:9], s[8:9], 0x0
	v_lshlrev_b32_e32 v3, 4, v0
	v_mad_i64_i32 v[10:11], null, s16, v12, v[0:1]
	v_dual_mov_b32 v17, v5 :: v_dual_lshlrev_b32 v12, 4, v7
	v_mov_b32_e32 v16, v4
	s_delay_alu instid0(VALU_DEP_4) | instskip(SKIP_3) | instid1(VALU_DEP_4)
	v_lshl_or_b32 v3, v6, 7, v3
	v_lshlrev_b64 v[0:1], 4, v[8:9]
	v_dual_mov_b32 v9, v5 :: v_dual_mov_b32 v8, v4
	v_lshl_or_b32 v24, v2, 9, v12
	v_add_nc_u32_e32 v25, 0x1000, v3
	v_lshlrev_b64 v[2:3], 4, v[10:11]
	v_dual_mov_b32 v7, v5 :: v_dual_mov_b32 v6, v4
	s_waitcnt lgkmcnt(0)
	v_add_co_u32 v0, vcc_lo, v0, s12
	v_add_co_ci_u32_e32 v1, vcc_lo, s13, v1, vcc_lo
	s_delay_alu instid0(VALU_DEP_4) | instskip(SKIP_1) | instid1(VALU_DEP_4)
	v_add_co_u32 v2, vcc_lo, v2, s8
	v_add_co_ci_u32_e32 v3, vcc_lo, s9, v3, vcc_lo
	v_add_co_u32 v0, vcc_lo, v0, 8
	s_delay_alu instid0(VALU_DEP_4) | instskip(NEXT) | instid1(VALU_DEP_4)
	v_add_co_ci_u32_e32 v1, vcc_lo, 0, v1, vcc_lo
	v_add_co_u32 v2, vcc_lo, v2, 8
	s_delay_alu instid0(VALU_DEP_4)
	v_add_co_ci_u32_e32 v3, vcc_lo, 0, v3, vcc_lo
	v_dual_mov_b32 v11, v5 :: v_dual_mov_b32 v10, v4
	v_dual_mov_b32 v13, v5 :: v_dual_mov_b32 v12, v4
.LBB701_2:                              ; =>This Inner Loop Header: Depth=1
	global_load_b128 v[26:29], v[0:1], off offset:-8
	global_load_b128 v[30:33], v[2:3], off offset:-8
	v_add_co_u32 v0, vcc_lo, 0x80, v0
	v_add_co_ci_u32_e32 v1, vcc_lo, 0, v1, vcc_lo
	v_add_co_u32 v2, vcc_lo, 0x80, v2
	v_add_co_ci_u32_e32 v3, vcc_lo, 0, v3, vcc_lo
	s_add_i32 s7, s7, 8
	s_waitcnt vmcnt(1)
	ds_store_b128 v24, v[26:29]
	s_waitcnt vmcnt(0)
	ds_store_b128 v25, v[30:33]
	s_waitcnt lgkmcnt(0)
	s_barrier
	buffer_gl0_inv
	ds_load_b128 v[26:29], v23
	ds_load_b128 v[30:33], v22
	ds_load_b128 v[34:37], v22 offset:256
	ds_load_b128 v[38:41], v23 offset:2048
	;; [unrolled: 1-line block ×13, first 2 shown]
	s_cmp_ge_i32 s7, s5
	s_waitcnt lgkmcnt(13)
	v_mul_f64 v[86:87], v[28:29], v[32:33]
	v_mul_f64 v[88:89], v[26:27], v[32:33]
	s_waitcnt lgkmcnt(12)
	v_mul_f64 v[90:91], v[28:29], v[36:37]
	v_mul_f64 v[92:93], v[26:27], v[36:37]
	;; [unrolled: 3-line block ×3, first 2 shown]
	v_mul_f64 v[96:97], v[40:41], v[36:37]
	v_mul_f64 v[36:37], v[38:39], v[36:37]
	s_waitcnt lgkmcnt(8)
	v_mul_f64 v[98:99], v[44:45], v[52:53]
	v_mul_f64 v[100:101], v[42:43], v[52:53]
	s_waitcnt lgkmcnt(7)
	v_mul_f64 v[102:103], v[44:45], v[56:57]
	v_mul_f64 v[104:105], v[42:43], v[56:57]
	;; [unrolled: 1-line block ×6, first 2 shown]
	s_waitcnt lgkmcnt(3)
	v_mul_f64 v[112:113], v[58:59], v[72:73]
	s_waitcnt lgkmcnt(2)
	v_mul_f64 v[114:115], v[76:77], v[68:69]
	v_mul_f64 v[116:117], v[76:77], v[72:73]
	v_fma_f64 v[86:87], v[26:27], v[30:31], -v[86:87]
	v_fma_f64 v[88:89], v[28:29], v[30:31], v[88:89]
	v_fma_f64 v[90:91], v[26:27], v[34:35], -v[90:91]
	v_fma_f64 v[92:93], v[28:29], v[34:35], v[92:93]
	;; [unrolled: 2-line block ×4, first 2 shown]
	v_mul_f64 v[36:37], v[60:61], v[68:69]
	v_mul_f64 v[40:41], v[58:59], v[68:69]
	;; [unrolled: 1-line block ×5, first 2 shown]
	v_fma_f64 v[98:99], v[42:43], v[50:51], -v[98:99]
	v_fma_f64 v[100:101], v[44:45], v[50:51], v[100:101]
	v_fma_f64 v[42:43], v[42:43], v[54:55], -v[102:103]
	v_fma_f64 v[44:45], v[44:45], v[54:55], v[104:105]
	v_fma_f64 v[102:103], v[46:47], v[50:51], -v[106:107]
	v_fma_f64 v[50:51], v[48:49], v[50:51], v[52:53]
	v_fma_f64 v[46:47], v[46:47], v[54:55], -v[108:109]
	v_fma_f64 v[48:49], v[48:49], v[54:55], v[56:57]
	ds_load_b128 v[26:29], v22 offset:1792
	ds_load_b128 v[30:33], v22 offset:2048
	s_waitcnt lgkmcnt(2)
	v_mul_f64 v[56:57], v[64:65], v[84:85]
	v_add_f64 v[16:17], v[16:17], v[86:87]
	v_add_f64 v[18:19], v[18:19], v[88:89]
	;; [unrolled: 1-line block ×8, first 2 shown]
	v_mul_f64 v[86:87], v[62:63], v[84:85]
	s_waitcnt lgkmcnt(1)
	v_mul_f64 v[88:89], v[64:65], v[28:29]
	v_mul_f64 v[90:91], v[62:63], v[28:29]
	;; [unrolled: 1-line block ×6, first 2 shown]
	v_fma_f64 v[104:105], v[58:59], v[66:67], -v[36:37]
	v_fma_f64 v[106:107], v[60:61], v[66:67], v[40:41]
	v_fma_f64 v[58:59], v[58:59], v[70:71], -v[96:97]
	v_fma_f64 v[60:61], v[60:61], v[70:71], v[112:113]
	;; [unrolled: 2-line block ×4, first 2 shown]
	ds_load_b128 v[4:7], v22 offset:2304
	ds_load_b128 v[8:11], v23 offset:64
	v_fma_f64 v[56:57], v[62:63], v[82:83], -v[56:57]
	v_add_f64 v[72:73], v[16:17], v[98:99]
	v_add_f64 v[74:75], v[18:19], v[100:101]
	;; [unrolled: 1-line block ×8, first 2 shown]
	ds_load_b128 v[12:15], v23 offset:2112
	ds_load_b128 v[16:19], v23 offset:80
	;; [unrolled: 1-line block ×4, first 2 shown]
	s_waitcnt lgkmcnt(4)
	v_mul_f64 v[54:55], v[10:11], v[32:33]
	v_mul_f64 v[76:77], v[8:9], v[32:33]
	;; [unrolled: 1-line block ×4, first 2 shown]
	v_fma_f64 v[86:87], v[64:65], v[82:83], v[86:87]
	v_fma_f64 v[62:63], v[62:63], v[26:27], -v[88:89]
	v_fma_f64 v[64:65], v[64:65], v[26:27], v[90:91]
	v_fma_f64 v[88:89], v[78:79], v[82:83], -v[92:93]
	;; [unrolled: 2-line block ×3, first 2 shown]
	v_fma_f64 v[80:81], v[80:81], v[26:27], v[28:29]
	s_waitcnt lgkmcnt(3)
	v_mul_f64 v[102:103], v[14:15], v[32:33]
	v_mul_f64 v[32:33], v[12:13], v[32:33]
	;; [unrolled: 1-line block ×4, first 2 shown]
	s_waitcnt lgkmcnt(0)
	v_mul_f64 v[90:91], v[18:19], v[40:41]
	v_mul_f64 v[92:93], v[16:17], v[40:41]
	v_add_f64 v[72:73], v[72:73], v[104:105]
	v_add_f64 v[74:75], v[74:75], v[106:107]
	;; [unrolled: 1-line block ×8, first 2 shown]
	ds_load_b128 v[26:29], v22 offset:2816
	ds_load_b128 v[42:45], v22 offset:3072
	;; [unrolled: 1-line block ×4, first 2 shown]
	v_mul_f64 v[104:105], v[36:37], v[40:41]
	v_mul_f64 v[40:41], v[34:35], v[40:41]
	v_fma_f64 v[54:55], v[8:9], v[30:31], -v[54:55]
	v_fma_f64 v[76:77], v[10:11], v[30:31], v[76:77]
	v_fma_f64 v[98:99], v[8:9], v[4:5], -v[98:99]
	v_fma_f64 v[100:101], v[10:11], v[4:5], v[100:101]
	s_waitcnt lgkmcnt(3)
	v_mul_f64 v[94:95], v[18:19], v[28:29]
	v_mul_f64 v[96:97], v[16:17], v[28:29]
	v_mul_f64 v[106:107], v[36:37], v[28:29]
	v_mul_f64 v[110:111], v[34:35], v[28:29]
	v_fma_f64 v[102:103], v[12:13], v[30:31], -v[102:103]
	v_fma_f64 v[32:33], v[14:15], v[30:31], v[32:33]
	v_fma_f64 v[108:109], v[12:13], v[4:5], -v[108:109]
	v_fma_f64 v[112:113], v[14:15], v[4:5], v[6:7]
	ds_load_b128 v[4:7], v23 offset:2144
	ds_load_b128 v[8:11], v23 offset:112
	;; [unrolled: 1-line block ×4, first 2 shown]
	v_add_f64 v[56:57], v[72:73], v[56:57]
	v_add_f64 v[72:73], v[74:75], v[86:87]
	;; [unrolled: 1-line block ×8, first 2 shown]
	s_waitcnt lgkmcnt(4)
	v_mul_f64 v[70:71], v[52:53], v[44:45]
	v_mul_f64 v[74:75], v[50:51], v[44:45]
	;; [unrolled: 1-line block ×4, first 2 shown]
	s_waitcnt lgkmcnt(3)
	v_mul_f64 v[82:83], v[6:7], v[44:45]
	v_mul_f64 v[44:45], v[4:5], v[44:45]
	;; [unrolled: 1-line block ×4, first 2 shown]
	v_fma_f64 v[86:87], v[16:17], v[38:39], -v[90:91]
	v_fma_f64 v[88:89], v[18:19], v[38:39], v[92:93]
	v_fma_f64 v[90:91], v[16:17], v[26:27], -v[94:95]
	v_fma_f64 v[92:93], v[18:19], v[26:27], v[96:97]
	;; [unrolled: 2-line block ×4, first 2 shown]
	ds_load_b128 v[16:19], v22 offset:3840
	s_waitcnt lgkmcnt(0)
	s_barrier
	buffer_gl0_inv
	v_add_f64 v[36:37], v[56:57], v[54:55]
	v_add_f64 v[40:41], v[72:73], v[76:77]
	;; [unrolled: 1-line block ×8, first 2 shown]
	v_mul_f64 v[64:65], v[10:11], v[30:31]
	v_mul_f64 v[66:67], v[8:9], v[30:31]
	;; [unrolled: 1-line block ×4, first 2 shown]
	v_fma_f64 v[70:71], v[50:51], v[42:43], -v[70:71]
	v_mul_f64 v[68:69], v[10:11], v[18:19]
	v_mul_f64 v[72:73], v[8:9], v[18:19]
	;; [unrolled: 1-line block ×4, first 2 shown]
	v_fma_f64 v[74:75], v[52:53], v[42:43], v[74:75]
	v_fma_f64 v[50:51], v[50:51], v[46:47], -v[78:79]
	v_fma_f64 v[52:53], v[52:53], v[46:47], v[80:81]
	v_fma_f64 v[78:79], v[4:5], v[42:43], -v[82:83]
	;; [unrolled: 2-line block ×3, first 2 shown]
	v_fma_f64 v[6:7], v[6:7], v[46:47], v[48:49]
	v_add_f64 v[36:37], v[36:37], v[86:87]
	v_add_f64 v[40:41], v[40:41], v[88:89]
	;; [unrolled: 1-line block ×8, first 2 shown]
	v_fma_f64 v[38:39], v[8:9], v[28:29], -v[64:65]
	v_fma_f64 v[54:55], v[10:11], v[28:29], v[66:67]
	v_fma_f64 v[56:57], v[12:13], v[28:29], -v[76:77]
	v_fma_f64 v[28:29], v[14:15], v[28:29], v[30:31]
	;; [unrolled: 2-line block ×4, first 2 shown]
	v_add_f64 v[12:13], v[36:37], v[70:71]
	v_add_f64 v[14:15], v[40:41], v[74:75]
	;; [unrolled: 1-line block ×16, first 2 shown]
	s_cbranch_scc0 .LBB701_2
.LBB701_3:
	s_load_b32 s5, s[0:1], 0x40
	v_add_nc_u32_e32 v21, s10, v21
	v_add_nc_u32_e32 v0, s6, v20
	s_delay_alu instid0(VALU_DEP_1) | instskip(SKIP_1) | instid1(VALU_DEP_2)
	v_cmp_le_i32_e64 s0, v21, v0
	v_cmp_gt_i32_e32 vcc_lo, s4, v0
	s_and_b32 s0, s0, vcc_lo
	s_waitcnt lgkmcnt(0)
	v_mad_i64_i32 v[1:2], null, v21, s5, 0
	s_delay_alu instid0(VALU_DEP_1) | instskip(NEXT) | instid1(VALU_DEP_1)
	v_lshlrev_b64 v[1:2], 4, v[1:2]
	v_add_co_u32 v20, s1, s2, v1
	s_delay_alu instid0(VALU_DEP_1)
	v_add_co_ci_u32_e64 v22, s1, s3, v2, s1
	s_and_saveexec_b32 s1, s0
	s_cbranch_execz .LBB701_5
; %bb.4:
	v_ashrrev_i32_e32 v1, 31, v0
	s_delay_alu instid0(VALU_DEP_1) | instskip(NEXT) | instid1(VALU_DEP_1)
	v_lshlrev_b64 v[1:2], 4, v[0:1]
	v_add_co_u32 v1, s0, v20, v1
	s_delay_alu instid0(VALU_DEP_1)
	v_add_co_ci_u32_e64 v2, s0, v22, v2, s0
	global_load_b128 v[23:26], v[1:2], off
	s_waitcnt vmcnt(0)
	v_add_f64 v[16:17], v[16:17], -v[23:24]
	v_add_f64 v[18:19], v[18:19], -v[25:26]
	global_store_b128 v[1:2], v[16:19], off
.LBB701_5:
	s_or_b32 exec_lo, exec_lo, s1
	v_add_nc_u32_e32 v2, 16, v0
	s_delay_alu instid0(VALU_DEP_1) | instskip(SKIP_1) | instid1(VALU_DEP_1)
	v_cmp_le_i32_e64 s1, v21, v2
	v_cmp_gt_i32_e64 s0, s4, v2
	s_and_b32 s1, s1, s0
	s_delay_alu instid0(SALU_CYCLE_1)
	s_and_saveexec_b32 s4, s1
	s_cbranch_execz .LBB701_7
; %bb.6:
	v_ashrrev_i32_e32 v3, 31, v2
	s_delay_alu instid0(VALU_DEP_1) | instskip(NEXT) | instid1(VALU_DEP_1)
	v_lshlrev_b64 v[16:17], 4, v[2:3]
	v_add_co_u32 v23, s1, v20, v16
	s_delay_alu instid0(VALU_DEP_1)
	v_add_co_ci_u32_e64 v24, s1, v22, v17, s1
	global_load_b128 v[16:19], v[23:24], off
	s_waitcnt vmcnt(0)
	v_add_f64 v[14:15], v[14:15], -v[16:17]
	v_add_f64 v[16:17], v[12:13], -v[18:19]
	global_store_b128 v[23:24], v[14:17], off
.LBB701_7:
	s_or_b32 exec_lo, exec_lo, s4
	v_add_nc_u32_e32 v3, 16, v21
	s_delay_alu instid0(VALU_DEP_1) | instskip(SKIP_1) | instid1(VALU_DEP_2)
	v_mad_i64_i32 v[12:13], null, v3, s5, 0
	v_cmp_le_i32_e64 s1, v3, v0
	v_lshlrev_b64 v[12:13], 4, v[12:13]
	s_delay_alu instid0(VALU_DEP_1) | instskip(NEXT) | instid1(VALU_DEP_1)
	v_add_co_u32 v12, s2, s2, v12
	v_add_co_ci_u32_e64 v13, s2, s3, v13, s2
	s_delay_alu instid0(VALU_DEP_4) | instskip(NEXT) | instid1(SALU_CYCLE_1)
	s_and_b32 s2, s1, vcc_lo
	s_and_saveexec_b32 s1, s2
	s_cbranch_execz .LBB701_9
; %bb.8:
	v_ashrrev_i32_e32 v1, 31, v0
	s_delay_alu instid0(VALU_DEP_1) | instskip(NEXT) | instid1(VALU_DEP_1)
	v_lshlrev_b64 v[0:1], 4, v[0:1]
	v_add_co_u32 v0, vcc_lo, v12, v0
	s_delay_alu instid0(VALU_DEP_2)
	v_add_co_ci_u32_e32 v1, vcc_lo, v13, v1, vcc_lo
	global_load_b128 v[14:17], v[0:1], off
	s_waitcnt vmcnt(0)
	v_add_f64 v[14:15], v[10:11], -v[14:15]
	v_add_f64 v[16:17], v[8:9], -v[16:17]
	global_store_b128 v[0:1], v[14:17], off
.LBB701_9:
	s_or_b32 exec_lo, exec_lo, s1
	v_cmp_le_i32_e32 vcc_lo, v3, v2
	s_and_b32 s0, vcc_lo, s0
	s_delay_alu instid0(SALU_CYCLE_1)
	s_and_saveexec_b32 s1, s0
	s_cbranch_execz .LBB701_11
; %bb.10:
	v_ashrrev_i32_e32 v3, 31, v2
	s_delay_alu instid0(VALU_DEP_1) | instskip(NEXT) | instid1(VALU_DEP_1)
	v_lshlrev_b64 v[0:1], 4, v[2:3]
	v_add_co_u32 v8, vcc_lo, v12, v0
	s_delay_alu instid0(VALU_DEP_2)
	v_add_co_ci_u32_e32 v9, vcc_lo, v13, v1, vcc_lo
	global_load_b128 v[0:3], v[8:9], off
	s_waitcnt vmcnt(0)
	v_add_f64 v[0:1], v[6:7], -v[0:1]
	v_add_f64 v[2:3], v[4:5], -v[2:3]
	global_store_b128 v[8:9], v[0:3], off
.LBB701_11:
	s_nop 0
	s_sendmsg sendmsg(MSG_DEALLOC_VGPRS)
	s_endpgm
	.section	.rodata,"a",@progbits
	.p2align	6, 0x0
	.amdhsa_kernel _ZL37rocblas_syrkx_herkx_restricted_kernelIi19rocblas_complex_numIdELi16ELi32ELi8ELi1ELin1ELb0ELc84ELc76EKPKS1_KPS1_EviT_PT9_S7_lS9_S7_lPT10_S7_li
		.amdhsa_group_segment_fixed_size 8192
		.amdhsa_private_segment_fixed_size 0
		.amdhsa_kernarg_size 84
		.amdhsa_user_sgpr_count 13
		.amdhsa_user_sgpr_dispatch_ptr 0
		.amdhsa_user_sgpr_queue_ptr 0
		.amdhsa_user_sgpr_kernarg_segment_ptr 1
		.amdhsa_user_sgpr_dispatch_id 0
		.amdhsa_user_sgpr_private_segment_size 0
		.amdhsa_wavefront_size32 1
		.amdhsa_uses_dynamic_stack 0
		.amdhsa_enable_private_segment 0
		.amdhsa_system_sgpr_workgroup_id_x 1
		.amdhsa_system_sgpr_workgroup_id_y 1
		.amdhsa_system_sgpr_workgroup_id_z 1
		.amdhsa_system_sgpr_workgroup_info 0
		.amdhsa_system_vgpr_workitem_id 1
		.amdhsa_next_free_vgpr 118
		.amdhsa_next_free_sgpr 17
		.amdhsa_reserve_vcc 1
		.amdhsa_float_round_mode_32 0
		.amdhsa_float_round_mode_16_64 0
		.amdhsa_float_denorm_mode_32 3
		.amdhsa_float_denorm_mode_16_64 3
		.amdhsa_dx10_clamp 1
		.amdhsa_ieee_mode 1
		.amdhsa_fp16_overflow 0
		.amdhsa_workgroup_processor_mode 1
		.amdhsa_memory_ordered 1
		.amdhsa_forward_progress 0
		.amdhsa_shared_vgpr_count 0
		.amdhsa_exception_fp_ieee_invalid_op 0
		.amdhsa_exception_fp_denorm_src 0
		.amdhsa_exception_fp_ieee_div_zero 0
		.amdhsa_exception_fp_ieee_overflow 0
		.amdhsa_exception_fp_ieee_underflow 0
		.amdhsa_exception_fp_ieee_inexact 0
		.amdhsa_exception_int_div_zero 0
	.end_amdhsa_kernel
	.section	.text._ZL37rocblas_syrkx_herkx_restricted_kernelIi19rocblas_complex_numIdELi16ELi32ELi8ELi1ELin1ELb0ELc84ELc76EKPKS1_KPS1_EviT_PT9_S7_lS9_S7_lPT10_S7_li,"axG",@progbits,_ZL37rocblas_syrkx_herkx_restricted_kernelIi19rocblas_complex_numIdELi16ELi32ELi8ELi1ELin1ELb0ELc84ELc76EKPKS1_KPS1_EviT_PT9_S7_lS9_S7_lPT10_S7_li,comdat
.Lfunc_end701:
	.size	_ZL37rocblas_syrkx_herkx_restricted_kernelIi19rocblas_complex_numIdELi16ELi32ELi8ELi1ELin1ELb0ELc84ELc76EKPKS1_KPS1_EviT_PT9_S7_lS9_S7_lPT10_S7_li, .Lfunc_end701-_ZL37rocblas_syrkx_herkx_restricted_kernelIi19rocblas_complex_numIdELi16ELi32ELi8ELi1ELin1ELb0ELc84ELc76EKPKS1_KPS1_EviT_PT9_S7_lS9_S7_lPT10_S7_li
                                        ; -- End function
	.section	.AMDGPU.csdata,"",@progbits
; Kernel info:
; codeLenInByte = 2968
; NumSgprs: 19
; NumVgprs: 118
; ScratchSize: 0
; MemoryBound: 0
; FloatMode: 240
; IeeeMode: 1
; LDSByteSize: 8192 bytes/workgroup (compile time only)
; SGPRBlocks: 2
; VGPRBlocks: 14
; NumSGPRsForWavesPerEU: 19
; NumVGPRsForWavesPerEU: 118
; Occupancy: 12
; WaveLimiterHint : 1
; COMPUTE_PGM_RSRC2:SCRATCH_EN: 0
; COMPUTE_PGM_RSRC2:USER_SGPR: 13
; COMPUTE_PGM_RSRC2:TRAP_HANDLER: 0
; COMPUTE_PGM_RSRC2:TGID_X_EN: 1
; COMPUTE_PGM_RSRC2:TGID_Y_EN: 1
; COMPUTE_PGM_RSRC2:TGID_Z_EN: 1
; COMPUTE_PGM_RSRC2:TIDIG_COMP_CNT: 1
	.section	.text._ZL37rocblas_syrkx_herkx_restricted_kernelIi19rocblas_complex_numIdELi16ELi32ELi8ELi1ELin1ELb0ELc67ELc76EKPKS1_KPS1_EviT_PT9_S7_lS9_S7_lPT10_S7_li,"axG",@progbits,_ZL37rocblas_syrkx_herkx_restricted_kernelIi19rocblas_complex_numIdELi16ELi32ELi8ELi1ELin1ELb0ELc67ELc76EKPKS1_KPS1_EviT_PT9_S7_lS9_S7_lPT10_S7_li,comdat
	.globl	_ZL37rocblas_syrkx_herkx_restricted_kernelIi19rocblas_complex_numIdELi16ELi32ELi8ELi1ELin1ELb0ELc67ELc76EKPKS1_KPS1_EviT_PT9_S7_lS9_S7_lPT10_S7_li ; -- Begin function _ZL37rocblas_syrkx_herkx_restricted_kernelIi19rocblas_complex_numIdELi16ELi32ELi8ELi1ELin1ELb0ELc67ELc76EKPKS1_KPS1_EviT_PT9_S7_lS9_S7_lPT10_S7_li
	.p2align	8
	.type	_ZL37rocblas_syrkx_herkx_restricted_kernelIi19rocblas_complex_numIdELi16ELi32ELi8ELi1ELin1ELb0ELc67ELc76EKPKS1_KPS1_EviT_PT9_S7_lS9_S7_lPT10_S7_li,@function
_ZL37rocblas_syrkx_herkx_restricted_kernelIi19rocblas_complex_numIdELi16ELi32ELi8ELi1ELin1ELb0ELc67ELc76EKPKS1_KPS1_EviT_PT9_S7_lS9_S7_lPT10_S7_li: ; @_ZL37rocblas_syrkx_herkx_restricted_kernelIi19rocblas_complex_numIdELi16ELi32ELi8ELi1ELin1ELb0ELc67ELc76EKPKS1_KPS1_EviT_PT9_S7_lS9_S7_lPT10_S7_li
; %bb.0:
	s_clause 0x1
	s_load_b64 s[2:3], s[0:1], 0x38
	s_load_b64 s[4:5], s[0:1], 0x0
	s_mov_b32 s6, s15
	s_mov_b32 s7, 0
	v_mov_b32_e32 v16, 0
	s_lshl_b64 s[8:9], s[6:7], 3
	v_dual_mov_b32 v17, 0 :: v_dual_and_b32 v20, 0x3ff, v0
	v_bfe_u32 v21, v0, 10, 10
	s_delay_alu instid0(VALU_DEP_3) | instskip(NEXT) | instid1(VALU_DEP_3)
	v_mov_b32_e32 v14, v16
	v_dual_mov_b32 v12, v16 :: v_dual_mov_b32 v13, v17
	v_dual_mov_b32 v19, v17 :: v_dual_mov_b32 v18, v16
	;; [unrolled: 1-line block ×5, first 2 shown]
	v_mov_b32_e32 v7, v17
	s_waitcnt lgkmcnt(0)
	s_add_u32 s2, s2, s8
	s_addc_u32 s3, s3, s9
	v_dual_mov_b32 v4, v16 :: v_dual_mov_b32 v5, v17
	s_load_b64 s[2:3], s[2:3], 0x0
	s_lshl_b32 s6, s13, 5
	s_lshl_b32 s10, s14, 5
	s_cmp_lt_i32 s5, 1
	s_cbranch_scc1 .LBB702_3
; %bb.1:
	s_clause 0x3
	s_load_b64 s[12:13], s[0:1], 0x8
	s_load_b64 s[14:15], s[0:1], 0x20
	s_load_b32 s11, s[0:1], 0x10
	s_load_b32 s16, s[0:1], 0x28
	v_lshl_add_u32 v2, v21, 4, v20
	v_dual_mov_b32 v1, 0 :: v_dual_and_b32 v0, 7, v20
	v_mov_b32_e32 v4, 0
	v_dual_mov_b32 v5, 0 :: v_dual_lshlrev_b32 v22, 4, v20
	s_delay_alu instid0(VALU_DEP_4)
	v_and_b32_e32 v7, 31, v2
	v_lshrrev_b32_e32 v6, 3, v2
	v_lshrrev_b32_e32 v2, 5, v2
	v_mov_b32_e32 v3, v1
	v_lshl_add_u32 v23, v21, 7, 0x1000
	v_add_nc_u32_e32 v10, s6, v7
	v_dual_mov_b32 v15, v5 :: v_dual_add_nc_u32 v12, s10, v6
	v_dual_mov_b32 v14, v4 :: v_dual_mov_b32 v19, v5
	v_mov_b32_e32 v18, v4
	s_waitcnt lgkmcnt(0)
	s_add_u32 s12, s12, s8
	s_addc_u32 s13, s13, s9
	s_add_u32 s8, s14, s8
	s_load_b64 s[12:13], s[12:13], 0x0
	s_addc_u32 s9, s15, s9
	v_mad_i64_i32 v[8:9], null, s11, v10, v[2:3]
	s_load_b64 s[8:9], s[8:9], 0x0
	v_lshlrev_b32_e32 v3, 4, v0
	v_mad_i64_i32 v[10:11], null, s16, v12, v[0:1]
	v_dual_mov_b32 v17, v5 :: v_dual_lshlrev_b32 v12, 4, v7
	v_mov_b32_e32 v16, v4
	s_delay_alu instid0(VALU_DEP_4) | instskip(SKIP_3) | instid1(VALU_DEP_4)
	v_lshl_or_b32 v3, v6, 7, v3
	v_lshlrev_b64 v[0:1], 4, v[8:9]
	v_dual_mov_b32 v9, v5 :: v_dual_mov_b32 v8, v4
	v_lshl_or_b32 v24, v2, 9, v12
	v_add_nc_u32_e32 v25, 0x1000, v3
	v_lshlrev_b64 v[2:3], 4, v[10:11]
	v_dual_mov_b32 v7, v5 :: v_dual_mov_b32 v6, v4
	s_waitcnt lgkmcnt(0)
	v_add_co_u32 v0, vcc_lo, v0, s12
	v_add_co_ci_u32_e32 v1, vcc_lo, s13, v1, vcc_lo
	s_delay_alu instid0(VALU_DEP_4) | instskip(SKIP_1) | instid1(VALU_DEP_4)
	v_add_co_u32 v2, vcc_lo, v2, s8
	v_add_co_ci_u32_e32 v3, vcc_lo, s9, v3, vcc_lo
	v_add_co_u32 v0, vcc_lo, v0, 8
	s_delay_alu instid0(VALU_DEP_4) | instskip(NEXT) | instid1(VALU_DEP_4)
	v_add_co_ci_u32_e32 v1, vcc_lo, 0, v1, vcc_lo
	v_add_co_u32 v2, vcc_lo, v2, 8
	s_delay_alu instid0(VALU_DEP_4)
	v_add_co_ci_u32_e32 v3, vcc_lo, 0, v3, vcc_lo
	v_dual_mov_b32 v11, v5 :: v_dual_mov_b32 v10, v4
	v_dual_mov_b32 v13, v5 :: v_dual_mov_b32 v12, v4
.LBB702_2:                              ; =>This Inner Loop Header: Depth=1
	global_load_b128 v[26:29], v[0:1], off offset:-8
	global_load_b128 v[30:33], v[2:3], off offset:-8
	v_add_co_u32 v0, vcc_lo, 0x80, v0
	v_add_co_ci_u32_e32 v1, vcc_lo, 0, v1, vcc_lo
	v_add_co_u32 v2, vcc_lo, 0x80, v2
	v_add_co_ci_u32_e32 v3, vcc_lo, 0, v3, vcc_lo
	s_add_i32 s7, s7, 8
	s_waitcnt vmcnt(1)
	ds_store_b128 v24, v[26:29]
	s_waitcnt vmcnt(0)
	ds_store_b128 v25, v[30:33]
	s_waitcnt lgkmcnt(0)
	s_barrier
	buffer_gl0_inv
	ds_load_b128 v[26:29], v23
	ds_load_b128 v[30:33], v22
	ds_load_b128 v[34:37], v22 offset:256
	ds_load_b128 v[38:41], v23 offset:2048
	;; [unrolled: 1-line block ×13, first 2 shown]
	s_cmp_ge_i32 s7, s5
	s_waitcnt lgkmcnt(13)
	v_mul_f64 v[86:87], v[28:29], v[32:33]
	v_mul_f64 v[88:89], v[26:27], v[32:33]
	s_waitcnt lgkmcnt(12)
	v_mul_f64 v[90:91], v[28:29], v[36:37]
	v_mul_f64 v[92:93], v[26:27], v[36:37]
	;; [unrolled: 3-line block ×3, first 2 shown]
	v_mul_f64 v[96:97], v[40:41], v[36:37]
	v_mul_f64 v[36:37], v[38:39], v[36:37]
	s_waitcnt lgkmcnt(8)
	v_mul_f64 v[98:99], v[44:45], v[52:53]
	v_mul_f64 v[100:101], v[42:43], v[52:53]
	s_waitcnt lgkmcnt(7)
	v_mul_f64 v[102:103], v[44:45], v[56:57]
	v_mul_f64 v[104:105], v[42:43], v[56:57]
	;; [unrolled: 1-line block ×6, first 2 shown]
	s_waitcnt lgkmcnt(3)
	v_mul_f64 v[112:113], v[58:59], v[72:73]
	s_waitcnt lgkmcnt(2)
	v_mul_f64 v[114:115], v[76:77], v[68:69]
	v_mul_f64 v[116:117], v[76:77], v[72:73]
	v_fma_f64 v[86:87], v[26:27], v[30:31], -v[86:87]
	v_fma_f64 v[88:89], v[28:29], v[30:31], v[88:89]
	v_fma_f64 v[90:91], v[26:27], v[34:35], -v[90:91]
	v_fma_f64 v[92:93], v[28:29], v[34:35], v[92:93]
	;; [unrolled: 2-line block ×4, first 2 shown]
	v_mul_f64 v[36:37], v[60:61], v[68:69]
	v_mul_f64 v[40:41], v[58:59], v[68:69]
	;; [unrolled: 1-line block ×5, first 2 shown]
	v_fma_f64 v[98:99], v[42:43], v[50:51], -v[98:99]
	v_fma_f64 v[100:101], v[44:45], v[50:51], v[100:101]
	v_fma_f64 v[42:43], v[42:43], v[54:55], -v[102:103]
	v_fma_f64 v[44:45], v[44:45], v[54:55], v[104:105]
	;; [unrolled: 2-line block ×4, first 2 shown]
	ds_load_b128 v[26:29], v22 offset:1792
	ds_load_b128 v[30:33], v22 offset:2048
	s_waitcnt lgkmcnt(2)
	v_mul_f64 v[56:57], v[64:65], v[84:85]
	v_add_f64 v[16:17], v[16:17], v[86:87]
	v_add_f64 v[18:19], v[18:19], v[88:89]
	;; [unrolled: 1-line block ×8, first 2 shown]
	v_mul_f64 v[86:87], v[62:63], v[84:85]
	s_waitcnt lgkmcnt(1)
	v_mul_f64 v[88:89], v[64:65], v[28:29]
	v_mul_f64 v[90:91], v[62:63], v[28:29]
	;; [unrolled: 1-line block ×6, first 2 shown]
	v_fma_f64 v[104:105], v[58:59], v[66:67], -v[36:37]
	v_fma_f64 v[106:107], v[60:61], v[66:67], v[40:41]
	v_fma_f64 v[58:59], v[58:59], v[70:71], -v[96:97]
	v_fma_f64 v[60:61], v[60:61], v[70:71], v[112:113]
	;; [unrolled: 2-line block ×4, first 2 shown]
	ds_load_b128 v[4:7], v22 offset:2304
	ds_load_b128 v[8:11], v23 offset:64
	v_fma_f64 v[56:57], v[62:63], v[82:83], -v[56:57]
	v_add_f64 v[72:73], v[16:17], v[98:99]
	v_add_f64 v[74:75], v[18:19], v[100:101]
	;; [unrolled: 1-line block ×8, first 2 shown]
	ds_load_b128 v[12:15], v23 offset:2112
	ds_load_b128 v[16:19], v23 offset:80
	;; [unrolled: 1-line block ×4, first 2 shown]
	s_waitcnt lgkmcnt(4)
	v_mul_f64 v[54:55], v[10:11], v[32:33]
	v_mul_f64 v[76:77], v[8:9], v[32:33]
	;; [unrolled: 1-line block ×4, first 2 shown]
	v_fma_f64 v[86:87], v[64:65], v[82:83], v[86:87]
	v_fma_f64 v[62:63], v[62:63], v[26:27], -v[88:89]
	v_fma_f64 v[64:65], v[64:65], v[26:27], v[90:91]
	v_fma_f64 v[88:89], v[78:79], v[82:83], -v[92:93]
	;; [unrolled: 2-line block ×3, first 2 shown]
	v_fma_f64 v[80:81], v[80:81], v[26:27], v[28:29]
	s_waitcnt lgkmcnt(3)
	v_mul_f64 v[102:103], v[14:15], v[32:33]
	v_mul_f64 v[32:33], v[12:13], v[32:33]
	;; [unrolled: 1-line block ×4, first 2 shown]
	s_waitcnt lgkmcnt(0)
	v_mul_f64 v[90:91], v[18:19], v[40:41]
	v_mul_f64 v[92:93], v[16:17], v[40:41]
	v_add_f64 v[72:73], v[72:73], v[104:105]
	v_add_f64 v[74:75], v[74:75], v[106:107]
	v_add_f64 v[58:59], v[42:43], v[58:59]
	v_add_f64 v[60:61], v[44:45], v[60:61]
	v_add_f64 v[84:85], v[52:53], v[96:97]
	v_add_f64 v[66:67], v[50:51], v[66:67]
	v_add_f64 v[68:69], v[46:47], v[68:69]
	v_add_f64 v[70:71], v[48:49], v[70:71]
	ds_load_b128 v[26:29], v22 offset:2816
	ds_load_b128 v[42:45], v22 offset:3072
	;; [unrolled: 1-line block ×4, first 2 shown]
	v_mul_f64 v[104:105], v[36:37], v[40:41]
	v_mul_f64 v[40:41], v[34:35], v[40:41]
	v_fma_f64 v[54:55], v[8:9], v[30:31], -v[54:55]
	v_fma_f64 v[76:77], v[10:11], v[30:31], v[76:77]
	v_fma_f64 v[98:99], v[8:9], v[4:5], -v[98:99]
	v_fma_f64 v[100:101], v[10:11], v[4:5], v[100:101]
	s_waitcnt lgkmcnt(3)
	v_mul_f64 v[94:95], v[18:19], v[28:29]
	v_mul_f64 v[96:97], v[16:17], v[28:29]
	;; [unrolled: 1-line block ×4, first 2 shown]
	v_fma_f64 v[102:103], v[12:13], v[30:31], -v[102:103]
	v_fma_f64 v[32:33], v[14:15], v[30:31], v[32:33]
	v_fma_f64 v[108:109], v[12:13], v[4:5], -v[108:109]
	v_fma_f64 v[112:113], v[14:15], v[4:5], v[6:7]
	ds_load_b128 v[4:7], v23 offset:2144
	ds_load_b128 v[8:11], v23 offset:112
	;; [unrolled: 1-line block ×4, first 2 shown]
	v_add_f64 v[56:57], v[72:73], v[56:57]
	v_add_f64 v[72:73], v[74:75], v[86:87]
	v_add_f64 v[58:59], v[58:59], v[62:63]
	v_add_f64 v[60:61], v[60:61], v[64:65]
	v_add_f64 v[62:63], v[84:85], v[88:89]
	v_add_f64 v[64:65], v[66:67], v[82:83]
	v_add_f64 v[66:67], v[68:69], v[78:79]
	v_add_f64 v[68:69], v[70:71], v[80:81]
	s_waitcnt lgkmcnt(4)
	v_mul_f64 v[70:71], v[52:53], v[44:45]
	v_mul_f64 v[74:75], v[50:51], v[44:45]
	;; [unrolled: 1-line block ×4, first 2 shown]
	s_waitcnt lgkmcnt(3)
	v_mul_f64 v[82:83], v[6:7], v[44:45]
	v_mul_f64 v[44:45], v[4:5], v[44:45]
	;; [unrolled: 1-line block ×4, first 2 shown]
	v_fma_f64 v[86:87], v[16:17], v[38:39], -v[90:91]
	v_fma_f64 v[88:89], v[18:19], v[38:39], v[92:93]
	v_fma_f64 v[90:91], v[16:17], v[26:27], -v[94:95]
	v_fma_f64 v[92:93], v[18:19], v[26:27], v[96:97]
	;; [unrolled: 2-line block ×4, first 2 shown]
	ds_load_b128 v[16:19], v22 offset:3840
	s_waitcnt lgkmcnt(0)
	s_barrier
	buffer_gl0_inv
	v_add_f64 v[36:37], v[56:57], v[54:55]
	v_add_f64 v[40:41], v[72:73], v[76:77]
	;; [unrolled: 1-line block ×8, first 2 shown]
	v_mul_f64 v[64:65], v[10:11], v[30:31]
	v_mul_f64 v[66:67], v[8:9], v[30:31]
	;; [unrolled: 1-line block ×4, first 2 shown]
	v_fma_f64 v[70:71], v[50:51], v[42:43], -v[70:71]
	v_mul_f64 v[68:69], v[10:11], v[18:19]
	v_mul_f64 v[72:73], v[8:9], v[18:19]
	;; [unrolled: 1-line block ×4, first 2 shown]
	v_fma_f64 v[74:75], v[52:53], v[42:43], v[74:75]
	v_fma_f64 v[50:51], v[50:51], v[46:47], -v[78:79]
	v_fma_f64 v[52:53], v[52:53], v[46:47], v[80:81]
	v_fma_f64 v[78:79], v[4:5], v[42:43], -v[82:83]
	;; [unrolled: 2-line block ×3, first 2 shown]
	v_fma_f64 v[6:7], v[6:7], v[46:47], v[48:49]
	v_add_f64 v[36:37], v[36:37], v[86:87]
	v_add_f64 v[40:41], v[40:41], v[88:89]
	;; [unrolled: 1-line block ×8, first 2 shown]
	v_fma_f64 v[38:39], v[8:9], v[28:29], -v[64:65]
	v_fma_f64 v[54:55], v[10:11], v[28:29], v[66:67]
	v_fma_f64 v[56:57], v[12:13], v[28:29], -v[76:77]
	v_fma_f64 v[28:29], v[14:15], v[28:29], v[30:31]
	;; [unrolled: 2-line block ×4, first 2 shown]
	v_add_f64 v[12:13], v[36:37], v[70:71]
	v_add_f64 v[14:15], v[40:41], v[74:75]
	;; [unrolled: 1-line block ×16, first 2 shown]
	s_cbranch_scc0 .LBB702_2
.LBB702_3:
	s_load_b32 s5, s[0:1], 0x40
	v_add_nc_u32_e32 v21, s10, v21
	v_add_nc_u32_e32 v0, s6, v20
	s_delay_alu instid0(VALU_DEP_1) | instskip(SKIP_1) | instid1(VALU_DEP_2)
	v_cmp_le_i32_e64 s0, v21, v0
	v_cmp_gt_i32_e32 vcc_lo, s4, v0
	s_and_b32 s0, s0, vcc_lo
	s_waitcnt lgkmcnt(0)
	v_mad_i64_i32 v[1:2], null, v21, s5, 0
	s_delay_alu instid0(VALU_DEP_1) | instskip(NEXT) | instid1(VALU_DEP_1)
	v_lshlrev_b64 v[1:2], 4, v[1:2]
	v_add_co_u32 v20, s1, s2, v1
	s_delay_alu instid0(VALU_DEP_1)
	v_add_co_ci_u32_e64 v22, s1, s3, v2, s1
	s_and_saveexec_b32 s1, s0
	s_cbranch_execz .LBB702_5
; %bb.4:
	v_ashrrev_i32_e32 v1, 31, v0
	s_delay_alu instid0(VALU_DEP_1) | instskip(NEXT) | instid1(VALU_DEP_1)
	v_lshlrev_b64 v[1:2], 4, v[0:1]
	v_add_co_u32 v1, s0, v20, v1
	s_delay_alu instid0(VALU_DEP_1)
	v_add_co_ci_u32_e64 v2, s0, v22, v2, s0
	global_load_b128 v[23:26], v[1:2], off
	s_waitcnt vmcnt(0)
	v_add_f64 v[16:17], v[16:17], -v[23:24]
	v_add_f64 v[18:19], v[18:19], -v[25:26]
	global_store_b128 v[1:2], v[16:19], off
.LBB702_5:
	s_or_b32 exec_lo, exec_lo, s1
	v_add_nc_u32_e32 v2, 16, v0
	s_delay_alu instid0(VALU_DEP_1) | instskip(SKIP_1) | instid1(VALU_DEP_1)
	v_cmp_le_i32_e64 s1, v21, v2
	v_cmp_gt_i32_e64 s0, s4, v2
	s_and_b32 s1, s1, s0
	s_delay_alu instid0(SALU_CYCLE_1)
	s_and_saveexec_b32 s4, s1
	s_cbranch_execz .LBB702_7
; %bb.6:
	v_ashrrev_i32_e32 v3, 31, v2
	s_delay_alu instid0(VALU_DEP_1) | instskip(NEXT) | instid1(VALU_DEP_1)
	v_lshlrev_b64 v[16:17], 4, v[2:3]
	v_add_co_u32 v23, s1, v20, v16
	s_delay_alu instid0(VALU_DEP_1)
	v_add_co_ci_u32_e64 v24, s1, v22, v17, s1
	global_load_b128 v[16:19], v[23:24], off
	s_waitcnt vmcnt(0)
	v_add_f64 v[14:15], v[14:15], -v[16:17]
	v_add_f64 v[16:17], v[12:13], -v[18:19]
	global_store_b128 v[23:24], v[14:17], off
.LBB702_7:
	s_or_b32 exec_lo, exec_lo, s4
	v_add_nc_u32_e32 v3, 16, v21
	s_delay_alu instid0(VALU_DEP_1) | instskip(SKIP_1) | instid1(VALU_DEP_2)
	v_mad_i64_i32 v[12:13], null, v3, s5, 0
	v_cmp_le_i32_e64 s1, v3, v0
	v_lshlrev_b64 v[12:13], 4, v[12:13]
	s_delay_alu instid0(VALU_DEP_1) | instskip(NEXT) | instid1(VALU_DEP_1)
	v_add_co_u32 v12, s2, s2, v12
	v_add_co_ci_u32_e64 v13, s2, s3, v13, s2
	s_delay_alu instid0(VALU_DEP_4) | instskip(NEXT) | instid1(SALU_CYCLE_1)
	s_and_b32 s2, s1, vcc_lo
	s_and_saveexec_b32 s1, s2
	s_cbranch_execz .LBB702_9
; %bb.8:
	v_ashrrev_i32_e32 v1, 31, v0
	s_delay_alu instid0(VALU_DEP_1) | instskip(NEXT) | instid1(VALU_DEP_1)
	v_lshlrev_b64 v[0:1], 4, v[0:1]
	v_add_co_u32 v0, vcc_lo, v12, v0
	s_delay_alu instid0(VALU_DEP_2)
	v_add_co_ci_u32_e32 v1, vcc_lo, v13, v1, vcc_lo
	global_load_b128 v[14:17], v[0:1], off
	s_waitcnt vmcnt(0)
	v_add_f64 v[14:15], v[10:11], -v[14:15]
	v_add_f64 v[16:17], v[8:9], -v[16:17]
	global_store_b128 v[0:1], v[14:17], off
.LBB702_9:
	s_or_b32 exec_lo, exec_lo, s1
	v_cmp_le_i32_e32 vcc_lo, v3, v2
	s_and_b32 s0, vcc_lo, s0
	s_delay_alu instid0(SALU_CYCLE_1)
	s_and_saveexec_b32 s1, s0
	s_cbranch_execz .LBB702_11
; %bb.10:
	v_ashrrev_i32_e32 v3, 31, v2
	s_delay_alu instid0(VALU_DEP_1) | instskip(NEXT) | instid1(VALU_DEP_1)
	v_lshlrev_b64 v[0:1], 4, v[2:3]
	v_add_co_u32 v8, vcc_lo, v12, v0
	s_delay_alu instid0(VALU_DEP_2)
	v_add_co_ci_u32_e32 v9, vcc_lo, v13, v1, vcc_lo
	global_load_b128 v[0:3], v[8:9], off
	s_waitcnt vmcnt(0)
	v_add_f64 v[0:1], v[6:7], -v[0:1]
	v_add_f64 v[2:3], v[4:5], -v[2:3]
	global_store_b128 v[8:9], v[0:3], off
.LBB702_11:
	s_nop 0
	s_sendmsg sendmsg(MSG_DEALLOC_VGPRS)
	s_endpgm
	.section	.rodata,"a",@progbits
	.p2align	6, 0x0
	.amdhsa_kernel _ZL37rocblas_syrkx_herkx_restricted_kernelIi19rocblas_complex_numIdELi16ELi32ELi8ELi1ELin1ELb0ELc67ELc76EKPKS1_KPS1_EviT_PT9_S7_lS9_S7_lPT10_S7_li
		.amdhsa_group_segment_fixed_size 8192
		.amdhsa_private_segment_fixed_size 0
		.amdhsa_kernarg_size 84
		.amdhsa_user_sgpr_count 13
		.amdhsa_user_sgpr_dispatch_ptr 0
		.amdhsa_user_sgpr_queue_ptr 0
		.amdhsa_user_sgpr_kernarg_segment_ptr 1
		.amdhsa_user_sgpr_dispatch_id 0
		.amdhsa_user_sgpr_private_segment_size 0
		.amdhsa_wavefront_size32 1
		.amdhsa_uses_dynamic_stack 0
		.amdhsa_enable_private_segment 0
		.amdhsa_system_sgpr_workgroup_id_x 1
		.amdhsa_system_sgpr_workgroup_id_y 1
		.amdhsa_system_sgpr_workgroup_id_z 1
		.amdhsa_system_sgpr_workgroup_info 0
		.amdhsa_system_vgpr_workitem_id 1
		.amdhsa_next_free_vgpr 118
		.amdhsa_next_free_sgpr 17
		.amdhsa_reserve_vcc 1
		.amdhsa_float_round_mode_32 0
		.amdhsa_float_round_mode_16_64 0
		.amdhsa_float_denorm_mode_32 3
		.amdhsa_float_denorm_mode_16_64 3
		.amdhsa_dx10_clamp 1
		.amdhsa_ieee_mode 1
		.amdhsa_fp16_overflow 0
		.amdhsa_workgroup_processor_mode 1
		.amdhsa_memory_ordered 1
		.amdhsa_forward_progress 0
		.amdhsa_shared_vgpr_count 0
		.amdhsa_exception_fp_ieee_invalid_op 0
		.amdhsa_exception_fp_denorm_src 0
		.amdhsa_exception_fp_ieee_div_zero 0
		.amdhsa_exception_fp_ieee_overflow 0
		.amdhsa_exception_fp_ieee_underflow 0
		.amdhsa_exception_fp_ieee_inexact 0
		.amdhsa_exception_int_div_zero 0
	.end_amdhsa_kernel
	.section	.text._ZL37rocblas_syrkx_herkx_restricted_kernelIi19rocblas_complex_numIdELi16ELi32ELi8ELi1ELin1ELb0ELc67ELc76EKPKS1_KPS1_EviT_PT9_S7_lS9_S7_lPT10_S7_li,"axG",@progbits,_ZL37rocblas_syrkx_herkx_restricted_kernelIi19rocblas_complex_numIdELi16ELi32ELi8ELi1ELin1ELb0ELc67ELc76EKPKS1_KPS1_EviT_PT9_S7_lS9_S7_lPT10_S7_li,comdat
.Lfunc_end702:
	.size	_ZL37rocblas_syrkx_herkx_restricted_kernelIi19rocblas_complex_numIdELi16ELi32ELi8ELi1ELin1ELb0ELc67ELc76EKPKS1_KPS1_EviT_PT9_S7_lS9_S7_lPT10_S7_li, .Lfunc_end702-_ZL37rocblas_syrkx_herkx_restricted_kernelIi19rocblas_complex_numIdELi16ELi32ELi8ELi1ELin1ELb0ELc67ELc76EKPKS1_KPS1_EviT_PT9_S7_lS9_S7_lPT10_S7_li
                                        ; -- End function
	.section	.AMDGPU.csdata,"",@progbits
; Kernel info:
; codeLenInByte = 2968
; NumSgprs: 19
; NumVgprs: 118
; ScratchSize: 0
; MemoryBound: 0
; FloatMode: 240
; IeeeMode: 1
; LDSByteSize: 8192 bytes/workgroup (compile time only)
; SGPRBlocks: 2
; VGPRBlocks: 14
; NumSGPRsForWavesPerEU: 19
; NumVGPRsForWavesPerEU: 118
; Occupancy: 12
; WaveLimiterHint : 1
; COMPUTE_PGM_RSRC2:SCRATCH_EN: 0
; COMPUTE_PGM_RSRC2:USER_SGPR: 13
; COMPUTE_PGM_RSRC2:TRAP_HANDLER: 0
; COMPUTE_PGM_RSRC2:TGID_X_EN: 1
; COMPUTE_PGM_RSRC2:TGID_Y_EN: 1
; COMPUTE_PGM_RSRC2:TGID_Z_EN: 1
; COMPUTE_PGM_RSRC2:TIDIG_COMP_CNT: 1
	.section	.text._ZL37rocblas_syrkx_herkx_restricted_kernelIi19rocblas_complex_numIdELi16ELi32ELi8ELi1ELin1ELb0ELc78ELc76EKPKS1_KPS1_EviT_PT9_S7_lS9_S7_lPT10_S7_li,"axG",@progbits,_ZL37rocblas_syrkx_herkx_restricted_kernelIi19rocblas_complex_numIdELi16ELi32ELi8ELi1ELin1ELb0ELc78ELc76EKPKS1_KPS1_EviT_PT9_S7_lS9_S7_lPT10_S7_li,comdat
	.globl	_ZL37rocblas_syrkx_herkx_restricted_kernelIi19rocblas_complex_numIdELi16ELi32ELi8ELi1ELin1ELb0ELc78ELc76EKPKS1_KPS1_EviT_PT9_S7_lS9_S7_lPT10_S7_li ; -- Begin function _ZL37rocblas_syrkx_herkx_restricted_kernelIi19rocblas_complex_numIdELi16ELi32ELi8ELi1ELin1ELb0ELc78ELc76EKPKS1_KPS1_EviT_PT9_S7_lS9_S7_lPT10_S7_li
	.p2align	8
	.type	_ZL37rocblas_syrkx_herkx_restricted_kernelIi19rocblas_complex_numIdELi16ELi32ELi8ELi1ELin1ELb0ELc78ELc76EKPKS1_KPS1_EviT_PT9_S7_lS9_S7_lPT10_S7_li,@function
_ZL37rocblas_syrkx_herkx_restricted_kernelIi19rocblas_complex_numIdELi16ELi32ELi8ELi1ELin1ELb0ELc78ELc76EKPKS1_KPS1_EviT_PT9_S7_lS9_S7_lPT10_S7_li: ; @_ZL37rocblas_syrkx_herkx_restricted_kernelIi19rocblas_complex_numIdELi16ELi32ELi8ELi1ELin1ELb0ELc78ELc76EKPKS1_KPS1_EviT_PT9_S7_lS9_S7_lPT10_S7_li
; %bb.0:
	s_clause 0x1
	s_load_b64 s[2:3], s[0:1], 0x38
	s_load_b64 s[4:5], s[0:1], 0x0
	s_mov_b32 s6, s15
	s_mov_b32 s7, 0
	v_mov_b32_e32 v16, 0
	s_lshl_b64 s[8:9], s[6:7], 3
	v_dual_mov_b32 v17, 0 :: v_dual_and_b32 v20, 0x3ff, v0
	v_bfe_u32 v21, v0, 10, 10
	s_delay_alu instid0(VALU_DEP_3) | instskip(NEXT) | instid1(VALU_DEP_3)
	v_mov_b32_e32 v14, v16
	v_dual_mov_b32 v12, v16 :: v_dual_mov_b32 v13, v17
	v_dual_mov_b32 v19, v17 :: v_dual_mov_b32 v18, v16
	;; [unrolled: 1-line block ×5, first 2 shown]
	v_mov_b32_e32 v7, v17
	s_waitcnt lgkmcnt(0)
	s_add_u32 s2, s2, s8
	s_addc_u32 s3, s3, s9
	v_dual_mov_b32 v4, v16 :: v_dual_mov_b32 v5, v17
	s_load_b64 s[2:3], s[2:3], 0x0
	s_lshl_b32 s6, s13, 5
	s_lshl_b32 s12, s14, 5
	s_cmp_lt_i32 s5, 1
	s_cbranch_scc1 .LBB703_3
; %bb.1:
	s_clause 0x3
	s_load_b32 s10, s[0:1], 0x10
	s_load_b32 s14, s[0:1], 0x28
	s_load_b64 s[16:17], s[0:1], 0x8
	s_load_b64 s[18:19], s[0:1], 0x20
	v_lshl_add_u32 v0, v21, 4, v20
	v_and_b32_e32 v10, 7, v20
	v_lshl_add_u32 v23, v21, 7, 0x1000
	v_mov_b32_e32 v4, 0
	v_mov_b32_e32 v5, 0
	v_and_b32_e32 v9, 31, v0
	v_lshrrev_b32_e32 v8, 3, v0
	v_lshlrev_b32_e32 v12, 4, v10
	v_lshrrev_b32_e32 v11, 5, v0
	s_delay_alu instid0(VALU_DEP_4) | instskip(NEXT) | instid1(VALU_DEP_4)
	v_dual_mov_b32 v15, v5 :: v_dual_add_nc_u32 v2, s6, v9
	v_add_nc_u32_e32 v0, s12, v8
	v_lshlrev_b32_e32 v9, 4, v9
	v_lshl_or_b32 v8, v8, 7, v12
	v_lshlrev_b32_e32 v22, 4, v20
	v_ashrrev_i32_e32 v3, 31, v2
	s_waitcnt lgkmcnt(0)
	s_ashr_i32 s11, s10, 31
	s_ashr_i32 s15, s14, 31
	s_add_u32 s16, s16, s8
	s_addc_u32 s17, s17, s9
	s_add_u32 s8, s18, s8
	s_load_b64 s[16:17], s[16:17], 0x0
	s_addc_u32 s9, s19, s9
	v_lshl_or_b32 v24, v11, 9, v9
	s_load_b64 s[8:9], s[8:9], 0x0
	v_add_nc_u32_e32 v25, 0x1000, v8
	v_dual_mov_b32 v9, v5 :: v_dual_mov_b32 v8, v4
	v_ashrrev_i32_e32 v1, 31, v0
	v_mad_i64_i32 v[6:7], null, s10, v11, v[2:3]
	v_dual_mov_b32 v13, v5 :: v_dual_mov_b32 v12, v4
	v_mov_b32_e32 v19, v5
	s_delay_alu instid0(VALU_DEP_4)
	v_mad_i64_i32 v[2:3], null, s14, v10, v[0:1]
	v_mov_b32_e32 v11, v5
	v_lshlrev_b64 v[0:1], 4, v[6:7]
	v_dual_mov_b32 v10, v4 :: v_dual_mov_b32 v7, v5
	v_dual_mov_b32 v14, v4 :: v_dual_mov_b32 v17, v5
	v_lshlrev_b64 v[2:3], 4, v[2:3]
	s_waitcnt lgkmcnt(0)
	s_delay_alu instid0(VALU_DEP_4) | instskip(SKIP_2) | instid1(VALU_DEP_4)
	v_add_co_u32 v0, vcc_lo, v0, s16
	v_add_co_ci_u32_e32 v1, vcc_lo, s17, v1, vcc_lo
	v_mov_b32_e32 v6, v4
	v_add_co_u32 v2, vcc_lo, v2, s8
	v_add_co_ci_u32_e32 v3, vcc_lo, s9, v3, vcc_lo
	v_add_co_u32 v0, vcc_lo, v0, 8
	v_add_co_ci_u32_e32 v1, vcc_lo, 0, v1, vcc_lo
	s_delay_alu instid0(VALU_DEP_4) | instskip(NEXT) | instid1(VALU_DEP_4)
	v_add_co_u32 v2, vcc_lo, v2, 8
	v_add_co_ci_u32_e32 v3, vcc_lo, 0, v3, vcc_lo
	v_mov_b32_e32 v18, v4
	v_mov_b32_e32 v16, v4
	s_lshl_b64 s[8:9], s[10:11], 7
	s_lshl_b64 s[10:11], s[14:15], 7
.LBB703_2:                              ; =>This Inner Loop Header: Depth=1
	global_load_b128 v[26:29], v[0:1], off offset:-8
	global_load_b128 v[30:33], v[2:3], off offset:-8
	v_add_co_u32 v0, vcc_lo, v0, s8
	v_add_co_ci_u32_e32 v1, vcc_lo, s9, v1, vcc_lo
	v_add_co_u32 v2, vcc_lo, v2, s10
	v_add_co_ci_u32_e32 v3, vcc_lo, s11, v3, vcc_lo
	s_add_i32 s7, s7, 8
	s_waitcnt vmcnt(1)
	ds_store_b128 v24, v[26:29]
	s_waitcnt vmcnt(0)
	ds_store_b128 v25, v[30:33]
	s_waitcnt lgkmcnt(0)
	s_barrier
	buffer_gl0_inv
	ds_load_b128 v[26:29], v23
	ds_load_b128 v[30:33], v22
	ds_load_b128 v[34:37], v22 offset:256
	ds_load_b128 v[38:41], v23 offset:2048
	;; [unrolled: 1-line block ×13, first 2 shown]
	s_cmp_ge_i32 s7, s5
	s_waitcnt lgkmcnt(13)
	v_mul_f64 v[86:87], v[28:29], v[32:33]
	v_mul_f64 v[88:89], v[26:27], v[32:33]
	s_waitcnt lgkmcnt(12)
	v_mul_f64 v[90:91], v[28:29], v[36:37]
	v_mul_f64 v[92:93], v[26:27], v[36:37]
	;; [unrolled: 3-line block ×3, first 2 shown]
	v_mul_f64 v[96:97], v[40:41], v[36:37]
	v_mul_f64 v[36:37], v[38:39], v[36:37]
	s_waitcnt lgkmcnt(8)
	v_mul_f64 v[98:99], v[44:45], v[52:53]
	v_mul_f64 v[100:101], v[42:43], v[52:53]
	s_waitcnt lgkmcnt(7)
	v_mul_f64 v[102:103], v[44:45], v[56:57]
	v_mul_f64 v[104:105], v[42:43], v[56:57]
	;; [unrolled: 1-line block ×6, first 2 shown]
	s_waitcnt lgkmcnt(3)
	v_mul_f64 v[112:113], v[58:59], v[72:73]
	s_waitcnt lgkmcnt(2)
	v_mul_f64 v[114:115], v[76:77], v[68:69]
	v_mul_f64 v[116:117], v[76:77], v[72:73]
	v_fma_f64 v[86:87], v[26:27], v[30:31], -v[86:87]
	v_fma_f64 v[88:89], v[28:29], v[30:31], v[88:89]
	v_fma_f64 v[90:91], v[26:27], v[34:35], -v[90:91]
	v_fma_f64 v[92:93], v[28:29], v[34:35], v[92:93]
	;; [unrolled: 2-line block ×4, first 2 shown]
	v_mul_f64 v[36:37], v[60:61], v[68:69]
	v_mul_f64 v[40:41], v[58:59], v[68:69]
	;; [unrolled: 1-line block ×5, first 2 shown]
	v_fma_f64 v[98:99], v[42:43], v[50:51], -v[98:99]
	v_fma_f64 v[100:101], v[44:45], v[50:51], v[100:101]
	v_fma_f64 v[42:43], v[42:43], v[54:55], -v[102:103]
	v_fma_f64 v[44:45], v[44:45], v[54:55], v[104:105]
	v_fma_f64 v[102:103], v[46:47], v[50:51], -v[106:107]
	v_fma_f64 v[50:51], v[48:49], v[50:51], v[52:53]
	v_fma_f64 v[46:47], v[46:47], v[54:55], -v[108:109]
	v_fma_f64 v[48:49], v[48:49], v[54:55], v[56:57]
	ds_load_b128 v[26:29], v22 offset:1792
	ds_load_b128 v[30:33], v22 offset:2048
	s_waitcnt lgkmcnt(2)
	v_mul_f64 v[56:57], v[64:65], v[84:85]
	v_add_f64 v[16:17], v[16:17], v[86:87]
	v_add_f64 v[18:19], v[18:19], v[88:89]
	;; [unrolled: 1-line block ×8, first 2 shown]
	v_mul_f64 v[86:87], v[62:63], v[84:85]
	s_waitcnt lgkmcnt(1)
	v_mul_f64 v[88:89], v[64:65], v[28:29]
	v_mul_f64 v[90:91], v[62:63], v[28:29]
	;; [unrolled: 1-line block ×6, first 2 shown]
	v_fma_f64 v[104:105], v[58:59], v[66:67], -v[36:37]
	v_fma_f64 v[106:107], v[60:61], v[66:67], v[40:41]
	v_fma_f64 v[58:59], v[58:59], v[70:71], -v[96:97]
	v_fma_f64 v[60:61], v[60:61], v[70:71], v[112:113]
	;; [unrolled: 2-line block ×4, first 2 shown]
	ds_load_b128 v[4:7], v22 offset:2304
	ds_load_b128 v[8:11], v23 offset:64
	v_fma_f64 v[56:57], v[62:63], v[82:83], -v[56:57]
	v_add_f64 v[72:73], v[16:17], v[98:99]
	v_add_f64 v[74:75], v[18:19], v[100:101]
	;; [unrolled: 1-line block ×8, first 2 shown]
	ds_load_b128 v[12:15], v23 offset:2112
	ds_load_b128 v[16:19], v23 offset:80
	;; [unrolled: 1-line block ×4, first 2 shown]
	s_waitcnt lgkmcnt(4)
	v_mul_f64 v[54:55], v[10:11], v[32:33]
	v_mul_f64 v[76:77], v[8:9], v[32:33]
	;; [unrolled: 1-line block ×4, first 2 shown]
	v_fma_f64 v[86:87], v[64:65], v[82:83], v[86:87]
	v_fma_f64 v[62:63], v[62:63], v[26:27], -v[88:89]
	v_fma_f64 v[64:65], v[64:65], v[26:27], v[90:91]
	v_fma_f64 v[88:89], v[78:79], v[82:83], -v[92:93]
	;; [unrolled: 2-line block ×3, first 2 shown]
	v_fma_f64 v[80:81], v[80:81], v[26:27], v[28:29]
	s_waitcnt lgkmcnt(3)
	v_mul_f64 v[102:103], v[14:15], v[32:33]
	v_mul_f64 v[32:33], v[12:13], v[32:33]
	;; [unrolled: 1-line block ×4, first 2 shown]
	s_waitcnt lgkmcnt(0)
	v_mul_f64 v[90:91], v[18:19], v[40:41]
	v_mul_f64 v[92:93], v[16:17], v[40:41]
	v_add_f64 v[72:73], v[72:73], v[104:105]
	v_add_f64 v[74:75], v[74:75], v[106:107]
	;; [unrolled: 1-line block ×8, first 2 shown]
	ds_load_b128 v[26:29], v22 offset:2816
	ds_load_b128 v[42:45], v22 offset:3072
	;; [unrolled: 1-line block ×4, first 2 shown]
	v_mul_f64 v[104:105], v[36:37], v[40:41]
	v_mul_f64 v[40:41], v[34:35], v[40:41]
	v_fma_f64 v[54:55], v[8:9], v[30:31], -v[54:55]
	v_fma_f64 v[76:77], v[10:11], v[30:31], v[76:77]
	v_fma_f64 v[98:99], v[8:9], v[4:5], -v[98:99]
	v_fma_f64 v[100:101], v[10:11], v[4:5], v[100:101]
	s_waitcnt lgkmcnt(3)
	v_mul_f64 v[94:95], v[18:19], v[28:29]
	v_mul_f64 v[96:97], v[16:17], v[28:29]
	v_mul_f64 v[106:107], v[36:37], v[28:29]
	v_mul_f64 v[110:111], v[34:35], v[28:29]
	v_fma_f64 v[102:103], v[12:13], v[30:31], -v[102:103]
	v_fma_f64 v[32:33], v[14:15], v[30:31], v[32:33]
	v_fma_f64 v[108:109], v[12:13], v[4:5], -v[108:109]
	v_fma_f64 v[112:113], v[14:15], v[4:5], v[6:7]
	ds_load_b128 v[4:7], v23 offset:2144
	ds_load_b128 v[8:11], v23 offset:112
	ds_load_b128 v[12:15], v23 offset:2160
	ds_load_b128 v[28:31], v22 offset:3584
	v_add_f64 v[56:57], v[72:73], v[56:57]
	v_add_f64 v[72:73], v[74:75], v[86:87]
	v_add_f64 v[58:59], v[58:59], v[62:63]
	v_add_f64 v[60:61], v[60:61], v[64:65]
	v_add_f64 v[62:63], v[84:85], v[88:89]
	v_add_f64 v[64:65], v[66:67], v[82:83]
	v_add_f64 v[66:67], v[68:69], v[78:79]
	v_add_f64 v[68:69], v[70:71], v[80:81]
	s_waitcnt lgkmcnt(4)
	v_mul_f64 v[70:71], v[52:53], v[44:45]
	v_mul_f64 v[74:75], v[50:51], v[44:45]
	v_mul_f64 v[78:79], v[52:53], v[48:49]
	v_mul_f64 v[80:81], v[50:51], v[48:49]
	s_waitcnt lgkmcnt(3)
	v_mul_f64 v[82:83], v[6:7], v[44:45]
	v_mul_f64 v[44:45], v[4:5], v[44:45]
	;; [unrolled: 1-line block ×4, first 2 shown]
	v_fma_f64 v[86:87], v[16:17], v[38:39], -v[90:91]
	v_fma_f64 v[88:89], v[18:19], v[38:39], v[92:93]
	v_fma_f64 v[90:91], v[16:17], v[26:27], -v[94:95]
	v_fma_f64 v[92:93], v[18:19], v[26:27], v[96:97]
	;; [unrolled: 2-line block ×4, first 2 shown]
	ds_load_b128 v[16:19], v22 offset:3840
	s_waitcnt lgkmcnt(0)
	s_barrier
	buffer_gl0_inv
	v_add_f64 v[36:37], v[56:57], v[54:55]
	v_add_f64 v[40:41], v[72:73], v[76:77]
	;; [unrolled: 1-line block ×8, first 2 shown]
	v_mul_f64 v[64:65], v[10:11], v[30:31]
	v_mul_f64 v[66:67], v[8:9], v[30:31]
	;; [unrolled: 1-line block ×4, first 2 shown]
	v_fma_f64 v[70:71], v[50:51], v[42:43], -v[70:71]
	v_mul_f64 v[68:69], v[10:11], v[18:19]
	v_mul_f64 v[72:73], v[8:9], v[18:19]
	;; [unrolled: 1-line block ×4, first 2 shown]
	v_fma_f64 v[74:75], v[52:53], v[42:43], v[74:75]
	v_fma_f64 v[50:51], v[50:51], v[46:47], -v[78:79]
	v_fma_f64 v[52:53], v[52:53], v[46:47], v[80:81]
	v_fma_f64 v[78:79], v[4:5], v[42:43], -v[82:83]
	;; [unrolled: 2-line block ×3, first 2 shown]
	v_fma_f64 v[6:7], v[6:7], v[46:47], v[48:49]
	v_add_f64 v[36:37], v[36:37], v[86:87]
	v_add_f64 v[40:41], v[40:41], v[88:89]
	;; [unrolled: 1-line block ×8, first 2 shown]
	v_fma_f64 v[38:39], v[8:9], v[28:29], -v[64:65]
	v_fma_f64 v[54:55], v[10:11], v[28:29], v[66:67]
	v_fma_f64 v[56:57], v[12:13], v[28:29], -v[76:77]
	v_fma_f64 v[28:29], v[14:15], v[28:29], v[30:31]
	;; [unrolled: 2-line block ×4, first 2 shown]
	v_add_f64 v[12:13], v[36:37], v[70:71]
	v_add_f64 v[14:15], v[40:41], v[74:75]
	;; [unrolled: 1-line block ×16, first 2 shown]
	s_cbranch_scc0 .LBB703_2
.LBB703_3:
	s_load_b32 s5, s[0:1], 0x40
	v_add_nc_u32_e32 v21, s12, v21
	v_add_nc_u32_e32 v0, s6, v20
	s_delay_alu instid0(VALU_DEP_1) | instskip(SKIP_1) | instid1(VALU_DEP_2)
	v_cmp_le_i32_e64 s0, v21, v0
	v_cmp_gt_i32_e32 vcc_lo, s4, v0
	s_and_b32 s0, s0, vcc_lo
	s_waitcnt lgkmcnt(0)
	v_mad_i64_i32 v[1:2], null, v21, s5, 0
	s_delay_alu instid0(VALU_DEP_1) | instskip(NEXT) | instid1(VALU_DEP_1)
	v_lshlrev_b64 v[1:2], 4, v[1:2]
	v_add_co_u32 v20, s1, s2, v1
	s_delay_alu instid0(VALU_DEP_1)
	v_add_co_ci_u32_e64 v22, s1, s3, v2, s1
	s_and_saveexec_b32 s1, s0
	s_cbranch_execz .LBB703_5
; %bb.4:
	v_ashrrev_i32_e32 v1, 31, v0
	s_delay_alu instid0(VALU_DEP_1) | instskip(NEXT) | instid1(VALU_DEP_1)
	v_lshlrev_b64 v[1:2], 4, v[0:1]
	v_add_co_u32 v1, s0, v20, v1
	s_delay_alu instid0(VALU_DEP_1)
	v_add_co_ci_u32_e64 v2, s0, v22, v2, s0
	global_load_b128 v[23:26], v[1:2], off
	s_waitcnt vmcnt(0)
	v_add_f64 v[16:17], v[16:17], -v[23:24]
	v_add_f64 v[18:19], v[18:19], -v[25:26]
	global_store_b128 v[1:2], v[16:19], off
.LBB703_5:
	s_or_b32 exec_lo, exec_lo, s1
	v_add_nc_u32_e32 v2, 16, v0
	s_delay_alu instid0(VALU_DEP_1) | instskip(SKIP_1) | instid1(VALU_DEP_1)
	v_cmp_le_i32_e64 s1, v21, v2
	v_cmp_gt_i32_e64 s0, s4, v2
	s_and_b32 s1, s1, s0
	s_delay_alu instid0(SALU_CYCLE_1)
	s_and_saveexec_b32 s4, s1
	s_cbranch_execz .LBB703_7
; %bb.6:
	v_ashrrev_i32_e32 v3, 31, v2
	s_delay_alu instid0(VALU_DEP_1) | instskip(NEXT) | instid1(VALU_DEP_1)
	v_lshlrev_b64 v[16:17], 4, v[2:3]
	v_add_co_u32 v23, s1, v20, v16
	s_delay_alu instid0(VALU_DEP_1)
	v_add_co_ci_u32_e64 v24, s1, v22, v17, s1
	global_load_b128 v[16:19], v[23:24], off
	s_waitcnt vmcnt(0)
	v_add_f64 v[14:15], v[14:15], -v[16:17]
	v_add_f64 v[16:17], v[12:13], -v[18:19]
	global_store_b128 v[23:24], v[14:17], off
.LBB703_7:
	s_or_b32 exec_lo, exec_lo, s4
	v_add_nc_u32_e32 v3, 16, v21
	s_delay_alu instid0(VALU_DEP_1) | instskip(SKIP_1) | instid1(VALU_DEP_2)
	v_mad_i64_i32 v[12:13], null, v3, s5, 0
	v_cmp_le_i32_e64 s1, v3, v0
	v_lshlrev_b64 v[12:13], 4, v[12:13]
	s_delay_alu instid0(VALU_DEP_1) | instskip(NEXT) | instid1(VALU_DEP_1)
	v_add_co_u32 v12, s2, s2, v12
	v_add_co_ci_u32_e64 v13, s2, s3, v13, s2
	s_delay_alu instid0(VALU_DEP_4) | instskip(NEXT) | instid1(SALU_CYCLE_1)
	s_and_b32 s2, s1, vcc_lo
	s_and_saveexec_b32 s1, s2
	s_cbranch_execz .LBB703_9
; %bb.8:
	v_ashrrev_i32_e32 v1, 31, v0
	s_delay_alu instid0(VALU_DEP_1) | instskip(NEXT) | instid1(VALU_DEP_1)
	v_lshlrev_b64 v[0:1], 4, v[0:1]
	v_add_co_u32 v0, vcc_lo, v12, v0
	s_delay_alu instid0(VALU_DEP_2)
	v_add_co_ci_u32_e32 v1, vcc_lo, v13, v1, vcc_lo
	global_load_b128 v[14:17], v[0:1], off
	s_waitcnt vmcnt(0)
	v_add_f64 v[14:15], v[10:11], -v[14:15]
	v_add_f64 v[16:17], v[8:9], -v[16:17]
	global_store_b128 v[0:1], v[14:17], off
.LBB703_9:
	s_or_b32 exec_lo, exec_lo, s1
	v_cmp_le_i32_e32 vcc_lo, v3, v2
	s_and_b32 s0, vcc_lo, s0
	s_delay_alu instid0(SALU_CYCLE_1)
	s_and_saveexec_b32 s1, s0
	s_cbranch_execz .LBB703_11
; %bb.10:
	v_ashrrev_i32_e32 v3, 31, v2
	s_delay_alu instid0(VALU_DEP_1) | instskip(NEXT) | instid1(VALU_DEP_1)
	v_lshlrev_b64 v[0:1], 4, v[2:3]
	v_add_co_u32 v8, vcc_lo, v12, v0
	s_delay_alu instid0(VALU_DEP_2)
	v_add_co_ci_u32_e32 v9, vcc_lo, v13, v1, vcc_lo
	global_load_b128 v[0:3], v[8:9], off
	s_waitcnt vmcnt(0)
	v_add_f64 v[0:1], v[6:7], -v[0:1]
	v_add_f64 v[2:3], v[4:5], -v[2:3]
	global_store_b128 v[8:9], v[0:3], off
.LBB703_11:
	s_nop 0
	s_sendmsg sendmsg(MSG_DEALLOC_VGPRS)
	s_endpgm
	.section	.rodata,"a",@progbits
	.p2align	6, 0x0
	.amdhsa_kernel _ZL37rocblas_syrkx_herkx_restricted_kernelIi19rocblas_complex_numIdELi16ELi32ELi8ELi1ELin1ELb0ELc78ELc76EKPKS1_KPS1_EviT_PT9_S7_lS9_S7_lPT10_S7_li
		.amdhsa_group_segment_fixed_size 8192
		.amdhsa_private_segment_fixed_size 0
		.amdhsa_kernarg_size 84
		.amdhsa_user_sgpr_count 13
		.amdhsa_user_sgpr_dispatch_ptr 0
		.amdhsa_user_sgpr_queue_ptr 0
		.amdhsa_user_sgpr_kernarg_segment_ptr 1
		.amdhsa_user_sgpr_dispatch_id 0
		.amdhsa_user_sgpr_private_segment_size 0
		.amdhsa_wavefront_size32 1
		.amdhsa_uses_dynamic_stack 0
		.amdhsa_enable_private_segment 0
		.amdhsa_system_sgpr_workgroup_id_x 1
		.amdhsa_system_sgpr_workgroup_id_y 1
		.amdhsa_system_sgpr_workgroup_id_z 1
		.amdhsa_system_sgpr_workgroup_info 0
		.amdhsa_system_vgpr_workitem_id 1
		.amdhsa_next_free_vgpr 118
		.amdhsa_next_free_sgpr 20
		.amdhsa_reserve_vcc 1
		.amdhsa_float_round_mode_32 0
		.amdhsa_float_round_mode_16_64 0
		.amdhsa_float_denorm_mode_32 3
		.amdhsa_float_denorm_mode_16_64 3
		.amdhsa_dx10_clamp 1
		.amdhsa_ieee_mode 1
		.amdhsa_fp16_overflow 0
		.amdhsa_workgroup_processor_mode 1
		.amdhsa_memory_ordered 1
		.amdhsa_forward_progress 0
		.amdhsa_shared_vgpr_count 0
		.amdhsa_exception_fp_ieee_invalid_op 0
		.amdhsa_exception_fp_denorm_src 0
		.amdhsa_exception_fp_ieee_div_zero 0
		.amdhsa_exception_fp_ieee_overflow 0
		.amdhsa_exception_fp_ieee_underflow 0
		.amdhsa_exception_fp_ieee_inexact 0
		.amdhsa_exception_int_div_zero 0
	.end_amdhsa_kernel
	.section	.text._ZL37rocblas_syrkx_herkx_restricted_kernelIi19rocblas_complex_numIdELi16ELi32ELi8ELi1ELin1ELb0ELc78ELc76EKPKS1_KPS1_EviT_PT9_S7_lS9_S7_lPT10_S7_li,"axG",@progbits,_ZL37rocblas_syrkx_herkx_restricted_kernelIi19rocblas_complex_numIdELi16ELi32ELi8ELi1ELin1ELb0ELc78ELc76EKPKS1_KPS1_EviT_PT9_S7_lS9_S7_lPT10_S7_li,comdat
.Lfunc_end703:
	.size	_ZL37rocblas_syrkx_herkx_restricted_kernelIi19rocblas_complex_numIdELi16ELi32ELi8ELi1ELin1ELb0ELc78ELc76EKPKS1_KPS1_EviT_PT9_S7_lS9_S7_lPT10_S7_li, .Lfunc_end703-_ZL37rocblas_syrkx_herkx_restricted_kernelIi19rocblas_complex_numIdELi16ELi32ELi8ELi1ELin1ELb0ELc78ELc76EKPKS1_KPS1_EviT_PT9_S7_lS9_S7_lPT10_S7_li
                                        ; -- End function
	.section	.AMDGPU.csdata,"",@progbits
; Kernel info:
; codeLenInByte = 2972
; NumSgprs: 22
; NumVgprs: 118
; ScratchSize: 0
; MemoryBound: 0
; FloatMode: 240
; IeeeMode: 1
; LDSByteSize: 8192 bytes/workgroup (compile time only)
; SGPRBlocks: 2
; VGPRBlocks: 14
; NumSGPRsForWavesPerEU: 22
; NumVGPRsForWavesPerEU: 118
; Occupancy: 12
; WaveLimiterHint : 1
; COMPUTE_PGM_RSRC2:SCRATCH_EN: 0
; COMPUTE_PGM_RSRC2:USER_SGPR: 13
; COMPUTE_PGM_RSRC2:TRAP_HANDLER: 0
; COMPUTE_PGM_RSRC2:TGID_X_EN: 1
; COMPUTE_PGM_RSRC2:TGID_Y_EN: 1
; COMPUTE_PGM_RSRC2:TGID_Z_EN: 1
; COMPUTE_PGM_RSRC2:TIDIG_COMP_CNT: 1
	.section	.text._ZL37rocblas_syrkx_herkx_restricted_kernelIi19rocblas_complex_numIdELi16ELi32ELi8ELi1ELin1ELb0ELc84ELc85EKPKS1_KPS1_EviT_PT9_S7_lS9_S7_lPT10_S7_li,"axG",@progbits,_ZL37rocblas_syrkx_herkx_restricted_kernelIi19rocblas_complex_numIdELi16ELi32ELi8ELi1ELin1ELb0ELc84ELc85EKPKS1_KPS1_EviT_PT9_S7_lS9_S7_lPT10_S7_li,comdat
	.globl	_ZL37rocblas_syrkx_herkx_restricted_kernelIi19rocblas_complex_numIdELi16ELi32ELi8ELi1ELin1ELb0ELc84ELc85EKPKS1_KPS1_EviT_PT9_S7_lS9_S7_lPT10_S7_li ; -- Begin function _ZL37rocblas_syrkx_herkx_restricted_kernelIi19rocblas_complex_numIdELi16ELi32ELi8ELi1ELin1ELb0ELc84ELc85EKPKS1_KPS1_EviT_PT9_S7_lS9_S7_lPT10_S7_li
	.p2align	8
	.type	_ZL37rocblas_syrkx_herkx_restricted_kernelIi19rocblas_complex_numIdELi16ELi32ELi8ELi1ELin1ELb0ELc84ELc85EKPKS1_KPS1_EviT_PT9_S7_lS9_S7_lPT10_S7_li,@function
_ZL37rocblas_syrkx_herkx_restricted_kernelIi19rocblas_complex_numIdELi16ELi32ELi8ELi1ELin1ELb0ELc84ELc85EKPKS1_KPS1_EviT_PT9_S7_lS9_S7_lPT10_S7_li: ; @_ZL37rocblas_syrkx_herkx_restricted_kernelIi19rocblas_complex_numIdELi16ELi32ELi8ELi1ELin1ELb0ELc84ELc85EKPKS1_KPS1_EviT_PT9_S7_lS9_S7_lPT10_S7_li
; %bb.0:
	s_clause 0x1
	s_load_b64 s[4:5], s[0:1], 0x38
	s_load_b64 s[2:3], s[0:1], 0x0
	s_mov_b32 s6, s15
	s_mov_b32 s7, 0
	v_mov_b32_e32 v16, 0
	s_lshl_b64 s[8:9], s[6:7], 3
	v_dual_mov_b32 v17, 0 :: v_dual_and_b32 v20, 0x3ff, v0
	v_bfe_u32 v21, v0, 10, 10
	s_delay_alu instid0(VALU_DEP_3) | instskip(NEXT) | instid1(VALU_DEP_3)
	v_mov_b32_e32 v14, v16
	v_dual_mov_b32 v12, v16 :: v_dual_mov_b32 v13, v17
	v_dual_mov_b32 v19, v17 :: v_dual_mov_b32 v18, v16
	;; [unrolled: 1-line block ×5, first 2 shown]
	v_mov_b32_e32 v7, v17
	s_waitcnt lgkmcnt(0)
	s_add_u32 s4, s4, s8
	s_addc_u32 s5, s5, s9
	v_dual_mov_b32 v4, v16 :: v_dual_mov_b32 v5, v17
	s_load_b64 s[4:5], s[4:5], 0x0
	s_lshl_b32 s6, s13, 5
	s_lshl_b32 s10, s14, 5
	s_cmp_lt_i32 s3, 1
	s_cbranch_scc1 .LBB704_3
; %bb.1:
	s_clause 0x3
	s_load_b64 s[12:13], s[0:1], 0x8
	s_load_b64 s[14:15], s[0:1], 0x20
	s_load_b32 s11, s[0:1], 0x10
	s_load_b32 s16, s[0:1], 0x28
	v_lshl_add_u32 v2, v21, 4, v20
	v_dual_mov_b32 v1, 0 :: v_dual_and_b32 v0, 7, v20
	v_mov_b32_e32 v4, 0
	v_dual_mov_b32 v5, 0 :: v_dual_lshlrev_b32 v22, 4, v20
	s_delay_alu instid0(VALU_DEP_4)
	v_and_b32_e32 v7, 31, v2
	v_lshrrev_b32_e32 v6, 3, v2
	v_lshrrev_b32_e32 v2, 5, v2
	v_mov_b32_e32 v3, v1
	v_lshl_add_u32 v23, v21, 7, 0x1000
	v_add_nc_u32_e32 v10, s6, v7
	v_dual_mov_b32 v15, v5 :: v_dual_add_nc_u32 v12, s10, v6
	v_dual_mov_b32 v14, v4 :: v_dual_mov_b32 v19, v5
	v_mov_b32_e32 v18, v4
	s_waitcnt lgkmcnt(0)
	s_add_u32 s12, s12, s8
	s_addc_u32 s13, s13, s9
	s_add_u32 s8, s14, s8
	s_load_b64 s[12:13], s[12:13], 0x0
	s_addc_u32 s9, s15, s9
	v_mad_i64_i32 v[8:9], null, s11, v10, v[2:3]
	s_load_b64 s[8:9], s[8:9], 0x0
	v_lshlrev_b32_e32 v3, 4, v0
	v_mad_i64_i32 v[10:11], null, s16, v12, v[0:1]
	v_dual_mov_b32 v17, v5 :: v_dual_lshlrev_b32 v12, 4, v7
	v_mov_b32_e32 v16, v4
	s_delay_alu instid0(VALU_DEP_4) | instskip(SKIP_3) | instid1(VALU_DEP_4)
	v_lshl_or_b32 v3, v6, 7, v3
	v_lshlrev_b64 v[0:1], 4, v[8:9]
	v_dual_mov_b32 v9, v5 :: v_dual_mov_b32 v8, v4
	v_lshl_or_b32 v24, v2, 9, v12
	v_add_nc_u32_e32 v25, 0x1000, v3
	v_lshlrev_b64 v[2:3], 4, v[10:11]
	v_dual_mov_b32 v7, v5 :: v_dual_mov_b32 v6, v4
	s_waitcnt lgkmcnt(0)
	v_add_co_u32 v0, vcc_lo, v0, s12
	v_add_co_ci_u32_e32 v1, vcc_lo, s13, v1, vcc_lo
	s_delay_alu instid0(VALU_DEP_4) | instskip(SKIP_1) | instid1(VALU_DEP_4)
	v_add_co_u32 v2, vcc_lo, v2, s8
	v_add_co_ci_u32_e32 v3, vcc_lo, s9, v3, vcc_lo
	v_add_co_u32 v0, vcc_lo, v0, 8
	s_delay_alu instid0(VALU_DEP_4) | instskip(NEXT) | instid1(VALU_DEP_4)
	v_add_co_ci_u32_e32 v1, vcc_lo, 0, v1, vcc_lo
	v_add_co_u32 v2, vcc_lo, v2, 8
	s_delay_alu instid0(VALU_DEP_4)
	v_add_co_ci_u32_e32 v3, vcc_lo, 0, v3, vcc_lo
	v_dual_mov_b32 v11, v5 :: v_dual_mov_b32 v10, v4
	v_dual_mov_b32 v13, v5 :: v_dual_mov_b32 v12, v4
.LBB704_2:                              ; =>This Inner Loop Header: Depth=1
	global_load_b128 v[26:29], v[0:1], off offset:-8
	global_load_b128 v[30:33], v[2:3], off offset:-8
	v_add_co_u32 v0, vcc_lo, 0x80, v0
	v_add_co_ci_u32_e32 v1, vcc_lo, 0, v1, vcc_lo
	v_add_co_u32 v2, vcc_lo, 0x80, v2
	v_add_co_ci_u32_e32 v3, vcc_lo, 0, v3, vcc_lo
	s_add_i32 s7, s7, 8
	s_waitcnt vmcnt(1)
	ds_store_b128 v24, v[26:29]
	s_waitcnt vmcnt(0)
	ds_store_b128 v25, v[30:33]
	s_waitcnt lgkmcnt(0)
	s_barrier
	buffer_gl0_inv
	ds_load_b128 v[26:29], v23
	ds_load_b128 v[30:33], v22
	ds_load_b128 v[34:37], v22 offset:256
	ds_load_b128 v[38:41], v23 offset:2048
	ds_load_b128 v[42:45], v23 offset:16
	ds_load_b128 v[46:49], v23 offset:2064
	ds_load_b128 v[50:53], v22 offset:512
	ds_load_b128 v[54:57], v22 offset:768
	ds_load_b128 v[58:61], v23 offset:32
	ds_load_b128 v[62:65], v23 offset:48
	ds_load_b128 v[66:69], v22 offset:1024
	ds_load_b128 v[70:73], v22 offset:1280
	ds_load_b128 v[74:77], v23 offset:2080
	ds_load_b128 v[78:81], v23 offset:2096
	ds_load_b128 v[82:85], v22 offset:1536
	s_cmp_ge_i32 s7, s3
	s_waitcnt lgkmcnt(13)
	v_mul_f64 v[86:87], v[28:29], v[32:33]
	v_mul_f64 v[88:89], v[26:27], v[32:33]
	s_waitcnt lgkmcnt(12)
	v_mul_f64 v[90:91], v[28:29], v[36:37]
	v_mul_f64 v[92:93], v[26:27], v[36:37]
	;; [unrolled: 3-line block ×3, first 2 shown]
	v_mul_f64 v[96:97], v[40:41], v[36:37]
	v_mul_f64 v[36:37], v[38:39], v[36:37]
	s_waitcnt lgkmcnt(8)
	v_mul_f64 v[98:99], v[44:45], v[52:53]
	v_mul_f64 v[100:101], v[42:43], v[52:53]
	s_waitcnt lgkmcnt(7)
	v_mul_f64 v[102:103], v[44:45], v[56:57]
	v_mul_f64 v[104:105], v[42:43], v[56:57]
	;; [unrolled: 1-line block ×6, first 2 shown]
	s_waitcnt lgkmcnt(3)
	v_mul_f64 v[112:113], v[58:59], v[72:73]
	s_waitcnt lgkmcnt(2)
	v_mul_f64 v[114:115], v[76:77], v[68:69]
	v_mul_f64 v[116:117], v[76:77], v[72:73]
	v_fma_f64 v[86:87], v[26:27], v[30:31], -v[86:87]
	v_fma_f64 v[88:89], v[28:29], v[30:31], v[88:89]
	v_fma_f64 v[90:91], v[26:27], v[34:35], -v[90:91]
	v_fma_f64 v[92:93], v[28:29], v[34:35], v[92:93]
	;; [unrolled: 2-line block ×4, first 2 shown]
	v_mul_f64 v[36:37], v[60:61], v[68:69]
	v_mul_f64 v[40:41], v[58:59], v[68:69]
	;; [unrolled: 1-line block ×5, first 2 shown]
	v_fma_f64 v[98:99], v[42:43], v[50:51], -v[98:99]
	v_fma_f64 v[100:101], v[44:45], v[50:51], v[100:101]
	v_fma_f64 v[42:43], v[42:43], v[54:55], -v[102:103]
	v_fma_f64 v[44:45], v[44:45], v[54:55], v[104:105]
	;; [unrolled: 2-line block ×4, first 2 shown]
	ds_load_b128 v[26:29], v22 offset:1792
	ds_load_b128 v[30:33], v22 offset:2048
	s_waitcnt lgkmcnt(2)
	v_mul_f64 v[56:57], v[64:65], v[84:85]
	v_add_f64 v[16:17], v[16:17], v[86:87]
	v_add_f64 v[18:19], v[18:19], v[88:89]
	v_add_f64 v[14:15], v[14:15], v[90:91]
	v_add_f64 v[12:13], v[12:13], v[92:93]
	v_add_f64 v[52:53], v[10:11], v[94:95]
	v_add_f64 v[54:55], v[8:9], v[110:111]
	v_add_f64 v[38:39], v[6:7], v[38:39]
	v_add_f64 v[34:35], v[4:5], v[34:35]
	v_mul_f64 v[86:87], v[62:63], v[84:85]
	s_waitcnt lgkmcnt(1)
	v_mul_f64 v[88:89], v[64:65], v[28:29]
	v_mul_f64 v[90:91], v[62:63], v[28:29]
	;; [unrolled: 1-line block ×6, first 2 shown]
	v_fma_f64 v[104:105], v[58:59], v[66:67], -v[36:37]
	v_fma_f64 v[106:107], v[60:61], v[66:67], v[40:41]
	v_fma_f64 v[58:59], v[58:59], v[70:71], -v[96:97]
	v_fma_f64 v[60:61], v[60:61], v[70:71], v[112:113]
	;; [unrolled: 2-line block ×4, first 2 shown]
	ds_load_b128 v[4:7], v22 offset:2304
	ds_load_b128 v[8:11], v23 offset:64
	v_fma_f64 v[56:57], v[62:63], v[82:83], -v[56:57]
	v_add_f64 v[72:73], v[16:17], v[98:99]
	v_add_f64 v[74:75], v[18:19], v[100:101]
	;; [unrolled: 1-line block ×8, first 2 shown]
	ds_load_b128 v[12:15], v23 offset:2112
	ds_load_b128 v[16:19], v23 offset:80
	;; [unrolled: 1-line block ×4, first 2 shown]
	s_waitcnt lgkmcnt(4)
	v_mul_f64 v[54:55], v[10:11], v[32:33]
	v_mul_f64 v[76:77], v[8:9], v[32:33]
	;; [unrolled: 1-line block ×4, first 2 shown]
	v_fma_f64 v[86:87], v[64:65], v[82:83], v[86:87]
	v_fma_f64 v[62:63], v[62:63], v[26:27], -v[88:89]
	v_fma_f64 v[64:65], v[64:65], v[26:27], v[90:91]
	v_fma_f64 v[88:89], v[78:79], v[82:83], -v[92:93]
	v_fma_f64 v[82:83], v[80:81], v[82:83], v[84:85]
	v_fma_f64 v[78:79], v[78:79], v[26:27], -v[94:95]
	v_fma_f64 v[80:81], v[80:81], v[26:27], v[28:29]
	s_waitcnt lgkmcnt(3)
	v_mul_f64 v[102:103], v[14:15], v[32:33]
	v_mul_f64 v[32:33], v[12:13], v[32:33]
	;; [unrolled: 1-line block ×4, first 2 shown]
	s_waitcnt lgkmcnt(0)
	v_mul_f64 v[90:91], v[18:19], v[40:41]
	v_mul_f64 v[92:93], v[16:17], v[40:41]
	v_add_f64 v[72:73], v[72:73], v[104:105]
	v_add_f64 v[74:75], v[74:75], v[106:107]
	;; [unrolled: 1-line block ×8, first 2 shown]
	ds_load_b128 v[26:29], v22 offset:2816
	ds_load_b128 v[42:45], v22 offset:3072
	;; [unrolled: 1-line block ×4, first 2 shown]
	v_mul_f64 v[104:105], v[36:37], v[40:41]
	v_mul_f64 v[40:41], v[34:35], v[40:41]
	v_fma_f64 v[54:55], v[8:9], v[30:31], -v[54:55]
	v_fma_f64 v[76:77], v[10:11], v[30:31], v[76:77]
	v_fma_f64 v[98:99], v[8:9], v[4:5], -v[98:99]
	v_fma_f64 v[100:101], v[10:11], v[4:5], v[100:101]
	s_waitcnt lgkmcnt(3)
	v_mul_f64 v[94:95], v[18:19], v[28:29]
	v_mul_f64 v[96:97], v[16:17], v[28:29]
	;; [unrolled: 1-line block ×4, first 2 shown]
	v_fma_f64 v[102:103], v[12:13], v[30:31], -v[102:103]
	v_fma_f64 v[32:33], v[14:15], v[30:31], v[32:33]
	v_fma_f64 v[108:109], v[12:13], v[4:5], -v[108:109]
	v_fma_f64 v[112:113], v[14:15], v[4:5], v[6:7]
	ds_load_b128 v[4:7], v23 offset:2144
	ds_load_b128 v[8:11], v23 offset:112
	;; [unrolled: 1-line block ×4, first 2 shown]
	v_add_f64 v[56:57], v[72:73], v[56:57]
	v_add_f64 v[72:73], v[74:75], v[86:87]
	;; [unrolled: 1-line block ×8, first 2 shown]
	s_waitcnt lgkmcnt(4)
	v_mul_f64 v[70:71], v[52:53], v[44:45]
	v_mul_f64 v[74:75], v[50:51], v[44:45]
	;; [unrolled: 1-line block ×4, first 2 shown]
	s_waitcnt lgkmcnt(3)
	v_mul_f64 v[82:83], v[6:7], v[44:45]
	v_mul_f64 v[44:45], v[4:5], v[44:45]
	;; [unrolled: 1-line block ×4, first 2 shown]
	v_fma_f64 v[86:87], v[16:17], v[38:39], -v[90:91]
	v_fma_f64 v[88:89], v[18:19], v[38:39], v[92:93]
	v_fma_f64 v[90:91], v[16:17], v[26:27], -v[94:95]
	v_fma_f64 v[92:93], v[18:19], v[26:27], v[96:97]
	;; [unrolled: 2-line block ×4, first 2 shown]
	ds_load_b128 v[16:19], v22 offset:3840
	s_waitcnt lgkmcnt(0)
	s_barrier
	buffer_gl0_inv
	v_add_f64 v[36:37], v[56:57], v[54:55]
	v_add_f64 v[40:41], v[72:73], v[76:77]
	;; [unrolled: 1-line block ×8, first 2 shown]
	v_mul_f64 v[64:65], v[10:11], v[30:31]
	v_mul_f64 v[66:67], v[8:9], v[30:31]
	;; [unrolled: 1-line block ×4, first 2 shown]
	v_fma_f64 v[70:71], v[50:51], v[42:43], -v[70:71]
	v_mul_f64 v[68:69], v[10:11], v[18:19]
	v_mul_f64 v[72:73], v[8:9], v[18:19]
	;; [unrolled: 1-line block ×4, first 2 shown]
	v_fma_f64 v[74:75], v[52:53], v[42:43], v[74:75]
	v_fma_f64 v[50:51], v[50:51], v[46:47], -v[78:79]
	v_fma_f64 v[52:53], v[52:53], v[46:47], v[80:81]
	v_fma_f64 v[78:79], v[4:5], v[42:43], -v[82:83]
	;; [unrolled: 2-line block ×3, first 2 shown]
	v_fma_f64 v[6:7], v[6:7], v[46:47], v[48:49]
	v_add_f64 v[36:37], v[36:37], v[86:87]
	v_add_f64 v[40:41], v[40:41], v[88:89]
	;; [unrolled: 1-line block ×8, first 2 shown]
	v_fma_f64 v[38:39], v[8:9], v[28:29], -v[64:65]
	v_fma_f64 v[54:55], v[10:11], v[28:29], v[66:67]
	v_fma_f64 v[56:57], v[12:13], v[28:29], -v[76:77]
	v_fma_f64 v[28:29], v[14:15], v[28:29], v[30:31]
	;; [unrolled: 2-line block ×4, first 2 shown]
	v_add_f64 v[12:13], v[36:37], v[70:71]
	v_add_f64 v[14:15], v[40:41], v[74:75]
	;; [unrolled: 1-line block ×16, first 2 shown]
	s_cbranch_scc0 .LBB704_2
.LBB704_3:
	s_load_b32 s3, s[0:1], 0x40
	v_add_nc_u32_e32 v21, s10, v21
	v_add_nc_u32_e32 v0, s6, v20
	s_delay_alu instid0(VALU_DEP_2) | instskip(NEXT) | instid1(VALU_DEP_2)
	v_cmp_gt_i32_e32 vcc_lo, s2, v21
	v_cmp_le_i32_e64 s0, v0, v21
	s_delay_alu instid0(VALU_DEP_1) | instskip(SKIP_2) | instid1(VALU_DEP_1)
	s_and_b32 s0, vcc_lo, s0
	s_waitcnt lgkmcnt(0)
	v_mad_i64_i32 v[1:2], null, v21, s3, 0
	v_lshlrev_b64 v[1:2], 4, v[1:2]
	s_delay_alu instid0(VALU_DEP_1) | instskip(NEXT) | instid1(VALU_DEP_1)
	v_add_co_u32 v20, s1, s4, v1
	v_add_co_ci_u32_e64 v22, s1, s5, v2, s1
	s_and_saveexec_b32 s1, s0
	s_cbranch_execz .LBB704_5
; %bb.4:
	v_ashrrev_i32_e32 v1, 31, v0
	s_delay_alu instid0(VALU_DEP_1) | instskip(NEXT) | instid1(VALU_DEP_1)
	v_lshlrev_b64 v[1:2], 4, v[0:1]
	v_add_co_u32 v1, s0, v20, v1
	s_delay_alu instid0(VALU_DEP_1)
	v_add_co_ci_u32_e64 v2, s0, v22, v2, s0
	global_load_b128 v[23:26], v[1:2], off
	s_waitcnt vmcnt(0)
	v_add_f64 v[16:17], v[16:17], -v[23:24]
	v_add_f64 v[18:19], v[18:19], -v[25:26]
	global_store_b128 v[1:2], v[16:19], off
.LBB704_5:
	s_or_b32 exec_lo, exec_lo, s1
	v_add_nc_u32_e32 v2, 16, v0
	s_delay_alu instid0(VALU_DEP_1) | instskip(NEXT) | instid1(VALU_DEP_1)
	v_cmp_le_i32_e64 s0, v2, v21
	s_and_b32 s1, vcc_lo, s0
	s_delay_alu instid0(SALU_CYCLE_1)
	s_and_saveexec_b32 s0, s1
	s_cbranch_execz .LBB704_7
; %bb.6:
	v_ashrrev_i32_e32 v3, 31, v2
	s_delay_alu instid0(VALU_DEP_1) | instskip(NEXT) | instid1(VALU_DEP_1)
	v_lshlrev_b64 v[16:17], 4, v[2:3]
	v_add_co_u32 v23, vcc_lo, v20, v16
	s_delay_alu instid0(VALU_DEP_2)
	v_add_co_ci_u32_e32 v24, vcc_lo, v22, v17, vcc_lo
	global_load_b128 v[16:19], v[23:24], off
	s_waitcnt vmcnt(0)
	v_add_f64 v[14:15], v[14:15], -v[16:17]
	v_add_f64 v[16:17], v[12:13], -v[18:19]
	global_store_b128 v[23:24], v[14:17], off
.LBB704_7:
	s_or_b32 exec_lo, exec_lo, s0
	v_add_nc_u32_e32 v3, 16, v21
	s_delay_alu instid0(VALU_DEP_1) | instskip(SKIP_2) | instid1(VALU_DEP_1)
	v_mad_i64_i32 v[12:13], null, v3, s3, 0
	v_cmp_gt_i32_e32 vcc_lo, s2, v3
	v_cmp_le_i32_e64 s0, v0, v3
	s_and_b32 s0, vcc_lo, s0
	s_delay_alu instid0(VALU_DEP_3) | instskip(NEXT) | instid1(VALU_DEP_1)
	v_lshlrev_b64 v[12:13], 4, v[12:13]
	v_add_co_u32 v12, s1, s4, v12
	s_delay_alu instid0(VALU_DEP_1)
	v_add_co_ci_u32_e64 v13, s1, s5, v13, s1
	s_and_saveexec_b32 s1, s0
	s_cbranch_execz .LBB704_9
; %bb.8:
	v_ashrrev_i32_e32 v1, 31, v0
	s_delay_alu instid0(VALU_DEP_1) | instskip(NEXT) | instid1(VALU_DEP_1)
	v_lshlrev_b64 v[0:1], 4, v[0:1]
	v_add_co_u32 v0, s0, v12, v0
	s_delay_alu instid0(VALU_DEP_1)
	v_add_co_ci_u32_e64 v1, s0, v13, v1, s0
	global_load_b128 v[14:17], v[0:1], off
	s_waitcnt vmcnt(0)
	v_add_f64 v[14:15], v[10:11], -v[14:15]
	v_add_f64 v[16:17], v[8:9], -v[16:17]
	global_store_b128 v[0:1], v[14:17], off
.LBB704_9:
	s_or_b32 exec_lo, exec_lo, s1
	v_cmp_le_i32_e64 s0, v2, v3
	s_delay_alu instid0(VALU_DEP_1) | instskip(NEXT) | instid1(SALU_CYCLE_1)
	s_and_b32 s0, vcc_lo, s0
	s_and_saveexec_b32 s1, s0
	s_cbranch_execz .LBB704_11
; %bb.10:
	v_ashrrev_i32_e32 v3, 31, v2
	s_delay_alu instid0(VALU_DEP_1) | instskip(NEXT) | instid1(VALU_DEP_1)
	v_lshlrev_b64 v[0:1], 4, v[2:3]
	v_add_co_u32 v8, vcc_lo, v12, v0
	s_delay_alu instid0(VALU_DEP_2)
	v_add_co_ci_u32_e32 v9, vcc_lo, v13, v1, vcc_lo
	global_load_b128 v[0:3], v[8:9], off
	s_waitcnt vmcnt(0)
	v_add_f64 v[0:1], v[6:7], -v[0:1]
	v_add_f64 v[2:3], v[4:5], -v[2:3]
	global_store_b128 v[8:9], v[0:3], off
.LBB704_11:
	s_nop 0
	s_sendmsg sendmsg(MSG_DEALLOC_VGPRS)
	s_endpgm
	.section	.rodata,"a",@progbits
	.p2align	6, 0x0
	.amdhsa_kernel _ZL37rocblas_syrkx_herkx_restricted_kernelIi19rocblas_complex_numIdELi16ELi32ELi8ELi1ELin1ELb0ELc84ELc85EKPKS1_KPS1_EviT_PT9_S7_lS9_S7_lPT10_S7_li
		.amdhsa_group_segment_fixed_size 8192
		.amdhsa_private_segment_fixed_size 0
		.amdhsa_kernarg_size 84
		.amdhsa_user_sgpr_count 13
		.amdhsa_user_sgpr_dispatch_ptr 0
		.amdhsa_user_sgpr_queue_ptr 0
		.amdhsa_user_sgpr_kernarg_segment_ptr 1
		.amdhsa_user_sgpr_dispatch_id 0
		.amdhsa_user_sgpr_private_segment_size 0
		.amdhsa_wavefront_size32 1
		.amdhsa_uses_dynamic_stack 0
		.amdhsa_enable_private_segment 0
		.amdhsa_system_sgpr_workgroup_id_x 1
		.amdhsa_system_sgpr_workgroup_id_y 1
		.amdhsa_system_sgpr_workgroup_id_z 1
		.amdhsa_system_sgpr_workgroup_info 0
		.amdhsa_system_vgpr_workitem_id 1
		.amdhsa_next_free_vgpr 118
		.amdhsa_next_free_sgpr 17
		.amdhsa_reserve_vcc 1
		.amdhsa_float_round_mode_32 0
		.amdhsa_float_round_mode_16_64 0
		.amdhsa_float_denorm_mode_32 3
		.amdhsa_float_denorm_mode_16_64 3
		.amdhsa_dx10_clamp 1
		.amdhsa_ieee_mode 1
		.amdhsa_fp16_overflow 0
		.amdhsa_workgroup_processor_mode 1
		.amdhsa_memory_ordered 1
		.amdhsa_forward_progress 0
		.amdhsa_shared_vgpr_count 0
		.amdhsa_exception_fp_ieee_invalid_op 0
		.amdhsa_exception_fp_denorm_src 0
		.amdhsa_exception_fp_ieee_div_zero 0
		.amdhsa_exception_fp_ieee_overflow 0
		.amdhsa_exception_fp_ieee_underflow 0
		.amdhsa_exception_fp_ieee_inexact 0
		.amdhsa_exception_int_div_zero 0
	.end_amdhsa_kernel
	.section	.text._ZL37rocblas_syrkx_herkx_restricted_kernelIi19rocblas_complex_numIdELi16ELi32ELi8ELi1ELin1ELb0ELc84ELc85EKPKS1_KPS1_EviT_PT9_S7_lS9_S7_lPT10_S7_li,"axG",@progbits,_ZL37rocblas_syrkx_herkx_restricted_kernelIi19rocblas_complex_numIdELi16ELi32ELi8ELi1ELin1ELb0ELc84ELc85EKPKS1_KPS1_EviT_PT9_S7_lS9_S7_lPT10_S7_li,comdat
.Lfunc_end704:
	.size	_ZL37rocblas_syrkx_herkx_restricted_kernelIi19rocblas_complex_numIdELi16ELi32ELi8ELi1ELin1ELb0ELc84ELc85EKPKS1_KPS1_EviT_PT9_S7_lS9_S7_lPT10_S7_li, .Lfunc_end704-_ZL37rocblas_syrkx_herkx_restricted_kernelIi19rocblas_complex_numIdELi16ELi32ELi8ELi1ELin1ELb0ELc84ELc85EKPKS1_KPS1_EviT_PT9_S7_lS9_S7_lPT10_S7_li
                                        ; -- End function
	.section	.AMDGPU.csdata,"",@progbits
; Kernel info:
; codeLenInByte = 2968
; NumSgprs: 19
; NumVgprs: 118
; ScratchSize: 0
; MemoryBound: 0
; FloatMode: 240
; IeeeMode: 1
; LDSByteSize: 8192 bytes/workgroup (compile time only)
; SGPRBlocks: 2
; VGPRBlocks: 14
; NumSGPRsForWavesPerEU: 19
; NumVGPRsForWavesPerEU: 118
; Occupancy: 12
; WaveLimiterHint : 1
; COMPUTE_PGM_RSRC2:SCRATCH_EN: 0
; COMPUTE_PGM_RSRC2:USER_SGPR: 13
; COMPUTE_PGM_RSRC2:TRAP_HANDLER: 0
; COMPUTE_PGM_RSRC2:TGID_X_EN: 1
; COMPUTE_PGM_RSRC2:TGID_Y_EN: 1
; COMPUTE_PGM_RSRC2:TGID_Z_EN: 1
; COMPUTE_PGM_RSRC2:TIDIG_COMP_CNT: 1
	.section	.text._ZL37rocblas_syrkx_herkx_restricted_kernelIi19rocblas_complex_numIdELi16ELi32ELi8ELi1ELin1ELb0ELc67ELc85EKPKS1_KPS1_EviT_PT9_S7_lS9_S7_lPT10_S7_li,"axG",@progbits,_ZL37rocblas_syrkx_herkx_restricted_kernelIi19rocblas_complex_numIdELi16ELi32ELi8ELi1ELin1ELb0ELc67ELc85EKPKS1_KPS1_EviT_PT9_S7_lS9_S7_lPT10_S7_li,comdat
	.globl	_ZL37rocblas_syrkx_herkx_restricted_kernelIi19rocblas_complex_numIdELi16ELi32ELi8ELi1ELin1ELb0ELc67ELc85EKPKS1_KPS1_EviT_PT9_S7_lS9_S7_lPT10_S7_li ; -- Begin function _ZL37rocblas_syrkx_herkx_restricted_kernelIi19rocblas_complex_numIdELi16ELi32ELi8ELi1ELin1ELb0ELc67ELc85EKPKS1_KPS1_EviT_PT9_S7_lS9_S7_lPT10_S7_li
	.p2align	8
	.type	_ZL37rocblas_syrkx_herkx_restricted_kernelIi19rocblas_complex_numIdELi16ELi32ELi8ELi1ELin1ELb0ELc67ELc85EKPKS1_KPS1_EviT_PT9_S7_lS9_S7_lPT10_S7_li,@function
_ZL37rocblas_syrkx_herkx_restricted_kernelIi19rocblas_complex_numIdELi16ELi32ELi8ELi1ELin1ELb0ELc67ELc85EKPKS1_KPS1_EviT_PT9_S7_lS9_S7_lPT10_S7_li: ; @_ZL37rocblas_syrkx_herkx_restricted_kernelIi19rocblas_complex_numIdELi16ELi32ELi8ELi1ELin1ELb0ELc67ELc85EKPKS1_KPS1_EviT_PT9_S7_lS9_S7_lPT10_S7_li
; %bb.0:
	s_clause 0x1
	s_load_b64 s[4:5], s[0:1], 0x38
	s_load_b64 s[2:3], s[0:1], 0x0
	s_mov_b32 s6, s15
	s_mov_b32 s7, 0
	v_mov_b32_e32 v16, 0
	s_lshl_b64 s[8:9], s[6:7], 3
	v_dual_mov_b32 v17, 0 :: v_dual_and_b32 v20, 0x3ff, v0
	v_bfe_u32 v21, v0, 10, 10
	s_delay_alu instid0(VALU_DEP_3) | instskip(NEXT) | instid1(VALU_DEP_3)
	v_mov_b32_e32 v14, v16
	v_dual_mov_b32 v12, v16 :: v_dual_mov_b32 v13, v17
	v_dual_mov_b32 v19, v17 :: v_dual_mov_b32 v18, v16
	;; [unrolled: 1-line block ×5, first 2 shown]
	v_mov_b32_e32 v7, v17
	s_waitcnt lgkmcnt(0)
	s_add_u32 s4, s4, s8
	s_addc_u32 s5, s5, s9
	v_dual_mov_b32 v4, v16 :: v_dual_mov_b32 v5, v17
	s_load_b64 s[4:5], s[4:5], 0x0
	s_lshl_b32 s6, s13, 5
	s_lshl_b32 s10, s14, 5
	s_cmp_lt_i32 s3, 1
	s_cbranch_scc1 .LBB705_3
; %bb.1:
	s_clause 0x3
	s_load_b64 s[12:13], s[0:1], 0x8
	s_load_b64 s[14:15], s[0:1], 0x20
	s_load_b32 s11, s[0:1], 0x10
	s_load_b32 s16, s[0:1], 0x28
	v_lshl_add_u32 v2, v21, 4, v20
	v_dual_mov_b32 v1, 0 :: v_dual_and_b32 v0, 7, v20
	v_mov_b32_e32 v4, 0
	v_dual_mov_b32 v5, 0 :: v_dual_lshlrev_b32 v22, 4, v20
	s_delay_alu instid0(VALU_DEP_4)
	v_and_b32_e32 v7, 31, v2
	v_lshrrev_b32_e32 v6, 3, v2
	v_lshrrev_b32_e32 v2, 5, v2
	v_mov_b32_e32 v3, v1
	v_lshl_add_u32 v23, v21, 7, 0x1000
	v_add_nc_u32_e32 v10, s6, v7
	v_dual_mov_b32 v15, v5 :: v_dual_add_nc_u32 v12, s10, v6
	v_dual_mov_b32 v14, v4 :: v_dual_mov_b32 v19, v5
	v_mov_b32_e32 v18, v4
	s_waitcnt lgkmcnt(0)
	s_add_u32 s12, s12, s8
	s_addc_u32 s13, s13, s9
	s_add_u32 s8, s14, s8
	s_load_b64 s[12:13], s[12:13], 0x0
	s_addc_u32 s9, s15, s9
	v_mad_i64_i32 v[8:9], null, s11, v10, v[2:3]
	s_load_b64 s[8:9], s[8:9], 0x0
	v_lshlrev_b32_e32 v3, 4, v0
	v_mad_i64_i32 v[10:11], null, s16, v12, v[0:1]
	v_dual_mov_b32 v17, v5 :: v_dual_lshlrev_b32 v12, 4, v7
	v_mov_b32_e32 v16, v4
	s_delay_alu instid0(VALU_DEP_4) | instskip(SKIP_3) | instid1(VALU_DEP_4)
	v_lshl_or_b32 v3, v6, 7, v3
	v_lshlrev_b64 v[0:1], 4, v[8:9]
	v_dual_mov_b32 v9, v5 :: v_dual_mov_b32 v8, v4
	v_lshl_or_b32 v24, v2, 9, v12
	v_add_nc_u32_e32 v25, 0x1000, v3
	v_lshlrev_b64 v[2:3], 4, v[10:11]
	v_dual_mov_b32 v7, v5 :: v_dual_mov_b32 v6, v4
	s_waitcnt lgkmcnt(0)
	v_add_co_u32 v0, vcc_lo, v0, s12
	v_add_co_ci_u32_e32 v1, vcc_lo, s13, v1, vcc_lo
	s_delay_alu instid0(VALU_DEP_4) | instskip(SKIP_1) | instid1(VALU_DEP_4)
	v_add_co_u32 v2, vcc_lo, v2, s8
	v_add_co_ci_u32_e32 v3, vcc_lo, s9, v3, vcc_lo
	v_add_co_u32 v0, vcc_lo, v0, 8
	s_delay_alu instid0(VALU_DEP_4) | instskip(NEXT) | instid1(VALU_DEP_4)
	v_add_co_ci_u32_e32 v1, vcc_lo, 0, v1, vcc_lo
	v_add_co_u32 v2, vcc_lo, v2, 8
	s_delay_alu instid0(VALU_DEP_4)
	v_add_co_ci_u32_e32 v3, vcc_lo, 0, v3, vcc_lo
	v_dual_mov_b32 v11, v5 :: v_dual_mov_b32 v10, v4
	v_dual_mov_b32 v13, v5 :: v_dual_mov_b32 v12, v4
.LBB705_2:                              ; =>This Inner Loop Header: Depth=1
	global_load_b128 v[26:29], v[0:1], off offset:-8
	global_load_b128 v[30:33], v[2:3], off offset:-8
	v_add_co_u32 v0, vcc_lo, 0x80, v0
	v_add_co_ci_u32_e32 v1, vcc_lo, 0, v1, vcc_lo
	v_add_co_u32 v2, vcc_lo, 0x80, v2
	v_add_co_ci_u32_e32 v3, vcc_lo, 0, v3, vcc_lo
	s_add_i32 s7, s7, 8
	s_waitcnt vmcnt(1)
	ds_store_b128 v24, v[26:29]
	s_waitcnt vmcnt(0)
	ds_store_b128 v25, v[30:33]
	s_waitcnt lgkmcnt(0)
	s_barrier
	buffer_gl0_inv
	ds_load_b128 v[26:29], v23
	ds_load_b128 v[30:33], v22
	ds_load_b128 v[34:37], v22 offset:256
	ds_load_b128 v[38:41], v23 offset:2048
	;; [unrolled: 1-line block ×13, first 2 shown]
	s_cmp_ge_i32 s7, s3
	s_waitcnt lgkmcnt(13)
	v_mul_f64 v[86:87], v[28:29], v[32:33]
	v_mul_f64 v[88:89], v[26:27], v[32:33]
	s_waitcnt lgkmcnt(12)
	v_mul_f64 v[90:91], v[28:29], v[36:37]
	v_mul_f64 v[92:93], v[26:27], v[36:37]
	;; [unrolled: 3-line block ×3, first 2 shown]
	v_mul_f64 v[96:97], v[40:41], v[36:37]
	v_mul_f64 v[36:37], v[38:39], v[36:37]
	s_waitcnt lgkmcnt(8)
	v_mul_f64 v[98:99], v[44:45], v[52:53]
	v_mul_f64 v[100:101], v[42:43], v[52:53]
	s_waitcnt lgkmcnt(7)
	v_mul_f64 v[102:103], v[44:45], v[56:57]
	v_mul_f64 v[104:105], v[42:43], v[56:57]
	;; [unrolled: 1-line block ×6, first 2 shown]
	s_waitcnt lgkmcnt(3)
	v_mul_f64 v[112:113], v[58:59], v[72:73]
	s_waitcnt lgkmcnt(2)
	v_mul_f64 v[114:115], v[76:77], v[68:69]
	v_mul_f64 v[116:117], v[76:77], v[72:73]
	v_fma_f64 v[86:87], v[26:27], v[30:31], -v[86:87]
	v_fma_f64 v[88:89], v[28:29], v[30:31], v[88:89]
	v_fma_f64 v[90:91], v[26:27], v[34:35], -v[90:91]
	v_fma_f64 v[92:93], v[28:29], v[34:35], v[92:93]
	;; [unrolled: 2-line block ×4, first 2 shown]
	v_mul_f64 v[36:37], v[60:61], v[68:69]
	v_mul_f64 v[40:41], v[58:59], v[68:69]
	;; [unrolled: 1-line block ×5, first 2 shown]
	v_fma_f64 v[98:99], v[42:43], v[50:51], -v[98:99]
	v_fma_f64 v[100:101], v[44:45], v[50:51], v[100:101]
	v_fma_f64 v[42:43], v[42:43], v[54:55], -v[102:103]
	v_fma_f64 v[44:45], v[44:45], v[54:55], v[104:105]
	;; [unrolled: 2-line block ×4, first 2 shown]
	ds_load_b128 v[26:29], v22 offset:1792
	ds_load_b128 v[30:33], v22 offset:2048
	s_waitcnt lgkmcnt(2)
	v_mul_f64 v[56:57], v[64:65], v[84:85]
	v_add_f64 v[16:17], v[16:17], v[86:87]
	v_add_f64 v[18:19], v[18:19], v[88:89]
	;; [unrolled: 1-line block ×8, first 2 shown]
	v_mul_f64 v[86:87], v[62:63], v[84:85]
	s_waitcnt lgkmcnt(1)
	v_mul_f64 v[88:89], v[64:65], v[28:29]
	v_mul_f64 v[90:91], v[62:63], v[28:29]
	;; [unrolled: 1-line block ×6, first 2 shown]
	v_fma_f64 v[104:105], v[58:59], v[66:67], -v[36:37]
	v_fma_f64 v[106:107], v[60:61], v[66:67], v[40:41]
	v_fma_f64 v[58:59], v[58:59], v[70:71], -v[96:97]
	v_fma_f64 v[60:61], v[60:61], v[70:71], v[112:113]
	;; [unrolled: 2-line block ×4, first 2 shown]
	ds_load_b128 v[4:7], v22 offset:2304
	ds_load_b128 v[8:11], v23 offset:64
	v_fma_f64 v[56:57], v[62:63], v[82:83], -v[56:57]
	v_add_f64 v[72:73], v[16:17], v[98:99]
	v_add_f64 v[74:75], v[18:19], v[100:101]
	;; [unrolled: 1-line block ×8, first 2 shown]
	ds_load_b128 v[12:15], v23 offset:2112
	ds_load_b128 v[16:19], v23 offset:80
	;; [unrolled: 1-line block ×4, first 2 shown]
	s_waitcnt lgkmcnt(4)
	v_mul_f64 v[54:55], v[10:11], v[32:33]
	v_mul_f64 v[76:77], v[8:9], v[32:33]
	;; [unrolled: 1-line block ×4, first 2 shown]
	v_fma_f64 v[86:87], v[64:65], v[82:83], v[86:87]
	v_fma_f64 v[62:63], v[62:63], v[26:27], -v[88:89]
	v_fma_f64 v[64:65], v[64:65], v[26:27], v[90:91]
	v_fma_f64 v[88:89], v[78:79], v[82:83], -v[92:93]
	;; [unrolled: 2-line block ×3, first 2 shown]
	v_fma_f64 v[80:81], v[80:81], v[26:27], v[28:29]
	s_waitcnt lgkmcnt(3)
	v_mul_f64 v[102:103], v[14:15], v[32:33]
	v_mul_f64 v[32:33], v[12:13], v[32:33]
	;; [unrolled: 1-line block ×4, first 2 shown]
	s_waitcnt lgkmcnt(0)
	v_mul_f64 v[90:91], v[18:19], v[40:41]
	v_mul_f64 v[92:93], v[16:17], v[40:41]
	v_add_f64 v[72:73], v[72:73], v[104:105]
	v_add_f64 v[74:75], v[74:75], v[106:107]
	;; [unrolled: 1-line block ×8, first 2 shown]
	ds_load_b128 v[26:29], v22 offset:2816
	ds_load_b128 v[42:45], v22 offset:3072
	;; [unrolled: 1-line block ×4, first 2 shown]
	v_mul_f64 v[104:105], v[36:37], v[40:41]
	v_mul_f64 v[40:41], v[34:35], v[40:41]
	v_fma_f64 v[54:55], v[8:9], v[30:31], -v[54:55]
	v_fma_f64 v[76:77], v[10:11], v[30:31], v[76:77]
	v_fma_f64 v[98:99], v[8:9], v[4:5], -v[98:99]
	v_fma_f64 v[100:101], v[10:11], v[4:5], v[100:101]
	s_waitcnt lgkmcnt(3)
	v_mul_f64 v[94:95], v[18:19], v[28:29]
	v_mul_f64 v[96:97], v[16:17], v[28:29]
	;; [unrolled: 1-line block ×4, first 2 shown]
	v_fma_f64 v[102:103], v[12:13], v[30:31], -v[102:103]
	v_fma_f64 v[32:33], v[14:15], v[30:31], v[32:33]
	v_fma_f64 v[108:109], v[12:13], v[4:5], -v[108:109]
	v_fma_f64 v[112:113], v[14:15], v[4:5], v[6:7]
	ds_load_b128 v[4:7], v23 offset:2144
	ds_load_b128 v[8:11], v23 offset:112
	;; [unrolled: 1-line block ×4, first 2 shown]
	v_add_f64 v[56:57], v[72:73], v[56:57]
	v_add_f64 v[72:73], v[74:75], v[86:87]
	;; [unrolled: 1-line block ×8, first 2 shown]
	s_waitcnt lgkmcnt(4)
	v_mul_f64 v[70:71], v[52:53], v[44:45]
	v_mul_f64 v[74:75], v[50:51], v[44:45]
	;; [unrolled: 1-line block ×4, first 2 shown]
	s_waitcnt lgkmcnt(3)
	v_mul_f64 v[82:83], v[6:7], v[44:45]
	v_mul_f64 v[44:45], v[4:5], v[44:45]
	;; [unrolled: 1-line block ×4, first 2 shown]
	v_fma_f64 v[86:87], v[16:17], v[38:39], -v[90:91]
	v_fma_f64 v[88:89], v[18:19], v[38:39], v[92:93]
	v_fma_f64 v[90:91], v[16:17], v[26:27], -v[94:95]
	v_fma_f64 v[92:93], v[18:19], v[26:27], v[96:97]
	;; [unrolled: 2-line block ×4, first 2 shown]
	ds_load_b128 v[16:19], v22 offset:3840
	s_waitcnt lgkmcnt(0)
	s_barrier
	buffer_gl0_inv
	v_add_f64 v[36:37], v[56:57], v[54:55]
	v_add_f64 v[40:41], v[72:73], v[76:77]
	;; [unrolled: 1-line block ×8, first 2 shown]
	v_mul_f64 v[64:65], v[10:11], v[30:31]
	v_mul_f64 v[66:67], v[8:9], v[30:31]
	;; [unrolled: 1-line block ×4, first 2 shown]
	v_fma_f64 v[70:71], v[50:51], v[42:43], -v[70:71]
	v_mul_f64 v[68:69], v[10:11], v[18:19]
	v_mul_f64 v[72:73], v[8:9], v[18:19]
	;; [unrolled: 1-line block ×4, first 2 shown]
	v_fma_f64 v[74:75], v[52:53], v[42:43], v[74:75]
	v_fma_f64 v[50:51], v[50:51], v[46:47], -v[78:79]
	v_fma_f64 v[52:53], v[52:53], v[46:47], v[80:81]
	v_fma_f64 v[78:79], v[4:5], v[42:43], -v[82:83]
	;; [unrolled: 2-line block ×3, first 2 shown]
	v_fma_f64 v[6:7], v[6:7], v[46:47], v[48:49]
	v_add_f64 v[36:37], v[36:37], v[86:87]
	v_add_f64 v[40:41], v[40:41], v[88:89]
	;; [unrolled: 1-line block ×8, first 2 shown]
	v_fma_f64 v[38:39], v[8:9], v[28:29], -v[64:65]
	v_fma_f64 v[54:55], v[10:11], v[28:29], v[66:67]
	v_fma_f64 v[56:57], v[12:13], v[28:29], -v[76:77]
	v_fma_f64 v[28:29], v[14:15], v[28:29], v[30:31]
	;; [unrolled: 2-line block ×4, first 2 shown]
	v_add_f64 v[12:13], v[36:37], v[70:71]
	v_add_f64 v[14:15], v[40:41], v[74:75]
	;; [unrolled: 1-line block ×16, first 2 shown]
	s_cbranch_scc0 .LBB705_2
.LBB705_3:
	s_load_b32 s3, s[0:1], 0x40
	v_add_nc_u32_e32 v21, s10, v21
	v_add_nc_u32_e32 v0, s6, v20
	s_delay_alu instid0(VALU_DEP_2) | instskip(NEXT) | instid1(VALU_DEP_2)
	v_cmp_gt_i32_e32 vcc_lo, s2, v21
	v_cmp_le_i32_e64 s0, v0, v21
	s_delay_alu instid0(VALU_DEP_1) | instskip(SKIP_2) | instid1(VALU_DEP_1)
	s_and_b32 s0, vcc_lo, s0
	s_waitcnt lgkmcnt(0)
	v_mad_i64_i32 v[1:2], null, v21, s3, 0
	v_lshlrev_b64 v[1:2], 4, v[1:2]
	s_delay_alu instid0(VALU_DEP_1) | instskip(NEXT) | instid1(VALU_DEP_1)
	v_add_co_u32 v20, s1, s4, v1
	v_add_co_ci_u32_e64 v22, s1, s5, v2, s1
	s_and_saveexec_b32 s1, s0
	s_cbranch_execz .LBB705_5
; %bb.4:
	v_ashrrev_i32_e32 v1, 31, v0
	s_delay_alu instid0(VALU_DEP_1) | instskip(NEXT) | instid1(VALU_DEP_1)
	v_lshlrev_b64 v[1:2], 4, v[0:1]
	v_add_co_u32 v1, s0, v20, v1
	s_delay_alu instid0(VALU_DEP_1)
	v_add_co_ci_u32_e64 v2, s0, v22, v2, s0
	global_load_b128 v[23:26], v[1:2], off
	s_waitcnt vmcnt(0)
	v_add_f64 v[16:17], v[16:17], -v[23:24]
	v_add_f64 v[18:19], v[18:19], -v[25:26]
	global_store_b128 v[1:2], v[16:19], off
.LBB705_5:
	s_or_b32 exec_lo, exec_lo, s1
	v_add_nc_u32_e32 v2, 16, v0
	s_delay_alu instid0(VALU_DEP_1) | instskip(NEXT) | instid1(VALU_DEP_1)
	v_cmp_le_i32_e64 s0, v2, v21
	s_and_b32 s1, vcc_lo, s0
	s_delay_alu instid0(SALU_CYCLE_1)
	s_and_saveexec_b32 s0, s1
	s_cbranch_execz .LBB705_7
; %bb.6:
	v_ashrrev_i32_e32 v3, 31, v2
	s_delay_alu instid0(VALU_DEP_1) | instskip(NEXT) | instid1(VALU_DEP_1)
	v_lshlrev_b64 v[16:17], 4, v[2:3]
	v_add_co_u32 v23, vcc_lo, v20, v16
	s_delay_alu instid0(VALU_DEP_2)
	v_add_co_ci_u32_e32 v24, vcc_lo, v22, v17, vcc_lo
	global_load_b128 v[16:19], v[23:24], off
	s_waitcnt vmcnt(0)
	v_add_f64 v[14:15], v[14:15], -v[16:17]
	v_add_f64 v[16:17], v[12:13], -v[18:19]
	global_store_b128 v[23:24], v[14:17], off
.LBB705_7:
	s_or_b32 exec_lo, exec_lo, s0
	v_add_nc_u32_e32 v3, 16, v21
	s_delay_alu instid0(VALU_DEP_1) | instskip(SKIP_2) | instid1(VALU_DEP_1)
	v_mad_i64_i32 v[12:13], null, v3, s3, 0
	v_cmp_gt_i32_e32 vcc_lo, s2, v3
	v_cmp_le_i32_e64 s0, v0, v3
	s_and_b32 s0, vcc_lo, s0
	s_delay_alu instid0(VALU_DEP_3) | instskip(NEXT) | instid1(VALU_DEP_1)
	v_lshlrev_b64 v[12:13], 4, v[12:13]
	v_add_co_u32 v12, s1, s4, v12
	s_delay_alu instid0(VALU_DEP_1)
	v_add_co_ci_u32_e64 v13, s1, s5, v13, s1
	s_and_saveexec_b32 s1, s0
	s_cbranch_execz .LBB705_9
; %bb.8:
	v_ashrrev_i32_e32 v1, 31, v0
	s_delay_alu instid0(VALU_DEP_1) | instskip(NEXT) | instid1(VALU_DEP_1)
	v_lshlrev_b64 v[0:1], 4, v[0:1]
	v_add_co_u32 v0, s0, v12, v0
	s_delay_alu instid0(VALU_DEP_1)
	v_add_co_ci_u32_e64 v1, s0, v13, v1, s0
	global_load_b128 v[14:17], v[0:1], off
	s_waitcnt vmcnt(0)
	v_add_f64 v[14:15], v[10:11], -v[14:15]
	v_add_f64 v[16:17], v[8:9], -v[16:17]
	global_store_b128 v[0:1], v[14:17], off
.LBB705_9:
	s_or_b32 exec_lo, exec_lo, s1
	v_cmp_le_i32_e64 s0, v2, v3
	s_delay_alu instid0(VALU_DEP_1) | instskip(NEXT) | instid1(SALU_CYCLE_1)
	s_and_b32 s0, vcc_lo, s0
	s_and_saveexec_b32 s1, s0
	s_cbranch_execz .LBB705_11
; %bb.10:
	v_ashrrev_i32_e32 v3, 31, v2
	s_delay_alu instid0(VALU_DEP_1) | instskip(NEXT) | instid1(VALU_DEP_1)
	v_lshlrev_b64 v[0:1], 4, v[2:3]
	v_add_co_u32 v8, vcc_lo, v12, v0
	s_delay_alu instid0(VALU_DEP_2)
	v_add_co_ci_u32_e32 v9, vcc_lo, v13, v1, vcc_lo
	global_load_b128 v[0:3], v[8:9], off
	s_waitcnt vmcnt(0)
	v_add_f64 v[0:1], v[6:7], -v[0:1]
	v_add_f64 v[2:3], v[4:5], -v[2:3]
	global_store_b128 v[8:9], v[0:3], off
.LBB705_11:
	s_nop 0
	s_sendmsg sendmsg(MSG_DEALLOC_VGPRS)
	s_endpgm
	.section	.rodata,"a",@progbits
	.p2align	6, 0x0
	.amdhsa_kernel _ZL37rocblas_syrkx_herkx_restricted_kernelIi19rocblas_complex_numIdELi16ELi32ELi8ELi1ELin1ELb0ELc67ELc85EKPKS1_KPS1_EviT_PT9_S7_lS9_S7_lPT10_S7_li
		.amdhsa_group_segment_fixed_size 8192
		.amdhsa_private_segment_fixed_size 0
		.amdhsa_kernarg_size 84
		.amdhsa_user_sgpr_count 13
		.amdhsa_user_sgpr_dispatch_ptr 0
		.amdhsa_user_sgpr_queue_ptr 0
		.amdhsa_user_sgpr_kernarg_segment_ptr 1
		.amdhsa_user_sgpr_dispatch_id 0
		.amdhsa_user_sgpr_private_segment_size 0
		.amdhsa_wavefront_size32 1
		.amdhsa_uses_dynamic_stack 0
		.amdhsa_enable_private_segment 0
		.amdhsa_system_sgpr_workgroup_id_x 1
		.amdhsa_system_sgpr_workgroup_id_y 1
		.amdhsa_system_sgpr_workgroup_id_z 1
		.amdhsa_system_sgpr_workgroup_info 0
		.amdhsa_system_vgpr_workitem_id 1
		.amdhsa_next_free_vgpr 118
		.amdhsa_next_free_sgpr 17
		.amdhsa_reserve_vcc 1
		.amdhsa_float_round_mode_32 0
		.amdhsa_float_round_mode_16_64 0
		.amdhsa_float_denorm_mode_32 3
		.amdhsa_float_denorm_mode_16_64 3
		.amdhsa_dx10_clamp 1
		.amdhsa_ieee_mode 1
		.amdhsa_fp16_overflow 0
		.amdhsa_workgroup_processor_mode 1
		.amdhsa_memory_ordered 1
		.amdhsa_forward_progress 0
		.amdhsa_shared_vgpr_count 0
		.amdhsa_exception_fp_ieee_invalid_op 0
		.amdhsa_exception_fp_denorm_src 0
		.amdhsa_exception_fp_ieee_div_zero 0
		.amdhsa_exception_fp_ieee_overflow 0
		.amdhsa_exception_fp_ieee_underflow 0
		.amdhsa_exception_fp_ieee_inexact 0
		.amdhsa_exception_int_div_zero 0
	.end_amdhsa_kernel
	.section	.text._ZL37rocblas_syrkx_herkx_restricted_kernelIi19rocblas_complex_numIdELi16ELi32ELi8ELi1ELin1ELb0ELc67ELc85EKPKS1_KPS1_EviT_PT9_S7_lS9_S7_lPT10_S7_li,"axG",@progbits,_ZL37rocblas_syrkx_herkx_restricted_kernelIi19rocblas_complex_numIdELi16ELi32ELi8ELi1ELin1ELb0ELc67ELc85EKPKS1_KPS1_EviT_PT9_S7_lS9_S7_lPT10_S7_li,comdat
.Lfunc_end705:
	.size	_ZL37rocblas_syrkx_herkx_restricted_kernelIi19rocblas_complex_numIdELi16ELi32ELi8ELi1ELin1ELb0ELc67ELc85EKPKS1_KPS1_EviT_PT9_S7_lS9_S7_lPT10_S7_li, .Lfunc_end705-_ZL37rocblas_syrkx_herkx_restricted_kernelIi19rocblas_complex_numIdELi16ELi32ELi8ELi1ELin1ELb0ELc67ELc85EKPKS1_KPS1_EviT_PT9_S7_lS9_S7_lPT10_S7_li
                                        ; -- End function
	.section	.AMDGPU.csdata,"",@progbits
; Kernel info:
; codeLenInByte = 2968
; NumSgprs: 19
; NumVgprs: 118
; ScratchSize: 0
; MemoryBound: 0
; FloatMode: 240
; IeeeMode: 1
; LDSByteSize: 8192 bytes/workgroup (compile time only)
; SGPRBlocks: 2
; VGPRBlocks: 14
; NumSGPRsForWavesPerEU: 19
; NumVGPRsForWavesPerEU: 118
; Occupancy: 12
; WaveLimiterHint : 1
; COMPUTE_PGM_RSRC2:SCRATCH_EN: 0
; COMPUTE_PGM_RSRC2:USER_SGPR: 13
; COMPUTE_PGM_RSRC2:TRAP_HANDLER: 0
; COMPUTE_PGM_RSRC2:TGID_X_EN: 1
; COMPUTE_PGM_RSRC2:TGID_Y_EN: 1
; COMPUTE_PGM_RSRC2:TGID_Z_EN: 1
; COMPUTE_PGM_RSRC2:TIDIG_COMP_CNT: 1
	.section	.text._ZL37rocblas_syrkx_herkx_restricted_kernelIi19rocblas_complex_numIdELi16ELi32ELi8ELi1ELin1ELb0ELc78ELc85EKPKS1_KPS1_EviT_PT9_S7_lS9_S7_lPT10_S7_li,"axG",@progbits,_ZL37rocblas_syrkx_herkx_restricted_kernelIi19rocblas_complex_numIdELi16ELi32ELi8ELi1ELin1ELb0ELc78ELc85EKPKS1_KPS1_EviT_PT9_S7_lS9_S7_lPT10_S7_li,comdat
	.globl	_ZL37rocblas_syrkx_herkx_restricted_kernelIi19rocblas_complex_numIdELi16ELi32ELi8ELi1ELin1ELb0ELc78ELc85EKPKS1_KPS1_EviT_PT9_S7_lS9_S7_lPT10_S7_li ; -- Begin function _ZL37rocblas_syrkx_herkx_restricted_kernelIi19rocblas_complex_numIdELi16ELi32ELi8ELi1ELin1ELb0ELc78ELc85EKPKS1_KPS1_EviT_PT9_S7_lS9_S7_lPT10_S7_li
	.p2align	8
	.type	_ZL37rocblas_syrkx_herkx_restricted_kernelIi19rocblas_complex_numIdELi16ELi32ELi8ELi1ELin1ELb0ELc78ELc85EKPKS1_KPS1_EviT_PT9_S7_lS9_S7_lPT10_S7_li,@function
_ZL37rocblas_syrkx_herkx_restricted_kernelIi19rocblas_complex_numIdELi16ELi32ELi8ELi1ELin1ELb0ELc78ELc85EKPKS1_KPS1_EviT_PT9_S7_lS9_S7_lPT10_S7_li: ; @_ZL37rocblas_syrkx_herkx_restricted_kernelIi19rocblas_complex_numIdELi16ELi32ELi8ELi1ELin1ELb0ELc78ELc85EKPKS1_KPS1_EviT_PT9_S7_lS9_S7_lPT10_S7_li
; %bb.0:
	s_clause 0x1
	s_load_b64 s[4:5], s[0:1], 0x38
	s_load_b64 s[2:3], s[0:1], 0x0
	s_mov_b32 s6, s15
	s_mov_b32 s7, 0
	v_mov_b32_e32 v16, 0
	s_lshl_b64 s[8:9], s[6:7], 3
	v_dual_mov_b32 v17, 0 :: v_dual_and_b32 v20, 0x3ff, v0
	v_bfe_u32 v21, v0, 10, 10
	s_delay_alu instid0(VALU_DEP_3) | instskip(NEXT) | instid1(VALU_DEP_3)
	v_mov_b32_e32 v14, v16
	v_dual_mov_b32 v12, v16 :: v_dual_mov_b32 v13, v17
	v_dual_mov_b32 v19, v17 :: v_dual_mov_b32 v18, v16
	;; [unrolled: 1-line block ×5, first 2 shown]
	v_mov_b32_e32 v7, v17
	s_waitcnt lgkmcnt(0)
	s_add_u32 s4, s4, s8
	s_addc_u32 s5, s5, s9
	v_dual_mov_b32 v4, v16 :: v_dual_mov_b32 v5, v17
	s_load_b64 s[4:5], s[4:5], 0x0
	s_lshl_b32 s6, s13, 5
	s_lshl_b32 s12, s14, 5
	s_cmp_lt_i32 s3, 1
	s_cbranch_scc1 .LBB706_3
; %bb.1:
	s_clause 0x3
	s_load_b32 s10, s[0:1], 0x10
	s_load_b32 s14, s[0:1], 0x28
	s_load_b64 s[16:17], s[0:1], 0x8
	s_load_b64 s[18:19], s[0:1], 0x20
	v_lshl_add_u32 v0, v21, 4, v20
	v_and_b32_e32 v10, 7, v20
	v_lshl_add_u32 v23, v21, 7, 0x1000
	v_mov_b32_e32 v4, 0
	v_mov_b32_e32 v5, 0
	v_and_b32_e32 v9, 31, v0
	v_lshrrev_b32_e32 v8, 3, v0
	v_lshlrev_b32_e32 v12, 4, v10
	v_lshrrev_b32_e32 v11, 5, v0
	s_delay_alu instid0(VALU_DEP_4) | instskip(NEXT) | instid1(VALU_DEP_4)
	v_dual_mov_b32 v15, v5 :: v_dual_add_nc_u32 v2, s6, v9
	v_add_nc_u32_e32 v0, s12, v8
	v_lshlrev_b32_e32 v9, 4, v9
	v_lshl_or_b32 v8, v8, 7, v12
	v_lshlrev_b32_e32 v22, 4, v20
	v_ashrrev_i32_e32 v3, 31, v2
	s_waitcnt lgkmcnt(0)
	s_ashr_i32 s11, s10, 31
	s_ashr_i32 s15, s14, 31
	s_add_u32 s16, s16, s8
	s_addc_u32 s17, s17, s9
	s_add_u32 s8, s18, s8
	s_load_b64 s[16:17], s[16:17], 0x0
	s_addc_u32 s9, s19, s9
	v_lshl_or_b32 v24, v11, 9, v9
	s_load_b64 s[8:9], s[8:9], 0x0
	v_add_nc_u32_e32 v25, 0x1000, v8
	v_dual_mov_b32 v9, v5 :: v_dual_mov_b32 v8, v4
	v_ashrrev_i32_e32 v1, 31, v0
	v_mad_i64_i32 v[6:7], null, s10, v11, v[2:3]
	v_dual_mov_b32 v13, v5 :: v_dual_mov_b32 v12, v4
	v_mov_b32_e32 v19, v5
	s_delay_alu instid0(VALU_DEP_4)
	v_mad_i64_i32 v[2:3], null, s14, v10, v[0:1]
	v_mov_b32_e32 v11, v5
	v_lshlrev_b64 v[0:1], 4, v[6:7]
	v_dual_mov_b32 v10, v4 :: v_dual_mov_b32 v7, v5
	v_dual_mov_b32 v14, v4 :: v_dual_mov_b32 v17, v5
	v_lshlrev_b64 v[2:3], 4, v[2:3]
	s_waitcnt lgkmcnt(0)
	s_delay_alu instid0(VALU_DEP_4) | instskip(SKIP_2) | instid1(VALU_DEP_4)
	v_add_co_u32 v0, vcc_lo, v0, s16
	v_add_co_ci_u32_e32 v1, vcc_lo, s17, v1, vcc_lo
	v_mov_b32_e32 v6, v4
	v_add_co_u32 v2, vcc_lo, v2, s8
	v_add_co_ci_u32_e32 v3, vcc_lo, s9, v3, vcc_lo
	v_add_co_u32 v0, vcc_lo, v0, 8
	v_add_co_ci_u32_e32 v1, vcc_lo, 0, v1, vcc_lo
	s_delay_alu instid0(VALU_DEP_4) | instskip(NEXT) | instid1(VALU_DEP_4)
	v_add_co_u32 v2, vcc_lo, v2, 8
	v_add_co_ci_u32_e32 v3, vcc_lo, 0, v3, vcc_lo
	v_mov_b32_e32 v18, v4
	v_mov_b32_e32 v16, v4
	s_lshl_b64 s[8:9], s[10:11], 7
	s_lshl_b64 s[10:11], s[14:15], 7
.LBB706_2:                              ; =>This Inner Loop Header: Depth=1
	global_load_b128 v[26:29], v[0:1], off offset:-8
	global_load_b128 v[30:33], v[2:3], off offset:-8
	v_add_co_u32 v0, vcc_lo, v0, s8
	v_add_co_ci_u32_e32 v1, vcc_lo, s9, v1, vcc_lo
	v_add_co_u32 v2, vcc_lo, v2, s10
	v_add_co_ci_u32_e32 v3, vcc_lo, s11, v3, vcc_lo
	s_add_i32 s7, s7, 8
	s_waitcnt vmcnt(1)
	ds_store_b128 v24, v[26:29]
	s_waitcnt vmcnt(0)
	ds_store_b128 v25, v[30:33]
	s_waitcnt lgkmcnt(0)
	s_barrier
	buffer_gl0_inv
	ds_load_b128 v[26:29], v23
	ds_load_b128 v[30:33], v22
	ds_load_b128 v[34:37], v22 offset:256
	ds_load_b128 v[38:41], v23 offset:2048
	;; [unrolled: 1-line block ×13, first 2 shown]
	s_cmp_ge_i32 s7, s3
	s_waitcnt lgkmcnt(13)
	v_mul_f64 v[86:87], v[28:29], v[32:33]
	v_mul_f64 v[88:89], v[26:27], v[32:33]
	s_waitcnt lgkmcnt(12)
	v_mul_f64 v[90:91], v[28:29], v[36:37]
	v_mul_f64 v[92:93], v[26:27], v[36:37]
	;; [unrolled: 3-line block ×3, first 2 shown]
	v_mul_f64 v[96:97], v[40:41], v[36:37]
	v_mul_f64 v[36:37], v[38:39], v[36:37]
	s_waitcnt lgkmcnt(8)
	v_mul_f64 v[98:99], v[44:45], v[52:53]
	v_mul_f64 v[100:101], v[42:43], v[52:53]
	s_waitcnt lgkmcnt(7)
	v_mul_f64 v[102:103], v[44:45], v[56:57]
	v_mul_f64 v[104:105], v[42:43], v[56:57]
	;; [unrolled: 1-line block ×6, first 2 shown]
	s_waitcnt lgkmcnt(3)
	v_mul_f64 v[112:113], v[58:59], v[72:73]
	s_waitcnt lgkmcnt(2)
	v_mul_f64 v[114:115], v[76:77], v[68:69]
	v_mul_f64 v[116:117], v[76:77], v[72:73]
	v_fma_f64 v[86:87], v[26:27], v[30:31], -v[86:87]
	v_fma_f64 v[88:89], v[28:29], v[30:31], v[88:89]
	v_fma_f64 v[90:91], v[26:27], v[34:35], -v[90:91]
	v_fma_f64 v[92:93], v[28:29], v[34:35], v[92:93]
	;; [unrolled: 2-line block ×4, first 2 shown]
	v_mul_f64 v[36:37], v[60:61], v[68:69]
	v_mul_f64 v[40:41], v[58:59], v[68:69]
	;; [unrolled: 1-line block ×5, first 2 shown]
	v_fma_f64 v[98:99], v[42:43], v[50:51], -v[98:99]
	v_fma_f64 v[100:101], v[44:45], v[50:51], v[100:101]
	v_fma_f64 v[42:43], v[42:43], v[54:55], -v[102:103]
	v_fma_f64 v[44:45], v[44:45], v[54:55], v[104:105]
	;; [unrolled: 2-line block ×4, first 2 shown]
	ds_load_b128 v[26:29], v22 offset:1792
	ds_load_b128 v[30:33], v22 offset:2048
	s_waitcnt lgkmcnt(2)
	v_mul_f64 v[56:57], v[64:65], v[84:85]
	v_add_f64 v[16:17], v[16:17], v[86:87]
	v_add_f64 v[18:19], v[18:19], v[88:89]
	;; [unrolled: 1-line block ×8, first 2 shown]
	v_mul_f64 v[86:87], v[62:63], v[84:85]
	s_waitcnt lgkmcnt(1)
	v_mul_f64 v[88:89], v[64:65], v[28:29]
	v_mul_f64 v[90:91], v[62:63], v[28:29]
	;; [unrolled: 1-line block ×6, first 2 shown]
	v_fma_f64 v[104:105], v[58:59], v[66:67], -v[36:37]
	v_fma_f64 v[106:107], v[60:61], v[66:67], v[40:41]
	v_fma_f64 v[58:59], v[58:59], v[70:71], -v[96:97]
	v_fma_f64 v[60:61], v[60:61], v[70:71], v[112:113]
	;; [unrolled: 2-line block ×4, first 2 shown]
	ds_load_b128 v[4:7], v22 offset:2304
	ds_load_b128 v[8:11], v23 offset:64
	v_fma_f64 v[56:57], v[62:63], v[82:83], -v[56:57]
	v_add_f64 v[72:73], v[16:17], v[98:99]
	v_add_f64 v[74:75], v[18:19], v[100:101]
	;; [unrolled: 1-line block ×8, first 2 shown]
	ds_load_b128 v[12:15], v23 offset:2112
	ds_load_b128 v[16:19], v23 offset:80
	;; [unrolled: 1-line block ×4, first 2 shown]
	s_waitcnt lgkmcnt(4)
	v_mul_f64 v[54:55], v[10:11], v[32:33]
	v_mul_f64 v[76:77], v[8:9], v[32:33]
	;; [unrolled: 1-line block ×4, first 2 shown]
	v_fma_f64 v[86:87], v[64:65], v[82:83], v[86:87]
	v_fma_f64 v[62:63], v[62:63], v[26:27], -v[88:89]
	v_fma_f64 v[64:65], v[64:65], v[26:27], v[90:91]
	v_fma_f64 v[88:89], v[78:79], v[82:83], -v[92:93]
	;; [unrolled: 2-line block ×3, first 2 shown]
	v_fma_f64 v[80:81], v[80:81], v[26:27], v[28:29]
	s_waitcnt lgkmcnt(3)
	v_mul_f64 v[102:103], v[14:15], v[32:33]
	v_mul_f64 v[32:33], v[12:13], v[32:33]
	;; [unrolled: 1-line block ×4, first 2 shown]
	s_waitcnt lgkmcnt(0)
	v_mul_f64 v[90:91], v[18:19], v[40:41]
	v_mul_f64 v[92:93], v[16:17], v[40:41]
	v_add_f64 v[72:73], v[72:73], v[104:105]
	v_add_f64 v[74:75], v[74:75], v[106:107]
	;; [unrolled: 1-line block ×8, first 2 shown]
	ds_load_b128 v[26:29], v22 offset:2816
	ds_load_b128 v[42:45], v22 offset:3072
	;; [unrolled: 1-line block ×4, first 2 shown]
	v_mul_f64 v[104:105], v[36:37], v[40:41]
	v_mul_f64 v[40:41], v[34:35], v[40:41]
	v_fma_f64 v[54:55], v[8:9], v[30:31], -v[54:55]
	v_fma_f64 v[76:77], v[10:11], v[30:31], v[76:77]
	v_fma_f64 v[98:99], v[8:9], v[4:5], -v[98:99]
	v_fma_f64 v[100:101], v[10:11], v[4:5], v[100:101]
	s_waitcnt lgkmcnt(3)
	v_mul_f64 v[94:95], v[18:19], v[28:29]
	v_mul_f64 v[96:97], v[16:17], v[28:29]
	;; [unrolled: 1-line block ×4, first 2 shown]
	v_fma_f64 v[102:103], v[12:13], v[30:31], -v[102:103]
	v_fma_f64 v[32:33], v[14:15], v[30:31], v[32:33]
	v_fma_f64 v[108:109], v[12:13], v[4:5], -v[108:109]
	v_fma_f64 v[112:113], v[14:15], v[4:5], v[6:7]
	ds_load_b128 v[4:7], v23 offset:2144
	ds_load_b128 v[8:11], v23 offset:112
	ds_load_b128 v[12:15], v23 offset:2160
	ds_load_b128 v[28:31], v22 offset:3584
	v_add_f64 v[56:57], v[72:73], v[56:57]
	v_add_f64 v[72:73], v[74:75], v[86:87]
	;; [unrolled: 1-line block ×8, first 2 shown]
	s_waitcnt lgkmcnt(4)
	v_mul_f64 v[70:71], v[52:53], v[44:45]
	v_mul_f64 v[74:75], v[50:51], v[44:45]
	;; [unrolled: 1-line block ×4, first 2 shown]
	s_waitcnt lgkmcnt(3)
	v_mul_f64 v[82:83], v[6:7], v[44:45]
	v_mul_f64 v[44:45], v[4:5], v[44:45]
	;; [unrolled: 1-line block ×4, first 2 shown]
	v_fma_f64 v[86:87], v[16:17], v[38:39], -v[90:91]
	v_fma_f64 v[88:89], v[18:19], v[38:39], v[92:93]
	v_fma_f64 v[90:91], v[16:17], v[26:27], -v[94:95]
	v_fma_f64 v[92:93], v[18:19], v[26:27], v[96:97]
	;; [unrolled: 2-line block ×4, first 2 shown]
	ds_load_b128 v[16:19], v22 offset:3840
	s_waitcnt lgkmcnt(0)
	s_barrier
	buffer_gl0_inv
	v_add_f64 v[36:37], v[56:57], v[54:55]
	v_add_f64 v[40:41], v[72:73], v[76:77]
	;; [unrolled: 1-line block ×8, first 2 shown]
	v_mul_f64 v[64:65], v[10:11], v[30:31]
	v_mul_f64 v[66:67], v[8:9], v[30:31]
	;; [unrolled: 1-line block ×4, first 2 shown]
	v_fma_f64 v[70:71], v[50:51], v[42:43], -v[70:71]
	v_mul_f64 v[68:69], v[10:11], v[18:19]
	v_mul_f64 v[72:73], v[8:9], v[18:19]
	v_mul_f64 v[96:97], v[14:15], v[18:19]
	v_mul_f64 v[18:19], v[12:13], v[18:19]
	v_fma_f64 v[74:75], v[52:53], v[42:43], v[74:75]
	v_fma_f64 v[50:51], v[50:51], v[46:47], -v[78:79]
	v_fma_f64 v[52:53], v[52:53], v[46:47], v[80:81]
	v_fma_f64 v[78:79], v[4:5], v[42:43], -v[82:83]
	;; [unrolled: 2-line block ×3, first 2 shown]
	v_fma_f64 v[6:7], v[6:7], v[46:47], v[48:49]
	v_add_f64 v[36:37], v[36:37], v[86:87]
	v_add_f64 v[40:41], v[40:41], v[88:89]
	;; [unrolled: 1-line block ×8, first 2 shown]
	v_fma_f64 v[38:39], v[8:9], v[28:29], -v[64:65]
	v_fma_f64 v[54:55], v[10:11], v[28:29], v[66:67]
	v_fma_f64 v[56:57], v[12:13], v[28:29], -v[76:77]
	v_fma_f64 v[28:29], v[14:15], v[28:29], v[30:31]
	v_fma_f64 v[8:9], v[8:9], v[16:17], -v[68:69]
	v_fma_f64 v[10:11], v[10:11], v[16:17], v[72:73]
	v_fma_f64 v[30:31], v[12:13], v[16:17], -v[96:97]
	v_fma_f64 v[58:59], v[14:15], v[16:17], v[18:19]
	v_add_f64 v[12:13], v[36:37], v[70:71]
	v_add_f64 v[14:15], v[40:41], v[74:75]
	v_add_f64 v[36:37], v[44:45], v[50:51]
	v_add_f64 v[40:41], v[46:47], v[52:53]
	v_add_f64 v[44:45], v[48:49], v[78:79]
	v_add_f64 v[32:33], v[32:33], v[42:43]
	v_add_f64 v[4:5], v[34:35], v[4:5]
	v_add_f64 v[26:27], v[26:27], v[6:7]
	v_add_f64 v[16:17], v[12:13], v[38:39]
	v_add_f64 v[18:19], v[14:15], v[54:55]
	v_add_f64 v[14:15], v[36:37], v[8:9]
	v_add_f64 v[12:13], v[40:41], v[10:11]
	v_add_f64 v[10:11], v[44:45], v[56:57]
	v_add_f64 v[8:9], v[32:33], v[28:29]
	v_add_f64 v[6:7], v[4:5], v[30:31]
	v_add_f64 v[4:5], v[26:27], v[58:59]
	s_cbranch_scc0 .LBB706_2
.LBB706_3:
	s_load_b32 s3, s[0:1], 0x40
	v_add_nc_u32_e32 v21, s12, v21
	v_add_nc_u32_e32 v0, s6, v20
	s_delay_alu instid0(VALU_DEP_2) | instskip(NEXT) | instid1(VALU_DEP_2)
	v_cmp_gt_i32_e32 vcc_lo, s2, v21
	v_cmp_le_i32_e64 s0, v0, v21
	s_delay_alu instid0(VALU_DEP_1) | instskip(SKIP_2) | instid1(VALU_DEP_1)
	s_and_b32 s0, vcc_lo, s0
	s_waitcnt lgkmcnt(0)
	v_mad_i64_i32 v[1:2], null, v21, s3, 0
	v_lshlrev_b64 v[1:2], 4, v[1:2]
	s_delay_alu instid0(VALU_DEP_1) | instskip(NEXT) | instid1(VALU_DEP_1)
	v_add_co_u32 v20, s1, s4, v1
	v_add_co_ci_u32_e64 v22, s1, s5, v2, s1
	s_and_saveexec_b32 s1, s0
	s_cbranch_execz .LBB706_5
; %bb.4:
	v_ashrrev_i32_e32 v1, 31, v0
	s_delay_alu instid0(VALU_DEP_1) | instskip(NEXT) | instid1(VALU_DEP_1)
	v_lshlrev_b64 v[1:2], 4, v[0:1]
	v_add_co_u32 v1, s0, v20, v1
	s_delay_alu instid0(VALU_DEP_1)
	v_add_co_ci_u32_e64 v2, s0, v22, v2, s0
	global_load_b128 v[23:26], v[1:2], off
	s_waitcnt vmcnt(0)
	v_add_f64 v[16:17], v[16:17], -v[23:24]
	v_add_f64 v[18:19], v[18:19], -v[25:26]
	global_store_b128 v[1:2], v[16:19], off
.LBB706_5:
	s_or_b32 exec_lo, exec_lo, s1
	v_add_nc_u32_e32 v2, 16, v0
	s_delay_alu instid0(VALU_DEP_1) | instskip(NEXT) | instid1(VALU_DEP_1)
	v_cmp_le_i32_e64 s0, v2, v21
	s_and_b32 s1, vcc_lo, s0
	s_delay_alu instid0(SALU_CYCLE_1)
	s_and_saveexec_b32 s0, s1
	s_cbranch_execz .LBB706_7
; %bb.6:
	v_ashrrev_i32_e32 v3, 31, v2
	s_delay_alu instid0(VALU_DEP_1) | instskip(NEXT) | instid1(VALU_DEP_1)
	v_lshlrev_b64 v[16:17], 4, v[2:3]
	v_add_co_u32 v23, vcc_lo, v20, v16
	s_delay_alu instid0(VALU_DEP_2)
	v_add_co_ci_u32_e32 v24, vcc_lo, v22, v17, vcc_lo
	global_load_b128 v[16:19], v[23:24], off
	s_waitcnt vmcnt(0)
	v_add_f64 v[14:15], v[14:15], -v[16:17]
	v_add_f64 v[16:17], v[12:13], -v[18:19]
	global_store_b128 v[23:24], v[14:17], off
.LBB706_7:
	s_or_b32 exec_lo, exec_lo, s0
	v_add_nc_u32_e32 v3, 16, v21
	s_delay_alu instid0(VALU_DEP_1) | instskip(SKIP_2) | instid1(VALU_DEP_1)
	v_mad_i64_i32 v[12:13], null, v3, s3, 0
	v_cmp_gt_i32_e32 vcc_lo, s2, v3
	v_cmp_le_i32_e64 s0, v0, v3
	s_and_b32 s0, vcc_lo, s0
	s_delay_alu instid0(VALU_DEP_3) | instskip(NEXT) | instid1(VALU_DEP_1)
	v_lshlrev_b64 v[12:13], 4, v[12:13]
	v_add_co_u32 v12, s1, s4, v12
	s_delay_alu instid0(VALU_DEP_1)
	v_add_co_ci_u32_e64 v13, s1, s5, v13, s1
	s_and_saveexec_b32 s1, s0
	s_cbranch_execz .LBB706_9
; %bb.8:
	v_ashrrev_i32_e32 v1, 31, v0
	s_delay_alu instid0(VALU_DEP_1) | instskip(NEXT) | instid1(VALU_DEP_1)
	v_lshlrev_b64 v[0:1], 4, v[0:1]
	v_add_co_u32 v0, s0, v12, v0
	s_delay_alu instid0(VALU_DEP_1)
	v_add_co_ci_u32_e64 v1, s0, v13, v1, s0
	global_load_b128 v[14:17], v[0:1], off
	s_waitcnt vmcnt(0)
	v_add_f64 v[14:15], v[10:11], -v[14:15]
	v_add_f64 v[16:17], v[8:9], -v[16:17]
	global_store_b128 v[0:1], v[14:17], off
.LBB706_9:
	s_or_b32 exec_lo, exec_lo, s1
	v_cmp_le_i32_e64 s0, v2, v3
	s_delay_alu instid0(VALU_DEP_1) | instskip(NEXT) | instid1(SALU_CYCLE_1)
	s_and_b32 s0, vcc_lo, s0
	s_and_saveexec_b32 s1, s0
	s_cbranch_execz .LBB706_11
; %bb.10:
	v_ashrrev_i32_e32 v3, 31, v2
	s_delay_alu instid0(VALU_DEP_1) | instskip(NEXT) | instid1(VALU_DEP_1)
	v_lshlrev_b64 v[0:1], 4, v[2:3]
	v_add_co_u32 v8, vcc_lo, v12, v0
	s_delay_alu instid0(VALU_DEP_2)
	v_add_co_ci_u32_e32 v9, vcc_lo, v13, v1, vcc_lo
	global_load_b128 v[0:3], v[8:9], off
	s_waitcnt vmcnt(0)
	v_add_f64 v[0:1], v[6:7], -v[0:1]
	v_add_f64 v[2:3], v[4:5], -v[2:3]
	global_store_b128 v[8:9], v[0:3], off
.LBB706_11:
	s_nop 0
	s_sendmsg sendmsg(MSG_DEALLOC_VGPRS)
	s_endpgm
	.section	.rodata,"a",@progbits
	.p2align	6, 0x0
	.amdhsa_kernel _ZL37rocblas_syrkx_herkx_restricted_kernelIi19rocblas_complex_numIdELi16ELi32ELi8ELi1ELin1ELb0ELc78ELc85EKPKS1_KPS1_EviT_PT9_S7_lS9_S7_lPT10_S7_li
		.amdhsa_group_segment_fixed_size 8192
		.amdhsa_private_segment_fixed_size 0
		.amdhsa_kernarg_size 84
		.amdhsa_user_sgpr_count 13
		.amdhsa_user_sgpr_dispatch_ptr 0
		.amdhsa_user_sgpr_queue_ptr 0
		.amdhsa_user_sgpr_kernarg_segment_ptr 1
		.amdhsa_user_sgpr_dispatch_id 0
		.amdhsa_user_sgpr_private_segment_size 0
		.amdhsa_wavefront_size32 1
		.amdhsa_uses_dynamic_stack 0
		.amdhsa_enable_private_segment 0
		.amdhsa_system_sgpr_workgroup_id_x 1
		.amdhsa_system_sgpr_workgroup_id_y 1
		.amdhsa_system_sgpr_workgroup_id_z 1
		.amdhsa_system_sgpr_workgroup_info 0
		.amdhsa_system_vgpr_workitem_id 1
		.amdhsa_next_free_vgpr 118
		.amdhsa_next_free_sgpr 20
		.amdhsa_reserve_vcc 1
		.amdhsa_float_round_mode_32 0
		.amdhsa_float_round_mode_16_64 0
		.amdhsa_float_denorm_mode_32 3
		.amdhsa_float_denorm_mode_16_64 3
		.amdhsa_dx10_clamp 1
		.amdhsa_ieee_mode 1
		.amdhsa_fp16_overflow 0
		.amdhsa_workgroup_processor_mode 1
		.amdhsa_memory_ordered 1
		.amdhsa_forward_progress 0
		.amdhsa_shared_vgpr_count 0
		.amdhsa_exception_fp_ieee_invalid_op 0
		.amdhsa_exception_fp_denorm_src 0
		.amdhsa_exception_fp_ieee_div_zero 0
		.amdhsa_exception_fp_ieee_overflow 0
		.amdhsa_exception_fp_ieee_underflow 0
		.amdhsa_exception_fp_ieee_inexact 0
		.amdhsa_exception_int_div_zero 0
	.end_amdhsa_kernel
	.section	.text._ZL37rocblas_syrkx_herkx_restricted_kernelIi19rocblas_complex_numIdELi16ELi32ELi8ELi1ELin1ELb0ELc78ELc85EKPKS1_KPS1_EviT_PT9_S7_lS9_S7_lPT10_S7_li,"axG",@progbits,_ZL37rocblas_syrkx_herkx_restricted_kernelIi19rocblas_complex_numIdELi16ELi32ELi8ELi1ELin1ELb0ELc78ELc85EKPKS1_KPS1_EviT_PT9_S7_lS9_S7_lPT10_S7_li,comdat
.Lfunc_end706:
	.size	_ZL37rocblas_syrkx_herkx_restricted_kernelIi19rocblas_complex_numIdELi16ELi32ELi8ELi1ELin1ELb0ELc78ELc85EKPKS1_KPS1_EviT_PT9_S7_lS9_S7_lPT10_S7_li, .Lfunc_end706-_ZL37rocblas_syrkx_herkx_restricted_kernelIi19rocblas_complex_numIdELi16ELi32ELi8ELi1ELin1ELb0ELc78ELc85EKPKS1_KPS1_EviT_PT9_S7_lS9_S7_lPT10_S7_li
                                        ; -- End function
	.section	.AMDGPU.csdata,"",@progbits
; Kernel info:
; codeLenInByte = 2972
; NumSgprs: 22
; NumVgprs: 118
; ScratchSize: 0
; MemoryBound: 0
; FloatMode: 240
; IeeeMode: 1
; LDSByteSize: 8192 bytes/workgroup (compile time only)
; SGPRBlocks: 2
; VGPRBlocks: 14
; NumSGPRsForWavesPerEU: 22
; NumVGPRsForWavesPerEU: 118
; Occupancy: 12
; WaveLimiterHint : 1
; COMPUTE_PGM_RSRC2:SCRATCH_EN: 0
; COMPUTE_PGM_RSRC2:USER_SGPR: 13
; COMPUTE_PGM_RSRC2:TRAP_HANDLER: 0
; COMPUTE_PGM_RSRC2:TGID_X_EN: 1
; COMPUTE_PGM_RSRC2:TGID_Y_EN: 1
; COMPUTE_PGM_RSRC2:TGID_Z_EN: 1
; COMPUTE_PGM_RSRC2:TIDIG_COMP_CNT: 1
	.section	.text._ZL37rocblas_syrkx_herkx_restricted_kernelIi19rocblas_complex_numIdELi16ELi32ELi8ELi1ELi0ELb0ELc84ELc76EKPKS1_KPS1_EviT_PT9_S7_lS9_S7_lPT10_S7_li,"axG",@progbits,_ZL37rocblas_syrkx_herkx_restricted_kernelIi19rocblas_complex_numIdELi16ELi32ELi8ELi1ELi0ELb0ELc84ELc76EKPKS1_KPS1_EviT_PT9_S7_lS9_S7_lPT10_S7_li,comdat
	.globl	_ZL37rocblas_syrkx_herkx_restricted_kernelIi19rocblas_complex_numIdELi16ELi32ELi8ELi1ELi0ELb0ELc84ELc76EKPKS1_KPS1_EviT_PT9_S7_lS9_S7_lPT10_S7_li ; -- Begin function _ZL37rocblas_syrkx_herkx_restricted_kernelIi19rocblas_complex_numIdELi16ELi32ELi8ELi1ELi0ELb0ELc84ELc76EKPKS1_KPS1_EviT_PT9_S7_lS9_S7_lPT10_S7_li
	.p2align	8
	.type	_ZL37rocblas_syrkx_herkx_restricted_kernelIi19rocblas_complex_numIdELi16ELi32ELi8ELi1ELi0ELb0ELc84ELc76EKPKS1_KPS1_EviT_PT9_S7_lS9_S7_lPT10_S7_li,@function
_ZL37rocblas_syrkx_herkx_restricted_kernelIi19rocblas_complex_numIdELi16ELi32ELi8ELi1ELi0ELb0ELc84ELc76EKPKS1_KPS1_EviT_PT9_S7_lS9_S7_lPT10_S7_li: ; @_ZL37rocblas_syrkx_herkx_restricted_kernelIi19rocblas_complex_numIdELi16ELi32ELi8ELi1ELi0ELb0ELc84ELc76EKPKS1_KPS1_EviT_PT9_S7_lS9_S7_lPT10_S7_li
; %bb.0:
	s_clause 0x1
	s_load_b64 s[2:3], s[0:1], 0x38
	s_load_b64 s[4:5], s[0:1], 0x0
	s_mov_b32 s6, s15
	s_mov_b32 s7, 0
	v_mov_b32_e32 v12, 0
	s_lshl_b64 s[8:9], s[6:7], 3
	v_dual_mov_b32 v13, 0 :: v_dual_and_b32 v20, 0x3ff, v0
	v_bfe_u32 v21, v0, 10, 10
	s_delay_alu instid0(VALU_DEP_3) | instskip(NEXT) | instid1(VALU_DEP_3)
	v_mov_b32_e32 v8, v12
	v_dual_mov_b32 v10, v12 :: v_dual_mov_b32 v11, v13
	v_dual_mov_b32 v15, v13 :: v_dual_mov_b32 v14, v12
	v_dual_mov_b32 v9, v13 :: v_dual_mov_b32 v4, v12
	v_dual_mov_b32 v5, v13 :: v_dual_mov_b32 v6, v12
	v_dual_mov_b32 v7, v13 :: v_dual_mov_b32 v0, v12
	v_mov_b32_e32 v1, v13
	s_waitcnt lgkmcnt(0)
	s_add_u32 s2, s2, s8
	s_addc_u32 s3, s3, s9
	v_dual_mov_b32 v2, v12 :: v_dual_mov_b32 v3, v13
	s_load_b64 s[2:3], s[2:3], 0x0
	s_lshl_b32 s6, s13, 5
	s_lshl_b32 s10, s14, 5
	s_cmp_lt_i32 s5, 1
	s_cbranch_scc1 .LBB707_3
; %bb.1:
	s_clause 0x3
	s_load_b64 s[12:13], s[0:1], 0x8
	s_load_b64 s[14:15], s[0:1], 0x20
	s_load_b32 s11, s[0:1], 0x10
	s_load_b32 s16, s[0:1], 0x28
	v_lshl_add_u32 v4, v21, 4, v20
	v_dual_mov_b32 v1, 0 :: v_dual_and_b32 v0, 7, v20
	v_mov_b32_e32 v2, 0
	v_dual_mov_b32 v3, 0 :: v_dual_lshlrev_b32 v22, 4, v20
	s_delay_alu instid0(VALU_DEP_4)
	v_and_b32_e32 v11, 31, v4
	v_lshrrev_b32_e32 v10, 3, v4
	v_lshrrev_b32_e32 v4, 5, v4
	v_mov_b32_e32 v5, v1
	v_lshl_add_u32 v23, v21, 7, 0x1000
	v_add_nc_u32_e32 v8, s6, v11
	v_dual_mov_b32 v15, v3 :: v_dual_add_nc_u32 v12, s10, v10
	v_mov_b32_e32 v14, v2
	s_waitcnt lgkmcnt(0)
	s_add_u32 s12, s12, s8
	s_addc_u32 s13, s13, s9
	s_add_u32 s8, s14, s8
	s_load_b64 s[12:13], s[12:13], 0x0
	s_addc_u32 s9, s15, s9
	v_mad_i64_i32 v[6:7], null, s11, v8, v[4:5]
	s_load_b64 s[8:9], s[8:9], 0x0
	v_lshlrev_b32_e32 v5, 4, v0
	v_mad_i64_i32 v[8:9], null, s16, v12, v[0:1]
	v_mov_b32_e32 v0, v2
	v_lshlrev_b32_e32 v12, 4, v11
	s_delay_alu instid0(VALU_DEP_4) | instskip(SKIP_2) | instid1(VALU_DEP_4)
	v_lshl_or_b32 v5, v10, 7, v5
	v_lshlrev_b64 v[10:11], 4, v[6:7]
	v_dual_mov_b32 v7, v3 :: v_dual_mov_b32 v6, v2
	v_lshl_or_b32 v24, v4, 9, v12
	s_delay_alu instid0(VALU_DEP_4)
	v_add_nc_u32_e32 v25, 0x1000, v5
	v_lshlrev_b64 v[4:5], 4, v[8:9]
	v_mov_b32_e32 v1, v3
	v_dual_mov_b32 v13, v3 :: v_dual_mov_b32 v12, v2
	s_waitcnt lgkmcnt(0)
	v_add_co_u32 v8, vcc_lo, v10, s12
	v_add_co_ci_u32_e32 v9, vcc_lo, s13, v11, vcc_lo
	v_add_co_u32 v4, vcc_lo, v4, s8
	v_add_co_ci_u32_e32 v5, vcc_lo, s9, v5, vcc_lo
	s_delay_alu instid0(VALU_DEP_4) | instskip(NEXT) | instid1(VALU_DEP_4)
	v_add_co_u32 v16, vcc_lo, v8, 8
	v_add_co_ci_u32_e32 v17, vcc_lo, 0, v9, vcc_lo
	s_delay_alu instid0(VALU_DEP_4) | instskip(NEXT) | instid1(VALU_DEP_4)
	v_add_co_u32 v18, vcc_lo, v4, 8
	v_add_co_ci_u32_e32 v19, vcc_lo, 0, v5, vcc_lo
	v_dual_mov_b32 v5, v3 :: v_dual_mov_b32 v4, v2
	v_dual_mov_b32 v11, v3 :: v_dual_mov_b32 v10, v2
	;; [unrolled: 1-line block ×3, first 2 shown]
.LBB707_2:                              ; =>This Inner Loop Header: Depth=1
	global_load_b128 v[26:29], v[16:17], off offset:-8
	global_load_b128 v[30:33], v[18:19], off offset:-8
	v_add_co_u32 v16, vcc_lo, 0x80, v16
	v_add_co_ci_u32_e32 v17, vcc_lo, 0, v17, vcc_lo
	v_add_co_u32 v18, vcc_lo, 0x80, v18
	v_add_co_ci_u32_e32 v19, vcc_lo, 0, v19, vcc_lo
	s_add_i32 s7, s7, 8
	s_waitcnt vmcnt(1)
	ds_store_b128 v24, v[26:29]
	s_waitcnt vmcnt(0)
	ds_store_b128 v25, v[30:33]
	s_waitcnt lgkmcnt(0)
	s_barrier
	buffer_gl0_inv
	ds_load_b128 v[26:29], v23
	ds_load_b128 v[30:33], v22
	ds_load_b128 v[34:37], v22 offset:256
	ds_load_b128 v[38:41], v23 offset:2048
	;; [unrolled: 1-line block ×13, first 2 shown]
	s_cmp_ge_i32 s7, s5
	s_waitcnt lgkmcnt(13)
	v_mul_f64 v[86:87], v[28:29], v[32:33]
	v_mul_f64 v[88:89], v[26:27], v[32:33]
	s_waitcnt lgkmcnt(12)
	v_mul_f64 v[90:91], v[28:29], v[36:37]
	v_mul_f64 v[92:93], v[26:27], v[36:37]
	;; [unrolled: 3-line block ×3, first 2 shown]
	v_mul_f64 v[96:97], v[40:41], v[36:37]
	v_mul_f64 v[36:37], v[38:39], v[36:37]
	s_waitcnt lgkmcnt(8)
	v_mul_f64 v[98:99], v[44:45], v[52:53]
	v_mul_f64 v[100:101], v[42:43], v[52:53]
	s_waitcnt lgkmcnt(7)
	v_mul_f64 v[102:103], v[44:45], v[56:57]
	v_mul_f64 v[104:105], v[42:43], v[56:57]
	;; [unrolled: 1-line block ×6, first 2 shown]
	s_waitcnt lgkmcnt(3)
	v_mul_f64 v[112:113], v[58:59], v[72:73]
	s_waitcnt lgkmcnt(2)
	v_mul_f64 v[114:115], v[76:77], v[68:69]
	v_mul_f64 v[116:117], v[76:77], v[72:73]
	v_fma_f64 v[86:87], v[26:27], v[30:31], -v[86:87]
	v_fma_f64 v[88:89], v[28:29], v[30:31], v[88:89]
	v_fma_f64 v[90:91], v[26:27], v[34:35], -v[90:91]
	v_fma_f64 v[92:93], v[28:29], v[34:35], v[92:93]
	;; [unrolled: 2-line block ×4, first 2 shown]
	v_mul_f64 v[36:37], v[60:61], v[68:69]
	v_mul_f64 v[40:41], v[58:59], v[68:69]
	;; [unrolled: 1-line block ×5, first 2 shown]
	v_fma_f64 v[98:99], v[42:43], v[50:51], -v[98:99]
	v_fma_f64 v[100:101], v[44:45], v[50:51], v[100:101]
	v_fma_f64 v[42:43], v[42:43], v[54:55], -v[102:103]
	v_fma_f64 v[44:45], v[44:45], v[54:55], v[104:105]
	;; [unrolled: 2-line block ×4, first 2 shown]
	ds_load_b128 v[26:29], v22 offset:1792
	ds_load_b128 v[30:33], v22 offset:2048
	s_waitcnt lgkmcnt(2)
	v_mul_f64 v[56:57], v[64:65], v[84:85]
	v_add_f64 v[12:13], v[12:13], v[86:87]
	v_add_f64 v[14:15], v[14:15], v[88:89]
	;; [unrolled: 1-line block ×8, first 2 shown]
	v_mul_f64 v[86:87], v[62:63], v[84:85]
	s_waitcnt lgkmcnt(1)
	v_mul_f64 v[88:89], v[64:65], v[28:29]
	v_mul_f64 v[90:91], v[62:63], v[28:29]
	;; [unrolled: 1-line block ×6, first 2 shown]
	v_fma_f64 v[104:105], v[58:59], v[66:67], -v[36:37]
	v_fma_f64 v[106:107], v[60:61], v[66:67], v[40:41]
	v_fma_f64 v[58:59], v[58:59], v[70:71], -v[96:97]
	v_fma_f64 v[60:61], v[60:61], v[70:71], v[112:113]
	;; [unrolled: 2-line block ×4, first 2 shown]
	ds_load_b128 v[0:3], v22 offset:2304
	ds_load_b128 v[4:7], v23 offset:64
	v_fma_f64 v[56:57], v[62:63], v[82:83], -v[56:57]
	v_add_f64 v[72:73], v[12:13], v[98:99]
	v_add_f64 v[74:75], v[14:15], v[100:101]
	;; [unrolled: 1-line block ×8, first 2 shown]
	ds_load_b128 v[8:11], v23 offset:2112
	ds_load_b128 v[12:15], v23 offset:80
	;; [unrolled: 1-line block ×4, first 2 shown]
	s_waitcnt lgkmcnt(4)
	v_mul_f64 v[54:55], v[6:7], v[32:33]
	v_mul_f64 v[76:77], v[4:5], v[32:33]
	;; [unrolled: 1-line block ×4, first 2 shown]
	v_fma_f64 v[86:87], v[64:65], v[82:83], v[86:87]
	v_fma_f64 v[62:63], v[62:63], v[26:27], -v[88:89]
	v_fma_f64 v[64:65], v[64:65], v[26:27], v[90:91]
	v_fma_f64 v[88:89], v[78:79], v[82:83], -v[92:93]
	;; [unrolled: 2-line block ×3, first 2 shown]
	v_fma_f64 v[80:81], v[80:81], v[26:27], v[28:29]
	s_waitcnt lgkmcnt(3)
	v_mul_f64 v[102:103], v[10:11], v[32:33]
	v_mul_f64 v[32:33], v[8:9], v[32:33]
	;; [unrolled: 1-line block ×4, first 2 shown]
	s_waitcnt lgkmcnt(0)
	v_mul_f64 v[90:91], v[14:15], v[40:41]
	v_mul_f64 v[92:93], v[12:13], v[40:41]
	v_add_f64 v[72:73], v[72:73], v[104:105]
	v_add_f64 v[74:75], v[74:75], v[106:107]
	;; [unrolled: 1-line block ×8, first 2 shown]
	ds_load_b128 v[26:29], v22 offset:2816
	ds_load_b128 v[42:45], v22 offset:3072
	;; [unrolled: 1-line block ×4, first 2 shown]
	v_mul_f64 v[104:105], v[36:37], v[40:41]
	v_mul_f64 v[40:41], v[34:35], v[40:41]
	v_fma_f64 v[54:55], v[4:5], v[30:31], -v[54:55]
	v_fma_f64 v[76:77], v[6:7], v[30:31], v[76:77]
	v_fma_f64 v[98:99], v[4:5], v[0:1], -v[98:99]
	v_fma_f64 v[100:101], v[6:7], v[0:1], v[100:101]
	s_waitcnt lgkmcnt(3)
	v_mul_f64 v[94:95], v[14:15], v[28:29]
	v_mul_f64 v[96:97], v[12:13], v[28:29]
	v_mul_f64 v[106:107], v[36:37], v[28:29]
	v_mul_f64 v[110:111], v[34:35], v[28:29]
	v_fma_f64 v[102:103], v[8:9], v[30:31], -v[102:103]
	v_fma_f64 v[32:33], v[10:11], v[30:31], v[32:33]
	v_fma_f64 v[108:109], v[8:9], v[0:1], -v[108:109]
	v_fma_f64 v[112:113], v[10:11], v[0:1], v[2:3]
	ds_load_b128 v[0:3], v23 offset:2144
	ds_load_b128 v[4:7], v23 offset:112
	;; [unrolled: 1-line block ×4, first 2 shown]
	v_add_f64 v[56:57], v[72:73], v[56:57]
	v_add_f64 v[72:73], v[74:75], v[86:87]
	;; [unrolled: 1-line block ×8, first 2 shown]
	s_waitcnt lgkmcnt(4)
	v_mul_f64 v[70:71], v[52:53], v[44:45]
	v_mul_f64 v[74:75], v[50:51], v[44:45]
	;; [unrolled: 1-line block ×4, first 2 shown]
	s_waitcnt lgkmcnt(3)
	v_mul_f64 v[82:83], v[2:3], v[44:45]
	v_mul_f64 v[44:45], v[0:1], v[44:45]
	;; [unrolled: 1-line block ×4, first 2 shown]
	v_fma_f64 v[86:87], v[12:13], v[38:39], -v[90:91]
	v_fma_f64 v[88:89], v[14:15], v[38:39], v[92:93]
	v_fma_f64 v[90:91], v[12:13], v[26:27], -v[94:95]
	v_fma_f64 v[92:93], v[14:15], v[26:27], v[96:97]
	;; [unrolled: 2-line block ×4, first 2 shown]
	ds_load_b128 v[12:15], v22 offset:3840
	s_waitcnt lgkmcnt(0)
	s_barrier
	buffer_gl0_inv
	v_add_f64 v[36:37], v[56:57], v[54:55]
	v_add_f64 v[40:41], v[72:73], v[76:77]
	;; [unrolled: 1-line block ×8, first 2 shown]
	v_mul_f64 v[64:65], v[6:7], v[30:31]
	v_mul_f64 v[66:67], v[4:5], v[30:31]
	;; [unrolled: 1-line block ×4, first 2 shown]
	v_fma_f64 v[70:71], v[50:51], v[42:43], -v[70:71]
	v_mul_f64 v[68:69], v[6:7], v[14:15]
	v_mul_f64 v[72:73], v[4:5], v[14:15]
	;; [unrolled: 1-line block ×4, first 2 shown]
	v_fma_f64 v[74:75], v[52:53], v[42:43], v[74:75]
	v_fma_f64 v[50:51], v[50:51], v[46:47], -v[78:79]
	v_fma_f64 v[52:53], v[52:53], v[46:47], v[80:81]
	v_fma_f64 v[78:79], v[0:1], v[42:43], -v[82:83]
	v_fma_f64 v[42:43], v[2:3], v[42:43], v[44:45]
	v_fma_f64 v[0:1], v[0:1], v[46:47], -v[84:85]
	v_fma_f64 v[2:3], v[2:3], v[46:47], v[48:49]
	v_add_f64 v[36:37], v[36:37], v[86:87]
	v_add_f64 v[40:41], v[40:41], v[88:89]
	;; [unrolled: 1-line block ×8, first 2 shown]
	v_fma_f64 v[38:39], v[4:5], v[28:29], -v[64:65]
	v_fma_f64 v[54:55], v[6:7], v[28:29], v[66:67]
	v_fma_f64 v[56:57], v[8:9], v[28:29], -v[76:77]
	v_fma_f64 v[28:29], v[10:11], v[28:29], v[30:31]
	;; [unrolled: 2-line block ×4, first 2 shown]
	v_add_f64 v[8:9], v[36:37], v[70:71]
	v_add_f64 v[10:11], v[40:41], v[74:75]
	;; [unrolled: 1-line block ×16, first 2 shown]
	s_cbranch_scc0 .LBB707_2
.LBB707_3:
	s_load_b32 s5, s[0:1], 0x40
	v_add_nc_u32_e32 v18, s10, v21
	v_add_nc_u32_e32 v16, s6, v20
	s_delay_alu instid0(VALU_DEP_1) | instskip(SKIP_1) | instid1(VALU_DEP_2)
	v_cmp_le_i32_e64 s0, v18, v16
	v_cmp_gt_i32_e32 vcc_lo, s4, v16
	s_and_b32 s0, s0, vcc_lo
	s_waitcnt lgkmcnt(0)
	v_mad_i64_i32 v[21:22], null, v18, s5, 0
	s_delay_alu instid0(VALU_DEP_1) | instskip(NEXT) | instid1(VALU_DEP_1)
	v_lshlrev_b64 v[19:20], 4, v[21:22]
	v_add_co_u32 v19, s1, s2, v19
	s_delay_alu instid0(VALU_DEP_1)
	v_add_co_ci_u32_e64 v20, s1, s3, v20, s1
	s_and_saveexec_b32 s1, s0
	s_cbranch_execz .LBB707_5
; %bb.4:
	v_ashrrev_i32_e32 v17, 31, v16
	s_delay_alu instid0(VALU_DEP_1) | instskip(NEXT) | instid1(VALU_DEP_1)
	v_lshlrev_b64 v[21:22], 4, v[16:17]
	v_add_co_u32 v21, s0, v19, v21
	s_delay_alu instid0(VALU_DEP_1)
	v_add_co_ci_u32_e64 v22, s0, v20, v22, s0
	global_store_b128 v[21:22], v[12:15], off
.LBB707_5:
	s_or_b32 exec_lo, exec_lo, s1
	v_add_nc_u32_e32 v12, 16, v16
	s_delay_alu instid0(VALU_DEP_1) | instskip(SKIP_1) | instid1(VALU_DEP_1)
	v_cmp_le_i32_e64 s1, v18, v12
	v_cmp_gt_i32_e64 s0, s4, v12
	s_and_b32 s1, s1, s0
	s_delay_alu instid0(SALU_CYCLE_1)
	s_and_saveexec_b32 s4, s1
	s_cbranch_execz .LBB707_7
; %bb.6:
	v_ashrrev_i32_e32 v13, 31, v12
	s_delay_alu instid0(VALU_DEP_1) | instskip(NEXT) | instid1(VALU_DEP_1)
	v_lshlrev_b64 v[13:14], 4, v[12:13]
	v_add_co_u32 v13, s1, v19, v13
	s_delay_alu instid0(VALU_DEP_1)
	v_add_co_ci_u32_e64 v14, s1, v20, v14, s1
	global_store_b128 v[13:14], v[8:11], off
.LBB707_7:
	s_or_b32 exec_lo, exec_lo, s4
	v_add_nc_u32_e32 v10, 16, v18
	s_delay_alu instid0(VALU_DEP_1) | instskip(SKIP_1) | instid1(VALU_DEP_2)
	v_mad_i64_i32 v[8:9], null, v10, s5, 0
	v_cmp_le_i32_e64 s1, v10, v16
	v_lshlrev_b64 v[8:9], 4, v[8:9]
	s_delay_alu instid0(VALU_DEP_1) | instskip(NEXT) | instid1(VALU_DEP_1)
	v_add_co_u32 v8, s2, s2, v8
	v_add_co_ci_u32_e64 v9, s2, s3, v9, s2
	s_delay_alu instid0(VALU_DEP_4) | instskip(NEXT) | instid1(SALU_CYCLE_1)
	s_and_b32 s2, s1, vcc_lo
	s_and_saveexec_b32 s1, s2
	s_cbranch_execz .LBB707_9
; %bb.8:
	v_ashrrev_i32_e32 v17, 31, v16
	s_delay_alu instid0(VALU_DEP_1) | instskip(NEXT) | instid1(VALU_DEP_1)
	v_lshlrev_b64 v[13:14], 4, v[16:17]
	v_add_co_u32 v13, vcc_lo, v8, v13
	s_delay_alu instid0(VALU_DEP_2)
	v_add_co_ci_u32_e32 v14, vcc_lo, v9, v14, vcc_lo
	global_store_b128 v[13:14], v[4:7], off
.LBB707_9:
	s_or_b32 exec_lo, exec_lo, s1
	v_cmp_le_i32_e32 vcc_lo, v10, v12
	s_and_b32 s0, vcc_lo, s0
	s_delay_alu instid0(SALU_CYCLE_1)
	s_and_saveexec_b32 s1, s0
	s_cbranch_execz .LBB707_11
; %bb.10:
	v_ashrrev_i32_e32 v13, 31, v12
	s_delay_alu instid0(VALU_DEP_1) | instskip(NEXT) | instid1(VALU_DEP_1)
	v_lshlrev_b64 v[4:5], 4, v[12:13]
	v_add_co_u32 v4, vcc_lo, v8, v4
	s_delay_alu instid0(VALU_DEP_2)
	v_add_co_ci_u32_e32 v5, vcc_lo, v9, v5, vcc_lo
	global_store_b128 v[4:5], v[0:3], off
.LBB707_11:
	s_nop 0
	s_sendmsg sendmsg(MSG_DEALLOC_VGPRS)
	s_endpgm
	.section	.rodata,"a",@progbits
	.p2align	6, 0x0
	.amdhsa_kernel _ZL37rocblas_syrkx_herkx_restricted_kernelIi19rocblas_complex_numIdELi16ELi32ELi8ELi1ELi0ELb0ELc84ELc76EKPKS1_KPS1_EviT_PT9_S7_lS9_S7_lPT10_S7_li
		.amdhsa_group_segment_fixed_size 8192
		.amdhsa_private_segment_fixed_size 0
		.amdhsa_kernarg_size 84
		.amdhsa_user_sgpr_count 13
		.amdhsa_user_sgpr_dispatch_ptr 0
		.amdhsa_user_sgpr_queue_ptr 0
		.amdhsa_user_sgpr_kernarg_segment_ptr 1
		.amdhsa_user_sgpr_dispatch_id 0
		.amdhsa_user_sgpr_private_segment_size 0
		.amdhsa_wavefront_size32 1
		.amdhsa_uses_dynamic_stack 0
		.amdhsa_enable_private_segment 0
		.amdhsa_system_sgpr_workgroup_id_x 1
		.amdhsa_system_sgpr_workgroup_id_y 1
		.amdhsa_system_sgpr_workgroup_id_z 1
		.amdhsa_system_sgpr_workgroup_info 0
		.amdhsa_system_vgpr_workitem_id 1
		.amdhsa_next_free_vgpr 118
		.amdhsa_next_free_sgpr 17
		.amdhsa_reserve_vcc 1
		.amdhsa_float_round_mode_32 0
		.amdhsa_float_round_mode_16_64 0
		.amdhsa_float_denorm_mode_32 3
		.amdhsa_float_denorm_mode_16_64 3
		.amdhsa_dx10_clamp 1
		.amdhsa_ieee_mode 1
		.amdhsa_fp16_overflow 0
		.amdhsa_workgroup_processor_mode 1
		.amdhsa_memory_ordered 1
		.amdhsa_forward_progress 0
		.amdhsa_shared_vgpr_count 0
		.amdhsa_exception_fp_ieee_invalid_op 0
		.amdhsa_exception_fp_denorm_src 0
		.amdhsa_exception_fp_ieee_div_zero 0
		.amdhsa_exception_fp_ieee_overflow 0
		.amdhsa_exception_fp_ieee_underflow 0
		.amdhsa_exception_fp_ieee_inexact 0
		.amdhsa_exception_int_div_zero 0
	.end_amdhsa_kernel
	.section	.text._ZL37rocblas_syrkx_herkx_restricted_kernelIi19rocblas_complex_numIdELi16ELi32ELi8ELi1ELi0ELb0ELc84ELc76EKPKS1_KPS1_EviT_PT9_S7_lS9_S7_lPT10_S7_li,"axG",@progbits,_ZL37rocblas_syrkx_herkx_restricted_kernelIi19rocblas_complex_numIdELi16ELi32ELi8ELi1ELi0ELb0ELc84ELc76EKPKS1_KPS1_EviT_PT9_S7_lS9_S7_lPT10_S7_li,comdat
.Lfunc_end707:
	.size	_ZL37rocblas_syrkx_herkx_restricted_kernelIi19rocblas_complex_numIdELi16ELi32ELi8ELi1ELi0ELb0ELc84ELc76EKPKS1_KPS1_EviT_PT9_S7_lS9_S7_lPT10_S7_li, .Lfunc_end707-_ZL37rocblas_syrkx_herkx_restricted_kernelIi19rocblas_complex_numIdELi16ELi32ELi8ELi1ELi0ELb0ELc84ELc76EKPKS1_KPS1_EviT_PT9_S7_lS9_S7_lPT10_S7_li
                                        ; -- End function
	.section	.AMDGPU.csdata,"",@progbits
; Kernel info:
; codeLenInByte = 2856
; NumSgprs: 19
; NumVgprs: 118
; ScratchSize: 0
; MemoryBound: 0
; FloatMode: 240
; IeeeMode: 1
; LDSByteSize: 8192 bytes/workgroup (compile time only)
; SGPRBlocks: 2
; VGPRBlocks: 14
; NumSGPRsForWavesPerEU: 19
; NumVGPRsForWavesPerEU: 118
; Occupancy: 12
; WaveLimiterHint : 1
; COMPUTE_PGM_RSRC2:SCRATCH_EN: 0
; COMPUTE_PGM_RSRC2:USER_SGPR: 13
; COMPUTE_PGM_RSRC2:TRAP_HANDLER: 0
; COMPUTE_PGM_RSRC2:TGID_X_EN: 1
; COMPUTE_PGM_RSRC2:TGID_Y_EN: 1
; COMPUTE_PGM_RSRC2:TGID_Z_EN: 1
; COMPUTE_PGM_RSRC2:TIDIG_COMP_CNT: 1
	.section	.text._ZL37rocblas_syrkx_herkx_restricted_kernelIi19rocblas_complex_numIdELi16ELi32ELi8ELi1ELi0ELb0ELc67ELc76EKPKS1_KPS1_EviT_PT9_S7_lS9_S7_lPT10_S7_li,"axG",@progbits,_ZL37rocblas_syrkx_herkx_restricted_kernelIi19rocblas_complex_numIdELi16ELi32ELi8ELi1ELi0ELb0ELc67ELc76EKPKS1_KPS1_EviT_PT9_S7_lS9_S7_lPT10_S7_li,comdat
	.globl	_ZL37rocblas_syrkx_herkx_restricted_kernelIi19rocblas_complex_numIdELi16ELi32ELi8ELi1ELi0ELb0ELc67ELc76EKPKS1_KPS1_EviT_PT9_S7_lS9_S7_lPT10_S7_li ; -- Begin function _ZL37rocblas_syrkx_herkx_restricted_kernelIi19rocblas_complex_numIdELi16ELi32ELi8ELi1ELi0ELb0ELc67ELc76EKPKS1_KPS1_EviT_PT9_S7_lS9_S7_lPT10_S7_li
	.p2align	8
	.type	_ZL37rocblas_syrkx_herkx_restricted_kernelIi19rocblas_complex_numIdELi16ELi32ELi8ELi1ELi0ELb0ELc67ELc76EKPKS1_KPS1_EviT_PT9_S7_lS9_S7_lPT10_S7_li,@function
_ZL37rocblas_syrkx_herkx_restricted_kernelIi19rocblas_complex_numIdELi16ELi32ELi8ELi1ELi0ELb0ELc67ELc76EKPKS1_KPS1_EviT_PT9_S7_lS9_S7_lPT10_S7_li: ; @_ZL37rocblas_syrkx_herkx_restricted_kernelIi19rocblas_complex_numIdELi16ELi32ELi8ELi1ELi0ELb0ELc67ELc76EKPKS1_KPS1_EviT_PT9_S7_lS9_S7_lPT10_S7_li
; %bb.0:
	s_clause 0x1
	s_load_b64 s[2:3], s[0:1], 0x38
	s_load_b64 s[4:5], s[0:1], 0x0
	s_mov_b32 s6, s15
	s_mov_b32 s7, 0
	v_mov_b32_e32 v12, 0
	s_lshl_b64 s[8:9], s[6:7], 3
	v_dual_mov_b32 v13, 0 :: v_dual_and_b32 v20, 0x3ff, v0
	v_bfe_u32 v21, v0, 10, 10
	s_delay_alu instid0(VALU_DEP_3) | instskip(NEXT) | instid1(VALU_DEP_3)
	v_mov_b32_e32 v8, v12
	v_dual_mov_b32 v10, v12 :: v_dual_mov_b32 v11, v13
	v_dual_mov_b32 v15, v13 :: v_dual_mov_b32 v14, v12
	;; [unrolled: 1-line block ×5, first 2 shown]
	v_mov_b32_e32 v1, v13
	s_waitcnt lgkmcnt(0)
	s_add_u32 s2, s2, s8
	s_addc_u32 s3, s3, s9
	v_dual_mov_b32 v2, v12 :: v_dual_mov_b32 v3, v13
	s_load_b64 s[2:3], s[2:3], 0x0
	s_lshl_b32 s6, s13, 5
	s_lshl_b32 s10, s14, 5
	s_cmp_lt_i32 s5, 1
	s_cbranch_scc1 .LBB708_3
; %bb.1:
	s_clause 0x3
	s_load_b64 s[12:13], s[0:1], 0x8
	s_load_b64 s[14:15], s[0:1], 0x20
	s_load_b32 s11, s[0:1], 0x10
	s_load_b32 s16, s[0:1], 0x28
	v_lshl_add_u32 v4, v21, 4, v20
	v_dual_mov_b32 v1, 0 :: v_dual_and_b32 v0, 7, v20
	v_mov_b32_e32 v2, 0
	v_dual_mov_b32 v3, 0 :: v_dual_lshlrev_b32 v22, 4, v20
	s_delay_alu instid0(VALU_DEP_4)
	v_and_b32_e32 v11, 31, v4
	v_lshrrev_b32_e32 v10, 3, v4
	v_lshrrev_b32_e32 v4, 5, v4
	v_mov_b32_e32 v5, v1
	v_lshl_add_u32 v23, v21, 7, 0x1000
	v_add_nc_u32_e32 v8, s6, v11
	v_dual_mov_b32 v15, v3 :: v_dual_add_nc_u32 v12, s10, v10
	v_mov_b32_e32 v14, v2
	s_waitcnt lgkmcnt(0)
	s_add_u32 s12, s12, s8
	s_addc_u32 s13, s13, s9
	s_add_u32 s8, s14, s8
	s_load_b64 s[12:13], s[12:13], 0x0
	s_addc_u32 s9, s15, s9
	v_mad_i64_i32 v[6:7], null, s11, v8, v[4:5]
	s_load_b64 s[8:9], s[8:9], 0x0
	v_lshlrev_b32_e32 v5, 4, v0
	v_mad_i64_i32 v[8:9], null, s16, v12, v[0:1]
	v_mov_b32_e32 v0, v2
	v_lshlrev_b32_e32 v12, 4, v11
	s_delay_alu instid0(VALU_DEP_4) | instskip(SKIP_2) | instid1(VALU_DEP_4)
	v_lshl_or_b32 v5, v10, 7, v5
	v_lshlrev_b64 v[10:11], 4, v[6:7]
	v_dual_mov_b32 v7, v3 :: v_dual_mov_b32 v6, v2
	v_lshl_or_b32 v24, v4, 9, v12
	s_delay_alu instid0(VALU_DEP_4)
	v_add_nc_u32_e32 v25, 0x1000, v5
	v_lshlrev_b64 v[4:5], 4, v[8:9]
	v_mov_b32_e32 v1, v3
	v_dual_mov_b32 v13, v3 :: v_dual_mov_b32 v12, v2
	s_waitcnt lgkmcnt(0)
	v_add_co_u32 v8, vcc_lo, v10, s12
	v_add_co_ci_u32_e32 v9, vcc_lo, s13, v11, vcc_lo
	v_add_co_u32 v4, vcc_lo, v4, s8
	v_add_co_ci_u32_e32 v5, vcc_lo, s9, v5, vcc_lo
	s_delay_alu instid0(VALU_DEP_4) | instskip(NEXT) | instid1(VALU_DEP_4)
	v_add_co_u32 v16, vcc_lo, v8, 8
	v_add_co_ci_u32_e32 v17, vcc_lo, 0, v9, vcc_lo
	s_delay_alu instid0(VALU_DEP_4) | instskip(NEXT) | instid1(VALU_DEP_4)
	v_add_co_u32 v18, vcc_lo, v4, 8
	v_add_co_ci_u32_e32 v19, vcc_lo, 0, v5, vcc_lo
	v_dual_mov_b32 v5, v3 :: v_dual_mov_b32 v4, v2
	v_dual_mov_b32 v11, v3 :: v_dual_mov_b32 v10, v2
	;; [unrolled: 1-line block ×3, first 2 shown]
.LBB708_2:                              ; =>This Inner Loop Header: Depth=1
	global_load_b128 v[26:29], v[16:17], off offset:-8
	global_load_b128 v[30:33], v[18:19], off offset:-8
	v_add_co_u32 v16, vcc_lo, 0x80, v16
	v_add_co_ci_u32_e32 v17, vcc_lo, 0, v17, vcc_lo
	v_add_co_u32 v18, vcc_lo, 0x80, v18
	v_add_co_ci_u32_e32 v19, vcc_lo, 0, v19, vcc_lo
	s_add_i32 s7, s7, 8
	s_waitcnt vmcnt(1)
	ds_store_b128 v24, v[26:29]
	s_waitcnt vmcnt(0)
	ds_store_b128 v25, v[30:33]
	s_waitcnt lgkmcnt(0)
	s_barrier
	buffer_gl0_inv
	ds_load_b128 v[26:29], v23
	ds_load_b128 v[30:33], v22
	ds_load_b128 v[34:37], v22 offset:256
	ds_load_b128 v[38:41], v23 offset:2048
	;; [unrolled: 1-line block ×13, first 2 shown]
	s_cmp_ge_i32 s7, s5
	s_waitcnt lgkmcnt(13)
	v_mul_f64 v[86:87], v[28:29], v[32:33]
	v_mul_f64 v[88:89], v[26:27], v[32:33]
	s_waitcnt lgkmcnt(12)
	v_mul_f64 v[90:91], v[28:29], v[36:37]
	v_mul_f64 v[92:93], v[26:27], v[36:37]
	;; [unrolled: 3-line block ×3, first 2 shown]
	v_mul_f64 v[96:97], v[40:41], v[36:37]
	v_mul_f64 v[36:37], v[38:39], v[36:37]
	s_waitcnt lgkmcnt(8)
	v_mul_f64 v[98:99], v[44:45], v[52:53]
	v_mul_f64 v[100:101], v[42:43], v[52:53]
	s_waitcnt lgkmcnt(7)
	v_mul_f64 v[102:103], v[44:45], v[56:57]
	v_mul_f64 v[104:105], v[42:43], v[56:57]
	v_mul_f64 v[106:107], v[48:49], v[52:53]
	v_mul_f64 v[52:53], v[46:47], v[52:53]
	v_mul_f64 v[108:109], v[48:49], v[56:57]
	v_mul_f64 v[56:57], v[46:47], v[56:57]
	s_waitcnt lgkmcnt(3)
	v_mul_f64 v[112:113], v[58:59], v[72:73]
	s_waitcnt lgkmcnt(2)
	v_mul_f64 v[114:115], v[76:77], v[68:69]
	v_mul_f64 v[116:117], v[76:77], v[72:73]
	v_fma_f64 v[86:87], v[26:27], v[30:31], -v[86:87]
	v_fma_f64 v[88:89], v[28:29], v[30:31], v[88:89]
	v_fma_f64 v[90:91], v[26:27], v[34:35], -v[90:91]
	v_fma_f64 v[92:93], v[28:29], v[34:35], v[92:93]
	;; [unrolled: 2-line block ×4, first 2 shown]
	v_mul_f64 v[36:37], v[60:61], v[68:69]
	v_mul_f64 v[40:41], v[58:59], v[68:69]
	;; [unrolled: 1-line block ×5, first 2 shown]
	v_fma_f64 v[98:99], v[42:43], v[50:51], -v[98:99]
	v_fma_f64 v[100:101], v[44:45], v[50:51], v[100:101]
	v_fma_f64 v[42:43], v[42:43], v[54:55], -v[102:103]
	v_fma_f64 v[44:45], v[44:45], v[54:55], v[104:105]
	;; [unrolled: 2-line block ×4, first 2 shown]
	ds_load_b128 v[26:29], v22 offset:1792
	ds_load_b128 v[30:33], v22 offset:2048
	s_waitcnt lgkmcnt(2)
	v_mul_f64 v[56:57], v[64:65], v[84:85]
	v_add_f64 v[12:13], v[12:13], v[86:87]
	v_add_f64 v[14:15], v[14:15], v[88:89]
	;; [unrolled: 1-line block ×8, first 2 shown]
	v_mul_f64 v[86:87], v[62:63], v[84:85]
	s_waitcnt lgkmcnt(1)
	v_mul_f64 v[88:89], v[64:65], v[28:29]
	v_mul_f64 v[90:91], v[62:63], v[28:29]
	v_mul_f64 v[92:93], v[80:81], v[84:85]
	v_mul_f64 v[84:85], v[78:79], v[84:85]
	v_mul_f64 v[94:95], v[80:81], v[28:29]
	v_mul_f64 v[28:29], v[78:79], v[28:29]
	v_fma_f64 v[104:105], v[58:59], v[66:67], -v[36:37]
	v_fma_f64 v[106:107], v[60:61], v[66:67], v[40:41]
	v_fma_f64 v[58:59], v[58:59], v[70:71], -v[96:97]
	v_fma_f64 v[60:61], v[60:61], v[70:71], v[112:113]
	;; [unrolled: 2-line block ×4, first 2 shown]
	ds_load_b128 v[0:3], v22 offset:2304
	ds_load_b128 v[4:7], v23 offset:64
	v_fma_f64 v[56:57], v[62:63], v[82:83], -v[56:57]
	v_add_f64 v[72:73], v[12:13], v[98:99]
	v_add_f64 v[74:75], v[14:15], v[100:101]
	;; [unrolled: 1-line block ×8, first 2 shown]
	ds_load_b128 v[8:11], v23 offset:2112
	ds_load_b128 v[12:15], v23 offset:80
	;; [unrolled: 1-line block ×4, first 2 shown]
	s_waitcnt lgkmcnt(4)
	v_mul_f64 v[54:55], v[6:7], v[32:33]
	v_mul_f64 v[76:77], v[4:5], v[32:33]
	;; [unrolled: 1-line block ×4, first 2 shown]
	v_fma_f64 v[86:87], v[64:65], v[82:83], v[86:87]
	v_fma_f64 v[62:63], v[62:63], v[26:27], -v[88:89]
	v_fma_f64 v[64:65], v[64:65], v[26:27], v[90:91]
	v_fma_f64 v[88:89], v[78:79], v[82:83], -v[92:93]
	;; [unrolled: 2-line block ×3, first 2 shown]
	v_fma_f64 v[80:81], v[80:81], v[26:27], v[28:29]
	s_waitcnt lgkmcnt(3)
	v_mul_f64 v[102:103], v[10:11], v[32:33]
	v_mul_f64 v[32:33], v[8:9], v[32:33]
	;; [unrolled: 1-line block ×4, first 2 shown]
	s_waitcnt lgkmcnt(0)
	v_mul_f64 v[90:91], v[14:15], v[40:41]
	v_mul_f64 v[92:93], v[12:13], v[40:41]
	v_add_f64 v[72:73], v[72:73], v[104:105]
	v_add_f64 v[74:75], v[74:75], v[106:107]
	;; [unrolled: 1-line block ×8, first 2 shown]
	ds_load_b128 v[26:29], v22 offset:2816
	ds_load_b128 v[42:45], v22 offset:3072
	;; [unrolled: 1-line block ×4, first 2 shown]
	v_mul_f64 v[104:105], v[36:37], v[40:41]
	v_mul_f64 v[40:41], v[34:35], v[40:41]
	v_fma_f64 v[54:55], v[4:5], v[30:31], -v[54:55]
	v_fma_f64 v[76:77], v[6:7], v[30:31], v[76:77]
	v_fma_f64 v[98:99], v[4:5], v[0:1], -v[98:99]
	v_fma_f64 v[100:101], v[6:7], v[0:1], v[100:101]
	s_waitcnt lgkmcnt(3)
	v_mul_f64 v[94:95], v[14:15], v[28:29]
	v_mul_f64 v[96:97], v[12:13], v[28:29]
	;; [unrolled: 1-line block ×4, first 2 shown]
	v_fma_f64 v[102:103], v[8:9], v[30:31], -v[102:103]
	v_fma_f64 v[32:33], v[10:11], v[30:31], v[32:33]
	v_fma_f64 v[108:109], v[8:9], v[0:1], -v[108:109]
	v_fma_f64 v[112:113], v[10:11], v[0:1], v[2:3]
	ds_load_b128 v[0:3], v23 offset:2144
	ds_load_b128 v[4:7], v23 offset:112
	;; [unrolled: 1-line block ×4, first 2 shown]
	v_add_f64 v[56:57], v[72:73], v[56:57]
	v_add_f64 v[72:73], v[74:75], v[86:87]
	;; [unrolled: 1-line block ×8, first 2 shown]
	s_waitcnt lgkmcnt(4)
	v_mul_f64 v[70:71], v[52:53], v[44:45]
	v_mul_f64 v[74:75], v[50:51], v[44:45]
	;; [unrolled: 1-line block ×4, first 2 shown]
	s_waitcnt lgkmcnt(3)
	v_mul_f64 v[82:83], v[2:3], v[44:45]
	v_mul_f64 v[44:45], v[0:1], v[44:45]
	;; [unrolled: 1-line block ×4, first 2 shown]
	v_fma_f64 v[86:87], v[12:13], v[38:39], -v[90:91]
	v_fma_f64 v[88:89], v[14:15], v[38:39], v[92:93]
	v_fma_f64 v[90:91], v[12:13], v[26:27], -v[94:95]
	v_fma_f64 v[92:93], v[14:15], v[26:27], v[96:97]
	;; [unrolled: 2-line block ×4, first 2 shown]
	ds_load_b128 v[12:15], v22 offset:3840
	s_waitcnt lgkmcnt(0)
	s_barrier
	buffer_gl0_inv
	v_add_f64 v[36:37], v[56:57], v[54:55]
	v_add_f64 v[40:41], v[72:73], v[76:77]
	;; [unrolled: 1-line block ×8, first 2 shown]
	v_mul_f64 v[64:65], v[6:7], v[30:31]
	v_mul_f64 v[66:67], v[4:5], v[30:31]
	;; [unrolled: 1-line block ×4, first 2 shown]
	v_fma_f64 v[70:71], v[50:51], v[42:43], -v[70:71]
	v_mul_f64 v[68:69], v[6:7], v[14:15]
	v_mul_f64 v[72:73], v[4:5], v[14:15]
	;; [unrolled: 1-line block ×4, first 2 shown]
	v_fma_f64 v[74:75], v[52:53], v[42:43], v[74:75]
	v_fma_f64 v[50:51], v[50:51], v[46:47], -v[78:79]
	v_fma_f64 v[52:53], v[52:53], v[46:47], v[80:81]
	v_fma_f64 v[78:79], v[0:1], v[42:43], -v[82:83]
	v_fma_f64 v[42:43], v[2:3], v[42:43], v[44:45]
	v_fma_f64 v[0:1], v[0:1], v[46:47], -v[84:85]
	v_fma_f64 v[2:3], v[2:3], v[46:47], v[48:49]
	v_add_f64 v[36:37], v[36:37], v[86:87]
	v_add_f64 v[40:41], v[40:41], v[88:89]
	;; [unrolled: 1-line block ×8, first 2 shown]
	v_fma_f64 v[38:39], v[4:5], v[28:29], -v[64:65]
	v_fma_f64 v[54:55], v[6:7], v[28:29], v[66:67]
	v_fma_f64 v[56:57], v[8:9], v[28:29], -v[76:77]
	v_fma_f64 v[28:29], v[10:11], v[28:29], v[30:31]
	;; [unrolled: 2-line block ×4, first 2 shown]
	v_add_f64 v[8:9], v[36:37], v[70:71]
	v_add_f64 v[10:11], v[40:41], v[74:75]
	;; [unrolled: 1-line block ×16, first 2 shown]
	s_cbranch_scc0 .LBB708_2
.LBB708_3:
	s_load_b32 s5, s[0:1], 0x40
	v_add_nc_u32_e32 v18, s10, v21
	v_add_nc_u32_e32 v16, s6, v20
	s_delay_alu instid0(VALU_DEP_1) | instskip(SKIP_1) | instid1(VALU_DEP_2)
	v_cmp_le_i32_e64 s0, v18, v16
	v_cmp_gt_i32_e32 vcc_lo, s4, v16
	s_and_b32 s0, s0, vcc_lo
	s_waitcnt lgkmcnt(0)
	v_mad_i64_i32 v[21:22], null, v18, s5, 0
	s_delay_alu instid0(VALU_DEP_1) | instskip(NEXT) | instid1(VALU_DEP_1)
	v_lshlrev_b64 v[19:20], 4, v[21:22]
	v_add_co_u32 v19, s1, s2, v19
	s_delay_alu instid0(VALU_DEP_1)
	v_add_co_ci_u32_e64 v20, s1, s3, v20, s1
	s_and_saveexec_b32 s1, s0
	s_cbranch_execz .LBB708_5
; %bb.4:
	v_ashrrev_i32_e32 v17, 31, v16
	s_delay_alu instid0(VALU_DEP_1) | instskip(NEXT) | instid1(VALU_DEP_1)
	v_lshlrev_b64 v[21:22], 4, v[16:17]
	v_add_co_u32 v21, s0, v19, v21
	s_delay_alu instid0(VALU_DEP_1)
	v_add_co_ci_u32_e64 v22, s0, v20, v22, s0
	global_store_b128 v[21:22], v[12:15], off
.LBB708_5:
	s_or_b32 exec_lo, exec_lo, s1
	v_add_nc_u32_e32 v12, 16, v16
	s_delay_alu instid0(VALU_DEP_1) | instskip(SKIP_1) | instid1(VALU_DEP_1)
	v_cmp_le_i32_e64 s1, v18, v12
	v_cmp_gt_i32_e64 s0, s4, v12
	s_and_b32 s1, s1, s0
	s_delay_alu instid0(SALU_CYCLE_1)
	s_and_saveexec_b32 s4, s1
	s_cbranch_execz .LBB708_7
; %bb.6:
	v_ashrrev_i32_e32 v13, 31, v12
	s_delay_alu instid0(VALU_DEP_1) | instskip(NEXT) | instid1(VALU_DEP_1)
	v_lshlrev_b64 v[13:14], 4, v[12:13]
	v_add_co_u32 v13, s1, v19, v13
	s_delay_alu instid0(VALU_DEP_1)
	v_add_co_ci_u32_e64 v14, s1, v20, v14, s1
	global_store_b128 v[13:14], v[8:11], off
.LBB708_7:
	s_or_b32 exec_lo, exec_lo, s4
	v_add_nc_u32_e32 v10, 16, v18
	s_delay_alu instid0(VALU_DEP_1) | instskip(SKIP_1) | instid1(VALU_DEP_2)
	v_mad_i64_i32 v[8:9], null, v10, s5, 0
	v_cmp_le_i32_e64 s1, v10, v16
	v_lshlrev_b64 v[8:9], 4, v[8:9]
	s_delay_alu instid0(VALU_DEP_1) | instskip(NEXT) | instid1(VALU_DEP_1)
	v_add_co_u32 v8, s2, s2, v8
	v_add_co_ci_u32_e64 v9, s2, s3, v9, s2
	s_delay_alu instid0(VALU_DEP_4) | instskip(NEXT) | instid1(SALU_CYCLE_1)
	s_and_b32 s2, s1, vcc_lo
	s_and_saveexec_b32 s1, s2
	s_cbranch_execz .LBB708_9
; %bb.8:
	v_ashrrev_i32_e32 v17, 31, v16
	s_delay_alu instid0(VALU_DEP_1) | instskip(NEXT) | instid1(VALU_DEP_1)
	v_lshlrev_b64 v[13:14], 4, v[16:17]
	v_add_co_u32 v13, vcc_lo, v8, v13
	s_delay_alu instid0(VALU_DEP_2)
	v_add_co_ci_u32_e32 v14, vcc_lo, v9, v14, vcc_lo
	global_store_b128 v[13:14], v[4:7], off
.LBB708_9:
	s_or_b32 exec_lo, exec_lo, s1
	v_cmp_le_i32_e32 vcc_lo, v10, v12
	s_and_b32 s0, vcc_lo, s0
	s_delay_alu instid0(SALU_CYCLE_1)
	s_and_saveexec_b32 s1, s0
	s_cbranch_execz .LBB708_11
; %bb.10:
	v_ashrrev_i32_e32 v13, 31, v12
	s_delay_alu instid0(VALU_DEP_1) | instskip(NEXT) | instid1(VALU_DEP_1)
	v_lshlrev_b64 v[4:5], 4, v[12:13]
	v_add_co_u32 v4, vcc_lo, v8, v4
	s_delay_alu instid0(VALU_DEP_2)
	v_add_co_ci_u32_e32 v5, vcc_lo, v9, v5, vcc_lo
	global_store_b128 v[4:5], v[0:3], off
.LBB708_11:
	s_nop 0
	s_sendmsg sendmsg(MSG_DEALLOC_VGPRS)
	s_endpgm
	.section	.rodata,"a",@progbits
	.p2align	6, 0x0
	.amdhsa_kernel _ZL37rocblas_syrkx_herkx_restricted_kernelIi19rocblas_complex_numIdELi16ELi32ELi8ELi1ELi0ELb0ELc67ELc76EKPKS1_KPS1_EviT_PT9_S7_lS9_S7_lPT10_S7_li
		.amdhsa_group_segment_fixed_size 8192
		.amdhsa_private_segment_fixed_size 0
		.amdhsa_kernarg_size 84
		.amdhsa_user_sgpr_count 13
		.amdhsa_user_sgpr_dispatch_ptr 0
		.amdhsa_user_sgpr_queue_ptr 0
		.amdhsa_user_sgpr_kernarg_segment_ptr 1
		.amdhsa_user_sgpr_dispatch_id 0
		.amdhsa_user_sgpr_private_segment_size 0
		.amdhsa_wavefront_size32 1
		.amdhsa_uses_dynamic_stack 0
		.amdhsa_enable_private_segment 0
		.amdhsa_system_sgpr_workgroup_id_x 1
		.amdhsa_system_sgpr_workgroup_id_y 1
		.amdhsa_system_sgpr_workgroup_id_z 1
		.amdhsa_system_sgpr_workgroup_info 0
		.amdhsa_system_vgpr_workitem_id 1
		.amdhsa_next_free_vgpr 118
		.amdhsa_next_free_sgpr 17
		.amdhsa_reserve_vcc 1
		.amdhsa_float_round_mode_32 0
		.amdhsa_float_round_mode_16_64 0
		.amdhsa_float_denorm_mode_32 3
		.amdhsa_float_denorm_mode_16_64 3
		.amdhsa_dx10_clamp 1
		.amdhsa_ieee_mode 1
		.amdhsa_fp16_overflow 0
		.amdhsa_workgroup_processor_mode 1
		.amdhsa_memory_ordered 1
		.amdhsa_forward_progress 0
		.amdhsa_shared_vgpr_count 0
		.amdhsa_exception_fp_ieee_invalid_op 0
		.amdhsa_exception_fp_denorm_src 0
		.amdhsa_exception_fp_ieee_div_zero 0
		.amdhsa_exception_fp_ieee_overflow 0
		.amdhsa_exception_fp_ieee_underflow 0
		.amdhsa_exception_fp_ieee_inexact 0
		.amdhsa_exception_int_div_zero 0
	.end_amdhsa_kernel
	.section	.text._ZL37rocblas_syrkx_herkx_restricted_kernelIi19rocblas_complex_numIdELi16ELi32ELi8ELi1ELi0ELb0ELc67ELc76EKPKS1_KPS1_EviT_PT9_S7_lS9_S7_lPT10_S7_li,"axG",@progbits,_ZL37rocblas_syrkx_herkx_restricted_kernelIi19rocblas_complex_numIdELi16ELi32ELi8ELi1ELi0ELb0ELc67ELc76EKPKS1_KPS1_EviT_PT9_S7_lS9_S7_lPT10_S7_li,comdat
.Lfunc_end708:
	.size	_ZL37rocblas_syrkx_herkx_restricted_kernelIi19rocblas_complex_numIdELi16ELi32ELi8ELi1ELi0ELb0ELc67ELc76EKPKS1_KPS1_EviT_PT9_S7_lS9_S7_lPT10_S7_li, .Lfunc_end708-_ZL37rocblas_syrkx_herkx_restricted_kernelIi19rocblas_complex_numIdELi16ELi32ELi8ELi1ELi0ELb0ELc67ELc76EKPKS1_KPS1_EviT_PT9_S7_lS9_S7_lPT10_S7_li
                                        ; -- End function
	.section	.AMDGPU.csdata,"",@progbits
; Kernel info:
; codeLenInByte = 2856
; NumSgprs: 19
; NumVgprs: 118
; ScratchSize: 0
; MemoryBound: 0
; FloatMode: 240
; IeeeMode: 1
; LDSByteSize: 8192 bytes/workgroup (compile time only)
; SGPRBlocks: 2
; VGPRBlocks: 14
; NumSGPRsForWavesPerEU: 19
; NumVGPRsForWavesPerEU: 118
; Occupancy: 12
; WaveLimiterHint : 1
; COMPUTE_PGM_RSRC2:SCRATCH_EN: 0
; COMPUTE_PGM_RSRC2:USER_SGPR: 13
; COMPUTE_PGM_RSRC2:TRAP_HANDLER: 0
; COMPUTE_PGM_RSRC2:TGID_X_EN: 1
; COMPUTE_PGM_RSRC2:TGID_Y_EN: 1
; COMPUTE_PGM_RSRC2:TGID_Z_EN: 1
; COMPUTE_PGM_RSRC2:TIDIG_COMP_CNT: 1
	.section	.text._ZL37rocblas_syrkx_herkx_restricted_kernelIi19rocblas_complex_numIdELi16ELi32ELi8ELi1ELi0ELb0ELc78ELc76EKPKS1_KPS1_EviT_PT9_S7_lS9_S7_lPT10_S7_li,"axG",@progbits,_ZL37rocblas_syrkx_herkx_restricted_kernelIi19rocblas_complex_numIdELi16ELi32ELi8ELi1ELi0ELb0ELc78ELc76EKPKS1_KPS1_EviT_PT9_S7_lS9_S7_lPT10_S7_li,comdat
	.globl	_ZL37rocblas_syrkx_herkx_restricted_kernelIi19rocblas_complex_numIdELi16ELi32ELi8ELi1ELi0ELb0ELc78ELc76EKPKS1_KPS1_EviT_PT9_S7_lS9_S7_lPT10_S7_li ; -- Begin function _ZL37rocblas_syrkx_herkx_restricted_kernelIi19rocblas_complex_numIdELi16ELi32ELi8ELi1ELi0ELb0ELc78ELc76EKPKS1_KPS1_EviT_PT9_S7_lS9_S7_lPT10_S7_li
	.p2align	8
	.type	_ZL37rocblas_syrkx_herkx_restricted_kernelIi19rocblas_complex_numIdELi16ELi32ELi8ELi1ELi0ELb0ELc78ELc76EKPKS1_KPS1_EviT_PT9_S7_lS9_S7_lPT10_S7_li,@function
_ZL37rocblas_syrkx_herkx_restricted_kernelIi19rocblas_complex_numIdELi16ELi32ELi8ELi1ELi0ELb0ELc78ELc76EKPKS1_KPS1_EviT_PT9_S7_lS9_S7_lPT10_S7_li: ; @_ZL37rocblas_syrkx_herkx_restricted_kernelIi19rocblas_complex_numIdELi16ELi32ELi8ELi1ELi0ELb0ELc78ELc76EKPKS1_KPS1_EviT_PT9_S7_lS9_S7_lPT10_S7_li
; %bb.0:
	s_clause 0x1
	s_load_b64 s[2:3], s[0:1], 0x38
	s_load_b64 s[4:5], s[0:1], 0x0
	s_mov_b32 s6, s15
	s_mov_b32 s7, 0
	v_mov_b32_e32 v12, 0
	s_lshl_b64 s[8:9], s[6:7], 3
	v_dual_mov_b32 v13, 0 :: v_dual_and_b32 v20, 0x3ff, v0
	v_bfe_u32 v21, v0, 10, 10
	s_delay_alu instid0(VALU_DEP_3) | instskip(NEXT) | instid1(VALU_DEP_3)
	v_mov_b32_e32 v8, v12
	v_dual_mov_b32 v10, v12 :: v_dual_mov_b32 v11, v13
	v_dual_mov_b32 v15, v13 :: v_dual_mov_b32 v14, v12
	;; [unrolled: 1-line block ×5, first 2 shown]
	v_mov_b32_e32 v1, v13
	s_waitcnt lgkmcnt(0)
	s_add_u32 s2, s2, s8
	s_addc_u32 s3, s3, s9
	v_dual_mov_b32 v2, v12 :: v_dual_mov_b32 v3, v13
	s_load_b64 s[2:3], s[2:3], 0x0
	s_lshl_b32 s6, s13, 5
	s_lshl_b32 s12, s14, 5
	s_cmp_lt_i32 s5, 1
	s_cbranch_scc1 .LBB709_3
; %bb.1:
	s_clause 0x3
	s_load_b32 s10, s[0:1], 0x10
	s_load_b32 s14, s[0:1], 0x28
	s_load_b64 s[16:17], s[0:1], 0x8
	s_load_b64 s[18:19], s[0:1], 0x20
	v_lshl_add_u32 v0, v21, 4, v20
	v_and_b32_e32 v10, 7, v20
	v_lshl_add_u32 v23, v21, 7, 0x1000
	s_delay_alu instid0(VALU_DEP_3) | instskip(SKIP_2) | instid1(VALU_DEP_3)
	v_and_b32_e32 v9, 31, v0
	v_lshrrev_b32_e32 v11, 5, v0
	v_lshrrev_b32_e32 v8, 3, v0
	v_add_nc_u32_e32 v2, s6, v9
	s_delay_alu instid0(VALU_DEP_1)
	v_ashrrev_i32_e32 v3, 31, v2
	s_waitcnt lgkmcnt(0)
	s_ashr_i32 s11, s10, 31
	s_ashr_i32 s15, s14, 31
	s_add_u32 s16, s16, s8
	s_addc_u32 s17, s17, s9
	v_mad_i64_i32 v[4:5], null, s10, v11, v[2:3]
	v_mov_b32_e32 v2, 0
	v_dual_mov_b32 v3, 0 :: v_dual_add_nc_u32 v0, s12, v8
	s_load_b64 s[16:17], s[16:17], 0x0
	s_add_u32 s8, s18, s8
	s_addc_u32 s9, s19, s9
	s_delay_alu instid0(VALU_DEP_3)
	v_lshlrev_b64 v[4:5], 4, v[4:5]
	s_load_b64 s[8:9], s[8:9], 0x0
	v_ashrrev_i32_e32 v1, 31, v0
	v_lshlrev_b32_e32 v12, 4, v10
	v_lshlrev_b32_e32 v9, 4, v9
	v_dual_mov_b32 v15, v3 :: v_dual_lshlrev_b32 v22, 4, v20
	s_delay_alu instid0(VALU_DEP_4) | instskip(SKIP_1) | instid1(VALU_DEP_4)
	v_mad_i64_i32 v[6:7], null, s14, v10, v[0:1]
	v_dual_mov_b32 v0, v2 :: v_dual_mov_b32 v1, v3
	v_lshl_or_b32 v24, v11, 9, v9
	v_dual_mov_b32 v11, v3 :: v_dual_mov_b32 v10, v2
	v_mov_b32_e32 v14, v2
	v_lshlrev_b64 v[6:7], 4, v[6:7]
	s_waitcnt lgkmcnt(0)
	v_add_co_u32 v4, vcc_lo, v4, s16
	v_add_co_ci_u32_e32 v5, vcc_lo, s17, v5, vcc_lo
	s_delay_alu instid0(VALU_DEP_3) | instskip(NEXT) | instid1(VALU_DEP_4)
	v_add_co_u32 v6, vcc_lo, v6, s8
	v_add_co_ci_u32_e32 v7, vcc_lo, s9, v7, vcc_lo
	s_delay_alu instid0(VALU_DEP_4) | instskip(NEXT) | instid1(VALU_DEP_4)
	v_add_co_u32 v16, vcc_lo, v4, 8
	v_add_co_ci_u32_e32 v17, vcc_lo, 0, v5, vcc_lo
	v_mov_b32_e32 v5, v3
	v_lshl_or_b32 v8, v8, 7, v12
	v_dual_mov_b32 v13, v3 :: v_dual_mov_b32 v4, v2
	v_add_co_u32 v18, vcc_lo, v6, 8
	s_delay_alu instid0(VALU_DEP_3)
	v_add_nc_u32_e32 v25, 0x1000, v8
	v_dual_mov_b32 v9, v3 :: v_dual_mov_b32 v8, v2
	v_add_co_ci_u32_e32 v19, vcc_lo, 0, v7, vcc_lo
	v_dual_mov_b32 v7, v3 :: v_dual_mov_b32 v6, v2
	v_mov_b32_e32 v12, v2
	s_lshl_b64 s[8:9], s[10:11], 7
	s_lshl_b64 s[10:11], s[14:15], 7
.LBB709_2:                              ; =>This Inner Loop Header: Depth=1
	global_load_b128 v[26:29], v[16:17], off offset:-8
	global_load_b128 v[30:33], v[18:19], off offset:-8
	v_add_co_u32 v16, vcc_lo, v16, s8
	v_add_co_ci_u32_e32 v17, vcc_lo, s9, v17, vcc_lo
	v_add_co_u32 v18, vcc_lo, v18, s10
	v_add_co_ci_u32_e32 v19, vcc_lo, s11, v19, vcc_lo
	s_add_i32 s7, s7, 8
	s_waitcnt vmcnt(1)
	ds_store_b128 v24, v[26:29]
	s_waitcnt vmcnt(0)
	ds_store_b128 v25, v[30:33]
	s_waitcnt lgkmcnt(0)
	s_barrier
	buffer_gl0_inv
	ds_load_b128 v[26:29], v23
	ds_load_b128 v[30:33], v22
	ds_load_b128 v[34:37], v22 offset:256
	ds_load_b128 v[38:41], v23 offset:2048
	;; [unrolled: 1-line block ×13, first 2 shown]
	s_cmp_ge_i32 s7, s5
	s_waitcnt lgkmcnt(13)
	v_mul_f64 v[86:87], v[28:29], v[32:33]
	v_mul_f64 v[88:89], v[26:27], v[32:33]
	s_waitcnt lgkmcnt(12)
	v_mul_f64 v[90:91], v[28:29], v[36:37]
	v_mul_f64 v[92:93], v[26:27], v[36:37]
	;; [unrolled: 3-line block ×3, first 2 shown]
	v_mul_f64 v[96:97], v[40:41], v[36:37]
	v_mul_f64 v[36:37], v[38:39], v[36:37]
	s_waitcnt lgkmcnt(8)
	v_mul_f64 v[98:99], v[44:45], v[52:53]
	v_mul_f64 v[100:101], v[42:43], v[52:53]
	s_waitcnt lgkmcnt(7)
	v_mul_f64 v[102:103], v[44:45], v[56:57]
	v_mul_f64 v[104:105], v[42:43], v[56:57]
	;; [unrolled: 1-line block ×6, first 2 shown]
	s_waitcnt lgkmcnt(3)
	v_mul_f64 v[112:113], v[58:59], v[72:73]
	s_waitcnt lgkmcnt(2)
	v_mul_f64 v[114:115], v[76:77], v[68:69]
	v_mul_f64 v[116:117], v[76:77], v[72:73]
	v_fma_f64 v[86:87], v[26:27], v[30:31], -v[86:87]
	v_fma_f64 v[88:89], v[28:29], v[30:31], v[88:89]
	v_fma_f64 v[90:91], v[26:27], v[34:35], -v[90:91]
	v_fma_f64 v[92:93], v[28:29], v[34:35], v[92:93]
	;; [unrolled: 2-line block ×4, first 2 shown]
	v_mul_f64 v[36:37], v[60:61], v[68:69]
	v_mul_f64 v[40:41], v[58:59], v[68:69]
	;; [unrolled: 1-line block ×5, first 2 shown]
	v_fma_f64 v[98:99], v[42:43], v[50:51], -v[98:99]
	v_fma_f64 v[100:101], v[44:45], v[50:51], v[100:101]
	v_fma_f64 v[42:43], v[42:43], v[54:55], -v[102:103]
	v_fma_f64 v[44:45], v[44:45], v[54:55], v[104:105]
	;; [unrolled: 2-line block ×4, first 2 shown]
	ds_load_b128 v[26:29], v22 offset:1792
	ds_load_b128 v[30:33], v22 offset:2048
	s_waitcnt lgkmcnt(2)
	v_mul_f64 v[56:57], v[64:65], v[84:85]
	v_add_f64 v[12:13], v[12:13], v[86:87]
	v_add_f64 v[14:15], v[14:15], v[88:89]
	;; [unrolled: 1-line block ×8, first 2 shown]
	v_mul_f64 v[86:87], v[62:63], v[84:85]
	s_waitcnt lgkmcnt(1)
	v_mul_f64 v[88:89], v[64:65], v[28:29]
	v_mul_f64 v[90:91], v[62:63], v[28:29]
	;; [unrolled: 1-line block ×6, first 2 shown]
	v_fma_f64 v[104:105], v[58:59], v[66:67], -v[36:37]
	v_fma_f64 v[106:107], v[60:61], v[66:67], v[40:41]
	v_fma_f64 v[58:59], v[58:59], v[70:71], -v[96:97]
	v_fma_f64 v[60:61], v[60:61], v[70:71], v[112:113]
	;; [unrolled: 2-line block ×4, first 2 shown]
	ds_load_b128 v[0:3], v22 offset:2304
	ds_load_b128 v[4:7], v23 offset:64
	v_fma_f64 v[56:57], v[62:63], v[82:83], -v[56:57]
	v_add_f64 v[72:73], v[12:13], v[98:99]
	v_add_f64 v[74:75], v[14:15], v[100:101]
	;; [unrolled: 1-line block ×8, first 2 shown]
	ds_load_b128 v[8:11], v23 offset:2112
	ds_load_b128 v[12:15], v23 offset:80
	ds_load_b128 v[34:37], v23 offset:2128
	ds_load_b128 v[38:41], v22 offset:2560
	s_waitcnt lgkmcnt(4)
	v_mul_f64 v[54:55], v[6:7], v[32:33]
	v_mul_f64 v[76:77], v[4:5], v[32:33]
	;; [unrolled: 1-line block ×4, first 2 shown]
	v_fma_f64 v[86:87], v[64:65], v[82:83], v[86:87]
	v_fma_f64 v[62:63], v[62:63], v[26:27], -v[88:89]
	v_fma_f64 v[64:65], v[64:65], v[26:27], v[90:91]
	v_fma_f64 v[88:89], v[78:79], v[82:83], -v[92:93]
	;; [unrolled: 2-line block ×3, first 2 shown]
	v_fma_f64 v[80:81], v[80:81], v[26:27], v[28:29]
	s_waitcnt lgkmcnt(3)
	v_mul_f64 v[102:103], v[10:11], v[32:33]
	v_mul_f64 v[32:33], v[8:9], v[32:33]
	;; [unrolled: 1-line block ×4, first 2 shown]
	s_waitcnt lgkmcnt(0)
	v_mul_f64 v[90:91], v[14:15], v[40:41]
	v_mul_f64 v[92:93], v[12:13], v[40:41]
	v_add_f64 v[72:73], v[72:73], v[104:105]
	v_add_f64 v[74:75], v[74:75], v[106:107]
	;; [unrolled: 1-line block ×8, first 2 shown]
	ds_load_b128 v[26:29], v22 offset:2816
	ds_load_b128 v[42:45], v22 offset:3072
	;; [unrolled: 1-line block ×4, first 2 shown]
	v_mul_f64 v[104:105], v[36:37], v[40:41]
	v_mul_f64 v[40:41], v[34:35], v[40:41]
	v_fma_f64 v[54:55], v[4:5], v[30:31], -v[54:55]
	v_fma_f64 v[76:77], v[6:7], v[30:31], v[76:77]
	v_fma_f64 v[98:99], v[4:5], v[0:1], -v[98:99]
	v_fma_f64 v[100:101], v[6:7], v[0:1], v[100:101]
	s_waitcnt lgkmcnt(3)
	v_mul_f64 v[94:95], v[14:15], v[28:29]
	v_mul_f64 v[96:97], v[12:13], v[28:29]
	v_mul_f64 v[106:107], v[36:37], v[28:29]
	v_mul_f64 v[110:111], v[34:35], v[28:29]
	v_fma_f64 v[102:103], v[8:9], v[30:31], -v[102:103]
	v_fma_f64 v[32:33], v[10:11], v[30:31], v[32:33]
	v_fma_f64 v[108:109], v[8:9], v[0:1], -v[108:109]
	v_fma_f64 v[112:113], v[10:11], v[0:1], v[2:3]
	ds_load_b128 v[0:3], v23 offset:2144
	ds_load_b128 v[4:7], v23 offset:112
	;; [unrolled: 1-line block ×4, first 2 shown]
	v_add_f64 v[56:57], v[72:73], v[56:57]
	v_add_f64 v[72:73], v[74:75], v[86:87]
	;; [unrolled: 1-line block ×8, first 2 shown]
	s_waitcnt lgkmcnt(4)
	v_mul_f64 v[70:71], v[52:53], v[44:45]
	v_mul_f64 v[74:75], v[50:51], v[44:45]
	;; [unrolled: 1-line block ×4, first 2 shown]
	s_waitcnt lgkmcnt(3)
	v_mul_f64 v[82:83], v[2:3], v[44:45]
	v_mul_f64 v[44:45], v[0:1], v[44:45]
	;; [unrolled: 1-line block ×4, first 2 shown]
	v_fma_f64 v[86:87], v[12:13], v[38:39], -v[90:91]
	v_fma_f64 v[88:89], v[14:15], v[38:39], v[92:93]
	v_fma_f64 v[90:91], v[12:13], v[26:27], -v[94:95]
	v_fma_f64 v[92:93], v[14:15], v[26:27], v[96:97]
	;; [unrolled: 2-line block ×4, first 2 shown]
	ds_load_b128 v[12:15], v22 offset:3840
	s_waitcnt lgkmcnt(0)
	s_barrier
	buffer_gl0_inv
	v_add_f64 v[36:37], v[56:57], v[54:55]
	v_add_f64 v[40:41], v[72:73], v[76:77]
	;; [unrolled: 1-line block ×8, first 2 shown]
	v_mul_f64 v[64:65], v[6:7], v[30:31]
	v_mul_f64 v[66:67], v[4:5], v[30:31]
	;; [unrolled: 1-line block ×4, first 2 shown]
	v_fma_f64 v[70:71], v[50:51], v[42:43], -v[70:71]
	v_mul_f64 v[68:69], v[6:7], v[14:15]
	v_mul_f64 v[72:73], v[4:5], v[14:15]
	;; [unrolled: 1-line block ×4, first 2 shown]
	v_fma_f64 v[74:75], v[52:53], v[42:43], v[74:75]
	v_fma_f64 v[50:51], v[50:51], v[46:47], -v[78:79]
	v_fma_f64 v[52:53], v[52:53], v[46:47], v[80:81]
	v_fma_f64 v[78:79], v[0:1], v[42:43], -v[82:83]
	v_fma_f64 v[42:43], v[2:3], v[42:43], v[44:45]
	v_fma_f64 v[0:1], v[0:1], v[46:47], -v[84:85]
	v_fma_f64 v[2:3], v[2:3], v[46:47], v[48:49]
	v_add_f64 v[36:37], v[36:37], v[86:87]
	v_add_f64 v[40:41], v[40:41], v[88:89]
	;; [unrolled: 1-line block ×8, first 2 shown]
	v_fma_f64 v[38:39], v[4:5], v[28:29], -v[64:65]
	v_fma_f64 v[54:55], v[6:7], v[28:29], v[66:67]
	v_fma_f64 v[56:57], v[8:9], v[28:29], -v[76:77]
	v_fma_f64 v[28:29], v[10:11], v[28:29], v[30:31]
	;; [unrolled: 2-line block ×4, first 2 shown]
	v_add_f64 v[8:9], v[36:37], v[70:71]
	v_add_f64 v[10:11], v[40:41], v[74:75]
	;; [unrolled: 1-line block ×16, first 2 shown]
	s_cbranch_scc0 .LBB709_2
.LBB709_3:
	s_load_b32 s5, s[0:1], 0x40
	v_add_nc_u32_e32 v18, s12, v21
	v_add_nc_u32_e32 v16, s6, v20
	s_delay_alu instid0(VALU_DEP_1) | instskip(SKIP_1) | instid1(VALU_DEP_2)
	v_cmp_le_i32_e64 s0, v18, v16
	v_cmp_gt_i32_e32 vcc_lo, s4, v16
	s_and_b32 s0, s0, vcc_lo
	s_waitcnt lgkmcnt(0)
	v_mad_i64_i32 v[21:22], null, v18, s5, 0
	s_delay_alu instid0(VALU_DEP_1) | instskip(NEXT) | instid1(VALU_DEP_1)
	v_lshlrev_b64 v[19:20], 4, v[21:22]
	v_add_co_u32 v19, s1, s2, v19
	s_delay_alu instid0(VALU_DEP_1)
	v_add_co_ci_u32_e64 v20, s1, s3, v20, s1
	s_and_saveexec_b32 s1, s0
	s_cbranch_execz .LBB709_5
; %bb.4:
	v_ashrrev_i32_e32 v17, 31, v16
	s_delay_alu instid0(VALU_DEP_1) | instskip(NEXT) | instid1(VALU_DEP_1)
	v_lshlrev_b64 v[21:22], 4, v[16:17]
	v_add_co_u32 v21, s0, v19, v21
	s_delay_alu instid0(VALU_DEP_1)
	v_add_co_ci_u32_e64 v22, s0, v20, v22, s0
	global_store_b128 v[21:22], v[12:15], off
.LBB709_5:
	s_or_b32 exec_lo, exec_lo, s1
	v_add_nc_u32_e32 v12, 16, v16
	s_delay_alu instid0(VALU_DEP_1) | instskip(SKIP_1) | instid1(VALU_DEP_1)
	v_cmp_le_i32_e64 s1, v18, v12
	v_cmp_gt_i32_e64 s0, s4, v12
	s_and_b32 s1, s1, s0
	s_delay_alu instid0(SALU_CYCLE_1)
	s_and_saveexec_b32 s4, s1
	s_cbranch_execz .LBB709_7
; %bb.6:
	v_ashrrev_i32_e32 v13, 31, v12
	s_delay_alu instid0(VALU_DEP_1) | instskip(NEXT) | instid1(VALU_DEP_1)
	v_lshlrev_b64 v[13:14], 4, v[12:13]
	v_add_co_u32 v13, s1, v19, v13
	s_delay_alu instid0(VALU_DEP_1)
	v_add_co_ci_u32_e64 v14, s1, v20, v14, s1
	global_store_b128 v[13:14], v[8:11], off
.LBB709_7:
	s_or_b32 exec_lo, exec_lo, s4
	v_add_nc_u32_e32 v10, 16, v18
	s_delay_alu instid0(VALU_DEP_1) | instskip(SKIP_1) | instid1(VALU_DEP_2)
	v_mad_i64_i32 v[8:9], null, v10, s5, 0
	v_cmp_le_i32_e64 s1, v10, v16
	v_lshlrev_b64 v[8:9], 4, v[8:9]
	s_delay_alu instid0(VALU_DEP_1) | instskip(NEXT) | instid1(VALU_DEP_1)
	v_add_co_u32 v8, s2, s2, v8
	v_add_co_ci_u32_e64 v9, s2, s3, v9, s2
	s_delay_alu instid0(VALU_DEP_4) | instskip(NEXT) | instid1(SALU_CYCLE_1)
	s_and_b32 s2, s1, vcc_lo
	s_and_saveexec_b32 s1, s2
	s_cbranch_execz .LBB709_9
; %bb.8:
	v_ashrrev_i32_e32 v17, 31, v16
	s_delay_alu instid0(VALU_DEP_1) | instskip(NEXT) | instid1(VALU_DEP_1)
	v_lshlrev_b64 v[13:14], 4, v[16:17]
	v_add_co_u32 v13, vcc_lo, v8, v13
	s_delay_alu instid0(VALU_DEP_2)
	v_add_co_ci_u32_e32 v14, vcc_lo, v9, v14, vcc_lo
	global_store_b128 v[13:14], v[4:7], off
.LBB709_9:
	s_or_b32 exec_lo, exec_lo, s1
	v_cmp_le_i32_e32 vcc_lo, v10, v12
	s_and_b32 s0, vcc_lo, s0
	s_delay_alu instid0(SALU_CYCLE_1)
	s_and_saveexec_b32 s1, s0
	s_cbranch_execz .LBB709_11
; %bb.10:
	v_ashrrev_i32_e32 v13, 31, v12
	s_delay_alu instid0(VALU_DEP_1) | instskip(NEXT) | instid1(VALU_DEP_1)
	v_lshlrev_b64 v[4:5], 4, v[12:13]
	v_add_co_u32 v4, vcc_lo, v8, v4
	s_delay_alu instid0(VALU_DEP_2)
	v_add_co_ci_u32_e32 v5, vcc_lo, v9, v5, vcc_lo
	global_store_b128 v[4:5], v[0:3], off
.LBB709_11:
	s_nop 0
	s_sendmsg sendmsg(MSG_DEALLOC_VGPRS)
	s_endpgm
	.section	.rodata,"a",@progbits
	.p2align	6, 0x0
	.amdhsa_kernel _ZL37rocblas_syrkx_herkx_restricted_kernelIi19rocblas_complex_numIdELi16ELi32ELi8ELi1ELi0ELb0ELc78ELc76EKPKS1_KPS1_EviT_PT9_S7_lS9_S7_lPT10_S7_li
		.amdhsa_group_segment_fixed_size 8192
		.amdhsa_private_segment_fixed_size 0
		.amdhsa_kernarg_size 84
		.amdhsa_user_sgpr_count 13
		.amdhsa_user_sgpr_dispatch_ptr 0
		.amdhsa_user_sgpr_queue_ptr 0
		.amdhsa_user_sgpr_kernarg_segment_ptr 1
		.amdhsa_user_sgpr_dispatch_id 0
		.amdhsa_user_sgpr_private_segment_size 0
		.amdhsa_wavefront_size32 1
		.amdhsa_uses_dynamic_stack 0
		.amdhsa_enable_private_segment 0
		.amdhsa_system_sgpr_workgroup_id_x 1
		.amdhsa_system_sgpr_workgroup_id_y 1
		.amdhsa_system_sgpr_workgroup_id_z 1
		.amdhsa_system_sgpr_workgroup_info 0
		.amdhsa_system_vgpr_workitem_id 1
		.amdhsa_next_free_vgpr 118
		.amdhsa_next_free_sgpr 20
		.amdhsa_reserve_vcc 1
		.amdhsa_float_round_mode_32 0
		.amdhsa_float_round_mode_16_64 0
		.amdhsa_float_denorm_mode_32 3
		.amdhsa_float_denorm_mode_16_64 3
		.amdhsa_dx10_clamp 1
		.amdhsa_ieee_mode 1
		.amdhsa_fp16_overflow 0
		.amdhsa_workgroup_processor_mode 1
		.amdhsa_memory_ordered 1
		.amdhsa_forward_progress 0
		.amdhsa_shared_vgpr_count 0
		.amdhsa_exception_fp_ieee_invalid_op 0
		.amdhsa_exception_fp_denorm_src 0
		.amdhsa_exception_fp_ieee_div_zero 0
		.amdhsa_exception_fp_ieee_overflow 0
		.amdhsa_exception_fp_ieee_underflow 0
		.amdhsa_exception_fp_ieee_inexact 0
		.amdhsa_exception_int_div_zero 0
	.end_amdhsa_kernel
	.section	.text._ZL37rocblas_syrkx_herkx_restricted_kernelIi19rocblas_complex_numIdELi16ELi32ELi8ELi1ELi0ELb0ELc78ELc76EKPKS1_KPS1_EviT_PT9_S7_lS9_S7_lPT10_S7_li,"axG",@progbits,_ZL37rocblas_syrkx_herkx_restricted_kernelIi19rocblas_complex_numIdELi16ELi32ELi8ELi1ELi0ELb0ELc78ELc76EKPKS1_KPS1_EviT_PT9_S7_lS9_S7_lPT10_S7_li,comdat
.Lfunc_end709:
	.size	_ZL37rocblas_syrkx_herkx_restricted_kernelIi19rocblas_complex_numIdELi16ELi32ELi8ELi1ELi0ELb0ELc78ELc76EKPKS1_KPS1_EviT_PT9_S7_lS9_S7_lPT10_S7_li, .Lfunc_end709-_ZL37rocblas_syrkx_herkx_restricted_kernelIi19rocblas_complex_numIdELi16ELi32ELi8ELi1ELi0ELb0ELc78ELc76EKPKS1_KPS1_EviT_PT9_S7_lS9_S7_lPT10_S7_li
                                        ; -- End function
	.section	.AMDGPU.csdata,"",@progbits
; Kernel info:
; codeLenInByte = 2872
; NumSgprs: 22
; NumVgprs: 118
; ScratchSize: 0
; MemoryBound: 0
; FloatMode: 240
; IeeeMode: 1
; LDSByteSize: 8192 bytes/workgroup (compile time only)
; SGPRBlocks: 2
; VGPRBlocks: 14
; NumSGPRsForWavesPerEU: 22
; NumVGPRsForWavesPerEU: 118
; Occupancy: 12
; WaveLimiterHint : 1
; COMPUTE_PGM_RSRC2:SCRATCH_EN: 0
; COMPUTE_PGM_RSRC2:USER_SGPR: 13
; COMPUTE_PGM_RSRC2:TRAP_HANDLER: 0
; COMPUTE_PGM_RSRC2:TGID_X_EN: 1
; COMPUTE_PGM_RSRC2:TGID_Y_EN: 1
; COMPUTE_PGM_RSRC2:TGID_Z_EN: 1
; COMPUTE_PGM_RSRC2:TIDIG_COMP_CNT: 1
	.section	.text._ZL37rocblas_syrkx_herkx_restricted_kernelIi19rocblas_complex_numIdELi16ELi32ELi8ELi1ELi0ELb0ELc84ELc85EKPKS1_KPS1_EviT_PT9_S7_lS9_S7_lPT10_S7_li,"axG",@progbits,_ZL37rocblas_syrkx_herkx_restricted_kernelIi19rocblas_complex_numIdELi16ELi32ELi8ELi1ELi0ELb0ELc84ELc85EKPKS1_KPS1_EviT_PT9_S7_lS9_S7_lPT10_S7_li,comdat
	.globl	_ZL37rocblas_syrkx_herkx_restricted_kernelIi19rocblas_complex_numIdELi16ELi32ELi8ELi1ELi0ELb0ELc84ELc85EKPKS1_KPS1_EviT_PT9_S7_lS9_S7_lPT10_S7_li ; -- Begin function _ZL37rocblas_syrkx_herkx_restricted_kernelIi19rocblas_complex_numIdELi16ELi32ELi8ELi1ELi0ELb0ELc84ELc85EKPKS1_KPS1_EviT_PT9_S7_lS9_S7_lPT10_S7_li
	.p2align	8
	.type	_ZL37rocblas_syrkx_herkx_restricted_kernelIi19rocblas_complex_numIdELi16ELi32ELi8ELi1ELi0ELb0ELc84ELc85EKPKS1_KPS1_EviT_PT9_S7_lS9_S7_lPT10_S7_li,@function
_ZL37rocblas_syrkx_herkx_restricted_kernelIi19rocblas_complex_numIdELi16ELi32ELi8ELi1ELi0ELb0ELc84ELc85EKPKS1_KPS1_EviT_PT9_S7_lS9_S7_lPT10_S7_li: ; @_ZL37rocblas_syrkx_herkx_restricted_kernelIi19rocblas_complex_numIdELi16ELi32ELi8ELi1ELi0ELb0ELc84ELc85EKPKS1_KPS1_EviT_PT9_S7_lS9_S7_lPT10_S7_li
; %bb.0:
	s_clause 0x1
	s_load_b64 s[4:5], s[0:1], 0x38
	s_load_b64 s[2:3], s[0:1], 0x0
	s_mov_b32 s6, s15
	s_mov_b32 s7, 0
	v_mov_b32_e32 v12, 0
	s_lshl_b64 s[8:9], s[6:7], 3
	v_dual_mov_b32 v13, 0 :: v_dual_and_b32 v20, 0x3ff, v0
	v_bfe_u32 v21, v0, 10, 10
	s_delay_alu instid0(VALU_DEP_3) | instskip(NEXT) | instid1(VALU_DEP_3)
	v_mov_b32_e32 v8, v12
	v_dual_mov_b32 v10, v12 :: v_dual_mov_b32 v11, v13
	v_dual_mov_b32 v15, v13 :: v_dual_mov_b32 v14, v12
	;; [unrolled: 1-line block ×5, first 2 shown]
	v_mov_b32_e32 v1, v13
	s_waitcnt lgkmcnt(0)
	s_add_u32 s4, s4, s8
	s_addc_u32 s5, s5, s9
	v_dual_mov_b32 v2, v12 :: v_dual_mov_b32 v3, v13
	s_load_b64 s[4:5], s[4:5], 0x0
	s_lshl_b32 s6, s13, 5
	s_lshl_b32 s10, s14, 5
	s_cmp_lt_i32 s3, 1
	s_cbranch_scc1 .LBB710_3
; %bb.1:
	s_clause 0x3
	s_load_b64 s[12:13], s[0:1], 0x8
	s_load_b64 s[14:15], s[0:1], 0x20
	s_load_b32 s11, s[0:1], 0x10
	s_load_b32 s16, s[0:1], 0x28
	v_lshl_add_u32 v4, v21, 4, v20
	v_dual_mov_b32 v1, 0 :: v_dual_and_b32 v0, 7, v20
	v_mov_b32_e32 v2, 0
	v_dual_mov_b32 v3, 0 :: v_dual_lshlrev_b32 v22, 4, v20
	s_delay_alu instid0(VALU_DEP_4)
	v_and_b32_e32 v11, 31, v4
	v_lshrrev_b32_e32 v10, 3, v4
	v_lshrrev_b32_e32 v4, 5, v4
	v_mov_b32_e32 v5, v1
	v_lshl_add_u32 v23, v21, 7, 0x1000
	v_add_nc_u32_e32 v8, s6, v11
	v_dual_mov_b32 v15, v3 :: v_dual_add_nc_u32 v12, s10, v10
	v_mov_b32_e32 v14, v2
	s_waitcnt lgkmcnt(0)
	s_add_u32 s12, s12, s8
	s_addc_u32 s13, s13, s9
	s_add_u32 s8, s14, s8
	s_load_b64 s[12:13], s[12:13], 0x0
	s_addc_u32 s9, s15, s9
	v_mad_i64_i32 v[6:7], null, s11, v8, v[4:5]
	s_load_b64 s[8:9], s[8:9], 0x0
	v_lshlrev_b32_e32 v5, 4, v0
	v_mad_i64_i32 v[8:9], null, s16, v12, v[0:1]
	v_mov_b32_e32 v0, v2
	v_lshlrev_b32_e32 v12, 4, v11
	s_delay_alu instid0(VALU_DEP_4) | instskip(SKIP_2) | instid1(VALU_DEP_4)
	v_lshl_or_b32 v5, v10, 7, v5
	v_lshlrev_b64 v[10:11], 4, v[6:7]
	v_dual_mov_b32 v7, v3 :: v_dual_mov_b32 v6, v2
	v_lshl_or_b32 v24, v4, 9, v12
	s_delay_alu instid0(VALU_DEP_4)
	v_add_nc_u32_e32 v25, 0x1000, v5
	v_lshlrev_b64 v[4:5], 4, v[8:9]
	v_mov_b32_e32 v1, v3
	v_dual_mov_b32 v13, v3 :: v_dual_mov_b32 v12, v2
	s_waitcnt lgkmcnt(0)
	v_add_co_u32 v8, vcc_lo, v10, s12
	v_add_co_ci_u32_e32 v9, vcc_lo, s13, v11, vcc_lo
	v_add_co_u32 v4, vcc_lo, v4, s8
	v_add_co_ci_u32_e32 v5, vcc_lo, s9, v5, vcc_lo
	s_delay_alu instid0(VALU_DEP_4) | instskip(NEXT) | instid1(VALU_DEP_4)
	v_add_co_u32 v16, vcc_lo, v8, 8
	v_add_co_ci_u32_e32 v17, vcc_lo, 0, v9, vcc_lo
	s_delay_alu instid0(VALU_DEP_4) | instskip(NEXT) | instid1(VALU_DEP_4)
	v_add_co_u32 v18, vcc_lo, v4, 8
	v_add_co_ci_u32_e32 v19, vcc_lo, 0, v5, vcc_lo
	v_dual_mov_b32 v5, v3 :: v_dual_mov_b32 v4, v2
	v_dual_mov_b32 v11, v3 :: v_dual_mov_b32 v10, v2
	;; [unrolled: 1-line block ×3, first 2 shown]
.LBB710_2:                              ; =>This Inner Loop Header: Depth=1
	global_load_b128 v[26:29], v[16:17], off offset:-8
	global_load_b128 v[30:33], v[18:19], off offset:-8
	v_add_co_u32 v16, vcc_lo, 0x80, v16
	v_add_co_ci_u32_e32 v17, vcc_lo, 0, v17, vcc_lo
	v_add_co_u32 v18, vcc_lo, 0x80, v18
	v_add_co_ci_u32_e32 v19, vcc_lo, 0, v19, vcc_lo
	s_add_i32 s7, s7, 8
	s_waitcnt vmcnt(1)
	ds_store_b128 v24, v[26:29]
	s_waitcnt vmcnt(0)
	ds_store_b128 v25, v[30:33]
	s_waitcnt lgkmcnt(0)
	s_barrier
	buffer_gl0_inv
	ds_load_b128 v[26:29], v23
	ds_load_b128 v[30:33], v22
	ds_load_b128 v[34:37], v22 offset:256
	ds_load_b128 v[38:41], v23 offset:2048
	;; [unrolled: 1-line block ×13, first 2 shown]
	s_cmp_ge_i32 s7, s3
	s_waitcnt lgkmcnt(13)
	v_mul_f64 v[86:87], v[28:29], v[32:33]
	v_mul_f64 v[88:89], v[26:27], v[32:33]
	s_waitcnt lgkmcnt(12)
	v_mul_f64 v[90:91], v[28:29], v[36:37]
	v_mul_f64 v[92:93], v[26:27], v[36:37]
	;; [unrolled: 3-line block ×3, first 2 shown]
	v_mul_f64 v[96:97], v[40:41], v[36:37]
	v_mul_f64 v[36:37], v[38:39], v[36:37]
	s_waitcnt lgkmcnt(8)
	v_mul_f64 v[98:99], v[44:45], v[52:53]
	v_mul_f64 v[100:101], v[42:43], v[52:53]
	s_waitcnt lgkmcnt(7)
	v_mul_f64 v[102:103], v[44:45], v[56:57]
	v_mul_f64 v[104:105], v[42:43], v[56:57]
	;; [unrolled: 1-line block ×6, first 2 shown]
	s_waitcnt lgkmcnt(3)
	v_mul_f64 v[112:113], v[58:59], v[72:73]
	s_waitcnt lgkmcnt(2)
	v_mul_f64 v[114:115], v[76:77], v[68:69]
	v_mul_f64 v[116:117], v[76:77], v[72:73]
	v_fma_f64 v[86:87], v[26:27], v[30:31], -v[86:87]
	v_fma_f64 v[88:89], v[28:29], v[30:31], v[88:89]
	v_fma_f64 v[90:91], v[26:27], v[34:35], -v[90:91]
	v_fma_f64 v[92:93], v[28:29], v[34:35], v[92:93]
	;; [unrolled: 2-line block ×4, first 2 shown]
	v_mul_f64 v[36:37], v[60:61], v[68:69]
	v_mul_f64 v[40:41], v[58:59], v[68:69]
	;; [unrolled: 1-line block ×5, first 2 shown]
	v_fma_f64 v[98:99], v[42:43], v[50:51], -v[98:99]
	v_fma_f64 v[100:101], v[44:45], v[50:51], v[100:101]
	v_fma_f64 v[42:43], v[42:43], v[54:55], -v[102:103]
	v_fma_f64 v[44:45], v[44:45], v[54:55], v[104:105]
	;; [unrolled: 2-line block ×4, first 2 shown]
	ds_load_b128 v[26:29], v22 offset:1792
	ds_load_b128 v[30:33], v22 offset:2048
	s_waitcnt lgkmcnt(2)
	v_mul_f64 v[56:57], v[64:65], v[84:85]
	v_add_f64 v[12:13], v[12:13], v[86:87]
	v_add_f64 v[14:15], v[14:15], v[88:89]
	v_add_f64 v[8:9], v[8:9], v[90:91]
	v_add_f64 v[10:11], v[10:11], v[92:93]
	v_add_f64 v[52:53], v[4:5], v[94:95]
	v_add_f64 v[54:55], v[6:7], v[110:111]
	v_add_f64 v[38:39], v[0:1], v[38:39]
	v_add_f64 v[34:35], v[2:3], v[34:35]
	v_mul_f64 v[86:87], v[62:63], v[84:85]
	s_waitcnt lgkmcnt(1)
	v_mul_f64 v[88:89], v[64:65], v[28:29]
	v_mul_f64 v[90:91], v[62:63], v[28:29]
	;; [unrolled: 1-line block ×6, first 2 shown]
	v_fma_f64 v[104:105], v[58:59], v[66:67], -v[36:37]
	v_fma_f64 v[106:107], v[60:61], v[66:67], v[40:41]
	v_fma_f64 v[58:59], v[58:59], v[70:71], -v[96:97]
	v_fma_f64 v[60:61], v[60:61], v[70:71], v[112:113]
	;; [unrolled: 2-line block ×4, first 2 shown]
	ds_load_b128 v[0:3], v22 offset:2304
	ds_load_b128 v[4:7], v23 offset:64
	v_fma_f64 v[56:57], v[62:63], v[82:83], -v[56:57]
	v_add_f64 v[72:73], v[12:13], v[98:99]
	v_add_f64 v[74:75], v[14:15], v[100:101]
	;; [unrolled: 1-line block ×8, first 2 shown]
	ds_load_b128 v[8:11], v23 offset:2112
	ds_load_b128 v[12:15], v23 offset:80
	;; [unrolled: 1-line block ×4, first 2 shown]
	s_waitcnt lgkmcnt(4)
	v_mul_f64 v[54:55], v[6:7], v[32:33]
	v_mul_f64 v[76:77], v[4:5], v[32:33]
	;; [unrolled: 1-line block ×4, first 2 shown]
	v_fma_f64 v[86:87], v[64:65], v[82:83], v[86:87]
	v_fma_f64 v[62:63], v[62:63], v[26:27], -v[88:89]
	v_fma_f64 v[64:65], v[64:65], v[26:27], v[90:91]
	v_fma_f64 v[88:89], v[78:79], v[82:83], -v[92:93]
	;; [unrolled: 2-line block ×3, first 2 shown]
	v_fma_f64 v[80:81], v[80:81], v[26:27], v[28:29]
	s_waitcnt lgkmcnt(3)
	v_mul_f64 v[102:103], v[10:11], v[32:33]
	v_mul_f64 v[32:33], v[8:9], v[32:33]
	;; [unrolled: 1-line block ×4, first 2 shown]
	s_waitcnt lgkmcnt(0)
	v_mul_f64 v[90:91], v[14:15], v[40:41]
	v_mul_f64 v[92:93], v[12:13], v[40:41]
	v_add_f64 v[72:73], v[72:73], v[104:105]
	v_add_f64 v[74:75], v[74:75], v[106:107]
	;; [unrolled: 1-line block ×8, first 2 shown]
	ds_load_b128 v[26:29], v22 offset:2816
	ds_load_b128 v[42:45], v22 offset:3072
	;; [unrolled: 1-line block ×4, first 2 shown]
	v_mul_f64 v[104:105], v[36:37], v[40:41]
	v_mul_f64 v[40:41], v[34:35], v[40:41]
	v_fma_f64 v[54:55], v[4:5], v[30:31], -v[54:55]
	v_fma_f64 v[76:77], v[6:7], v[30:31], v[76:77]
	v_fma_f64 v[98:99], v[4:5], v[0:1], -v[98:99]
	v_fma_f64 v[100:101], v[6:7], v[0:1], v[100:101]
	s_waitcnt lgkmcnt(3)
	v_mul_f64 v[94:95], v[14:15], v[28:29]
	v_mul_f64 v[96:97], v[12:13], v[28:29]
	;; [unrolled: 1-line block ×4, first 2 shown]
	v_fma_f64 v[102:103], v[8:9], v[30:31], -v[102:103]
	v_fma_f64 v[32:33], v[10:11], v[30:31], v[32:33]
	v_fma_f64 v[108:109], v[8:9], v[0:1], -v[108:109]
	v_fma_f64 v[112:113], v[10:11], v[0:1], v[2:3]
	ds_load_b128 v[0:3], v23 offset:2144
	ds_load_b128 v[4:7], v23 offset:112
	;; [unrolled: 1-line block ×4, first 2 shown]
	v_add_f64 v[56:57], v[72:73], v[56:57]
	v_add_f64 v[72:73], v[74:75], v[86:87]
	;; [unrolled: 1-line block ×8, first 2 shown]
	s_waitcnt lgkmcnt(4)
	v_mul_f64 v[70:71], v[52:53], v[44:45]
	v_mul_f64 v[74:75], v[50:51], v[44:45]
	;; [unrolled: 1-line block ×4, first 2 shown]
	s_waitcnt lgkmcnt(3)
	v_mul_f64 v[82:83], v[2:3], v[44:45]
	v_mul_f64 v[44:45], v[0:1], v[44:45]
	;; [unrolled: 1-line block ×4, first 2 shown]
	v_fma_f64 v[86:87], v[12:13], v[38:39], -v[90:91]
	v_fma_f64 v[88:89], v[14:15], v[38:39], v[92:93]
	v_fma_f64 v[90:91], v[12:13], v[26:27], -v[94:95]
	v_fma_f64 v[92:93], v[14:15], v[26:27], v[96:97]
	;; [unrolled: 2-line block ×4, first 2 shown]
	ds_load_b128 v[12:15], v22 offset:3840
	s_waitcnt lgkmcnt(0)
	s_barrier
	buffer_gl0_inv
	v_add_f64 v[36:37], v[56:57], v[54:55]
	v_add_f64 v[40:41], v[72:73], v[76:77]
	;; [unrolled: 1-line block ×8, first 2 shown]
	v_mul_f64 v[64:65], v[6:7], v[30:31]
	v_mul_f64 v[66:67], v[4:5], v[30:31]
	;; [unrolled: 1-line block ×4, first 2 shown]
	v_fma_f64 v[70:71], v[50:51], v[42:43], -v[70:71]
	v_mul_f64 v[68:69], v[6:7], v[14:15]
	v_mul_f64 v[72:73], v[4:5], v[14:15]
	;; [unrolled: 1-line block ×4, first 2 shown]
	v_fma_f64 v[74:75], v[52:53], v[42:43], v[74:75]
	v_fma_f64 v[50:51], v[50:51], v[46:47], -v[78:79]
	v_fma_f64 v[52:53], v[52:53], v[46:47], v[80:81]
	v_fma_f64 v[78:79], v[0:1], v[42:43], -v[82:83]
	v_fma_f64 v[42:43], v[2:3], v[42:43], v[44:45]
	v_fma_f64 v[0:1], v[0:1], v[46:47], -v[84:85]
	v_fma_f64 v[2:3], v[2:3], v[46:47], v[48:49]
	v_add_f64 v[36:37], v[36:37], v[86:87]
	v_add_f64 v[40:41], v[40:41], v[88:89]
	;; [unrolled: 1-line block ×8, first 2 shown]
	v_fma_f64 v[38:39], v[4:5], v[28:29], -v[64:65]
	v_fma_f64 v[54:55], v[6:7], v[28:29], v[66:67]
	v_fma_f64 v[56:57], v[8:9], v[28:29], -v[76:77]
	v_fma_f64 v[28:29], v[10:11], v[28:29], v[30:31]
	v_fma_f64 v[4:5], v[4:5], v[12:13], -v[68:69]
	v_fma_f64 v[6:7], v[6:7], v[12:13], v[72:73]
	v_fma_f64 v[30:31], v[8:9], v[12:13], -v[96:97]
	v_fma_f64 v[58:59], v[10:11], v[12:13], v[14:15]
	v_add_f64 v[8:9], v[36:37], v[70:71]
	v_add_f64 v[10:11], v[40:41], v[74:75]
	v_add_f64 v[36:37], v[44:45], v[50:51]
	v_add_f64 v[40:41], v[46:47], v[52:53]
	v_add_f64 v[44:45], v[48:49], v[78:79]
	v_add_f64 v[32:33], v[32:33], v[42:43]
	v_add_f64 v[0:1], v[34:35], v[0:1]
	v_add_f64 v[2:3], v[26:27], v[2:3]
	v_add_f64 v[12:13], v[8:9], v[38:39]
	v_add_f64 v[14:15], v[10:11], v[54:55]
	v_add_f64 v[8:9], v[36:37], v[4:5]
	v_add_f64 v[10:11], v[40:41], v[6:7]
	v_add_f64 v[4:5], v[44:45], v[56:57]
	v_add_f64 v[6:7], v[32:33], v[28:29]
	v_add_f64 v[0:1], v[0:1], v[30:31]
	v_add_f64 v[2:3], v[2:3], v[58:59]
	s_cbranch_scc0 .LBB710_2
.LBB710_3:
	s_load_b32 s3, s[0:1], 0x40
	v_add_nc_u32_e32 v18, s10, v21
	v_add_nc_u32_e32 v16, s6, v20
	s_delay_alu instid0(VALU_DEP_2) | instskip(NEXT) | instid1(VALU_DEP_2)
	v_cmp_gt_i32_e32 vcc_lo, s2, v18
	v_cmp_le_i32_e64 s0, v16, v18
	s_delay_alu instid0(VALU_DEP_1) | instskip(SKIP_2) | instid1(VALU_DEP_1)
	s_and_b32 s0, vcc_lo, s0
	s_waitcnt lgkmcnt(0)
	v_mad_i64_i32 v[21:22], null, v18, s3, 0
	v_lshlrev_b64 v[19:20], 4, v[21:22]
	s_delay_alu instid0(VALU_DEP_1) | instskip(NEXT) | instid1(VALU_DEP_1)
	v_add_co_u32 v19, s1, s4, v19
	v_add_co_ci_u32_e64 v20, s1, s5, v20, s1
	s_and_saveexec_b32 s1, s0
	s_cbranch_execz .LBB710_5
; %bb.4:
	v_ashrrev_i32_e32 v17, 31, v16
	s_delay_alu instid0(VALU_DEP_1) | instskip(NEXT) | instid1(VALU_DEP_1)
	v_lshlrev_b64 v[21:22], 4, v[16:17]
	v_add_co_u32 v21, s0, v19, v21
	s_delay_alu instid0(VALU_DEP_1)
	v_add_co_ci_u32_e64 v22, s0, v20, v22, s0
	global_store_b128 v[21:22], v[12:15], off
.LBB710_5:
	s_or_b32 exec_lo, exec_lo, s1
	v_add_nc_u32_e32 v12, 16, v16
	s_delay_alu instid0(VALU_DEP_1) | instskip(NEXT) | instid1(VALU_DEP_1)
	v_cmp_le_i32_e64 s0, v12, v18
	s_and_b32 s1, vcc_lo, s0
	s_delay_alu instid0(SALU_CYCLE_1)
	s_and_saveexec_b32 s0, s1
	s_cbranch_execz .LBB710_7
; %bb.6:
	v_ashrrev_i32_e32 v13, 31, v12
	s_delay_alu instid0(VALU_DEP_1) | instskip(NEXT) | instid1(VALU_DEP_1)
	v_lshlrev_b64 v[13:14], 4, v[12:13]
	v_add_co_u32 v13, vcc_lo, v19, v13
	s_delay_alu instid0(VALU_DEP_2)
	v_add_co_ci_u32_e32 v14, vcc_lo, v20, v14, vcc_lo
	global_store_b128 v[13:14], v[8:11], off
.LBB710_7:
	s_or_b32 exec_lo, exec_lo, s0
	v_add_nc_u32_e32 v10, 16, v18
	s_delay_alu instid0(VALU_DEP_1) | instskip(SKIP_2) | instid1(VALU_DEP_1)
	v_mad_i64_i32 v[8:9], null, v10, s3, 0
	v_cmp_gt_i32_e32 vcc_lo, s2, v10
	v_cmp_le_i32_e64 s0, v16, v10
	s_and_b32 s0, vcc_lo, s0
	s_delay_alu instid0(VALU_DEP_3) | instskip(NEXT) | instid1(VALU_DEP_1)
	v_lshlrev_b64 v[8:9], 4, v[8:9]
	v_add_co_u32 v8, s1, s4, v8
	s_delay_alu instid0(VALU_DEP_1)
	v_add_co_ci_u32_e64 v9, s1, s5, v9, s1
	s_and_saveexec_b32 s1, s0
	s_cbranch_execz .LBB710_9
; %bb.8:
	v_ashrrev_i32_e32 v17, 31, v16
	s_delay_alu instid0(VALU_DEP_1) | instskip(NEXT) | instid1(VALU_DEP_1)
	v_lshlrev_b64 v[13:14], 4, v[16:17]
	v_add_co_u32 v13, s0, v8, v13
	s_delay_alu instid0(VALU_DEP_1)
	v_add_co_ci_u32_e64 v14, s0, v9, v14, s0
	global_store_b128 v[13:14], v[4:7], off
.LBB710_9:
	s_or_b32 exec_lo, exec_lo, s1
	v_cmp_le_i32_e64 s0, v12, v10
	s_delay_alu instid0(VALU_DEP_1) | instskip(NEXT) | instid1(SALU_CYCLE_1)
	s_and_b32 s0, vcc_lo, s0
	s_and_saveexec_b32 s1, s0
	s_cbranch_execz .LBB710_11
; %bb.10:
	v_ashrrev_i32_e32 v13, 31, v12
	s_delay_alu instid0(VALU_DEP_1) | instskip(NEXT) | instid1(VALU_DEP_1)
	v_lshlrev_b64 v[4:5], 4, v[12:13]
	v_add_co_u32 v4, vcc_lo, v8, v4
	s_delay_alu instid0(VALU_DEP_2)
	v_add_co_ci_u32_e32 v5, vcc_lo, v9, v5, vcc_lo
	global_store_b128 v[4:5], v[0:3], off
.LBB710_11:
	s_nop 0
	s_sendmsg sendmsg(MSG_DEALLOC_VGPRS)
	s_endpgm
	.section	.rodata,"a",@progbits
	.p2align	6, 0x0
	.amdhsa_kernel _ZL37rocblas_syrkx_herkx_restricted_kernelIi19rocblas_complex_numIdELi16ELi32ELi8ELi1ELi0ELb0ELc84ELc85EKPKS1_KPS1_EviT_PT9_S7_lS9_S7_lPT10_S7_li
		.amdhsa_group_segment_fixed_size 8192
		.amdhsa_private_segment_fixed_size 0
		.amdhsa_kernarg_size 84
		.amdhsa_user_sgpr_count 13
		.amdhsa_user_sgpr_dispatch_ptr 0
		.amdhsa_user_sgpr_queue_ptr 0
		.amdhsa_user_sgpr_kernarg_segment_ptr 1
		.amdhsa_user_sgpr_dispatch_id 0
		.amdhsa_user_sgpr_private_segment_size 0
		.amdhsa_wavefront_size32 1
		.amdhsa_uses_dynamic_stack 0
		.amdhsa_enable_private_segment 0
		.amdhsa_system_sgpr_workgroup_id_x 1
		.amdhsa_system_sgpr_workgroup_id_y 1
		.amdhsa_system_sgpr_workgroup_id_z 1
		.amdhsa_system_sgpr_workgroup_info 0
		.amdhsa_system_vgpr_workitem_id 1
		.amdhsa_next_free_vgpr 118
		.amdhsa_next_free_sgpr 17
		.amdhsa_reserve_vcc 1
		.amdhsa_float_round_mode_32 0
		.amdhsa_float_round_mode_16_64 0
		.amdhsa_float_denorm_mode_32 3
		.amdhsa_float_denorm_mode_16_64 3
		.amdhsa_dx10_clamp 1
		.amdhsa_ieee_mode 1
		.amdhsa_fp16_overflow 0
		.amdhsa_workgroup_processor_mode 1
		.amdhsa_memory_ordered 1
		.amdhsa_forward_progress 0
		.amdhsa_shared_vgpr_count 0
		.amdhsa_exception_fp_ieee_invalid_op 0
		.amdhsa_exception_fp_denorm_src 0
		.amdhsa_exception_fp_ieee_div_zero 0
		.amdhsa_exception_fp_ieee_overflow 0
		.amdhsa_exception_fp_ieee_underflow 0
		.amdhsa_exception_fp_ieee_inexact 0
		.amdhsa_exception_int_div_zero 0
	.end_amdhsa_kernel
	.section	.text._ZL37rocblas_syrkx_herkx_restricted_kernelIi19rocblas_complex_numIdELi16ELi32ELi8ELi1ELi0ELb0ELc84ELc85EKPKS1_KPS1_EviT_PT9_S7_lS9_S7_lPT10_S7_li,"axG",@progbits,_ZL37rocblas_syrkx_herkx_restricted_kernelIi19rocblas_complex_numIdELi16ELi32ELi8ELi1ELi0ELb0ELc84ELc85EKPKS1_KPS1_EviT_PT9_S7_lS9_S7_lPT10_S7_li,comdat
.Lfunc_end710:
	.size	_ZL37rocblas_syrkx_herkx_restricted_kernelIi19rocblas_complex_numIdELi16ELi32ELi8ELi1ELi0ELb0ELc84ELc85EKPKS1_KPS1_EviT_PT9_S7_lS9_S7_lPT10_S7_li, .Lfunc_end710-_ZL37rocblas_syrkx_herkx_restricted_kernelIi19rocblas_complex_numIdELi16ELi32ELi8ELi1ELi0ELb0ELc84ELc85EKPKS1_KPS1_EviT_PT9_S7_lS9_S7_lPT10_S7_li
                                        ; -- End function
	.section	.AMDGPU.csdata,"",@progbits
; Kernel info:
; codeLenInByte = 2856
; NumSgprs: 19
; NumVgprs: 118
; ScratchSize: 0
; MemoryBound: 0
; FloatMode: 240
; IeeeMode: 1
; LDSByteSize: 8192 bytes/workgroup (compile time only)
; SGPRBlocks: 2
; VGPRBlocks: 14
; NumSGPRsForWavesPerEU: 19
; NumVGPRsForWavesPerEU: 118
; Occupancy: 12
; WaveLimiterHint : 1
; COMPUTE_PGM_RSRC2:SCRATCH_EN: 0
; COMPUTE_PGM_RSRC2:USER_SGPR: 13
; COMPUTE_PGM_RSRC2:TRAP_HANDLER: 0
; COMPUTE_PGM_RSRC2:TGID_X_EN: 1
; COMPUTE_PGM_RSRC2:TGID_Y_EN: 1
; COMPUTE_PGM_RSRC2:TGID_Z_EN: 1
; COMPUTE_PGM_RSRC2:TIDIG_COMP_CNT: 1
	.section	.text._ZL37rocblas_syrkx_herkx_restricted_kernelIi19rocblas_complex_numIdELi16ELi32ELi8ELi1ELi0ELb0ELc67ELc85EKPKS1_KPS1_EviT_PT9_S7_lS9_S7_lPT10_S7_li,"axG",@progbits,_ZL37rocblas_syrkx_herkx_restricted_kernelIi19rocblas_complex_numIdELi16ELi32ELi8ELi1ELi0ELb0ELc67ELc85EKPKS1_KPS1_EviT_PT9_S7_lS9_S7_lPT10_S7_li,comdat
	.globl	_ZL37rocblas_syrkx_herkx_restricted_kernelIi19rocblas_complex_numIdELi16ELi32ELi8ELi1ELi0ELb0ELc67ELc85EKPKS1_KPS1_EviT_PT9_S7_lS9_S7_lPT10_S7_li ; -- Begin function _ZL37rocblas_syrkx_herkx_restricted_kernelIi19rocblas_complex_numIdELi16ELi32ELi8ELi1ELi0ELb0ELc67ELc85EKPKS1_KPS1_EviT_PT9_S7_lS9_S7_lPT10_S7_li
	.p2align	8
	.type	_ZL37rocblas_syrkx_herkx_restricted_kernelIi19rocblas_complex_numIdELi16ELi32ELi8ELi1ELi0ELb0ELc67ELc85EKPKS1_KPS1_EviT_PT9_S7_lS9_S7_lPT10_S7_li,@function
_ZL37rocblas_syrkx_herkx_restricted_kernelIi19rocblas_complex_numIdELi16ELi32ELi8ELi1ELi0ELb0ELc67ELc85EKPKS1_KPS1_EviT_PT9_S7_lS9_S7_lPT10_S7_li: ; @_ZL37rocblas_syrkx_herkx_restricted_kernelIi19rocblas_complex_numIdELi16ELi32ELi8ELi1ELi0ELb0ELc67ELc85EKPKS1_KPS1_EviT_PT9_S7_lS9_S7_lPT10_S7_li
; %bb.0:
	s_clause 0x1
	s_load_b64 s[4:5], s[0:1], 0x38
	s_load_b64 s[2:3], s[0:1], 0x0
	s_mov_b32 s6, s15
	s_mov_b32 s7, 0
	v_mov_b32_e32 v12, 0
	s_lshl_b64 s[8:9], s[6:7], 3
	v_dual_mov_b32 v13, 0 :: v_dual_and_b32 v20, 0x3ff, v0
	v_bfe_u32 v21, v0, 10, 10
	s_delay_alu instid0(VALU_DEP_3) | instskip(NEXT) | instid1(VALU_DEP_3)
	v_mov_b32_e32 v8, v12
	v_dual_mov_b32 v10, v12 :: v_dual_mov_b32 v11, v13
	v_dual_mov_b32 v15, v13 :: v_dual_mov_b32 v14, v12
	;; [unrolled: 1-line block ×5, first 2 shown]
	v_mov_b32_e32 v1, v13
	s_waitcnt lgkmcnt(0)
	s_add_u32 s4, s4, s8
	s_addc_u32 s5, s5, s9
	v_dual_mov_b32 v2, v12 :: v_dual_mov_b32 v3, v13
	s_load_b64 s[4:5], s[4:5], 0x0
	s_lshl_b32 s6, s13, 5
	s_lshl_b32 s10, s14, 5
	s_cmp_lt_i32 s3, 1
	s_cbranch_scc1 .LBB711_3
; %bb.1:
	s_clause 0x3
	s_load_b64 s[12:13], s[0:1], 0x8
	s_load_b64 s[14:15], s[0:1], 0x20
	s_load_b32 s11, s[0:1], 0x10
	s_load_b32 s16, s[0:1], 0x28
	v_lshl_add_u32 v4, v21, 4, v20
	v_dual_mov_b32 v1, 0 :: v_dual_and_b32 v0, 7, v20
	v_mov_b32_e32 v2, 0
	v_dual_mov_b32 v3, 0 :: v_dual_lshlrev_b32 v22, 4, v20
	s_delay_alu instid0(VALU_DEP_4)
	v_and_b32_e32 v11, 31, v4
	v_lshrrev_b32_e32 v10, 3, v4
	v_lshrrev_b32_e32 v4, 5, v4
	v_mov_b32_e32 v5, v1
	v_lshl_add_u32 v23, v21, 7, 0x1000
	v_add_nc_u32_e32 v8, s6, v11
	v_dual_mov_b32 v15, v3 :: v_dual_add_nc_u32 v12, s10, v10
	v_mov_b32_e32 v14, v2
	s_waitcnt lgkmcnt(0)
	s_add_u32 s12, s12, s8
	s_addc_u32 s13, s13, s9
	s_add_u32 s8, s14, s8
	s_load_b64 s[12:13], s[12:13], 0x0
	s_addc_u32 s9, s15, s9
	v_mad_i64_i32 v[6:7], null, s11, v8, v[4:5]
	s_load_b64 s[8:9], s[8:9], 0x0
	v_lshlrev_b32_e32 v5, 4, v0
	v_mad_i64_i32 v[8:9], null, s16, v12, v[0:1]
	v_mov_b32_e32 v0, v2
	v_lshlrev_b32_e32 v12, 4, v11
	s_delay_alu instid0(VALU_DEP_4) | instskip(SKIP_2) | instid1(VALU_DEP_4)
	v_lshl_or_b32 v5, v10, 7, v5
	v_lshlrev_b64 v[10:11], 4, v[6:7]
	v_dual_mov_b32 v7, v3 :: v_dual_mov_b32 v6, v2
	v_lshl_or_b32 v24, v4, 9, v12
	s_delay_alu instid0(VALU_DEP_4)
	v_add_nc_u32_e32 v25, 0x1000, v5
	v_lshlrev_b64 v[4:5], 4, v[8:9]
	v_mov_b32_e32 v1, v3
	v_dual_mov_b32 v13, v3 :: v_dual_mov_b32 v12, v2
	s_waitcnt lgkmcnt(0)
	v_add_co_u32 v8, vcc_lo, v10, s12
	v_add_co_ci_u32_e32 v9, vcc_lo, s13, v11, vcc_lo
	v_add_co_u32 v4, vcc_lo, v4, s8
	v_add_co_ci_u32_e32 v5, vcc_lo, s9, v5, vcc_lo
	s_delay_alu instid0(VALU_DEP_4) | instskip(NEXT) | instid1(VALU_DEP_4)
	v_add_co_u32 v16, vcc_lo, v8, 8
	v_add_co_ci_u32_e32 v17, vcc_lo, 0, v9, vcc_lo
	s_delay_alu instid0(VALU_DEP_4) | instskip(NEXT) | instid1(VALU_DEP_4)
	v_add_co_u32 v18, vcc_lo, v4, 8
	v_add_co_ci_u32_e32 v19, vcc_lo, 0, v5, vcc_lo
	v_dual_mov_b32 v5, v3 :: v_dual_mov_b32 v4, v2
	v_dual_mov_b32 v11, v3 :: v_dual_mov_b32 v10, v2
	v_dual_mov_b32 v9, v3 :: v_dual_mov_b32 v8, v2
.LBB711_2:                              ; =>This Inner Loop Header: Depth=1
	global_load_b128 v[26:29], v[16:17], off offset:-8
	global_load_b128 v[30:33], v[18:19], off offset:-8
	v_add_co_u32 v16, vcc_lo, 0x80, v16
	v_add_co_ci_u32_e32 v17, vcc_lo, 0, v17, vcc_lo
	v_add_co_u32 v18, vcc_lo, 0x80, v18
	v_add_co_ci_u32_e32 v19, vcc_lo, 0, v19, vcc_lo
	s_add_i32 s7, s7, 8
	s_waitcnt vmcnt(1)
	ds_store_b128 v24, v[26:29]
	s_waitcnt vmcnt(0)
	ds_store_b128 v25, v[30:33]
	s_waitcnt lgkmcnt(0)
	s_barrier
	buffer_gl0_inv
	ds_load_b128 v[26:29], v23
	ds_load_b128 v[30:33], v22
	ds_load_b128 v[34:37], v22 offset:256
	ds_load_b128 v[38:41], v23 offset:2048
	;; [unrolled: 1-line block ×13, first 2 shown]
	s_cmp_ge_i32 s7, s3
	s_waitcnt lgkmcnt(13)
	v_mul_f64 v[86:87], v[28:29], v[32:33]
	v_mul_f64 v[88:89], v[26:27], v[32:33]
	s_waitcnt lgkmcnt(12)
	v_mul_f64 v[90:91], v[28:29], v[36:37]
	v_mul_f64 v[92:93], v[26:27], v[36:37]
	;; [unrolled: 3-line block ×3, first 2 shown]
	v_mul_f64 v[96:97], v[40:41], v[36:37]
	v_mul_f64 v[36:37], v[38:39], v[36:37]
	s_waitcnt lgkmcnt(8)
	v_mul_f64 v[98:99], v[44:45], v[52:53]
	v_mul_f64 v[100:101], v[42:43], v[52:53]
	s_waitcnt lgkmcnt(7)
	v_mul_f64 v[102:103], v[44:45], v[56:57]
	v_mul_f64 v[104:105], v[42:43], v[56:57]
	;; [unrolled: 1-line block ×6, first 2 shown]
	s_waitcnt lgkmcnt(3)
	v_mul_f64 v[112:113], v[58:59], v[72:73]
	s_waitcnt lgkmcnt(2)
	v_mul_f64 v[114:115], v[76:77], v[68:69]
	v_mul_f64 v[116:117], v[76:77], v[72:73]
	v_fma_f64 v[86:87], v[26:27], v[30:31], -v[86:87]
	v_fma_f64 v[88:89], v[28:29], v[30:31], v[88:89]
	v_fma_f64 v[90:91], v[26:27], v[34:35], -v[90:91]
	v_fma_f64 v[92:93], v[28:29], v[34:35], v[92:93]
	;; [unrolled: 2-line block ×4, first 2 shown]
	v_mul_f64 v[36:37], v[60:61], v[68:69]
	v_mul_f64 v[40:41], v[58:59], v[68:69]
	;; [unrolled: 1-line block ×5, first 2 shown]
	v_fma_f64 v[98:99], v[42:43], v[50:51], -v[98:99]
	v_fma_f64 v[100:101], v[44:45], v[50:51], v[100:101]
	v_fma_f64 v[42:43], v[42:43], v[54:55], -v[102:103]
	v_fma_f64 v[44:45], v[44:45], v[54:55], v[104:105]
	;; [unrolled: 2-line block ×4, first 2 shown]
	ds_load_b128 v[26:29], v22 offset:1792
	ds_load_b128 v[30:33], v22 offset:2048
	s_waitcnt lgkmcnt(2)
	v_mul_f64 v[56:57], v[64:65], v[84:85]
	v_add_f64 v[12:13], v[12:13], v[86:87]
	v_add_f64 v[14:15], v[14:15], v[88:89]
	;; [unrolled: 1-line block ×8, first 2 shown]
	v_mul_f64 v[86:87], v[62:63], v[84:85]
	s_waitcnt lgkmcnt(1)
	v_mul_f64 v[88:89], v[64:65], v[28:29]
	v_mul_f64 v[90:91], v[62:63], v[28:29]
	;; [unrolled: 1-line block ×6, first 2 shown]
	v_fma_f64 v[104:105], v[58:59], v[66:67], -v[36:37]
	v_fma_f64 v[106:107], v[60:61], v[66:67], v[40:41]
	v_fma_f64 v[58:59], v[58:59], v[70:71], -v[96:97]
	v_fma_f64 v[60:61], v[60:61], v[70:71], v[112:113]
	;; [unrolled: 2-line block ×4, first 2 shown]
	ds_load_b128 v[0:3], v22 offset:2304
	ds_load_b128 v[4:7], v23 offset:64
	v_fma_f64 v[56:57], v[62:63], v[82:83], -v[56:57]
	v_add_f64 v[72:73], v[12:13], v[98:99]
	v_add_f64 v[74:75], v[14:15], v[100:101]
	v_add_f64 v[42:43], v[8:9], v[42:43]
	v_add_f64 v[44:45], v[10:11], v[44:45]
	v_add_f64 v[52:53], v[52:53], v[102:103]
	v_add_f64 v[50:51], v[54:55], v[50:51]
	v_add_f64 v[46:47], v[38:39], v[46:47]
	v_add_f64 v[48:49], v[34:35], v[48:49]
	ds_load_b128 v[8:11], v23 offset:2112
	ds_load_b128 v[12:15], v23 offset:80
	ds_load_b128 v[34:37], v23 offset:2128
	ds_load_b128 v[38:41], v22 offset:2560
	s_waitcnt lgkmcnt(4)
	v_mul_f64 v[54:55], v[6:7], v[32:33]
	v_mul_f64 v[76:77], v[4:5], v[32:33]
	;; [unrolled: 1-line block ×4, first 2 shown]
	v_fma_f64 v[86:87], v[64:65], v[82:83], v[86:87]
	v_fma_f64 v[62:63], v[62:63], v[26:27], -v[88:89]
	v_fma_f64 v[64:65], v[64:65], v[26:27], v[90:91]
	v_fma_f64 v[88:89], v[78:79], v[82:83], -v[92:93]
	;; [unrolled: 2-line block ×3, first 2 shown]
	v_fma_f64 v[80:81], v[80:81], v[26:27], v[28:29]
	s_waitcnt lgkmcnt(3)
	v_mul_f64 v[102:103], v[10:11], v[32:33]
	v_mul_f64 v[32:33], v[8:9], v[32:33]
	;; [unrolled: 1-line block ×4, first 2 shown]
	s_waitcnt lgkmcnt(0)
	v_mul_f64 v[90:91], v[14:15], v[40:41]
	v_mul_f64 v[92:93], v[12:13], v[40:41]
	v_add_f64 v[72:73], v[72:73], v[104:105]
	v_add_f64 v[74:75], v[74:75], v[106:107]
	;; [unrolled: 1-line block ×8, first 2 shown]
	ds_load_b128 v[26:29], v22 offset:2816
	ds_load_b128 v[42:45], v22 offset:3072
	;; [unrolled: 1-line block ×4, first 2 shown]
	v_mul_f64 v[104:105], v[36:37], v[40:41]
	v_mul_f64 v[40:41], v[34:35], v[40:41]
	v_fma_f64 v[54:55], v[4:5], v[30:31], -v[54:55]
	v_fma_f64 v[76:77], v[6:7], v[30:31], v[76:77]
	v_fma_f64 v[98:99], v[4:5], v[0:1], -v[98:99]
	v_fma_f64 v[100:101], v[6:7], v[0:1], v[100:101]
	s_waitcnt lgkmcnt(3)
	v_mul_f64 v[94:95], v[14:15], v[28:29]
	v_mul_f64 v[96:97], v[12:13], v[28:29]
	;; [unrolled: 1-line block ×4, first 2 shown]
	v_fma_f64 v[102:103], v[8:9], v[30:31], -v[102:103]
	v_fma_f64 v[32:33], v[10:11], v[30:31], v[32:33]
	v_fma_f64 v[108:109], v[8:9], v[0:1], -v[108:109]
	v_fma_f64 v[112:113], v[10:11], v[0:1], v[2:3]
	ds_load_b128 v[0:3], v23 offset:2144
	ds_load_b128 v[4:7], v23 offset:112
	;; [unrolled: 1-line block ×4, first 2 shown]
	v_add_f64 v[56:57], v[72:73], v[56:57]
	v_add_f64 v[72:73], v[74:75], v[86:87]
	;; [unrolled: 1-line block ×8, first 2 shown]
	s_waitcnt lgkmcnt(4)
	v_mul_f64 v[70:71], v[52:53], v[44:45]
	v_mul_f64 v[74:75], v[50:51], v[44:45]
	;; [unrolled: 1-line block ×4, first 2 shown]
	s_waitcnt lgkmcnt(3)
	v_mul_f64 v[82:83], v[2:3], v[44:45]
	v_mul_f64 v[44:45], v[0:1], v[44:45]
	;; [unrolled: 1-line block ×4, first 2 shown]
	v_fma_f64 v[86:87], v[12:13], v[38:39], -v[90:91]
	v_fma_f64 v[88:89], v[14:15], v[38:39], v[92:93]
	v_fma_f64 v[90:91], v[12:13], v[26:27], -v[94:95]
	v_fma_f64 v[92:93], v[14:15], v[26:27], v[96:97]
	;; [unrolled: 2-line block ×4, first 2 shown]
	ds_load_b128 v[12:15], v22 offset:3840
	s_waitcnt lgkmcnt(0)
	s_barrier
	buffer_gl0_inv
	v_add_f64 v[36:37], v[56:57], v[54:55]
	v_add_f64 v[40:41], v[72:73], v[76:77]
	;; [unrolled: 1-line block ×8, first 2 shown]
	v_mul_f64 v[64:65], v[6:7], v[30:31]
	v_mul_f64 v[66:67], v[4:5], v[30:31]
	;; [unrolled: 1-line block ×4, first 2 shown]
	v_fma_f64 v[70:71], v[50:51], v[42:43], -v[70:71]
	v_mul_f64 v[68:69], v[6:7], v[14:15]
	v_mul_f64 v[72:73], v[4:5], v[14:15]
	;; [unrolled: 1-line block ×4, first 2 shown]
	v_fma_f64 v[74:75], v[52:53], v[42:43], v[74:75]
	v_fma_f64 v[50:51], v[50:51], v[46:47], -v[78:79]
	v_fma_f64 v[52:53], v[52:53], v[46:47], v[80:81]
	v_fma_f64 v[78:79], v[0:1], v[42:43], -v[82:83]
	;; [unrolled: 2-line block ×3, first 2 shown]
	v_fma_f64 v[2:3], v[2:3], v[46:47], v[48:49]
	v_add_f64 v[36:37], v[36:37], v[86:87]
	v_add_f64 v[40:41], v[40:41], v[88:89]
	;; [unrolled: 1-line block ×8, first 2 shown]
	v_fma_f64 v[38:39], v[4:5], v[28:29], -v[64:65]
	v_fma_f64 v[54:55], v[6:7], v[28:29], v[66:67]
	v_fma_f64 v[56:57], v[8:9], v[28:29], -v[76:77]
	v_fma_f64 v[28:29], v[10:11], v[28:29], v[30:31]
	;; [unrolled: 2-line block ×4, first 2 shown]
	v_add_f64 v[8:9], v[36:37], v[70:71]
	v_add_f64 v[10:11], v[40:41], v[74:75]
	;; [unrolled: 1-line block ×16, first 2 shown]
	s_cbranch_scc0 .LBB711_2
.LBB711_3:
	s_load_b32 s3, s[0:1], 0x40
	v_add_nc_u32_e32 v18, s10, v21
	v_add_nc_u32_e32 v16, s6, v20
	s_delay_alu instid0(VALU_DEP_2) | instskip(NEXT) | instid1(VALU_DEP_2)
	v_cmp_gt_i32_e32 vcc_lo, s2, v18
	v_cmp_le_i32_e64 s0, v16, v18
	s_delay_alu instid0(VALU_DEP_1) | instskip(SKIP_2) | instid1(VALU_DEP_1)
	s_and_b32 s0, vcc_lo, s0
	s_waitcnt lgkmcnt(0)
	v_mad_i64_i32 v[21:22], null, v18, s3, 0
	v_lshlrev_b64 v[19:20], 4, v[21:22]
	s_delay_alu instid0(VALU_DEP_1) | instskip(NEXT) | instid1(VALU_DEP_1)
	v_add_co_u32 v19, s1, s4, v19
	v_add_co_ci_u32_e64 v20, s1, s5, v20, s1
	s_and_saveexec_b32 s1, s0
	s_cbranch_execz .LBB711_5
; %bb.4:
	v_ashrrev_i32_e32 v17, 31, v16
	s_delay_alu instid0(VALU_DEP_1) | instskip(NEXT) | instid1(VALU_DEP_1)
	v_lshlrev_b64 v[21:22], 4, v[16:17]
	v_add_co_u32 v21, s0, v19, v21
	s_delay_alu instid0(VALU_DEP_1)
	v_add_co_ci_u32_e64 v22, s0, v20, v22, s0
	global_store_b128 v[21:22], v[12:15], off
.LBB711_5:
	s_or_b32 exec_lo, exec_lo, s1
	v_add_nc_u32_e32 v12, 16, v16
	s_delay_alu instid0(VALU_DEP_1) | instskip(NEXT) | instid1(VALU_DEP_1)
	v_cmp_le_i32_e64 s0, v12, v18
	s_and_b32 s1, vcc_lo, s0
	s_delay_alu instid0(SALU_CYCLE_1)
	s_and_saveexec_b32 s0, s1
	s_cbranch_execz .LBB711_7
; %bb.6:
	v_ashrrev_i32_e32 v13, 31, v12
	s_delay_alu instid0(VALU_DEP_1) | instskip(NEXT) | instid1(VALU_DEP_1)
	v_lshlrev_b64 v[13:14], 4, v[12:13]
	v_add_co_u32 v13, vcc_lo, v19, v13
	s_delay_alu instid0(VALU_DEP_2)
	v_add_co_ci_u32_e32 v14, vcc_lo, v20, v14, vcc_lo
	global_store_b128 v[13:14], v[8:11], off
.LBB711_7:
	s_or_b32 exec_lo, exec_lo, s0
	v_add_nc_u32_e32 v10, 16, v18
	s_delay_alu instid0(VALU_DEP_1) | instskip(SKIP_2) | instid1(VALU_DEP_1)
	v_mad_i64_i32 v[8:9], null, v10, s3, 0
	v_cmp_gt_i32_e32 vcc_lo, s2, v10
	v_cmp_le_i32_e64 s0, v16, v10
	s_and_b32 s0, vcc_lo, s0
	s_delay_alu instid0(VALU_DEP_3) | instskip(NEXT) | instid1(VALU_DEP_1)
	v_lshlrev_b64 v[8:9], 4, v[8:9]
	v_add_co_u32 v8, s1, s4, v8
	s_delay_alu instid0(VALU_DEP_1)
	v_add_co_ci_u32_e64 v9, s1, s5, v9, s1
	s_and_saveexec_b32 s1, s0
	s_cbranch_execz .LBB711_9
; %bb.8:
	v_ashrrev_i32_e32 v17, 31, v16
	s_delay_alu instid0(VALU_DEP_1) | instskip(NEXT) | instid1(VALU_DEP_1)
	v_lshlrev_b64 v[13:14], 4, v[16:17]
	v_add_co_u32 v13, s0, v8, v13
	s_delay_alu instid0(VALU_DEP_1)
	v_add_co_ci_u32_e64 v14, s0, v9, v14, s0
	global_store_b128 v[13:14], v[4:7], off
.LBB711_9:
	s_or_b32 exec_lo, exec_lo, s1
	v_cmp_le_i32_e64 s0, v12, v10
	s_delay_alu instid0(VALU_DEP_1) | instskip(NEXT) | instid1(SALU_CYCLE_1)
	s_and_b32 s0, vcc_lo, s0
	s_and_saveexec_b32 s1, s0
	s_cbranch_execz .LBB711_11
; %bb.10:
	v_ashrrev_i32_e32 v13, 31, v12
	s_delay_alu instid0(VALU_DEP_1) | instskip(NEXT) | instid1(VALU_DEP_1)
	v_lshlrev_b64 v[4:5], 4, v[12:13]
	v_add_co_u32 v4, vcc_lo, v8, v4
	s_delay_alu instid0(VALU_DEP_2)
	v_add_co_ci_u32_e32 v5, vcc_lo, v9, v5, vcc_lo
	global_store_b128 v[4:5], v[0:3], off
.LBB711_11:
	s_nop 0
	s_sendmsg sendmsg(MSG_DEALLOC_VGPRS)
	s_endpgm
	.section	.rodata,"a",@progbits
	.p2align	6, 0x0
	.amdhsa_kernel _ZL37rocblas_syrkx_herkx_restricted_kernelIi19rocblas_complex_numIdELi16ELi32ELi8ELi1ELi0ELb0ELc67ELc85EKPKS1_KPS1_EviT_PT9_S7_lS9_S7_lPT10_S7_li
		.amdhsa_group_segment_fixed_size 8192
		.amdhsa_private_segment_fixed_size 0
		.amdhsa_kernarg_size 84
		.amdhsa_user_sgpr_count 13
		.amdhsa_user_sgpr_dispatch_ptr 0
		.amdhsa_user_sgpr_queue_ptr 0
		.amdhsa_user_sgpr_kernarg_segment_ptr 1
		.amdhsa_user_sgpr_dispatch_id 0
		.amdhsa_user_sgpr_private_segment_size 0
		.amdhsa_wavefront_size32 1
		.amdhsa_uses_dynamic_stack 0
		.amdhsa_enable_private_segment 0
		.amdhsa_system_sgpr_workgroup_id_x 1
		.amdhsa_system_sgpr_workgroup_id_y 1
		.amdhsa_system_sgpr_workgroup_id_z 1
		.amdhsa_system_sgpr_workgroup_info 0
		.amdhsa_system_vgpr_workitem_id 1
		.amdhsa_next_free_vgpr 118
		.amdhsa_next_free_sgpr 17
		.amdhsa_reserve_vcc 1
		.amdhsa_float_round_mode_32 0
		.amdhsa_float_round_mode_16_64 0
		.amdhsa_float_denorm_mode_32 3
		.amdhsa_float_denorm_mode_16_64 3
		.amdhsa_dx10_clamp 1
		.amdhsa_ieee_mode 1
		.amdhsa_fp16_overflow 0
		.amdhsa_workgroup_processor_mode 1
		.amdhsa_memory_ordered 1
		.amdhsa_forward_progress 0
		.amdhsa_shared_vgpr_count 0
		.amdhsa_exception_fp_ieee_invalid_op 0
		.amdhsa_exception_fp_denorm_src 0
		.amdhsa_exception_fp_ieee_div_zero 0
		.amdhsa_exception_fp_ieee_overflow 0
		.amdhsa_exception_fp_ieee_underflow 0
		.amdhsa_exception_fp_ieee_inexact 0
		.amdhsa_exception_int_div_zero 0
	.end_amdhsa_kernel
	.section	.text._ZL37rocblas_syrkx_herkx_restricted_kernelIi19rocblas_complex_numIdELi16ELi32ELi8ELi1ELi0ELb0ELc67ELc85EKPKS1_KPS1_EviT_PT9_S7_lS9_S7_lPT10_S7_li,"axG",@progbits,_ZL37rocblas_syrkx_herkx_restricted_kernelIi19rocblas_complex_numIdELi16ELi32ELi8ELi1ELi0ELb0ELc67ELc85EKPKS1_KPS1_EviT_PT9_S7_lS9_S7_lPT10_S7_li,comdat
.Lfunc_end711:
	.size	_ZL37rocblas_syrkx_herkx_restricted_kernelIi19rocblas_complex_numIdELi16ELi32ELi8ELi1ELi0ELb0ELc67ELc85EKPKS1_KPS1_EviT_PT9_S7_lS9_S7_lPT10_S7_li, .Lfunc_end711-_ZL37rocblas_syrkx_herkx_restricted_kernelIi19rocblas_complex_numIdELi16ELi32ELi8ELi1ELi0ELb0ELc67ELc85EKPKS1_KPS1_EviT_PT9_S7_lS9_S7_lPT10_S7_li
                                        ; -- End function
	.section	.AMDGPU.csdata,"",@progbits
; Kernel info:
; codeLenInByte = 2856
; NumSgprs: 19
; NumVgprs: 118
; ScratchSize: 0
; MemoryBound: 0
; FloatMode: 240
; IeeeMode: 1
; LDSByteSize: 8192 bytes/workgroup (compile time only)
; SGPRBlocks: 2
; VGPRBlocks: 14
; NumSGPRsForWavesPerEU: 19
; NumVGPRsForWavesPerEU: 118
; Occupancy: 12
; WaveLimiterHint : 1
; COMPUTE_PGM_RSRC2:SCRATCH_EN: 0
; COMPUTE_PGM_RSRC2:USER_SGPR: 13
; COMPUTE_PGM_RSRC2:TRAP_HANDLER: 0
; COMPUTE_PGM_RSRC2:TGID_X_EN: 1
; COMPUTE_PGM_RSRC2:TGID_Y_EN: 1
; COMPUTE_PGM_RSRC2:TGID_Z_EN: 1
; COMPUTE_PGM_RSRC2:TIDIG_COMP_CNT: 1
	.section	.text._ZL37rocblas_syrkx_herkx_restricted_kernelIi19rocblas_complex_numIdELi16ELi32ELi8ELi1ELi0ELb0ELc78ELc85EKPKS1_KPS1_EviT_PT9_S7_lS9_S7_lPT10_S7_li,"axG",@progbits,_ZL37rocblas_syrkx_herkx_restricted_kernelIi19rocblas_complex_numIdELi16ELi32ELi8ELi1ELi0ELb0ELc78ELc85EKPKS1_KPS1_EviT_PT9_S7_lS9_S7_lPT10_S7_li,comdat
	.globl	_ZL37rocblas_syrkx_herkx_restricted_kernelIi19rocblas_complex_numIdELi16ELi32ELi8ELi1ELi0ELb0ELc78ELc85EKPKS1_KPS1_EviT_PT9_S7_lS9_S7_lPT10_S7_li ; -- Begin function _ZL37rocblas_syrkx_herkx_restricted_kernelIi19rocblas_complex_numIdELi16ELi32ELi8ELi1ELi0ELb0ELc78ELc85EKPKS1_KPS1_EviT_PT9_S7_lS9_S7_lPT10_S7_li
	.p2align	8
	.type	_ZL37rocblas_syrkx_herkx_restricted_kernelIi19rocblas_complex_numIdELi16ELi32ELi8ELi1ELi0ELb0ELc78ELc85EKPKS1_KPS1_EviT_PT9_S7_lS9_S7_lPT10_S7_li,@function
_ZL37rocblas_syrkx_herkx_restricted_kernelIi19rocblas_complex_numIdELi16ELi32ELi8ELi1ELi0ELb0ELc78ELc85EKPKS1_KPS1_EviT_PT9_S7_lS9_S7_lPT10_S7_li: ; @_ZL37rocblas_syrkx_herkx_restricted_kernelIi19rocblas_complex_numIdELi16ELi32ELi8ELi1ELi0ELb0ELc78ELc85EKPKS1_KPS1_EviT_PT9_S7_lS9_S7_lPT10_S7_li
; %bb.0:
	s_clause 0x1
	s_load_b64 s[4:5], s[0:1], 0x38
	s_load_b64 s[2:3], s[0:1], 0x0
	s_mov_b32 s6, s15
	s_mov_b32 s7, 0
	v_mov_b32_e32 v12, 0
	s_lshl_b64 s[8:9], s[6:7], 3
	v_dual_mov_b32 v13, 0 :: v_dual_and_b32 v20, 0x3ff, v0
	v_bfe_u32 v21, v0, 10, 10
	s_delay_alu instid0(VALU_DEP_3) | instskip(NEXT) | instid1(VALU_DEP_3)
	v_mov_b32_e32 v8, v12
	v_dual_mov_b32 v10, v12 :: v_dual_mov_b32 v11, v13
	v_dual_mov_b32 v15, v13 :: v_dual_mov_b32 v14, v12
	;; [unrolled: 1-line block ×5, first 2 shown]
	v_mov_b32_e32 v1, v13
	s_waitcnt lgkmcnt(0)
	s_add_u32 s4, s4, s8
	s_addc_u32 s5, s5, s9
	v_dual_mov_b32 v2, v12 :: v_dual_mov_b32 v3, v13
	s_load_b64 s[4:5], s[4:5], 0x0
	s_lshl_b32 s6, s13, 5
	s_lshl_b32 s12, s14, 5
	s_cmp_lt_i32 s3, 1
	s_cbranch_scc1 .LBB712_3
; %bb.1:
	s_clause 0x3
	s_load_b32 s10, s[0:1], 0x10
	s_load_b32 s14, s[0:1], 0x28
	s_load_b64 s[16:17], s[0:1], 0x8
	s_load_b64 s[18:19], s[0:1], 0x20
	v_lshl_add_u32 v0, v21, 4, v20
	v_and_b32_e32 v10, 7, v20
	v_lshl_add_u32 v23, v21, 7, 0x1000
	s_delay_alu instid0(VALU_DEP_3) | instskip(SKIP_2) | instid1(VALU_DEP_3)
	v_and_b32_e32 v9, 31, v0
	v_lshrrev_b32_e32 v11, 5, v0
	v_lshrrev_b32_e32 v8, 3, v0
	v_add_nc_u32_e32 v2, s6, v9
	s_delay_alu instid0(VALU_DEP_1)
	v_ashrrev_i32_e32 v3, 31, v2
	s_waitcnt lgkmcnt(0)
	s_ashr_i32 s11, s10, 31
	s_ashr_i32 s15, s14, 31
	s_add_u32 s16, s16, s8
	s_addc_u32 s17, s17, s9
	v_mad_i64_i32 v[4:5], null, s10, v11, v[2:3]
	v_mov_b32_e32 v2, 0
	v_dual_mov_b32 v3, 0 :: v_dual_add_nc_u32 v0, s12, v8
	s_load_b64 s[16:17], s[16:17], 0x0
	s_add_u32 s8, s18, s8
	s_addc_u32 s9, s19, s9
	s_delay_alu instid0(VALU_DEP_3)
	v_lshlrev_b64 v[4:5], 4, v[4:5]
	s_load_b64 s[8:9], s[8:9], 0x0
	v_ashrrev_i32_e32 v1, 31, v0
	v_lshlrev_b32_e32 v12, 4, v10
	v_lshlrev_b32_e32 v9, 4, v9
	v_dual_mov_b32 v15, v3 :: v_dual_lshlrev_b32 v22, 4, v20
	s_delay_alu instid0(VALU_DEP_4) | instskip(SKIP_1) | instid1(VALU_DEP_4)
	v_mad_i64_i32 v[6:7], null, s14, v10, v[0:1]
	v_dual_mov_b32 v0, v2 :: v_dual_mov_b32 v1, v3
	v_lshl_or_b32 v24, v11, 9, v9
	v_dual_mov_b32 v11, v3 :: v_dual_mov_b32 v10, v2
	v_mov_b32_e32 v14, v2
	v_lshlrev_b64 v[6:7], 4, v[6:7]
	s_waitcnt lgkmcnt(0)
	v_add_co_u32 v4, vcc_lo, v4, s16
	v_add_co_ci_u32_e32 v5, vcc_lo, s17, v5, vcc_lo
	s_delay_alu instid0(VALU_DEP_3) | instskip(NEXT) | instid1(VALU_DEP_4)
	v_add_co_u32 v6, vcc_lo, v6, s8
	v_add_co_ci_u32_e32 v7, vcc_lo, s9, v7, vcc_lo
	s_delay_alu instid0(VALU_DEP_4) | instskip(NEXT) | instid1(VALU_DEP_4)
	v_add_co_u32 v16, vcc_lo, v4, 8
	v_add_co_ci_u32_e32 v17, vcc_lo, 0, v5, vcc_lo
	v_mov_b32_e32 v5, v3
	v_lshl_or_b32 v8, v8, 7, v12
	v_dual_mov_b32 v13, v3 :: v_dual_mov_b32 v4, v2
	v_add_co_u32 v18, vcc_lo, v6, 8
	s_delay_alu instid0(VALU_DEP_3)
	v_add_nc_u32_e32 v25, 0x1000, v8
	v_dual_mov_b32 v9, v3 :: v_dual_mov_b32 v8, v2
	v_add_co_ci_u32_e32 v19, vcc_lo, 0, v7, vcc_lo
	v_dual_mov_b32 v7, v3 :: v_dual_mov_b32 v6, v2
	v_mov_b32_e32 v12, v2
	s_lshl_b64 s[8:9], s[10:11], 7
	s_lshl_b64 s[10:11], s[14:15], 7
.LBB712_2:                              ; =>This Inner Loop Header: Depth=1
	global_load_b128 v[26:29], v[16:17], off offset:-8
	global_load_b128 v[30:33], v[18:19], off offset:-8
	v_add_co_u32 v16, vcc_lo, v16, s8
	v_add_co_ci_u32_e32 v17, vcc_lo, s9, v17, vcc_lo
	v_add_co_u32 v18, vcc_lo, v18, s10
	v_add_co_ci_u32_e32 v19, vcc_lo, s11, v19, vcc_lo
	s_add_i32 s7, s7, 8
	s_waitcnt vmcnt(1)
	ds_store_b128 v24, v[26:29]
	s_waitcnt vmcnt(0)
	ds_store_b128 v25, v[30:33]
	s_waitcnt lgkmcnt(0)
	s_barrier
	buffer_gl0_inv
	ds_load_b128 v[26:29], v23
	ds_load_b128 v[30:33], v22
	ds_load_b128 v[34:37], v22 offset:256
	ds_load_b128 v[38:41], v23 offset:2048
	;; [unrolled: 1-line block ×13, first 2 shown]
	s_cmp_ge_i32 s7, s3
	s_waitcnt lgkmcnt(13)
	v_mul_f64 v[86:87], v[28:29], v[32:33]
	v_mul_f64 v[88:89], v[26:27], v[32:33]
	s_waitcnt lgkmcnt(12)
	v_mul_f64 v[90:91], v[28:29], v[36:37]
	v_mul_f64 v[92:93], v[26:27], v[36:37]
	s_waitcnt lgkmcnt(11)
	v_mul_f64 v[94:95], v[40:41], v[32:33]
	v_mul_f64 v[32:33], v[38:39], v[32:33]
	v_mul_f64 v[96:97], v[40:41], v[36:37]
	v_mul_f64 v[36:37], v[38:39], v[36:37]
	s_waitcnt lgkmcnt(8)
	v_mul_f64 v[98:99], v[44:45], v[52:53]
	v_mul_f64 v[100:101], v[42:43], v[52:53]
	s_waitcnt lgkmcnt(7)
	v_mul_f64 v[102:103], v[44:45], v[56:57]
	v_mul_f64 v[104:105], v[42:43], v[56:57]
	;; [unrolled: 1-line block ×6, first 2 shown]
	s_waitcnt lgkmcnt(3)
	v_mul_f64 v[112:113], v[58:59], v[72:73]
	s_waitcnt lgkmcnt(2)
	v_mul_f64 v[114:115], v[76:77], v[68:69]
	v_mul_f64 v[116:117], v[76:77], v[72:73]
	v_fma_f64 v[86:87], v[26:27], v[30:31], -v[86:87]
	v_fma_f64 v[88:89], v[28:29], v[30:31], v[88:89]
	v_fma_f64 v[90:91], v[26:27], v[34:35], -v[90:91]
	v_fma_f64 v[92:93], v[28:29], v[34:35], v[92:93]
	;; [unrolled: 2-line block ×4, first 2 shown]
	v_mul_f64 v[36:37], v[60:61], v[68:69]
	v_mul_f64 v[40:41], v[58:59], v[68:69]
	;; [unrolled: 1-line block ×5, first 2 shown]
	v_fma_f64 v[98:99], v[42:43], v[50:51], -v[98:99]
	v_fma_f64 v[100:101], v[44:45], v[50:51], v[100:101]
	v_fma_f64 v[42:43], v[42:43], v[54:55], -v[102:103]
	v_fma_f64 v[44:45], v[44:45], v[54:55], v[104:105]
	;; [unrolled: 2-line block ×4, first 2 shown]
	ds_load_b128 v[26:29], v22 offset:1792
	ds_load_b128 v[30:33], v22 offset:2048
	s_waitcnt lgkmcnt(2)
	v_mul_f64 v[56:57], v[64:65], v[84:85]
	v_add_f64 v[12:13], v[12:13], v[86:87]
	v_add_f64 v[14:15], v[14:15], v[88:89]
	;; [unrolled: 1-line block ×8, first 2 shown]
	v_mul_f64 v[86:87], v[62:63], v[84:85]
	s_waitcnt lgkmcnt(1)
	v_mul_f64 v[88:89], v[64:65], v[28:29]
	v_mul_f64 v[90:91], v[62:63], v[28:29]
	;; [unrolled: 1-line block ×6, first 2 shown]
	v_fma_f64 v[104:105], v[58:59], v[66:67], -v[36:37]
	v_fma_f64 v[106:107], v[60:61], v[66:67], v[40:41]
	v_fma_f64 v[58:59], v[58:59], v[70:71], -v[96:97]
	v_fma_f64 v[60:61], v[60:61], v[70:71], v[112:113]
	v_fma_f64 v[96:97], v[74:75], v[66:67], -v[114:115]
	v_fma_f64 v[66:67], v[76:77], v[66:67], v[68:69]
	v_fma_f64 v[68:69], v[74:75], v[70:71], -v[116:117]
	v_fma_f64 v[70:71], v[76:77], v[70:71], v[72:73]
	ds_load_b128 v[0:3], v22 offset:2304
	ds_load_b128 v[4:7], v23 offset:64
	v_fma_f64 v[56:57], v[62:63], v[82:83], -v[56:57]
	v_add_f64 v[72:73], v[12:13], v[98:99]
	v_add_f64 v[74:75], v[14:15], v[100:101]
	;; [unrolled: 1-line block ×8, first 2 shown]
	ds_load_b128 v[8:11], v23 offset:2112
	ds_load_b128 v[12:15], v23 offset:80
	;; [unrolled: 1-line block ×4, first 2 shown]
	s_waitcnt lgkmcnt(4)
	v_mul_f64 v[54:55], v[6:7], v[32:33]
	v_mul_f64 v[76:77], v[4:5], v[32:33]
	;; [unrolled: 1-line block ×4, first 2 shown]
	v_fma_f64 v[86:87], v[64:65], v[82:83], v[86:87]
	v_fma_f64 v[62:63], v[62:63], v[26:27], -v[88:89]
	v_fma_f64 v[64:65], v[64:65], v[26:27], v[90:91]
	v_fma_f64 v[88:89], v[78:79], v[82:83], -v[92:93]
	v_fma_f64 v[82:83], v[80:81], v[82:83], v[84:85]
	v_fma_f64 v[78:79], v[78:79], v[26:27], -v[94:95]
	v_fma_f64 v[80:81], v[80:81], v[26:27], v[28:29]
	s_waitcnt lgkmcnt(3)
	v_mul_f64 v[102:103], v[10:11], v[32:33]
	v_mul_f64 v[32:33], v[8:9], v[32:33]
	;; [unrolled: 1-line block ×4, first 2 shown]
	s_waitcnt lgkmcnt(0)
	v_mul_f64 v[90:91], v[14:15], v[40:41]
	v_mul_f64 v[92:93], v[12:13], v[40:41]
	v_add_f64 v[72:73], v[72:73], v[104:105]
	v_add_f64 v[74:75], v[74:75], v[106:107]
	;; [unrolled: 1-line block ×8, first 2 shown]
	ds_load_b128 v[26:29], v22 offset:2816
	ds_load_b128 v[42:45], v22 offset:3072
	;; [unrolled: 1-line block ×4, first 2 shown]
	v_mul_f64 v[104:105], v[36:37], v[40:41]
	v_mul_f64 v[40:41], v[34:35], v[40:41]
	v_fma_f64 v[54:55], v[4:5], v[30:31], -v[54:55]
	v_fma_f64 v[76:77], v[6:7], v[30:31], v[76:77]
	v_fma_f64 v[98:99], v[4:5], v[0:1], -v[98:99]
	v_fma_f64 v[100:101], v[6:7], v[0:1], v[100:101]
	s_waitcnt lgkmcnt(3)
	v_mul_f64 v[94:95], v[14:15], v[28:29]
	v_mul_f64 v[96:97], v[12:13], v[28:29]
	;; [unrolled: 1-line block ×4, first 2 shown]
	v_fma_f64 v[102:103], v[8:9], v[30:31], -v[102:103]
	v_fma_f64 v[32:33], v[10:11], v[30:31], v[32:33]
	v_fma_f64 v[108:109], v[8:9], v[0:1], -v[108:109]
	v_fma_f64 v[112:113], v[10:11], v[0:1], v[2:3]
	ds_load_b128 v[0:3], v23 offset:2144
	ds_load_b128 v[4:7], v23 offset:112
	;; [unrolled: 1-line block ×4, first 2 shown]
	v_add_f64 v[56:57], v[72:73], v[56:57]
	v_add_f64 v[72:73], v[74:75], v[86:87]
	;; [unrolled: 1-line block ×8, first 2 shown]
	s_waitcnt lgkmcnt(4)
	v_mul_f64 v[70:71], v[52:53], v[44:45]
	v_mul_f64 v[74:75], v[50:51], v[44:45]
	;; [unrolled: 1-line block ×4, first 2 shown]
	s_waitcnt lgkmcnt(3)
	v_mul_f64 v[82:83], v[2:3], v[44:45]
	v_mul_f64 v[44:45], v[0:1], v[44:45]
	;; [unrolled: 1-line block ×4, first 2 shown]
	v_fma_f64 v[86:87], v[12:13], v[38:39], -v[90:91]
	v_fma_f64 v[88:89], v[14:15], v[38:39], v[92:93]
	v_fma_f64 v[90:91], v[12:13], v[26:27], -v[94:95]
	v_fma_f64 v[92:93], v[14:15], v[26:27], v[96:97]
	;; [unrolled: 2-line block ×4, first 2 shown]
	ds_load_b128 v[12:15], v22 offset:3840
	s_waitcnt lgkmcnt(0)
	s_barrier
	buffer_gl0_inv
	v_add_f64 v[36:37], v[56:57], v[54:55]
	v_add_f64 v[40:41], v[72:73], v[76:77]
	;; [unrolled: 1-line block ×8, first 2 shown]
	v_mul_f64 v[64:65], v[6:7], v[30:31]
	v_mul_f64 v[66:67], v[4:5], v[30:31]
	;; [unrolled: 1-line block ×4, first 2 shown]
	v_fma_f64 v[70:71], v[50:51], v[42:43], -v[70:71]
	v_mul_f64 v[68:69], v[6:7], v[14:15]
	v_mul_f64 v[72:73], v[4:5], v[14:15]
	;; [unrolled: 1-line block ×4, first 2 shown]
	v_fma_f64 v[74:75], v[52:53], v[42:43], v[74:75]
	v_fma_f64 v[50:51], v[50:51], v[46:47], -v[78:79]
	v_fma_f64 v[52:53], v[52:53], v[46:47], v[80:81]
	v_fma_f64 v[78:79], v[0:1], v[42:43], -v[82:83]
	;; [unrolled: 2-line block ×3, first 2 shown]
	v_fma_f64 v[2:3], v[2:3], v[46:47], v[48:49]
	v_add_f64 v[36:37], v[36:37], v[86:87]
	v_add_f64 v[40:41], v[40:41], v[88:89]
	;; [unrolled: 1-line block ×8, first 2 shown]
	v_fma_f64 v[38:39], v[4:5], v[28:29], -v[64:65]
	v_fma_f64 v[54:55], v[6:7], v[28:29], v[66:67]
	v_fma_f64 v[56:57], v[8:9], v[28:29], -v[76:77]
	v_fma_f64 v[28:29], v[10:11], v[28:29], v[30:31]
	;; [unrolled: 2-line block ×4, first 2 shown]
	v_add_f64 v[8:9], v[36:37], v[70:71]
	v_add_f64 v[10:11], v[40:41], v[74:75]
	;; [unrolled: 1-line block ×16, first 2 shown]
	s_cbranch_scc0 .LBB712_2
.LBB712_3:
	s_load_b32 s3, s[0:1], 0x40
	v_add_nc_u32_e32 v18, s12, v21
	v_add_nc_u32_e32 v16, s6, v20
	s_delay_alu instid0(VALU_DEP_2) | instskip(NEXT) | instid1(VALU_DEP_2)
	v_cmp_gt_i32_e32 vcc_lo, s2, v18
	v_cmp_le_i32_e64 s0, v16, v18
	s_delay_alu instid0(VALU_DEP_1) | instskip(SKIP_2) | instid1(VALU_DEP_1)
	s_and_b32 s0, vcc_lo, s0
	s_waitcnt lgkmcnt(0)
	v_mad_i64_i32 v[21:22], null, v18, s3, 0
	v_lshlrev_b64 v[19:20], 4, v[21:22]
	s_delay_alu instid0(VALU_DEP_1) | instskip(NEXT) | instid1(VALU_DEP_1)
	v_add_co_u32 v19, s1, s4, v19
	v_add_co_ci_u32_e64 v20, s1, s5, v20, s1
	s_and_saveexec_b32 s1, s0
	s_cbranch_execz .LBB712_5
; %bb.4:
	v_ashrrev_i32_e32 v17, 31, v16
	s_delay_alu instid0(VALU_DEP_1) | instskip(NEXT) | instid1(VALU_DEP_1)
	v_lshlrev_b64 v[21:22], 4, v[16:17]
	v_add_co_u32 v21, s0, v19, v21
	s_delay_alu instid0(VALU_DEP_1)
	v_add_co_ci_u32_e64 v22, s0, v20, v22, s0
	global_store_b128 v[21:22], v[12:15], off
.LBB712_5:
	s_or_b32 exec_lo, exec_lo, s1
	v_add_nc_u32_e32 v12, 16, v16
	s_delay_alu instid0(VALU_DEP_1) | instskip(NEXT) | instid1(VALU_DEP_1)
	v_cmp_le_i32_e64 s0, v12, v18
	s_and_b32 s1, vcc_lo, s0
	s_delay_alu instid0(SALU_CYCLE_1)
	s_and_saveexec_b32 s0, s1
	s_cbranch_execz .LBB712_7
; %bb.6:
	v_ashrrev_i32_e32 v13, 31, v12
	s_delay_alu instid0(VALU_DEP_1) | instskip(NEXT) | instid1(VALU_DEP_1)
	v_lshlrev_b64 v[13:14], 4, v[12:13]
	v_add_co_u32 v13, vcc_lo, v19, v13
	s_delay_alu instid0(VALU_DEP_2)
	v_add_co_ci_u32_e32 v14, vcc_lo, v20, v14, vcc_lo
	global_store_b128 v[13:14], v[8:11], off
.LBB712_7:
	s_or_b32 exec_lo, exec_lo, s0
	v_add_nc_u32_e32 v10, 16, v18
	s_delay_alu instid0(VALU_DEP_1) | instskip(SKIP_2) | instid1(VALU_DEP_1)
	v_mad_i64_i32 v[8:9], null, v10, s3, 0
	v_cmp_gt_i32_e32 vcc_lo, s2, v10
	v_cmp_le_i32_e64 s0, v16, v10
	s_and_b32 s0, vcc_lo, s0
	s_delay_alu instid0(VALU_DEP_3) | instskip(NEXT) | instid1(VALU_DEP_1)
	v_lshlrev_b64 v[8:9], 4, v[8:9]
	v_add_co_u32 v8, s1, s4, v8
	s_delay_alu instid0(VALU_DEP_1)
	v_add_co_ci_u32_e64 v9, s1, s5, v9, s1
	s_and_saveexec_b32 s1, s0
	s_cbranch_execz .LBB712_9
; %bb.8:
	v_ashrrev_i32_e32 v17, 31, v16
	s_delay_alu instid0(VALU_DEP_1) | instskip(NEXT) | instid1(VALU_DEP_1)
	v_lshlrev_b64 v[13:14], 4, v[16:17]
	v_add_co_u32 v13, s0, v8, v13
	s_delay_alu instid0(VALU_DEP_1)
	v_add_co_ci_u32_e64 v14, s0, v9, v14, s0
	global_store_b128 v[13:14], v[4:7], off
.LBB712_9:
	s_or_b32 exec_lo, exec_lo, s1
	v_cmp_le_i32_e64 s0, v12, v10
	s_delay_alu instid0(VALU_DEP_1) | instskip(NEXT) | instid1(SALU_CYCLE_1)
	s_and_b32 s0, vcc_lo, s0
	s_and_saveexec_b32 s1, s0
	s_cbranch_execz .LBB712_11
; %bb.10:
	v_ashrrev_i32_e32 v13, 31, v12
	s_delay_alu instid0(VALU_DEP_1) | instskip(NEXT) | instid1(VALU_DEP_1)
	v_lshlrev_b64 v[4:5], 4, v[12:13]
	v_add_co_u32 v4, vcc_lo, v8, v4
	s_delay_alu instid0(VALU_DEP_2)
	v_add_co_ci_u32_e32 v5, vcc_lo, v9, v5, vcc_lo
	global_store_b128 v[4:5], v[0:3], off
.LBB712_11:
	s_nop 0
	s_sendmsg sendmsg(MSG_DEALLOC_VGPRS)
	s_endpgm
	.section	.rodata,"a",@progbits
	.p2align	6, 0x0
	.amdhsa_kernel _ZL37rocblas_syrkx_herkx_restricted_kernelIi19rocblas_complex_numIdELi16ELi32ELi8ELi1ELi0ELb0ELc78ELc85EKPKS1_KPS1_EviT_PT9_S7_lS9_S7_lPT10_S7_li
		.amdhsa_group_segment_fixed_size 8192
		.amdhsa_private_segment_fixed_size 0
		.amdhsa_kernarg_size 84
		.amdhsa_user_sgpr_count 13
		.amdhsa_user_sgpr_dispatch_ptr 0
		.amdhsa_user_sgpr_queue_ptr 0
		.amdhsa_user_sgpr_kernarg_segment_ptr 1
		.amdhsa_user_sgpr_dispatch_id 0
		.amdhsa_user_sgpr_private_segment_size 0
		.amdhsa_wavefront_size32 1
		.amdhsa_uses_dynamic_stack 0
		.amdhsa_enable_private_segment 0
		.amdhsa_system_sgpr_workgroup_id_x 1
		.amdhsa_system_sgpr_workgroup_id_y 1
		.amdhsa_system_sgpr_workgroup_id_z 1
		.amdhsa_system_sgpr_workgroup_info 0
		.amdhsa_system_vgpr_workitem_id 1
		.amdhsa_next_free_vgpr 118
		.amdhsa_next_free_sgpr 20
		.amdhsa_reserve_vcc 1
		.amdhsa_float_round_mode_32 0
		.amdhsa_float_round_mode_16_64 0
		.amdhsa_float_denorm_mode_32 3
		.amdhsa_float_denorm_mode_16_64 3
		.amdhsa_dx10_clamp 1
		.amdhsa_ieee_mode 1
		.amdhsa_fp16_overflow 0
		.amdhsa_workgroup_processor_mode 1
		.amdhsa_memory_ordered 1
		.amdhsa_forward_progress 0
		.amdhsa_shared_vgpr_count 0
		.amdhsa_exception_fp_ieee_invalid_op 0
		.amdhsa_exception_fp_denorm_src 0
		.amdhsa_exception_fp_ieee_div_zero 0
		.amdhsa_exception_fp_ieee_overflow 0
		.amdhsa_exception_fp_ieee_underflow 0
		.amdhsa_exception_fp_ieee_inexact 0
		.amdhsa_exception_int_div_zero 0
	.end_amdhsa_kernel
	.section	.text._ZL37rocblas_syrkx_herkx_restricted_kernelIi19rocblas_complex_numIdELi16ELi32ELi8ELi1ELi0ELb0ELc78ELc85EKPKS1_KPS1_EviT_PT9_S7_lS9_S7_lPT10_S7_li,"axG",@progbits,_ZL37rocblas_syrkx_herkx_restricted_kernelIi19rocblas_complex_numIdELi16ELi32ELi8ELi1ELi0ELb0ELc78ELc85EKPKS1_KPS1_EviT_PT9_S7_lS9_S7_lPT10_S7_li,comdat
.Lfunc_end712:
	.size	_ZL37rocblas_syrkx_herkx_restricted_kernelIi19rocblas_complex_numIdELi16ELi32ELi8ELi1ELi0ELb0ELc78ELc85EKPKS1_KPS1_EviT_PT9_S7_lS9_S7_lPT10_S7_li, .Lfunc_end712-_ZL37rocblas_syrkx_herkx_restricted_kernelIi19rocblas_complex_numIdELi16ELi32ELi8ELi1ELi0ELb0ELc78ELc85EKPKS1_KPS1_EviT_PT9_S7_lS9_S7_lPT10_S7_li
                                        ; -- End function
	.section	.AMDGPU.csdata,"",@progbits
; Kernel info:
; codeLenInByte = 2872
; NumSgprs: 22
; NumVgprs: 118
; ScratchSize: 0
; MemoryBound: 0
; FloatMode: 240
; IeeeMode: 1
; LDSByteSize: 8192 bytes/workgroup (compile time only)
; SGPRBlocks: 2
; VGPRBlocks: 14
; NumSGPRsForWavesPerEU: 22
; NumVGPRsForWavesPerEU: 118
; Occupancy: 12
; WaveLimiterHint : 1
; COMPUTE_PGM_RSRC2:SCRATCH_EN: 0
; COMPUTE_PGM_RSRC2:USER_SGPR: 13
; COMPUTE_PGM_RSRC2:TRAP_HANDLER: 0
; COMPUTE_PGM_RSRC2:TGID_X_EN: 1
; COMPUTE_PGM_RSRC2:TGID_Y_EN: 1
; COMPUTE_PGM_RSRC2:TGID_Z_EN: 1
; COMPUTE_PGM_RSRC2:TIDIG_COMP_CNT: 1
	.section	.text._ZL37rocblas_syrkx_herkx_restricted_kernelIi19rocblas_complex_numIdELi16ELi32ELi8ELin1ELi0ELb0ELc84ELc76EKPKS1_KPS1_EviT_PT9_S7_lS9_S7_lPT10_S7_li,"axG",@progbits,_ZL37rocblas_syrkx_herkx_restricted_kernelIi19rocblas_complex_numIdELi16ELi32ELi8ELin1ELi0ELb0ELc84ELc76EKPKS1_KPS1_EviT_PT9_S7_lS9_S7_lPT10_S7_li,comdat
	.globl	_ZL37rocblas_syrkx_herkx_restricted_kernelIi19rocblas_complex_numIdELi16ELi32ELi8ELin1ELi0ELb0ELc84ELc76EKPKS1_KPS1_EviT_PT9_S7_lS9_S7_lPT10_S7_li ; -- Begin function _ZL37rocblas_syrkx_herkx_restricted_kernelIi19rocblas_complex_numIdELi16ELi32ELi8ELin1ELi0ELb0ELc84ELc76EKPKS1_KPS1_EviT_PT9_S7_lS9_S7_lPT10_S7_li
	.p2align	8
	.type	_ZL37rocblas_syrkx_herkx_restricted_kernelIi19rocblas_complex_numIdELi16ELi32ELi8ELin1ELi0ELb0ELc84ELc76EKPKS1_KPS1_EviT_PT9_S7_lS9_S7_lPT10_S7_li,@function
_ZL37rocblas_syrkx_herkx_restricted_kernelIi19rocblas_complex_numIdELi16ELi32ELi8ELin1ELi0ELb0ELc84ELc76EKPKS1_KPS1_EviT_PT9_S7_lS9_S7_lPT10_S7_li: ; @_ZL37rocblas_syrkx_herkx_restricted_kernelIi19rocblas_complex_numIdELi16ELi32ELi8ELin1ELi0ELb0ELc84ELc76EKPKS1_KPS1_EviT_PT9_S7_lS9_S7_lPT10_S7_li
; %bb.0:
	s_clause 0x1
	s_load_b64 s[2:3], s[0:1], 0x38
	s_load_b64 s[4:5], s[0:1], 0x0
	s_mov_b32 s6, s15
	s_mov_b32 s7, 0
	v_mov_b32_e32 v12, 0
	s_lshl_b64 s[8:9], s[6:7], 3
	v_dual_mov_b32 v13, 0 :: v_dual_and_b32 v20, 0x3ff, v0
	v_bfe_u32 v21, v0, 10, 10
	s_delay_alu instid0(VALU_DEP_3) | instskip(NEXT) | instid1(VALU_DEP_3)
	v_mov_b32_e32 v8, v12
	v_dual_mov_b32 v10, v12 :: v_dual_mov_b32 v11, v13
	v_dual_mov_b32 v15, v13 :: v_dual_mov_b32 v14, v12
	v_dual_mov_b32 v9, v13 :: v_dual_mov_b32 v4, v12
	v_dual_mov_b32 v5, v13 :: v_dual_mov_b32 v6, v12
	v_dual_mov_b32 v7, v13 :: v_dual_mov_b32 v0, v12
	v_mov_b32_e32 v1, v13
	s_waitcnt lgkmcnt(0)
	s_add_u32 s2, s2, s8
	s_addc_u32 s3, s3, s9
	v_dual_mov_b32 v2, v12 :: v_dual_mov_b32 v3, v13
	s_load_b64 s[2:3], s[2:3], 0x0
	s_lshl_b32 s6, s13, 5
	s_lshl_b32 s10, s14, 5
	s_cmp_lt_i32 s5, 1
	s_cbranch_scc1 .LBB713_3
; %bb.1:
	s_clause 0x3
	s_load_b64 s[12:13], s[0:1], 0x8
	s_load_b64 s[14:15], s[0:1], 0x20
	s_load_b32 s11, s[0:1], 0x10
	s_load_b32 s16, s[0:1], 0x28
	v_lshl_add_u32 v4, v21, 4, v20
	v_dual_mov_b32 v1, 0 :: v_dual_and_b32 v0, 7, v20
	v_mov_b32_e32 v2, 0
	v_dual_mov_b32 v3, 0 :: v_dual_lshlrev_b32 v22, 4, v20
	s_delay_alu instid0(VALU_DEP_4)
	v_and_b32_e32 v11, 31, v4
	v_lshrrev_b32_e32 v10, 3, v4
	v_lshrrev_b32_e32 v4, 5, v4
	v_mov_b32_e32 v5, v1
	v_lshl_add_u32 v23, v21, 7, 0x1000
	v_add_nc_u32_e32 v8, s6, v11
	v_dual_mov_b32 v15, v3 :: v_dual_add_nc_u32 v12, s10, v10
	v_mov_b32_e32 v14, v2
	s_waitcnt lgkmcnt(0)
	s_add_u32 s12, s12, s8
	s_addc_u32 s13, s13, s9
	s_add_u32 s8, s14, s8
	s_load_b64 s[12:13], s[12:13], 0x0
	s_addc_u32 s9, s15, s9
	v_mad_i64_i32 v[6:7], null, s11, v8, v[4:5]
	s_load_b64 s[8:9], s[8:9], 0x0
	v_lshlrev_b32_e32 v5, 4, v0
	v_mad_i64_i32 v[8:9], null, s16, v12, v[0:1]
	v_mov_b32_e32 v0, v2
	v_lshlrev_b32_e32 v12, 4, v11
	s_delay_alu instid0(VALU_DEP_4) | instskip(SKIP_2) | instid1(VALU_DEP_4)
	v_lshl_or_b32 v5, v10, 7, v5
	v_lshlrev_b64 v[10:11], 4, v[6:7]
	v_dual_mov_b32 v7, v3 :: v_dual_mov_b32 v6, v2
	v_lshl_or_b32 v24, v4, 9, v12
	s_delay_alu instid0(VALU_DEP_4)
	v_add_nc_u32_e32 v25, 0x1000, v5
	v_lshlrev_b64 v[4:5], 4, v[8:9]
	v_mov_b32_e32 v1, v3
	v_dual_mov_b32 v13, v3 :: v_dual_mov_b32 v12, v2
	s_waitcnt lgkmcnt(0)
	v_add_co_u32 v8, vcc_lo, v10, s12
	v_add_co_ci_u32_e32 v9, vcc_lo, s13, v11, vcc_lo
	v_add_co_u32 v4, vcc_lo, v4, s8
	v_add_co_ci_u32_e32 v5, vcc_lo, s9, v5, vcc_lo
	s_delay_alu instid0(VALU_DEP_4) | instskip(NEXT) | instid1(VALU_DEP_4)
	v_add_co_u32 v16, vcc_lo, v8, 8
	v_add_co_ci_u32_e32 v17, vcc_lo, 0, v9, vcc_lo
	s_delay_alu instid0(VALU_DEP_4) | instskip(NEXT) | instid1(VALU_DEP_4)
	v_add_co_u32 v18, vcc_lo, v4, 8
	v_add_co_ci_u32_e32 v19, vcc_lo, 0, v5, vcc_lo
	v_dual_mov_b32 v5, v3 :: v_dual_mov_b32 v4, v2
	v_dual_mov_b32 v11, v3 :: v_dual_mov_b32 v10, v2
	;; [unrolled: 1-line block ×3, first 2 shown]
.LBB713_2:                              ; =>This Inner Loop Header: Depth=1
	global_load_b128 v[26:29], v[16:17], off offset:-8
	global_load_b128 v[30:33], v[18:19], off offset:-8
	v_add_co_u32 v16, vcc_lo, 0x80, v16
	v_add_co_ci_u32_e32 v17, vcc_lo, 0, v17, vcc_lo
	v_add_co_u32 v18, vcc_lo, 0x80, v18
	v_add_co_ci_u32_e32 v19, vcc_lo, 0, v19, vcc_lo
	s_add_i32 s7, s7, 8
	s_waitcnt vmcnt(1)
	ds_store_b128 v24, v[26:29]
	s_waitcnt vmcnt(0)
	ds_store_b128 v25, v[30:33]
	s_waitcnt lgkmcnt(0)
	s_barrier
	buffer_gl0_inv
	ds_load_b128 v[26:29], v23
	ds_load_b128 v[30:33], v22
	ds_load_b128 v[34:37], v22 offset:256
	ds_load_b128 v[38:41], v23 offset:2048
	;; [unrolled: 1-line block ×13, first 2 shown]
	s_cmp_ge_i32 s7, s5
	s_waitcnt lgkmcnt(13)
	v_mul_f64 v[86:87], v[28:29], v[32:33]
	v_mul_f64 v[88:89], v[26:27], v[32:33]
	s_waitcnt lgkmcnt(12)
	v_mul_f64 v[90:91], v[28:29], v[36:37]
	v_mul_f64 v[92:93], v[26:27], v[36:37]
	;; [unrolled: 3-line block ×3, first 2 shown]
	v_mul_f64 v[96:97], v[40:41], v[36:37]
	v_mul_f64 v[36:37], v[38:39], v[36:37]
	s_waitcnt lgkmcnt(8)
	v_mul_f64 v[98:99], v[44:45], v[52:53]
	v_mul_f64 v[100:101], v[42:43], v[52:53]
	s_waitcnt lgkmcnt(7)
	v_mul_f64 v[102:103], v[44:45], v[56:57]
	v_mul_f64 v[104:105], v[42:43], v[56:57]
	v_mul_f64 v[106:107], v[48:49], v[52:53]
	v_mul_f64 v[52:53], v[46:47], v[52:53]
	v_mul_f64 v[108:109], v[48:49], v[56:57]
	v_mul_f64 v[56:57], v[46:47], v[56:57]
	s_waitcnt lgkmcnt(3)
	v_mul_f64 v[112:113], v[58:59], v[72:73]
	s_waitcnt lgkmcnt(2)
	v_mul_f64 v[114:115], v[76:77], v[68:69]
	v_mul_f64 v[116:117], v[76:77], v[72:73]
	v_fma_f64 v[86:87], v[26:27], v[30:31], -v[86:87]
	v_fma_f64 v[88:89], v[28:29], v[30:31], v[88:89]
	v_fma_f64 v[90:91], v[26:27], v[34:35], -v[90:91]
	v_fma_f64 v[92:93], v[28:29], v[34:35], v[92:93]
	;; [unrolled: 2-line block ×4, first 2 shown]
	v_mul_f64 v[36:37], v[60:61], v[68:69]
	v_mul_f64 v[40:41], v[58:59], v[68:69]
	;; [unrolled: 1-line block ×5, first 2 shown]
	v_fma_f64 v[98:99], v[42:43], v[50:51], -v[98:99]
	v_fma_f64 v[100:101], v[44:45], v[50:51], v[100:101]
	v_fma_f64 v[42:43], v[42:43], v[54:55], -v[102:103]
	v_fma_f64 v[44:45], v[44:45], v[54:55], v[104:105]
	;; [unrolled: 2-line block ×4, first 2 shown]
	ds_load_b128 v[26:29], v22 offset:1792
	ds_load_b128 v[30:33], v22 offset:2048
	s_waitcnt lgkmcnt(2)
	v_mul_f64 v[56:57], v[64:65], v[84:85]
	v_add_f64 v[12:13], v[12:13], v[86:87]
	v_add_f64 v[14:15], v[14:15], v[88:89]
	;; [unrolled: 1-line block ×8, first 2 shown]
	v_mul_f64 v[86:87], v[62:63], v[84:85]
	s_waitcnt lgkmcnt(1)
	v_mul_f64 v[88:89], v[64:65], v[28:29]
	v_mul_f64 v[90:91], v[62:63], v[28:29]
	;; [unrolled: 1-line block ×6, first 2 shown]
	v_fma_f64 v[104:105], v[58:59], v[66:67], -v[36:37]
	v_fma_f64 v[106:107], v[60:61], v[66:67], v[40:41]
	v_fma_f64 v[58:59], v[58:59], v[70:71], -v[96:97]
	v_fma_f64 v[60:61], v[60:61], v[70:71], v[112:113]
	;; [unrolled: 2-line block ×4, first 2 shown]
	ds_load_b128 v[0:3], v22 offset:2304
	ds_load_b128 v[4:7], v23 offset:64
	v_fma_f64 v[56:57], v[62:63], v[82:83], -v[56:57]
	v_add_f64 v[72:73], v[12:13], v[98:99]
	v_add_f64 v[74:75], v[14:15], v[100:101]
	;; [unrolled: 1-line block ×8, first 2 shown]
	ds_load_b128 v[8:11], v23 offset:2112
	ds_load_b128 v[12:15], v23 offset:80
	;; [unrolled: 1-line block ×4, first 2 shown]
	s_waitcnt lgkmcnt(4)
	v_mul_f64 v[54:55], v[6:7], v[32:33]
	v_mul_f64 v[76:77], v[4:5], v[32:33]
	;; [unrolled: 1-line block ×4, first 2 shown]
	v_fma_f64 v[86:87], v[64:65], v[82:83], v[86:87]
	v_fma_f64 v[62:63], v[62:63], v[26:27], -v[88:89]
	v_fma_f64 v[64:65], v[64:65], v[26:27], v[90:91]
	v_fma_f64 v[88:89], v[78:79], v[82:83], -v[92:93]
	;; [unrolled: 2-line block ×3, first 2 shown]
	v_fma_f64 v[80:81], v[80:81], v[26:27], v[28:29]
	s_waitcnt lgkmcnt(3)
	v_mul_f64 v[102:103], v[10:11], v[32:33]
	v_mul_f64 v[32:33], v[8:9], v[32:33]
	;; [unrolled: 1-line block ×4, first 2 shown]
	s_waitcnt lgkmcnt(0)
	v_mul_f64 v[90:91], v[14:15], v[40:41]
	v_mul_f64 v[92:93], v[12:13], v[40:41]
	v_add_f64 v[72:73], v[72:73], v[104:105]
	v_add_f64 v[74:75], v[74:75], v[106:107]
	;; [unrolled: 1-line block ×8, first 2 shown]
	ds_load_b128 v[26:29], v22 offset:2816
	ds_load_b128 v[42:45], v22 offset:3072
	;; [unrolled: 1-line block ×4, first 2 shown]
	v_mul_f64 v[104:105], v[36:37], v[40:41]
	v_mul_f64 v[40:41], v[34:35], v[40:41]
	v_fma_f64 v[54:55], v[4:5], v[30:31], -v[54:55]
	v_fma_f64 v[76:77], v[6:7], v[30:31], v[76:77]
	v_fma_f64 v[98:99], v[4:5], v[0:1], -v[98:99]
	v_fma_f64 v[100:101], v[6:7], v[0:1], v[100:101]
	s_waitcnt lgkmcnt(3)
	v_mul_f64 v[94:95], v[14:15], v[28:29]
	v_mul_f64 v[96:97], v[12:13], v[28:29]
	;; [unrolled: 1-line block ×4, first 2 shown]
	v_fma_f64 v[102:103], v[8:9], v[30:31], -v[102:103]
	v_fma_f64 v[32:33], v[10:11], v[30:31], v[32:33]
	v_fma_f64 v[108:109], v[8:9], v[0:1], -v[108:109]
	v_fma_f64 v[112:113], v[10:11], v[0:1], v[2:3]
	ds_load_b128 v[0:3], v23 offset:2144
	ds_load_b128 v[4:7], v23 offset:112
	ds_load_b128 v[8:11], v23 offset:2160
	ds_load_b128 v[28:31], v22 offset:3584
	v_add_f64 v[56:57], v[72:73], v[56:57]
	v_add_f64 v[72:73], v[74:75], v[86:87]
	;; [unrolled: 1-line block ×8, first 2 shown]
	s_waitcnt lgkmcnt(4)
	v_mul_f64 v[70:71], v[52:53], v[44:45]
	v_mul_f64 v[74:75], v[50:51], v[44:45]
	v_mul_f64 v[78:79], v[52:53], v[48:49]
	v_mul_f64 v[80:81], v[50:51], v[48:49]
	s_waitcnt lgkmcnt(3)
	v_mul_f64 v[82:83], v[2:3], v[44:45]
	v_mul_f64 v[44:45], v[0:1], v[44:45]
	v_mul_f64 v[84:85], v[2:3], v[48:49]
	v_mul_f64 v[48:49], v[0:1], v[48:49]
	v_fma_f64 v[86:87], v[12:13], v[38:39], -v[90:91]
	v_fma_f64 v[88:89], v[14:15], v[38:39], v[92:93]
	v_fma_f64 v[90:91], v[12:13], v[26:27], -v[94:95]
	v_fma_f64 v[92:93], v[14:15], v[26:27], v[96:97]
	;; [unrolled: 2-line block ×4, first 2 shown]
	ds_load_b128 v[12:15], v22 offset:3840
	s_waitcnt lgkmcnt(0)
	s_barrier
	buffer_gl0_inv
	v_add_f64 v[36:37], v[56:57], v[54:55]
	v_add_f64 v[40:41], v[72:73], v[76:77]
	;; [unrolled: 1-line block ×8, first 2 shown]
	v_mul_f64 v[64:65], v[6:7], v[30:31]
	v_mul_f64 v[66:67], v[4:5], v[30:31]
	;; [unrolled: 1-line block ×4, first 2 shown]
	v_fma_f64 v[70:71], v[50:51], v[42:43], -v[70:71]
	v_mul_f64 v[68:69], v[6:7], v[14:15]
	v_mul_f64 v[72:73], v[4:5], v[14:15]
	;; [unrolled: 1-line block ×4, first 2 shown]
	v_fma_f64 v[74:75], v[52:53], v[42:43], v[74:75]
	v_fma_f64 v[50:51], v[50:51], v[46:47], -v[78:79]
	v_fma_f64 v[52:53], v[52:53], v[46:47], v[80:81]
	v_fma_f64 v[78:79], v[0:1], v[42:43], -v[82:83]
	;; [unrolled: 2-line block ×3, first 2 shown]
	v_fma_f64 v[2:3], v[2:3], v[46:47], v[48:49]
	v_add_f64 v[36:37], v[36:37], v[86:87]
	v_add_f64 v[40:41], v[40:41], v[88:89]
	;; [unrolled: 1-line block ×8, first 2 shown]
	v_fma_f64 v[38:39], v[4:5], v[28:29], -v[64:65]
	v_fma_f64 v[54:55], v[6:7], v[28:29], v[66:67]
	v_fma_f64 v[56:57], v[8:9], v[28:29], -v[76:77]
	v_fma_f64 v[28:29], v[10:11], v[28:29], v[30:31]
	;; [unrolled: 2-line block ×4, first 2 shown]
	v_add_f64 v[8:9], v[36:37], v[70:71]
	v_add_f64 v[10:11], v[40:41], v[74:75]
	;; [unrolled: 1-line block ×16, first 2 shown]
	s_cbranch_scc0 .LBB713_2
.LBB713_3:
	s_load_b32 s5, s[0:1], 0x40
	v_add_nc_u32_e32 v18, s10, v21
	v_add_nc_u32_e32 v16, s6, v20
	s_delay_alu instid0(VALU_DEP_1) | instskip(SKIP_1) | instid1(VALU_DEP_2)
	v_cmp_le_i32_e64 s0, v18, v16
	v_cmp_gt_i32_e32 vcc_lo, s4, v16
	s_and_b32 s0, s0, vcc_lo
	s_waitcnt lgkmcnt(0)
	v_mad_i64_i32 v[21:22], null, v18, s5, 0
	s_delay_alu instid0(VALU_DEP_1) | instskip(NEXT) | instid1(VALU_DEP_1)
	v_lshlrev_b64 v[19:20], 4, v[21:22]
	v_add_co_u32 v19, s1, s2, v19
	s_delay_alu instid0(VALU_DEP_1)
	v_add_co_ci_u32_e64 v20, s1, s3, v20, s1
	s_and_saveexec_b32 s1, s0
	s_cbranch_execz .LBB713_5
; %bb.4:
	v_ashrrev_i32_e32 v17, 31, v16
	v_xor_b32_e32 v13, 0x80000000, v13
	v_xor_b32_e32 v15, 0x80000000, v15
	s_delay_alu instid0(VALU_DEP_3) | instskip(NEXT) | instid1(VALU_DEP_1)
	v_lshlrev_b64 v[21:22], 4, v[16:17]
	v_add_co_u32 v21, s0, v19, v21
	s_delay_alu instid0(VALU_DEP_1)
	v_add_co_ci_u32_e64 v22, s0, v20, v22, s0
	global_store_b128 v[21:22], v[12:15], off
.LBB713_5:
	s_or_b32 exec_lo, exec_lo, s1
	v_add_nc_u32_e32 v12, 16, v16
	s_delay_alu instid0(VALU_DEP_1) | instskip(SKIP_1) | instid1(VALU_DEP_1)
	v_cmp_le_i32_e64 s1, v18, v12
	v_cmp_gt_i32_e64 s0, s4, v12
	s_and_b32 s1, s1, s0
	s_delay_alu instid0(SALU_CYCLE_1)
	s_and_saveexec_b32 s4, s1
	s_cbranch_execz .LBB713_7
; %bb.6:
	v_ashrrev_i32_e32 v13, 31, v12
	v_xor_b32_e32 v9, 0x80000000, v9
	v_xor_b32_e32 v11, 0x80000000, v11
	s_delay_alu instid0(VALU_DEP_3) | instskip(NEXT) | instid1(VALU_DEP_1)
	v_lshlrev_b64 v[13:14], 4, v[12:13]
	v_add_co_u32 v13, s1, v19, v13
	s_delay_alu instid0(VALU_DEP_1)
	v_add_co_ci_u32_e64 v14, s1, v20, v14, s1
	global_store_b128 v[13:14], v[8:11], off
.LBB713_7:
	s_or_b32 exec_lo, exec_lo, s4
	v_add_nc_u32_e32 v10, 16, v18
	s_delay_alu instid0(VALU_DEP_1) | instskip(SKIP_1) | instid1(VALU_DEP_2)
	v_mad_i64_i32 v[8:9], null, v10, s5, 0
	v_cmp_le_i32_e64 s1, v10, v16
	v_lshlrev_b64 v[8:9], 4, v[8:9]
	s_delay_alu instid0(VALU_DEP_1) | instskip(NEXT) | instid1(VALU_DEP_1)
	v_add_co_u32 v8, s2, s2, v8
	v_add_co_ci_u32_e64 v9, s2, s3, v9, s2
	s_delay_alu instid0(VALU_DEP_4) | instskip(NEXT) | instid1(SALU_CYCLE_1)
	s_and_b32 s2, s1, vcc_lo
	s_and_saveexec_b32 s1, s2
	s_cbranch_execz .LBB713_9
; %bb.8:
	v_ashrrev_i32_e32 v17, 31, v16
	v_xor_b32_e32 v5, 0x80000000, v5
	v_xor_b32_e32 v7, 0x80000000, v7
	s_delay_alu instid0(VALU_DEP_3) | instskip(NEXT) | instid1(VALU_DEP_1)
	v_lshlrev_b64 v[13:14], 4, v[16:17]
	v_add_co_u32 v13, vcc_lo, v8, v13
	s_delay_alu instid0(VALU_DEP_2)
	v_add_co_ci_u32_e32 v14, vcc_lo, v9, v14, vcc_lo
	global_store_b128 v[13:14], v[4:7], off
.LBB713_9:
	s_or_b32 exec_lo, exec_lo, s1
	v_cmp_le_i32_e32 vcc_lo, v10, v12
	s_and_b32 s0, vcc_lo, s0
	s_delay_alu instid0(SALU_CYCLE_1)
	s_and_saveexec_b32 s1, s0
	s_cbranch_execz .LBB713_11
; %bb.10:
	v_ashrrev_i32_e32 v13, 31, v12
	v_xor_b32_e32 v1, 0x80000000, v1
	v_xor_b32_e32 v3, 0x80000000, v3
	s_delay_alu instid0(VALU_DEP_3) | instskip(NEXT) | instid1(VALU_DEP_1)
	v_lshlrev_b64 v[4:5], 4, v[12:13]
	v_add_co_u32 v4, vcc_lo, v8, v4
	s_delay_alu instid0(VALU_DEP_2)
	v_add_co_ci_u32_e32 v5, vcc_lo, v9, v5, vcc_lo
	global_store_b128 v[4:5], v[0:3], off
.LBB713_11:
	s_nop 0
	s_sendmsg sendmsg(MSG_DEALLOC_VGPRS)
	s_endpgm
	.section	.rodata,"a",@progbits
	.p2align	6, 0x0
	.amdhsa_kernel _ZL37rocblas_syrkx_herkx_restricted_kernelIi19rocblas_complex_numIdELi16ELi32ELi8ELin1ELi0ELb0ELc84ELc76EKPKS1_KPS1_EviT_PT9_S7_lS9_S7_lPT10_S7_li
		.amdhsa_group_segment_fixed_size 8192
		.amdhsa_private_segment_fixed_size 0
		.amdhsa_kernarg_size 84
		.amdhsa_user_sgpr_count 13
		.amdhsa_user_sgpr_dispatch_ptr 0
		.amdhsa_user_sgpr_queue_ptr 0
		.amdhsa_user_sgpr_kernarg_segment_ptr 1
		.amdhsa_user_sgpr_dispatch_id 0
		.amdhsa_user_sgpr_private_segment_size 0
		.amdhsa_wavefront_size32 1
		.amdhsa_uses_dynamic_stack 0
		.amdhsa_enable_private_segment 0
		.amdhsa_system_sgpr_workgroup_id_x 1
		.amdhsa_system_sgpr_workgroup_id_y 1
		.amdhsa_system_sgpr_workgroup_id_z 1
		.amdhsa_system_sgpr_workgroup_info 0
		.amdhsa_system_vgpr_workitem_id 1
		.amdhsa_next_free_vgpr 118
		.amdhsa_next_free_sgpr 17
		.amdhsa_reserve_vcc 1
		.amdhsa_float_round_mode_32 0
		.amdhsa_float_round_mode_16_64 0
		.amdhsa_float_denorm_mode_32 3
		.amdhsa_float_denorm_mode_16_64 3
		.amdhsa_dx10_clamp 1
		.amdhsa_ieee_mode 1
		.amdhsa_fp16_overflow 0
		.amdhsa_workgroup_processor_mode 1
		.amdhsa_memory_ordered 1
		.amdhsa_forward_progress 0
		.amdhsa_shared_vgpr_count 0
		.amdhsa_exception_fp_ieee_invalid_op 0
		.amdhsa_exception_fp_denorm_src 0
		.amdhsa_exception_fp_ieee_div_zero 0
		.amdhsa_exception_fp_ieee_overflow 0
		.amdhsa_exception_fp_ieee_underflow 0
		.amdhsa_exception_fp_ieee_inexact 0
		.amdhsa_exception_int_div_zero 0
	.end_amdhsa_kernel
	.section	.text._ZL37rocblas_syrkx_herkx_restricted_kernelIi19rocblas_complex_numIdELi16ELi32ELi8ELin1ELi0ELb0ELc84ELc76EKPKS1_KPS1_EviT_PT9_S7_lS9_S7_lPT10_S7_li,"axG",@progbits,_ZL37rocblas_syrkx_herkx_restricted_kernelIi19rocblas_complex_numIdELi16ELi32ELi8ELin1ELi0ELb0ELc84ELc76EKPKS1_KPS1_EviT_PT9_S7_lS9_S7_lPT10_S7_li,comdat
.Lfunc_end713:
	.size	_ZL37rocblas_syrkx_herkx_restricted_kernelIi19rocblas_complex_numIdELi16ELi32ELi8ELin1ELi0ELb0ELc84ELc76EKPKS1_KPS1_EviT_PT9_S7_lS9_S7_lPT10_S7_li, .Lfunc_end713-_ZL37rocblas_syrkx_herkx_restricted_kernelIi19rocblas_complex_numIdELi16ELi32ELi8ELin1ELi0ELb0ELc84ELc76EKPKS1_KPS1_EviT_PT9_S7_lS9_S7_lPT10_S7_li
                                        ; -- End function
	.section	.AMDGPU.csdata,"",@progbits
; Kernel info:
; codeLenInByte = 2920
; NumSgprs: 19
; NumVgprs: 118
; ScratchSize: 0
; MemoryBound: 0
; FloatMode: 240
; IeeeMode: 1
; LDSByteSize: 8192 bytes/workgroup (compile time only)
; SGPRBlocks: 2
; VGPRBlocks: 14
; NumSGPRsForWavesPerEU: 19
; NumVGPRsForWavesPerEU: 118
; Occupancy: 12
; WaveLimiterHint : 1
; COMPUTE_PGM_RSRC2:SCRATCH_EN: 0
; COMPUTE_PGM_RSRC2:USER_SGPR: 13
; COMPUTE_PGM_RSRC2:TRAP_HANDLER: 0
; COMPUTE_PGM_RSRC2:TGID_X_EN: 1
; COMPUTE_PGM_RSRC2:TGID_Y_EN: 1
; COMPUTE_PGM_RSRC2:TGID_Z_EN: 1
; COMPUTE_PGM_RSRC2:TIDIG_COMP_CNT: 1
	.section	.text._ZL37rocblas_syrkx_herkx_restricted_kernelIi19rocblas_complex_numIdELi16ELi32ELi8ELin1ELi0ELb0ELc67ELc76EKPKS1_KPS1_EviT_PT9_S7_lS9_S7_lPT10_S7_li,"axG",@progbits,_ZL37rocblas_syrkx_herkx_restricted_kernelIi19rocblas_complex_numIdELi16ELi32ELi8ELin1ELi0ELb0ELc67ELc76EKPKS1_KPS1_EviT_PT9_S7_lS9_S7_lPT10_S7_li,comdat
	.globl	_ZL37rocblas_syrkx_herkx_restricted_kernelIi19rocblas_complex_numIdELi16ELi32ELi8ELin1ELi0ELb0ELc67ELc76EKPKS1_KPS1_EviT_PT9_S7_lS9_S7_lPT10_S7_li ; -- Begin function _ZL37rocblas_syrkx_herkx_restricted_kernelIi19rocblas_complex_numIdELi16ELi32ELi8ELin1ELi0ELb0ELc67ELc76EKPKS1_KPS1_EviT_PT9_S7_lS9_S7_lPT10_S7_li
	.p2align	8
	.type	_ZL37rocblas_syrkx_herkx_restricted_kernelIi19rocblas_complex_numIdELi16ELi32ELi8ELin1ELi0ELb0ELc67ELc76EKPKS1_KPS1_EviT_PT9_S7_lS9_S7_lPT10_S7_li,@function
_ZL37rocblas_syrkx_herkx_restricted_kernelIi19rocblas_complex_numIdELi16ELi32ELi8ELin1ELi0ELb0ELc67ELc76EKPKS1_KPS1_EviT_PT9_S7_lS9_S7_lPT10_S7_li: ; @_ZL37rocblas_syrkx_herkx_restricted_kernelIi19rocblas_complex_numIdELi16ELi32ELi8ELin1ELi0ELb0ELc67ELc76EKPKS1_KPS1_EviT_PT9_S7_lS9_S7_lPT10_S7_li
; %bb.0:
	s_clause 0x1
	s_load_b64 s[2:3], s[0:1], 0x38
	s_load_b64 s[4:5], s[0:1], 0x0
	s_mov_b32 s6, s15
	s_mov_b32 s7, 0
	v_mov_b32_e32 v12, 0
	s_lshl_b64 s[8:9], s[6:7], 3
	v_dual_mov_b32 v13, 0 :: v_dual_and_b32 v20, 0x3ff, v0
	v_bfe_u32 v21, v0, 10, 10
	s_delay_alu instid0(VALU_DEP_3) | instskip(NEXT) | instid1(VALU_DEP_3)
	v_mov_b32_e32 v8, v12
	v_dual_mov_b32 v10, v12 :: v_dual_mov_b32 v11, v13
	v_dual_mov_b32 v15, v13 :: v_dual_mov_b32 v14, v12
	;; [unrolled: 1-line block ×5, first 2 shown]
	v_mov_b32_e32 v1, v13
	s_waitcnt lgkmcnt(0)
	s_add_u32 s2, s2, s8
	s_addc_u32 s3, s3, s9
	v_dual_mov_b32 v2, v12 :: v_dual_mov_b32 v3, v13
	s_load_b64 s[2:3], s[2:3], 0x0
	s_lshl_b32 s6, s13, 5
	s_lshl_b32 s10, s14, 5
	s_cmp_lt_i32 s5, 1
	s_cbranch_scc1 .LBB714_3
; %bb.1:
	s_clause 0x3
	s_load_b64 s[12:13], s[0:1], 0x8
	s_load_b64 s[14:15], s[0:1], 0x20
	s_load_b32 s11, s[0:1], 0x10
	s_load_b32 s16, s[0:1], 0x28
	v_lshl_add_u32 v4, v21, 4, v20
	v_dual_mov_b32 v1, 0 :: v_dual_and_b32 v0, 7, v20
	v_mov_b32_e32 v2, 0
	v_dual_mov_b32 v3, 0 :: v_dual_lshlrev_b32 v22, 4, v20
	s_delay_alu instid0(VALU_DEP_4)
	v_and_b32_e32 v11, 31, v4
	v_lshrrev_b32_e32 v10, 3, v4
	v_lshrrev_b32_e32 v4, 5, v4
	v_mov_b32_e32 v5, v1
	v_lshl_add_u32 v23, v21, 7, 0x1000
	v_add_nc_u32_e32 v8, s6, v11
	v_dual_mov_b32 v15, v3 :: v_dual_add_nc_u32 v12, s10, v10
	v_mov_b32_e32 v14, v2
	s_waitcnt lgkmcnt(0)
	s_add_u32 s12, s12, s8
	s_addc_u32 s13, s13, s9
	s_add_u32 s8, s14, s8
	s_load_b64 s[12:13], s[12:13], 0x0
	s_addc_u32 s9, s15, s9
	v_mad_i64_i32 v[6:7], null, s11, v8, v[4:5]
	s_load_b64 s[8:9], s[8:9], 0x0
	v_lshlrev_b32_e32 v5, 4, v0
	v_mad_i64_i32 v[8:9], null, s16, v12, v[0:1]
	v_mov_b32_e32 v0, v2
	v_lshlrev_b32_e32 v12, 4, v11
	s_delay_alu instid0(VALU_DEP_4) | instskip(SKIP_2) | instid1(VALU_DEP_4)
	v_lshl_or_b32 v5, v10, 7, v5
	v_lshlrev_b64 v[10:11], 4, v[6:7]
	v_dual_mov_b32 v7, v3 :: v_dual_mov_b32 v6, v2
	v_lshl_or_b32 v24, v4, 9, v12
	s_delay_alu instid0(VALU_DEP_4)
	v_add_nc_u32_e32 v25, 0x1000, v5
	v_lshlrev_b64 v[4:5], 4, v[8:9]
	v_mov_b32_e32 v1, v3
	v_dual_mov_b32 v13, v3 :: v_dual_mov_b32 v12, v2
	s_waitcnt lgkmcnt(0)
	v_add_co_u32 v8, vcc_lo, v10, s12
	v_add_co_ci_u32_e32 v9, vcc_lo, s13, v11, vcc_lo
	v_add_co_u32 v4, vcc_lo, v4, s8
	v_add_co_ci_u32_e32 v5, vcc_lo, s9, v5, vcc_lo
	s_delay_alu instid0(VALU_DEP_4) | instskip(NEXT) | instid1(VALU_DEP_4)
	v_add_co_u32 v16, vcc_lo, v8, 8
	v_add_co_ci_u32_e32 v17, vcc_lo, 0, v9, vcc_lo
	s_delay_alu instid0(VALU_DEP_4) | instskip(NEXT) | instid1(VALU_DEP_4)
	v_add_co_u32 v18, vcc_lo, v4, 8
	v_add_co_ci_u32_e32 v19, vcc_lo, 0, v5, vcc_lo
	v_dual_mov_b32 v5, v3 :: v_dual_mov_b32 v4, v2
	v_dual_mov_b32 v11, v3 :: v_dual_mov_b32 v10, v2
	;; [unrolled: 1-line block ×3, first 2 shown]
.LBB714_2:                              ; =>This Inner Loop Header: Depth=1
	global_load_b128 v[26:29], v[16:17], off offset:-8
	global_load_b128 v[30:33], v[18:19], off offset:-8
	v_add_co_u32 v16, vcc_lo, 0x80, v16
	v_add_co_ci_u32_e32 v17, vcc_lo, 0, v17, vcc_lo
	v_add_co_u32 v18, vcc_lo, 0x80, v18
	v_add_co_ci_u32_e32 v19, vcc_lo, 0, v19, vcc_lo
	s_add_i32 s7, s7, 8
	s_waitcnt vmcnt(1)
	ds_store_b128 v24, v[26:29]
	s_waitcnt vmcnt(0)
	ds_store_b128 v25, v[30:33]
	s_waitcnt lgkmcnt(0)
	s_barrier
	buffer_gl0_inv
	ds_load_b128 v[26:29], v23
	ds_load_b128 v[30:33], v22
	ds_load_b128 v[34:37], v22 offset:256
	ds_load_b128 v[38:41], v23 offset:2048
	;; [unrolled: 1-line block ×13, first 2 shown]
	s_cmp_ge_i32 s7, s5
	s_waitcnt lgkmcnt(13)
	v_mul_f64 v[86:87], v[28:29], v[32:33]
	v_mul_f64 v[88:89], v[26:27], v[32:33]
	s_waitcnt lgkmcnt(12)
	v_mul_f64 v[90:91], v[28:29], v[36:37]
	v_mul_f64 v[92:93], v[26:27], v[36:37]
	;; [unrolled: 3-line block ×3, first 2 shown]
	v_mul_f64 v[96:97], v[40:41], v[36:37]
	v_mul_f64 v[36:37], v[38:39], v[36:37]
	s_waitcnt lgkmcnt(8)
	v_mul_f64 v[98:99], v[44:45], v[52:53]
	v_mul_f64 v[100:101], v[42:43], v[52:53]
	s_waitcnt lgkmcnt(7)
	v_mul_f64 v[102:103], v[44:45], v[56:57]
	v_mul_f64 v[104:105], v[42:43], v[56:57]
	;; [unrolled: 1-line block ×6, first 2 shown]
	s_waitcnt lgkmcnt(3)
	v_mul_f64 v[112:113], v[58:59], v[72:73]
	s_waitcnt lgkmcnt(2)
	v_mul_f64 v[114:115], v[76:77], v[68:69]
	v_mul_f64 v[116:117], v[76:77], v[72:73]
	v_fma_f64 v[86:87], v[26:27], v[30:31], -v[86:87]
	v_fma_f64 v[88:89], v[28:29], v[30:31], v[88:89]
	v_fma_f64 v[90:91], v[26:27], v[34:35], -v[90:91]
	v_fma_f64 v[92:93], v[28:29], v[34:35], v[92:93]
	;; [unrolled: 2-line block ×4, first 2 shown]
	v_mul_f64 v[36:37], v[60:61], v[68:69]
	v_mul_f64 v[40:41], v[58:59], v[68:69]
	v_mul_f64 v[96:97], v[60:61], v[72:73]
	v_mul_f64 v[68:69], v[74:75], v[68:69]
	v_mul_f64 v[72:73], v[74:75], v[72:73]
	v_fma_f64 v[98:99], v[42:43], v[50:51], -v[98:99]
	v_fma_f64 v[100:101], v[44:45], v[50:51], v[100:101]
	v_fma_f64 v[42:43], v[42:43], v[54:55], -v[102:103]
	v_fma_f64 v[44:45], v[44:45], v[54:55], v[104:105]
	;; [unrolled: 2-line block ×4, first 2 shown]
	ds_load_b128 v[26:29], v22 offset:1792
	ds_load_b128 v[30:33], v22 offset:2048
	s_waitcnt lgkmcnt(2)
	v_mul_f64 v[56:57], v[64:65], v[84:85]
	v_add_f64 v[12:13], v[12:13], v[86:87]
	v_add_f64 v[14:15], v[14:15], v[88:89]
	;; [unrolled: 1-line block ×8, first 2 shown]
	v_mul_f64 v[86:87], v[62:63], v[84:85]
	s_waitcnt lgkmcnt(1)
	v_mul_f64 v[88:89], v[64:65], v[28:29]
	v_mul_f64 v[90:91], v[62:63], v[28:29]
	;; [unrolled: 1-line block ×6, first 2 shown]
	v_fma_f64 v[104:105], v[58:59], v[66:67], -v[36:37]
	v_fma_f64 v[106:107], v[60:61], v[66:67], v[40:41]
	v_fma_f64 v[58:59], v[58:59], v[70:71], -v[96:97]
	v_fma_f64 v[60:61], v[60:61], v[70:71], v[112:113]
	;; [unrolled: 2-line block ×4, first 2 shown]
	ds_load_b128 v[0:3], v22 offset:2304
	ds_load_b128 v[4:7], v23 offset:64
	v_fma_f64 v[56:57], v[62:63], v[82:83], -v[56:57]
	v_add_f64 v[72:73], v[12:13], v[98:99]
	v_add_f64 v[74:75], v[14:15], v[100:101]
	v_add_f64 v[42:43], v[8:9], v[42:43]
	v_add_f64 v[44:45], v[10:11], v[44:45]
	v_add_f64 v[52:53], v[52:53], v[102:103]
	v_add_f64 v[50:51], v[54:55], v[50:51]
	v_add_f64 v[46:47], v[38:39], v[46:47]
	v_add_f64 v[48:49], v[34:35], v[48:49]
	ds_load_b128 v[8:11], v23 offset:2112
	ds_load_b128 v[12:15], v23 offset:80
	;; [unrolled: 1-line block ×4, first 2 shown]
	s_waitcnt lgkmcnt(4)
	v_mul_f64 v[54:55], v[6:7], v[32:33]
	v_mul_f64 v[76:77], v[4:5], v[32:33]
	;; [unrolled: 1-line block ×4, first 2 shown]
	v_fma_f64 v[86:87], v[64:65], v[82:83], v[86:87]
	v_fma_f64 v[62:63], v[62:63], v[26:27], -v[88:89]
	v_fma_f64 v[64:65], v[64:65], v[26:27], v[90:91]
	v_fma_f64 v[88:89], v[78:79], v[82:83], -v[92:93]
	;; [unrolled: 2-line block ×3, first 2 shown]
	v_fma_f64 v[80:81], v[80:81], v[26:27], v[28:29]
	s_waitcnt lgkmcnt(3)
	v_mul_f64 v[102:103], v[10:11], v[32:33]
	v_mul_f64 v[32:33], v[8:9], v[32:33]
	;; [unrolled: 1-line block ×4, first 2 shown]
	s_waitcnt lgkmcnt(0)
	v_mul_f64 v[90:91], v[14:15], v[40:41]
	v_mul_f64 v[92:93], v[12:13], v[40:41]
	v_add_f64 v[72:73], v[72:73], v[104:105]
	v_add_f64 v[74:75], v[74:75], v[106:107]
	;; [unrolled: 1-line block ×8, first 2 shown]
	ds_load_b128 v[26:29], v22 offset:2816
	ds_load_b128 v[42:45], v22 offset:3072
	;; [unrolled: 1-line block ×4, first 2 shown]
	v_mul_f64 v[104:105], v[36:37], v[40:41]
	v_mul_f64 v[40:41], v[34:35], v[40:41]
	v_fma_f64 v[54:55], v[4:5], v[30:31], -v[54:55]
	v_fma_f64 v[76:77], v[6:7], v[30:31], v[76:77]
	v_fma_f64 v[98:99], v[4:5], v[0:1], -v[98:99]
	v_fma_f64 v[100:101], v[6:7], v[0:1], v[100:101]
	s_waitcnt lgkmcnt(3)
	v_mul_f64 v[94:95], v[14:15], v[28:29]
	v_mul_f64 v[96:97], v[12:13], v[28:29]
	;; [unrolled: 1-line block ×4, first 2 shown]
	v_fma_f64 v[102:103], v[8:9], v[30:31], -v[102:103]
	v_fma_f64 v[32:33], v[10:11], v[30:31], v[32:33]
	v_fma_f64 v[108:109], v[8:9], v[0:1], -v[108:109]
	v_fma_f64 v[112:113], v[10:11], v[0:1], v[2:3]
	ds_load_b128 v[0:3], v23 offset:2144
	ds_load_b128 v[4:7], v23 offset:112
	;; [unrolled: 1-line block ×4, first 2 shown]
	v_add_f64 v[56:57], v[72:73], v[56:57]
	v_add_f64 v[72:73], v[74:75], v[86:87]
	;; [unrolled: 1-line block ×8, first 2 shown]
	s_waitcnt lgkmcnt(4)
	v_mul_f64 v[70:71], v[52:53], v[44:45]
	v_mul_f64 v[74:75], v[50:51], v[44:45]
	;; [unrolled: 1-line block ×4, first 2 shown]
	s_waitcnt lgkmcnt(3)
	v_mul_f64 v[82:83], v[2:3], v[44:45]
	v_mul_f64 v[44:45], v[0:1], v[44:45]
	;; [unrolled: 1-line block ×4, first 2 shown]
	v_fma_f64 v[86:87], v[12:13], v[38:39], -v[90:91]
	v_fma_f64 v[88:89], v[14:15], v[38:39], v[92:93]
	v_fma_f64 v[90:91], v[12:13], v[26:27], -v[94:95]
	v_fma_f64 v[92:93], v[14:15], v[26:27], v[96:97]
	;; [unrolled: 2-line block ×4, first 2 shown]
	ds_load_b128 v[12:15], v22 offset:3840
	s_waitcnt lgkmcnt(0)
	s_barrier
	buffer_gl0_inv
	v_add_f64 v[36:37], v[56:57], v[54:55]
	v_add_f64 v[40:41], v[72:73], v[76:77]
	;; [unrolled: 1-line block ×8, first 2 shown]
	v_mul_f64 v[64:65], v[6:7], v[30:31]
	v_mul_f64 v[66:67], v[4:5], v[30:31]
	;; [unrolled: 1-line block ×4, first 2 shown]
	v_fma_f64 v[70:71], v[50:51], v[42:43], -v[70:71]
	v_mul_f64 v[68:69], v[6:7], v[14:15]
	v_mul_f64 v[72:73], v[4:5], v[14:15]
	;; [unrolled: 1-line block ×4, first 2 shown]
	v_fma_f64 v[74:75], v[52:53], v[42:43], v[74:75]
	v_fma_f64 v[50:51], v[50:51], v[46:47], -v[78:79]
	v_fma_f64 v[52:53], v[52:53], v[46:47], v[80:81]
	v_fma_f64 v[78:79], v[0:1], v[42:43], -v[82:83]
	;; [unrolled: 2-line block ×3, first 2 shown]
	v_fma_f64 v[2:3], v[2:3], v[46:47], v[48:49]
	v_add_f64 v[36:37], v[36:37], v[86:87]
	v_add_f64 v[40:41], v[40:41], v[88:89]
	;; [unrolled: 1-line block ×8, first 2 shown]
	v_fma_f64 v[38:39], v[4:5], v[28:29], -v[64:65]
	v_fma_f64 v[54:55], v[6:7], v[28:29], v[66:67]
	v_fma_f64 v[56:57], v[8:9], v[28:29], -v[76:77]
	v_fma_f64 v[28:29], v[10:11], v[28:29], v[30:31]
	;; [unrolled: 2-line block ×4, first 2 shown]
	v_add_f64 v[8:9], v[36:37], v[70:71]
	v_add_f64 v[10:11], v[40:41], v[74:75]
	v_add_f64 v[36:37], v[44:45], v[50:51]
	v_add_f64 v[40:41], v[46:47], v[52:53]
	v_add_f64 v[44:45], v[48:49], v[78:79]
	v_add_f64 v[32:33], v[32:33], v[42:43]
	v_add_f64 v[0:1], v[34:35], v[0:1]
	v_add_f64 v[2:3], v[26:27], v[2:3]
	v_add_f64 v[12:13], v[8:9], v[38:39]
	v_add_f64 v[14:15], v[10:11], v[54:55]
	v_add_f64 v[8:9], v[36:37], v[4:5]
	v_add_f64 v[10:11], v[40:41], v[6:7]
	v_add_f64 v[4:5], v[44:45], v[56:57]
	v_add_f64 v[6:7], v[32:33], v[28:29]
	v_add_f64 v[0:1], v[0:1], v[30:31]
	v_add_f64 v[2:3], v[2:3], v[58:59]
	s_cbranch_scc0 .LBB714_2
.LBB714_3:
	s_load_b32 s5, s[0:1], 0x40
	v_add_nc_u32_e32 v18, s10, v21
	v_add_nc_u32_e32 v16, s6, v20
	s_delay_alu instid0(VALU_DEP_1) | instskip(SKIP_1) | instid1(VALU_DEP_2)
	v_cmp_le_i32_e64 s0, v18, v16
	v_cmp_gt_i32_e32 vcc_lo, s4, v16
	s_and_b32 s0, s0, vcc_lo
	s_waitcnt lgkmcnt(0)
	v_mad_i64_i32 v[21:22], null, v18, s5, 0
	s_delay_alu instid0(VALU_DEP_1) | instskip(NEXT) | instid1(VALU_DEP_1)
	v_lshlrev_b64 v[19:20], 4, v[21:22]
	v_add_co_u32 v19, s1, s2, v19
	s_delay_alu instid0(VALU_DEP_1)
	v_add_co_ci_u32_e64 v20, s1, s3, v20, s1
	s_and_saveexec_b32 s1, s0
	s_cbranch_execz .LBB714_5
; %bb.4:
	v_ashrrev_i32_e32 v17, 31, v16
	v_xor_b32_e32 v13, 0x80000000, v13
	v_xor_b32_e32 v15, 0x80000000, v15
	s_delay_alu instid0(VALU_DEP_3) | instskip(NEXT) | instid1(VALU_DEP_1)
	v_lshlrev_b64 v[21:22], 4, v[16:17]
	v_add_co_u32 v21, s0, v19, v21
	s_delay_alu instid0(VALU_DEP_1)
	v_add_co_ci_u32_e64 v22, s0, v20, v22, s0
	global_store_b128 v[21:22], v[12:15], off
.LBB714_5:
	s_or_b32 exec_lo, exec_lo, s1
	v_add_nc_u32_e32 v12, 16, v16
	s_delay_alu instid0(VALU_DEP_1) | instskip(SKIP_1) | instid1(VALU_DEP_1)
	v_cmp_le_i32_e64 s1, v18, v12
	v_cmp_gt_i32_e64 s0, s4, v12
	s_and_b32 s1, s1, s0
	s_delay_alu instid0(SALU_CYCLE_1)
	s_and_saveexec_b32 s4, s1
	s_cbranch_execz .LBB714_7
; %bb.6:
	v_ashrrev_i32_e32 v13, 31, v12
	v_xor_b32_e32 v9, 0x80000000, v9
	v_xor_b32_e32 v11, 0x80000000, v11
	s_delay_alu instid0(VALU_DEP_3) | instskip(NEXT) | instid1(VALU_DEP_1)
	v_lshlrev_b64 v[13:14], 4, v[12:13]
	v_add_co_u32 v13, s1, v19, v13
	s_delay_alu instid0(VALU_DEP_1)
	v_add_co_ci_u32_e64 v14, s1, v20, v14, s1
	global_store_b128 v[13:14], v[8:11], off
.LBB714_7:
	s_or_b32 exec_lo, exec_lo, s4
	v_add_nc_u32_e32 v10, 16, v18
	s_delay_alu instid0(VALU_DEP_1) | instskip(SKIP_1) | instid1(VALU_DEP_2)
	v_mad_i64_i32 v[8:9], null, v10, s5, 0
	v_cmp_le_i32_e64 s1, v10, v16
	v_lshlrev_b64 v[8:9], 4, v[8:9]
	s_delay_alu instid0(VALU_DEP_1) | instskip(NEXT) | instid1(VALU_DEP_1)
	v_add_co_u32 v8, s2, s2, v8
	v_add_co_ci_u32_e64 v9, s2, s3, v9, s2
	s_delay_alu instid0(VALU_DEP_4) | instskip(NEXT) | instid1(SALU_CYCLE_1)
	s_and_b32 s2, s1, vcc_lo
	s_and_saveexec_b32 s1, s2
	s_cbranch_execz .LBB714_9
; %bb.8:
	v_ashrrev_i32_e32 v17, 31, v16
	v_xor_b32_e32 v5, 0x80000000, v5
	v_xor_b32_e32 v7, 0x80000000, v7
	s_delay_alu instid0(VALU_DEP_3) | instskip(NEXT) | instid1(VALU_DEP_1)
	v_lshlrev_b64 v[13:14], 4, v[16:17]
	v_add_co_u32 v13, vcc_lo, v8, v13
	s_delay_alu instid0(VALU_DEP_2)
	v_add_co_ci_u32_e32 v14, vcc_lo, v9, v14, vcc_lo
	global_store_b128 v[13:14], v[4:7], off
.LBB714_9:
	s_or_b32 exec_lo, exec_lo, s1
	v_cmp_le_i32_e32 vcc_lo, v10, v12
	s_and_b32 s0, vcc_lo, s0
	s_delay_alu instid0(SALU_CYCLE_1)
	s_and_saveexec_b32 s1, s0
	s_cbranch_execz .LBB714_11
; %bb.10:
	v_ashrrev_i32_e32 v13, 31, v12
	v_xor_b32_e32 v1, 0x80000000, v1
	v_xor_b32_e32 v3, 0x80000000, v3
	s_delay_alu instid0(VALU_DEP_3) | instskip(NEXT) | instid1(VALU_DEP_1)
	v_lshlrev_b64 v[4:5], 4, v[12:13]
	v_add_co_u32 v4, vcc_lo, v8, v4
	s_delay_alu instid0(VALU_DEP_2)
	v_add_co_ci_u32_e32 v5, vcc_lo, v9, v5, vcc_lo
	global_store_b128 v[4:5], v[0:3], off
.LBB714_11:
	s_nop 0
	s_sendmsg sendmsg(MSG_DEALLOC_VGPRS)
	s_endpgm
	.section	.rodata,"a",@progbits
	.p2align	6, 0x0
	.amdhsa_kernel _ZL37rocblas_syrkx_herkx_restricted_kernelIi19rocblas_complex_numIdELi16ELi32ELi8ELin1ELi0ELb0ELc67ELc76EKPKS1_KPS1_EviT_PT9_S7_lS9_S7_lPT10_S7_li
		.amdhsa_group_segment_fixed_size 8192
		.amdhsa_private_segment_fixed_size 0
		.amdhsa_kernarg_size 84
		.amdhsa_user_sgpr_count 13
		.amdhsa_user_sgpr_dispatch_ptr 0
		.amdhsa_user_sgpr_queue_ptr 0
		.amdhsa_user_sgpr_kernarg_segment_ptr 1
		.amdhsa_user_sgpr_dispatch_id 0
		.amdhsa_user_sgpr_private_segment_size 0
		.amdhsa_wavefront_size32 1
		.amdhsa_uses_dynamic_stack 0
		.amdhsa_enable_private_segment 0
		.amdhsa_system_sgpr_workgroup_id_x 1
		.amdhsa_system_sgpr_workgroup_id_y 1
		.amdhsa_system_sgpr_workgroup_id_z 1
		.amdhsa_system_sgpr_workgroup_info 0
		.amdhsa_system_vgpr_workitem_id 1
		.amdhsa_next_free_vgpr 118
		.amdhsa_next_free_sgpr 17
		.amdhsa_reserve_vcc 1
		.amdhsa_float_round_mode_32 0
		.amdhsa_float_round_mode_16_64 0
		.amdhsa_float_denorm_mode_32 3
		.amdhsa_float_denorm_mode_16_64 3
		.amdhsa_dx10_clamp 1
		.amdhsa_ieee_mode 1
		.amdhsa_fp16_overflow 0
		.amdhsa_workgroup_processor_mode 1
		.amdhsa_memory_ordered 1
		.amdhsa_forward_progress 0
		.amdhsa_shared_vgpr_count 0
		.amdhsa_exception_fp_ieee_invalid_op 0
		.amdhsa_exception_fp_denorm_src 0
		.amdhsa_exception_fp_ieee_div_zero 0
		.amdhsa_exception_fp_ieee_overflow 0
		.amdhsa_exception_fp_ieee_underflow 0
		.amdhsa_exception_fp_ieee_inexact 0
		.amdhsa_exception_int_div_zero 0
	.end_amdhsa_kernel
	.section	.text._ZL37rocblas_syrkx_herkx_restricted_kernelIi19rocblas_complex_numIdELi16ELi32ELi8ELin1ELi0ELb0ELc67ELc76EKPKS1_KPS1_EviT_PT9_S7_lS9_S7_lPT10_S7_li,"axG",@progbits,_ZL37rocblas_syrkx_herkx_restricted_kernelIi19rocblas_complex_numIdELi16ELi32ELi8ELin1ELi0ELb0ELc67ELc76EKPKS1_KPS1_EviT_PT9_S7_lS9_S7_lPT10_S7_li,comdat
.Lfunc_end714:
	.size	_ZL37rocblas_syrkx_herkx_restricted_kernelIi19rocblas_complex_numIdELi16ELi32ELi8ELin1ELi0ELb0ELc67ELc76EKPKS1_KPS1_EviT_PT9_S7_lS9_S7_lPT10_S7_li, .Lfunc_end714-_ZL37rocblas_syrkx_herkx_restricted_kernelIi19rocblas_complex_numIdELi16ELi32ELi8ELin1ELi0ELb0ELc67ELc76EKPKS1_KPS1_EviT_PT9_S7_lS9_S7_lPT10_S7_li
                                        ; -- End function
	.section	.AMDGPU.csdata,"",@progbits
; Kernel info:
; codeLenInByte = 2920
; NumSgprs: 19
; NumVgprs: 118
; ScratchSize: 0
; MemoryBound: 0
; FloatMode: 240
; IeeeMode: 1
; LDSByteSize: 8192 bytes/workgroup (compile time only)
; SGPRBlocks: 2
; VGPRBlocks: 14
; NumSGPRsForWavesPerEU: 19
; NumVGPRsForWavesPerEU: 118
; Occupancy: 12
; WaveLimiterHint : 1
; COMPUTE_PGM_RSRC2:SCRATCH_EN: 0
; COMPUTE_PGM_RSRC2:USER_SGPR: 13
; COMPUTE_PGM_RSRC2:TRAP_HANDLER: 0
; COMPUTE_PGM_RSRC2:TGID_X_EN: 1
; COMPUTE_PGM_RSRC2:TGID_Y_EN: 1
; COMPUTE_PGM_RSRC2:TGID_Z_EN: 1
; COMPUTE_PGM_RSRC2:TIDIG_COMP_CNT: 1
	.section	.text._ZL37rocblas_syrkx_herkx_restricted_kernelIi19rocblas_complex_numIdELi16ELi32ELi8ELin1ELi0ELb0ELc78ELc76EKPKS1_KPS1_EviT_PT9_S7_lS9_S7_lPT10_S7_li,"axG",@progbits,_ZL37rocblas_syrkx_herkx_restricted_kernelIi19rocblas_complex_numIdELi16ELi32ELi8ELin1ELi0ELb0ELc78ELc76EKPKS1_KPS1_EviT_PT9_S7_lS9_S7_lPT10_S7_li,comdat
	.globl	_ZL37rocblas_syrkx_herkx_restricted_kernelIi19rocblas_complex_numIdELi16ELi32ELi8ELin1ELi0ELb0ELc78ELc76EKPKS1_KPS1_EviT_PT9_S7_lS9_S7_lPT10_S7_li ; -- Begin function _ZL37rocblas_syrkx_herkx_restricted_kernelIi19rocblas_complex_numIdELi16ELi32ELi8ELin1ELi0ELb0ELc78ELc76EKPKS1_KPS1_EviT_PT9_S7_lS9_S7_lPT10_S7_li
	.p2align	8
	.type	_ZL37rocblas_syrkx_herkx_restricted_kernelIi19rocblas_complex_numIdELi16ELi32ELi8ELin1ELi0ELb0ELc78ELc76EKPKS1_KPS1_EviT_PT9_S7_lS9_S7_lPT10_S7_li,@function
_ZL37rocblas_syrkx_herkx_restricted_kernelIi19rocblas_complex_numIdELi16ELi32ELi8ELin1ELi0ELb0ELc78ELc76EKPKS1_KPS1_EviT_PT9_S7_lS9_S7_lPT10_S7_li: ; @_ZL37rocblas_syrkx_herkx_restricted_kernelIi19rocblas_complex_numIdELi16ELi32ELi8ELin1ELi0ELb0ELc78ELc76EKPKS1_KPS1_EviT_PT9_S7_lS9_S7_lPT10_S7_li
; %bb.0:
	s_clause 0x1
	s_load_b64 s[2:3], s[0:1], 0x38
	s_load_b64 s[4:5], s[0:1], 0x0
	s_mov_b32 s6, s15
	s_mov_b32 s7, 0
	v_mov_b32_e32 v12, 0
	s_lshl_b64 s[8:9], s[6:7], 3
	v_dual_mov_b32 v13, 0 :: v_dual_and_b32 v20, 0x3ff, v0
	v_bfe_u32 v21, v0, 10, 10
	s_delay_alu instid0(VALU_DEP_3) | instskip(NEXT) | instid1(VALU_DEP_3)
	v_mov_b32_e32 v8, v12
	v_dual_mov_b32 v10, v12 :: v_dual_mov_b32 v11, v13
	v_dual_mov_b32 v15, v13 :: v_dual_mov_b32 v14, v12
	;; [unrolled: 1-line block ×5, first 2 shown]
	v_mov_b32_e32 v1, v13
	s_waitcnt lgkmcnt(0)
	s_add_u32 s2, s2, s8
	s_addc_u32 s3, s3, s9
	v_dual_mov_b32 v2, v12 :: v_dual_mov_b32 v3, v13
	s_load_b64 s[2:3], s[2:3], 0x0
	s_lshl_b32 s6, s13, 5
	s_lshl_b32 s12, s14, 5
	s_cmp_lt_i32 s5, 1
	s_cbranch_scc1 .LBB715_3
; %bb.1:
	s_clause 0x3
	s_load_b32 s10, s[0:1], 0x10
	s_load_b32 s14, s[0:1], 0x28
	s_load_b64 s[16:17], s[0:1], 0x8
	s_load_b64 s[18:19], s[0:1], 0x20
	v_lshl_add_u32 v0, v21, 4, v20
	v_and_b32_e32 v10, 7, v20
	v_lshl_add_u32 v23, v21, 7, 0x1000
	s_delay_alu instid0(VALU_DEP_3) | instskip(SKIP_2) | instid1(VALU_DEP_3)
	v_and_b32_e32 v9, 31, v0
	v_lshrrev_b32_e32 v11, 5, v0
	v_lshrrev_b32_e32 v8, 3, v0
	v_add_nc_u32_e32 v2, s6, v9
	s_delay_alu instid0(VALU_DEP_1)
	v_ashrrev_i32_e32 v3, 31, v2
	s_waitcnt lgkmcnt(0)
	s_ashr_i32 s11, s10, 31
	s_ashr_i32 s15, s14, 31
	s_add_u32 s16, s16, s8
	s_addc_u32 s17, s17, s9
	v_mad_i64_i32 v[4:5], null, s10, v11, v[2:3]
	v_mov_b32_e32 v2, 0
	v_dual_mov_b32 v3, 0 :: v_dual_add_nc_u32 v0, s12, v8
	s_load_b64 s[16:17], s[16:17], 0x0
	s_add_u32 s8, s18, s8
	s_addc_u32 s9, s19, s9
	s_delay_alu instid0(VALU_DEP_3)
	v_lshlrev_b64 v[4:5], 4, v[4:5]
	s_load_b64 s[8:9], s[8:9], 0x0
	v_ashrrev_i32_e32 v1, 31, v0
	v_lshlrev_b32_e32 v12, 4, v10
	v_lshlrev_b32_e32 v9, 4, v9
	v_dual_mov_b32 v15, v3 :: v_dual_lshlrev_b32 v22, 4, v20
	s_delay_alu instid0(VALU_DEP_4) | instskip(SKIP_1) | instid1(VALU_DEP_4)
	v_mad_i64_i32 v[6:7], null, s14, v10, v[0:1]
	v_dual_mov_b32 v0, v2 :: v_dual_mov_b32 v1, v3
	v_lshl_or_b32 v24, v11, 9, v9
	v_dual_mov_b32 v11, v3 :: v_dual_mov_b32 v10, v2
	v_mov_b32_e32 v14, v2
	v_lshlrev_b64 v[6:7], 4, v[6:7]
	s_waitcnt lgkmcnt(0)
	v_add_co_u32 v4, vcc_lo, v4, s16
	v_add_co_ci_u32_e32 v5, vcc_lo, s17, v5, vcc_lo
	s_delay_alu instid0(VALU_DEP_3) | instskip(NEXT) | instid1(VALU_DEP_4)
	v_add_co_u32 v6, vcc_lo, v6, s8
	v_add_co_ci_u32_e32 v7, vcc_lo, s9, v7, vcc_lo
	s_delay_alu instid0(VALU_DEP_4) | instskip(NEXT) | instid1(VALU_DEP_4)
	v_add_co_u32 v16, vcc_lo, v4, 8
	v_add_co_ci_u32_e32 v17, vcc_lo, 0, v5, vcc_lo
	v_mov_b32_e32 v5, v3
	v_lshl_or_b32 v8, v8, 7, v12
	v_dual_mov_b32 v13, v3 :: v_dual_mov_b32 v4, v2
	v_add_co_u32 v18, vcc_lo, v6, 8
	s_delay_alu instid0(VALU_DEP_3)
	v_add_nc_u32_e32 v25, 0x1000, v8
	v_dual_mov_b32 v9, v3 :: v_dual_mov_b32 v8, v2
	v_add_co_ci_u32_e32 v19, vcc_lo, 0, v7, vcc_lo
	v_dual_mov_b32 v7, v3 :: v_dual_mov_b32 v6, v2
	v_mov_b32_e32 v12, v2
	s_lshl_b64 s[8:9], s[10:11], 7
	s_lshl_b64 s[10:11], s[14:15], 7
.LBB715_2:                              ; =>This Inner Loop Header: Depth=1
	global_load_b128 v[26:29], v[16:17], off offset:-8
	global_load_b128 v[30:33], v[18:19], off offset:-8
	v_add_co_u32 v16, vcc_lo, v16, s8
	v_add_co_ci_u32_e32 v17, vcc_lo, s9, v17, vcc_lo
	v_add_co_u32 v18, vcc_lo, v18, s10
	v_add_co_ci_u32_e32 v19, vcc_lo, s11, v19, vcc_lo
	s_add_i32 s7, s7, 8
	s_waitcnt vmcnt(1)
	ds_store_b128 v24, v[26:29]
	s_waitcnt vmcnt(0)
	ds_store_b128 v25, v[30:33]
	s_waitcnt lgkmcnt(0)
	s_barrier
	buffer_gl0_inv
	ds_load_b128 v[26:29], v23
	ds_load_b128 v[30:33], v22
	ds_load_b128 v[34:37], v22 offset:256
	ds_load_b128 v[38:41], v23 offset:2048
	;; [unrolled: 1-line block ×13, first 2 shown]
	s_cmp_ge_i32 s7, s5
	s_waitcnt lgkmcnt(13)
	v_mul_f64 v[86:87], v[28:29], v[32:33]
	v_mul_f64 v[88:89], v[26:27], v[32:33]
	s_waitcnt lgkmcnt(12)
	v_mul_f64 v[90:91], v[28:29], v[36:37]
	v_mul_f64 v[92:93], v[26:27], v[36:37]
	;; [unrolled: 3-line block ×3, first 2 shown]
	v_mul_f64 v[96:97], v[40:41], v[36:37]
	v_mul_f64 v[36:37], v[38:39], v[36:37]
	s_waitcnt lgkmcnt(8)
	v_mul_f64 v[98:99], v[44:45], v[52:53]
	v_mul_f64 v[100:101], v[42:43], v[52:53]
	s_waitcnt lgkmcnt(7)
	v_mul_f64 v[102:103], v[44:45], v[56:57]
	v_mul_f64 v[104:105], v[42:43], v[56:57]
	v_mul_f64 v[106:107], v[48:49], v[52:53]
	v_mul_f64 v[52:53], v[46:47], v[52:53]
	v_mul_f64 v[108:109], v[48:49], v[56:57]
	v_mul_f64 v[56:57], v[46:47], v[56:57]
	s_waitcnt lgkmcnt(3)
	v_mul_f64 v[112:113], v[58:59], v[72:73]
	s_waitcnt lgkmcnt(2)
	v_mul_f64 v[114:115], v[76:77], v[68:69]
	v_mul_f64 v[116:117], v[76:77], v[72:73]
	v_fma_f64 v[86:87], v[26:27], v[30:31], -v[86:87]
	v_fma_f64 v[88:89], v[28:29], v[30:31], v[88:89]
	v_fma_f64 v[90:91], v[26:27], v[34:35], -v[90:91]
	v_fma_f64 v[92:93], v[28:29], v[34:35], v[92:93]
	;; [unrolled: 2-line block ×4, first 2 shown]
	v_mul_f64 v[36:37], v[60:61], v[68:69]
	v_mul_f64 v[40:41], v[58:59], v[68:69]
	;; [unrolled: 1-line block ×5, first 2 shown]
	v_fma_f64 v[98:99], v[42:43], v[50:51], -v[98:99]
	v_fma_f64 v[100:101], v[44:45], v[50:51], v[100:101]
	v_fma_f64 v[42:43], v[42:43], v[54:55], -v[102:103]
	v_fma_f64 v[44:45], v[44:45], v[54:55], v[104:105]
	;; [unrolled: 2-line block ×4, first 2 shown]
	ds_load_b128 v[26:29], v22 offset:1792
	ds_load_b128 v[30:33], v22 offset:2048
	s_waitcnt lgkmcnt(2)
	v_mul_f64 v[56:57], v[64:65], v[84:85]
	v_add_f64 v[12:13], v[12:13], v[86:87]
	v_add_f64 v[14:15], v[14:15], v[88:89]
	;; [unrolled: 1-line block ×8, first 2 shown]
	v_mul_f64 v[86:87], v[62:63], v[84:85]
	s_waitcnt lgkmcnt(1)
	v_mul_f64 v[88:89], v[64:65], v[28:29]
	v_mul_f64 v[90:91], v[62:63], v[28:29]
	;; [unrolled: 1-line block ×6, first 2 shown]
	v_fma_f64 v[104:105], v[58:59], v[66:67], -v[36:37]
	v_fma_f64 v[106:107], v[60:61], v[66:67], v[40:41]
	v_fma_f64 v[58:59], v[58:59], v[70:71], -v[96:97]
	v_fma_f64 v[60:61], v[60:61], v[70:71], v[112:113]
	;; [unrolled: 2-line block ×4, first 2 shown]
	ds_load_b128 v[0:3], v22 offset:2304
	ds_load_b128 v[4:7], v23 offset:64
	v_fma_f64 v[56:57], v[62:63], v[82:83], -v[56:57]
	v_add_f64 v[72:73], v[12:13], v[98:99]
	v_add_f64 v[74:75], v[14:15], v[100:101]
	;; [unrolled: 1-line block ×8, first 2 shown]
	ds_load_b128 v[8:11], v23 offset:2112
	ds_load_b128 v[12:15], v23 offset:80
	;; [unrolled: 1-line block ×4, first 2 shown]
	s_waitcnt lgkmcnt(4)
	v_mul_f64 v[54:55], v[6:7], v[32:33]
	v_mul_f64 v[76:77], v[4:5], v[32:33]
	;; [unrolled: 1-line block ×4, first 2 shown]
	v_fma_f64 v[86:87], v[64:65], v[82:83], v[86:87]
	v_fma_f64 v[62:63], v[62:63], v[26:27], -v[88:89]
	v_fma_f64 v[64:65], v[64:65], v[26:27], v[90:91]
	v_fma_f64 v[88:89], v[78:79], v[82:83], -v[92:93]
	;; [unrolled: 2-line block ×3, first 2 shown]
	v_fma_f64 v[80:81], v[80:81], v[26:27], v[28:29]
	s_waitcnt lgkmcnt(3)
	v_mul_f64 v[102:103], v[10:11], v[32:33]
	v_mul_f64 v[32:33], v[8:9], v[32:33]
	;; [unrolled: 1-line block ×4, first 2 shown]
	s_waitcnt lgkmcnt(0)
	v_mul_f64 v[90:91], v[14:15], v[40:41]
	v_mul_f64 v[92:93], v[12:13], v[40:41]
	v_add_f64 v[72:73], v[72:73], v[104:105]
	v_add_f64 v[74:75], v[74:75], v[106:107]
	;; [unrolled: 1-line block ×8, first 2 shown]
	ds_load_b128 v[26:29], v22 offset:2816
	ds_load_b128 v[42:45], v22 offset:3072
	;; [unrolled: 1-line block ×4, first 2 shown]
	v_mul_f64 v[104:105], v[36:37], v[40:41]
	v_mul_f64 v[40:41], v[34:35], v[40:41]
	v_fma_f64 v[54:55], v[4:5], v[30:31], -v[54:55]
	v_fma_f64 v[76:77], v[6:7], v[30:31], v[76:77]
	v_fma_f64 v[98:99], v[4:5], v[0:1], -v[98:99]
	v_fma_f64 v[100:101], v[6:7], v[0:1], v[100:101]
	s_waitcnt lgkmcnt(3)
	v_mul_f64 v[94:95], v[14:15], v[28:29]
	v_mul_f64 v[96:97], v[12:13], v[28:29]
	;; [unrolled: 1-line block ×4, first 2 shown]
	v_fma_f64 v[102:103], v[8:9], v[30:31], -v[102:103]
	v_fma_f64 v[32:33], v[10:11], v[30:31], v[32:33]
	v_fma_f64 v[108:109], v[8:9], v[0:1], -v[108:109]
	v_fma_f64 v[112:113], v[10:11], v[0:1], v[2:3]
	ds_load_b128 v[0:3], v23 offset:2144
	ds_load_b128 v[4:7], v23 offset:112
	;; [unrolled: 1-line block ×4, first 2 shown]
	v_add_f64 v[56:57], v[72:73], v[56:57]
	v_add_f64 v[72:73], v[74:75], v[86:87]
	;; [unrolled: 1-line block ×8, first 2 shown]
	s_waitcnt lgkmcnt(4)
	v_mul_f64 v[70:71], v[52:53], v[44:45]
	v_mul_f64 v[74:75], v[50:51], v[44:45]
	;; [unrolled: 1-line block ×4, first 2 shown]
	s_waitcnt lgkmcnt(3)
	v_mul_f64 v[82:83], v[2:3], v[44:45]
	v_mul_f64 v[44:45], v[0:1], v[44:45]
	;; [unrolled: 1-line block ×4, first 2 shown]
	v_fma_f64 v[86:87], v[12:13], v[38:39], -v[90:91]
	v_fma_f64 v[88:89], v[14:15], v[38:39], v[92:93]
	v_fma_f64 v[90:91], v[12:13], v[26:27], -v[94:95]
	v_fma_f64 v[92:93], v[14:15], v[26:27], v[96:97]
	;; [unrolled: 2-line block ×4, first 2 shown]
	ds_load_b128 v[12:15], v22 offset:3840
	s_waitcnt lgkmcnt(0)
	s_barrier
	buffer_gl0_inv
	v_add_f64 v[36:37], v[56:57], v[54:55]
	v_add_f64 v[40:41], v[72:73], v[76:77]
	;; [unrolled: 1-line block ×8, first 2 shown]
	v_mul_f64 v[64:65], v[6:7], v[30:31]
	v_mul_f64 v[66:67], v[4:5], v[30:31]
	;; [unrolled: 1-line block ×4, first 2 shown]
	v_fma_f64 v[70:71], v[50:51], v[42:43], -v[70:71]
	v_mul_f64 v[68:69], v[6:7], v[14:15]
	v_mul_f64 v[72:73], v[4:5], v[14:15]
	;; [unrolled: 1-line block ×4, first 2 shown]
	v_fma_f64 v[74:75], v[52:53], v[42:43], v[74:75]
	v_fma_f64 v[50:51], v[50:51], v[46:47], -v[78:79]
	v_fma_f64 v[52:53], v[52:53], v[46:47], v[80:81]
	v_fma_f64 v[78:79], v[0:1], v[42:43], -v[82:83]
	;; [unrolled: 2-line block ×3, first 2 shown]
	v_fma_f64 v[2:3], v[2:3], v[46:47], v[48:49]
	v_add_f64 v[36:37], v[36:37], v[86:87]
	v_add_f64 v[40:41], v[40:41], v[88:89]
	;; [unrolled: 1-line block ×8, first 2 shown]
	v_fma_f64 v[38:39], v[4:5], v[28:29], -v[64:65]
	v_fma_f64 v[54:55], v[6:7], v[28:29], v[66:67]
	v_fma_f64 v[56:57], v[8:9], v[28:29], -v[76:77]
	v_fma_f64 v[28:29], v[10:11], v[28:29], v[30:31]
	;; [unrolled: 2-line block ×4, first 2 shown]
	v_add_f64 v[8:9], v[36:37], v[70:71]
	v_add_f64 v[10:11], v[40:41], v[74:75]
	;; [unrolled: 1-line block ×16, first 2 shown]
	s_cbranch_scc0 .LBB715_2
.LBB715_3:
	s_load_b32 s5, s[0:1], 0x40
	v_add_nc_u32_e32 v18, s12, v21
	v_add_nc_u32_e32 v16, s6, v20
	s_delay_alu instid0(VALU_DEP_1) | instskip(SKIP_1) | instid1(VALU_DEP_2)
	v_cmp_le_i32_e64 s0, v18, v16
	v_cmp_gt_i32_e32 vcc_lo, s4, v16
	s_and_b32 s0, s0, vcc_lo
	s_waitcnt lgkmcnt(0)
	v_mad_i64_i32 v[21:22], null, v18, s5, 0
	s_delay_alu instid0(VALU_DEP_1) | instskip(NEXT) | instid1(VALU_DEP_1)
	v_lshlrev_b64 v[19:20], 4, v[21:22]
	v_add_co_u32 v19, s1, s2, v19
	s_delay_alu instid0(VALU_DEP_1)
	v_add_co_ci_u32_e64 v20, s1, s3, v20, s1
	s_and_saveexec_b32 s1, s0
	s_cbranch_execz .LBB715_5
; %bb.4:
	v_ashrrev_i32_e32 v17, 31, v16
	v_xor_b32_e32 v13, 0x80000000, v13
	v_xor_b32_e32 v15, 0x80000000, v15
	s_delay_alu instid0(VALU_DEP_3) | instskip(NEXT) | instid1(VALU_DEP_1)
	v_lshlrev_b64 v[21:22], 4, v[16:17]
	v_add_co_u32 v21, s0, v19, v21
	s_delay_alu instid0(VALU_DEP_1)
	v_add_co_ci_u32_e64 v22, s0, v20, v22, s0
	global_store_b128 v[21:22], v[12:15], off
.LBB715_5:
	s_or_b32 exec_lo, exec_lo, s1
	v_add_nc_u32_e32 v12, 16, v16
	s_delay_alu instid0(VALU_DEP_1) | instskip(SKIP_1) | instid1(VALU_DEP_1)
	v_cmp_le_i32_e64 s1, v18, v12
	v_cmp_gt_i32_e64 s0, s4, v12
	s_and_b32 s1, s1, s0
	s_delay_alu instid0(SALU_CYCLE_1)
	s_and_saveexec_b32 s4, s1
	s_cbranch_execz .LBB715_7
; %bb.6:
	v_ashrrev_i32_e32 v13, 31, v12
	v_xor_b32_e32 v9, 0x80000000, v9
	v_xor_b32_e32 v11, 0x80000000, v11
	s_delay_alu instid0(VALU_DEP_3) | instskip(NEXT) | instid1(VALU_DEP_1)
	v_lshlrev_b64 v[13:14], 4, v[12:13]
	v_add_co_u32 v13, s1, v19, v13
	s_delay_alu instid0(VALU_DEP_1)
	v_add_co_ci_u32_e64 v14, s1, v20, v14, s1
	global_store_b128 v[13:14], v[8:11], off
.LBB715_7:
	s_or_b32 exec_lo, exec_lo, s4
	v_add_nc_u32_e32 v10, 16, v18
	s_delay_alu instid0(VALU_DEP_1) | instskip(SKIP_1) | instid1(VALU_DEP_2)
	v_mad_i64_i32 v[8:9], null, v10, s5, 0
	v_cmp_le_i32_e64 s1, v10, v16
	v_lshlrev_b64 v[8:9], 4, v[8:9]
	s_delay_alu instid0(VALU_DEP_1) | instskip(NEXT) | instid1(VALU_DEP_1)
	v_add_co_u32 v8, s2, s2, v8
	v_add_co_ci_u32_e64 v9, s2, s3, v9, s2
	s_delay_alu instid0(VALU_DEP_4) | instskip(NEXT) | instid1(SALU_CYCLE_1)
	s_and_b32 s2, s1, vcc_lo
	s_and_saveexec_b32 s1, s2
	s_cbranch_execz .LBB715_9
; %bb.8:
	v_ashrrev_i32_e32 v17, 31, v16
	v_xor_b32_e32 v5, 0x80000000, v5
	v_xor_b32_e32 v7, 0x80000000, v7
	s_delay_alu instid0(VALU_DEP_3) | instskip(NEXT) | instid1(VALU_DEP_1)
	v_lshlrev_b64 v[13:14], 4, v[16:17]
	v_add_co_u32 v13, vcc_lo, v8, v13
	s_delay_alu instid0(VALU_DEP_2)
	v_add_co_ci_u32_e32 v14, vcc_lo, v9, v14, vcc_lo
	global_store_b128 v[13:14], v[4:7], off
.LBB715_9:
	s_or_b32 exec_lo, exec_lo, s1
	v_cmp_le_i32_e32 vcc_lo, v10, v12
	s_and_b32 s0, vcc_lo, s0
	s_delay_alu instid0(SALU_CYCLE_1)
	s_and_saveexec_b32 s1, s0
	s_cbranch_execz .LBB715_11
; %bb.10:
	v_ashrrev_i32_e32 v13, 31, v12
	v_xor_b32_e32 v1, 0x80000000, v1
	v_xor_b32_e32 v3, 0x80000000, v3
	s_delay_alu instid0(VALU_DEP_3) | instskip(NEXT) | instid1(VALU_DEP_1)
	v_lshlrev_b64 v[4:5], 4, v[12:13]
	v_add_co_u32 v4, vcc_lo, v8, v4
	s_delay_alu instid0(VALU_DEP_2)
	v_add_co_ci_u32_e32 v5, vcc_lo, v9, v5, vcc_lo
	global_store_b128 v[4:5], v[0:3], off
.LBB715_11:
	s_nop 0
	s_sendmsg sendmsg(MSG_DEALLOC_VGPRS)
	s_endpgm
	.section	.rodata,"a",@progbits
	.p2align	6, 0x0
	.amdhsa_kernel _ZL37rocblas_syrkx_herkx_restricted_kernelIi19rocblas_complex_numIdELi16ELi32ELi8ELin1ELi0ELb0ELc78ELc76EKPKS1_KPS1_EviT_PT9_S7_lS9_S7_lPT10_S7_li
		.amdhsa_group_segment_fixed_size 8192
		.amdhsa_private_segment_fixed_size 0
		.amdhsa_kernarg_size 84
		.amdhsa_user_sgpr_count 13
		.amdhsa_user_sgpr_dispatch_ptr 0
		.amdhsa_user_sgpr_queue_ptr 0
		.amdhsa_user_sgpr_kernarg_segment_ptr 1
		.amdhsa_user_sgpr_dispatch_id 0
		.amdhsa_user_sgpr_private_segment_size 0
		.amdhsa_wavefront_size32 1
		.amdhsa_uses_dynamic_stack 0
		.amdhsa_enable_private_segment 0
		.amdhsa_system_sgpr_workgroup_id_x 1
		.amdhsa_system_sgpr_workgroup_id_y 1
		.amdhsa_system_sgpr_workgroup_id_z 1
		.amdhsa_system_sgpr_workgroup_info 0
		.amdhsa_system_vgpr_workitem_id 1
		.amdhsa_next_free_vgpr 118
		.amdhsa_next_free_sgpr 20
		.amdhsa_reserve_vcc 1
		.amdhsa_float_round_mode_32 0
		.amdhsa_float_round_mode_16_64 0
		.amdhsa_float_denorm_mode_32 3
		.amdhsa_float_denorm_mode_16_64 3
		.amdhsa_dx10_clamp 1
		.amdhsa_ieee_mode 1
		.amdhsa_fp16_overflow 0
		.amdhsa_workgroup_processor_mode 1
		.amdhsa_memory_ordered 1
		.amdhsa_forward_progress 0
		.amdhsa_shared_vgpr_count 0
		.amdhsa_exception_fp_ieee_invalid_op 0
		.amdhsa_exception_fp_denorm_src 0
		.amdhsa_exception_fp_ieee_div_zero 0
		.amdhsa_exception_fp_ieee_overflow 0
		.amdhsa_exception_fp_ieee_underflow 0
		.amdhsa_exception_fp_ieee_inexact 0
		.amdhsa_exception_int_div_zero 0
	.end_amdhsa_kernel
	.section	.text._ZL37rocblas_syrkx_herkx_restricted_kernelIi19rocblas_complex_numIdELi16ELi32ELi8ELin1ELi0ELb0ELc78ELc76EKPKS1_KPS1_EviT_PT9_S7_lS9_S7_lPT10_S7_li,"axG",@progbits,_ZL37rocblas_syrkx_herkx_restricted_kernelIi19rocblas_complex_numIdELi16ELi32ELi8ELin1ELi0ELb0ELc78ELc76EKPKS1_KPS1_EviT_PT9_S7_lS9_S7_lPT10_S7_li,comdat
.Lfunc_end715:
	.size	_ZL37rocblas_syrkx_herkx_restricted_kernelIi19rocblas_complex_numIdELi16ELi32ELi8ELin1ELi0ELb0ELc78ELc76EKPKS1_KPS1_EviT_PT9_S7_lS9_S7_lPT10_S7_li, .Lfunc_end715-_ZL37rocblas_syrkx_herkx_restricted_kernelIi19rocblas_complex_numIdELi16ELi32ELi8ELin1ELi0ELb0ELc78ELc76EKPKS1_KPS1_EviT_PT9_S7_lS9_S7_lPT10_S7_li
                                        ; -- End function
	.section	.AMDGPU.csdata,"",@progbits
; Kernel info:
; codeLenInByte = 2936
; NumSgprs: 22
; NumVgprs: 118
; ScratchSize: 0
; MemoryBound: 0
; FloatMode: 240
; IeeeMode: 1
; LDSByteSize: 8192 bytes/workgroup (compile time only)
; SGPRBlocks: 2
; VGPRBlocks: 14
; NumSGPRsForWavesPerEU: 22
; NumVGPRsForWavesPerEU: 118
; Occupancy: 12
; WaveLimiterHint : 1
; COMPUTE_PGM_RSRC2:SCRATCH_EN: 0
; COMPUTE_PGM_RSRC2:USER_SGPR: 13
; COMPUTE_PGM_RSRC2:TRAP_HANDLER: 0
; COMPUTE_PGM_RSRC2:TGID_X_EN: 1
; COMPUTE_PGM_RSRC2:TGID_Y_EN: 1
; COMPUTE_PGM_RSRC2:TGID_Z_EN: 1
; COMPUTE_PGM_RSRC2:TIDIG_COMP_CNT: 1
	.section	.text._ZL37rocblas_syrkx_herkx_restricted_kernelIi19rocblas_complex_numIdELi16ELi32ELi8ELin1ELi0ELb0ELc84ELc85EKPKS1_KPS1_EviT_PT9_S7_lS9_S7_lPT10_S7_li,"axG",@progbits,_ZL37rocblas_syrkx_herkx_restricted_kernelIi19rocblas_complex_numIdELi16ELi32ELi8ELin1ELi0ELb0ELc84ELc85EKPKS1_KPS1_EviT_PT9_S7_lS9_S7_lPT10_S7_li,comdat
	.globl	_ZL37rocblas_syrkx_herkx_restricted_kernelIi19rocblas_complex_numIdELi16ELi32ELi8ELin1ELi0ELb0ELc84ELc85EKPKS1_KPS1_EviT_PT9_S7_lS9_S7_lPT10_S7_li ; -- Begin function _ZL37rocblas_syrkx_herkx_restricted_kernelIi19rocblas_complex_numIdELi16ELi32ELi8ELin1ELi0ELb0ELc84ELc85EKPKS1_KPS1_EviT_PT9_S7_lS9_S7_lPT10_S7_li
	.p2align	8
	.type	_ZL37rocblas_syrkx_herkx_restricted_kernelIi19rocblas_complex_numIdELi16ELi32ELi8ELin1ELi0ELb0ELc84ELc85EKPKS1_KPS1_EviT_PT9_S7_lS9_S7_lPT10_S7_li,@function
_ZL37rocblas_syrkx_herkx_restricted_kernelIi19rocblas_complex_numIdELi16ELi32ELi8ELin1ELi0ELb0ELc84ELc85EKPKS1_KPS1_EviT_PT9_S7_lS9_S7_lPT10_S7_li: ; @_ZL37rocblas_syrkx_herkx_restricted_kernelIi19rocblas_complex_numIdELi16ELi32ELi8ELin1ELi0ELb0ELc84ELc85EKPKS1_KPS1_EviT_PT9_S7_lS9_S7_lPT10_S7_li
; %bb.0:
	s_clause 0x1
	s_load_b64 s[4:5], s[0:1], 0x38
	s_load_b64 s[2:3], s[0:1], 0x0
	s_mov_b32 s6, s15
	s_mov_b32 s7, 0
	v_mov_b32_e32 v12, 0
	s_lshl_b64 s[8:9], s[6:7], 3
	v_dual_mov_b32 v13, 0 :: v_dual_and_b32 v20, 0x3ff, v0
	v_bfe_u32 v21, v0, 10, 10
	s_delay_alu instid0(VALU_DEP_3) | instskip(NEXT) | instid1(VALU_DEP_3)
	v_mov_b32_e32 v8, v12
	v_dual_mov_b32 v10, v12 :: v_dual_mov_b32 v11, v13
	v_dual_mov_b32 v15, v13 :: v_dual_mov_b32 v14, v12
	;; [unrolled: 1-line block ×5, first 2 shown]
	v_mov_b32_e32 v1, v13
	s_waitcnt lgkmcnt(0)
	s_add_u32 s4, s4, s8
	s_addc_u32 s5, s5, s9
	v_dual_mov_b32 v2, v12 :: v_dual_mov_b32 v3, v13
	s_load_b64 s[4:5], s[4:5], 0x0
	s_lshl_b32 s6, s13, 5
	s_lshl_b32 s10, s14, 5
	s_cmp_lt_i32 s3, 1
	s_cbranch_scc1 .LBB716_3
; %bb.1:
	s_clause 0x3
	s_load_b64 s[12:13], s[0:1], 0x8
	s_load_b64 s[14:15], s[0:1], 0x20
	s_load_b32 s11, s[0:1], 0x10
	s_load_b32 s16, s[0:1], 0x28
	v_lshl_add_u32 v4, v21, 4, v20
	v_dual_mov_b32 v1, 0 :: v_dual_and_b32 v0, 7, v20
	v_mov_b32_e32 v2, 0
	v_dual_mov_b32 v3, 0 :: v_dual_lshlrev_b32 v22, 4, v20
	s_delay_alu instid0(VALU_DEP_4)
	v_and_b32_e32 v11, 31, v4
	v_lshrrev_b32_e32 v10, 3, v4
	v_lshrrev_b32_e32 v4, 5, v4
	v_mov_b32_e32 v5, v1
	v_lshl_add_u32 v23, v21, 7, 0x1000
	v_add_nc_u32_e32 v8, s6, v11
	v_dual_mov_b32 v15, v3 :: v_dual_add_nc_u32 v12, s10, v10
	v_mov_b32_e32 v14, v2
	s_waitcnt lgkmcnt(0)
	s_add_u32 s12, s12, s8
	s_addc_u32 s13, s13, s9
	s_add_u32 s8, s14, s8
	s_load_b64 s[12:13], s[12:13], 0x0
	s_addc_u32 s9, s15, s9
	v_mad_i64_i32 v[6:7], null, s11, v8, v[4:5]
	s_load_b64 s[8:9], s[8:9], 0x0
	v_lshlrev_b32_e32 v5, 4, v0
	v_mad_i64_i32 v[8:9], null, s16, v12, v[0:1]
	v_mov_b32_e32 v0, v2
	v_lshlrev_b32_e32 v12, 4, v11
	s_delay_alu instid0(VALU_DEP_4) | instskip(SKIP_2) | instid1(VALU_DEP_4)
	v_lshl_or_b32 v5, v10, 7, v5
	v_lshlrev_b64 v[10:11], 4, v[6:7]
	v_dual_mov_b32 v7, v3 :: v_dual_mov_b32 v6, v2
	v_lshl_or_b32 v24, v4, 9, v12
	s_delay_alu instid0(VALU_DEP_4)
	v_add_nc_u32_e32 v25, 0x1000, v5
	v_lshlrev_b64 v[4:5], 4, v[8:9]
	v_mov_b32_e32 v1, v3
	v_dual_mov_b32 v13, v3 :: v_dual_mov_b32 v12, v2
	s_waitcnt lgkmcnt(0)
	v_add_co_u32 v8, vcc_lo, v10, s12
	v_add_co_ci_u32_e32 v9, vcc_lo, s13, v11, vcc_lo
	v_add_co_u32 v4, vcc_lo, v4, s8
	v_add_co_ci_u32_e32 v5, vcc_lo, s9, v5, vcc_lo
	s_delay_alu instid0(VALU_DEP_4) | instskip(NEXT) | instid1(VALU_DEP_4)
	v_add_co_u32 v16, vcc_lo, v8, 8
	v_add_co_ci_u32_e32 v17, vcc_lo, 0, v9, vcc_lo
	s_delay_alu instid0(VALU_DEP_4) | instskip(NEXT) | instid1(VALU_DEP_4)
	v_add_co_u32 v18, vcc_lo, v4, 8
	v_add_co_ci_u32_e32 v19, vcc_lo, 0, v5, vcc_lo
	v_dual_mov_b32 v5, v3 :: v_dual_mov_b32 v4, v2
	v_dual_mov_b32 v11, v3 :: v_dual_mov_b32 v10, v2
	v_dual_mov_b32 v9, v3 :: v_dual_mov_b32 v8, v2
.LBB716_2:                              ; =>This Inner Loop Header: Depth=1
	global_load_b128 v[26:29], v[16:17], off offset:-8
	global_load_b128 v[30:33], v[18:19], off offset:-8
	v_add_co_u32 v16, vcc_lo, 0x80, v16
	v_add_co_ci_u32_e32 v17, vcc_lo, 0, v17, vcc_lo
	v_add_co_u32 v18, vcc_lo, 0x80, v18
	v_add_co_ci_u32_e32 v19, vcc_lo, 0, v19, vcc_lo
	s_add_i32 s7, s7, 8
	s_waitcnt vmcnt(1)
	ds_store_b128 v24, v[26:29]
	s_waitcnt vmcnt(0)
	ds_store_b128 v25, v[30:33]
	s_waitcnt lgkmcnt(0)
	s_barrier
	buffer_gl0_inv
	ds_load_b128 v[26:29], v23
	ds_load_b128 v[30:33], v22
	ds_load_b128 v[34:37], v22 offset:256
	ds_load_b128 v[38:41], v23 offset:2048
	;; [unrolled: 1-line block ×13, first 2 shown]
	s_cmp_ge_i32 s7, s3
	s_waitcnt lgkmcnt(13)
	v_mul_f64 v[86:87], v[28:29], v[32:33]
	v_mul_f64 v[88:89], v[26:27], v[32:33]
	s_waitcnt lgkmcnt(12)
	v_mul_f64 v[90:91], v[28:29], v[36:37]
	v_mul_f64 v[92:93], v[26:27], v[36:37]
	;; [unrolled: 3-line block ×3, first 2 shown]
	v_mul_f64 v[96:97], v[40:41], v[36:37]
	v_mul_f64 v[36:37], v[38:39], v[36:37]
	s_waitcnt lgkmcnt(8)
	v_mul_f64 v[98:99], v[44:45], v[52:53]
	v_mul_f64 v[100:101], v[42:43], v[52:53]
	s_waitcnt lgkmcnt(7)
	v_mul_f64 v[102:103], v[44:45], v[56:57]
	v_mul_f64 v[104:105], v[42:43], v[56:57]
	;; [unrolled: 1-line block ×6, first 2 shown]
	s_waitcnt lgkmcnt(3)
	v_mul_f64 v[112:113], v[58:59], v[72:73]
	s_waitcnt lgkmcnt(2)
	v_mul_f64 v[114:115], v[76:77], v[68:69]
	v_mul_f64 v[116:117], v[76:77], v[72:73]
	v_fma_f64 v[86:87], v[26:27], v[30:31], -v[86:87]
	v_fma_f64 v[88:89], v[28:29], v[30:31], v[88:89]
	v_fma_f64 v[90:91], v[26:27], v[34:35], -v[90:91]
	v_fma_f64 v[92:93], v[28:29], v[34:35], v[92:93]
	;; [unrolled: 2-line block ×4, first 2 shown]
	v_mul_f64 v[36:37], v[60:61], v[68:69]
	v_mul_f64 v[40:41], v[58:59], v[68:69]
	v_mul_f64 v[96:97], v[60:61], v[72:73]
	v_mul_f64 v[68:69], v[74:75], v[68:69]
	v_mul_f64 v[72:73], v[74:75], v[72:73]
	v_fma_f64 v[98:99], v[42:43], v[50:51], -v[98:99]
	v_fma_f64 v[100:101], v[44:45], v[50:51], v[100:101]
	v_fma_f64 v[42:43], v[42:43], v[54:55], -v[102:103]
	v_fma_f64 v[44:45], v[44:45], v[54:55], v[104:105]
	;; [unrolled: 2-line block ×4, first 2 shown]
	ds_load_b128 v[26:29], v22 offset:1792
	ds_load_b128 v[30:33], v22 offset:2048
	s_waitcnt lgkmcnt(2)
	v_mul_f64 v[56:57], v[64:65], v[84:85]
	v_add_f64 v[12:13], v[12:13], v[86:87]
	v_add_f64 v[14:15], v[14:15], v[88:89]
	;; [unrolled: 1-line block ×8, first 2 shown]
	v_mul_f64 v[86:87], v[62:63], v[84:85]
	s_waitcnt lgkmcnt(1)
	v_mul_f64 v[88:89], v[64:65], v[28:29]
	v_mul_f64 v[90:91], v[62:63], v[28:29]
	;; [unrolled: 1-line block ×6, first 2 shown]
	v_fma_f64 v[104:105], v[58:59], v[66:67], -v[36:37]
	v_fma_f64 v[106:107], v[60:61], v[66:67], v[40:41]
	v_fma_f64 v[58:59], v[58:59], v[70:71], -v[96:97]
	v_fma_f64 v[60:61], v[60:61], v[70:71], v[112:113]
	;; [unrolled: 2-line block ×4, first 2 shown]
	ds_load_b128 v[0:3], v22 offset:2304
	ds_load_b128 v[4:7], v23 offset:64
	v_fma_f64 v[56:57], v[62:63], v[82:83], -v[56:57]
	v_add_f64 v[72:73], v[12:13], v[98:99]
	v_add_f64 v[74:75], v[14:15], v[100:101]
	;; [unrolled: 1-line block ×8, first 2 shown]
	ds_load_b128 v[8:11], v23 offset:2112
	ds_load_b128 v[12:15], v23 offset:80
	;; [unrolled: 1-line block ×4, first 2 shown]
	s_waitcnt lgkmcnt(4)
	v_mul_f64 v[54:55], v[6:7], v[32:33]
	v_mul_f64 v[76:77], v[4:5], v[32:33]
	;; [unrolled: 1-line block ×4, first 2 shown]
	v_fma_f64 v[86:87], v[64:65], v[82:83], v[86:87]
	v_fma_f64 v[62:63], v[62:63], v[26:27], -v[88:89]
	v_fma_f64 v[64:65], v[64:65], v[26:27], v[90:91]
	v_fma_f64 v[88:89], v[78:79], v[82:83], -v[92:93]
	;; [unrolled: 2-line block ×3, first 2 shown]
	v_fma_f64 v[80:81], v[80:81], v[26:27], v[28:29]
	s_waitcnt lgkmcnt(3)
	v_mul_f64 v[102:103], v[10:11], v[32:33]
	v_mul_f64 v[32:33], v[8:9], v[32:33]
	;; [unrolled: 1-line block ×4, first 2 shown]
	s_waitcnt lgkmcnt(0)
	v_mul_f64 v[90:91], v[14:15], v[40:41]
	v_mul_f64 v[92:93], v[12:13], v[40:41]
	v_add_f64 v[72:73], v[72:73], v[104:105]
	v_add_f64 v[74:75], v[74:75], v[106:107]
	;; [unrolled: 1-line block ×8, first 2 shown]
	ds_load_b128 v[26:29], v22 offset:2816
	ds_load_b128 v[42:45], v22 offset:3072
	ds_load_b128 v[46:49], v22 offset:3328
	ds_load_b128 v[50:53], v23 offset:96
	v_mul_f64 v[104:105], v[36:37], v[40:41]
	v_mul_f64 v[40:41], v[34:35], v[40:41]
	v_fma_f64 v[54:55], v[4:5], v[30:31], -v[54:55]
	v_fma_f64 v[76:77], v[6:7], v[30:31], v[76:77]
	v_fma_f64 v[98:99], v[4:5], v[0:1], -v[98:99]
	v_fma_f64 v[100:101], v[6:7], v[0:1], v[100:101]
	s_waitcnt lgkmcnt(3)
	v_mul_f64 v[94:95], v[14:15], v[28:29]
	v_mul_f64 v[96:97], v[12:13], v[28:29]
	;; [unrolled: 1-line block ×4, first 2 shown]
	v_fma_f64 v[102:103], v[8:9], v[30:31], -v[102:103]
	v_fma_f64 v[32:33], v[10:11], v[30:31], v[32:33]
	v_fma_f64 v[108:109], v[8:9], v[0:1], -v[108:109]
	v_fma_f64 v[112:113], v[10:11], v[0:1], v[2:3]
	ds_load_b128 v[0:3], v23 offset:2144
	ds_load_b128 v[4:7], v23 offset:112
	ds_load_b128 v[8:11], v23 offset:2160
	ds_load_b128 v[28:31], v22 offset:3584
	v_add_f64 v[56:57], v[72:73], v[56:57]
	v_add_f64 v[72:73], v[74:75], v[86:87]
	;; [unrolled: 1-line block ×8, first 2 shown]
	s_waitcnt lgkmcnt(4)
	v_mul_f64 v[70:71], v[52:53], v[44:45]
	v_mul_f64 v[74:75], v[50:51], v[44:45]
	;; [unrolled: 1-line block ×4, first 2 shown]
	s_waitcnt lgkmcnt(3)
	v_mul_f64 v[82:83], v[2:3], v[44:45]
	v_mul_f64 v[44:45], v[0:1], v[44:45]
	;; [unrolled: 1-line block ×4, first 2 shown]
	v_fma_f64 v[86:87], v[12:13], v[38:39], -v[90:91]
	v_fma_f64 v[88:89], v[14:15], v[38:39], v[92:93]
	v_fma_f64 v[90:91], v[12:13], v[26:27], -v[94:95]
	v_fma_f64 v[92:93], v[14:15], v[26:27], v[96:97]
	v_fma_f64 v[94:95], v[34:35], v[38:39], -v[104:105]
	v_fma_f64 v[38:39], v[36:37], v[38:39], v[40:41]
	v_fma_f64 v[34:35], v[34:35], v[26:27], -v[106:107]
	v_fma_f64 v[26:27], v[36:37], v[26:27], v[110:111]
	ds_load_b128 v[12:15], v22 offset:3840
	s_waitcnt lgkmcnt(0)
	s_barrier
	buffer_gl0_inv
	v_add_f64 v[36:37], v[56:57], v[54:55]
	v_add_f64 v[40:41], v[72:73], v[76:77]
	;; [unrolled: 1-line block ×8, first 2 shown]
	v_mul_f64 v[64:65], v[6:7], v[30:31]
	v_mul_f64 v[66:67], v[4:5], v[30:31]
	;; [unrolled: 1-line block ×4, first 2 shown]
	v_fma_f64 v[70:71], v[50:51], v[42:43], -v[70:71]
	v_mul_f64 v[68:69], v[6:7], v[14:15]
	v_mul_f64 v[72:73], v[4:5], v[14:15]
	;; [unrolled: 1-line block ×4, first 2 shown]
	v_fma_f64 v[74:75], v[52:53], v[42:43], v[74:75]
	v_fma_f64 v[50:51], v[50:51], v[46:47], -v[78:79]
	v_fma_f64 v[52:53], v[52:53], v[46:47], v[80:81]
	v_fma_f64 v[78:79], v[0:1], v[42:43], -v[82:83]
	;; [unrolled: 2-line block ×3, first 2 shown]
	v_fma_f64 v[2:3], v[2:3], v[46:47], v[48:49]
	v_add_f64 v[36:37], v[36:37], v[86:87]
	v_add_f64 v[40:41], v[40:41], v[88:89]
	;; [unrolled: 1-line block ×8, first 2 shown]
	v_fma_f64 v[38:39], v[4:5], v[28:29], -v[64:65]
	v_fma_f64 v[54:55], v[6:7], v[28:29], v[66:67]
	v_fma_f64 v[56:57], v[8:9], v[28:29], -v[76:77]
	v_fma_f64 v[28:29], v[10:11], v[28:29], v[30:31]
	;; [unrolled: 2-line block ×4, first 2 shown]
	v_add_f64 v[8:9], v[36:37], v[70:71]
	v_add_f64 v[10:11], v[40:41], v[74:75]
	;; [unrolled: 1-line block ×16, first 2 shown]
	s_cbranch_scc0 .LBB716_2
.LBB716_3:
	s_load_b32 s3, s[0:1], 0x40
	v_add_nc_u32_e32 v18, s10, v21
	v_add_nc_u32_e32 v16, s6, v20
	s_delay_alu instid0(VALU_DEP_2) | instskip(NEXT) | instid1(VALU_DEP_2)
	v_cmp_gt_i32_e32 vcc_lo, s2, v18
	v_cmp_le_i32_e64 s0, v16, v18
	s_delay_alu instid0(VALU_DEP_1) | instskip(SKIP_2) | instid1(VALU_DEP_1)
	s_and_b32 s0, vcc_lo, s0
	s_waitcnt lgkmcnt(0)
	v_mad_i64_i32 v[21:22], null, v18, s3, 0
	v_lshlrev_b64 v[19:20], 4, v[21:22]
	s_delay_alu instid0(VALU_DEP_1) | instskip(NEXT) | instid1(VALU_DEP_1)
	v_add_co_u32 v19, s1, s4, v19
	v_add_co_ci_u32_e64 v20, s1, s5, v20, s1
	s_and_saveexec_b32 s1, s0
	s_cbranch_execz .LBB716_5
; %bb.4:
	v_ashrrev_i32_e32 v17, 31, v16
	v_xor_b32_e32 v13, 0x80000000, v13
	v_xor_b32_e32 v15, 0x80000000, v15
	s_delay_alu instid0(VALU_DEP_3) | instskip(NEXT) | instid1(VALU_DEP_1)
	v_lshlrev_b64 v[21:22], 4, v[16:17]
	v_add_co_u32 v21, s0, v19, v21
	s_delay_alu instid0(VALU_DEP_1)
	v_add_co_ci_u32_e64 v22, s0, v20, v22, s0
	global_store_b128 v[21:22], v[12:15], off
.LBB716_5:
	s_or_b32 exec_lo, exec_lo, s1
	v_add_nc_u32_e32 v12, 16, v16
	s_delay_alu instid0(VALU_DEP_1) | instskip(NEXT) | instid1(VALU_DEP_1)
	v_cmp_le_i32_e64 s0, v12, v18
	s_and_b32 s1, vcc_lo, s0
	s_delay_alu instid0(SALU_CYCLE_1)
	s_and_saveexec_b32 s0, s1
	s_cbranch_execz .LBB716_7
; %bb.6:
	v_ashrrev_i32_e32 v13, 31, v12
	v_xor_b32_e32 v9, 0x80000000, v9
	v_xor_b32_e32 v11, 0x80000000, v11
	s_delay_alu instid0(VALU_DEP_3) | instskip(NEXT) | instid1(VALU_DEP_1)
	v_lshlrev_b64 v[13:14], 4, v[12:13]
	v_add_co_u32 v13, vcc_lo, v19, v13
	s_delay_alu instid0(VALU_DEP_2)
	v_add_co_ci_u32_e32 v14, vcc_lo, v20, v14, vcc_lo
	global_store_b128 v[13:14], v[8:11], off
.LBB716_7:
	s_or_b32 exec_lo, exec_lo, s0
	v_add_nc_u32_e32 v10, 16, v18
	s_delay_alu instid0(VALU_DEP_1) | instskip(SKIP_2) | instid1(VALU_DEP_1)
	v_mad_i64_i32 v[8:9], null, v10, s3, 0
	v_cmp_gt_i32_e32 vcc_lo, s2, v10
	v_cmp_le_i32_e64 s0, v16, v10
	s_and_b32 s0, vcc_lo, s0
	s_delay_alu instid0(VALU_DEP_3) | instskip(NEXT) | instid1(VALU_DEP_1)
	v_lshlrev_b64 v[8:9], 4, v[8:9]
	v_add_co_u32 v8, s1, s4, v8
	s_delay_alu instid0(VALU_DEP_1)
	v_add_co_ci_u32_e64 v9, s1, s5, v9, s1
	s_and_saveexec_b32 s1, s0
	s_cbranch_execz .LBB716_9
; %bb.8:
	v_ashrrev_i32_e32 v17, 31, v16
	v_xor_b32_e32 v5, 0x80000000, v5
	v_xor_b32_e32 v7, 0x80000000, v7
	s_delay_alu instid0(VALU_DEP_3) | instskip(NEXT) | instid1(VALU_DEP_1)
	v_lshlrev_b64 v[13:14], 4, v[16:17]
	v_add_co_u32 v13, s0, v8, v13
	s_delay_alu instid0(VALU_DEP_1)
	v_add_co_ci_u32_e64 v14, s0, v9, v14, s0
	global_store_b128 v[13:14], v[4:7], off
.LBB716_9:
	s_or_b32 exec_lo, exec_lo, s1
	v_cmp_le_i32_e64 s0, v12, v10
	s_delay_alu instid0(VALU_DEP_1) | instskip(NEXT) | instid1(SALU_CYCLE_1)
	s_and_b32 s0, vcc_lo, s0
	s_and_saveexec_b32 s1, s0
	s_cbranch_execz .LBB716_11
; %bb.10:
	v_ashrrev_i32_e32 v13, 31, v12
	v_xor_b32_e32 v1, 0x80000000, v1
	v_xor_b32_e32 v3, 0x80000000, v3
	s_delay_alu instid0(VALU_DEP_3) | instskip(NEXT) | instid1(VALU_DEP_1)
	v_lshlrev_b64 v[4:5], 4, v[12:13]
	v_add_co_u32 v4, vcc_lo, v8, v4
	s_delay_alu instid0(VALU_DEP_2)
	v_add_co_ci_u32_e32 v5, vcc_lo, v9, v5, vcc_lo
	global_store_b128 v[4:5], v[0:3], off
.LBB716_11:
	s_nop 0
	s_sendmsg sendmsg(MSG_DEALLOC_VGPRS)
	s_endpgm
	.section	.rodata,"a",@progbits
	.p2align	6, 0x0
	.amdhsa_kernel _ZL37rocblas_syrkx_herkx_restricted_kernelIi19rocblas_complex_numIdELi16ELi32ELi8ELin1ELi0ELb0ELc84ELc85EKPKS1_KPS1_EviT_PT9_S7_lS9_S7_lPT10_S7_li
		.amdhsa_group_segment_fixed_size 8192
		.amdhsa_private_segment_fixed_size 0
		.amdhsa_kernarg_size 84
		.amdhsa_user_sgpr_count 13
		.amdhsa_user_sgpr_dispatch_ptr 0
		.amdhsa_user_sgpr_queue_ptr 0
		.amdhsa_user_sgpr_kernarg_segment_ptr 1
		.amdhsa_user_sgpr_dispatch_id 0
		.amdhsa_user_sgpr_private_segment_size 0
		.amdhsa_wavefront_size32 1
		.amdhsa_uses_dynamic_stack 0
		.amdhsa_enable_private_segment 0
		.amdhsa_system_sgpr_workgroup_id_x 1
		.amdhsa_system_sgpr_workgroup_id_y 1
		.amdhsa_system_sgpr_workgroup_id_z 1
		.amdhsa_system_sgpr_workgroup_info 0
		.amdhsa_system_vgpr_workitem_id 1
		.amdhsa_next_free_vgpr 118
		.amdhsa_next_free_sgpr 17
		.amdhsa_reserve_vcc 1
		.amdhsa_float_round_mode_32 0
		.amdhsa_float_round_mode_16_64 0
		.amdhsa_float_denorm_mode_32 3
		.amdhsa_float_denorm_mode_16_64 3
		.amdhsa_dx10_clamp 1
		.amdhsa_ieee_mode 1
		.amdhsa_fp16_overflow 0
		.amdhsa_workgroup_processor_mode 1
		.amdhsa_memory_ordered 1
		.amdhsa_forward_progress 0
		.amdhsa_shared_vgpr_count 0
		.amdhsa_exception_fp_ieee_invalid_op 0
		.amdhsa_exception_fp_denorm_src 0
		.amdhsa_exception_fp_ieee_div_zero 0
		.amdhsa_exception_fp_ieee_overflow 0
		.amdhsa_exception_fp_ieee_underflow 0
		.amdhsa_exception_fp_ieee_inexact 0
		.amdhsa_exception_int_div_zero 0
	.end_amdhsa_kernel
	.section	.text._ZL37rocblas_syrkx_herkx_restricted_kernelIi19rocblas_complex_numIdELi16ELi32ELi8ELin1ELi0ELb0ELc84ELc85EKPKS1_KPS1_EviT_PT9_S7_lS9_S7_lPT10_S7_li,"axG",@progbits,_ZL37rocblas_syrkx_herkx_restricted_kernelIi19rocblas_complex_numIdELi16ELi32ELi8ELin1ELi0ELb0ELc84ELc85EKPKS1_KPS1_EviT_PT9_S7_lS9_S7_lPT10_S7_li,comdat
.Lfunc_end716:
	.size	_ZL37rocblas_syrkx_herkx_restricted_kernelIi19rocblas_complex_numIdELi16ELi32ELi8ELin1ELi0ELb0ELc84ELc85EKPKS1_KPS1_EviT_PT9_S7_lS9_S7_lPT10_S7_li, .Lfunc_end716-_ZL37rocblas_syrkx_herkx_restricted_kernelIi19rocblas_complex_numIdELi16ELi32ELi8ELin1ELi0ELb0ELc84ELc85EKPKS1_KPS1_EviT_PT9_S7_lS9_S7_lPT10_S7_li
                                        ; -- End function
	.section	.AMDGPU.csdata,"",@progbits
; Kernel info:
; codeLenInByte = 2920
; NumSgprs: 19
; NumVgprs: 118
; ScratchSize: 0
; MemoryBound: 0
; FloatMode: 240
; IeeeMode: 1
; LDSByteSize: 8192 bytes/workgroup (compile time only)
; SGPRBlocks: 2
; VGPRBlocks: 14
; NumSGPRsForWavesPerEU: 19
; NumVGPRsForWavesPerEU: 118
; Occupancy: 12
; WaveLimiterHint : 1
; COMPUTE_PGM_RSRC2:SCRATCH_EN: 0
; COMPUTE_PGM_RSRC2:USER_SGPR: 13
; COMPUTE_PGM_RSRC2:TRAP_HANDLER: 0
; COMPUTE_PGM_RSRC2:TGID_X_EN: 1
; COMPUTE_PGM_RSRC2:TGID_Y_EN: 1
; COMPUTE_PGM_RSRC2:TGID_Z_EN: 1
; COMPUTE_PGM_RSRC2:TIDIG_COMP_CNT: 1
	.section	.text._ZL37rocblas_syrkx_herkx_restricted_kernelIi19rocblas_complex_numIdELi16ELi32ELi8ELin1ELi0ELb0ELc67ELc85EKPKS1_KPS1_EviT_PT9_S7_lS9_S7_lPT10_S7_li,"axG",@progbits,_ZL37rocblas_syrkx_herkx_restricted_kernelIi19rocblas_complex_numIdELi16ELi32ELi8ELin1ELi0ELb0ELc67ELc85EKPKS1_KPS1_EviT_PT9_S7_lS9_S7_lPT10_S7_li,comdat
	.globl	_ZL37rocblas_syrkx_herkx_restricted_kernelIi19rocblas_complex_numIdELi16ELi32ELi8ELin1ELi0ELb0ELc67ELc85EKPKS1_KPS1_EviT_PT9_S7_lS9_S7_lPT10_S7_li ; -- Begin function _ZL37rocblas_syrkx_herkx_restricted_kernelIi19rocblas_complex_numIdELi16ELi32ELi8ELin1ELi0ELb0ELc67ELc85EKPKS1_KPS1_EviT_PT9_S7_lS9_S7_lPT10_S7_li
	.p2align	8
	.type	_ZL37rocblas_syrkx_herkx_restricted_kernelIi19rocblas_complex_numIdELi16ELi32ELi8ELin1ELi0ELb0ELc67ELc85EKPKS1_KPS1_EviT_PT9_S7_lS9_S7_lPT10_S7_li,@function
_ZL37rocblas_syrkx_herkx_restricted_kernelIi19rocblas_complex_numIdELi16ELi32ELi8ELin1ELi0ELb0ELc67ELc85EKPKS1_KPS1_EviT_PT9_S7_lS9_S7_lPT10_S7_li: ; @_ZL37rocblas_syrkx_herkx_restricted_kernelIi19rocblas_complex_numIdELi16ELi32ELi8ELin1ELi0ELb0ELc67ELc85EKPKS1_KPS1_EviT_PT9_S7_lS9_S7_lPT10_S7_li
; %bb.0:
	s_clause 0x1
	s_load_b64 s[4:5], s[0:1], 0x38
	s_load_b64 s[2:3], s[0:1], 0x0
	s_mov_b32 s6, s15
	s_mov_b32 s7, 0
	v_mov_b32_e32 v12, 0
	s_lshl_b64 s[8:9], s[6:7], 3
	v_dual_mov_b32 v13, 0 :: v_dual_and_b32 v20, 0x3ff, v0
	v_bfe_u32 v21, v0, 10, 10
	s_delay_alu instid0(VALU_DEP_3) | instskip(NEXT) | instid1(VALU_DEP_3)
	v_mov_b32_e32 v8, v12
	v_dual_mov_b32 v10, v12 :: v_dual_mov_b32 v11, v13
	v_dual_mov_b32 v15, v13 :: v_dual_mov_b32 v14, v12
	;; [unrolled: 1-line block ×5, first 2 shown]
	v_mov_b32_e32 v1, v13
	s_waitcnt lgkmcnt(0)
	s_add_u32 s4, s4, s8
	s_addc_u32 s5, s5, s9
	v_dual_mov_b32 v2, v12 :: v_dual_mov_b32 v3, v13
	s_load_b64 s[4:5], s[4:5], 0x0
	s_lshl_b32 s6, s13, 5
	s_lshl_b32 s10, s14, 5
	s_cmp_lt_i32 s3, 1
	s_cbranch_scc1 .LBB717_3
; %bb.1:
	s_clause 0x3
	s_load_b64 s[12:13], s[0:1], 0x8
	s_load_b64 s[14:15], s[0:1], 0x20
	s_load_b32 s11, s[0:1], 0x10
	s_load_b32 s16, s[0:1], 0x28
	v_lshl_add_u32 v4, v21, 4, v20
	v_dual_mov_b32 v1, 0 :: v_dual_and_b32 v0, 7, v20
	v_mov_b32_e32 v2, 0
	v_dual_mov_b32 v3, 0 :: v_dual_lshlrev_b32 v22, 4, v20
	s_delay_alu instid0(VALU_DEP_4)
	v_and_b32_e32 v11, 31, v4
	v_lshrrev_b32_e32 v10, 3, v4
	v_lshrrev_b32_e32 v4, 5, v4
	v_mov_b32_e32 v5, v1
	v_lshl_add_u32 v23, v21, 7, 0x1000
	v_add_nc_u32_e32 v8, s6, v11
	v_dual_mov_b32 v15, v3 :: v_dual_add_nc_u32 v12, s10, v10
	v_mov_b32_e32 v14, v2
	s_waitcnt lgkmcnt(0)
	s_add_u32 s12, s12, s8
	s_addc_u32 s13, s13, s9
	s_add_u32 s8, s14, s8
	s_load_b64 s[12:13], s[12:13], 0x0
	s_addc_u32 s9, s15, s9
	v_mad_i64_i32 v[6:7], null, s11, v8, v[4:5]
	s_load_b64 s[8:9], s[8:9], 0x0
	v_lshlrev_b32_e32 v5, 4, v0
	v_mad_i64_i32 v[8:9], null, s16, v12, v[0:1]
	v_mov_b32_e32 v0, v2
	v_lshlrev_b32_e32 v12, 4, v11
	s_delay_alu instid0(VALU_DEP_4) | instskip(SKIP_2) | instid1(VALU_DEP_4)
	v_lshl_or_b32 v5, v10, 7, v5
	v_lshlrev_b64 v[10:11], 4, v[6:7]
	v_dual_mov_b32 v7, v3 :: v_dual_mov_b32 v6, v2
	v_lshl_or_b32 v24, v4, 9, v12
	s_delay_alu instid0(VALU_DEP_4)
	v_add_nc_u32_e32 v25, 0x1000, v5
	v_lshlrev_b64 v[4:5], 4, v[8:9]
	v_mov_b32_e32 v1, v3
	v_dual_mov_b32 v13, v3 :: v_dual_mov_b32 v12, v2
	s_waitcnt lgkmcnt(0)
	v_add_co_u32 v8, vcc_lo, v10, s12
	v_add_co_ci_u32_e32 v9, vcc_lo, s13, v11, vcc_lo
	v_add_co_u32 v4, vcc_lo, v4, s8
	v_add_co_ci_u32_e32 v5, vcc_lo, s9, v5, vcc_lo
	s_delay_alu instid0(VALU_DEP_4) | instskip(NEXT) | instid1(VALU_DEP_4)
	v_add_co_u32 v16, vcc_lo, v8, 8
	v_add_co_ci_u32_e32 v17, vcc_lo, 0, v9, vcc_lo
	s_delay_alu instid0(VALU_DEP_4) | instskip(NEXT) | instid1(VALU_DEP_4)
	v_add_co_u32 v18, vcc_lo, v4, 8
	v_add_co_ci_u32_e32 v19, vcc_lo, 0, v5, vcc_lo
	v_dual_mov_b32 v5, v3 :: v_dual_mov_b32 v4, v2
	v_dual_mov_b32 v11, v3 :: v_dual_mov_b32 v10, v2
	;; [unrolled: 1-line block ×3, first 2 shown]
.LBB717_2:                              ; =>This Inner Loop Header: Depth=1
	global_load_b128 v[26:29], v[16:17], off offset:-8
	global_load_b128 v[30:33], v[18:19], off offset:-8
	v_add_co_u32 v16, vcc_lo, 0x80, v16
	v_add_co_ci_u32_e32 v17, vcc_lo, 0, v17, vcc_lo
	v_add_co_u32 v18, vcc_lo, 0x80, v18
	v_add_co_ci_u32_e32 v19, vcc_lo, 0, v19, vcc_lo
	s_add_i32 s7, s7, 8
	s_waitcnt vmcnt(1)
	ds_store_b128 v24, v[26:29]
	s_waitcnt vmcnt(0)
	ds_store_b128 v25, v[30:33]
	s_waitcnt lgkmcnt(0)
	s_barrier
	buffer_gl0_inv
	ds_load_b128 v[26:29], v23
	ds_load_b128 v[30:33], v22
	ds_load_b128 v[34:37], v22 offset:256
	ds_load_b128 v[38:41], v23 offset:2048
	;; [unrolled: 1-line block ×13, first 2 shown]
	s_cmp_ge_i32 s7, s3
	s_waitcnt lgkmcnt(13)
	v_mul_f64 v[86:87], v[28:29], v[32:33]
	v_mul_f64 v[88:89], v[26:27], v[32:33]
	s_waitcnt lgkmcnt(12)
	v_mul_f64 v[90:91], v[28:29], v[36:37]
	v_mul_f64 v[92:93], v[26:27], v[36:37]
	;; [unrolled: 3-line block ×3, first 2 shown]
	v_mul_f64 v[96:97], v[40:41], v[36:37]
	v_mul_f64 v[36:37], v[38:39], v[36:37]
	s_waitcnt lgkmcnt(8)
	v_mul_f64 v[98:99], v[44:45], v[52:53]
	v_mul_f64 v[100:101], v[42:43], v[52:53]
	s_waitcnt lgkmcnt(7)
	v_mul_f64 v[102:103], v[44:45], v[56:57]
	v_mul_f64 v[104:105], v[42:43], v[56:57]
	;; [unrolled: 1-line block ×6, first 2 shown]
	s_waitcnt lgkmcnt(3)
	v_mul_f64 v[112:113], v[58:59], v[72:73]
	s_waitcnt lgkmcnt(2)
	v_mul_f64 v[114:115], v[76:77], v[68:69]
	v_mul_f64 v[116:117], v[76:77], v[72:73]
	v_fma_f64 v[86:87], v[26:27], v[30:31], -v[86:87]
	v_fma_f64 v[88:89], v[28:29], v[30:31], v[88:89]
	v_fma_f64 v[90:91], v[26:27], v[34:35], -v[90:91]
	v_fma_f64 v[92:93], v[28:29], v[34:35], v[92:93]
	;; [unrolled: 2-line block ×4, first 2 shown]
	v_mul_f64 v[36:37], v[60:61], v[68:69]
	v_mul_f64 v[40:41], v[58:59], v[68:69]
	;; [unrolled: 1-line block ×5, first 2 shown]
	v_fma_f64 v[98:99], v[42:43], v[50:51], -v[98:99]
	v_fma_f64 v[100:101], v[44:45], v[50:51], v[100:101]
	v_fma_f64 v[42:43], v[42:43], v[54:55], -v[102:103]
	v_fma_f64 v[44:45], v[44:45], v[54:55], v[104:105]
	;; [unrolled: 2-line block ×4, first 2 shown]
	ds_load_b128 v[26:29], v22 offset:1792
	ds_load_b128 v[30:33], v22 offset:2048
	s_waitcnt lgkmcnt(2)
	v_mul_f64 v[56:57], v[64:65], v[84:85]
	v_add_f64 v[12:13], v[12:13], v[86:87]
	v_add_f64 v[14:15], v[14:15], v[88:89]
	;; [unrolled: 1-line block ×8, first 2 shown]
	v_mul_f64 v[86:87], v[62:63], v[84:85]
	s_waitcnt lgkmcnt(1)
	v_mul_f64 v[88:89], v[64:65], v[28:29]
	v_mul_f64 v[90:91], v[62:63], v[28:29]
	;; [unrolled: 1-line block ×6, first 2 shown]
	v_fma_f64 v[104:105], v[58:59], v[66:67], -v[36:37]
	v_fma_f64 v[106:107], v[60:61], v[66:67], v[40:41]
	v_fma_f64 v[58:59], v[58:59], v[70:71], -v[96:97]
	v_fma_f64 v[60:61], v[60:61], v[70:71], v[112:113]
	;; [unrolled: 2-line block ×4, first 2 shown]
	ds_load_b128 v[0:3], v22 offset:2304
	ds_load_b128 v[4:7], v23 offset:64
	v_fma_f64 v[56:57], v[62:63], v[82:83], -v[56:57]
	v_add_f64 v[72:73], v[12:13], v[98:99]
	v_add_f64 v[74:75], v[14:15], v[100:101]
	;; [unrolled: 1-line block ×8, first 2 shown]
	ds_load_b128 v[8:11], v23 offset:2112
	ds_load_b128 v[12:15], v23 offset:80
	;; [unrolled: 1-line block ×4, first 2 shown]
	s_waitcnt lgkmcnt(4)
	v_mul_f64 v[54:55], v[6:7], v[32:33]
	v_mul_f64 v[76:77], v[4:5], v[32:33]
	;; [unrolled: 1-line block ×4, first 2 shown]
	v_fma_f64 v[86:87], v[64:65], v[82:83], v[86:87]
	v_fma_f64 v[62:63], v[62:63], v[26:27], -v[88:89]
	v_fma_f64 v[64:65], v[64:65], v[26:27], v[90:91]
	v_fma_f64 v[88:89], v[78:79], v[82:83], -v[92:93]
	;; [unrolled: 2-line block ×3, first 2 shown]
	v_fma_f64 v[80:81], v[80:81], v[26:27], v[28:29]
	s_waitcnt lgkmcnt(3)
	v_mul_f64 v[102:103], v[10:11], v[32:33]
	v_mul_f64 v[32:33], v[8:9], v[32:33]
	;; [unrolled: 1-line block ×4, first 2 shown]
	s_waitcnt lgkmcnt(0)
	v_mul_f64 v[90:91], v[14:15], v[40:41]
	v_mul_f64 v[92:93], v[12:13], v[40:41]
	v_add_f64 v[72:73], v[72:73], v[104:105]
	v_add_f64 v[74:75], v[74:75], v[106:107]
	;; [unrolled: 1-line block ×8, first 2 shown]
	ds_load_b128 v[26:29], v22 offset:2816
	ds_load_b128 v[42:45], v22 offset:3072
	ds_load_b128 v[46:49], v22 offset:3328
	ds_load_b128 v[50:53], v23 offset:96
	v_mul_f64 v[104:105], v[36:37], v[40:41]
	v_mul_f64 v[40:41], v[34:35], v[40:41]
	v_fma_f64 v[54:55], v[4:5], v[30:31], -v[54:55]
	v_fma_f64 v[76:77], v[6:7], v[30:31], v[76:77]
	v_fma_f64 v[98:99], v[4:5], v[0:1], -v[98:99]
	v_fma_f64 v[100:101], v[6:7], v[0:1], v[100:101]
	s_waitcnt lgkmcnt(3)
	v_mul_f64 v[94:95], v[14:15], v[28:29]
	v_mul_f64 v[96:97], v[12:13], v[28:29]
	;; [unrolled: 1-line block ×4, first 2 shown]
	v_fma_f64 v[102:103], v[8:9], v[30:31], -v[102:103]
	v_fma_f64 v[32:33], v[10:11], v[30:31], v[32:33]
	v_fma_f64 v[108:109], v[8:9], v[0:1], -v[108:109]
	v_fma_f64 v[112:113], v[10:11], v[0:1], v[2:3]
	ds_load_b128 v[0:3], v23 offset:2144
	ds_load_b128 v[4:7], v23 offset:112
	;; [unrolled: 1-line block ×4, first 2 shown]
	v_add_f64 v[56:57], v[72:73], v[56:57]
	v_add_f64 v[72:73], v[74:75], v[86:87]
	;; [unrolled: 1-line block ×8, first 2 shown]
	s_waitcnt lgkmcnt(4)
	v_mul_f64 v[70:71], v[52:53], v[44:45]
	v_mul_f64 v[74:75], v[50:51], v[44:45]
	;; [unrolled: 1-line block ×4, first 2 shown]
	s_waitcnt lgkmcnt(3)
	v_mul_f64 v[82:83], v[2:3], v[44:45]
	v_mul_f64 v[44:45], v[0:1], v[44:45]
	;; [unrolled: 1-line block ×4, first 2 shown]
	v_fma_f64 v[86:87], v[12:13], v[38:39], -v[90:91]
	v_fma_f64 v[88:89], v[14:15], v[38:39], v[92:93]
	v_fma_f64 v[90:91], v[12:13], v[26:27], -v[94:95]
	v_fma_f64 v[92:93], v[14:15], v[26:27], v[96:97]
	;; [unrolled: 2-line block ×4, first 2 shown]
	ds_load_b128 v[12:15], v22 offset:3840
	s_waitcnt lgkmcnt(0)
	s_barrier
	buffer_gl0_inv
	v_add_f64 v[36:37], v[56:57], v[54:55]
	v_add_f64 v[40:41], v[72:73], v[76:77]
	;; [unrolled: 1-line block ×8, first 2 shown]
	v_mul_f64 v[64:65], v[6:7], v[30:31]
	v_mul_f64 v[66:67], v[4:5], v[30:31]
	;; [unrolled: 1-line block ×4, first 2 shown]
	v_fma_f64 v[70:71], v[50:51], v[42:43], -v[70:71]
	v_mul_f64 v[68:69], v[6:7], v[14:15]
	v_mul_f64 v[72:73], v[4:5], v[14:15]
	;; [unrolled: 1-line block ×4, first 2 shown]
	v_fma_f64 v[74:75], v[52:53], v[42:43], v[74:75]
	v_fma_f64 v[50:51], v[50:51], v[46:47], -v[78:79]
	v_fma_f64 v[52:53], v[52:53], v[46:47], v[80:81]
	v_fma_f64 v[78:79], v[0:1], v[42:43], -v[82:83]
	;; [unrolled: 2-line block ×3, first 2 shown]
	v_fma_f64 v[2:3], v[2:3], v[46:47], v[48:49]
	v_add_f64 v[36:37], v[36:37], v[86:87]
	v_add_f64 v[40:41], v[40:41], v[88:89]
	;; [unrolled: 1-line block ×8, first 2 shown]
	v_fma_f64 v[38:39], v[4:5], v[28:29], -v[64:65]
	v_fma_f64 v[54:55], v[6:7], v[28:29], v[66:67]
	v_fma_f64 v[56:57], v[8:9], v[28:29], -v[76:77]
	v_fma_f64 v[28:29], v[10:11], v[28:29], v[30:31]
	;; [unrolled: 2-line block ×4, first 2 shown]
	v_add_f64 v[8:9], v[36:37], v[70:71]
	v_add_f64 v[10:11], v[40:41], v[74:75]
	;; [unrolled: 1-line block ×16, first 2 shown]
	s_cbranch_scc0 .LBB717_2
.LBB717_3:
	s_load_b32 s3, s[0:1], 0x40
	v_add_nc_u32_e32 v18, s10, v21
	v_add_nc_u32_e32 v16, s6, v20
	s_delay_alu instid0(VALU_DEP_2) | instskip(NEXT) | instid1(VALU_DEP_2)
	v_cmp_gt_i32_e32 vcc_lo, s2, v18
	v_cmp_le_i32_e64 s0, v16, v18
	s_delay_alu instid0(VALU_DEP_1) | instskip(SKIP_2) | instid1(VALU_DEP_1)
	s_and_b32 s0, vcc_lo, s0
	s_waitcnt lgkmcnt(0)
	v_mad_i64_i32 v[21:22], null, v18, s3, 0
	v_lshlrev_b64 v[19:20], 4, v[21:22]
	s_delay_alu instid0(VALU_DEP_1) | instskip(NEXT) | instid1(VALU_DEP_1)
	v_add_co_u32 v19, s1, s4, v19
	v_add_co_ci_u32_e64 v20, s1, s5, v20, s1
	s_and_saveexec_b32 s1, s0
	s_cbranch_execz .LBB717_5
; %bb.4:
	v_ashrrev_i32_e32 v17, 31, v16
	v_xor_b32_e32 v13, 0x80000000, v13
	v_xor_b32_e32 v15, 0x80000000, v15
	s_delay_alu instid0(VALU_DEP_3) | instskip(NEXT) | instid1(VALU_DEP_1)
	v_lshlrev_b64 v[21:22], 4, v[16:17]
	v_add_co_u32 v21, s0, v19, v21
	s_delay_alu instid0(VALU_DEP_1)
	v_add_co_ci_u32_e64 v22, s0, v20, v22, s0
	global_store_b128 v[21:22], v[12:15], off
.LBB717_5:
	s_or_b32 exec_lo, exec_lo, s1
	v_add_nc_u32_e32 v12, 16, v16
	s_delay_alu instid0(VALU_DEP_1) | instskip(NEXT) | instid1(VALU_DEP_1)
	v_cmp_le_i32_e64 s0, v12, v18
	s_and_b32 s1, vcc_lo, s0
	s_delay_alu instid0(SALU_CYCLE_1)
	s_and_saveexec_b32 s0, s1
	s_cbranch_execz .LBB717_7
; %bb.6:
	v_ashrrev_i32_e32 v13, 31, v12
	v_xor_b32_e32 v9, 0x80000000, v9
	v_xor_b32_e32 v11, 0x80000000, v11
	s_delay_alu instid0(VALU_DEP_3) | instskip(NEXT) | instid1(VALU_DEP_1)
	v_lshlrev_b64 v[13:14], 4, v[12:13]
	v_add_co_u32 v13, vcc_lo, v19, v13
	s_delay_alu instid0(VALU_DEP_2)
	v_add_co_ci_u32_e32 v14, vcc_lo, v20, v14, vcc_lo
	global_store_b128 v[13:14], v[8:11], off
.LBB717_7:
	s_or_b32 exec_lo, exec_lo, s0
	v_add_nc_u32_e32 v10, 16, v18
	s_delay_alu instid0(VALU_DEP_1) | instskip(SKIP_2) | instid1(VALU_DEP_1)
	v_mad_i64_i32 v[8:9], null, v10, s3, 0
	v_cmp_gt_i32_e32 vcc_lo, s2, v10
	v_cmp_le_i32_e64 s0, v16, v10
	s_and_b32 s0, vcc_lo, s0
	s_delay_alu instid0(VALU_DEP_3) | instskip(NEXT) | instid1(VALU_DEP_1)
	v_lshlrev_b64 v[8:9], 4, v[8:9]
	v_add_co_u32 v8, s1, s4, v8
	s_delay_alu instid0(VALU_DEP_1)
	v_add_co_ci_u32_e64 v9, s1, s5, v9, s1
	s_and_saveexec_b32 s1, s0
	s_cbranch_execz .LBB717_9
; %bb.8:
	v_ashrrev_i32_e32 v17, 31, v16
	v_xor_b32_e32 v5, 0x80000000, v5
	v_xor_b32_e32 v7, 0x80000000, v7
	s_delay_alu instid0(VALU_DEP_3) | instskip(NEXT) | instid1(VALU_DEP_1)
	v_lshlrev_b64 v[13:14], 4, v[16:17]
	v_add_co_u32 v13, s0, v8, v13
	s_delay_alu instid0(VALU_DEP_1)
	v_add_co_ci_u32_e64 v14, s0, v9, v14, s0
	global_store_b128 v[13:14], v[4:7], off
.LBB717_9:
	s_or_b32 exec_lo, exec_lo, s1
	v_cmp_le_i32_e64 s0, v12, v10
	s_delay_alu instid0(VALU_DEP_1) | instskip(NEXT) | instid1(SALU_CYCLE_1)
	s_and_b32 s0, vcc_lo, s0
	s_and_saveexec_b32 s1, s0
	s_cbranch_execz .LBB717_11
; %bb.10:
	v_ashrrev_i32_e32 v13, 31, v12
	v_xor_b32_e32 v1, 0x80000000, v1
	v_xor_b32_e32 v3, 0x80000000, v3
	s_delay_alu instid0(VALU_DEP_3) | instskip(NEXT) | instid1(VALU_DEP_1)
	v_lshlrev_b64 v[4:5], 4, v[12:13]
	v_add_co_u32 v4, vcc_lo, v8, v4
	s_delay_alu instid0(VALU_DEP_2)
	v_add_co_ci_u32_e32 v5, vcc_lo, v9, v5, vcc_lo
	global_store_b128 v[4:5], v[0:3], off
.LBB717_11:
	s_nop 0
	s_sendmsg sendmsg(MSG_DEALLOC_VGPRS)
	s_endpgm
	.section	.rodata,"a",@progbits
	.p2align	6, 0x0
	.amdhsa_kernel _ZL37rocblas_syrkx_herkx_restricted_kernelIi19rocblas_complex_numIdELi16ELi32ELi8ELin1ELi0ELb0ELc67ELc85EKPKS1_KPS1_EviT_PT9_S7_lS9_S7_lPT10_S7_li
		.amdhsa_group_segment_fixed_size 8192
		.amdhsa_private_segment_fixed_size 0
		.amdhsa_kernarg_size 84
		.amdhsa_user_sgpr_count 13
		.amdhsa_user_sgpr_dispatch_ptr 0
		.amdhsa_user_sgpr_queue_ptr 0
		.amdhsa_user_sgpr_kernarg_segment_ptr 1
		.amdhsa_user_sgpr_dispatch_id 0
		.amdhsa_user_sgpr_private_segment_size 0
		.amdhsa_wavefront_size32 1
		.amdhsa_uses_dynamic_stack 0
		.amdhsa_enable_private_segment 0
		.amdhsa_system_sgpr_workgroup_id_x 1
		.amdhsa_system_sgpr_workgroup_id_y 1
		.amdhsa_system_sgpr_workgroup_id_z 1
		.amdhsa_system_sgpr_workgroup_info 0
		.amdhsa_system_vgpr_workitem_id 1
		.amdhsa_next_free_vgpr 118
		.amdhsa_next_free_sgpr 17
		.amdhsa_reserve_vcc 1
		.amdhsa_float_round_mode_32 0
		.amdhsa_float_round_mode_16_64 0
		.amdhsa_float_denorm_mode_32 3
		.amdhsa_float_denorm_mode_16_64 3
		.amdhsa_dx10_clamp 1
		.amdhsa_ieee_mode 1
		.amdhsa_fp16_overflow 0
		.amdhsa_workgroup_processor_mode 1
		.amdhsa_memory_ordered 1
		.amdhsa_forward_progress 0
		.amdhsa_shared_vgpr_count 0
		.amdhsa_exception_fp_ieee_invalid_op 0
		.amdhsa_exception_fp_denorm_src 0
		.amdhsa_exception_fp_ieee_div_zero 0
		.amdhsa_exception_fp_ieee_overflow 0
		.amdhsa_exception_fp_ieee_underflow 0
		.amdhsa_exception_fp_ieee_inexact 0
		.amdhsa_exception_int_div_zero 0
	.end_amdhsa_kernel
	.section	.text._ZL37rocblas_syrkx_herkx_restricted_kernelIi19rocblas_complex_numIdELi16ELi32ELi8ELin1ELi0ELb0ELc67ELc85EKPKS1_KPS1_EviT_PT9_S7_lS9_S7_lPT10_S7_li,"axG",@progbits,_ZL37rocblas_syrkx_herkx_restricted_kernelIi19rocblas_complex_numIdELi16ELi32ELi8ELin1ELi0ELb0ELc67ELc85EKPKS1_KPS1_EviT_PT9_S7_lS9_S7_lPT10_S7_li,comdat
.Lfunc_end717:
	.size	_ZL37rocblas_syrkx_herkx_restricted_kernelIi19rocblas_complex_numIdELi16ELi32ELi8ELin1ELi0ELb0ELc67ELc85EKPKS1_KPS1_EviT_PT9_S7_lS9_S7_lPT10_S7_li, .Lfunc_end717-_ZL37rocblas_syrkx_herkx_restricted_kernelIi19rocblas_complex_numIdELi16ELi32ELi8ELin1ELi0ELb0ELc67ELc85EKPKS1_KPS1_EviT_PT9_S7_lS9_S7_lPT10_S7_li
                                        ; -- End function
	.section	.AMDGPU.csdata,"",@progbits
; Kernel info:
; codeLenInByte = 2920
; NumSgprs: 19
; NumVgprs: 118
; ScratchSize: 0
; MemoryBound: 0
; FloatMode: 240
; IeeeMode: 1
; LDSByteSize: 8192 bytes/workgroup (compile time only)
; SGPRBlocks: 2
; VGPRBlocks: 14
; NumSGPRsForWavesPerEU: 19
; NumVGPRsForWavesPerEU: 118
; Occupancy: 12
; WaveLimiterHint : 1
; COMPUTE_PGM_RSRC2:SCRATCH_EN: 0
; COMPUTE_PGM_RSRC2:USER_SGPR: 13
; COMPUTE_PGM_RSRC2:TRAP_HANDLER: 0
; COMPUTE_PGM_RSRC2:TGID_X_EN: 1
; COMPUTE_PGM_RSRC2:TGID_Y_EN: 1
; COMPUTE_PGM_RSRC2:TGID_Z_EN: 1
; COMPUTE_PGM_RSRC2:TIDIG_COMP_CNT: 1
	.section	.text._ZL37rocblas_syrkx_herkx_restricted_kernelIi19rocblas_complex_numIdELi16ELi32ELi8ELin1ELi0ELb0ELc78ELc85EKPKS1_KPS1_EviT_PT9_S7_lS9_S7_lPT10_S7_li,"axG",@progbits,_ZL37rocblas_syrkx_herkx_restricted_kernelIi19rocblas_complex_numIdELi16ELi32ELi8ELin1ELi0ELb0ELc78ELc85EKPKS1_KPS1_EviT_PT9_S7_lS9_S7_lPT10_S7_li,comdat
	.globl	_ZL37rocblas_syrkx_herkx_restricted_kernelIi19rocblas_complex_numIdELi16ELi32ELi8ELin1ELi0ELb0ELc78ELc85EKPKS1_KPS1_EviT_PT9_S7_lS9_S7_lPT10_S7_li ; -- Begin function _ZL37rocblas_syrkx_herkx_restricted_kernelIi19rocblas_complex_numIdELi16ELi32ELi8ELin1ELi0ELb0ELc78ELc85EKPKS1_KPS1_EviT_PT9_S7_lS9_S7_lPT10_S7_li
	.p2align	8
	.type	_ZL37rocblas_syrkx_herkx_restricted_kernelIi19rocblas_complex_numIdELi16ELi32ELi8ELin1ELi0ELb0ELc78ELc85EKPKS1_KPS1_EviT_PT9_S7_lS9_S7_lPT10_S7_li,@function
_ZL37rocblas_syrkx_herkx_restricted_kernelIi19rocblas_complex_numIdELi16ELi32ELi8ELin1ELi0ELb0ELc78ELc85EKPKS1_KPS1_EviT_PT9_S7_lS9_S7_lPT10_S7_li: ; @_ZL37rocblas_syrkx_herkx_restricted_kernelIi19rocblas_complex_numIdELi16ELi32ELi8ELin1ELi0ELb0ELc78ELc85EKPKS1_KPS1_EviT_PT9_S7_lS9_S7_lPT10_S7_li
; %bb.0:
	s_clause 0x1
	s_load_b64 s[4:5], s[0:1], 0x38
	s_load_b64 s[2:3], s[0:1], 0x0
	s_mov_b32 s6, s15
	s_mov_b32 s7, 0
	v_mov_b32_e32 v12, 0
	s_lshl_b64 s[8:9], s[6:7], 3
	v_dual_mov_b32 v13, 0 :: v_dual_and_b32 v20, 0x3ff, v0
	v_bfe_u32 v21, v0, 10, 10
	s_delay_alu instid0(VALU_DEP_3) | instskip(NEXT) | instid1(VALU_DEP_3)
	v_mov_b32_e32 v8, v12
	v_dual_mov_b32 v10, v12 :: v_dual_mov_b32 v11, v13
	v_dual_mov_b32 v15, v13 :: v_dual_mov_b32 v14, v12
	;; [unrolled: 1-line block ×5, first 2 shown]
	v_mov_b32_e32 v1, v13
	s_waitcnt lgkmcnt(0)
	s_add_u32 s4, s4, s8
	s_addc_u32 s5, s5, s9
	v_dual_mov_b32 v2, v12 :: v_dual_mov_b32 v3, v13
	s_load_b64 s[4:5], s[4:5], 0x0
	s_lshl_b32 s6, s13, 5
	s_lshl_b32 s12, s14, 5
	s_cmp_lt_i32 s3, 1
	s_cbranch_scc1 .LBB718_3
; %bb.1:
	s_clause 0x3
	s_load_b32 s10, s[0:1], 0x10
	s_load_b32 s14, s[0:1], 0x28
	s_load_b64 s[16:17], s[0:1], 0x8
	s_load_b64 s[18:19], s[0:1], 0x20
	v_lshl_add_u32 v0, v21, 4, v20
	v_and_b32_e32 v10, 7, v20
	v_lshl_add_u32 v23, v21, 7, 0x1000
	s_delay_alu instid0(VALU_DEP_3) | instskip(SKIP_2) | instid1(VALU_DEP_3)
	v_and_b32_e32 v9, 31, v0
	v_lshrrev_b32_e32 v11, 5, v0
	v_lshrrev_b32_e32 v8, 3, v0
	v_add_nc_u32_e32 v2, s6, v9
	s_delay_alu instid0(VALU_DEP_1)
	v_ashrrev_i32_e32 v3, 31, v2
	s_waitcnt lgkmcnt(0)
	s_ashr_i32 s11, s10, 31
	s_ashr_i32 s15, s14, 31
	s_add_u32 s16, s16, s8
	s_addc_u32 s17, s17, s9
	v_mad_i64_i32 v[4:5], null, s10, v11, v[2:3]
	v_mov_b32_e32 v2, 0
	v_dual_mov_b32 v3, 0 :: v_dual_add_nc_u32 v0, s12, v8
	s_load_b64 s[16:17], s[16:17], 0x0
	s_add_u32 s8, s18, s8
	s_addc_u32 s9, s19, s9
	s_delay_alu instid0(VALU_DEP_3)
	v_lshlrev_b64 v[4:5], 4, v[4:5]
	s_load_b64 s[8:9], s[8:9], 0x0
	v_ashrrev_i32_e32 v1, 31, v0
	v_lshlrev_b32_e32 v12, 4, v10
	v_lshlrev_b32_e32 v9, 4, v9
	v_dual_mov_b32 v15, v3 :: v_dual_lshlrev_b32 v22, 4, v20
	s_delay_alu instid0(VALU_DEP_4) | instskip(SKIP_1) | instid1(VALU_DEP_4)
	v_mad_i64_i32 v[6:7], null, s14, v10, v[0:1]
	v_dual_mov_b32 v0, v2 :: v_dual_mov_b32 v1, v3
	v_lshl_or_b32 v24, v11, 9, v9
	v_dual_mov_b32 v11, v3 :: v_dual_mov_b32 v10, v2
	v_mov_b32_e32 v14, v2
	v_lshlrev_b64 v[6:7], 4, v[6:7]
	s_waitcnt lgkmcnt(0)
	v_add_co_u32 v4, vcc_lo, v4, s16
	v_add_co_ci_u32_e32 v5, vcc_lo, s17, v5, vcc_lo
	s_delay_alu instid0(VALU_DEP_3) | instskip(NEXT) | instid1(VALU_DEP_4)
	v_add_co_u32 v6, vcc_lo, v6, s8
	v_add_co_ci_u32_e32 v7, vcc_lo, s9, v7, vcc_lo
	s_delay_alu instid0(VALU_DEP_4) | instskip(NEXT) | instid1(VALU_DEP_4)
	v_add_co_u32 v16, vcc_lo, v4, 8
	v_add_co_ci_u32_e32 v17, vcc_lo, 0, v5, vcc_lo
	v_mov_b32_e32 v5, v3
	v_lshl_or_b32 v8, v8, 7, v12
	v_dual_mov_b32 v13, v3 :: v_dual_mov_b32 v4, v2
	v_add_co_u32 v18, vcc_lo, v6, 8
	s_delay_alu instid0(VALU_DEP_3)
	v_add_nc_u32_e32 v25, 0x1000, v8
	v_dual_mov_b32 v9, v3 :: v_dual_mov_b32 v8, v2
	v_add_co_ci_u32_e32 v19, vcc_lo, 0, v7, vcc_lo
	v_dual_mov_b32 v7, v3 :: v_dual_mov_b32 v6, v2
	v_mov_b32_e32 v12, v2
	s_lshl_b64 s[8:9], s[10:11], 7
	s_lshl_b64 s[10:11], s[14:15], 7
.LBB718_2:                              ; =>This Inner Loop Header: Depth=1
	global_load_b128 v[26:29], v[16:17], off offset:-8
	global_load_b128 v[30:33], v[18:19], off offset:-8
	v_add_co_u32 v16, vcc_lo, v16, s8
	v_add_co_ci_u32_e32 v17, vcc_lo, s9, v17, vcc_lo
	v_add_co_u32 v18, vcc_lo, v18, s10
	v_add_co_ci_u32_e32 v19, vcc_lo, s11, v19, vcc_lo
	s_add_i32 s7, s7, 8
	s_waitcnt vmcnt(1)
	ds_store_b128 v24, v[26:29]
	s_waitcnt vmcnt(0)
	ds_store_b128 v25, v[30:33]
	s_waitcnt lgkmcnt(0)
	s_barrier
	buffer_gl0_inv
	ds_load_b128 v[26:29], v23
	ds_load_b128 v[30:33], v22
	ds_load_b128 v[34:37], v22 offset:256
	ds_load_b128 v[38:41], v23 offset:2048
	;; [unrolled: 1-line block ×13, first 2 shown]
	s_cmp_ge_i32 s7, s3
	s_waitcnt lgkmcnt(13)
	v_mul_f64 v[86:87], v[28:29], v[32:33]
	v_mul_f64 v[88:89], v[26:27], v[32:33]
	s_waitcnt lgkmcnt(12)
	v_mul_f64 v[90:91], v[28:29], v[36:37]
	v_mul_f64 v[92:93], v[26:27], v[36:37]
	;; [unrolled: 3-line block ×3, first 2 shown]
	v_mul_f64 v[96:97], v[40:41], v[36:37]
	v_mul_f64 v[36:37], v[38:39], v[36:37]
	s_waitcnt lgkmcnt(8)
	v_mul_f64 v[98:99], v[44:45], v[52:53]
	v_mul_f64 v[100:101], v[42:43], v[52:53]
	s_waitcnt lgkmcnt(7)
	v_mul_f64 v[102:103], v[44:45], v[56:57]
	v_mul_f64 v[104:105], v[42:43], v[56:57]
	;; [unrolled: 1-line block ×6, first 2 shown]
	s_waitcnt lgkmcnt(3)
	v_mul_f64 v[112:113], v[58:59], v[72:73]
	s_waitcnt lgkmcnt(2)
	v_mul_f64 v[114:115], v[76:77], v[68:69]
	v_mul_f64 v[116:117], v[76:77], v[72:73]
	v_fma_f64 v[86:87], v[26:27], v[30:31], -v[86:87]
	v_fma_f64 v[88:89], v[28:29], v[30:31], v[88:89]
	v_fma_f64 v[90:91], v[26:27], v[34:35], -v[90:91]
	v_fma_f64 v[92:93], v[28:29], v[34:35], v[92:93]
	;; [unrolled: 2-line block ×4, first 2 shown]
	v_mul_f64 v[36:37], v[60:61], v[68:69]
	v_mul_f64 v[40:41], v[58:59], v[68:69]
	;; [unrolled: 1-line block ×5, first 2 shown]
	v_fma_f64 v[98:99], v[42:43], v[50:51], -v[98:99]
	v_fma_f64 v[100:101], v[44:45], v[50:51], v[100:101]
	v_fma_f64 v[42:43], v[42:43], v[54:55], -v[102:103]
	v_fma_f64 v[44:45], v[44:45], v[54:55], v[104:105]
	;; [unrolled: 2-line block ×4, first 2 shown]
	ds_load_b128 v[26:29], v22 offset:1792
	ds_load_b128 v[30:33], v22 offset:2048
	s_waitcnt lgkmcnt(2)
	v_mul_f64 v[56:57], v[64:65], v[84:85]
	v_add_f64 v[12:13], v[12:13], v[86:87]
	v_add_f64 v[14:15], v[14:15], v[88:89]
	;; [unrolled: 1-line block ×8, first 2 shown]
	v_mul_f64 v[86:87], v[62:63], v[84:85]
	s_waitcnt lgkmcnt(1)
	v_mul_f64 v[88:89], v[64:65], v[28:29]
	v_mul_f64 v[90:91], v[62:63], v[28:29]
	;; [unrolled: 1-line block ×6, first 2 shown]
	v_fma_f64 v[104:105], v[58:59], v[66:67], -v[36:37]
	v_fma_f64 v[106:107], v[60:61], v[66:67], v[40:41]
	v_fma_f64 v[58:59], v[58:59], v[70:71], -v[96:97]
	v_fma_f64 v[60:61], v[60:61], v[70:71], v[112:113]
	;; [unrolled: 2-line block ×4, first 2 shown]
	ds_load_b128 v[0:3], v22 offset:2304
	ds_load_b128 v[4:7], v23 offset:64
	v_fma_f64 v[56:57], v[62:63], v[82:83], -v[56:57]
	v_add_f64 v[72:73], v[12:13], v[98:99]
	v_add_f64 v[74:75], v[14:15], v[100:101]
	;; [unrolled: 1-line block ×8, first 2 shown]
	ds_load_b128 v[8:11], v23 offset:2112
	ds_load_b128 v[12:15], v23 offset:80
	ds_load_b128 v[34:37], v23 offset:2128
	ds_load_b128 v[38:41], v22 offset:2560
	s_waitcnt lgkmcnt(4)
	v_mul_f64 v[54:55], v[6:7], v[32:33]
	v_mul_f64 v[76:77], v[4:5], v[32:33]
	;; [unrolled: 1-line block ×4, first 2 shown]
	v_fma_f64 v[86:87], v[64:65], v[82:83], v[86:87]
	v_fma_f64 v[62:63], v[62:63], v[26:27], -v[88:89]
	v_fma_f64 v[64:65], v[64:65], v[26:27], v[90:91]
	v_fma_f64 v[88:89], v[78:79], v[82:83], -v[92:93]
	;; [unrolled: 2-line block ×3, first 2 shown]
	v_fma_f64 v[80:81], v[80:81], v[26:27], v[28:29]
	s_waitcnt lgkmcnt(3)
	v_mul_f64 v[102:103], v[10:11], v[32:33]
	v_mul_f64 v[32:33], v[8:9], v[32:33]
	;; [unrolled: 1-line block ×4, first 2 shown]
	s_waitcnt lgkmcnt(0)
	v_mul_f64 v[90:91], v[14:15], v[40:41]
	v_mul_f64 v[92:93], v[12:13], v[40:41]
	v_add_f64 v[72:73], v[72:73], v[104:105]
	v_add_f64 v[74:75], v[74:75], v[106:107]
	;; [unrolled: 1-line block ×8, first 2 shown]
	ds_load_b128 v[26:29], v22 offset:2816
	ds_load_b128 v[42:45], v22 offset:3072
	;; [unrolled: 1-line block ×4, first 2 shown]
	v_mul_f64 v[104:105], v[36:37], v[40:41]
	v_mul_f64 v[40:41], v[34:35], v[40:41]
	v_fma_f64 v[54:55], v[4:5], v[30:31], -v[54:55]
	v_fma_f64 v[76:77], v[6:7], v[30:31], v[76:77]
	v_fma_f64 v[98:99], v[4:5], v[0:1], -v[98:99]
	v_fma_f64 v[100:101], v[6:7], v[0:1], v[100:101]
	s_waitcnt lgkmcnt(3)
	v_mul_f64 v[94:95], v[14:15], v[28:29]
	v_mul_f64 v[96:97], v[12:13], v[28:29]
	v_mul_f64 v[106:107], v[36:37], v[28:29]
	v_mul_f64 v[110:111], v[34:35], v[28:29]
	v_fma_f64 v[102:103], v[8:9], v[30:31], -v[102:103]
	v_fma_f64 v[32:33], v[10:11], v[30:31], v[32:33]
	v_fma_f64 v[108:109], v[8:9], v[0:1], -v[108:109]
	v_fma_f64 v[112:113], v[10:11], v[0:1], v[2:3]
	ds_load_b128 v[0:3], v23 offset:2144
	ds_load_b128 v[4:7], v23 offset:112
	;; [unrolled: 1-line block ×4, first 2 shown]
	v_add_f64 v[56:57], v[72:73], v[56:57]
	v_add_f64 v[72:73], v[74:75], v[86:87]
	v_add_f64 v[58:59], v[58:59], v[62:63]
	v_add_f64 v[60:61], v[60:61], v[64:65]
	v_add_f64 v[62:63], v[84:85], v[88:89]
	v_add_f64 v[64:65], v[66:67], v[82:83]
	v_add_f64 v[66:67], v[68:69], v[78:79]
	v_add_f64 v[68:69], v[70:71], v[80:81]
	s_waitcnt lgkmcnt(4)
	v_mul_f64 v[70:71], v[52:53], v[44:45]
	v_mul_f64 v[74:75], v[50:51], v[44:45]
	;; [unrolled: 1-line block ×4, first 2 shown]
	s_waitcnt lgkmcnt(3)
	v_mul_f64 v[82:83], v[2:3], v[44:45]
	v_mul_f64 v[44:45], v[0:1], v[44:45]
	;; [unrolled: 1-line block ×4, first 2 shown]
	v_fma_f64 v[86:87], v[12:13], v[38:39], -v[90:91]
	v_fma_f64 v[88:89], v[14:15], v[38:39], v[92:93]
	v_fma_f64 v[90:91], v[12:13], v[26:27], -v[94:95]
	v_fma_f64 v[92:93], v[14:15], v[26:27], v[96:97]
	v_fma_f64 v[94:95], v[34:35], v[38:39], -v[104:105]
	v_fma_f64 v[38:39], v[36:37], v[38:39], v[40:41]
	v_fma_f64 v[34:35], v[34:35], v[26:27], -v[106:107]
	v_fma_f64 v[26:27], v[36:37], v[26:27], v[110:111]
	ds_load_b128 v[12:15], v22 offset:3840
	s_waitcnt lgkmcnt(0)
	s_barrier
	buffer_gl0_inv
	v_add_f64 v[36:37], v[56:57], v[54:55]
	v_add_f64 v[40:41], v[72:73], v[76:77]
	v_add_f64 v[54:55], v[58:59], v[98:99]
	v_add_f64 v[56:57], v[60:61], v[100:101]
	v_add_f64 v[58:59], v[62:63], v[102:103]
	v_add_f64 v[32:33], v[64:65], v[32:33]
	v_add_f64 v[60:61], v[66:67], v[108:109]
	v_add_f64 v[62:63], v[68:69], v[112:113]
	v_mul_f64 v[64:65], v[6:7], v[30:31]
	v_mul_f64 v[66:67], v[4:5], v[30:31]
	;; [unrolled: 1-line block ×4, first 2 shown]
	v_fma_f64 v[70:71], v[50:51], v[42:43], -v[70:71]
	v_mul_f64 v[68:69], v[6:7], v[14:15]
	v_mul_f64 v[72:73], v[4:5], v[14:15]
	;; [unrolled: 1-line block ×4, first 2 shown]
	v_fma_f64 v[74:75], v[52:53], v[42:43], v[74:75]
	v_fma_f64 v[50:51], v[50:51], v[46:47], -v[78:79]
	v_fma_f64 v[52:53], v[52:53], v[46:47], v[80:81]
	v_fma_f64 v[78:79], v[0:1], v[42:43], -v[82:83]
	;; [unrolled: 2-line block ×3, first 2 shown]
	v_fma_f64 v[2:3], v[2:3], v[46:47], v[48:49]
	v_add_f64 v[36:37], v[36:37], v[86:87]
	v_add_f64 v[40:41], v[40:41], v[88:89]
	;; [unrolled: 1-line block ×8, first 2 shown]
	v_fma_f64 v[38:39], v[4:5], v[28:29], -v[64:65]
	v_fma_f64 v[54:55], v[6:7], v[28:29], v[66:67]
	v_fma_f64 v[56:57], v[8:9], v[28:29], -v[76:77]
	v_fma_f64 v[28:29], v[10:11], v[28:29], v[30:31]
	;; [unrolled: 2-line block ×4, first 2 shown]
	v_add_f64 v[8:9], v[36:37], v[70:71]
	v_add_f64 v[10:11], v[40:41], v[74:75]
	v_add_f64 v[36:37], v[44:45], v[50:51]
	v_add_f64 v[40:41], v[46:47], v[52:53]
	v_add_f64 v[44:45], v[48:49], v[78:79]
	v_add_f64 v[32:33], v[32:33], v[42:43]
	v_add_f64 v[0:1], v[34:35], v[0:1]
	v_add_f64 v[2:3], v[26:27], v[2:3]
	v_add_f64 v[12:13], v[8:9], v[38:39]
	v_add_f64 v[14:15], v[10:11], v[54:55]
	v_add_f64 v[8:9], v[36:37], v[4:5]
	v_add_f64 v[10:11], v[40:41], v[6:7]
	v_add_f64 v[4:5], v[44:45], v[56:57]
	v_add_f64 v[6:7], v[32:33], v[28:29]
	v_add_f64 v[0:1], v[0:1], v[30:31]
	v_add_f64 v[2:3], v[2:3], v[58:59]
	s_cbranch_scc0 .LBB718_2
.LBB718_3:
	s_load_b32 s3, s[0:1], 0x40
	v_add_nc_u32_e32 v18, s12, v21
	v_add_nc_u32_e32 v16, s6, v20
	s_delay_alu instid0(VALU_DEP_2) | instskip(NEXT) | instid1(VALU_DEP_2)
	v_cmp_gt_i32_e32 vcc_lo, s2, v18
	v_cmp_le_i32_e64 s0, v16, v18
	s_delay_alu instid0(VALU_DEP_1) | instskip(SKIP_2) | instid1(VALU_DEP_1)
	s_and_b32 s0, vcc_lo, s0
	s_waitcnt lgkmcnt(0)
	v_mad_i64_i32 v[21:22], null, v18, s3, 0
	v_lshlrev_b64 v[19:20], 4, v[21:22]
	s_delay_alu instid0(VALU_DEP_1) | instskip(NEXT) | instid1(VALU_DEP_1)
	v_add_co_u32 v19, s1, s4, v19
	v_add_co_ci_u32_e64 v20, s1, s5, v20, s1
	s_and_saveexec_b32 s1, s0
	s_cbranch_execz .LBB718_5
; %bb.4:
	v_ashrrev_i32_e32 v17, 31, v16
	v_xor_b32_e32 v13, 0x80000000, v13
	v_xor_b32_e32 v15, 0x80000000, v15
	s_delay_alu instid0(VALU_DEP_3) | instskip(NEXT) | instid1(VALU_DEP_1)
	v_lshlrev_b64 v[21:22], 4, v[16:17]
	v_add_co_u32 v21, s0, v19, v21
	s_delay_alu instid0(VALU_DEP_1)
	v_add_co_ci_u32_e64 v22, s0, v20, v22, s0
	global_store_b128 v[21:22], v[12:15], off
.LBB718_5:
	s_or_b32 exec_lo, exec_lo, s1
	v_add_nc_u32_e32 v12, 16, v16
	s_delay_alu instid0(VALU_DEP_1) | instskip(NEXT) | instid1(VALU_DEP_1)
	v_cmp_le_i32_e64 s0, v12, v18
	s_and_b32 s1, vcc_lo, s0
	s_delay_alu instid0(SALU_CYCLE_1)
	s_and_saveexec_b32 s0, s1
	s_cbranch_execz .LBB718_7
; %bb.6:
	v_ashrrev_i32_e32 v13, 31, v12
	v_xor_b32_e32 v9, 0x80000000, v9
	v_xor_b32_e32 v11, 0x80000000, v11
	s_delay_alu instid0(VALU_DEP_3) | instskip(NEXT) | instid1(VALU_DEP_1)
	v_lshlrev_b64 v[13:14], 4, v[12:13]
	v_add_co_u32 v13, vcc_lo, v19, v13
	s_delay_alu instid0(VALU_DEP_2)
	v_add_co_ci_u32_e32 v14, vcc_lo, v20, v14, vcc_lo
	global_store_b128 v[13:14], v[8:11], off
.LBB718_7:
	s_or_b32 exec_lo, exec_lo, s0
	v_add_nc_u32_e32 v10, 16, v18
	s_delay_alu instid0(VALU_DEP_1) | instskip(SKIP_2) | instid1(VALU_DEP_1)
	v_mad_i64_i32 v[8:9], null, v10, s3, 0
	v_cmp_gt_i32_e32 vcc_lo, s2, v10
	v_cmp_le_i32_e64 s0, v16, v10
	s_and_b32 s0, vcc_lo, s0
	s_delay_alu instid0(VALU_DEP_3) | instskip(NEXT) | instid1(VALU_DEP_1)
	v_lshlrev_b64 v[8:9], 4, v[8:9]
	v_add_co_u32 v8, s1, s4, v8
	s_delay_alu instid0(VALU_DEP_1)
	v_add_co_ci_u32_e64 v9, s1, s5, v9, s1
	s_and_saveexec_b32 s1, s0
	s_cbranch_execz .LBB718_9
; %bb.8:
	v_ashrrev_i32_e32 v17, 31, v16
	v_xor_b32_e32 v5, 0x80000000, v5
	v_xor_b32_e32 v7, 0x80000000, v7
	s_delay_alu instid0(VALU_DEP_3) | instskip(NEXT) | instid1(VALU_DEP_1)
	v_lshlrev_b64 v[13:14], 4, v[16:17]
	v_add_co_u32 v13, s0, v8, v13
	s_delay_alu instid0(VALU_DEP_1)
	v_add_co_ci_u32_e64 v14, s0, v9, v14, s0
	global_store_b128 v[13:14], v[4:7], off
.LBB718_9:
	s_or_b32 exec_lo, exec_lo, s1
	v_cmp_le_i32_e64 s0, v12, v10
	s_delay_alu instid0(VALU_DEP_1) | instskip(NEXT) | instid1(SALU_CYCLE_1)
	s_and_b32 s0, vcc_lo, s0
	s_and_saveexec_b32 s1, s0
	s_cbranch_execz .LBB718_11
; %bb.10:
	v_ashrrev_i32_e32 v13, 31, v12
	v_xor_b32_e32 v1, 0x80000000, v1
	v_xor_b32_e32 v3, 0x80000000, v3
	s_delay_alu instid0(VALU_DEP_3) | instskip(NEXT) | instid1(VALU_DEP_1)
	v_lshlrev_b64 v[4:5], 4, v[12:13]
	v_add_co_u32 v4, vcc_lo, v8, v4
	s_delay_alu instid0(VALU_DEP_2)
	v_add_co_ci_u32_e32 v5, vcc_lo, v9, v5, vcc_lo
	global_store_b128 v[4:5], v[0:3], off
.LBB718_11:
	s_nop 0
	s_sendmsg sendmsg(MSG_DEALLOC_VGPRS)
	s_endpgm
	.section	.rodata,"a",@progbits
	.p2align	6, 0x0
	.amdhsa_kernel _ZL37rocblas_syrkx_herkx_restricted_kernelIi19rocblas_complex_numIdELi16ELi32ELi8ELin1ELi0ELb0ELc78ELc85EKPKS1_KPS1_EviT_PT9_S7_lS9_S7_lPT10_S7_li
		.amdhsa_group_segment_fixed_size 8192
		.amdhsa_private_segment_fixed_size 0
		.amdhsa_kernarg_size 84
		.amdhsa_user_sgpr_count 13
		.amdhsa_user_sgpr_dispatch_ptr 0
		.amdhsa_user_sgpr_queue_ptr 0
		.amdhsa_user_sgpr_kernarg_segment_ptr 1
		.amdhsa_user_sgpr_dispatch_id 0
		.amdhsa_user_sgpr_private_segment_size 0
		.amdhsa_wavefront_size32 1
		.amdhsa_uses_dynamic_stack 0
		.amdhsa_enable_private_segment 0
		.amdhsa_system_sgpr_workgroup_id_x 1
		.amdhsa_system_sgpr_workgroup_id_y 1
		.amdhsa_system_sgpr_workgroup_id_z 1
		.amdhsa_system_sgpr_workgroup_info 0
		.amdhsa_system_vgpr_workitem_id 1
		.amdhsa_next_free_vgpr 118
		.amdhsa_next_free_sgpr 20
		.amdhsa_reserve_vcc 1
		.amdhsa_float_round_mode_32 0
		.amdhsa_float_round_mode_16_64 0
		.amdhsa_float_denorm_mode_32 3
		.amdhsa_float_denorm_mode_16_64 3
		.amdhsa_dx10_clamp 1
		.amdhsa_ieee_mode 1
		.amdhsa_fp16_overflow 0
		.amdhsa_workgroup_processor_mode 1
		.amdhsa_memory_ordered 1
		.amdhsa_forward_progress 0
		.amdhsa_shared_vgpr_count 0
		.amdhsa_exception_fp_ieee_invalid_op 0
		.amdhsa_exception_fp_denorm_src 0
		.amdhsa_exception_fp_ieee_div_zero 0
		.amdhsa_exception_fp_ieee_overflow 0
		.amdhsa_exception_fp_ieee_underflow 0
		.amdhsa_exception_fp_ieee_inexact 0
		.amdhsa_exception_int_div_zero 0
	.end_amdhsa_kernel
	.section	.text._ZL37rocblas_syrkx_herkx_restricted_kernelIi19rocblas_complex_numIdELi16ELi32ELi8ELin1ELi0ELb0ELc78ELc85EKPKS1_KPS1_EviT_PT9_S7_lS9_S7_lPT10_S7_li,"axG",@progbits,_ZL37rocblas_syrkx_herkx_restricted_kernelIi19rocblas_complex_numIdELi16ELi32ELi8ELin1ELi0ELb0ELc78ELc85EKPKS1_KPS1_EviT_PT9_S7_lS9_S7_lPT10_S7_li,comdat
.Lfunc_end718:
	.size	_ZL37rocblas_syrkx_herkx_restricted_kernelIi19rocblas_complex_numIdELi16ELi32ELi8ELin1ELi0ELb0ELc78ELc85EKPKS1_KPS1_EviT_PT9_S7_lS9_S7_lPT10_S7_li, .Lfunc_end718-_ZL37rocblas_syrkx_herkx_restricted_kernelIi19rocblas_complex_numIdELi16ELi32ELi8ELin1ELi0ELb0ELc78ELc85EKPKS1_KPS1_EviT_PT9_S7_lS9_S7_lPT10_S7_li
                                        ; -- End function
	.section	.AMDGPU.csdata,"",@progbits
; Kernel info:
; codeLenInByte = 2936
; NumSgprs: 22
; NumVgprs: 118
; ScratchSize: 0
; MemoryBound: 0
; FloatMode: 240
; IeeeMode: 1
; LDSByteSize: 8192 bytes/workgroup (compile time only)
; SGPRBlocks: 2
; VGPRBlocks: 14
; NumSGPRsForWavesPerEU: 22
; NumVGPRsForWavesPerEU: 118
; Occupancy: 12
; WaveLimiterHint : 1
; COMPUTE_PGM_RSRC2:SCRATCH_EN: 0
; COMPUTE_PGM_RSRC2:USER_SGPR: 13
; COMPUTE_PGM_RSRC2:TRAP_HANDLER: 0
; COMPUTE_PGM_RSRC2:TGID_X_EN: 1
; COMPUTE_PGM_RSRC2:TGID_Y_EN: 1
; COMPUTE_PGM_RSRC2:TGID_Z_EN: 1
; COMPUTE_PGM_RSRC2:TIDIG_COMP_CNT: 1
	.section	.text._ZL37rocblas_syrkx_herkx_restricted_kernelIi19rocblas_complex_numIdELi16ELi32ELi8ELb1ELb0ELc84ELc76EKPKS1_KPS1_EviT_T0_PT8_S7_lSA_S7_lS8_PT9_S7_li,"axG",@progbits,_ZL37rocblas_syrkx_herkx_restricted_kernelIi19rocblas_complex_numIdELi16ELi32ELi8ELb1ELb0ELc84ELc76EKPKS1_KPS1_EviT_T0_PT8_S7_lSA_S7_lS8_PT9_S7_li,comdat
	.globl	_ZL37rocblas_syrkx_herkx_restricted_kernelIi19rocblas_complex_numIdELi16ELi32ELi8ELb1ELb0ELc84ELc76EKPKS1_KPS1_EviT_T0_PT8_S7_lSA_S7_lS8_PT9_S7_li ; -- Begin function _ZL37rocblas_syrkx_herkx_restricted_kernelIi19rocblas_complex_numIdELi16ELi32ELi8ELb1ELb0ELc84ELc76EKPKS1_KPS1_EviT_T0_PT8_S7_lSA_S7_lS8_PT9_S7_li
	.p2align	8
	.type	_ZL37rocblas_syrkx_herkx_restricted_kernelIi19rocblas_complex_numIdELi16ELi32ELi8ELb1ELb0ELc84ELc76EKPKS1_KPS1_EviT_T0_PT8_S7_lSA_S7_lS8_PT9_S7_li,@function
_ZL37rocblas_syrkx_herkx_restricted_kernelIi19rocblas_complex_numIdELi16ELi32ELi8ELb1ELb0ELc84ELc76EKPKS1_KPS1_EviT_T0_PT8_S7_lSA_S7_lS8_PT9_S7_li: ; @_ZL37rocblas_syrkx_herkx_restricted_kernelIi19rocblas_complex_numIdELi16ELi32ELi8ELb1ELb0ELc84ELc76EKPKS1_KPS1_EviT_T0_PT8_S7_lSA_S7_lS8_PT9_S7_li
; %bb.0:
	s_clause 0x2
	s_load_b64 s[2:3], s[0:1], 0x58
	s_load_b64 s[18:19], s[0:1], 0x18
	;; [unrolled: 1-line block ×3, first 2 shown]
	s_mov_b32 s10, s15
	s_mov_b32 s11, 0
	v_mov_b32_e32 v16, 0
	s_lshl_b64 s[16:17], s[10:11], 3
	v_dual_mov_b32 v17, 0 :: v_dual_and_b32 v20, 0x3ff, v0
	v_bfe_u32 v21, v0, 10, 10
	s_delay_alu instid0(VALU_DEP_3) | instskip(NEXT) | instid1(VALU_DEP_3)
	v_mov_b32_e32 v12, v16
	v_dual_mov_b32 v14, v16 :: v_dual_mov_b32 v15, v17
	v_dual_mov_b32 v19, v17 :: v_dual_mov_b32 v18, v16
	;; [unrolled: 1-line block ×4, first 2 shown]
	v_mov_b32_e32 v11, v17
	s_waitcnt lgkmcnt(0)
	s_add_u32 s2, s2, s16
	s_addc_u32 s3, s3, s17
	s_load_b128 s[4:7], s[0:1], 0x8
	s_load_b64 s[2:3], s[2:3], 0x0
	v_dual_mov_b32 v6, v16 :: v_dual_mov_b32 v7, v17
	v_dual_mov_b32 v4, v16 :: v_dual_mov_b32 v5, v17
	s_lshl_b32 s10, s13, 5
	s_lshl_b32 s12, s14, 5
	s_cmp_lt_i32 s9, 1
	s_cbranch_scc1 .LBB719_3
; %bb.1:
	s_clause 0x2
	s_load_b64 s[14:15], s[0:1], 0x30
	s_load_b32 s13, s[0:1], 0x20
	s_load_b32 s20, s[0:1], 0x38
	v_lshl_add_u32 v2, v21, 4, v20
	v_dual_mov_b32 v1, 0 :: v_dual_and_b32 v0, 7, v20
	s_add_u32 s18, s18, s16
	v_lshlrev_b32_e32 v22, 4, v20
	s_delay_alu instid0(VALU_DEP_3) | instskip(SKIP_3) | instid1(VALU_DEP_3)
	v_and_b32_e32 v10, 31, v2
	s_addc_u32 s19, s19, s17
	v_lshrrev_b32_e32 v11, 3, v2
	v_lshrrev_b32_e32 v2, 5, v2
	v_dual_mov_b32 v3, v1 :: v_dual_add_nc_u32 v4, s10, v10
	s_load_b64 s[18:19], s[18:19], 0x0
	v_lshl_add_u32 v23, v21, 7, 0x1000
	s_waitcnt lgkmcnt(0)
	s_add_u32 s14, s14, s16
	s_addc_u32 s15, s15, s17
	v_mad_i64_i32 v[6:7], null, s13, v4, v[2:3]
	s_load_b64 s[14:15], s[14:15], 0x0
	v_dual_mov_b32 v4, 0 :: v_dual_lshlrev_b32 v3, 4, v0
	v_dual_mov_b32 v5, 0 :: v_dual_add_nc_u32 v12, s12, v11
	v_lshlrev_b32_e32 v10, 4, v10
	s_delay_alu instid0(VALU_DEP_3) | instskip(NEXT) | instid1(VALU_DEP_3)
	v_lshl_or_b32 v3, v11, 7, v3
	v_mov_b32_e32 v15, v5
	s_delay_alu instid0(VALU_DEP_4)
	v_mad_i64_i32 v[8:9], null, s20, v12, v[0:1]
	v_lshlrev_b64 v[0:1], 4, v[6:7]
	v_dual_mov_b32 v7, v5 :: v_dual_mov_b32 v6, v4
	v_add_nc_u32_e32 v25, 0x1000, v3
	v_lshl_or_b32 v24, v2, 9, v10
	v_dual_mov_b32 v14, v4 :: v_dual_mov_b32 v13, v5
	v_lshlrev_b64 v[2:3], 4, v[8:9]
	v_add_co_u32 v0, vcc_lo, v0, s18
	v_add_co_ci_u32_e32 v1, vcc_lo, s19, v1, vcc_lo
	v_mov_b32_e32 v9, v5
	s_waitcnt lgkmcnt(0)
	s_delay_alu instid0(VALU_DEP_4)
	v_add_co_u32 v2, vcc_lo, v2, s14
	v_add_co_ci_u32_e32 v3, vcc_lo, s15, v3, vcc_lo
	v_add_co_u32 v0, vcc_lo, v0, 8
	v_mov_b32_e32 v8, v4
	v_add_co_ci_u32_e32 v1, vcc_lo, 0, v1, vcc_lo
	v_add_co_u32 v2, vcc_lo, v2, 8
	v_dual_mov_b32 v12, v4 :: v_dual_mov_b32 v19, v5
	v_dual_mov_b32 v18, v4 :: v_dual_mov_b32 v17, v5
	v_add_co_ci_u32_e32 v3, vcc_lo, 0, v3, vcc_lo
	v_dual_mov_b32 v11, v5 :: v_dual_mov_b32 v10, v4
	v_mov_b32_e32 v16, v4
.LBB719_2:                              ; =>This Inner Loop Header: Depth=1
	global_load_b128 v[26:29], v[0:1], off offset:-8
	global_load_b128 v[30:33], v[2:3], off offset:-8
	v_add_co_u32 v0, vcc_lo, 0x80, v0
	v_add_co_ci_u32_e32 v1, vcc_lo, 0, v1, vcc_lo
	v_add_co_u32 v2, vcc_lo, 0x80, v2
	v_add_co_ci_u32_e32 v3, vcc_lo, 0, v3, vcc_lo
	s_add_i32 s11, s11, 8
	s_waitcnt vmcnt(1)
	ds_store_b128 v24, v[26:29]
	s_waitcnt vmcnt(0)
	ds_store_b128 v25, v[30:33]
	s_waitcnt lgkmcnt(0)
	s_barrier
	buffer_gl0_inv
	ds_load_b128 v[26:29], v23
	ds_load_b128 v[30:33], v22
	ds_load_b128 v[34:37], v22 offset:256
	ds_load_b128 v[38:41], v23 offset:2048
	;; [unrolled: 1-line block ×13, first 2 shown]
	s_cmp_ge_i32 s11, s9
	s_waitcnt lgkmcnt(13)
	v_mul_f64 v[86:87], v[28:29], v[32:33]
	v_mul_f64 v[88:89], v[26:27], v[32:33]
	s_waitcnt lgkmcnt(12)
	v_mul_f64 v[90:91], v[28:29], v[36:37]
	v_mul_f64 v[92:93], v[26:27], v[36:37]
	;; [unrolled: 3-line block ×3, first 2 shown]
	v_mul_f64 v[96:97], v[40:41], v[36:37]
	v_mul_f64 v[36:37], v[38:39], v[36:37]
	s_waitcnt lgkmcnt(8)
	v_mul_f64 v[98:99], v[44:45], v[52:53]
	v_mul_f64 v[100:101], v[42:43], v[52:53]
	s_waitcnt lgkmcnt(7)
	v_mul_f64 v[102:103], v[44:45], v[56:57]
	v_mul_f64 v[104:105], v[42:43], v[56:57]
	;; [unrolled: 1-line block ×6, first 2 shown]
	s_waitcnt lgkmcnt(3)
	v_mul_f64 v[112:113], v[58:59], v[72:73]
	s_waitcnt lgkmcnt(2)
	v_mul_f64 v[114:115], v[76:77], v[68:69]
	v_mul_f64 v[116:117], v[76:77], v[72:73]
	v_fma_f64 v[86:87], v[26:27], v[30:31], -v[86:87]
	v_fma_f64 v[88:89], v[28:29], v[30:31], v[88:89]
	v_fma_f64 v[90:91], v[26:27], v[34:35], -v[90:91]
	v_fma_f64 v[92:93], v[28:29], v[34:35], v[92:93]
	;; [unrolled: 2-line block ×4, first 2 shown]
	v_mul_f64 v[36:37], v[60:61], v[68:69]
	v_mul_f64 v[40:41], v[58:59], v[68:69]
	;; [unrolled: 1-line block ×5, first 2 shown]
	v_fma_f64 v[98:99], v[42:43], v[50:51], -v[98:99]
	v_fma_f64 v[100:101], v[44:45], v[50:51], v[100:101]
	v_fma_f64 v[42:43], v[42:43], v[54:55], -v[102:103]
	v_fma_f64 v[44:45], v[44:45], v[54:55], v[104:105]
	;; [unrolled: 2-line block ×4, first 2 shown]
	ds_load_b128 v[26:29], v22 offset:1792
	ds_load_b128 v[30:33], v22 offset:2048
	s_waitcnt lgkmcnt(2)
	v_mul_f64 v[56:57], v[64:65], v[84:85]
	v_add_f64 v[16:17], v[16:17], v[86:87]
	v_add_f64 v[18:19], v[18:19], v[88:89]
	;; [unrolled: 1-line block ×8, first 2 shown]
	v_mul_f64 v[86:87], v[62:63], v[84:85]
	s_waitcnt lgkmcnt(1)
	v_mul_f64 v[88:89], v[64:65], v[28:29]
	v_mul_f64 v[90:91], v[62:63], v[28:29]
	;; [unrolled: 1-line block ×6, first 2 shown]
	v_fma_f64 v[104:105], v[58:59], v[66:67], -v[36:37]
	v_fma_f64 v[106:107], v[60:61], v[66:67], v[40:41]
	v_fma_f64 v[58:59], v[58:59], v[70:71], -v[96:97]
	v_fma_f64 v[60:61], v[60:61], v[70:71], v[112:113]
	v_fma_f64 v[96:97], v[74:75], v[66:67], -v[114:115]
	v_fma_f64 v[66:67], v[76:77], v[66:67], v[68:69]
	v_fma_f64 v[68:69], v[74:75], v[70:71], -v[116:117]
	v_fma_f64 v[70:71], v[76:77], v[70:71], v[72:73]
	ds_load_b128 v[4:7], v22 offset:2304
	ds_load_b128 v[8:11], v23 offset:64
	v_fma_f64 v[56:57], v[62:63], v[82:83], -v[56:57]
	v_add_f64 v[72:73], v[16:17], v[98:99]
	v_add_f64 v[74:75], v[18:19], v[100:101]
	;; [unrolled: 1-line block ×8, first 2 shown]
	ds_load_b128 v[12:15], v23 offset:2112
	ds_load_b128 v[16:19], v23 offset:80
	;; [unrolled: 1-line block ×4, first 2 shown]
	s_waitcnt lgkmcnt(4)
	v_mul_f64 v[54:55], v[10:11], v[32:33]
	v_mul_f64 v[76:77], v[8:9], v[32:33]
	;; [unrolled: 1-line block ×4, first 2 shown]
	v_fma_f64 v[86:87], v[64:65], v[82:83], v[86:87]
	v_fma_f64 v[62:63], v[62:63], v[26:27], -v[88:89]
	v_fma_f64 v[64:65], v[64:65], v[26:27], v[90:91]
	v_fma_f64 v[88:89], v[78:79], v[82:83], -v[92:93]
	;; [unrolled: 2-line block ×3, first 2 shown]
	v_fma_f64 v[80:81], v[80:81], v[26:27], v[28:29]
	s_waitcnt lgkmcnt(3)
	v_mul_f64 v[102:103], v[14:15], v[32:33]
	v_mul_f64 v[32:33], v[12:13], v[32:33]
	;; [unrolled: 1-line block ×4, first 2 shown]
	s_waitcnt lgkmcnt(0)
	v_mul_f64 v[90:91], v[18:19], v[40:41]
	v_mul_f64 v[92:93], v[16:17], v[40:41]
	v_add_f64 v[72:73], v[72:73], v[104:105]
	v_add_f64 v[74:75], v[74:75], v[106:107]
	;; [unrolled: 1-line block ×8, first 2 shown]
	ds_load_b128 v[26:29], v22 offset:2816
	ds_load_b128 v[42:45], v22 offset:3072
	;; [unrolled: 1-line block ×4, first 2 shown]
	v_mul_f64 v[104:105], v[36:37], v[40:41]
	v_mul_f64 v[40:41], v[34:35], v[40:41]
	v_fma_f64 v[54:55], v[8:9], v[30:31], -v[54:55]
	v_fma_f64 v[76:77], v[10:11], v[30:31], v[76:77]
	v_fma_f64 v[98:99], v[8:9], v[4:5], -v[98:99]
	v_fma_f64 v[100:101], v[10:11], v[4:5], v[100:101]
	s_waitcnt lgkmcnt(3)
	v_mul_f64 v[94:95], v[18:19], v[28:29]
	v_mul_f64 v[96:97], v[16:17], v[28:29]
	;; [unrolled: 1-line block ×4, first 2 shown]
	v_fma_f64 v[102:103], v[12:13], v[30:31], -v[102:103]
	v_fma_f64 v[32:33], v[14:15], v[30:31], v[32:33]
	v_fma_f64 v[108:109], v[12:13], v[4:5], -v[108:109]
	v_fma_f64 v[112:113], v[14:15], v[4:5], v[6:7]
	ds_load_b128 v[4:7], v23 offset:2144
	ds_load_b128 v[8:11], v23 offset:112
	;; [unrolled: 1-line block ×4, first 2 shown]
	v_add_f64 v[56:57], v[72:73], v[56:57]
	v_add_f64 v[72:73], v[74:75], v[86:87]
	;; [unrolled: 1-line block ×8, first 2 shown]
	s_waitcnt lgkmcnt(4)
	v_mul_f64 v[70:71], v[52:53], v[44:45]
	v_mul_f64 v[74:75], v[50:51], v[44:45]
	;; [unrolled: 1-line block ×4, first 2 shown]
	s_waitcnt lgkmcnt(3)
	v_mul_f64 v[82:83], v[6:7], v[44:45]
	v_mul_f64 v[44:45], v[4:5], v[44:45]
	;; [unrolled: 1-line block ×4, first 2 shown]
	v_fma_f64 v[86:87], v[16:17], v[38:39], -v[90:91]
	v_fma_f64 v[88:89], v[18:19], v[38:39], v[92:93]
	v_fma_f64 v[90:91], v[16:17], v[26:27], -v[94:95]
	v_fma_f64 v[92:93], v[18:19], v[26:27], v[96:97]
	;; [unrolled: 2-line block ×4, first 2 shown]
	ds_load_b128 v[16:19], v22 offset:3840
	s_waitcnt lgkmcnt(0)
	s_barrier
	buffer_gl0_inv
	v_add_f64 v[36:37], v[56:57], v[54:55]
	v_add_f64 v[40:41], v[72:73], v[76:77]
	;; [unrolled: 1-line block ×8, first 2 shown]
	v_mul_f64 v[64:65], v[10:11], v[30:31]
	v_mul_f64 v[66:67], v[8:9], v[30:31]
	;; [unrolled: 1-line block ×4, first 2 shown]
	v_fma_f64 v[70:71], v[50:51], v[42:43], -v[70:71]
	v_mul_f64 v[68:69], v[10:11], v[18:19]
	v_mul_f64 v[72:73], v[8:9], v[18:19]
	;; [unrolled: 1-line block ×4, first 2 shown]
	v_fma_f64 v[74:75], v[52:53], v[42:43], v[74:75]
	v_fma_f64 v[50:51], v[50:51], v[46:47], -v[78:79]
	v_fma_f64 v[52:53], v[52:53], v[46:47], v[80:81]
	v_fma_f64 v[78:79], v[4:5], v[42:43], -v[82:83]
	;; [unrolled: 2-line block ×3, first 2 shown]
	v_fma_f64 v[6:7], v[6:7], v[46:47], v[48:49]
	v_add_f64 v[36:37], v[36:37], v[86:87]
	v_add_f64 v[40:41], v[40:41], v[88:89]
	;; [unrolled: 1-line block ×8, first 2 shown]
	v_fma_f64 v[38:39], v[8:9], v[28:29], -v[64:65]
	v_fma_f64 v[54:55], v[10:11], v[28:29], v[66:67]
	v_fma_f64 v[56:57], v[12:13], v[28:29], -v[76:77]
	v_fma_f64 v[28:29], v[14:15], v[28:29], v[30:31]
	;; [unrolled: 2-line block ×4, first 2 shown]
	v_add_f64 v[12:13], v[36:37], v[70:71]
	v_add_f64 v[14:15], v[40:41], v[74:75]
	;; [unrolled: 1-line block ×16, first 2 shown]
	s_cbranch_scc0 .LBB719_2
.LBB719_3:
	s_load_b32 s9, s[0:1], 0x60
	v_add_nc_u32_e32 v21, s12, v21
	v_add_nc_u32_e32 v0, s10, v20
	s_delay_alu instid0(VALU_DEP_1) | instskip(SKIP_1) | instid1(VALU_DEP_2)
	v_cmp_le_i32_e64 s0, v21, v0
	v_cmp_gt_i32_e32 vcc_lo, s8, v0
	s_and_b32 s0, s0, vcc_lo
	s_waitcnt lgkmcnt(0)
	v_mad_i64_i32 v[1:2], null, v21, s9, 0
	s_delay_alu instid0(VALU_DEP_1) | instskip(NEXT) | instid1(VALU_DEP_1)
	v_lshlrev_b64 v[1:2], 4, v[1:2]
	v_add_co_u32 v20, s1, s2, v1
	s_delay_alu instid0(VALU_DEP_1)
	v_add_co_ci_u32_e64 v22, s1, s3, v2, s1
	s_and_saveexec_b32 s1, s0
	s_cbranch_execz .LBB719_5
; %bb.4:
	v_mul_f64 v[1:2], s[6:7], v[18:19]
	v_mul_f64 v[18:19], s[4:5], v[18:19]
	s_delay_alu instid0(VALU_DEP_2) | instskip(NEXT) | instid1(VALU_DEP_2)
	v_fma_f64 v[23:24], s[4:5], v[16:17], -v[1:2]
	v_fma_f64 v[25:26], s[6:7], v[16:17], v[18:19]
	v_ashrrev_i32_e32 v1, 31, v0
	s_delay_alu instid0(VALU_DEP_1) | instskip(NEXT) | instid1(VALU_DEP_1)
	v_lshlrev_b64 v[1:2], 4, v[0:1]
	v_add_co_u32 v1, s0, v20, v1
	s_delay_alu instid0(VALU_DEP_1)
	v_add_co_ci_u32_e64 v2, s0, v22, v2, s0
	global_store_b128 v[1:2], v[23:26], off
.LBB719_5:
	s_or_b32 exec_lo, exec_lo, s1
	v_add_nc_u32_e32 v2, 16, v0
	s_delay_alu instid0(VALU_DEP_1) | instskip(SKIP_1) | instid1(VALU_DEP_1)
	v_cmp_le_i32_e64 s1, v21, v2
	v_cmp_gt_i32_e64 s0, s8, v2
	s_and_b32 s1, s1, s0
	s_delay_alu instid0(SALU_CYCLE_1)
	s_and_saveexec_b32 s8, s1
	s_cbranch_execz .LBB719_7
; %bb.6:
	v_mul_f64 v[16:17], s[6:7], v[14:15]
	v_mul_f64 v[18:19], s[4:5], v[14:15]
	v_ashrrev_i32_e32 v3, 31, v2
	s_delay_alu instid0(VALU_DEP_3) | instskip(NEXT) | instid1(VALU_DEP_3)
	v_fma_f64 v[14:15], s[4:5], v[12:13], -v[16:17]
	v_fma_f64 v[16:17], s[6:7], v[12:13], v[18:19]
	s_delay_alu instid0(VALU_DEP_3) | instskip(NEXT) | instid1(VALU_DEP_1)
	v_lshlrev_b64 v[12:13], 4, v[2:3]
	v_add_co_u32 v12, s1, v20, v12
	s_delay_alu instid0(VALU_DEP_1)
	v_add_co_ci_u32_e64 v13, s1, v22, v13, s1
	global_store_b128 v[12:13], v[14:17], off
.LBB719_7:
	s_or_b32 exec_lo, exec_lo, s8
	v_add_nc_u32_e32 v3, 16, v21
	s_delay_alu instid0(VALU_DEP_1) | instskip(SKIP_1) | instid1(VALU_DEP_2)
	v_mad_i64_i32 v[12:13], null, v3, s9, 0
	v_cmp_le_i32_e64 s1, v3, v0
	v_lshlrev_b64 v[12:13], 4, v[12:13]
	s_delay_alu instid0(VALU_DEP_1) | instskip(NEXT) | instid1(VALU_DEP_1)
	v_add_co_u32 v12, s2, s2, v12
	v_add_co_ci_u32_e64 v13, s2, s3, v13, s2
	s_delay_alu instid0(VALU_DEP_4) | instskip(NEXT) | instid1(SALU_CYCLE_1)
	s_and_b32 s2, s1, vcc_lo
	s_and_saveexec_b32 s1, s2
	s_cbranch_execz .LBB719_9
; %bb.8:
	v_mul_f64 v[14:15], s[6:7], v[10:11]
	v_mul_f64 v[10:11], s[4:5], v[10:11]
	v_ashrrev_i32_e32 v1, 31, v0
	s_delay_alu instid0(VALU_DEP_1) | instskip(NEXT) | instid1(VALU_DEP_1)
	v_lshlrev_b64 v[0:1], 4, v[0:1]
	v_add_co_u32 v0, vcc_lo, v12, v0
	s_delay_alu instid0(VALU_DEP_2)
	v_add_co_ci_u32_e32 v1, vcc_lo, v13, v1, vcc_lo
	v_fma_f64 v[14:15], s[4:5], v[8:9], -v[14:15]
	v_fma_f64 v[16:17], s[6:7], v[8:9], v[10:11]
	global_store_b128 v[0:1], v[14:17], off
.LBB719_9:
	s_or_b32 exec_lo, exec_lo, s1
	v_cmp_le_i32_e32 vcc_lo, v3, v2
	s_and_b32 s0, vcc_lo, s0
	s_delay_alu instid0(SALU_CYCLE_1)
	s_and_saveexec_b32 s1, s0
	s_cbranch_execz .LBB719_11
; %bb.10:
	v_mul_f64 v[0:1], s[6:7], v[4:5]
	v_mul_f64 v[8:9], s[4:5], v[4:5]
	v_ashrrev_i32_e32 v3, 31, v2
	s_delay_alu instid0(VALU_DEP_3) | instskip(NEXT) | instid1(VALU_DEP_3)
	v_fma_f64 v[4:5], s[4:5], v[6:7], -v[0:1]
	v_fma_f64 v[6:7], s[6:7], v[6:7], v[8:9]
	s_delay_alu instid0(VALU_DEP_3) | instskip(NEXT) | instid1(VALU_DEP_1)
	v_lshlrev_b64 v[0:1], 4, v[2:3]
	v_add_co_u32 v0, vcc_lo, v12, v0
	s_delay_alu instid0(VALU_DEP_2)
	v_add_co_ci_u32_e32 v1, vcc_lo, v13, v1, vcc_lo
	global_store_b128 v[0:1], v[4:7], off
.LBB719_11:
	s_nop 0
	s_sendmsg sendmsg(MSG_DEALLOC_VGPRS)
	s_endpgm
	.section	.rodata,"a",@progbits
	.p2align	6, 0x0
	.amdhsa_kernel _ZL37rocblas_syrkx_herkx_restricted_kernelIi19rocblas_complex_numIdELi16ELi32ELi8ELb1ELb0ELc84ELc76EKPKS1_KPS1_EviT_T0_PT8_S7_lSA_S7_lS8_PT9_S7_li
		.amdhsa_group_segment_fixed_size 8192
		.amdhsa_private_segment_fixed_size 0
		.amdhsa_kernarg_size 116
		.amdhsa_user_sgpr_count 13
		.amdhsa_user_sgpr_dispatch_ptr 0
		.amdhsa_user_sgpr_queue_ptr 0
		.amdhsa_user_sgpr_kernarg_segment_ptr 1
		.amdhsa_user_sgpr_dispatch_id 0
		.amdhsa_user_sgpr_private_segment_size 0
		.amdhsa_wavefront_size32 1
		.amdhsa_uses_dynamic_stack 0
		.amdhsa_enable_private_segment 0
		.amdhsa_system_sgpr_workgroup_id_x 1
		.amdhsa_system_sgpr_workgroup_id_y 1
		.amdhsa_system_sgpr_workgroup_id_z 1
		.amdhsa_system_sgpr_workgroup_info 0
		.amdhsa_system_vgpr_workitem_id 1
		.amdhsa_next_free_vgpr 118
		.amdhsa_next_free_sgpr 21
		.amdhsa_reserve_vcc 1
		.amdhsa_float_round_mode_32 0
		.amdhsa_float_round_mode_16_64 0
		.amdhsa_float_denorm_mode_32 3
		.amdhsa_float_denorm_mode_16_64 3
		.amdhsa_dx10_clamp 1
		.amdhsa_ieee_mode 1
		.amdhsa_fp16_overflow 0
		.amdhsa_workgroup_processor_mode 1
		.amdhsa_memory_ordered 1
		.amdhsa_forward_progress 0
		.amdhsa_shared_vgpr_count 0
		.amdhsa_exception_fp_ieee_invalid_op 0
		.amdhsa_exception_fp_denorm_src 0
		.amdhsa_exception_fp_ieee_div_zero 0
		.amdhsa_exception_fp_ieee_overflow 0
		.amdhsa_exception_fp_ieee_underflow 0
		.amdhsa_exception_fp_ieee_inexact 0
		.amdhsa_exception_int_div_zero 0
	.end_amdhsa_kernel
	.section	.text._ZL37rocblas_syrkx_herkx_restricted_kernelIi19rocblas_complex_numIdELi16ELi32ELi8ELb1ELb0ELc84ELc76EKPKS1_KPS1_EviT_T0_PT8_S7_lSA_S7_lS8_PT9_S7_li,"axG",@progbits,_ZL37rocblas_syrkx_herkx_restricted_kernelIi19rocblas_complex_numIdELi16ELi32ELi8ELb1ELb0ELc84ELc76EKPKS1_KPS1_EviT_T0_PT8_S7_lSA_S7_lS8_PT9_S7_li,comdat
.Lfunc_end719:
	.size	_ZL37rocblas_syrkx_herkx_restricted_kernelIi19rocblas_complex_numIdELi16ELi32ELi8ELb1ELb0ELc84ELc76EKPKS1_KPS1_EviT_T0_PT8_S7_lSA_S7_lS8_PT9_S7_li, .Lfunc_end719-_ZL37rocblas_syrkx_herkx_restricted_kernelIi19rocblas_complex_numIdELi16ELi32ELi8ELb1ELb0ELc84ELc76EKPKS1_KPS1_EviT_T0_PT8_S7_lSA_S7_lS8_PT9_S7_li
                                        ; -- End function
	.section	.AMDGPU.csdata,"",@progbits
; Kernel info:
; codeLenInByte = 3000
; NumSgprs: 23
; NumVgprs: 118
; ScratchSize: 0
; MemoryBound: 0
; FloatMode: 240
; IeeeMode: 1
; LDSByteSize: 8192 bytes/workgroup (compile time only)
; SGPRBlocks: 2
; VGPRBlocks: 14
; NumSGPRsForWavesPerEU: 23
; NumVGPRsForWavesPerEU: 118
; Occupancy: 12
; WaveLimiterHint : 1
; COMPUTE_PGM_RSRC2:SCRATCH_EN: 0
; COMPUTE_PGM_RSRC2:USER_SGPR: 13
; COMPUTE_PGM_RSRC2:TRAP_HANDLER: 0
; COMPUTE_PGM_RSRC2:TGID_X_EN: 1
; COMPUTE_PGM_RSRC2:TGID_Y_EN: 1
; COMPUTE_PGM_RSRC2:TGID_Z_EN: 1
; COMPUTE_PGM_RSRC2:TIDIG_COMP_CNT: 1
	.section	.text._ZL37rocblas_syrkx_herkx_restricted_kernelIi19rocblas_complex_numIdELi16ELi32ELi8ELb1ELb0ELc67ELc76EKPKS1_KPS1_EviT_T0_PT8_S7_lSA_S7_lS8_PT9_S7_li,"axG",@progbits,_ZL37rocblas_syrkx_herkx_restricted_kernelIi19rocblas_complex_numIdELi16ELi32ELi8ELb1ELb0ELc67ELc76EKPKS1_KPS1_EviT_T0_PT8_S7_lSA_S7_lS8_PT9_S7_li,comdat
	.globl	_ZL37rocblas_syrkx_herkx_restricted_kernelIi19rocblas_complex_numIdELi16ELi32ELi8ELb1ELb0ELc67ELc76EKPKS1_KPS1_EviT_T0_PT8_S7_lSA_S7_lS8_PT9_S7_li ; -- Begin function _ZL37rocblas_syrkx_herkx_restricted_kernelIi19rocblas_complex_numIdELi16ELi32ELi8ELb1ELb0ELc67ELc76EKPKS1_KPS1_EviT_T0_PT8_S7_lSA_S7_lS8_PT9_S7_li
	.p2align	8
	.type	_ZL37rocblas_syrkx_herkx_restricted_kernelIi19rocblas_complex_numIdELi16ELi32ELi8ELb1ELb0ELc67ELc76EKPKS1_KPS1_EviT_T0_PT8_S7_lSA_S7_lS8_PT9_S7_li,@function
_ZL37rocblas_syrkx_herkx_restricted_kernelIi19rocblas_complex_numIdELi16ELi32ELi8ELb1ELb0ELc67ELc76EKPKS1_KPS1_EviT_T0_PT8_S7_lSA_S7_lS8_PT9_S7_li: ; @_ZL37rocblas_syrkx_herkx_restricted_kernelIi19rocblas_complex_numIdELi16ELi32ELi8ELb1ELb0ELc67ELc76EKPKS1_KPS1_EviT_T0_PT8_S7_lSA_S7_lS8_PT9_S7_li
; %bb.0:
	s_clause 0x2
	s_load_b64 s[2:3], s[0:1], 0x58
	s_load_b64 s[18:19], s[0:1], 0x18
	;; [unrolled: 1-line block ×3, first 2 shown]
	s_mov_b32 s10, s15
	s_mov_b32 s11, 0
	v_mov_b32_e32 v16, 0
	s_lshl_b64 s[16:17], s[10:11], 3
	v_dual_mov_b32 v17, 0 :: v_dual_and_b32 v20, 0x3ff, v0
	v_bfe_u32 v21, v0, 10, 10
	s_delay_alu instid0(VALU_DEP_3) | instskip(NEXT) | instid1(VALU_DEP_3)
	v_mov_b32_e32 v12, v16
	v_dual_mov_b32 v14, v16 :: v_dual_mov_b32 v15, v17
	v_dual_mov_b32 v19, v17 :: v_dual_mov_b32 v18, v16
	;; [unrolled: 1-line block ×4, first 2 shown]
	v_mov_b32_e32 v11, v17
	s_waitcnt lgkmcnt(0)
	s_add_u32 s2, s2, s16
	s_addc_u32 s3, s3, s17
	s_load_b128 s[4:7], s[0:1], 0x8
	s_load_b64 s[2:3], s[2:3], 0x0
	v_dual_mov_b32 v6, v16 :: v_dual_mov_b32 v7, v17
	v_dual_mov_b32 v4, v16 :: v_dual_mov_b32 v5, v17
	s_lshl_b32 s10, s13, 5
	s_lshl_b32 s12, s14, 5
	s_cmp_lt_i32 s9, 1
	s_cbranch_scc1 .LBB720_3
; %bb.1:
	s_clause 0x2
	s_load_b64 s[14:15], s[0:1], 0x30
	s_load_b32 s13, s[0:1], 0x20
	s_load_b32 s20, s[0:1], 0x38
	v_lshl_add_u32 v2, v21, 4, v20
	v_dual_mov_b32 v1, 0 :: v_dual_and_b32 v0, 7, v20
	s_add_u32 s18, s18, s16
	v_lshlrev_b32_e32 v22, 4, v20
	s_delay_alu instid0(VALU_DEP_3) | instskip(SKIP_3) | instid1(VALU_DEP_3)
	v_and_b32_e32 v10, 31, v2
	s_addc_u32 s19, s19, s17
	v_lshrrev_b32_e32 v11, 3, v2
	v_lshrrev_b32_e32 v2, 5, v2
	v_dual_mov_b32 v3, v1 :: v_dual_add_nc_u32 v4, s10, v10
	s_load_b64 s[18:19], s[18:19], 0x0
	v_lshl_add_u32 v23, v21, 7, 0x1000
	s_waitcnt lgkmcnt(0)
	s_add_u32 s14, s14, s16
	s_addc_u32 s15, s15, s17
	v_mad_i64_i32 v[6:7], null, s13, v4, v[2:3]
	s_load_b64 s[14:15], s[14:15], 0x0
	v_dual_mov_b32 v4, 0 :: v_dual_lshlrev_b32 v3, 4, v0
	v_dual_mov_b32 v5, 0 :: v_dual_add_nc_u32 v12, s12, v11
	v_lshlrev_b32_e32 v10, 4, v10
	s_delay_alu instid0(VALU_DEP_3) | instskip(NEXT) | instid1(VALU_DEP_3)
	v_lshl_or_b32 v3, v11, 7, v3
	v_mov_b32_e32 v15, v5
	s_delay_alu instid0(VALU_DEP_4)
	v_mad_i64_i32 v[8:9], null, s20, v12, v[0:1]
	v_lshlrev_b64 v[0:1], 4, v[6:7]
	v_dual_mov_b32 v7, v5 :: v_dual_mov_b32 v6, v4
	v_add_nc_u32_e32 v25, 0x1000, v3
	v_lshl_or_b32 v24, v2, 9, v10
	v_dual_mov_b32 v14, v4 :: v_dual_mov_b32 v13, v5
	v_lshlrev_b64 v[2:3], 4, v[8:9]
	v_add_co_u32 v0, vcc_lo, v0, s18
	v_add_co_ci_u32_e32 v1, vcc_lo, s19, v1, vcc_lo
	v_mov_b32_e32 v9, v5
	s_waitcnt lgkmcnt(0)
	s_delay_alu instid0(VALU_DEP_4)
	v_add_co_u32 v2, vcc_lo, v2, s14
	v_add_co_ci_u32_e32 v3, vcc_lo, s15, v3, vcc_lo
	v_add_co_u32 v0, vcc_lo, v0, 8
	v_mov_b32_e32 v8, v4
	v_add_co_ci_u32_e32 v1, vcc_lo, 0, v1, vcc_lo
	v_add_co_u32 v2, vcc_lo, v2, 8
	v_dual_mov_b32 v12, v4 :: v_dual_mov_b32 v19, v5
	v_dual_mov_b32 v18, v4 :: v_dual_mov_b32 v17, v5
	v_add_co_ci_u32_e32 v3, vcc_lo, 0, v3, vcc_lo
	v_dual_mov_b32 v11, v5 :: v_dual_mov_b32 v10, v4
	v_mov_b32_e32 v16, v4
.LBB720_2:                              ; =>This Inner Loop Header: Depth=1
	global_load_b128 v[26:29], v[0:1], off offset:-8
	global_load_b128 v[30:33], v[2:3], off offset:-8
	v_add_co_u32 v0, vcc_lo, 0x80, v0
	v_add_co_ci_u32_e32 v1, vcc_lo, 0, v1, vcc_lo
	v_add_co_u32 v2, vcc_lo, 0x80, v2
	v_add_co_ci_u32_e32 v3, vcc_lo, 0, v3, vcc_lo
	s_add_i32 s11, s11, 8
	s_waitcnt vmcnt(1)
	ds_store_b128 v24, v[26:29]
	s_waitcnt vmcnt(0)
	ds_store_b128 v25, v[30:33]
	s_waitcnt lgkmcnt(0)
	s_barrier
	buffer_gl0_inv
	ds_load_b128 v[26:29], v23
	ds_load_b128 v[30:33], v22
	ds_load_b128 v[34:37], v22 offset:256
	ds_load_b128 v[38:41], v23 offset:2048
	ds_load_b128 v[42:45], v23 offset:16
	ds_load_b128 v[46:49], v23 offset:2064
	ds_load_b128 v[50:53], v22 offset:512
	ds_load_b128 v[54:57], v22 offset:768
	ds_load_b128 v[58:61], v23 offset:32
	ds_load_b128 v[62:65], v23 offset:48
	ds_load_b128 v[66:69], v22 offset:1024
	ds_load_b128 v[70:73], v22 offset:1280
	ds_load_b128 v[74:77], v23 offset:2080
	ds_load_b128 v[78:81], v23 offset:2096
	ds_load_b128 v[82:85], v22 offset:1536
	s_cmp_ge_i32 s11, s9
	s_waitcnt lgkmcnt(13)
	v_mul_f64 v[86:87], v[28:29], v[32:33]
	v_mul_f64 v[88:89], v[26:27], v[32:33]
	s_waitcnt lgkmcnt(12)
	v_mul_f64 v[90:91], v[28:29], v[36:37]
	v_mul_f64 v[92:93], v[26:27], v[36:37]
	;; [unrolled: 3-line block ×3, first 2 shown]
	v_mul_f64 v[96:97], v[40:41], v[36:37]
	v_mul_f64 v[36:37], v[38:39], v[36:37]
	s_waitcnt lgkmcnt(8)
	v_mul_f64 v[98:99], v[44:45], v[52:53]
	v_mul_f64 v[100:101], v[42:43], v[52:53]
	s_waitcnt lgkmcnt(7)
	v_mul_f64 v[102:103], v[44:45], v[56:57]
	v_mul_f64 v[104:105], v[42:43], v[56:57]
	;; [unrolled: 1-line block ×6, first 2 shown]
	s_waitcnt lgkmcnt(3)
	v_mul_f64 v[112:113], v[58:59], v[72:73]
	s_waitcnt lgkmcnt(2)
	v_mul_f64 v[114:115], v[76:77], v[68:69]
	v_mul_f64 v[116:117], v[76:77], v[72:73]
	v_fma_f64 v[86:87], v[26:27], v[30:31], -v[86:87]
	v_fma_f64 v[88:89], v[28:29], v[30:31], v[88:89]
	v_fma_f64 v[90:91], v[26:27], v[34:35], -v[90:91]
	v_fma_f64 v[92:93], v[28:29], v[34:35], v[92:93]
	;; [unrolled: 2-line block ×4, first 2 shown]
	v_mul_f64 v[36:37], v[60:61], v[68:69]
	v_mul_f64 v[40:41], v[58:59], v[68:69]
	;; [unrolled: 1-line block ×5, first 2 shown]
	v_fma_f64 v[98:99], v[42:43], v[50:51], -v[98:99]
	v_fma_f64 v[100:101], v[44:45], v[50:51], v[100:101]
	v_fma_f64 v[42:43], v[42:43], v[54:55], -v[102:103]
	v_fma_f64 v[44:45], v[44:45], v[54:55], v[104:105]
	;; [unrolled: 2-line block ×4, first 2 shown]
	ds_load_b128 v[26:29], v22 offset:1792
	ds_load_b128 v[30:33], v22 offset:2048
	s_waitcnt lgkmcnt(2)
	v_mul_f64 v[56:57], v[64:65], v[84:85]
	v_add_f64 v[16:17], v[16:17], v[86:87]
	v_add_f64 v[18:19], v[18:19], v[88:89]
	;; [unrolled: 1-line block ×8, first 2 shown]
	v_mul_f64 v[86:87], v[62:63], v[84:85]
	s_waitcnt lgkmcnt(1)
	v_mul_f64 v[88:89], v[64:65], v[28:29]
	v_mul_f64 v[90:91], v[62:63], v[28:29]
	;; [unrolled: 1-line block ×6, first 2 shown]
	v_fma_f64 v[104:105], v[58:59], v[66:67], -v[36:37]
	v_fma_f64 v[106:107], v[60:61], v[66:67], v[40:41]
	v_fma_f64 v[58:59], v[58:59], v[70:71], -v[96:97]
	v_fma_f64 v[60:61], v[60:61], v[70:71], v[112:113]
	;; [unrolled: 2-line block ×4, first 2 shown]
	ds_load_b128 v[4:7], v22 offset:2304
	ds_load_b128 v[8:11], v23 offset:64
	v_fma_f64 v[56:57], v[62:63], v[82:83], -v[56:57]
	v_add_f64 v[72:73], v[16:17], v[98:99]
	v_add_f64 v[74:75], v[18:19], v[100:101]
	;; [unrolled: 1-line block ×8, first 2 shown]
	ds_load_b128 v[12:15], v23 offset:2112
	ds_load_b128 v[16:19], v23 offset:80
	;; [unrolled: 1-line block ×4, first 2 shown]
	s_waitcnt lgkmcnt(4)
	v_mul_f64 v[54:55], v[10:11], v[32:33]
	v_mul_f64 v[76:77], v[8:9], v[32:33]
	v_mul_f64 v[98:99], v[10:11], v[6:7]
	v_mul_f64 v[100:101], v[8:9], v[6:7]
	v_fma_f64 v[86:87], v[64:65], v[82:83], v[86:87]
	v_fma_f64 v[62:63], v[62:63], v[26:27], -v[88:89]
	v_fma_f64 v[64:65], v[64:65], v[26:27], v[90:91]
	v_fma_f64 v[88:89], v[78:79], v[82:83], -v[92:93]
	;; [unrolled: 2-line block ×3, first 2 shown]
	v_fma_f64 v[80:81], v[80:81], v[26:27], v[28:29]
	s_waitcnt lgkmcnt(3)
	v_mul_f64 v[102:103], v[14:15], v[32:33]
	v_mul_f64 v[32:33], v[12:13], v[32:33]
	;; [unrolled: 1-line block ×4, first 2 shown]
	s_waitcnt lgkmcnt(0)
	v_mul_f64 v[90:91], v[18:19], v[40:41]
	v_mul_f64 v[92:93], v[16:17], v[40:41]
	v_add_f64 v[72:73], v[72:73], v[104:105]
	v_add_f64 v[74:75], v[74:75], v[106:107]
	;; [unrolled: 1-line block ×8, first 2 shown]
	ds_load_b128 v[26:29], v22 offset:2816
	ds_load_b128 v[42:45], v22 offset:3072
	;; [unrolled: 1-line block ×4, first 2 shown]
	v_mul_f64 v[104:105], v[36:37], v[40:41]
	v_mul_f64 v[40:41], v[34:35], v[40:41]
	v_fma_f64 v[54:55], v[8:9], v[30:31], -v[54:55]
	v_fma_f64 v[76:77], v[10:11], v[30:31], v[76:77]
	v_fma_f64 v[98:99], v[8:9], v[4:5], -v[98:99]
	v_fma_f64 v[100:101], v[10:11], v[4:5], v[100:101]
	s_waitcnt lgkmcnt(3)
	v_mul_f64 v[94:95], v[18:19], v[28:29]
	v_mul_f64 v[96:97], v[16:17], v[28:29]
	;; [unrolled: 1-line block ×4, first 2 shown]
	v_fma_f64 v[102:103], v[12:13], v[30:31], -v[102:103]
	v_fma_f64 v[32:33], v[14:15], v[30:31], v[32:33]
	v_fma_f64 v[108:109], v[12:13], v[4:5], -v[108:109]
	v_fma_f64 v[112:113], v[14:15], v[4:5], v[6:7]
	ds_load_b128 v[4:7], v23 offset:2144
	ds_load_b128 v[8:11], v23 offset:112
	;; [unrolled: 1-line block ×4, first 2 shown]
	v_add_f64 v[56:57], v[72:73], v[56:57]
	v_add_f64 v[72:73], v[74:75], v[86:87]
	;; [unrolled: 1-line block ×8, first 2 shown]
	s_waitcnt lgkmcnt(4)
	v_mul_f64 v[70:71], v[52:53], v[44:45]
	v_mul_f64 v[74:75], v[50:51], v[44:45]
	;; [unrolled: 1-line block ×4, first 2 shown]
	s_waitcnt lgkmcnt(3)
	v_mul_f64 v[82:83], v[6:7], v[44:45]
	v_mul_f64 v[44:45], v[4:5], v[44:45]
	v_mul_f64 v[84:85], v[6:7], v[48:49]
	v_mul_f64 v[48:49], v[4:5], v[48:49]
	v_fma_f64 v[86:87], v[16:17], v[38:39], -v[90:91]
	v_fma_f64 v[88:89], v[18:19], v[38:39], v[92:93]
	v_fma_f64 v[90:91], v[16:17], v[26:27], -v[94:95]
	v_fma_f64 v[92:93], v[18:19], v[26:27], v[96:97]
	;; [unrolled: 2-line block ×4, first 2 shown]
	ds_load_b128 v[16:19], v22 offset:3840
	s_waitcnt lgkmcnt(0)
	s_barrier
	buffer_gl0_inv
	v_add_f64 v[36:37], v[56:57], v[54:55]
	v_add_f64 v[40:41], v[72:73], v[76:77]
	;; [unrolled: 1-line block ×8, first 2 shown]
	v_mul_f64 v[64:65], v[10:11], v[30:31]
	v_mul_f64 v[66:67], v[8:9], v[30:31]
	;; [unrolled: 1-line block ×4, first 2 shown]
	v_fma_f64 v[70:71], v[50:51], v[42:43], -v[70:71]
	v_mul_f64 v[68:69], v[10:11], v[18:19]
	v_mul_f64 v[72:73], v[8:9], v[18:19]
	;; [unrolled: 1-line block ×4, first 2 shown]
	v_fma_f64 v[74:75], v[52:53], v[42:43], v[74:75]
	v_fma_f64 v[50:51], v[50:51], v[46:47], -v[78:79]
	v_fma_f64 v[52:53], v[52:53], v[46:47], v[80:81]
	v_fma_f64 v[78:79], v[4:5], v[42:43], -v[82:83]
	;; [unrolled: 2-line block ×3, first 2 shown]
	v_fma_f64 v[6:7], v[6:7], v[46:47], v[48:49]
	v_add_f64 v[36:37], v[36:37], v[86:87]
	v_add_f64 v[40:41], v[40:41], v[88:89]
	;; [unrolled: 1-line block ×8, first 2 shown]
	v_fma_f64 v[38:39], v[8:9], v[28:29], -v[64:65]
	v_fma_f64 v[54:55], v[10:11], v[28:29], v[66:67]
	v_fma_f64 v[56:57], v[12:13], v[28:29], -v[76:77]
	v_fma_f64 v[28:29], v[14:15], v[28:29], v[30:31]
	;; [unrolled: 2-line block ×4, first 2 shown]
	v_add_f64 v[12:13], v[36:37], v[70:71]
	v_add_f64 v[14:15], v[40:41], v[74:75]
	;; [unrolled: 1-line block ×16, first 2 shown]
	s_cbranch_scc0 .LBB720_2
.LBB720_3:
	s_load_b32 s9, s[0:1], 0x60
	v_add_nc_u32_e32 v21, s12, v21
	v_add_nc_u32_e32 v0, s10, v20
	s_delay_alu instid0(VALU_DEP_1) | instskip(SKIP_1) | instid1(VALU_DEP_2)
	v_cmp_le_i32_e64 s0, v21, v0
	v_cmp_gt_i32_e32 vcc_lo, s8, v0
	s_and_b32 s0, s0, vcc_lo
	s_waitcnt lgkmcnt(0)
	v_mad_i64_i32 v[1:2], null, v21, s9, 0
	s_delay_alu instid0(VALU_DEP_1) | instskip(NEXT) | instid1(VALU_DEP_1)
	v_lshlrev_b64 v[1:2], 4, v[1:2]
	v_add_co_u32 v20, s1, s2, v1
	s_delay_alu instid0(VALU_DEP_1)
	v_add_co_ci_u32_e64 v22, s1, s3, v2, s1
	s_and_saveexec_b32 s1, s0
	s_cbranch_execz .LBB720_5
; %bb.4:
	v_mul_f64 v[1:2], s[6:7], v[18:19]
	v_mul_f64 v[18:19], s[4:5], v[18:19]
	s_delay_alu instid0(VALU_DEP_2) | instskip(NEXT) | instid1(VALU_DEP_2)
	v_fma_f64 v[23:24], s[4:5], v[16:17], -v[1:2]
	v_fma_f64 v[25:26], s[6:7], v[16:17], v[18:19]
	v_ashrrev_i32_e32 v1, 31, v0
	s_delay_alu instid0(VALU_DEP_1) | instskip(NEXT) | instid1(VALU_DEP_1)
	v_lshlrev_b64 v[1:2], 4, v[0:1]
	v_add_co_u32 v1, s0, v20, v1
	s_delay_alu instid0(VALU_DEP_1)
	v_add_co_ci_u32_e64 v2, s0, v22, v2, s0
	global_store_b128 v[1:2], v[23:26], off
.LBB720_5:
	s_or_b32 exec_lo, exec_lo, s1
	v_add_nc_u32_e32 v2, 16, v0
	s_delay_alu instid0(VALU_DEP_1) | instskip(SKIP_1) | instid1(VALU_DEP_1)
	v_cmp_le_i32_e64 s1, v21, v2
	v_cmp_gt_i32_e64 s0, s8, v2
	s_and_b32 s1, s1, s0
	s_delay_alu instid0(SALU_CYCLE_1)
	s_and_saveexec_b32 s8, s1
	s_cbranch_execz .LBB720_7
; %bb.6:
	v_mul_f64 v[16:17], s[6:7], v[14:15]
	v_mul_f64 v[18:19], s[4:5], v[14:15]
	v_ashrrev_i32_e32 v3, 31, v2
	s_delay_alu instid0(VALU_DEP_3) | instskip(NEXT) | instid1(VALU_DEP_3)
	v_fma_f64 v[14:15], s[4:5], v[12:13], -v[16:17]
	v_fma_f64 v[16:17], s[6:7], v[12:13], v[18:19]
	s_delay_alu instid0(VALU_DEP_3) | instskip(NEXT) | instid1(VALU_DEP_1)
	v_lshlrev_b64 v[12:13], 4, v[2:3]
	v_add_co_u32 v12, s1, v20, v12
	s_delay_alu instid0(VALU_DEP_1)
	v_add_co_ci_u32_e64 v13, s1, v22, v13, s1
	global_store_b128 v[12:13], v[14:17], off
.LBB720_7:
	s_or_b32 exec_lo, exec_lo, s8
	v_add_nc_u32_e32 v3, 16, v21
	s_delay_alu instid0(VALU_DEP_1) | instskip(SKIP_1) | instid1(VALU_DEP_2)
	v_mad_i64_i32 v[12:13], null, v3, s9, 0
	v_cmp_le_i32_e64 s1, v3, v0
	v_lshlrev_b64 v[12:13], 4, v[12:13]
	s_delay_alu instid0(VALU_DEP_1) | instskip(NEXT) | instid1(VALU_DEP_1)
	v_add_co_u32 v12, s2, s2, v12
	v_add_co_ci_u32_e64 v13, s2, s3, v13, s2
	s_delay_alu instid0(VALU_DEP_4) | instskip(NEXT) | instid1(SALU_CYCLE_1)
	s_and_b32 s2, s1, vcc_lo
	s_and_saveexec_b32 s1, s2
	s_cbranch_execz .LBB720_9
; %bb.8:
	v_mul_f64 v[14:15], s[6:7], v[10:11]
	v_mul_f64 v[10:11], s[4:5], v[10:11]
	v_ashrrev_i32_e32 v1, 31, v0
	s_delay_alu instid0(VALU_DEP_1) | instskip(NEXT) | instid1(VALU_DEP_1)
	v_lshlrev_b64 v[0:1], 4, v[0:1]
	v_add_co_u32 v0, vcc_lo, v12, v0
	s_delay_alu instid0(VALU_DEP_2)
	v_add_co_ci_u32_e32 v1, vcc_lo, v13, v1, vcc_lo
	v_fma_f64 v[14:15], s[4:5], v[8:9], -v[14:15]
	v_fma_f64 v[16:17], s[6:7], v[8:9], v[10:11]
	global_store_b128 v[0:1], v[14:17], off
.LBB720_9:
	s_or_b32 exec_lo, exec_lo, s1
	v_cmp_le_i32_e32 vcc_lo, v3, v2
	s_and_b32 s0, vcc_lo, s0
	s_delay_alu instid0(SALU_CYCLE_1)
	s_and_saveexec_b32 s1, s0
	s_cbranch_execz .LBB720_11
; %bb.10:
	v_mul_f64 v[0:1], s[6:7], v[4:5]
	v_mul_f64 v[8:9], s[4:5], v[4:5]
	v_ashrrev_i32_e32 v3, 31, v2
	s_delay_alu instid0(VALU_DEP_3) | instskip(NEXT) | instid1(VALU_DEP_3)
	v_fma_f64 v[4:5], s[4:5], v[6:7], -v[0:1]
	v_fma_f64 v[6:7], s[6:7], v[6:7], v[8:9]
	s_delay_alu instid0(VALU_DEP_3) | instskip(NEXT) | instid1(VALU_DEP_1)
	v_lshlrev_b64 v[0:1], 4, v[2:3]
	v_add_co_u32 v0, vcc_lo, v12, v0
	s_delay_alu instid0(VALU_DEP_2)
	v_add_co_ci_u32_e32 v1, vcc_lo, v13, v1, vcc_lo
	global_store_b128 v[0:1], v[4:7], off
.LBB720_11:
	s_nop 0
	s_sendmsg sendmsg(MSG_DEALLOC_VGPRS)
	s_endpgm
	.section	.rodata,"a",@progbits
	.p2align	6, 0x0
	.amdhsa_kernel _ZL37rocblas_syrkx_herkx_restricted_kernelIi19rocblas_complex_numIdELi16ELi32ELi8ELb1ELb0ELc67ELc76EKPKS1_KPS1_EviT_T0_PT8_S7_lSA_S7_lS8_PT9_S7_li
		.amdhsa_group_segment_fixed_size 8192
		.amdhsa_private_segment_fixed_size 0
		.amdhsa_kernarg_size 116
		.amdhsa_user_sgpr_count 13
		.amdhsa_user_sgpr_dispatch_ptr 0
		.amdhsa_user_sgpr_queue_ptr 0
		.amdhsa_user_sgpr_kernarg_segment_ptr 1
		.amdhsa_user_sgpr_dispatch_id 0
		.amdhsa_user_sgpr_private_segment_size 0
		.amdhsa_wavefront_size32 1
		.amdhsa_uses_dynamic_stack 0
		.amdhsa_enable_private_segment 0
		.amdhsa_system_sgpr_workgroup_id_x 1
		.amdhsa_system_sgpr_workgroup_id_y 1
		.amdhsa_system_sgpr_workgroup_id_z 1
		.amdhsa_system_sgpr_workgroup_info 0
		.amdhsa_system_vgpr_workitem_id 1
		.amdhsa_next_free_vgpr 118
		.amdhsa_next_free_sgpr 21
		.amdhsa_reserve_vcc 1
		.amdhsa_float_round_mode_32 0
		.amdhsa_float_round_mode_16_64 0
		.amdhsa_float_denorm_mode_32 3
		.amdhsa_float_denorm_mode_16_64 3
		.amdhsa_dx10_clamp 1
		.amdhsa_ieee_mode 1
		.amdhsa_fp16_overflow 0
		.amdhsa_workgroup_processor_mode 1
		.amdhsa_memory_ordered 1
		.amdhsa_forward_progress 0
		.amdhsa_shared_vgpr_count 0
		.amdhsa_exception_fp_ieee_invalid_op 0
		.amdhsa_exception_fp_denorm_src 0
		.amdhsa_exception_fp_ieee_div_zero 0
		.amdhsa_exception_fp_ieee_overflow 0
		.amdhsa_exception_fp_ieee_underflow 0
		.amdhsa_exception_fp_ieee_inexact 0
		.amdhsa_exception_int_div_zero 0
	.end_amdhsa_kernel
	.section	.text._ZL37rocblas_syrkx_herkx_restricted_kernelIi19rocblas_complex_numIdELi16ELi32ELi8ELb1ELb0ELc67ELc76EKPKS1_KPS1_EviT_T0_PT8_S7_lSA_S7_lS8_PT9_S7_li,"axG",@progbits,_ZL37rocblas_syrkx_herkx_restricted_kernelIi19rocblas_complex_numIdELi16ELi32ELi8ELb1ELb0ELc67ELc76EKPKS1_KPS1_EviT_T0_PT8_S7_lSA_S7_lS8_PT9_S7_li,comdat
.Lfunc_end720:
	.size	_ZL37rocblas_syrkx_herkx_restricted_kernelIi19rocblas_complex_numIdELi16ELi32ELi8ELb1ELb0ELc67ELc76EKPKS1_KPS1_EviT_T0_PT8_S7_lSA_S7_lS8_PT9_S7_li, .Lfunc_end720-_ZL37rocblas_syrkx_herkx_restricted_kernelIi19rocblas_complex_numIdELi16ELi32ELi8ELb1ELb0ELc67ELc76EKPKS1_KPS1_EviT_T0_PT8_S7_lSA_S7_lS8_PT9_S7_li
                                        ; -- End function
	.section	.AMDGPU.csdata,"",@progbits
; Kernel info:
; codeLenInByte = 3000
; NumSgprs: 23
; NumVgprs: 118
; ScratchSize: 0
; MemoryBound: 0
; FloatMode: 240
; IeeeMode: 1
; LDSByteSize: 8192 bytes/workgroup (compile time only)
; SGPRBlocks: 2
; VGPRBlocks: 14
; NumSGPRsForWavesPerEU: 23
; NumVGPRsForWavesPerEU: 118
; Occupancy: 12
; WaveLimiterHint : 1
; COMPUTE_PGM_RSRC2:SCRATCH_EN: 0
; COMPUTE_PGM_RSRC2:USER_SGPR: 13
; COMPUTE_PGM_RSRC2:TRAP_HANDLER: 0
; COMPUTE_PGM_RSRC2:TGID_X_EN: 1
; COMPUTE_PGM_RSRC2:TGID_Y_EN: 1
; COMPUTE_PGM_RSRC2:TGID_Z_EN: 1
; COMPUTE_PGM_RSRC2:TIDIG_COMP_CNT: 1
	.section	.text._ZL37rocblas_syrkx_herkx_restricted_kernelIi19rocblas_complex_numIdELi16ELi32ELi8ELb1ELb0ELc78ELc76EKPKS1_KPS1_EviT_T0_PT8_S7_lSA_S7_lS8_PT9_S7_li,"axG",@progbits,_ZL37rocblas_syrkx_herkx_restricted_kernelIi19rocblas_complex_numIdELi16ELi32ELi8ELb1ELb0ELc78ELc76EKPKS1_KPS1_EviT_T0_PT8_S7_lSA_S7_lS8_PT9_S7_li,comdat
	.globl	_ZL37rocblas_syrkx_herkx_restricted_kernelIi19rocblas_complex_numIdELi16ELi32ELi8ELb1ELb0ELc78ELc76EKPKS1_KPS1_EviT_T0_PT8_S7_lSA_S7_lS8_PT9_S7_li ; -- Begin function _ZL37rocblas_syrkx_herkx_restricted_kernelIi19rocblas_complex_numIdELi16ELi32ELi8ELb1ELb0ELc78ELc76EKPKS1_KPS1_EviT_T0_PT8_S7_lSA_S7_lS8_PT9_S7_li
	.p2align	8
	.type	_ZL37rocblas_syrkx_herkx_restricted_kernelIi19rocblas_complex_numIdELi16ELi32ELi8ELb1ELb0ELc78ELc76EKPKS1_KPS1_EviT_T0_PT8_S7_lSA_S7_lS8_PT9_S7_li,@function
_ZL37rocblas_syrkx_herkx_restricted_kernelIi19rocblas_complex_numIdELi16ELi32ELi8ELb1ELb0ELc78ELc76EKPKS1_KPS1_EviT_T0_PT8_S7_lSA_S7_lS8_PT9_S7_li: ; @_ZL37rocblas_syrkx_herkx_restricted_kernelIi19rocblas_complex_numIdELi16ELi32ELi8ELb1ELb0ELc78ELc76EKPKS1_KPS1_EviT_T0_PT8_S7_lSA_S7_lS8_PT9_S7_li
; %bb.0:
	s_clause 0x2
	s_load_b64 s[2:3], s[0:1], 0x58
	s_load_b64 s[18:19], s[0:1], 0x18
	;; [unrolled: 1-line block ×3, first 2 shown]
	s_mov_b32 s10, s15
	s_mov_b32 s11, 0
	v_mov_b32_e32 v16, 0
	s_lshl_b64 s[16:17], s[10:11], 3
	v_dual_mov_b32 v17, 0 :: v_dual_and_b32 v20, 0x3ff, v0
	v_bfe_u32 v21, v0, 10, 10
	s_delay_alu instid0(VALU_DEP_3) | instskip(NEXT) | instid1(VALU_DEP_3)
	v_mov_b32_e32 v12, v16
	v_dual_mov_b32 v14, v16 :: v_dual_mov_b32 v15, v17
	v_dual_mov_b32 v19, v17 :: v_dual_mov_b32 v18, v16
	;; [unrolled: 1-line block ×4, first 2 shown]
	v_mov_b32_e32 v9, v17
	s_waitcnt lgkmcnt(0)
	s_add_u32 s2, s2, s16
	s_addc_u32 s3, s3, s17
	s_load_b128 s[4:7], s[0:1], 0x8
	s_load_b64 s[2:3], s[2:3], 0x0
	v_dual_mov_b32 v6, v16 :: v_dual_mov_b32 v7, v17
	v_dual_mov_b32 v4, v16 :: v_dual_mov_b32 v5, v17
	s_lshl_b32 s10, s13, 5
	s_lshl_b32 s20, s14, 5
	s_cmp_lt_i32 s9, 1
	s_cbranch_scc1 .LBB721_3
; %bb.1:
	s_clause 0x2
	s_load_b32 s12, s[0:1], 0x20
	s_load_b32 s14, s[0:1], 0x38
	s_load_b64 s[22:23], s[0:1], 0x30
	v_lshl_add_u32 v0, v21, 4, v20
	v_mov_b32_e32 v4, 0
	v_dual_mov_b32 v5, 0 :: v_dual_and_b32 v6, 7, v20
	v_lshlrev_b32_e32 v22, 4, v20
	s_delay_alu instid0(VALU_DEP_4) | instskip(SKIP_3) | instid1(VALU_DEP_4)
	v_and_b32_e32 v10, 31, v0
	v_lshrrev_b32_e32 v7, 3, v0
	v_lshrrev_b32_e32 v11, 5, v0
	v_dual_mov_b32 v19, v5 :: v_dual_lshlrev_b32 v12, 4, v6
	v_dual_mov_b32 v15, v5 :: v_dual_add_nc_u32 v2, s10, v10
	s_delay_alu instid0(VALU_DEP_4) | instskip(NEXT) | instid1(VALU_DEP_3)
	v_add_nc_u32_e32 v0, s20, v7
	v_lshl_or_b32 v12, v7, 7, v12
	v_lshl_add_u32 v23, v21, 7, 0x1000
	s_delay_alu instid0(VALU_DEP_4)
	v_ashrrev_i32_e32 v3, 31, v2
	v_mov_b32_e32 v14, v4
	s_waitcnt lgkmcnt(0)
	s_ashr_i32 s13, s12, 31
	s_ashr_i32 s15, s14, 31
	s_add_u32 s18, s18, s16
	s_addc_u32 s19, s19, s17
	s_add_u32 s16, s22, s16
	s_load_b64 s[18:19], s[18:19], 0x0
	s_addc_u32 s17, s23, s17
	v_ashrrev_i32_e32 v1, 31, v0
	s_load_b64 s[16:17], s[16:17], 0x0
	v_mad_i64_i32 v[8:9], null, s12, v11, v[2:3]
	v_add_nc_u32_e32 v25, 0x1000, v12
	s_delay_alu instid0(VALU_DEP_3)
	v_mad_i64_i32 v[2:3], null, s14, v6, v[0:1]
	v_dual_mov_b32 v7, v5 :: v_dual_lshlrev_b32 v10, 4, v10
	v_mov_b32_e32 v13, v5
	v_lshlrev_b64 v[0:1], 4, v[8:9]
	v_dual_mov_b32 v6, v4 :: v_dual_mov_b32 v17, v5
	v_lshlrev_b64 v[2:3], 4, v[2:3]
	v_mov_b32_e32 v9, v5
	v_lshl_or_b32 v24, v11, 9, v10
	v_dual_mov_b32 v11, v5 :: v_dual_mov_b32 v8, v4
	s_waitcnt lgkmcnt(0)
	v_add_co_u32 v0, vcc_lo, v0, s18
	v_add_co_ci_u32_e32 v1, vcc_lo, s19, v1, vcc_lo
	v_add_co_u32 v2, vcc_lo, v2, s16
	v_add_co_ci_u32_e32 v3, vcc_lo, s17, v3, vcc_lo
	s_delay_alu instid0(VALU_DEP_4) | instskip(NEXT) | instid1(VALU_DEP_4)
	v_add_co_u32 v0, vcc_lo, v0, 8
	v_add_co_ci_u32_e32 v1, vcc_lo, 0, v1, vcc_lo
	s_delay_alu instid0(VALU_DEP_4) | instskip(NEXT) | instid1(VALU_DEP_4)
	v_add_co_u32 v2, vcc_lo, v2, 8
	v_add_co_ci_u32_e32 v3, vcc_lo, 0, v3, vcc_lo
	v_mov_b32_e32 v10, v4
	v_mov_b32_e32 v12, v4
	;; [unrolled: 1-line block ×4, first 2 shown]
	s_lshl_b64 s[12:13], s[12:13], 7
	s_lshl_b64 s[14:15], s[14:15], 7
.LBB721_2:                              ; =>This Inner Loop Header: Depth=1
	global_load_b128 v[26:29], v[0:1], off offset:-8
	global_load_b128 v[30:33], v[2:3], off offset:-8
	v_add_co_u32 v0, vcc_lo, v0, s12
	v_add_co_ci_u32_e32 v1, vcc_lo, s13, v1, vcc_lo
	v_add_co_u32 v2, vcc_lo, v2, s14
	v_add_co_ci_u32_e32 v3, vcc_lo, s15, v3, vcc_lo
	s_add_i32 s11, s11, 8
	s_waitcnt vmcnt(1)
	ds_store_b128 v24, v[26:29]
	s_waitcnt vmcnt(0)
	ds_store_b128 v25, v[30:33]
	s_waitcnt lgkmcnt(0)
	s_barrier
	buffer_gl0_inv
	ds_load_b128 v[26:29], v23
	ds_load_b128 v[30:33], v22
	ds_load_b128 v[34:37], v22 offset:256
	ds_load_b128 v[38:41], v23 offset:2048
	;; [unrolled: 1-line block ×13, first 2 shown]
	s_cmp_ge_i32 s11, s9
	s_waitcnt lgkmcnt(13)
	v_mul_f64 v[86:87], v[28:29], v[32:33]
	v_mul_f64 v[88:89], v[26:27], v[32:33]
	s_waitcnt lgkmcnt(12)
	v_mul_f64 v[90:91], v[28:29], v[36:37]
	v_mul_f64 v[92:93], v[26:27], v[36:37]
	;; [unrolled: 3-line block ×3, first 2 shown]
	v_mul_f64 v[96:97], v[40:41], v[36:37]
	v_mul_f64 v[36:37], v[38:39], v[36:37]
	s_waitcnt lgkmcnt(8)
	v_mul_f64 v[98:99], v[44:45], v[52:53]
	v_mul_f64 v[100:101], v[42:43], v[52:53]
	s_waitcnt lgkmcnt(7)
	v_mul_f64 v[102:103], v[44:45], v[56:57]
	v_mul_f64 v[104:105], v[42:43], v[56:57]
	;; [unrolled: 1-line block ×6, first 2 shown]
	s_waitcnt lgkmcnt(3)
	v_mul_f64 v[112:113], v[58:59], v[72:73]
	s_waitcnt lgkmcnt(2)
	v_mul_f64 v[114:115], v[76:77], v[68:69]
	v_mul_f64 v[116:117], v[76:77], v[72:73]
	v_fma_f64 v[86:87], v[26:27], v[30:31], -v[86:87]
	v_fma_f64 v[88:89], v[28:29], v[30:31], v[88:89]
	v_fma_f64 v[90:91], v[26:27], v[34:35], -v[90:91]
	v_fma_f64 v[92:93], v[28:29], v[34:35], v[92:93]
	;; [unrolled: 2-line block ×4, first 2 shown]
	v_mul_f64 v[36:37], v[60:61], v[68:69]
	v_mul_f64 v[40:41], v[58:59], v[68:69]
	;; [unrolled: 1-line block ×5, first 2 shown]
	v_fma_f64 v[98:99], v[42:43], v[50:51], -v[98:99]
	v_fma_f64 v[100:101], v[44:45], v[50:51], v[100:101]
	v_fma_f64 v[42:43], v[42:43], v[54:55], -v[102:103]
	v_fma_f64 v[44:45], v[44:45], v[54:55], v[104:105]
	;; [unrolled: 2-line block ×4, first 2 shown]
	ds_load_b128 v[26:29], v22 offset:1792
	ds_load_b128 v[30:33], v22 offset:2048
	s_waitcnt lgkmcnt(2)
	v_mul_f64 v[56:57], v[64:65], v[84:85]
	v_add_f64 v[16:17], v[16:17], v[86:87]
	v_add_f64 v[18:19], v[18:19], v[88:89]
	;; [unrolled: 1-line block ×8, first 2 shown]
	v_mul_f64 v[86:87], v[62:63], v[84:85]
	s_waitcnt lgkmcnt(1)
	v_mul_f64 v[88:89], v[64:65], v[28:29]
	v_mul_f64 v[90:91], v[62:63], v[28:29]
	;; [unrolled: 1-line block ×6, first 2 shown]
	v_fma_f64 v[104:105], v[58:59], v[66:67], -v[36:37]
	v_fma_f64 v[106:107], v[60:61], v[66:67], v[40:41]
	v_fma_f64 v[58:59], v[58:59], v[70:71], -v[96:97]
	v_fma_f64 v[60:61], v[60:61], v[70:71], v[112:113]
	;; [unrolled: 2-line block ×4, first 2 shown]
	ds_load_b128 v[4:7], v22 offset:2304
	ds_load_b128 v[8:11], v23 offset:64
	v_fma_f64 v[56:57], v[62:63], v[82:83], -v[56:57]
	v_add_f64 v[72:73], v[16:17], v[98:99]
	v_add_f64 v[74:75], v[18:19], v[100:101]
	;; [unrolled: 1-line block ×8, first 2 shown]
	ds_load_b128 v[12:15], v23 offset:2112
	ds_load_b128 v[16:19], v23 offset:80
	;; [unrolled: 1-line block ×4, first 2 shown]
	s_waitcnt lgkmcnt(4)
	v_mul_f64 v[54:55], v[10:11], v[32:33]
	v_mul_f64 v[76:77], v[8:9], v[32:33]
	;; [unrolled: 1-line block ×4, first 2 shown]
	v_fma_f64 v[86:87], v[64:65], v[82:83], v[86:87]
	v_fma_f64 v[62:63], v[62:63], v[26:27], -v[88:89]
	v_fma_f64 v[64:65], v[64:65], v[26:27], v[90:91]
	v_fma_f64 v[88:89], v[78:79], v[82:83], -v[92:93]
	;; [unrolled: 2-line block ×3, first 2 shown]
	v_fma_f64 v[80:81], v[80:81], v[26:27], v[28:29]
	s_waitcnt lgkmcnt(3)
	v_mul_f64 v[102:103], v[14:15], v[32:33]
	v_mul_f64 v[32:33], v[12:13], v[32:33]
	v_mul_f64 v[108:109], v[14:15], v[6:7]
	v_mul_f64 v[6:7], v[12:13], v[6:7]
	s_waitcnt lgkmcnt(0)
	v_mul_f64 v[90:91], v[18:19], v[40:41]
	v_mul_f64 v[92:93], v[16:17], v[40:41]
	v_add_f64 v[72:73], v[72:73], v[104:105]
	v_add_f64 v[74:75], v[74:75], v[106:107]
	;; [unrolled: 1-line block ×8, first 2 shown]
	ds_load_b128 v[26:29], v22 offset:2816
	ds_load_b128 v[42:45], v22 offset:3072
	;; [unrolled: 1-line block ×4, first 2 shown]
	v_mul_f64 v[104:105], v[36:37], v[40:41]
	v_mul_f64 v[40:41], v[34:35], v[40:41]
	v_fma_f64 v[54:55], v[8:9], v[30:31], -v[54:55]
	v_fma_f64 v[76:77], v[10:11], v[30:31], v[76:77]
	v_fma_f64 v[98:99], v[8:9], v[4:5], -v[98:99]
	v_fma_f64 v[100:101], v[10:11], v[4:5], v[100:101]
	s_waitcnt lgkmcnt(3)
	v_mul_f64 v[94:95], v[18:19], v[28:29]
	v_mul_f64 v[96:97], v[16:17], v[28:29]
	;; [unrolled: 1-line block ×4, first 2 shown]
	v_fma_f64 v[102:103], v[12:13], v[30:31], -v[102:103]
	v_fma_f64 v[32:33], v[14:15], v[30:31], v[32:33]
	v_fma_f64 v[108:109], v[12:13], v[4:5], -v[108:109]
	v_fma_f64 v[112:113], v[14:15], v[4:5], v[6:7]
	ds_load_b128 v[4:7], v23 offset:2144
	ds_load_b128 v[8:11], v23 offset:112
	;; [unrolled: 1-line block ×4, first 2 shown]
	v_add_f64 v[56:57], v[72:73], v[56:57]
	v_add_f64 v[72:73], v[74:75], v[86:87]
	;; [unrolled: 1-line block ×8, first 2 shown]
	s_waitcnt lgkmcnt(4)
	v_mul_f64 v[70:71], v[52:53], v[44:45]
	v_mul_f64 v[74:75], v[50:51], v[44:45]
	;; [unrolled: 1-line block ×4, first 2 shown]
	s_waitcnt lgkmcnt(3)
	v_mul_f64 v[82:83], v[6:7], v[44:45]
	v_mul_f64 v[44:45], v[4:5], v[44:45]
	;; [unrolled: 1-line block ×4, first 2 shown]
	v_fma_f64 v[86:87], v[16:17], v[38:39], -v[90:91]
	v_fma_f64 v[88:89], v[18:19], v[38:39], v[92:93]
	v_fma_f64 v[90:91], v[16:17], v[26:27], -v[94:95]
	v_fma_f64 v[92:93], v[18:19], v[26:27], v[96:97]
	;; [unrolled: 2-line block ×4, first 2 shown]
	ds_load_b128 v[16:19], v22 offset:3840
	s_waitcnt lgkmcnt(0)
	s_barrier
	buffer_gl0_inv
	v_add_f64 v[36:37], v[56:57], v[54:55]
	v_add_f64 v[40:41], v[72:73], v[76:77]
	;; [unrolled: 1-line block ×8, first 2 shown]
	v_mul_f64 v[64:65], v[10:11], v[30:31]
	v_mul_f64 v[66:67], v[8:9], v[30:31]
	;; [unrolled: 1-line block ×4, first 2 shown]
	v_fma_f64 v[70:71], v[50:51], v[42:43], -v[70:71]
	v_mul_f64 v[68:69], v[10:11], v[18:19]
	v_mul_f64 v[72:73], v[8:9], v[18:19]
	;; [unrolled: 1-line block ×4, first 2 shown]
	v_fma_f64 v[74:75], v[52:53], v[42:43], v[74:75]
	v_fma_f64 v[50:51], v[50:51], v[46:47], -v[78:79]
	v_fma_f64 v[52:53], v[52:53], v[46:47], v[80:81]
	v_fma_f64 v[78:79], v[4:5], v[42:43], -v[82:83]
	;; [unrolled: 2-line block ×3, first 2 shown]
	v_fma_f64 v[6:7], v[6:7], v[46:47], v[48:49]
	v_add_f64 v[36:37], v[36:37], v[86:87]
	v_add_f64 v[40:41], v[40:41], v[88:89]
	;; [unrolled: 1-line block ×8, first 2 shown]
	v_fma_f64 v[38:39], v[8:9], v[28:29], -v[64:65]
	v_fma_f64 v[54:55], v[10:11], v[28:29], v[66:67]
	v_fma_f64 v[56:57], v[12:13], v[28:29], -v[76:77]
	v_fma_f64 v[28:29], v[14:15], v[28:29], v[30:31]
	;; [unrolled: 2-line block ×4, first 2 shown]
	v_add_f64 v[12:13], v[36:37], v[70:71]
	v_add_f64 v[14:15], v[40:41], v[74:75]
	;; [unrolled: 1-line block ×16, first 2 shown]
	s_cbranch_scc0 .LBB721_2
.LBB721_3:
	s_load_b32 s9, s[0:1], 0x60
	v_add_nc_u32_e32 v21, s20, v21
	v_add_nc_u32_e32 v0, s10, v20
	s_delay_alu instid0(VALU_DEP_1) | instskip(SKIP_1) | instid1(VALU_DEP_2)
	v_cmp_le_i32_e64 s0, v21, v0
	v_cmp_gt_i32_e32 vcc_lo, s8, v0
	s_and_b32 s0, s0, vcc_lo
	s_waitcnt lgkmcnt(0)
	v_mad_i64_i32 v[1:2], null, v21, s9, 0
	s_delay_alu instid0(VALU_DEP_1) | instskip(NEXT) | instid1(VALU_DEP_1)
	v_lshlrev_b64 v[1:2], 4, v[1:2]
	v_add_co_u32 v20, s1, s2, v1
	s_delay_alu instid0(VALU_DEP_1)
	v_add_co_ci_u32_e64 v22, s1, s3, v2, s1
	s_and_saveexec_b32 s1, s0
	s_cbranch_execz .LBB721_5
; %bb.4:
	v_mul_f64 v[1:2], s[6:7], v[18:19]
	v_mul_f64 v[18:19], s[4:5], v[18:19]
	s_delay_alu instid0(VALU_DEP_2) | instskip(NEXT) | instid1(VALU_DEP_2)
	v_fma_f64 v[23:24], s[4:5], v[16:17], -v[1:2]
	v_fma_f64 v[25:26], s[6:7], v[16:17], v[18:19]
	v_ashrrev_i32_e32 v1, 31, v0
	s_delay_alu instid0(VALU_DEP_1) | instskip(NEXT) | instid1(VALU_DEP_1)
	v_lshlrev_b64 v[1:2], 4, v[0:1]
	v_add_co_u32 v1, s0, v20, v1
	s_delay_alu instid0(VALU_DEP_1)
	v_add_co_ci_u32_e64 v2, s0, v22, v2, s0
	global_store_b128 v[1:2], v[23:26], off
.LBB721_5:
	s_or_b32 exec_lo, exec_lo, s1
	v_add_nc_u32_e32 v2, 16, v0
	s_delay_alu instid0(VALU_DEP_1) | instskip(SKIP_1) | instid1(VALU_DEP_1)
	v_cmp_le_i32_e64 s1, v21, v2
	v_cmp_gt_i32_e64 s0, s8, v2
	s_and_b32 s1, s1, s0
	s_delay_alu instid0(SALU_CYCLE_1)
	s_and_saveexec_b32 s8, s1
	s_cbranch_execz .LBB721_7
; %bb.6:
	v_mul_f64 v[16:17], s[6:7], v[14:15]
	v_mul_f64 v[18:19], s[4:5], v[14:15]
	v_ashrrev_i32_e32 v3, 31, v2
	s_delay_alu instid0(VALU_DEP_3) | instskip(NEXT) | instid1(VALU_DEP_3)
	v_fma_f64 v[14:15], s[4:5], v[12:13], -v[16:17]
	v_fma_f64 v[16:17], s[6:7], v[12:13], v[18:19]
	s_delay_alu instid0(VALU_DEP_3) | instskip(NEXT) | instid1(VALU_DEP_1)
	v_lshlrev_b64 v[12:13], 4, v[2:3]
	v_add_co_u32 v12, s1, v20, v12
	s_delay_alu instid0(VALU_DEP_1)
	v_add_co_ci_u32_e64 v13, s1, v22, v13, s1
	global_store_b128 v[12:13], v[14:17], off
.LBB721_7:
	s_or_b32 exec_lo, exec_lo, s8
	v_add_nc_u32_e32 v3, 16, v21
	s_delay_alu instid0(VALU_DEP_1) | instskip(SKIP_1) | instid1(VALU_DEP_2)
	v_mad_i64_i32 v[12:13], null, v3, s9, 0
	v_cmp_le_i32_e64 s1, v3, v0
	v_lshlrev_b64 v[12:13], 4, v[12:13]
	s_delay_alu instid0(VALU_DEP_1) | instskip(NEXT) | instid1(VALU_DEP_1)
	v_add_co_u32 v12, s2, s2, v12
	v_add_co_ci_u32_e64 v13, s2, s3, v13, s2
	s_delay_alu instid0(VALU_DEP_4) | instskip(NEXT) | instid1(SALU_CYCLE_1)
	s_and_b32 s2, s1, vcc_lo
	s_and_saveexec_b32 s1, s2
	s_cbranch_execz .LBB721_9
; %bb.8:
	v_mul_f64 v[14:15], s[6:7], v[8:9]
	v_mul_f64 v[16:17], s[4:5], v[8:9]
	v_ashrrev_i32_e32 v1, 31, v0
	s_delay_alu instid0(VALU_DEP_1) | instskip(NEXT) | instid1(VALU_DEP_1)
	v_lshlrev_b64 v[0:1], 4, v[0:1]
	v_add_co_u32 v0, vcc_lo, v12, v0
	s_delay_alu instid0(VALU_DEP_2)
	v_add_co_ci_u32_e32 v1, vcc_lo, v13, v1, vcc_lo
	v_fma_f64 v[8:9], s[4:5], v[10:11], -v[14:15]
	v_fma_f64 v[10:11], s[6:7], v[10:11], v[16:17]
	global_store_b128 v[0:1], v[8:11], off
.LBB721_9:
	s_or_b32 exec_lo, exec_lo, s1
	v_cmp_le_i32_e32 vcc_lo, v3, v2
	s_and_b32 s0, vcc_lo, s0
	s_delay_alu instid0(SALU_CYCLE_1)
	s_and_saveexec_b32 s1, s0
	s_cbranch_execz .LBB721_11
; %bb.10:
	v_mul_f64 v[0:1], s[6:7], v[4:5]
	v_mul_f64 v[8:9], s[4:5], v[4:5]
	v_ashrrev_i32_e32 v3, 31, v2
	s_delay_alu instid0(VALU_DEP_3) | instskip(NEXT) | instid1(VALU_DEP_3)
	v_fma_f64 v[4:5], s[4:5], v[6:7], -v[0:1]
	v_fma_f64 v[6:7], s[6:7], v[6:7], v[8:9]
	s_delay_alu instid0(VALU_DEP_3) | instskip(NEXT) | instid1(VALU_DEP_1)
	v_lshlrev_b64 v[0:1], 4, v[2:3]
	v_add_co_u32 v0, vcc_lo, v12, v0
	s_delay_alu instid0(VALU_DEP_2)
	v_add_co_ci_u32_e32 v1, vcc_lo, v13, v1, vcc_lo
	global_store_b128 v[0:1], v[4:7], off
.LBB721_11:
	s_nop 0
	s_sendmsg sendmsg(MSG_DEALLOC_VGPRS)
	s_endpgm
	.section	.rodata,"a",@progbits
	.p2align	6, 0x0
	.amdhsa_kernel _ZL37rocblas_syrkx_herkx_restricted_kernelIi19rocblas_complex_numIdELi16ELi32ELi8ELb1ELb0ELc78ELc76EKPKS1_KPS1_EviT_T0_PT8_S7_lSA_S7_lS8_PT9_S7_li
		.amdhsa_group_segment_fixed_size 8192
		.amdhsa_private_segment_fixed_size 0
		.amdhsa_kernarg_size 116
		.amdhsa_user_sgpr_count 13
		.amdhsa_user_sgpr_dispatch_ptr 0
		.amdhsa_user_sgpr_queue_ptr 0
		.amdhsa_user_sgpr_kernarg_segment_ptr 1
		.amdhsa_user_sgpr_dispatch_id 0
		.amdhsa_user_sgpr_private_segment_size 0
		.amdhsa_wavefront_size32 1
		.amdhsa_uses_dynamic_stack 0
		.amdhsa_enable_private_segment 0
		.amdhsa_system_sgpr_workgroup_id_x 1
		.amdhsa_system_sgpr_workgroup_id_y 1
		.amdhsa_system_sgpr_workgroup_id_z 1
		.amdhsa_system_sgpr_workgroup_info 0
		.amdhsa_system_vgpr_workitem_id 1
		.amdhsa_next_free_vgpr 118
		.amdhsa_next_free_sgpr 24
		.amdhsa_reserve_vcc 1
		.amdhsa_float_round_mode_32 0
		.amdhsa_float_round_mode_16_64 0
		.amdhsa_float_denorm_mode_32 3
		.amdhsa_float_denorm_mode_16_64 3
		.amdhsa_dx10_clamp 1
		.amdhsa_ieee_mode 1
		.amdhsa_fp16_overflow 0
		.amdhsa_workgroup_processor_mode 1
		.amdhsa_memory_ordered 1
		.amdhsa_forward_progress 0
		.amdhsa_shared_vgpr_count 0
		.amdhsa_exception_fp_ieee_invalid_op 0
		.amdhsa_exception_fp_denorm_src 0
		.amdhsa_exception_fp_ieee_div_zero 0
		.amdhsa_exception_fp_ieee_overflow 0
		.amdhsa_exception_fp_ieee_underflow 0
		.amdhsa_exception_fp_ieee_inexact 0
		.amdhsa_exception_int_div_zero 0
	.end_amdhsa_kernel
	.section	.text._ZL37rocblas_syrkx_herkx_restricted_kernelIi19rocblas_complex_numIdELi16ELi32ELi8ELb1ELb0ELc78ELc76EKPKS1_KPS1_EviT_T0_PT8_S7_lSA_S7_lS8_PT9_S7_li,"axG",@progbits,_ZL37rocblas_syrkx_herkx_restricted_kernelIi19rocblas_complex_numIdELi16ELi32ELi8ELb1ELb0ELc78ELc76EKPKS1_KPS1_EviT_T0_PT8_S7_lSA_S7_lS8_PT9_S7_li,comdat
.Lfunc_end721:
	.size	_ZL37rocblas_syrkx_herkx_restricted_kernelIi19rocblas_complex_numIdELi16ELi32ELi8ELb1ELb0ELc78ELc76EKPKS1_KPS1_EviT_T0_PT8_S7_lSA_S7_lS8_PT9_S7_li, .Lfunc_end721-_ZL37rocblas_syrkx_herkx_restricted_kernelIi19rocblas_complex_numIdELi16ELi32ELi8ELb1ELb0ELc78ELc76EKPKS1_KPS1_EviT_T0_PT8_S7_lSA_S7_lS8_PT9_S7_li
                                        ; -- End function
	.section	.AMDGPU.csdata,"",@progbits
; Kernel info:
; codeLenInByte = 3016
; NumSgprs: 26
; NumVgprs: 118
; ScratchSize: 0
; MemoryBound: 0
; FloatMode: 240
; IeeeMode: 1
; LDSByteSize: 8192 bytes/workgroup (compile time only)
; SGPRBlocks: 3
; VGPRBlocks: 14
; NumSGPRsForWavesPerEU: 26
; NumVGPRsForWavesPerEU: 118
; Occupancy: 12
; WaveLimiterHint : 1
; COMPUTE_PGM_RSRC2:SCRATCH_EN: 0
; COMPUTE_PGM_RSRC2:USER_SGPR: 13
; COMPUTE_PGM_RSRC2:TRAP_HANDLER: 0
; COMPUTE_PGM_RSRC2:TGID_X_EN: 1
; COMPUTE_PGM_RSRC2:TGID_Y_EN: 1
; COMPUTE_PGM_RSRC2:TGID_Z_EN: 1
; COMPUTE_PGM_RSRC2:TIDIG_COMP_CNT: 1
	.section	.text._ZL37rocblas_syrkx_herkx_restricted_kernelIi19rocblas_complex_numIdELi16ELi32ELi8ELb1ELb0ELc84ELc85EKPKS1_KPS1_EviT_T0_PT8_S7_lSA_S7_lS8_PT9_S7_li,"axG",@progbits,_ZL37rocblas_syrkx_herkx_restricted_kernelIi19rocblas_complex_numIdELi16ELi32ELi8ELb1ELb0ELc84ELc85EKPKS1_KPS1_EviT_T0_PT8_S7_lSA_S7_lS8_PT9_S7_li,comdat
	.globl	_ZL37rocblas_syrkx_herkx_restricted_kernelIi19rocblas_complex_numIdELi16ELi32ELi8ELb1ELb0ELc84ELc85EKPKS1_KPS1_EviT_T0_PT8_S7_lSA_S7_lS8_PT9_S7_li ; -- Begin function _ZL37rocblas_syrkx_herkx_restricted_kernelIi19rocblas_complex_numIdELi16ELi32ELi8ELb1ELb0ELc84ELc85EKPKS1_KPS1_EviT_T0_PT8_S7_lSA_S7_lS8_PT9_S7_li
	.p2align	8
	.type	_ZL37rocblas_syrkx_herkx_restricted_kernelIi19rocblas_complex_numIdELi16ELi32ELi8ELb1ELb0ELc84ELc85EKPKS1_KPS1_EviT_T0_PT8_S7_lSA_S7_lS8_PT9_S7_li,@function
_ZL37rocblas_syrkx_herkx_restricted_kernelIi19rocblas_complex_numIdELi16ELi32ELi8ELb1ELb0ELc84ELc85EKPKS1_KPS1_EviT_T0_PT8_S7_lSA_S7_lS8_PT9_S7_li: ; @_ZL37rocblas_syrkx_herkx_restricted_kernelIi19rocblas_complex_numIdELi16ELi32ELi8ELb1ELb0ELc84ELc85EKPKS1_KPS1_EviT_T0_PT8_S7_lSA_S7_lS8_PT9_S7_li
; %bb.0:
	s_clause 0x2
	s_load_b64 s[4:5], s[0:1], 0x58
	s_load_b64 s[18:19], s[0:1], 0x18
	;; [unrolled: 1-line block ×3, first 2 shown]
	s_mov_b32 s10, s15
	s_mov_b32 s11, 0
	v_mov_b32_e32 v16, 0
	s_lshl_b64 s[16:17], s[10:11], 3
	v_dual_mov_b32 v17, 0 :: v_dual_and_b32 v20, 0x3ff, v0
	v_bfe_u32 v21, v0, 10, 10
	s_delay_alu instid0(VALU_DEP_3) | instskip(NEXT) | instid1(VALU_DEP_3)
	v_mov_b32_e32 v12, v16
	v_dual_mov_b32 v14, v16 :: v_dual_mov_b32 v15, v17
	v_dual_mov_b32 v19, v17 :: v_dual_mov_b32 v18, v16
	;; [unrolled: 1-line block ×4, first 2 shown]
	v_mov_b32_e32 v11, v17
	s_waitcnt lgkmcnt(0)
	s_add_u32 s8, s4, s16
	s_addc_u32 s9, s5, s17
	s_load_b128 s[4:7], s[0:1], 0x8
	s_load_b64 s[8:9], s[8:9], 0x0
	v_dual_mov_b32 v6, v16 :: v_dual_mov_b32 v7, v17
	v_dual_mov_b32 v4, v16 :: v_dual_mov_b32 v5, v17
	s_lshl_b32 s10, s13, 5
	s_lshl_b32 s12, s14, 5
	s_cmp_lt_i32 s3, 1
	s_cbranch_scc1 .LBB722_3
; %bb.1:
	s_clause 0x2
	s_load_b64 s[14:15], s[0:1], 0x30
	s_load_b32 s13, s[0:1], 0x20
	s_load_b32 s20, s[0:1], 0x38
	v_lshl_add_u32 v2, v21, 4, v20
	v_dual_mov_b32 v1, 0 :: v_dual_and_b32 v0, 7, v20
	s_add_u32 s18, s18, s16
	v_lshlrev_b32_e32 v22, 4, v20
	s_delay_alu instid0(VALU_DEP_3) | instskip(SKIP_3) | instid1(VALU_DEP_3)
	v_and_b32_e32 v10, 31, v2
	s_addc_u32 s19, s19, s17
	v_lshrrev_b32_e32 v11, 3, v2
	v_lshrrev_b32_e32 v2, 5, v2
	v_dual_mov_b32 v3, v1 :: v_dual_add_nc_u32 v4, s10, v10
	s_load_b64 s[18:19], s[18:19], 0x0
	v_lshl_add_u32 v23, v21, 7, 0x1000
	s_waitcnt lgkmcnt(0)
	s_add_u32 s14, s14, s16
	s_addc_u32 s15, s15, s17
	v_mad_i64_i32 v[6:7], null, s13, v4, v[2:3]
	s_load_b64 s[14:15], s[14:15], 0x0
	v_dual_mov_b32 v4, 0 :: v_dual_lshlrev_b32 v3, 4, v0
	v_dual_mov_b32 v5, 0 :: v_dual_add_nc_u32 v12, s12, v11
	v_lshlrev_b32_e32 v10, 4, v10
	s_delay_alu instid0(VALU_DEP_3) | instskip(NEXT) | instid1(VALU_DEP_3)
	v_lshl_or_b32 v3, v11, 7, v3
	v_mov_b32_e32 v15, v5
	s_delay_alu instid0(VALU_DEP_4)
	v_mad_i64_i32 v[8:9], null, s20, v12, v[0:1]
	v_lshlrev_b64 v[0:1], 4, v[6:7]
	v_dual_mov_b32 v7, v5 :: v_dual_mov_b32 v6, v4
	v_add_nc_u32_e32 v25, 0x1000, v3
	v_lshl_or_b32 v24, v2, 9, v10
	v_dual_mov_b32 v14, v4 :: v_dual_mov_b32 v13, v5
	v_lshlrev_b64 v[2:3], 4, v[8:9]
	v_add_co_u32 v0, vcc_lo, v0, s18
	v_add_co_ci_u32_e32 v1, vcc_lo, s19, v1, vcc_lo
	v_mov_b32_e32 v9, v5
	s_waitcnt lgkmcnt(0)
	s_delay_alu instid0(VALU_DEP_4)
	v_add_co_u32 v2, vcc_lo, v2, s14
	v_add_co_ci_u32_e32 v3, vcc_lo, s15, v3, vcc_lo
	v_add_co_u32 v0, vcc_lo, v0, 8
	v_mov_b32_e32 v8, v4
	v_add_co_ci_u32_e32 v1, vcc_lo, 0, v1, vcc_lo
	v_add_co_u32 v2, vcc_lo, v2, 8
	v_dual_mov_b32 v12, v4 :: v_dual_mov_b32 v19, v5
	v_dual_mov_b32 v18, v4 :: v_dual_mov_b32 v17, v5
	v_add_co_ci_u32_e32 v3, vcc_lo, 0, v3, vcc_lo
	v_dual_mov_b32 v11, v5 :: v_dual_mov_b32 v10, v4
	v_mov_b32_e32 v16, v4
.LBB722_2:                              ; =>This Inner Loop Header: Depth=1
	global_load_b128 v[26:29], v[0:1], off offset:-8
	global_load_b128 v[30:33], v[2:3], off offset:-8
	v_add_co_u32 v0, vcc_lo, 0x80, v0
	v_add_co_ci_u32_e32 v1, vcc_lo, 0, v1, vcc_lo
	v_add_co_u32 v2, vcc_lo, 0x80, v2
	v_add_co_ci_u32_e32 v3, vcc_lo, 0, v3, vcc_lo
	s_add_i32 s11, s11, 8
	s_waitcnt vmcnt(1)
	ds_store_b128 v24, v[26:29]
	s_waitcnt vmcnt(0)
	ds_store_b128 v25, v[30:33]
	s_waitcnt lgkmcnt(0)
	s_barrier
	buffer_gl0_inv
	ds_load_b128 v[26:29], v23
	ds_load_b128 v[30:33], v22
	ds_load_b128 v[34:37], v22 offset:256
	ds_load_b128 v[38:41], v23 offset:2048
	;; [unrolled: 1-line block ×13, first 2 shown]
	s_cmp_ge_i32 s11, s3
	s_waitcnt lgkmcnt(13)
	v_mul_f64 v[86:87], v[28:29], v[32:33]
	v_mul_f64 v[88:89], v[26:27], v[32:33]
	s_waitcnt lgkmcnt(12)
	v_mul_f64 v[90:91], v[28:29], v[36:37]
	v_mul_f64 v[92:93], v[26:27], v[36:37]
	;; [unrolled: 3-line block ×3, first 2 shown]
	v_mul_f64 v[96:97], v[40:41], v[36:37]
	v_mul_f64 v[36:37], v[38:39], v[36:37]
	s_waitcnt lgkmcnt(8)
	v_mul_f64 v[98:99], v[44:45], v[52:53]
	v_mul_f64 v[100:101], v[42:43], v[52:53]
	s_waitcnt lgkmcnt(7)
	v_mul_f64 v[102:103], v[44:45], v[56:57]
	v_mul_f64 v[104:105], v[42:43], v[56:57]
	;; [unrolled: 1-line block ×6, first 2 shown]
	s_waitcnt lgkmcnt(3)
	v_mul_f64 v[112:113], v[58:59], v[72:73]
	s_waitcnt lgkmcnt(2)
	v_mul_f64 v[114:115], v[76:77], v[68:69]
	v_mul_f64 v[116:117], v[76:77], v[72:73]
	v_fma_f64 v[86:87], v[26:27], v[30:31], -v[86:87]
	v_fma_f64 v[88:89], v[28:29], v[30:31], v[88:89]
	v_fma_f64 v[90:91], v[26:27], v[34:35], -v[90:91]
	v_fma_f64 v[92:93], v[28:29], v[34:35], v[92:93]
	;; [unrolled: 2-line block ×4, first 2 shown]
	v_mul_f64 v[36:37], v[60:61], v[68:69]
	v_mul_f64 v[40:41], v[58:59], v[68:69]
	;; [unrolled: 1-line block ×5, first 2 shown]
	v_fma_f64 v[98:99], v[42:43], v[50:51], -v[98:99]
	v_fma_f64 v[100:101], v[44:45], v[50:51], v[100:101]
	v_fma_f64 v[42:43], v[42:43], v[54:55], -v[102:103]
	v_fma_f64 v[44:45], v[44:45], v[54:55], v[104:105]
	;; [unrolled: 2-line block ×4, first 2 shown]
	ds_load_b128 v[26:29], v22 offset:1792
	ds_load_b128 v[30:33], v22 offset:2048
	s_waitcnt lgkmcnt(2)
	v_mul_f64 v[56:57], v[64:65], v[84:85]
	v_add_f64 v[16:17], v[16:17], v[86:87]
	v_add_f64 v[18:19], v[18:19], v[88:89]
	;; [unrolled: 1-line block ×8, first 2 shown]
	v_mul_f64 v[86:87], v[62:63], v[84:85]
	s_waitcnt lgkmcnt(1)
	v_mul_f64 v[88:89], v[64:65], v[28:29]
	v_mul_f64 v[90:91], v[62:63], v[28:29]
	v_mul_f64 v[92:93], v[80:81], v[84:85]
	v_mul_f64 v[84:85], v[78:79], v[84:85]
	v_mul_f64 v[94:95], v[80:81], v[28:29]
	v_mul_f64 v[28:29], v[78:79], v[28:29]
	v_fma_f64 v[104:105], v[58:59], v[66:67], -v[36:37]
	v_fma_f64 v[106:107], v[60:61], v[66:67], v[40:41]
	v_fma_f64 v[58:59], v[58:59], v[70:71], -v[96:97]
	v_fma_f64 v[60:61], v[60:61], v[70:71], v[112:113]
	;; [unrolled: 2-line block ×4, first 2 shown]
	ds_load_b128 v[4:7], v22 offset:2304
	ds_load_b128 v[8:11], v23 offset:64
	v_fma_f64 v[56:57], v[62:63], v[82:83], -v[56:57]
	v_add_f64 v[72:73], v[16:17], v[98:99]
	v_add_f64 v[74:75], v[18:19], v[100:101]
	v_add_f64 v[42:43], v[12:13], v[42:43]
	v_add_f64 v[44:45], v[14:15], v[44:45]
	v_add_f64 v[52:53], v[52:53], v[102:103]
	v_add_f64 v[50:51], v[54:55], v[50:51]
	v_add_f64 v[46:47], v[38:39], v[46:47]
	v_add_f64 v[48:49], v[34:35], v[48:49]
	ds_load_b128 v[12:15], v23 offset:2112
	ds_load_b128 v[16:19], v23 offset:80
	;; [unrolled: 1-line block ×4, first 2 shown]
	s_waitcnt lgkmcnt(4)
	v_mul_f64 v[54:55], v[10:11], v[32:33]
	v_mul_f64 v[76:77], v[8:9], v[32:33]
	;; [unrolled: 1-line block ×4, first 2 shown]
	v_fma_f64 v[86:87], v[64:65], v[82:83], v[86:87]
	v_fma_f64 v[62:63], v[62:63], v[26:27], -v[88:89]
	v_fma_f64 v[64:65], v[64:65], v[26:27], v[90:91]
	v_fma_f64 v[88:89], v[78:79], v[82:83], -v[92:93]
	;; [unrolled: 2-line block ×3, first 2 shown]
	v_fma_f64 v[80:81], v[80:81], v[26:27], v[28:29]
	s_waitcnt lgkmcnt(3)
	v_mul_f64 v[102:103], v[14:15], v[32:33]
	v_mul_f64 v[32:33], v[12:13], v[32:33]
	;; [unrolled: 1-line block ×4, first 2 shown]
	s_waitcnt lgkmcnt(0)
	v_mul_f64 v[90:91], v[18:19], v[40:41]
	v_mul_f64 v[92:93], v[16:17], v[40:41]
	v_add_f64 v[72:73], v[72:73], v[104:105]
	v_add_f64 v[74:75], v[74:75], v[106:107]
	;; [unrolled: 1-line block ×8, first 2 shown]
	ds_load_b128 v[26:29], v22 offset:2816
	ds_load_b128 v[42:45], v22 offset:3072
	;; [unrolled: 1-line block ×4, first 2 shown]
	v_mul_f64 v[104:105], v[36:37], v[40:41]
	v_mul_f64 v[40:41], v[34:35], v[40:41]
	v_fma_f64 v[54:55], v[8:9], v[30:31], -v[54:55]
	v_fma_f64 v[76:77], v[10:11], v[30:31], v[76:77]
	v_fma_f64 v[98:99], v[8:9], v[4:5], -v[98:99]
	v_fma_f64 v[100:101], v[10:11], v[4:5], v[100:101]
	s_waitcnt lgkmcnt(3)
	v_mul_f64 v[94:95], v[18:19], v[28:29]
	v_mul_f64 v[96:97], v[16:17], v[28:29]
	v_mul_f64 v[106:107], v[36:37], v[28:29]
	v_mul_f64 v[110:111], v[34:35], v[28:29]
	v_fma_f64 v[102:103], v[12:13], v[30:31], -v[102:103]
	v_fma_f64 v[32:33], v[14:15], v[30:31], v[32:33]
	v_fma_f64 v[108:109], v[12:13], v[4:5], -v[108:109]
	v_fma_f64 v[112:113], v[14:15], v[4:5], v[6:7]
	ds_load_b128 v[4:7], v23 offset:2144
	ds_load_b128 v[8:11], v23 offset:112
	;; [unrolled: 1-line block ×4, first 2 shown]
	v_add_f64 v[56:57], v[72:73], v[56:57]
	v_add_f64 v[72:73], v[74:75], v[86:87]
	;; [unrolled: 1-line block ×8, first 2 shown]
	s_waitcnt lgkmcnt(4)
	v_mul_f64 v[70:71], v[52:53], v[44:45]
	v_mul_f64 v[74:75], v[50:51], v[44:45]
	;; [unrolled: 1-line block ×4, first 2 shown]
	s_waitcnt lgkmcnt(3)
	v_mul_f64 v[82:83], v[6:7], v[44:45]
	v_mul_f64 v[44:45], v[4:5], v[44:45]
	;; [unrolled: 1-line block ×4, first 2 shown]
	v_fma_f64 v[86:87], v[16:17], v[38:39], -v[90:91]
	v_fma_f64 v[88:89], v[18:19], v[38:39], v[92:93]
	v_fma_f64 v[90:91], v[16:17], v[26:27], -v[94:95]
	v_fma_f64 v[92:93], v[18:19], v[26:27], v[96:97]
	;; [unrolled: 2-line block ×4, first 2 shown]
	ds_load_b128 v[16:19], v22 offset:3840
	s_waitcnt lgkmcnt(0)
	s_barrier
	buffer_gl0_inv
	v_add_f64 v[36:37], v[56:57], v[54:55]
	v_add_f64 v[40:41], v[72:73], v[76:77]
	;; [unrolled: 1-line block ×8, first 2 shown]
	v_mul_f64 v[64:65], v[10:11], v[30:31]
	v_mul_f64 v[66:67], v[8:9], v[30:31]
	;; [unrolled: 1-line block ×4, first 2 shown]
	v_fma_f64 v[70:71], v[50:51], v[42:43], -v[70:71]
	v_mul_f64 v[68:69], v[10:11], v[18:19]
	v_mul_f64 v[72:73], v[8:9], v[18:19]
	;; [unrolled: 1-line block ×4, first 2 shown]
	v_fma_f64 v[74:75], v[52:53], v[42:43], v[74:75]
	v_fma_f64 v[50:51], v[50:51], v[46:47], -v[78:79]
	v_fma_f64 v[52:53], v[52:53], v[46:47], v[80:81]
	v_fma_f64 v[78:79], v[4:5], v[42:43], -v[82:83]
	;; [unrolled: 2-line block ×3, first 2 shown]
	v_fma_f64 v[6:7], v[6:7], v[46:47], v[48:49]
	v_add_f64 v[36:37], v[36:37], v[86:87]
	v_add_f64 v[40:41], v[40:41], v[88:89]
	v_add_f64 v[44:45], v[54:55], v[90:91]
	v_add_f64 v[46:47], v[56:57], v[92:93]
	v_add_f64 v[48:49], v[58:59], v[94:95]
	v_add_f64 v[32:33], v[32:33], v[38:39]
	v_add_f64 v[34:35], v[60:61], v[34:35]
	v_add_f64 v[26:27], v[62:63], v[26:27]
	v_fma_f64 v[38:39], v[8:9], v[28:29], -v[64:65]
	v_fma_f64 v[54:55], v[10:11], v[28:29], v[66:67]
	v_fma_f64 v[56:57], v[12:13], v[28:29], -v[76:77]
	v_fma_f64 v[28:29], v[14:15], v[28:29], v[30:31]
	v_fma_f64 v[8:9], v[8:9], v[16:17], -v[68:69]
	v_fma_f64 v[10:11], v[10:11], v[16:17], v[72:73]
	v_fma_f64 v[30:31], v[12:13], v[16:17], -v[96:97]
	v_fma_f64 v[58:59], v[14:15], v[16:17], v[18:19]
	v_add_f64 v[12:13], v[36:37], v[70:71]
	v_add_f64 v[14:15], v[40:41], v[74:75]
	v_add_f64 v[36:37], v[44:45], v[50:51]
	v_add_f64 v[40:41], v[46:47], v[52:53]
	v_add_f64 v[44:45], v[48:49], v[78:79]
	v_add_f64 v[32:33], v[32:33], v[42:43]
	v_add_f64 v[4:5], v[34:35], v[4:5]
	v_add_f64 v[26:27], v[26:27], v[6:7]
	v_add_f64 v[16:17], v[12:13], v[38:39]
	v_add_f64 v[18:19], v[14:15], v[54:55]
	v_add_f64 v[12:13], v[36:37], v[8:9]
	v_add_f64 v[14:15], v[40:41], v[10:11]
	v_add_f64 v[8:9], v[44:45], v[56:57]
	v_add_f64 v[10:11], v[32:33], v[28:29]
	v_add_f64 v[6:7], v[4:5], v[30:31]
	v_add_f64 v[4:5], v[26:27], v[58:59]
	s_cbranch_scc0 .LBB722_2
.LBB722_3:
	s_load_b32 s3, s[0:1], 0x60
	v_add_nc_u32_e32 v21, s12, v21
	v_add_nc_u32_e32 v0, s10, v20
	s_delay_alu instid0(VALU_DEP_2) | instskip(NEXT) | instid1(VALU_DEP_2)
	v_cmp_gt_i32_e32 vcc_lo, s2, v21
	v_cmp_le_i32_e64 s0, v0, v21
	s_delay_alu instid0(VALU_DEP_1) | instskip(SKIP_2) | instid1(VALU_DEP_1)
	s_and_b32 s0, vcc_lo, s0
	s_waitcnt lgkmcnt(0)
	v_mad_i64_i32 v[1:2], null, v21, s3, 0
	v_lshlrev_b64 v[1:2], 4, v[1:2]
	s_delay_alu instid0(VALU_DEP_1) | instskip(NEXT) | instid1(VALU_DEP_1)
	v_add_co_u32 v20, s1, s8, v1
	v_add_co_ci_u32_e64 v22, s1, s9, v2, s1
	s_and_saveexec_b32 s1, s0
	s_cbranch_execz .LBB722_5
; %bb.4:
	v_mul_f64 v[1:2], s[6:7], v[18:19]
	v_mul_f64 v[18:19], s[4:5], v[18:19]
	s_delay_alu instid0(VALU_DEP_2) | instskip(NEXT) | instid1(VALU_DEP_2)
	v_fma_f64 v[23:24], s[4:5], v[16:17], -v[1:2]
	v_fma_f64 v[25:26], s[6:7], v[16:17], v[18:19]
	v_ashrrev_i32_e32 v1, 31, v0
	s_delay_alu instid0(VALU_DEP_1) | instskip(NEXT) | instid1(VALU_DEP_1)
	v_lshlrev_b64 v[1:2], 4, v[0:1]
	v_add_co_u32 v1, s0, v20, v1
	s_delay_alu instid0(VALU_DEP_1)
	v_add_co_ci_u32_e64 v2, s0, v22, v2, s0
	global_store_b128 v[1:2], v[23:26], off
.LBB722_5:
	s_or_b32 exec_lo, exec_lo, s1
	v_add_nc_u32_e32 v2, 16, v0
	s_delay_alu instid0(VALU_DEP_1) | instskip(NEXT) | instid1(VALU_DEP_1)
	v_cmp_le_i32_e64 s0, v2, v21
	s_and_b32 s1, vcc_lo, s0
	s_delay_alu instid0(SALU_CYCLE_1)
	s_and_saveexec_b32 s0, s1
	s_cbranch_execz .LBB722_7
; %bb.6:
	v_mul_f64 v[16:17], s[6:7], v[14:15]
	v_mul_f64 v[18:19], s[4:5], v[14:15]
	v_ashrrev_i32_e32 v3, 31, v2
	s_delay_alu instid0(VALU_DEP_3) | instskip(NEXT) | instid1(VALU_DEP_3)
	v_fma_f64 v[14:15], s[4:5], v[12:13], -v[16:17]
	v_fma_f64 v[16:17], s[6:7], v[12:13], v[18:19]
	s_delay_alu instid0(VALU_DEP_3) | instskip(NEXT) | instid1(VALU_DEP_1)
	v_lshlrev_b64 v[12:13], 4, v[2:3]
	v_add_co_u32 v12, vcc_lo, v20, v12
	s_delay_alu instid0(VALU_DEP_2)
	v_add_co_ci_u32_e32 v13, vcc_lo, v22, v13, vcc_lo
	global_store_b128 v[12:13], v[14:17], off
.LBB722_7:
	s_or_b32 exec_lo, exec_lo, s0
	v_add_nc_u32_e32 v3, 16, v21
	s_delay_alu instid0(VALU_DEP_1) | instskip(SKIP_2) | instid1(VALU_DEP_1)
	v_mad_i64_i32 v[12:13], null, v3, s3, 0
	v_cmp_gt_i32_e32 vcc_lo, s2, v3
	v_cmp_le_i32_e64 s0, v0, v3
	s_and_b32 s0, vcc_lo, s0
	s_delay_alu instid0(VALU_DEP_3) | instskip(NEXT) | instid1(VALU_DEP_1)
	v_lshlrev_b64 v[12:13], 4, v[12:13]
	v_add_co_u32 v12, s1, s8, v12
	s_delay_alu instid0(VALU_DEP_1)
	v_add_co_ci_u32_e64 v13, s1, s9, v13, s1
	s_and_saveexec_b32 s1, s0
	s_cbranch_execz .LBB722_9
; %bb.8:
	v_mul_f64 v[14:15], s[6:7], v[10:11]
	v_mul_f64 v[10:11], s[4:5], v[10:11]
	v_ashrrev_i32_e32 v1, 31, v0
	s_delay_alu instid0(VALU_DEP_1) | instskip(NEXT) | instid1(VALU_DEP_1)
	v_lshlrev_b64 v[0:1], 4, v[0:1]
	v_add_co_u32 v0, s0, v12, v0
	s_delay_alu instid0(VALU_DEP_1)
	v_add_co_ci_u32_e64 v1, s0, v13, v1, s0
	v_fma_f64 v[14:15], s[4:5], v[8:9], -v[14:15]
	v_fma_f64 v[16:17], s[6:7], v[8:9], v[10:11]
	global_store_b128 v[0:1], v[14:17], off
.LBB722_9:
	s_or_b32 exec_lo, exec_lo, s1
	v_cmp_le_i32_e64 s0, v2, v3
	s_delay_alu instid0(VALU_DEP_1) | instskip(NEXT) | instid1(SALU_CYCLE_1)
	s_and_b32 s0, vcc_lo, s0
	s_and_saveexec_b32 s1, s0
	s_cbranch_execz .LBB722_11
; %bb.10:
	v_mul_f64 v[0:1], s[6:7], v[4:5]
	v_mul_f64 v[8:9], s[4:5], v[4:5]
	v_ashrrev_i32_e32 v3, 31, v2
	s_delay_alu instid0(VALU_DEP_3) | instskip(NEXT) | instid1(VALU_DEP_3)
	v_fma_f64 v[4:5], s[4:5], v[6:7], -v[0:1]
	v_fma_f64 v[6:7], s[6:7], v[6:7], v[8:9]
	s_delay_alu instid0(VALU_DEP_3) | instskip(NEXT) | instid1(VALU_DEP_1)
	v_lshlrev_b64 v[0:1], 4, v[2:3]
	v_add_co_u32 v0, vcc_lo, v12, v0
	s_delay_alu instid0(VALU_DEP_2)
	v_add_co_ci_u32_e32 v1, vcc_lo, v13, v1, vcc_lo
	global_store_b128 v[0:1], v[4:7], off
.LBB722_11:
	s_nop 0
	s_sendmsg sendmsg(MSG_DEALLOC_VGPRS)
	s_endpgm
	.section	.rodata,"a",@progbits
	.p2align	6, 0x0
	.amdhsa_kernel _ZL37rocblas_syrkx_herkx_restricted_kernelIi19rocblas_complex_numIdELi16ELi32ELi8ELb1ELb0ELc84ELc85EKPKS1_KPS1_EviT_T0_PT8_S7_lSA_S7_lS8_PT9_S7_li
		.amdhsa_group_segment_fixed_size 8192
		.amdhsa_private_segment_fixed_size 0
		.amdhsa_kernarg_size 116
		.amdhsa_user_sgpr_count 13
		.amdhsa_user_sgpr_dispatch_ptr 0
		.amdhsa_user_sgpr_queue_ptr 0
		.amdhsa_user_sgpr_kernarg_segment_ptr 1
		.amdhsa_user_sgpr_dispatch_id 0
		.amdhsa_user_sgpr_private_segment_size 0
		.amdhsa_wavefront_size32 1
		.amdhsa_uses_dynamic_stack 0
		.amdhsa_enable_private_segment 0
		.amdhsa_system_sgpr_workgroup_id_x 1
		.amdhsa_system_sgpr_workgroup_id_y 1
		.amdhsa_system_sgpr_workgroup_id_z 1
		.amdhsa_system_sgpr_workgroup_info 0
		.amdhsa_system_vgpr_workitem_id 1
		.amdhsa_next_free_vgpr 118
		.amdhsa_next_free_sgpr 21
		.amdhsa_reserve_vcc 1
		.amdhsa_float_round_mode_32 0
		.amdhsa_float_round_mode_16_64 0
		.amdhsa_float_denorm_mode_32 3
		.amdhsa_float_denorm_mode_16_64 3
		.amdhsa_dx10_clamp 1
		.amdhsa_ieee_mode 1
		.amdhsa_fp16_overflow 0
		.amdhsa_workgroup_processor_mode 1
		.amdhsa_memory_ordered 1
		.amdhsa_forward_progress 0
		.amdhsa_shared_vgpr_count 0
		.amdhsa_exception_fp_ieee_invalid_op 0
		.amdhsa_exception_fp_denorm_src 0
		.amdhsa_exception_fp_ieee_div_zero 0
		.amdhsa_exception_fp_ieee_overflow 0
		.amdhsa_exception_fp_ieee_underflow 0
		.amdhsa_exception_fp_ieee_inexact 0
		.amdhsa_exception_int_div_zero 0
	.end_amdhsa_kernel
	.section	.text._ZL37rocblas_syrkx_herkx_restricted_kernelIi19rocblas_complex_numIdELi16ELi32ELi8ELb1ELb0ELc84ELc85EKPKS1_KPS1_EviT_T0_PT8_S7_lSA_S7_lS8_PT9_S7_li,"axG",@progbits,_ZL37rocblas_syrkx_herkx_restricted_kernelIi19rocblas_complex_numIdELi16ELi32ELi8ELb1ELb0ELc84ELc85EKPKS1_KPS1_EviT_T0_PT8_S7_lSA_S7_lS8_PT9_S7_li,comdat
.Lfunc_end722:
	.size	_ZL37rocblas_syrkx_herkx_restricted_kernelIi19rocblas_complex_numIdELi16ELi32ELi8ELb1ELb0ELc84ELc85EKPKS1_KPS1_EviT_T0_PT8_S7_lSA_S7_lS8_PT9_S7_li, .Lfunc_end722-_ZL37rocblas_syrkx_herkx_restricted_kernelIi19rocblas_complex_numIdELi16ELi32ELi8ELb1ELb0ELc84ELc85EKPKS1_KPS1_EviT_T0_PT8_S7_lSA_S7_lS8_PT9_S7_li
                                        ; -- End function
	.section	.AMDGPU.csdata,"",@progbits
; Kernel info:
; codeLenInByte = 3000
; NumSgprs: 23
; NumVgprs: 118
; ScratchSize: 0
; MemoryBound: 0
; FloatMode: 240
; IeeeMode: 1
; LDSByteSize: 8192 bytes/workgroup (compile time only)
; SGPRBlocks: 2
; VGPRBlocks: 14
; NumSGPRsForWavesPerEU: 23
; NumVGPRsForWavesPerEU: 118
; Occupancy: 12
; WaveLimiterHint : 1
; COMPUTE_PGM_RSRC2:SCRATCH_EN: 0
; COMPUTE_PGM_RSRC2:USER_SGPR: 13
; COMPUTE_PGM_RSRC2:TRAP_HANDLER: 0
; COMPUTE_PGM_RSRC2:TGID_X_EN: 1
; COMPUTE_PGM_RSRC2:TGID_Y_EN: 1
; COMPUTE_PGM_RSRC2:TGID_Z_EN: 1
; COMPUTE_PGM_RSRC2:TIDIG_COMP_CNT: 1
	.section	.text._ZL37rocblas_syrkx_herkx_restricted_kernelIi19rocblas_complex_numIdELi16ELi32ELi8ELb1ELb0ELc67ELc85EKPKS1_KPS1_EviT_T0_PT8_S7_lSA_S7_lS8_PT9_S7_li,"axG",@progbits,_ZL37rocblas_syrkx_herkx_restricted_kernelIi19rocblas_complex_numIdELi16ELi32ELi8ELb1ELb0ELc67ELc85EKPKS1_KPS1_EviT_T0_PT8_S7_lSA_S7_lS8_PT9_S7_li,comdat
	.globl	_ZL37rocblas_syrkx_herkx_restricted_kernelIi19rocblas_complex_numIdELi16ELi32ELi8ELb1ELb0ELc67ELc85EKPKS1_KPS1_EviT_T0_PT8_S7_lSA_S7_lS8_PT9_S7_li ; -- Begin function _ZL37rocblas_syrkx_herkx_restricted_kernelIi19rocblas_complex_numIdELi16ELi32ELi8ELb1ELb0ELc67ELc85EKPKS1_KPS1_EviT_T0_PT8_S7_lSA_S7_lS8_PT9_S7_li
	.p2align	8
	.type	_ZL37rocblas_syrkx_herkx_restricted_kernelIi19rocblas_complex_numIdELi16ELi32ELi8ELb1ELb0ELc67ELc85EKPKS1_KPS1_EviT_T0_PT8_S7_lSA_S7_lS8_PT9_S7_li,@function
_ZL37rocblas_syrkx_herkx_restricted_kernelIi19rocblas_complex_numIdELi16ELi32ELi8ELb1ELb0ELc67ELc85EKPKS1_KPS1_EviT_T0_PT8_S7_lSA_S7_lS8_PT9_S7_li: ; @_ZL37rocblas_syrkx_herkx_restricted_kernelIi19rocblas_complex_numIdELi16ELi32ELi8ELb1ELb0ELc67ELc85EKPKS1_KPS1_EviT_T0_PT8_S7_lSA_S7_lS8_PT9_S7_li
; %bb.0:
	s_clause 0x2
	s_load_b64 s[4:5], s[0:1], 0x58
	s_load_b64 s[18:19], s[0:1], 0x18
	;; [unrolled: 1-line block ×3, first 2 shown]
	s_mov_b32 s10, s15
	s_mov_b32 s11, 0
	v_mov_b32_e32 v16, 0
	s_lshl_b64 s[16:17], s[10:11], 3
	v_dual_mov_b32 v17, 0 :: v_dual_and_b32 v20, 0x3ff, v0
	v_bfe_u32 v21, v0, 10, 10
	s_delay_alu instid0(VALU_DEP_3) | instskip(NEXT) | instid1(VALU_DEP_3)
	v_mov_b32_e32 v12, v16
	v_dual_mov_b32 v14, v16 :: v_dual_mov_b32 v15, v17
	v_dual_mov_b32 v19, v17 :: v_dual_mov_b32 v18, v16
	;; [unrolled: 1-line block ×4, first 2 shown]
	v_mov_b32_e32 v11, v17
	s_waitcnt lgkmcnt(0)
	s_add_u32 s8, s4, s16
	s_addc_u32 s9, s5, s17
	s_load_b128 s[4:7], s[0:1], 0x8
	s_load_b64 s[8:9], s[8:9], 0x0
	v_dual_mov_b32 v6, v16 :: v_dual_mov_b32 v7, v17
	v_dual_mov_b32 v4, v16 :: v_dual_mov_b32 v5, v17
	s_lshl_b32 s10, s13, 5
	s_lshl_b32 s12, s14, 5
	s_cmp_lt_i32 s3, 1
	s_cbranch_scc1 .LBB723_3
; %bb.1:
	s_clause 0x2
	s_load_b64 s[14:15], s[0:1], 0x30
	s_load_b32 s13, s[0:1], 0x20
	s_load_b32 s20, s[0:1], 0x38
	v_lshl_add_u32 v2, v21, 4, v20
	v_dual_mov_b32 v1, 0 :: v_dual_and_b32 v0, 7, v20
	s_add_u32 s18, s18, s16
	v_lshlrev_b32_e32 v22, 4, v20
	s_delay_alu instid0(VALU_DEP_3) | instskip(SKIP_3) | instid1(VALU_DEP_3)
	v_and_b32_e32 v10, 31, v2
	s_addc_u32 s19, s19, s17
	v_lshrrev_b32_e32 v11, 3, v2
	v_lshrrev_b32_e32 v2, 5, v2
	v_dual_mov_b32 v3, v1 :: v_dual_add_nc_u32 v4, s10, v10
	s_load_b64 s[18:19], s[18:19], 0x0
	v_lshl_add_u32 v23, v21, 7, 0x1000
	s_waitcnt lgkmcnt(0)
	s_add_u32 s14, s14, s16
	s_addc_u32 s15, s15, s17
	v_mad_i64_i32 v[6:7], null, s13, v4, v[2:3]
	s_load_b64 s[14:15], s[14:15], 0x0
	v_dual_mov_b32 v4, 0 :: v_dual_lshlrev_b32 v3, 4, v0
	v_dual_mov_b32 v5, 0 :: v_dual_add_nc_u32 v12, s12, v11
	v_lshlrev_b32_e32 v10, 4, v10
	s_delay_alu instid0(VALU_DEP_3) | instskip(NEXT) | instid1(VALU_DEP_3)
	v_lshl_or_b32 v3, v11, 7, v3
	v_mov_b32_e32 v15, v5
	s_delay_alu instid0(VALU_DEP_4)
	v_mad_i64_i32 v[8:9], null, s20, v12, v[0:1]
	v_lshlrev_b64 v[0:1], 4, v[6:7]
	v_dual_mov_b32 v7, v5 :: v_dual_mov_b32 v6, v4
	v_add_nc_u32_e32 v25, 0x1000, v3
	v_lshl_or_b32 v24, v2, 9, v10
	v_dual_mov_b32 v14, v4 :: v_dual_mov_b32 v13, v5
	v_lshlrev_b64 v[2:3], 4, v[8:9]
	v_add_co_u32 v0, vcc_lo, v0, s18
	v_add_co_ci_u32_e32 v1, vcc_lo, s19, v1, vcc_lo
	v_mov_b32_e32 v9, v5
	s_waitcnt lgkmcnt(0)
	s_delay_alu instid0(VALU_DEP_4)
	v_add_co_u32 v2, vcc_lo, v2, s14
	v_add_co_ci_u32_e32 v3, vcc_lo, s15, v3, vcc_lo
	v_add_co_u32 v0, vcc_lo, v0, 8
	v_mov_b32_e32 v8, v4
	v_add_co_ci_u32_e32 v1, vcc_lo, 0, v1, vcc_lo
	v_add_co_u32 v2, vcc_lo, v2, 8
	v_dual_mov_b32 v12, v4 :: v_dual_mov_b32 v19, v5
	v_dual_mov_b32 v18, v4 :: v_dual_mov_b32 v17, v5
	v_add_co_ci_u32_e32 v3, vcc_lo, 0, v3, vcc_lo
	v_dual_mov_b32 v11, v5 :: v_dual_mov_b32 v10, v4
	v_mov_b32_e32 v16, v4
.LBB723_2:                              ; =>This Inner Loop Header: Depth=1
	global_load_b128 v[26:29], v[0:1], off offset:-8
	global_load_b128 v[30:33], v[2:3], off offset:-8
	v_add_co_u32 v0, vcc_lo, 0x80, v0
	v_add_co_ci_u32_e32 v1, vcc_lo, 0, v1, vcc_lo
	v_add_co_u32 v2, vcc_lo, 0x80, v2
	v_add_co_ci_u32_e32 v3, vcc_lo, 0, v3, vcc_lo
	s_add_i32 s11, s11, 8
	s_waitcnt vmcnt(1)
	ds_store_b128 v24, v[26:29]
	s_waitcnt vmcnt(0)
	ds_store_b128 v25, v[30:33]
	s_waitcnt lgkmcnt(0)
	s_barrier
	buffer_gl0_inv
	ds_load_b128 v[26:29], v23
	ds_load_b128 v[30:33], v22
	ds_load_b128 v[34:37], v22 offset:256
	ds_load_b128 v[38:41], v23 offset:2048
	;; [unrolled: 1-line block ×13, first 2 shown]
	s_cmp_ge_i32 s11, s3
	s_waitcnt lgkmcnt(13)
	v_mul_f64 v[86:87], v[28:29], v[32:33]
	v_mul_f64 v[88:89], v[26:27], v[32:33]
	s_waitcnt lgkmcnt(12)
	v_mul_f64 v[90:91], v[28:29], v[36:37]
	v_mul_f64 v[92:93], v[26:27], v[36:37]
	;; [unrolled: 3-line block ×3, first 2 shown]
	v_mul_f64 v[96:97], v[40:41], v[36:37]
	v_mul_f64 v[36:37], v[38:39], v[36:37]
	s_waitcnt lgkmcnt(8)
	v_mul_f64 v[98:99], v[44:45], v[52:53]
	v_mul_f64 v[100:101], v[42:43], v[52:53]
	s_waitcnt lgkmcnt(7)
	v_mul_f64 v[102:103], v[44:45], v[56:57]
	v_mul_f64 v[104:105], v[42:43], v[56:57]
	;; [unrolled: 1-line block ×6, first 2 shown]
	s_waitcnt lgkmcnt(3)
	v_mul_f64 v[112:113], v[58:59], v[72:73]
	s_waitcnt lgkmcnt(2)
	v_mul_f64 v[114:115], v[76:77], v[68:69]
	v_mul_f64 v[116:117], v[76:77], v[72:73]
	v_fma_f64 v[86:87], v[26:27], v[30:31], -v[86:87]
	v_fma_f64 v[88:89], v[28:29], v[30:31], v[88:89]
	v_fma_f64 v[90:91], v[26:27], v[34:35], -v[90:91]
	v_fma_f64 v[92:93], v[28:29], v[34:35], v[92:93]
	;; [unrolled: 2-line block ×4, first 2 shown]
	v_mul_f64 v[36:37], v[60:61], v[68:69]
	v_mul_f64 v[40:41], v[58:59], v[68:69]
	;; [unrolled: 1-line block ×5, first 2 shown]
	v_fma_f64 v[98:99], v[42:43], v[50:51], -v[98:99]
	v_fma_f64 v[100:101], v[44:45], v[50:51], v[100:101]
	v_fma_f64 v[42:43], v[42:43], v[54:55], -v[102:103]
	v_fma_f64 v[44:45], v[44:45], v[54:55], v[104:105]
	;; [unrolled: 2-line block ×4, first 2 shown]
	ds_load_b128 v[26:29], v22 offset:1792
	ds_load_b128 v[30:33], v22 offset:2048
	s_waitcnt lgkmcnt(2)
	v_mul_f64 v[56:57], v[64:65], v[84:85]
	v_add_f64 v[16:17], v[16:17], v[86:87]
	v_add_f64 v[18:19], v[18:19], v[88:89]
	;; [unrolled: 1-line block ×8, first 2 shown]
	v_mul_f64 v[86:87], v[62:63], v[84:85]
	s_waitcnt lgkmcnt(1)
	v_mul_f64 v[88:89], v[64:65], v[28:29]
	v_mul_f64 v[90:91], v[62:63], v[28:29]
	v_mul_f64 v[92:93], v[80:81], v[84:85]
	v_mul_f64 v[84:85], v[78:79], v[84:85]
	v_mul_f64 v[94:95], v[80:81], v[28:29]
	v_mul_f64 v[28:29], v[78:79], v[28:29]
	v_fma_f64 v[104:105], v[58:59], v[66:67], -v[36:37]
	v_fma_f64 v[106:107], v[60:61], v[66:67], v[40:41]
	v_fma_f64 v[58:59], v[58:59], v[70:71], -v[96:97]
	v_fma_f64 v[60:61], v[60:61], v[70:71], v[112:113]
	;; [unrolled: 2-line block ×4, first 2 shown]
	ds_load_b128 v[4:7], v22 offset:2304
	ds_load_b128 v[8:11], v23 offset:64
	v_fma_f64 v[56:57], v[62:63], v[82:83], -v[56:57]
	v_add_f64 v[72:73], v[16:17], v[98:99]
	v_add_f64 v[74:75], v[18:19], v[100:101]
	;; [unrolled: 1-line block ×8, first 2 shown]
	ds_load_b128 v[12:15], v23 offset:2112
	ds_load_b128 v[16:19], v23 offset:80
	;; [unrolled: 1-line block ×4, first 2 shown]
	s_waitcnt lgkmcnt(4)
	v_mul_f64 v[54:55], v[10:11], v[32:33]
	v_mul_f64 v[76:77], v[8:9], v[32:33]
	;; [unrolled: 1-line block ×4, first 2 shown]
	v_fma_f64 v[86:87], v[64:65], v[82:83], v[86:87]
	v_fma_f64 v[62:63], v[62:63], v[26:27], -v[88:89]
	v_fma_f64 v[64:65], v[64:65], v[26:27], v[90:91]
	v_fma_f64 v[88:89], v[78:79], v[82:83], -v[92:93]
	;; [unrolled: 2-line block ×3, first 2 shown]
	v_fma_f64 v[80:81], v[80:81], v[26:27], v[28:29]
	s_waitcnt lgkmcnt(3)
	v_mul_f64 v[102:103], v[14:15], v[32:33]
	v_mul_f64 v[32:33], v[12:13], v[32:33]
	;; [unrolled: 1-line block ×4, first 2 shown]
	s_waitcnt lgkmcnt(0)
	v_mul_f64 v[90:91], v[18:19], v[40:41]
	v_mul_f64 v[92:93], v[16:17], v[40:41]
	v_add_f64 v[72:73], v[72:73], v[104:105]
	v_add_f64 v[74:75], v[74:75], v[106:107]
	;; [unrolled: 1-line block ×8, first 2 shown]
	ds_load_b128 v[26:29], v22 offset:2816
	ds_load_b128 v[42:45], v22 offset:3072
	;; [unrolled: 1-line block ×4, first 2 shown]
	v_mul_f64 v[104:105], v[36:37], v[40:41]
	v_mul_f64 v[40:41], v[34:35], v[40:41]
	v_fma_f64 v[54:55], v[8:9], v[30:31], -v[54:55]
	v_fma_f64 v[76:77], v[10:11], v[30:31], v[76:77]
	v_fma_f64 v[98:99], v[8:9], v[4:5], -v[98:99]
	v_fma_f64 v[100:101], v[10:11], v[4:5], v[100:101]
	s_waitcnt lgkmcnt(3)
	v_mul_f64 v[94:95], v[18:19], v[28:29]
	v_mul_f64 v[96:97], v[16:17], v[28:29]
	;; [unrolled: 1-line block ×4, first 2 shown]
	v_fma_f64 v[102:103], v[12:13], v[30:31], -v[102:103]
	v_fma_f64 v[32:33], v[14:15], v[30:31], v[32:33]
	v_fma_f64 v[108:109], v[12:13], v[4:5], -v[108:109]
	v_fma_f64 v[112:113], v[14:15], v[4:5], v[6:7]
	ds_load_b128 v[4:7], v23 offset:2144
	ds_load_b128 v[8:11], v23 offset:112
	;; [unrolled: 1-line block ×4, first 2 shown]
	v_add_f64 v[56:57], v[72:73], v[56:57]
	v_add_f64 v[72:73], v[74:75], v[86:87]
	;; [unrolled: 1-line block ×8, first 2 shown]
	s_waitcnt lgkmcnt(4)
	v_mul_f64 v[70:71], v[52:53], v[44:45]
	v_mul_f64 v[74:75], v[50:51], v[44:45]
	;; [unrolled: 1-line block ×4, first 2 shown]
	s_waitcnt lgkmcnt(3)
	v_mul_f64 v[82:83], v[6:7], v[44:45]
	v_mul_f64 v[44:45], v[4:5], v[44:45]
	;; [unrolled: 1-line block ×4, first 2 shown]
	v_fma_f64 v[86:87], v[16:17], v[38:39], -v[90:91]
	v_fma_f64 v[88:89], v[18:19], v[38:39], v[92:93]
	v_fma_f64 v[90:91], v[16:17], v[26:27], -v[94:95]
	v_fma_f64 v[92:93], v[18:19], v[26:27], v[96:97]
	;; [unrolled: 2-line block ×4, first 2 shown]
	ds_load_b128 v[16:19], v22 offset:3840
	s_waitcnt lgkmcnt(0)
	s_barrier
	buffer_gl0_inv
	v_add_f64 v[36:37], v[56:57], v[54:55]
	v_add_f64 v[40:41], v[72:73], v[76:77]
	;; [unrolled: 1-line block ×8, first 2 shown]
	v_mul_f64 v[64:65], v[10:11], v[30:31]
	v_mul_f64 v[66:67], v[8:9], v[30:31]
	;; [unrolled: 1-line block ×4, first 2 shown]
	v_fma_f64 v[70:71], v[50:51], v[42:43], -v[70:71]
	v_mul_f64 v[68:69], v[10:11], v[18:19]
	v_mul_f64 v[72:73], v[8:9], v[18:19]
	;; [unrolled: 1-line block ×4, first 2 shown]
	v_fma_f64 v[74:75], v[52:53], v[42:43], v[74:75]
	v_fma_f64 v[50:51], v[50:51], v[46:47], -v[78:79]
	v_fma_f64 v[52:53], v[52:53], v[46:47], v[80:81]
	v_fma_f64 v[78:79], v[4:5], v[42:43], -v[82:83]
	;; [unrolled: 2-line block ×3, first 2 shown]
	v_fma_f64 v[6:7], v[6:7], v[46:47], v[48:49]
	v_add_f64 v[36:37], v[36:37], v[86:87]
	v_add_f64 v[40:41], v[40:41], v[88:89]
	;; [unrolled: 1-line block ×8, first 2 shown]
	v_fma_f64 v[38:39], v[8:9], v[28:29], -v[64:65]
	v_fma_f64 v[54:55], v[10:11], v[28:29], v[66:67]
	v_fma_f64 v[56:57], v[12:13], v[28:29], -v[76:77]
	v_fma_f64 v[28:29], v[14:15], v[28:29], v[30:31]
	;; [unrolled: 2-line block ×4, first 2 shown]
	v_add_f64 v[12:13], v[36:37], v[70:71]
	v_add_f64 v[14:15], v[40:41], v[74:75]
	v_add_f64 v[36:37], v[44:45], v[50:51]
	v_add_f64 v[40:41], v[46:47], v[52:53]
	v_add_f64 v[44:45], v[48:49], v[78:79]
	v_add_f64 v[32:33], v[32:33], v[42:43]
	v_add_f64 v[4:5], v[34:35], v[4:5]
	v_add_f64 v[26:27], v[26:27], v[6:7]
	v_add_f64 v[16:17], v[12:13], v[38:39]
	v_add_f64 v[18:19], v[14:15], v[54:55]
	v_add_f64 v[12:13], v[36:37], v[8:9]
	v_add_f64 v[14:15], v[40:41], v[10:11]
	v_add_f64 v[8:9], v[44:45], v[56:57]
	v_add_f64 v[10:11], v[32:33], v[28:29]
	v_add_f64 v[6:7], v[4:5], v[30:31]
	v_add_f64 v[4:5], v[26:27], v[58:59]
	s_cbranch_scc0 .LBB723_2
.LBB723_3:
	s_load_b32 s3, s[0:1], 0x60
	v_add_nc_u32_e32 v21, s12, v21
	v_add_nc_u32_e32 v0, s10, v20
	s_delay_alu instid0(VALU_DEP_2) | instskip(NEXT) | instid1(VALU_DEP_2)
	v_cmp_gt_i32_e32 vcc_lo, s2, v21
	v_cmp_le_i32_e64 s0, v0, v21
	s_delay_alu instid0(VALU_DEP_1) | instskip(SKIP_2) | instid1(VALU_DEP_1)
	s_and_b32 s0, vcc_lo, s0
	s_waitcnt lgkmcnt(0)
	v_mad_i64_i32 v[1:2], null, v21, s3, 0
	v_lshlrev_b64 v[1:2], 4, v[1:2]
	s_delay_alu instid0(VALU_DEP_1) | instskip(NEXT) | instid1(VALU_DEP_1)
	v_add_co_u32 v20, s1, s8, v1
	v_add_co_ci_u32_e64 v22, s1, s9, v2, s1
	s_and_saveexec_b32 s1, s0
	s_cbranch_execz .LBB723_5
; %bb.4:
	v_mul_f64 v[1:2], s[6:7], v[18:19]
	v_mul_f64 v[18:19], s[4:5], v[18:19]
	s_delay_alu instid0(VALU_DEP_2) | instskip(NEXT) | instid1(VALU_DEP_2)
	v_fma_f64 v[23:24], s[4:5], v[16:17], -v[1:2]
	v_fma_f64 v[25:26], s[6:7], v[16:17], v[18:19]
	v_ashrrev_i32_e32 v1, 31, v0
	s_delay_alu instid0(VALU_DEP_1) | instskip(NEXT) | instid1(VALU_DEP_1)
	v_lshlrev_b64 v[1:2], 4, v[0:1]
	v_add_co_u32 v1, s0, v20, v1
	s_delay_alu instid0(VALU_DEP_1)
	v_add_co_ci_u32_e64 v2, s0, v22, v2, s0
	global_store_b128 v[1:2], v[23:26], off
.LBB723_5:
	s_or_b32 exec_lo, exec_lo, s1
	v_add_nc_u32_e32 v2, 16, v0
	s_delay_alu instid0(VALU_DEP_1) | instskip(NEXT) | instid1(VALU_DEP_1)
	v_cmp_le_i32_e64 s0, v2, v21
	s_and_b32 s1, vcc_lo, s0
	s_delay_alu instid0(SALU_CYCLE_1)
	s_and_saveexec_b32 s0, s1
	s_cbranch_execz .LBB723_7
; %bb.6:
	v_mul_f64 v[16:17], s[6:7], v[14:15]
	v_mul_f64 v[18:19], s[4:5], v[14:15]
	v_ashrrev_i32_e32 v3, 31, v2
	s_delay_alu instid0(VALU_DEP_3) | instskip(NEXT) | instid1(VALU_DEP_3)
	v_fma_f64 v[14:15], s[4:5], v[12:13], -v[16:17]
	v_fma_f64 v[16:17], s[6:7], v[12:13], v[18:19]
	s_delay_alu instid0(VALU_DEP_3) | instskip(NEXT) | instid1(VALU_DEP_1)
	v_lshlrev_b64 v[12:13], 4, v[2:3]
	v_add_co_u32 v12, vcc_lo, v20, v12
	s_delay_alu instid0(VALU_DEP_2)
	v_add_co_ci_u32_e32 v13, vcc_lo, v22, v13, vcc_lo
	global_store_b128 v[12:13], v[14:17], off
.LBB723_7:
	s_or_b32 exec_lo, exec_lo, s0
	v_add_nc_u32_e32 v3, 16, v21
	s_delay_alu instid0(VALU_DEP_1) | instskip(SKIP_2) | instid1(VALU_DEP_1)
	v_mad_i64_i32 v[12:13], null, v3, s3, 0
	v_cmp_gt_i32_e32 vcc_lo, s2, v3
	v_cmp_le_i32_e64 s0, v0, v3
	s_and_b32 s0, vcc_lo, s0
	s_delay_alu instid0(VALU_DEP_3) | instskip(NEXT) | instid1(VALU_DEP_1)
	v_lshlrev_b64 v[12:13], 4, v[12:13]
	v_add_co_u32 v12, s1, s8, v12
	s_delay_alu instid0(VALU_DEP_1)
	v_add_co_ci_u32_e64 v13, s1, s9, v13, s1
	s_and_saveexec_b32 s1, s0
	s_cbranch_execz .LBB723_9
; %bb.8:
	v_mul_f64 v[14:15], s[6:7], v[10:11]
	v_mul_f64 v[10:11], s[4:5], v[10:11]
	v_ashrrev_i32_e32 v1, 31, v0
	s_delay_alu instid0(VALU_DEP_1) | instskip(NEXT) | instid1(VALU_DEP_1)
	v_lshlrev_b64 v[0:1], 4, v[0:1]
	v_add_co_u32 v0, s0, v12, v0
	s_delay_alu instid0(VALU_DEP_1)
	v_add_co_ci_u32_e64 v1, s0, v13, v1, s0
	v_fma_f64 v[14:15], s[4:5], v[8:9], -v[14:15]
	v_fma_f64 v[16:17], s[6:7], v[8:9], v[10:11]
	global_store_b128 v[0:1], v[14:17], off
.LBB723_9:
	s_or_b32 exec_lo, exec_lo, s1
	v_cmp_le_i32_e64 s0, v2, v3
	s_delay_alu instid0(VALU_DEP_1) | instskip(NEXT) | instid1(SALU_CYCLE_1)
	s_and_b32 s0, vcc_lo, s0
	s_and_saveexec_b32 s1, s0
	s_cbranch_execz .LBB723_11
; %bb.10:
	v_mul_f64 v[0:1], s[6:7], v[4:5]
	v_mul_f64 v[8:9], s[4:5], v[4:5]
	v_ashrrev_i32_e32 v3, 31, v2
	s_delay_alu instid0(VALU_DEP_3) | instskip(NEXT) | instid1(VALU_DEP_3)
	v_fma_f64 v[4:5], s[4:5], v[6:7], -v[0:1]
	v_fma_f64 v[6:7], s[6:7], v[6:7], v[8:9]
	s_delay_alu instid0(VALU_DEP_3) | instskip(NEXT) | instid1(VALU_DEP_1)
	v_lshlrev_b64 v[0:1], 4, v[2:3]
	v_add_co_u32 v0, vcc_lo, v12, v0
	s_delay_alu instid0(VALU_DEP_2)
	v_add_co_ci_u32_e32 v1, vcc_lo, v13, v1, vcc_lo
	global_store_b128 v[0:1], v[4:7], off
.LBB723_11:
	s_nop 0
	s_sendmsg sendmsg(MSG_DEALLOC_VGPRS)
	s_endpgm
	.section	.rodata,"a",@progbits
	.p2align	6, 0x0
	.amdhsa_kernel _ZL37rocblas_syrkx_herkx_restricted_kernelIi19rocblas_complex_numIdELi16ELi32ELi8ELb1ELb0ELc67ELc85EKPKS1_KPS1_EviT_T0_PT8_S7_lSA_S7_lS8_PT9_S7_li
		.amdhsa_group_segment_fixed_size 8192
		.amdhsa_private_segment_fixed_size 0
		.amdhsa_kernarg_size 116
		.amdhsa_user_sgpr_count 13
		.amdhsa_user_sgpr_dispatch_ptr 0
		.amdhsa_user_sgpr_queue_ptr 0
		.amdhsa_user_sgpr_kernarg_segment_ptr 1
		.amdhsa_user_sgpr_dispatch_id 0
		.amdhsa_user_sgpr_private_segment_size 0
		.amdhsa_wavefront_size32 1
		.amdhsa_uses_dynamic_stack 0
		.amdhsa_enable_private_segment 0
		.amdhsa_system_sgpr_workgroup_id_x 1
		.amdhsa_system_sgpr_workgroup_id_y 1
		.amdhsa_system_sgpr_workgroup_id_z 1
		.amdhsa_system_sgpr_workgroup_info 0
		.amdhsa_system_vgpr_workitem_id 1
		.amdhsa_next_free_vgpr 118
		.amdhsa_next_free_sgpr 21
		.amdhsa_reserve_vcc 1
		.amdhsa_float_round_mode_32 0
		.amdhsa_float_round_mode_16_64 0
		.amdhsa_float_denorm_mode_32 3
		.amdhsa_float_denorm_mode_16_64 3
		.amdhsa_dx10_clamp 1
		.amdhsa_ieee_mode 1
		.amdhsa_fp16_overflow 0
		.amdhsa_workgroup_processor_mode 1
		.amdhsa_memory_ordered 1
		.amdhsa_forward_progress 0
		.amdhsa_shared_vgpr_count 0
		.amdhsa_exception_fp_ieee_invalid_op 0
		.amdhsa_exception_fp_denorm_src 0
		.amdhsa_exception_fp_ieee_div_zero 0
		.amdhsa_exception_fp_ieee_overflow 0
		.amdhsa_exception_fp_ieee_underflow 0
		.amdhsa_exception_fp_ieee_inexact 0
		.amdhsa_exception_int_div_zero 0
	.end_amdhsa_kernel
	.section	.text._ZL37rocblas_syrkx_herkx_restricted_kernelIi19rocblas_complex_numIdELi16ELi32ELi8ELb1ELb0ELc67ELc85EKPKS1_KPS1_EviT_T0_PT8_S7_lSA_S7_lS8_PT9_S7_li,"axG",@progbits,_ZL37rocblas_syrkx_herkx_restricted_kernelIi19rocblas_complex_numIdELi16ELi32ELi8ELb1ELb0ELc67ELc85EKPKS1_KPS1_EviT_T0_PT8_S7_lSA_S7_lS8_PT9_S7_li,comdat
.Lfunc_end723:
	.size	_ZL37rocblas_syrkx_herkx_restricted_kernelIi19rocblas_complex_numIdELi16ELi32ELi8ELb1ELb0ELc67ELc85EKPKS1_KPS1_EviT_T0_PT8_S7_lSA_S7_lS8_PT9_S7_li, .Lfunc_end723-_ZL37rocblas_syrkx_herkx_restricted_kernelIi19rocblas_complex_numIdELi16ELi32ELi8ELb1ELb0ELc67ELc85EKPKS1_KPS1_EviT_T0_PT8_S7_lSA_S7_lS8_PT9_S7_li
                                        ; -- End function
	.section	.AMDGPU.csdata,"",@progbits
; Kernel info:
; codeLenInByte = 3000
; NumSgprs: 23
; NumVgprs: 118
; ScratchSize: 0
; MemoryBound: 0
; FloatMode: 240
; IeeeMode: 1
; LDSByteSize: 8192 bytes/workgroup (compile time only)
; SGPRBlocks: 2
; VGPRBlocks: 14
; NumSGPRsForWavesPerEU: 23
; NumVGPRsForWavesPerEU: 118
; Occupancy: 12
; WaveLimiterHint : 1
; COMPUTE_PGM_RSRC2:SCRATCH_EN: 0
; COMPUTE_PGM_RSRC2:USER_SGPR: 13
; COMPUTE_PGM_RSRC2:TRAP_HANDLER: 0
; COMPUTE_PGM_RSRC2:TGID_X_EN: 1
; COMPUTE_PGM_RSRC2:TGID_Y_EN: 1
; COMPUTE_PGM_RSRC2:TGID_Z_EN: 1
; COMPUTE_PGM_RSRC2:TIDIG_COMP_CNT: 1
	.section	.text._ZL37rocblas_syrkx_herkx_restricted_kernelIi19rocblas_complex_numIdELi16ELi32ELi8ELb1ELb0ELc78ELc85EKPKS1_KPS1_EviT_T0_PT8_S7_lSA_S7_lS8_PT9_S7_li,"axG",@progbits,_ZL37rocblas_syrkx_herkx_restricted_kernelIi19rocblas_complex_numIdELi16ELi32ELi8ELb1ELb0ELc78ELc85EKPKS1_KPS1_EviT_T0_PT8_S7_lSA_S7_lS8_PT9_S7_li,comdat
	.globl	_ZL37rocblas_syrkx_herkx_restricted_kernelIi19rocblas_complex_numIdELi16ELi32ELi8ELb1ELb0ELc78ELc85EKPKS1_KPS1_EviT_T0_PT8_S7_lSA_S7_lS8_PT9_S7_li ; -- Begin function _ZL37rocblas_syrkx_herkx_restricted_kernelIi19rocblas_complex_numIdELi16ELi32ELi8ELb1ELb0ELc78ELc85EKPKS1_KPS1_EviT_T0_PT8_S7_lSA_S7_lS8_PT9_S7_li
	.p2align	8
	.type	_ZL37rocblas_syrkx_herkx_restricted_kernelIi19rocblas_complex_numIdELi16ELi32ELi8ELb1ELb0ELc78ELc85EKPKS1_KPS1_EviT_T0_PT8_S7_lSA_S7_lS8_PT9_S7_li,@function
_ZL37rocblas_syrkx_herkx_restricted_kernelIi19rocblas_complex_numIdELi16ELi32ELi8ELb1ELb0ELc78ELc85EKPKS1_KPS1_EviT_T0_PT8_S7_lSA_S7_lS8_PT9_S7_li: ; @_ZL37rocblas_syrkx_herkx_restricted_kernelIi19rocblas_complex_numIdELi16ELi32ELi8ELb1ELb0ELc78ELc85EKPKS1_KPS1_EviT_T0_PT8_S7_lSA_S7_lS8_PT9_S7_li
; %bb.0:
	s_clause 0x2
	s_load_b64 s[4:5], s[0:1], 0x58
	s_load_b64 s[18:19], s[0:1], 0x18
	;; [unrolled: 1-line block ×3, first 2 shown]
	s_mov_b32 s10, s15
	s_mov_b32 s11, 0
	v_mov_b32_e32 v16, 0
	s_lshl_b64 s[16:17], s[10:11], 3
	v_dual_mov_b32 v17, 0 :: v_dual_and_b32 v20, 0x3ff, v0
	v_bfe_u32 v21, v0, 10, 10
	s_delay_alu instid0(VALU_DEP_3) | instskip(NEXT) | instid1(VALU_DEP_3)
	v_mov_b32_e32 v12, v16
	v_dual_mov_b32 v14, v16 :: v_dual_mov_b32 v15, v17
	v_dual_mov_b32 v19, v17 :: v_dual_mov_b32 v18, v16
	;; [unrolled: 1-line block ×4, first 2 shown]
	v_mov_b32_e32 v9, v17
	s_waitcnt lgkmcnt(0)
	s_add_u32 s8, s4, s16
	s_addc_u32 s9, s5, s17
	s_load_b128 s[4:7], s[0:1], 0x8
	s_load_b64 s[8:9], s[8:9], 0x0
	v_dual_mov_b32 v6, v16 :: v_dual_mov_b32 v7, v17
	v_dual_mov_b32 v4, v16 :: v_dual_mov_b32 v5, v17
	s_lshl_b32 s10, s13, 5
	s_lshl_b32 s20, s14, 5
	s_cmp_lt_i32 s3, 1
	s_cbranch_scc1 .LBB724_3
; %bb.1:
	s_clause 0x2
	s_load_b32 s12, s[0:1], 0x20
	s_load_b32 s14, s[0:1], 0x38
	s_load_b64 s[22:23], s[0:1], 0x30
	v_lshl_add_u32 v0, v21, 4, v20
	v_mov_b32_e32 v4, 0
	v_dual_mov_b32 v5, 0 :: v_dual_and_b32 v6, 7, v20
	v_lshlrev_b32_e32 v22, 4, v20
	s_delay_alu instid0(VALU_DEP_4) | instskip(SKIP_3) | instid1(VALU_DEP_4)
	v_and_b32_e32 v10, 31, v0
	v_lshrrev_b32_e32 v7, 3, v0
	v_lshrrev_b32_e32 v11, 5, v0
	v_dual_mov_b32 v19, v5 :: v_dual_lshlrev_b32 v12, 4, v6
	v_dual_mov_b32 v15, v5 :: v_dual_add_nc_u32 v2, s10, v10
	s_delay_alu instid0(VALU_DEP_4) | instskip(NEXT) | instid1(VALU_DEP_3)
	v_add_nc_u32_e32 v0, s20, v7
	v_lshl_or_b32 v12, v7, 7, v12
	v_lshl_add_u32 v23, v21, 7, 0x1000
	s_delay_alu instid0(VALU_DEP_4)
	v_ashrrev_i32_e32 v3, 31, v2
	v_mov_b32_e32 v14, v4
	s_waitcnt lgkmcnt(0)
	s_ashr_i32 s13, s12, 31
	s_ashr_i32 s15, s14, 31
	s_add_u32 s18, s18, s16
	s_addc_u32 s19, s19, s17
	s_add_u32 s16, s22, s16
	s_load_b64 s[18:19], s[18:19], 0x0
	s_addc_u32 s17, s23, s17
	v_ashrrev_i32_e32 v1, 31, v0
	s_load_b64 s[16:17], s[16:17], 0x0
	v_mad_i64_i32 v[8:9], null, s12, v11, v[2:3]
	v_add_nc_u32_e32 v25, 0x1000, v12
	s_delay_alu instid0(VALU_DEP_3)
	v_mad_i64_i32 v[2:3], null, s14, v6, v[0:1]
	v_dual_mov_b32 v7, v5 :: v_dual_lshlrev_b32 v10, 4, v10
	v_mov_b32_e32 v13, v5
	v_lshlrev_b64 v[0:1], 4, v[8:9]
	v_dual_mov_b32 v6, v4 :: v_dual_mov_b32 v17, v5
	v_lshlrev_b64 v[2:3], 4, v[2:3]
	v_mov_b32_e32 v9, v5
	v_lshl_or_b32 v24, v11, 9, v10
	v_dual_mov_b32 v11, v5 :: v_dual_mov_b32 v8, v4
	s_waitcnt lgkmcnt(0)
	v_add_co_u32 v0, vcc_lo, v0, s18
	v_add_co_ci_u32_e32 v1, vcc_lo, s19, v1, vcc_lo
	v_add_co_u32 v2, vcc_lo, v2, s16
	v_add_co_ci_u32_e32 v3, vcc_lo, s17, v3, vcc_lo
	s_delay_alu instid0(VALU_DEP_4) | instskip(NEXT) | instid1(VALU_DEP_4)
	v_add_co_u32 v0, vcc_lo, v0, 8
	v_add_co_ci_u32_e32 v1, vcc_lo, 0, v1, vcc_lo
	s_delay_alu instid0(VALU_DEP_4) | instskip(NEXT) | instid1(VALU_DEP_4)
	v_add_co_u32 v2, vcc_lo, v2, 8
	v_add_co_ci_u32_e32 v3, vcc_lo, 0, v3, vcc_lo
	v_mov_b32_e32 v10, v4
	v_mov_b32_e32 v12, v4
	;; [unrolled: 1-line block ×4, first 2 shown]
	s_lshl_b64 s[12:13], s[12:13], 7
	s_lshl_b64 s[14:15], s[14:15], 7
.LBB724_2:                              ; =>This Inner Loop Header: Depth=1
	global_load_b128 v[26:29], v[0:1], off offset:-8
	global_load_b128 v[30:33], v[2:3], off offset:-8
	v_add_co_u32 v0, vcc_lo, v0, s12
	v_add_co_ci_u32_e32 v1, vcc_lo, s13, v1, vcc_lo
	v_add_co_u32 v2, vcc_lo, v2, s14
	v_add_co_ci_u32_e32 v3, vcc_lo, s15, v3, vcc_lo
	s_add_i32 s11, s11, 8
	s_waitcnt vmcnt(1)
	ds_store_b128 v24, v[26:29]
	s_waitcnt vmcnt(0)
	ds_store_b128 v25, v[30:33]
	s_waitcnt lgkmcnt(0)
	s_barrier
	buffer_gl0_inv
	ds_load_b128 v[26:29], v23
	ds_load_b128 v[30:33], v22
	ds_load_b128 v[34:37], v22 offset:256
	ds_load_b128 v[38:41], v23 offset:2048
	;; [unrolled: 1-line block ×13, first 2 shown]
	s_cmp_ge_i32 s11, s3
	s_waitcnt lgkmcnt(13)
	v_mul_f64 v[86:87], v[28:29], v[32:33]
	v_mul_f64 v[88:89], v[26:27], v[32:33]
	s_waitcnt lgkmcnt(12)
	v_mul_f64 v[90:91], v[28:29], v[36:37]
	v_mul_f64 v[92:93], v[26:27], v[36:37]
	;; [unrolled: 3-line block ×3, first 2 shown]
	v_mul_f64 v[96:97], v[40:41], v[36:37]
	v_mul_f64 v[36:37], v[38:39], v[36:37]
	s_waitcnt lgkmcnt(8)
	v_mul_f64 v[98:99], v[44:45], v[52:53]
	v_mul_f64 v[100:101], v[42:43], v[52:53]
	s_waitcnt lgkmcnt(7)
	v_mul_f64 v[102:103], v[44:45], v[56:57]
	v_mul_f64 v[104:105], v[42:43], v[56:57]
	;; [unrolled: 1-line block ×6, first 2 shown]
	s_waitcnt lgkmcnt(3)
	v_mul_f64 v[112:113], v[58:59], v[72:73]
	s_waitcnt lgkmcnt(2)
	v_mul_f64 v[114:115], v[76:77], v[68:69]
	v_mul_f64 v[116:117], v[76:77], v[72:73]
	v_fma_f64 v[86:87], v[26:27], v[30:31], -v[86:87]
	v_fma_f64 v[88:89], v[28:29], v[30:31], v[88:89]
	v_fma_f64 v[90:91], v[26:27], v[34:35], -v[90:91]
	v_fma_f64 v[92:93], v[28:29], v[34:35], v[92:93]
	;; [unrolled: 2-line block ×4, first 2 shown]
	v_mul_f64 v[36:37], v[60:61], v[68:69]
	v_mul_f64 v[40:41], v[58:59], v[68:69]
	;; [unrolled: 1-line block ×5, first 2 shown]
	v_fma_f64 v[98:99], v[42:43], v[50:51], -v[98:99]
	v_fma_f64 v[100:101], v[44:45], v[50:51], v[100:101]
	v_fma_f64 v[42:43], v[42:43], v[54:55], -v[102:103]
	v_fma_f64 v[44:45], v[44:45], v[54:55], v[104:105]
	;; [unrolled: 2-line block ×4, first 2 shown]
	ds_load_b128 v[26:29], v22 offset:1792
	ds_load_b128 v[30:33], v22 offset:2048
	s_waitcnt lgkmcnt(2)
	v_mul_f64 v[56:57], v[64:65], v[84:85]
	v_add_f64 v[16:17], v[16:17], v[86:87]
	v_add_f64 v[18:19], v[18:19], v[88:89]
	;; [unrolled: 1-line block ×8, first 2 shown]
	v_mul_f64 v[86:87], v[62:63], v[84:85]
	s_waitcnt lgkmcnt(1)
	v_mul_f64 v[88:89], v[64:65], v[28:29]
	v_mul_f64 v[90:91], v[62:63], v[28:29]
	;; [unrolled: 1-line block ×6, first 2 shown]
	v_fma_f64 v[104:105], v[58:59], v[66:67], -v[36:37]
	v_fma_f64 v[106:107], v[60:61], v[66:67], v[40:41]
	v_fma_f64 v[58:59], v[58:59], v[70:71], -v[96:97]
	v_fma_f64 v[60:61], v[60:61], v[70:71], v[112:113]
	v_fma_f64 v[96:97], v[74:75], v[66:67], -v[114:115]
	v_fma_f64 v[66:67], v[76:77], v[66:67], v[68:69]
	v_fma_f64 v[68:69], v[74:75], v[70:71], -v[116:117]
	v_fma_f64 v[70:71], v[76:77], v[70:71], v[72:73]
	ds_load_b128 v[4:7], v22 offset:2304
	ds_load_b128 v[8:11], v23 offset:64
	v_fma_f64 v[56:57], v[62:63], v[82:83], -v[56:57]
	v_add_f64 v[72:73], v[16:17], v[98:99]
	v_add_f64 v[74:75], v[18:19], v[100:101]
	;; [unrolled: 1-line block ×8, first 2 shown]
	ds_load_b128 v[12:15], v23 offset:2112
	ds_load_b128 v[16:19], v23 offset:80
	;; [unrolled: 1-line block ×4, first 2 shown]
	s_waitcnt lgkmcnt(4)
	v_mul_f64 v[54:55], v[10:11], v[32:33]
	v_mul_f64 v[76:77], v[8:9], v[32:33]
	;; [unrolled: 1-line block ×4, first 2 shown]
	v_fma_f64 v[86:87], v[64:65], v[82:83], v[86:87]
	v_fma_f64 v[62:63], v[62:63], v[26:27], -v[88:89]
	v_fma_f64 v[64:65], v[64:65], v[26:27], v[90:91]
	v_fma_f64 v[88:89], v[78:79], v[82:83], -v[92:93]
	;; [unrolled: 2-line block ×3, first 2 shown]
	v_fma_f64 v[80:81], v[80:81], v[26:27], v[28:29]
	s_waitcnt lgkmcnt(3)
	v_mul_f64 v[102:103], v[14:15], v[32:33]
	v_mul_f64 v[32:33], v[12:13], v[32:33]
	;; [unrolled: 1-line block ×4, first 2 shown]
	s_waitcnt lgkmcnt(0)
	v_mul_f64 v[90:91], v[18:19], v[40:41]
	v_mul_f64 v[92:93], v[16:17], v[40:41]
	v_add_f64 v[72:73], v[72:73], v[104:105]
	v_add_f64 v[74:75], v[74:75], v[106:107]
	;; [unrolled: 1-line block ×8, first 2 shown]
	ds_load_b128 v[26:29], v22 offset:2816
	ds_load_b128 v[42:45], v22 offset:3072
	;; [unrolled: 1-line block ×4, first 2 shown]
	v_mul_f64 v[104:105], v[36:37], v[40:41]
	v_mul_f64 v[40:41], v[34:35], v[40:41]
	v_fma_f64 v[54:55], v[8:9], v[30:31], -v[54:55]
	v_fma_f64 v[76:77], v[10:11], v[30:31], v[76:77]
	v_fma_f64 v[98:99], v[8:9], v[4:5], -v[98:99]
	v_fma_f64 v[100:101], v[10:11], v[4:5], v[100:101]
	s_waitcnt lgkmcnt(3)
	v_mul_f64 v[94:95], v[18:19], v[28:29]
	v_mul_f64 v[96:97], v[16:17], v[28:29]
	;; [unrolled: 1-line block ×4, first 2 shown]
	v_fma_f64 v[102:103], v[12:13], v[30:31], -v[102:103]
	v_fma_f64 v[32:33], v[14:15], v[30:31], v[32:33]
	v_fma_f64 v[108:109], v[12:13], v[4:5], -v[108:109]
	v_fma_f64 v[112:113], v[14:15], v[4:5], v[6:7]
	ds_load_b128 v[4:7], v23 offset:2144
	ds_load_b128 v[8:11], v23 offset:112
	;; [unrolled: 1-line block ×4, first 2 shown]
	v_add_f64 v[56:57], v[72:73], v[56:57]
	v_add_f64 v[72:73], v[74:75], v[86:87]
	;; [unrolled: 1-line block ×8, first 2 shown]
	s_waitcnt lgkmcnt(4)
	v_mul_f64 v[70:71], v[52:53], v[44:45]
	v_mul_f64 v[74:75], v[50:51], v[44:45]
	;; [unrolled: 1-line block ×4, first 2 shown]
	s_waitcnt lgkmcnt(3)
	v_mul_f64 v[82:83], v[6:7], v[44:45]
	v_mul_f64 v[44:45], v[4:5], v[44:45]
	v_mul_f64 v[84:85], v[6:7], v[48:49]
	v_mul_f64 v[48:49], v[4:5], v[48:49]
	v_fma_f64 v[86:87], v[16:17], v[38:39], -v[90:91]
	v_fma_f64 v[88:89], v[18:19], v[38:39], v[92:93]
	v_fma_f64 v[90:91], v[16:17], v[26:27], -v[94:95]
	v_fma_f64 v[92:93], v[18:19], v[26:27], v[96:97]
	v_fma_f64 v[94:95], v[34:35], v[38:39], -v[104:105]
	v_fma_f64 v[38:39], v[36:37], v[38:39], v[40:41]
	v_fma_f64 v[34:35], v[34:35], v[26:27], -v[106:107]
	v_fma_f64 v[26:27], v[36:37], v[26:27], v[110:111]
	ds_load_b128 v[16:19], v22 offset:3840
	s_waitcnt lgkmcnt(0)
	s_barrier
	buffer_gl0_inv
	v_add_f64 v[36:37], v[56:57], v[54:55]
	v_add_f64 v[40:41], v[72:73], v[76:77]
	;; [unrolled: 1-line block ×8, first 2 shown]
	v_mul_f64 v[64:65], v[10:11], v[30:31]
	v_mul_f64 v[66:67], v[8:9], v[30:31]
	;; [unrolled: 1-line block ×4, first 2 shown]
	v_fma_f64 v[70:71], v[50:51], v[42:43], -v[70:71]
	v_mul_f64 v[68:69], v[10:11], v[18:19]
	v_mul_f64 v[72:73], v[8:9], v[18:19]
	;; [unrolled: 1-line block ×4, first 2 shown]
	v_fma_f64 v[74:75], v[52:53], v[42:43], v[74:75]
	v_fma_f64 v[50:51], v[50:51], v[46:47], -v[78:79]
	v_fma_f64 v[52:53], v[52:53], v[46:47], v[80:81]
	v_fma_f64 v[78:79], v[4:5], v[42:43], -v[82:83]
	;; [unrolled: 2-line block ×3, first 2 shown]
	v_fma_f64 v[6:7], v[6:7], v[46:47], v[48:49]
	v_add_f64 v[36:37], v[36:37], v[86:87]
	v_add_f64 v[40:41], v[40:41], v[88:89]
	;; [unrolled: 1-line block ×8, first 2 shown]
	v_fma_f64 v[38:39], v[8:9], v[28:29], -v[64:65]
	v_fma_f64 v[54:55], v[10:11], v[28:29], v[66:67]
	v_fma_f64 v[56:57], v[12:13], v[28:29], -v[76:77]
	v_fma_f64 v[28:29], v[14:15], v[28:29], v[30:31]
	;; [unrolled: 2-line block ×4, first 2 shown]
	v_add_f64 v[12:13], v[36:37], v[70:71]
	v_add_f64 v[14:15], v[40:41], v[74:75]
	;; [unrolled: 1-line block ×16, first 2 shown]
	s_cbranch_scc0 .LBB724_2
.LBB724_3:
	s_load_b32 s3, s[0:1], 0x60
	v_add_nc_u32_e32 v21, s20, v21
	v_add_nc_u32_e32 v0, s10, v20
	s_delay_alu instid0(VALU_DEP_2) | instskip(NEXT) | instid1(VALU_DEP_2)
	v_cmp_gt_i32_e32 vcc_lo, s2, v21
	v_cmp_le_i32_e64 s0, v0, v21
	s_delay_alu instid0(VALU_DEP_1) | instskip(SKIP_2) | instid1(VALU_DEP_1)
	s_and_b32 s0, vcc_lo, s0
	s_waitcnt lgkmcnt(0)
	v_mad_i64_i32 v[1:2], null, v21, s3, 0
	v_lshlrev_b64 v[1:2], 4, v[1:2]
	s_delay_alu instid0(VALU_DEP_1) | instskip(NEXT) | instid1(VALU_DEP_1)
	v_add_co_u32 v20, s1, s8, v1
	v_add_co_ci_u32_e64 v22, s1, s9, v2, s1
	s_and_saveexec_b32 s1, s0
	s_cbranch_execz .LBB724_5
; %bb.4:
	v_mul_f64 v[1:2], s[6:7], v[18:19]
	v_mul_f64 v[18:19], s[4:5], v[18:19]
	s_delay_alu instid0(VALU_DEP_2) | instskip(NEXT) | instid1(VALU_DEP_2)
	v_fma_f64 v[23:24], s[4:5], v[16:17], -v[1:2]
	v_fma_f64 v[25:26], s[6:7], v[16:17], v[18:19]
	v_ashrrev_i32_e32 v1, 31, v0
	s_delay_alu instid0(VALU_DEP_1) | instskip(NEXT) | instid1(VALU_DEP_1)
	v_lshlrev_b64 v[1:2], 4, v[0:1]
	v_add_co_u32 v1, s0, v20, v1
	s_delay_alu instid0(VALU_DEP_1)
	v_add_co_ci_u32_e64 v2, s0, v22, v2, s0
	global_store_b128 v[1:2], v[23:26], off
.LBB724_5:
	s_or_b32 exec_lo, exec_lo, s1
	v_add_nc_u32_e32 v2, 16, v0
	s_delay_alu instid0(VALU_DEP_1) | instskip(NEXT) | instid1(VALU_DEP_1)
	v_cmp_le_i32_e64 s0, v2, v21
	s_and_b32 s1, vcc_lo, s0
	s_delay_alu instid0(SALU_CYCLE_1)
	s_and_saveexec_b32 s0, s1
	s_cbranch_execz .LBB724_7
; %bb.6:
	v_mul_f64 v[16:17], s[6:7], v[14:15]
	v_mul_f64 v[18:19], s[4:5], v[14:15]
	v_ashrrev_i32_e32 v3, 31, v2
	s_delay_alu instid0(VALU_DEP_3) | instskip(NEXT) | instid1(VALU_DEP_3)
	v_fma_f64 v[14:15], s[4:5], v[12:13], -v[16:17]
	v_fma_f64 v[16:17], s[6:7], v[12:13], v[18:19]
	s_delay_alu instid0(VALU_DEP_3) | instskip(NEXT) | instid1(VALU_DEP_1)
	v_lshlrev_b64 v[12:13], 4, v[2:3]
	v_add_co_u32 v12, vcc_lo, v20, v12
	s_delay_alu instid0(VALU_DEP_2)
	v_add_co_ci_u32_e32 v13, vcc_lo, v22, v13, vcc_lo
	global_store_b128 v[12:13], v[14:17], off
.LBB724_7:
	s_or_b32 exec_lo, exec_lo, s0
	v_add_nc_u32_e32 v3, 16, v21
	s_delay_alu instid0(VALU_DEP_1) | instskip(SKIP_2) | instid1(VALU_DEP_1)
	v_mad_i64_i32 v[12:13], null, v3, s3, 0
	v_cmp_gt_i32_e32 vcc_lo, s2, v3
	v_cmp_le_i32_e64 s0, v0, v3
	s_and_b32 s0, vcc_lo, s0
	s_delay_alu instid0(VALU_DEP_3) | instskip(NEXT) | instid1(VALU_DEP_1)
	v_lshlrev_b64 v[12:13], 4, v[12:13]
	v_add_co_u32 v12, s1, s8, v12
	s_delay_alu instid0(VALU_DEP_1)
	v_add_co_ci_u32_e64 v13, s1, s9, v13, s1
	s_and_saveexec_b32 s1, s0
	s_cbranch_execz .LBB724_9
; %bb.8:
	v_mul_f64 v[14:15], s[6:7], v[8:9]
	v_mul_f64 v[16:17], s[4:5], v[8:9]
	v_ashrrev_i32_e32 v1, 31, v0
	s_delay_alu instid0(VALU_DEP_1) | instskip(NEXT) | instid1(VALU_DEP_1)
	v_lshlrev_b64 v[0:1], 4, v[0:1]
	v_add_co_u32 v0, s0, v12, v0
	s_delay_alu instid0(VALU_DEP_1)
	v_add_co_ci_u32_e64 v1, s0, v13, v1, s0
	v_fma_f64 v[8:9], s[4:5], v[10:11], -v[14:15]
	v_fma_f64 v[10:11], s[6:7], v[10:11], v[16:17]
	global_store_b128 v[0:1], v[8:11], off
.LBB724_9:
	s_or_b32 exec_lo, exec_lo, s1
	v_cmp_le_i32_e64 s0, v2, v3
	s_delay_alu instid0(VALU_DEP_1) | instskip(NEXT) | instid1(SALU_CYCLE_1)
	s_and_b32 s0, vcc_lo, s0
	s_and_saveexec_b32 s1, s0
	s_cbranch_execz .LBB724_11
; %bb.10:
	v_mul_f64 v[0:1], s[6:7], v[4:5]
	v_mul_f64 v[8:9], s[4:5], v[4:5]
	v_ashrrev_i32_e32 v3, 31, v2
	s_delay_alu instid0(VALU_DEP_3) | instskip(NEXT) | instid1(VALU_DEP_3)
	v_fma_f64 v[4:5], s[4:5], v[6:7], -v[0:1]
	v_fma_f64 v[6:7], s[6:7], v[6:7], v[8:9]
	s_delay_alu instid0(VALU_DEP_3) | instskip(NEXT) | instid1(VALU_DEP_1)
	v_lshlrev_b64 v[0:1], 4, v[2:3]
	v_add_co_u32 v0, vcc_lo, v12, v0
	s_delay_alu instid0(VALU_DEP_2)
	v_add_co_ci_u32_e32 v1, vcc_lo, v13, v1, vcc_lo
	global_store_b128 v[0:1], v[4:7], off
.LBB724_11:
	s_nop 0
	s_sendmsg sendmsg(MSG_DEALLOC_VGPRS)
	s_endpgm
	.section	.rodata,"a",@progbits
	.p2align	6, 0x0
	.amdhsa_kernel _ZL37rocblas_syrkx_herkx_restricted_kernelIi19rocblas_complex_numIdELi16ELi32ELi8ELb1ELb0ELc78ELc85EKPKS1_KPS1_EviT_T0_PT8_S7_lSA_S7_lS8_PT9_S7_li
		.amdhsa_group_segment_fixed_size 8192
		.amdhsa_private_segment_fixed_size 0
		.amdhsa_kernarg_size 116
		.amdhsa_user_sgpr_count 13
		.amdhsa_user_sgpr_dispatch_ptr 0
		.amdhsa_user_sgpr_queue_ptr 0
		.amdhsa_user_sgpr_kernarg_segment_ptr 1
		.amdhsa_user_sgpr_dispatch_id 0
		.amdhsa_user_sgpr_private_segment_size 0
		.amdhsa_wavefront_size32 1
		.amdhsa_uses_dynamic_stack 0
		.amdhsa_enable_private_segment 0
		.amdhsa_system_sgpr_workgroup_id_x 1
		.amdhsa_system_sgpr_workgroup_id_y 1
		.amdhsa_system_sgpr_workgroup_id_z 1
		.amdhsa_system_sgpr_workgroup_info 0
		.amdhsa_system_vgpr_workitem_id 1
		.amdhsa_next_free_vgpr 118
		.amdhsa_next_free_sgpr 24
		.amdhsa_reserve_vcc 1
		.amdhsa_float_round_mode_32 0
		.amdhsa_float_round_mode_16_64 0
		.amdhsa_float_denorm_mode_32 3
		.amdhsa_float_denorm_mode_16_64 3
		.amdhsa_dx10_clamp 1
		.amdhsa_ieee_mode 1
		.amdhsa_fp16_overflow 0
		.amdhsa_workgroup_processor_mode 1
		.amdhsa_memory_ordered 1
		.amdhsa_forward_progress 0
		.amdhsa_shared_vgpr_count 0
		.amdhsa_exception_fp_ieee_invalid_op 0
		.amdhsa_exception_fp_denorm_src 0
		.amdhsa_exception_fp_ieee_div_zero 0
		.amdhsa_exception_fp_ieee_overflow 0
		.amdhsa_exception_fp_ieee_underflow 0
		.amdhsa_exception_fp_ieee_inexact 0
		.amdhsa_exception_int_div_zero 0
	.end_amdhsa_kernel
	.section	.text._ZL37rocblas_syrkx_herkx_restricted_kernelIi19rocblas_complex_numIdELi16ELi32ELi8ELb1ELb0ELc78ELc85EKPKS1_KPS1_EviT_T0_PT8_S7_lSA_S7_lS8_PT9_S7_li,"axG",@progbits,_ZL37rocblas_syrkx_herkx_restricted_kernelIi19rocblas_complex_numIdELi16ELi32ELi8ELb1ELb0ELc78ELc85EKPKS1_KPS1_EviT_T0_PT8_S7_lSA_S7_lS8_PT9_S7_li,comdat
.Lfunc_end724:
	.size	_ZL37rocblas_syrkx_herkx_restricted_kernelIi19rocblas_complex_numIdELi16ELi32ELi8ELb1ELb0ELc78ELc85EKPKS1_KPS1_EviT_T0_PT8_S7_lSA_S7_lS8_PT9_S7_li, .Lfunc_end724-_ZL37rocblas_syrkx_herkx_restricted_kernelIi19rocblas_complex_numIdELi16ELi32ELi8ELb1ELb0ELc78ELc85EKPKS1_KPS1_EviT_T0_PT8_S7_lSA_S7_lS8_PT9_S7_li
                                        ; -- End function
	.section	.AMDGPU.csdata,"",@progbits
; Kernel info:
; codeLenInByte = 3016
; NumSgprs: 26
; NumVgprs: 118
; ScratchSize: 0
; MemoryBound: 0
; FloatMode: 240
; IeeeMode: 1
; LDSByteSize: 8192 bytes/workgroup (compile time only)
; SGPRBlocks: 3
; VGPRBlocks: 14
; NumSGPRsForWavesPerEU: 26
; NumVGPRsForWavesPerEU: 118
; Occupancy: 12
; WaveLimiterHint : 1
; COMPUTE_PGM_RSRC2:SCRATCH_EN: 0
; COMPUTE_PGM_RSRC2:USER_SGPR: 13
; COMPUTE_PGM_RSRC2:TRAP_HANDLER: 0
; COMPUTE_PGM_RSRC2:TGID_X_EN: 1
; COMPUTE_PGM_RSRC2:TGID_Y_EN: 1
; COMPUTE_PGM_RSRC2:TGID_Z_EN: 1
; COMPUTE_PGM_RSRC2:TIDIG_COMP_CNT: 1
	.section	.text._ZL37rocblas_syrkx_herkx_restricted_kernelIi19rocblas_complex_numIdELi16ELi32ELi8ELb0ELb0ELc84ELc76EKPKS1_KPS1_EviT_T0_PT8_S7_lSA_S7_lS8_PT9_S7_li,"axG",@progbits,_ZL37rocblas_syrkx_herkx_restricted_kernelIi19rocblas_complex_numIdELi16ELi32ELi8ELb0ELb0ELc84ELc76EKPKS1_KPS1_EviT_T0_PT8_S7_lSA_S7_lS8_PT9_S7_li,comdat
	.globl	_ZL37rocblas_syrkx_herkx_restricted_kernelIi19rocblas_complex_numIdELi16ELi32ELi8ELb0ELb0ELc84ELc76EKPKS1_KPS1_EviT_T0_PT8_S7_lSA_S7_lS8_PT9_S7_li ; -- Begin function _ZL37rocblas_syrkx_herkx_restricted_kernelIi19rocblas_complex_numIdELi16ELi32ELi8ELb0ELb0ELc84ELc76EKPKS1_KPS1_EviT_T0_PT8_S7_lSA_S7_lS8_PT9_S7_li
	.p2align	8
	.type	_ZL37rocblas_syrkx_herkx_restricted_kernelIi19rocblas_complex_numIdELi16ELi32ELi8ELb0ELb0ELc84ELc76EKPKS1_KPS1_EviT_T0_PT8_S7_lSA_S7_lS8_PT9_S7_li,@function
_ZL37rocblas_syrkx_herkx_restricted_kernelIi19rocblas_complex_numIdELi16ELi32ELi8ELb0ELb0ELc84ELc76EKPKS1_KPS1_EviT_T0_PT8_S7_lSA_S7_lS8_PT9_S7_li: ; @_ZL37rocblas_syrkx_herkx_restricted_kernelIi19rocblas_complex_numIdELi16ELi32ELi8ELb0ELb0ELc84ELc76EKPKS1_KPS1_EviT_T0_PT8_S7_lSA_S7_lS8_PT9_S7_li
; %bb.0:
	s_load_b64 s[2:3], s[0:1], 0x58
	s_mov_b32 s18, s15
	s_mov_b32 s19, 0
	s_clause 0x1
	s_load_b64 s[16:17], s[0:1], 0x0
	s_load_b128 s[4:7], s[0:1], 0x8
	s_lshl_b64 s[20:21], s[18:19], 3
	v_mov_b32_e32 v16, 0
	v_dual_mov_b32 v17, 0 :: v_dual_and_b32 v20, 0x3ff, v0
	v_bfe_u32 v21, v0, 10, 10
	s_delay_alu instid0(VALU_DEP_3) | instskip(NEXT) | instid1(VALU_DEP_3)
	v_mov_b32_e32 v12, v16
	v_dual_mov_b32 v14, v16 :: v_dual_mov_b32 v15, v17
	v_dual_mov_b32 v19, v17 :: v_dual_mov_b32 v18, v16
	;; [unrolled: 1-line block ×5, first 2 shown]
	v_mov_b32_e32 v5, v17
	s_waitcnt lgkmcnt(0)
	s_add_u32 s2, s2, s20
	s_addc_u32 s3, s3, s21
	s_clause 0x1
	s_load_b64 s[22:23], s[0:1], 0x18
	s_load_b128 s[8:11], s[0:1], 0x48
	s_load_b64 s[2:3], s[2:3], 0x0
	v_dual_mov_b32 v6, v16 :: v_dual_mov_b32 v7, v17
	s_lshl_b32 s12, s13, 5
	s_lshl_b32 s13, s14, 5
	s_cmp_lt_i32 s17, 1
	s_cbranch_scc1 .LBB725_3
; %bb.1:
	s_clause 0x2
	s_load_b64 s[14:15], s[0:1], 0x30
	s_load_b32 s18, s[0:1], 0x20
	s_load_b32 s24, s[0:1], 0x38
	v_lshl_add_u32 v2, v21, 4, v20
	v_dual_mov_b32 v1, 0 :: v_dual_and_b32 v0, 7, v20
	s_waitcnt lgkmcnt(0)
	s_add_u32 s22, s22, s20
	v_lshlrev_b32_e32 v22, 4, v20
	v_and_b32_e32 v10, 31, v2
	s_addc_u32 s23, s23, s21
	v_lshrrev_b32_e32 v11, 3, v2
	v_lshrrev_b32_e32 v2, 5, v2
	s_delay_alu instid0(VALU_DEP_3)
	v_dual_mov_b32 v3, v1 :: v_dual_add_nc_u32 v6, s12, v10
	s_load_b64 s[22:23], s[22:23], 0x0
	v_lshl_add_u32 v23, v21, 7, 0x1000
	s_add_u32 s14, s14, s20
	s_addc_u32 s15, s15, s21
	v_mad_i64_i32 v[4:5], null, s18, v6, v[2:3]
	s_load_b64 s[14:15], s[14:15], 0x0
	v_dual_mov_b32 v6, 0 :: v_dual_lshlrev_b32 v3, 4, v0
	v_dual_mov_b32 v7, 0 :: v_dual_add_nc_u32 v12, s13, v11
	v_lshlrev_b32_e32 v10, 4, v10
	s_delay_alu instid0(VALU_DEP_3) | instskip(NEXT) | instid1(VALU_DEP_3)
	v_lshl_or_b32 v3, v11, 7, v3
	v_mov_b32_e32 v15, v7
	s_delay_alu instid0(VALU_DEP_4) | instskip(SKIP_1) | instid1(VALU_DEP_4)
	v_mad_i64_i32 v[8:9], null, s24, v12, v[0:1]
	v_lshlrev_b64 v[0:1], 4, v[4:5]
	v_dual_mov_b32 v4, v6 :: v_dual_add_nc_u32 v25, 0x1000, v3
	v_lshl_or_b32 v24, v2, 9, v10
	v_dual_mov_b32 v14, v6 :: v_dual_mov_b32 v13, v7
	v_lshlrev_b64 v[2:3], 4, v[8:9]
	s_waitcnt lgkmcnt(0)
	v_add_co_u32 v0, vcc_lo, v0, s22
	v_add_co_ci_u32_e32 v1, vcc_lo, s23, v1, vcc_lo
	v_mov_b32_e32 v9, v7
	s_delay_alu instid0(VALU_DEP_4)
	v_add_co_u32 v2, vcc_lo, v2, s14
	v_add_co_ci_u32_e32 v3, vcc_lo, s15, v3, vcc_lo
	v_add_co_u32 v0, vcc_lo, v0, 8
	v_mov_b32_e32 v8, v6
	v_add_co_ci_u32_e32 v1, vcc_lo, 0, v1, vcc_lo
	v_add_co_u32 v2, vcc_lo, v2, 8
	v_dual_mov_b32 v12, v6 :: v_dual_mov_b32 v19, v7
	v_dual_mov_b32 v18, v6 :: v_dual_mov_b32 v17, v7
	v_mov_b32_e32 v5, v7
	v_add_co_ci_u32_e32 v3, vcc_lo, 0, v3, vcc_lo
	v_dual_mov_b32 v11, v7 :: v_dual_mov_b32 v10, v6
	v_mov_b32_e32 v16, v6
.LBB725_2:                              ; =>This Inner Loop Header: Depth=1
	global_load_b128 v[26:29], v[0:1], off offset:-8
	global_load_b128 v[30:33], v[2:3], off offset:-8
	v_add_co_u32 v0, vcc_lo, 0x80, v0
	v_add_co_ci_u32_e32 v1, vcc_lo, 0, v1, vcc_lo
	v_add_co_u32 v2, vcc_lo, 0x80, v2
	v_add_co_ci_u32_e32 v3, vcc_lo, 0, v3, vcc_lo
	s_add_i32 s19, s19, 8
	s_waitcnt vmcnt(1)
	ds_store_b128 v24, v[26:29]
	s_waitcnt vmcnt(0)
	ds_store_b128 v25, v[30:33]
	s_waitcnt lgkmcnt(0)
	s_barrier
	buffer_gl0_inv
	ds_load_b128 v[26:29], v23
	ds_load_b128 v[30:33], v22
	ds_load_b128 v[34:37], v22 offset:256
	ds_load_b128 v[38:41], v23 offset:2048
	;; [unrolled: 1-line block ×13, first 2 shown]
	s_cmp_ge_i32 s19, s17
	s_waitcnt lgkmcnt(13)
	v_mul_f64 v[86:87], v[28:29], v[32:33]
	v_mul_f64 v[88:89], v[26:27], v[32:33]
	s_waitcnt lgkmcnt(12)
	v_mul_f64 v[90:91], v[28:29], v[36:37]
	v_mul_f64 v[92:93], v[26:27], v[36:37]
	;; [unrolled: 3-line block ×3, first 2 shown]
	v_mul_f64 v[96:97], v[40:41], v[36:37]
	v_mul_f64 v[36:37], v[38:39], v[36:37]
	s_waitcnt lgkmcnt(8)
	v_mul_f64 v[98:99], v[44:45], v[52:53]
	v_mul_f64 v[100:101], v[42:43], v[52:53]
	s_waitcnt lgkmcnt(7)
	v_mul_f64 v[102:103], v[44:45], v[56:57]
	v_mul_f64 v[104:105], v[42:43], v[56:57]
	;; [unrolled: 1-line block ×6, first 2 shown]
	s_waitcnt lgkmcnt(3)
	v_mul_f64 v[112:113], v[58:59], v[72:73]
	s_waitcnt lgkmcnt(2)
	v_mul_f64 v[114:115], v[76:77], v[68:69]
	v_mul_f64 v[116:117], v[76:77], v[72:73]
	v_fma_f64 v[86:87], v[26:27], v[30:31], -v[86:87]
	v_fma_f64 v[88:89], v[28:29], v[30:31], v[88:89]
	v_fma_f64 v[90:91], v[26:27], v[34:35], -v[90:91]
	v_fma_f64 v[92:93], v[28:29], v[34:35], v[92:93]
	;; [unrolled: 2-line block ×4, first 2 shown]
	v_mul_f64 v[36:37], v[60:61], v[68:69]
	v_mul_f64 v[40:41], v[58:59], v[68:69]
	;; [unrolled: 1-line block ×5, first 2 shown]
	v_fma_f64 v[98:99], v[42:43], v[50:51], -v[98:99]
	v_fma_f64 v[100:101], v[44:45], v[50:51], v[100:101]
	v_fma_f64 v[42:43], v[42:43], v[54:55], -v[102:103]
	v_fma_f64 v[44:45], v[44:45], v[54:55], v[104:105]
	;; [unrolled: 2-line block ×4, first 2 shown]
	ds_load_b128 v[26:29], v22 offset:1792
	ds_load_b128 v[30:33], v22 offset:2048
	s_waitcnt lgkmcnt(2)
	v_mul_f64 v[56:57], v[64:65], v[84:85]
	v_add_f64 v[16:17], v[16:17], v[86:87]
	v_add_f64 v[18:19], v[18:19], v[88:89]
	v_add_f64 v[12:13], v[12:13], v[90:91]
	v_add_f64 v[14:15], v[14:15], v[92:93]
	v_add_f64 v[52:53], v[8:9], v[94:95]
	v_add_f64 v[54:55], v[10:11], v[110:111]
	v_add_f64 v[38:39], v[4:5], v[38:39]
	v_add_f64 v[34:35], v[6:7], v[34:35]
	v_mul_f64 v[86:87], v[62:63], v[84:85]
	s_waitcnt lgkmcnt(1)
	v_mul_f64 v[88:89], v[64:65], v[28:29]
	v_mul_f64 v[90:91], v[62:63], v[28:29]
	;; [unrolled: 1-line block ×6, first 2 shown]
	v_fma_f64 v[104:105], v[58:59], v[66:67], -v[36:37]
	v_fma_f64 v[106:107], v[60:61], v[66:67], v[40:41]
	v_fma_f64 v[58:59], v[58:59], v[70:71], -v[96:97]
	v_fma_f64 v[60:61], v[60:61], v[70:71], v[112:113]
	;; [unrolled: 2-line block ×4, first 2 shown]
	ds_load_b128 v[4:7], v22 offset:2304
	ds_load_b128 v[8:11], v23 offset:64
	v_fma_f64 v[56:57], v[62:63], v[82:83], -v[56:57]
	v_add_f64 v[72:73], v[16:17], v[98:99]
	v_add_f64 v[74:75], v[18:19], v[100:101]
	;; [unrolled: 1-line block ×8, first 2 shown]
	ds_load_b128 v[12:15], v23 offset:2112
	ds_load_b128 v[16:19], v23 offset:80
	;; [unrolled: 1-line block ×4, first 2 shown]
	s_waitcnt lgkmcnt(4)
	v_mul_f64 v[54:55], v[10:11], v[32:33]
	v_mul_f64 v[76:77], v[8:9], v[32:33]
	;; [unrolled: 1-line block ×4, first 2 shown]
	v_fma_f64 v[86:87], v[64:65], v[82:83], v[86:87]
	v_fma_f64 v[62:63], v[62:63], v[26:27], -v[88:89]
	v_fma_f64 v[64:65], v[64:65], v[26:27], v[90:91]
	v_fma_f64 v[88:89], v[78:79], v[82:83], -v[92:93]
	;; [unrolled: 2-line block ×3, first 2 shown]
	v_fma_f64 v[80:81], v[80:81], v[26:27], v[28:29]
	s_waitcnt lgkmcnt(3)
	v_mul_f64 v[102:103], v[14:15], v[32:33]
	v_mul_f64 v[32:33], v[12:13], v[32:33]
	;; [unrolled: 1-line block ×4, first 2 shown]
	s_waitcnt lgkmcnt(0)
	v_mul_f64 v[90:91], v[18:19], v[40:41]
	v_mul_f64 v[92:93], v[16:17], v[40:41]
	v_add_f64 v[72:73], v[72:73], v[104:105]
	v_add_f64 v[74:75], v[74:75], v[106:107]
	;; [unrolled: 1-line block ×8, first 2 shown]
	ds_load_b128 v[26:29], v22 offset:2816
	ds_load_b128 v[42:45], v22 offset:3072
	;; [unrolled: 1-line block ×4, first 2 shown]
	v_mul_f64 v[104:105], v[36:37], v[40:41]
	v_mul_f64 v[40:41], v[34:35], v[40:41]
	v_fma_f64 v[54:55], v[8:9], v[30:31], -v[54:55]
	v_fma_f64 v[76:77], v[10:11], v[30:31], v[76:77]
	v_fma_f64 v[98:99], v[8:9], v[4:5], -v[98:99]
	v_fma_f64 v[100:101], v[10:11], v[4:5], v[100:101]
	s_waitcnt lgkmcnt(3)
	v_mul_f64 v[94:95], v[18:19], v[28:29]
	v_mul_f64 v[96:97], v[16:17], v[28:29]
	;; [unrolled: 1-line block ×4, first 2 shown]
	v_fma_f64 v[102:103], v[12:13], v[30:31], -v[102:103]
	v_fma_f64 v[32:33], v[14:15], v[30:31], v[32:33]
	v_fma_f64 v[108:109], v[12:13], v[4:5], -v[108:109]
	v_fma_f64 v[112:113], v[14:15], v[4:5], v[6:7]
	ds_load_b128 v[4:7], v23 offset:2144
	ds_load_b128 v[8:11], v23 offset:112
	;; [unrolled: 1-line block ×4, first 2 shown]
	v_add_f64 v[56:57], v[72:73], v[56:57]
	v_add_f64 v[72:73], v[74:75], v[86:87]
	;; [unrolled: 1-line block ×8, first 2 shown]
	s_waitcnt lgkmcnt(4)
	v_mul_f64 v[70:71], v[52:53], v[44:45]
	v_mul_f64 v[74:75], v[50:51], v[44:45]
	;; [unrolled: 1-line block ×4, first 2 shown]
	s_waitcnt lgkmcnt(3)
	v_mul_f64 v[82:83], v[6:7], v[44:45]
	v_mul_f64 v[44:45], v[4:5], v[44:45]
	;; [unrolled: 1-line block ×4, first 2 shown]
	v_fma_f64 v[86:87], v[16:17], v[38:39], -v[90:91]
	v_fma_f64 v[88:89], v[18:19], v[38:39], v[92:93]
	v_fma_f64 v[90:91], v[16:17], v[26:27], -v[94:95]
	v_fma_f64 v[92:93], v[18:19], v[26:27], v[96:97]
	;; [unrolled: 2-line block ×4, first 2 shown]
	ds_load_b128 v[16:19], v22 offset:3840
	s_waitcnt lgkmcnt(0)
	s_barrier
	buffer_gl0_inv
	v_add_f64 v[36:37], v[56:57], v[54:55]
	v_add_f64 v[40:41], v[72:73], v[76:77]
	;; [unrolled: 1-line block ×8, first 2 shown]
	v_mul_f64 v[64:65], v[10:11], v[30:31]
	v_mul_f64 v[66:67], v[8:9], v[30:31]
	;; [unrolled: 1-line block ×4, first 2 shown]
	v_fma_f64 v[70:71], v[50:51], v[42:43], -v[70:71]
	v_mul_f64 v[68:69], v[10:11], v[18:19]
	v_mul_f64 v[72:73], v[8:9], v[18:19]
	;; [unrolled: 1-line block ×4, first 2 shown]
	v_fma_f64 v[74:75], v[52:53], v[42:43], v[74:75]
	v_fma_f64 v[50:51], v[50:51], v[46:47], -v[78:79]
	v_fma_f64 v[52:53], v[52:53], v[46:47], v[80:81]
	v_fma_f64 v[78:79], v[4:5], v[42:43], -v[82:83]
	;; [unrolled: 2-line block ×3, first 2 shown]
	v_fma_f64 v[6:7], v[6:7], v[46:47], v[48:49]
	v_add_f64 v[36:37], v[36:37], v[86:87]
	v_add_f64 v[40:41], v[40:41], v[88:89]
	;; [unrolled: 1-line block ×8, first 2 shown]
	v_fma_f64 v[38:39], v[8:9], v[28:29], -v[64:65]
	v_fma_f64 v[54:55], v[10:11], v[28:29], v[66:67]
	v_fma_f64 v[56:57], v[12:13], v[28:29], -v[76:77]
	v_fma_f64 v[28:29], v[14:15], v[28:29], v[30:31]
	;; [unrolled: 2-line block ×4, first 2 shown]
	v_add_f64 v[12:13], v[36:37], v[70:71]
	v_add_f64 v[14:15], v[40:41], v[74:75]
	v_add_f64 v[36:37], v[44:45], v[50:51]
	v_add_f64 v[40:41], v[46:47], v[52:53]
	v_add_f64 v[44:45], v[48:49], v[78:79]
	v_add_f64 v[32:33], v[32:33], v[42:43]
	v_add_f64 v[4:5], v[34:35], v[4:5]
	v_add_f64 v[6:7], v[26:27], v[6:7]
	v_add_f64 v[16:17], v[12:13], v[38:39]
	v_add_f64 v[18:19], v[14:15], v[54:55]
	v_add_f64 v[12:13], v[36:37], v[8:9]
	v_add_f64 v[14:15], v[40:41], v[10:11]
	v_add_f64 v[8:9], v[44:45], v[56:57]
	v_add_f64 v[10:11], v[32:33], v[28:29]
	v_add_f64 v[4:5], v[4:5], v[30:31]
	v_add_f64 v[6:7], v[6:7], v[58:59]
	s_cbranch_scc0 .LBB725_2
.LBB725_3:
	s_load_b32 s14, s[0:1], 0x60
	v_add_nc_u32_e32 v21, s13, v21
	v_add_nc_u32_e32 v0, s12, v20
	s_delay_alu instid0(VALU_DEP_1) | instskip(SKIP_1) | instid1(VALU_DEP_2)
	v_cmp_le_i32_e64 s0, v21, v0
	v_cmp_gt_i32_e32 vcc_lo, s16, v0
	s_and_b32 s0, s0, vcc_lo
	s_waitcnt lgkmcnt(0)
	v_mad_i64_i32 v[1:2], null, v21, s14, 0
	s_delay_alu instid0(VALU_DEP_1) | instskip(NEXT) | instid1(VALU_DEP_1)
	v_lshlrev_b64 v[1:2], 4, v[1:2]
	v_add_co_u32 v20, s1, s2, v1
	s_delay_alu instid0(VALU_DEP_1)
	v_add_co_ci_u32_e64 v22, s1, s3, v2, s1
	s_and_saveexec_b32 s1, s0
	s_cbranch_execz .LBB725_5
; %bb.4:
	v_ashrrev_i32_e32 v1, 31, v0
	v_mul_f64 v[27:28], s[6:7], v[18:19]
	v_mul_f64 v[18:19], s[4:5], v[18:19]
	s_delay_alu instid0(VALU_DEP_3) | instskip(NEXT) | instid1(VALU_DEP_1)
	v_lshlrev_b64 v[1:2], 4, v[0:1]
	v_add_co_u32 v1, s0, v20, v1
	s_delay_alu instid0(VALU_DEP_1)
	v_add_co_ci_u32_e64 v2, s0, v22, v2, s0
	global_load_b128 v[23:26], v[1:2], off
	v_fma_f64 v[27:28], s[4:5], v[16:17], -v[27:28]
	v_fma_f64 v[18:19], s[6:7], v[16:17], v[18:19]
	s_waitcnt vmcnt(0)
	v_mul_f64 v[29:30], s[10:11], v[25:26]
	v_mul_f64 v[25:26], s[8:9], v[25:26]
	s_delay_alu instid0(VALU_DEP_2) | instskip(NEXT) | instid1(VALU_DEP_2)
	v_fma_f64 v[16:17], s[8:9], v[23:24], -v[29:30]
	v_fma_f64 v[23:24], s[10:11], v[23:24], v[25:26]
	s_delay_alu instid0(VALU_DEP_2) | instskip(NEXT) | instid1(VALU_DEP_2)
	v_add_f64 v[16:17], v[27:28], v[16:17]
	v_add_f64 v[18:19], v[18:19], v[23:24]
	global_store_b128 v[1:2], v[16:19], off
.LBB725_5:
	s_or_b32 exec_lo, exec_lo, s1
	v_add_nc_u32_e32 v2, 16, v0
	s_delay_alu instid0(VALU_DEP_1) | instskip(SKIP_1) | instid1(VALU_DEP_1)
	v_cmp_le_i32_e64 s1, v21, v2
	v_cmp_gt_i32_e64 s0, s16, v2
	s_and_b32 s1, s1, s0
	s_delay_alu instid0(SALU_CYCLE_1)
	s_and_saveexec_b32 s12, s1
	s_cbranch_execz .LBB725_7
; %bb.6:
	v_ashrrev_i32_e32 v3, 31, v2
	v_mul_f64 v[25:26], s[6:7], v[14:15]
	v_mul_f64 v[14:15], s[4:5], v[14:15]
	s_delay_alu instid0(VALU_DEP_3) | instskip(NEXT) | instid1(VALU_DEP_1)
	v_lshlrev_b64 v[16:17], 4, v[2:3]
	v_add_co_u32 v23, s1, v20, v16
	s_delay_alu instid0(VALU_DEP_1)
	v_add_co_ci_u32_e64 v24, s1, v22, v17, s1
	global_load_b128 v[16:19], v[23:24], off
	v_fma_f64 v[25:26], s[4:5], v[12:13], -v[25:26]
	v_fma_f64 v[14:15], s[6:7], v[12:13], v[14:15]
	s_waitcnt vmcnt(0)
	v_mul_f64 v[27:28], s[10:11], v[18:19]
	v_mul_f64 v[18:19], s[8:9], v[18:19]
	s_delay_alu instid0(VALU_DEP_2) | instskip(NEXT) | instid1(VALU_DEP_2)
	v_fma_f64 v[12:13], s[8:9], v[16:17], -v[27:28]
	v_fma_f64 v[16:17], s[10:11], v[16:17], v[18:19]
	s_delay_alu instid0(VALU_DEP_2) | instskip(NEXT) | instid1(VALU_DEP_2)
	v_add_f64 v[12:13], v[25:26], v[12:13]
	v_add_f64 v[14:15], v[14:15], v[16:17]
	global_store_b128 v[23:24], v[12:15], off
.LBB725_7:
	s_or_b32 exec_lo, exec_lo, s12
	v_add_nc_u32_e32 v3, 16, v21
	s_delay_alu instid0(VALU_DEP_1) | instskip(SKIP_1) | instid1(VALU_DEP_2)
	v_mad_i64_i32 v[12:13], null, v3, s14, 0
	v_cmp_le_i32_e64 s1, v3, v0
	v_lshlrev_b64 v[12:13], 4, v[12:13]
	s_delay_alu instid0(VALU_DEP_1) | instskip(NEXT) | instid1(VALU_DEP_1)
	v_add_co_u32 v12, s2, s2, v12
	v_add_co_ci_u32_e64 v13, s2, s3, v13, s2
	s_delay_alu instid0(VALU_DEP_4) | instskip(NEXT) | instid1(SALU_CYCLE_1)
	s_and_b32 s2, s1, vcc_lo
	s_and_saveexec_b32 s1, s2
	s_cbranch_execz .LBB725_9
; %bb.8:
	v_ashrrev_i32_e32 v1, 31, v0
	v_mul_f64 v[18:19], s[6:7], v[10:11]
	v_mul_f64 v[10:11], s[4:5], v[10:11]
	s_delay_alu instid0(VALU_DEP_3) | instskip(NEXT) | instid1(VALU_DEP_1)
	v_lshlrev_b64 v[0:1], 4, v[0:1]
	v_add_co_u32 v0, vcc_lo, v12, v0
	s_delay_alu instid0(VALU_DEP_2)
	v_add_co_ci_u32_e32 v1, vcc_lo, v13, v1, vcc_lo
	global_load_b128 v[14:17], v[0:1], off
	v_fma_f64 v[18:19], s[4:5], v[8:9], -v[18:19]
	v_fma_f64 v[10:11], s[6:7], v[8:9], v[10:11]
	s_waitcnt vmcnt(0)
	v_mul_f64 v[20:21], s[10:11], v[16:17]
	v_mul_f64 v[16:17], s[8:9], v[16:17]
	s_delay_alu instid0(VALU_DEP_2) | instskip(NEXT) | instid1(VALU_DEP_2)
	v_fma_f64 v[8:9], s[8:9], v[14:15], -v[20:21]
	v_fma_f64 v[14:15], s[10:11], v[14:15], v[16:17]
	s_delay_alu instid0(VALU_DEP_2) | instskip(NEXT) | instid1(VALU_DEP_2)
	v_add_f64 v[8:9], v[18:19], v[8:9]
	v_add_f64 v[10:11], v[10:11], v[14:15]
	global_store_b128 v[0:1], v[8:11], off
.LBB725_9:
	s_or_b32 exec_lo, exec_lo, s1
	v_cmp_le_i32_e32 vcc_lo, v3, v2
	s_and_b32 s0, vcc_lo, s0
	s_delay_alu instid0(SALU_CYCLE_1)
	s_and_saveexec_b32 s1, s0
	s_cbranch_execz .LBB725_11
; %bb.10:
	v_ashrrev_i32_e32 v3, 31, v2
	v_mul_f64 v[10:11], s[6:7], v[6:7]
	v_mul_f64 v[6:7], s[4:5], v[6:7]
	s_delay_alu instid0(VALU_DEP_3) | instskip(NEXT) | instid1(VALU_DEP_1)
	v_lshlrev_b64 v[0:1], 4, v[2:3]
	v_add_co_u32 v8, vcc_lo, v12, v0
	s_delay_alu instid0(VALU_DEP_2)
	v_add_co_ci_u32_e32 v9, vcc_lo, v13, v1, vcc_lo
	global_load_b128 v[0:3], v[8:9], off
	v_fma_f64 v[10:11], s[4:5], v[4:5], -v[10:11]
	v_fma_f64 v[4:5], s[6:7], v[4:5], v[6:7]
	s_waitcnt vmcnt(0)
	v_mul_f64 v[12:13], s[10:11], v[2:3]
	v_mul_f64 v[2:3], s[8:9], v[2:3]
	s_delay_alu instid0(VALU_DEP_2) | instskip(NEXT) | instid1(VALU_DEP_2)
	v_fma_f64 v[6:7], s[8:9], v[0:1], -v[12:13]
	v_fma_f64 v[2:3], s[10:11], v[0:1], v[2:3]
	s_delay_alu instid0(VALU_DEP_2) | instskip(NEXT) | instid1(VALU_DEP_2)
	v_add_f64 v[0:1], v[10:11], v[6:7]
	v_add_f64 v[2:3], v[4:5], v[2:3]
	global_store_b128 v[8:9], v[0:3], off
.LBB725_11:
	s_nop 0
	s_sendmsg sendmsg(MSG_DEALLOC_VGPRS)
	s_endpgm
	.section	.rodata,"a",@progbits
	.p2align	6, 0x0
	.amdhsa_kernel _ZL37rocblas_syrkx_herkx_restricted_kernelIi19rocblas_complex_numIdELi16ELi32ELi8ELb0ELb0ELc84ELc76EKPKS1_KPS1_EviT_T0_PT8_S7_lSA_S7_lS8_PT9_S7_li
		.amdhsa_group_segment_fixed_size 8192
		.amdhsa_private_segment_fixed_size 0
		.amdhsa_kernarg_size 116
		.amdhsa_user_sgpr_count 13
		.amdhsa_user_sgpr_dispatch_ptr 0
		.amdhsa_user_sgpr_queue_ptr 0
		.amdhsa_user_sgpr_kernarg_segment_ptr 1
		.amdhsa_user_sgpr_dispatch_id 0
		.amdhsa_user_sgpr_private_segment_size 0
		.amdhsa_wavefront_size32 1
		.amdhsa_uses_dynamic_stack 0
		.amdhsa_enable_private_segment 0
		.amdhsa_system_sgpr_workgroup_id_x 1
		.amdhsa_system_sgpr_workgroup_id_y 1
		.amdhsa_system_sgpr_workgroup_id_z 1
		.amdhsa_system_sgpr_workgroup_info 0
		.amdhsa_system_vgpr_workitem_id 1
		.amdhsa_next_free_vgpr 118
		.amdhsa_next_free_sgpr 25
		.amdhsa_reserve_vcc 1
		.amdhsa_float_round_mode_32 0
		.amdhsa_float_round_mode_16_64 0
		.amdhsa_float_denorm_mode_32 3
		.amdhsa_float_denorm_mode_16_64 3
		.amdhsa_dx10_clamp 1
		.amdhsa_ieee_mode 1
		.amdhsa_fp16_overflow 0
		.amdhsa_workgroup_processor_mode 1
		.amdhsa_memory_ordered 1
		.amdhsa_forward_progress 0
		.amdhsa_shared_vgpr_count 0
		.amdhsa_exception_fp_ieee_invalid_op 0
		.amdhsa_exception_fp_denorm_src 0
		.amdhsa_exception_fp_ieee_div_zero 0
		.amdhsa_exception_fp_ieee_overflow 0
		.amdhsa_exception_fp_ieee_underflow 0
		.amdhsa_exception_fp_ieee_inexact 0
		.amdhsa_exception_int_div_zero 0
	.end_amdhsa_kernel
	.section	.text._ZL37rocblas_syrkx_herkx_restricted_kernelIi19rocblas_complex_numIdELi16ELi32ELi8ELb0ELb0ELc84ELc76EKPKS1_KPS1_EviT_T0_PT8_S7_lSA_S7_lS8_PT9_S7_li,"axG",@progbits,_ZL37rocblas_syrkx_herkx_restricted_kernelIi19rocblas_complex_numIdELi16ELi32ELi8ELb0ELb0ELc84ELc76EKPKS1_KPS1_EviT_T0_PT8_S7_lSA_S7_lS8_PT9_S7_li,comdat
.Lfunc_end725:
	.size	_ZL37rocblas_syrkx_herkx_restricted_kernelIi19rocblas_complex_numIdELi16ELi32ELi8ELb0ELb0ELc84ELc76EKPKS1_KPS1_EviT_T0_PT8_S7_lSA_S7_lS8_PT9_S7_li, .Lfunc_end725-_ZL37rocblas_syrkx_herkx_restricted_kernelIi19rocblas_complex_numIdELi16ELi32ELi8ELb0ELb0ELc84ELc76EKPKS1_KPS1_EviT_T0_PT8_S7_lSA_S7_lS8_PT9_S7_li
                                        ; -- End function
	.section	.AMDGPU.csdata,"",@progbits
; Kernel info:
; codeLenInByte = 3272
; NumSgprs: 27
; NumVgprs: 118
; ScratchSize: 0
; MemoryBound: 0
; FloatMode: 240
; IeeeMode: 1
; LDSByteSize: 8192 bytes/workgroup (compile time only)
; SGPRBlocks: 3
; VGPRBlocks: 14
; NumSGPRsForWavesPerEU: 27
; NumVGPRsForWavesPerEU: 118
; Occupancy: 12
; WaveLimiterHint : 1
; COMPUTE_PGM_RSRC2:SCRATCH_EN: 0
; COMPUTE_PGM_RSRC2:USER_SGPR: 13
; COMPUTE_PGM_RSRC2:TRAP_HANDLER: 0
; COMPUTE_PGM_RSRC2:TGID_X_EN: 1
; COMPUTE_PGM_RSRC2:TGID_Y_EN: 1
; COMPUTE_PGM_RSRC2:TGID_Z_EN: 1
; COMPUTE_PGM_RSRC2:TIDIG_COMP_CNT: 1
	.section	.text._ZL37rocblas_syrkx_herkx_restricted_kernelIi19rocblas_complex_numIdELi16ELi32ELi8ELb0ELb0ELc67ELc76EKPKS1_KPS1_EviT_T0_PT8_S7_lSA_S7_lS8_PT9_S7_li,"axG",@progbits,_ZL37rocblas_syrkx_herkx_restricted_kernelIi19rocblas_complex_numIdELi16ELi32ELi8ELb0ELb0ELc67ELc76EKPKS1_KPS1_EviT_T0_PT8_S7_lSA_S7_lS8_PT9_S7_li,comdat
	.globl	_ZL37rocblas_syrkx_herkx_restricted_kernelIi19rocblas_complex_numIdELi16ELi32ELi8ELb0ELb0ELc67ELc76EKPKS1_KPS1_EviT_T0_PT8_S7_lSA_S7_lS8_PT9_S7_li ; -- Begin function _ZL37rocblas_syrkx_herkx_restricted_kernelIi19rocblas_complex_numIdELi16ELi32ELi8ELb0ELb0ELc67ELc76EKPKS1_KPS1_EviT_T0_PT8_S7_lSA_S7_lS8_PT9_S7_li
	.p2align	8
	.type	_ZL37rocblas_syrkx_herkx_restricted_kernelIi19rocblas_complex_numIdELi16ELi32ELi8ELb0ELb0ELc67ELc76EKPKS1_KPS1_EviT_T0_PT8_S7_lSA_S7_lS8_PT9_S7_li,@function
_ZL37rocblas_syrkx_herkx_restricted_kernelIi19rocblas_complex_numIdELi16ELi32ELi8ELb0ELb0ELc67ELc76EKPKS1_KPS1_EviT_T0_PT8_S7_lSA_S7_lS8_PT9_S7_li: ; @_ZL37rocblas_syrkx_herkx_restricted_kernelIi19rocblas_complex_numIdELi16ELi32ELi8ELb0ELb0ELc67ELc76EKPKS1_KPS1_EviT_T0_PT8_S7_lSA_S7_lS8_PT9_S7_li
; %bb.0:
	s_load_b64 s[2:3], s[0:1], 0x58
	s_mov_b32 s18, s15
	s_mov_b32 s19, 0
	s_clause 0x1
	s_load_b64 s[16:17], s[0:1], 0x0
	s_load_b128 s[4:7], s[0:1], 0x8
	s_lshl_b64 s[20:21], s[18:19], 3
	v_mov_b32_e32 v16, 0
	v_dual_mov_b32 v17, 0 :: v_dual_and_b32 v20, 0x3ff, v0
	v_bfe_u32 v21, v0, 10, 10
	s_delay_alu instid0(VALU_DEP_3) | instskip(NEXT) | instid1(VALU_DEP_3)
	v_mov_b32_e32 v12, v16
	v_dual_mov_b32 v14, v16 :: v_dual_mov_b32 v15, v17
	v_dual_mov_b32 v19, v17 :: v_dual_mov_b32 v18, v16
	v_dual_mov_b32 v13, v17 :: v_dual_mov_b32 v8, v16
	v_dual_mov_b32 v9, v17 :: v_dual_mov_b32 v10, v16
	v_dual_mov_b32 v11, v17 :: v_dual_mov_b32 v4, v16
	v_mov_b32_e32 v5, v17
	s_waitcnt lgkmcnt(0)
	s_add_u32 s2, s2, s20
	s_addc_u32 s3, s3, s21
	s_clause 0x1
	s_load_b64 s[22:23], s[0:1], 0x18
	s_load_b128 s[8:11], s[0:1], 0x48
	s_load_b64 s[2:3], s[2:3], 0x0
	v_dual_mov_b32 v6, v16 :: v_dual_mov_b32 v7, v17
	s_lshl_b32 s12, s13, 5
	s_lshl_b32 s13, s14, 5
	s_cmp_lt_i32 s17, 1
	s_cbranch_scc1 .LBB726_3
; %bb.1:
	s_clause 0x2
	s_load_b64 s[14:15], s[0:1], 0x30
	s_load_b32 s18, s[0:1], 0x20
	s_load_b32 s24, s[0:1], 0x38
	v_lshl_add_u32 v2, v21, 4, v20
	v_dual_mov_b32 v1, 0 :: v_dual_and_b32 v0, 7, v20
	s_waitcnt lgkmcnt(0)
	s_add_u32 s22, s22, s20
	v_lshlrev_b32_e32 v22, 4, v20
	v_and_b32_e32 v10, 31, v2
	s_addc_u32 s23, s23, s21
	v_lshrrev_b32_e32 v11, 3, v2
	v_lshrrev_b32_e32 v2, 5, v2
	s_delay_alu instid0(VALU_DEP_3)
	v_dual_mov_b32 v3, v1 :: v_dual_add_nc_u32 v6, s12, v10
	s_load_b64 s[22:23], s[22:23], 0x0
	v_lshl_add_u32 v23, v21, 7, 0x1000
	s_add_u32 s14, s14, s20
	s_addc_u32 s15, s15, s21
	v_mad_i64_i32 v[4:5], null, s18, v6, v[2:3]
	s_load_b64 s[14:15], s[14:15], 0x0
	v_dual_mov_b32 v6, 0 :: v_dual_lshlrev_b32 v3, 4, v0
	v_dual_mov_b32 v7, 0 :: v_dual_add_nc_u32 v12, s13, v11
	v_lshlrev_b32_e32 v10, 4, v10
	s_delay_alu instid0(VALU_DEP_3) | instskip(NEXT) | instid1(VALU_DEP_3)
	v_lshl_or_b32 v3, v11, 7, v3
	v_mov_b32_e32 v15, v7
	s_delay_alu instid0(VALU_DEP_4) | instskip(SKIP_1) | instid1(VALU_DEP_4)
	v_mad_i64_i32 v[8:9], null, s24, v12, v[0:1]
	v_lshlrev_b64 v[0:1], 4, v[4:5]
	v_dual_mov_b32 v4, v6 :: v_dual_add_nc_u32 v25, 0x1000, v3
	v_lshl_or_b32 v24, v2, 9, v10
	v_dual_mov_b32 v14, v6 :: v_dual_mov_b32 v13, v7
	v_lshlrev_b64 v[2:3], 4, v[8:9]
	s_waitcnt lgkmcnt(0)
	v_add_co_u32 v0, vcc_lo, v0, s22
	v_add_co_ci_u32_e32 v1, vcc_lo, s23, v1, vcc_lo
	v_mov_b32_e32 v9, v7
	s_delay_alu instid0(VALU_DEP_4)
	v_add_co_u32 v2, vcc_lo, v2, s14
	v_add_co_ci_u32_e32 v3, vcc_lo, s15, v3, vcc_lo
	v_add_co_u32 v0, vcc_lo, v0, 8
	v_mov_b32_e32 v8, v6
	v_add_co_ci_u32_e32 v1, vcc_lo, 0, v1, vcc_lo
	v_add_co_u32 v2, vcc_lo, v2, 8
	v_dual_mov_b32 v12, v6 :: v_dual_mov_b32 v19, v7
	v_dual_mov_b32 v18, v6 :: v_dual_mov_b32 v17, v7
	v_mov_b32_e32 v5, v7
	v_add_co_ci_u32_e32 v3, vcc_lo, 0, v3, vcc_lo
	v_dual_mov_b32 v11, v7 :: v_dual_mov_b32 v10, v6
	v_mov_b32_e32 v16, v6
.LBB726_2:                              ; =>This Inner Loop Header: Depth=1
	global_load_b128 v[26:29], v[0:1], off offset:-8
	global_load_b128 v[30:33], v[2:3], off offset:-8
	v_add_co_u32 v0, vcc_lo, 0x80, v0
	v_add_co_ci_u32_e32 v1, vcc_lo, 0, v1, vcc_lo
	v_add_co_u32 v2, vcc_lo, 0x80, v2
	v_add_co_ci_u32_e32 v3, vcc_lo, 0, v3, vcc_lo
	s_add_i32 s19, s19, 8
	s_waitcnt vmcnt(1)
	ds_store_b128 v24, v[26:29]
	s_waitcnt vmcnt(0)
	ds_store_b128 v25, v[30:33]
	s_waitcnt lgkmcnt(0)
	s_barrier
	buffer_gl0_inv
	ds_load_b128 v[26:29], v23
	ds_load_b128 v[30:33], v22
	ds_load_b128 v[34:37], v22 offset:256
	ds_load_b128 v[38:41], v23 offset:2048
	;; [unrolled: 1-line block ×13, first 2 shown]
	s_cmp_ge_i32 s19, s17
	s_waitcnt lgkmcnt(13)
	v_mul_f64 v[86:87], v[28:29], v[32:33]
	v_mul_f64 v[88:89], v[26:27], v[32:33]
	s_waitcnt lgkmcnt(12)
	v_mul_f64 v[90:91], v[28:29], v[36:37]
	v_mul_f64 v[92:93], v[26:27], v[36:37]
	s_waitcnt lgkmcnt(11)
	v_mul_f64 v[94:95], v[40:41], v[32:33]
	v_mul_f64 v[32:33], v[38:39], v[32:33]
	v_mul_f64 v[96:97], v[40:41], v[36:37]
	v_mul_f64 v[36:37], v[38:39], v[36:37]
	s_waitcnt lgkmcnt(8)
	v_mul_f64 v[98:99], v[44:45], v[52:53]
	v_mul_f64 v[100:101], v[42:43], v[52:53]
	s_waitcnt lgkmcnt(7)
	v_mul_f64 v[102:103], v[44:45], v[56:57]
	v_mul_f64 v[104:105], v[42:43], v[56:57]
	v_mul_f64 v[106:107], v[48:49], v[52:53]
	v_mul_f64 v[52:53], v[46:47], v[52:53]
	v_mul_f64 v[108:109], v[48:49], v[56:57]
	v_mul_f64 v[56:57], v[46:47], v[56:57]
	s_waitcnt lgkmcnt(3)
	v_mul_f64 v[112:113], v[58:59], v[72:73]
	s_waitcnt lgkmcnt(2)
	v_mul_f64 v[114:115], v[76:77], v[68:69]
	v_mul_f64 v[116:117], v[76:77], v[72:73]
	v_fma_f64 v[86:87], v[26:27], v[30:31], -v[86:87]
	v_fma_f64 v[88:89], v[28:29], v[30:31], v[88:89]
	v_fma_f64 v[90:91], v[26:27], v[34:35], -v[90:91]
	v_fma_f64 v[92:93], v[28:29], v[34:35], v[92:93]
	;; [unrolled: 2-line block ×4, first 2 shown]
	v_mul_f64 v[36:37], v[60:61], v[68:69]
	v_mul_f64 v[40:41], v[58:59], v[68:69]
	;; [unrolled: 1-line block ×5, first 2 shown]
	v_fma_f64 v[98:99], v[42:43], v[50:51], -v[98:99]
	v_fma_f64 v[100:101], v[44:45], v[50:51], v[100:101]
	v_fma_f64 v[42:43], v[42:43], v[54:55], -v[102:103]
	v_fma_f64 v[44:45], v[44:45], v[54:55], v[104:105]
	;; [unrolled: 2-line block ×4, first 2 shown]
	ds_load_b128 v[26:29], v22 offset:1792
	ds_load_b128 v[30:33], v22 offset:2048
	s_waitcnt lgkmcnt(2)
	v_mul_f64 v[56:57], v[64:65], v[84:85]
	v_add_f64 v[16:17], v[16:17], v[86:87]
	v_add_f64 v[18:19], v[18:19], v[88:89]
	;; [unrolled: 1-line block ×8, first 2 shown]
	v_mul_f64 v[86:87], v[62:63], v[84:85]
	s_waitcnt lgkmcnt(1)
	v_mul_f64 v[88:89], v[64:65], v[28:29]
	v_mul_f64 v[90:91], v[62:63], v[28:29]
	;; [unrolled: 1-line block ×6, first 2 shown]
	v_fma_f64 v[104:105], v[58:59], v[66:67], -v[36:37]
	v_fma_f64 v[106:107], v[60:61], v[66:67], v[40:41]
	v_fma_f64 v[58:59], v[58:59], v[70:71], -v[96:97]
	v_fma_f64 v[60:61], v[60:61], v[70:71], v[112:113]
	;; [unrolled: 2-line block ×4, first 2 shown]
	ds_load_b128 v[4:7], v22 offset:2304
	ds_load_b128 v[8:11], v23 offset:64
	v_fma_f64 v[56:57], v[62:63], v[82:83], -v[56:57]
	v_add_f64 v[72:73], v[16:17], v[98:99]
	v_add_f64 v[74:75], v[18:19], v[100:101]
	;; [unrolled: 1-line block ×8, first 2 shown]
	ds_load_b128 v[12:15], v23 offset:2112
	ds_load_b128 v[16:19], v23 offset:80
	;; [unrolled: 1-line block ×4, first 2 shown]
	s_waitcnt lgkmcnt(4)
	v_mul_f64 v[54:55], v[10:11], v[32:33]
	v_mul_f64 v[76:77], v[8:9], v[32:33]
	;; [unrolled: 1-line block ×4, first 2 shown]
	v_fma_f64 v[86:87], v[64:65], v[82:83], v[86:87]
	v_fma_f64 v[62:63], v[62:63], v[26:27], -v[88:89]
	v_fma_f64 v[64:65], v[64:65], v[26:27], v[90:91]
	v_fma_f64 v[88:89], v[78:79], v[82:83], -v[92:93]
	;; [unrolled: 2-line block ×3, first 2 shown]
	v_fma_f64 v[80:81], v[80:81], v[26:27], v[28:29]
	s_waitcnt lgkmcnt(3)
	v_mul_f64 v[102:103], v[14:15], v[32:33]
	v_mul_f64 v[32:33], v[12:13], v[32:33]
	;; [unrolled: 1-line block ×4, first 2 shown]
	s_waitcnt lgkmcnt(0)
	v_mul_f64 v[90:91], v[18:19], v[40:41]
	v_mul_f64 v[92:93], v[16:17], v[40:41]
	v_add_f64 v[72:73], v[72:73], v[104:105]
	v_add_f64 v[74:75], v[74:75], v[106:107]
	;; [unrolled: 1-line block ×8, first 2 shown]
	ds_load_b128 v[26:29], v22 offset:2816
	ds_load_b128 v[42:45], v22 offset:3072
	;; [unrolled: 1-line block ×4, first 2 shown]
	v_mul_f64 v[104:105], v[36:37], v[40:41]
	v_mul_f64 v[40:41], v[34:35], v[40:41]
	v_fma_f64 v[54:55], v[8:9], v[30:31], -v[54:55]
	v_fma_f64 v[76:77], v[10:11], v[30:31], v[76:77]
	v_fma_f64 v[98:99], v[8:9], v[4:5], -v[98:99]
	v_fma_f64 v[100:101], v[10:11], v[4:5], v[100:101]
	s_waitcnt lgkmcnt(3)
	v_mul_f64 v[94:95], v[18:19], v[28:29]
	v_mul_f64 v[96:97], v[16:17], v[28:29]
	;; [unrolled: 1-line block ×4, first 2 shown]
	v_fma_f64 v[102:103], v[12:13], v[30:31], -v[102:103]
	v_fma_f64 v[32:33], v[14:15], v[30:31], v[32:33]
	v_fma_f64 v[108:109], v[12:13], v[4:5], -v[108:109]
	v_fma_f64 v[112:113], v[14:15], v[4:5], v[6:7]
	ds_load_b128 v[4:7], v23 offset:2144
	ds_load_b128 v[8:11], v23 offset:112
	;; [unrolled: 1-line block ×4, first 2 shown]
	v_add_f64 v[56:57], v[72:73], v[56:57]
	v_add_f64 v[72:73], v[74:75], v[86:87]
	;; [unrolled: 1-line block ×8, first 2 shown]
	s_waitcnt lgkmcnt(4)
	v_mul_f64 v[70:71], v[52:53], v[44:45]
	v_mul_f64 v[74:75], v[50:51], v[44:45]
	;; [unrolled: 1-line block ×4, first 2 shown]
	s_waitcnt lgkmcnt(3)
	v_mul_f64 v[82:83], v[6:7], v[44:45]
	v_mul_f64 v[44:45], v[4:5], v[44:45]
	;; [unrolled: 1-line block ×4, first 2 shown]
	v_fma_f64 v[86:87], v[16:17], v[38:39], -v[90:91]
	v_fma_f64 v[88:89], v[18:19], v[38:39], v[92:93]
	v_fma_f64 v[90:91], v[16:17], v[26:27], -v[94:95]
	v_fma_f64 v[92:93], v[18:19], v[26:27], v[96:97]
	;; [unrolled: 2-line block ×4, first 2 shown]
	ds_load_b128 v[16:19], v22 offset:3840
	s_waitcnt lgkmcnt(0)
	s_barrier
	buffer_gl0_inv
	v_add_f64 v[36:37], v[56:57], v[54:55]
	v_add_f64 v[40:41], v[72:73], v[76:77]
	;; [unrolled: 1-line block ×8, first 2 shown]
	v_mul_f64 v[64:65], v[10:11], v[30:31]
	v_mul_f64 v[66:67], v[8:9], v[30:31]
	;; [unrolled: 1-line block ×4, first 2 shown]
	v_fma_f64 v[70:71], v[50:51], v[42:43], -v[70:71]
	v_mul_f64 v[68:69], v[10:11], v[18:19]
	v_mul_f64 v[72:73], v[8:9], v[18:19]
	;; [unrolled: 1-line block ×4, first 2 shown]
	v_fma_f64 v[74:75], v[52:53], v[42:43], v[74:75]
	v_fma_f64 v[50:51], v[50:51], v[46:47], -v[78:79]
	v_fma_f64 v[52:53], v[52:53], v[46:47], v[80:81]
	v_fma_f64 v[78:79], v[4:5], v[42:43], -v[82:83]
	;; [unrolled: 2-line block ×3, first 2 shown]
	v_fma_f64 v[6:7], v[6:7], v[46:47], v[48:49]
	v_add_f64 v[36:37], v[36:37], v[86:87]
	v_add_f64 v[40:41], v[40:41], v[88:89]
	v_add_f64 v[44:45], v[54:55], v[90:91]
	v_add_f64 v[46:47], v[56:57], v[92:93]
	v_add_f64 v[48:49], v[58:59], v[94:95]
	v_add_f64 v[32:33], v[32:33], v[38:39]
	v_add_f64 v[34:35], v[60:61], v[34:35]
	v_add_f64 v[26:27], v[62:63], v[26:27]
	v_fma_f64 v[38:39], v[8:9], v[28:29], -v[64:65]
	v_fma_f64 v[54:55], v[10:11], v[28:29], v[66:67]
	v_fma_f64 v[56:57], v[12:13], v[28:29], -v[76:77]
	v_fma_f64 v[28:29], v[14:15], v[28:29], v[30:31]
	;; [unrolled: 2-line block ×4, first 2 shown]
	v_add_f64 v[12:13], v[36:37], v[70:71]
	v_add_f64 v[14:15], v[40:41], v[74:75]
	;; [unrolled: 1-line block ×16, first 2 shown]
	s_cbranch_scc0 .LBB726_2
.LBB726_3:
	s_load_b32 s14, s[0:1], 0x60
	v_add_nc_u32_e32 v21, s13, v21
	v_add_nc_u32_e32 v0, s12, v20
	s_delay_alu instid0(VALU_DEP_1) | instskip(SKIP_1) | instid1(VALU_DEP_2)
	v_cmp_le_i32_e64 s0, v21, v0
	v_cmp_gt_i32_e32 vcc_lo, s16, v0
	s_and_b32 s0, s0, vcc_lo
	s_waitcnt lgkmcnt(0)
	v_mad_i64_i32 v[1:2], null, v21, s14, 0
	s_delay_alu instid0(VALU_DEP_1) | instskip(NEXT) | instid1(VALU_DEP_1)
	v_lshlrev_b64 v[1:2], 4, v[1:2]
	v_add_co_u32 v20, s1, s2, v1
	s_delay_alu instid0(VALU_DEP_1)
	v_add_co_ci_u32_e64 v22, s1, s3, v2, s1
	s_and_saveexec_b32 s1, s0
	s_cbranch_execz .LBB726_5
; %bb.4:
	v_ashrrev_i32_e32 v1, 31, v0
	v_mul_f64 v[27:28], s[6:7], v[18:19]
	v_mul_f64 v[18:19], s[4:5], v[18:19]
	s_delay_alu instid0(VALU_DEP_3) | instskip(NEXT) | instid1(VALU_DEP_1)
	v_lshlrev_b64 v[1:2], 4, v[0:1]
	v_add_co_u32 v1, s0, v20, v1
	s_delay_alu instid0(VALU_DEP_1)
	v_add_co_ci_u32_e64 v2, s0, v22, v2, s0
	global_load_b128 v[23:26], v[1:2], off
	v_fma_f64 v[27:28], s[4:5], v[16:17], -v[27:28]
	v_fma_f64 v[18:19], s[6:7], v[16:17], v[18:19]
	s_waitcnt vmcnt(0)
	v_mul_f64 v[29:30], s[10:11], v[25:26]
	v_mul_f64 v[25:26], s[8:9], v[25:26]
	s_delay_alu instid0(VALU_DEP_2) | instskip(NEXT) | instid1(VALU_DEP_2)
	v_fma_f64 v[16:17], s[8:9], v[23:24], -v[29:30]
	v_fma_f64 v[23:24], s[10:11], v[23:24], v[25:26]
	s_delay_alu instid0(VALU_DEP_2) | instskip(NEXT) | instid1(VALU_DEP_2)
	v_add_f64 v[16:17], v[27:28], v[16:17]
	v_add_f64 v[18:19], v[18:19], v[23:24]
	global_store_b128 v[1:2], v[16:19], off
.LBB726_5:
	s_or_b32 exec_lo, exec_lo, s1
	v_add_nc_u32_e32 v2, 16, v0
	s_delay_alu instid0(VALU_DEP_1) | instskip(SKIP_1) | instid1(VALU_DEP_1)
	v_cmp_le_i32_e64 s1, v21, v2
	v_cmp_gt_i32_e64 s0, s16, v2
	s_and_b32 s1, s1, s0
	s_delay_alu instid0(SALU_CYCLE_1)
	s_and_saveexec_b32 s12, s1
	s_cbranch_execz .LBB726_7
; %bb.6:
	v_ashrrev_i32_e32 v3, 31, v2
	v_mul_f64 v[25:26], s[6:7], v[14:15]
	v_mul_f64 v[14:15], s[4:5], v[14:15]
	s_delay_alu instid0(VALU_DEP_3) | instskip(NEXT) | instid1(VALU_DEP_1)
	v_lshlrev_b64 v[16:17], 4, v[2:3]
	v_add_co_u32 v23, s1, v20, v16
	s_delay_alu instid0(VALU_DEP_1)
	v_add_co_ci_u32_e64 v24, s1, v22, v17, s1
	global_load_b128 v[16:19], v[23:24], off
	v_fma_f64 v[25:26], s[4:5], v[12:13], -v[25:26]
	v_fma_f64 v[14:15], s[6:7], v[12:13], v[14:15]
	s_waitcnt vmcnt(0)
	v_mul_f64 v[27:28], s[10:11], v[18:19]
	v_mul_f64 v[18:19], s[8:9], v[18:19]
	s_delay_alu instid0(VALU_DEP_2) | instskip(NEXT) | instid1(VALU_DEP_2)
	v_fma_f64 v[12:13], s[8:9], v[16:17], -v[27:28]
	v_fma_f64 v[16:17], s[10:11], v[16:17], v[18:19]
	s_delay_alu instid0(VALU_DEP_2) | instskip(NEXT) | instid1(VALU_DEP_2)
	v_add_f64 v[12:13], v[25:26], v[12:13]
	v_add_f64 v[14:15], v[14:15], v[16:17]
	global_store_b128 v[23:24], v[12:15], off
.LBB726_7:
	s_or_b32 exec_lo, exec_lo, s12
	v_add_nc_u32_e32 v3, 16, v21
	s_delay_alu instid0(VALU_DEP_1) | instskip(SKIP_1) | instid1(VALU_DEP_2)
	v_mad_i64_i32 v[12:13], null, v3, s14, 0
	v_cmp_le_i32_e64 s1, v3, v0
	v_lshlrev_b64 v[12:13], 4, v[12:13]
	s_delay_alu instid0(VALU_DEP_1) | instskip(NEXT) | instid1(VALU_DEP_1)
	v_add_co_u32 v12, s2, s2, v12
	v_add_co_ci_u32_e64 v13, s2, s3, v13, s2
	s_delay_alu instid0(VALU_DEP_4) | instskip(NEXT) | instid1(SALU_CYCLE_1)
	s_and_b32 s2, s1, vcc_lo
	s_and_saveexec_b32 s1, s2
	s_cbranch_execz .LBB726_9
; %bb.8:
	v_ashrrev_i32_e32 v1, 31, v0
	v_mul_f64 v[18:19], s[6:7], v[10:11]
	v_mul_f64 v[10:11], s[4:5], v[10:11]
	s_delay_alu instid0(VALU_DEP_3) | instskip(NEXT) | instid1(VALU_DEP_1)
	v_lshlrev_b64 v[0:1], 4, v[0:1]
	v_add_co_u32 v0, vcc_lo, v12, v0
	s_delay_alu instid0(VALU_DEP_2)
	v_add_co_ci_u32_e32 v1, vcc_lo, v13, v1, vcc_lo
	global_load_b128 v[14:17], v[0:1], off
	v_fma_f64 v[18:19], s[4:5], v[8:9], -v[18:19]
	v_fma_f64 v[10:11], s[6:7], v[8:9], v[10:11]
	s_waitcnt vmcnt(0)
	v_mul_f64 v[20:21], s[10:11], v[16:17]
	v_mul_f64 v[16:17], s[8:9], v[16:17]
	s_delay_alu instid0(VALU_DEP_2) | instskip(NEXT) | instid1(VALU_DEP_2)
	v_fma_f64 v[8:9], s[8:9], v[14:15], -v[20:21]
	v_fma_f64 v[14:15], s[10:11], v[14:15], v[16:17]
	s_delay_alu instid0(VALU_DEP_2) | instskip(NEXT) | instid1(VALU_DEP_2)
	v_add_f64 v[8:9], v[18:19], v[8:9]
	v_add_f64 v[10:11], v[10:11], v[14:15]
	global_store_b128 v[0:1], v[8:11], off
.LBB726_9:
	s_or_b32 exec_lo, exec_lo, s1
	v_cmp_le_i32_e32 vcc_lo, v3, v2
	s_and_b32 s0, vcc_lo, s0
	s_delay_alu instid0(SALU_CYCLE_1)
	s_and_saveexec_b32 s1, s0
	s_cbranch_execz .LBB726_11
; %bb.10:
	v_ashrrev_i32_e32 v3, 31, v2
	v_mul_f64 v[10:11], s[6:7], v[6:7]
	v_mul_f64 v[6:7], s[4:5], v[6:7]
	s_delay_alu instid0(VALU_DEP_3) | instskip(NEXT) | instid1(VALU_DEP_1)
	v_lshlrev_b64 v[0:1], 4, v[2:3]
	v_add_co_u32 v8, vcc_lo, v12, v0
	s_delay_alu instid0(VALU_DEP_2)
	v_add_co_ci_u32_e32 v9, vcc_lo, v13, v1, vcc_lo
	global_load_b128 v[0:3], v[8:9], off
	v_fma_f64 v[10:11], s[4:5], v[4:5], -v[10:11]
	v_fma_f64 v[4:5], s[6:7], v[4:5], v[6:7]
	s_waitcnt vmcnt(0)
	v_mul_f64 v[12:13], s[10:11], v[2:3]
	v_mul_f64 v[2:3], s[8:9], v[2:3]
	s_delay_alu instid0(VALU_DEP_2) | instskip(NEXT) | instid1(VALU_DEP_2)
	v_fma_f64 v[6:7], s[8:9], v[0:1], -v[12:13]
	v_fma_f64 v[2:3], s[10:11], v[0:1], v[2:3]
	s_delay_alu instid0(VALU_DEP_2) | instskip(NEXT) | instid1(VALU_DEP_2)
	v_add_f64 v[0:1], v[10:11], v[6:7]
	v_add_f64 v[2:3], v[4:5], v[2:3]
	global_store_b128 v[8:9], v[0:3], off
.LBB726_11:
	s_nop 0
	s_sendmsg sendmsg(MSG_DEALLOC_VGPRS)
	s_endpgm
	.section	.rodata,"a",@progbits
	.p2align	6, 0x0
	.amdhsa_kernel _ZL37rocblas_syrkx_herkx_restricted_kernelIi19rocblas_complex_numIdELi16ELi32ELi8ELb0ELb0ELc67ELc76EKPKS1_KPS1_EviT_T0_PT8_S7_lSA_S7_lS8_PT9_S7_li
		.amdhsa_group_segment_fixed_size 8192
		.amdhsa_private_segment_fixed_size 0
		.amdhsa_kernarg_size 116
		.amdhsa_user_sgpr_count 13
		.amdhsa_user_sgpr_dispatch_ptr 0
		.amdhsa_user_sgpr_queue_ptr 0
		.amdhsa_user_sgpr_kernarg_segment_ptr 1
		.amdhsa_user_sgpr_dispatch_id 0
		.amdhsa_user_sgpr_private_segment_size 0
		.amdhsa_wavefront_size32 1
		.amdhsa_uses_dynamic_stack 0
		.amdhsa_enable_private_segment 0
		.amdhsa_system_sgpr_workgroup_id_x 1
		.amdhsa_system_sgpr_workgroup_id_y 1
		.amdhsa_system_sgpr_workgroup_id_z 1
		.amdhsa_system_sgpr_workgroup_info 0
		.amdhsa_system_vgpr_workitem_id 1
		.amdhsa_next_free_vgpr 118
		.amdhsa_next_free_sgpr 25
		.amdhsa_reserve_vcc 1
		.amdhsa_float_round_mode_32 0
		.amdhsa_float_round_mode_16_64 0
		.amdhsa_float_denorm_mode_32 3
		.amdhsa_float_denorm_mode_16_64 3
		.amdhsa_dx10_clamp 1
		.amdhsa_ieee_mode 1
		.amdhsa_fp16_overflow 0
		.amdhsa_workgroup_processor_mode 1
		.amdhsa_memory_ordered 1
		.amdhsa_forward_progress 0
		.amdhsa_shared_vgpr_count 0
		.amdhsa_exception_fp_ieee_invalid_op 0
		.amdhsa_exception_fp_denorm_src 0
		.amdhsa_exception_fp_ieee_div_zero 0
		.amdhsa_exception_fp_ieee_overflow 0
		.amdhsa_exception_fp_ieee_underflow 0
		.amdhsa_exception_fp_ieee_inexact 0
		.amdhsa_exception_int_div_zero 0
	.end_amdhsa_kernel
	.section	.text._ZL37rocblas_syrkx_herkx_restricted_kernelIi19rocblas_complex_numIdELi16ELi32ELi8ELb0ELb0ELc67ELc76EKPKS1_KPS1_EviT_T0_PT8_S7_lSA_S7_lS8_PT9_S7_li,"axG",@progbits,_ZL37rocblas_syrkx_herkx_restricted_kernelIi19rocblas_complex_numIdELi16ELi32ELi8ELb0ELb0ELc67ELc76EKPKS1_KPS1_EviT_T0_PT8_S7_lSA_S7_lS8_PT9_S7_li,comdat
.Lfunc_end726:
	.size	_ZL37rocblas_syrkx_herkx_restricted_kernelIi19rocblas_complex_numIdELi16ELi32ELi8ELb0ELb0ELc67ELc76EKPKS1_KPS1_EviT_T0_PT8_S7_lSA_S7_lS8_PT9_S7_li, .Lfunc_end726-_ZL37rocblas_syrkx_herkx_restricted_kernelIi19rocblas_complex_numIdELi16ELi32ELi8ELb0ELb0ELc67ELc76EKPKS1_KPS1_EviT_T0_PT8_S7_lSA_S7_lS8_PT9_S7_li
                                        ; -- End function
	.section	.AMDGPU.csdata,"",@progbits
; Kernel info:
; codeLenInByte = 3272
; NumSgprs: 27
; NumVgprs: 118
; ScratchSize: 0
; MemoryBound: 0
; FloatMode: 240
; IeeeMode: 1
; LDSByteSize: 8192 bytes/workgroup (compile time only)
; SGPRBlocks: 3
; VGPRBlocks: 14
; NumSGPRsForWavesPerEU: 27
; NumVGPRsForWavesPerEU: 118
; Occupancy: 12
; WaveLimiterHint : 1
; COMPUTE_PGM_RSRC2:SCRATCH_EN: 0
; COMPUTE_PGM_RSRC2:USER_SGPR: 13
; COMPUTE_PGM_RSRC2:TRAP_HANDLER: 0
; COMPUTE_PGM_RSRC2:TGID_X_EN: 1
; COMPUTE_PGM_RSRC2:TGID_Y_EN: 1
; COMPUTE_PGM_RSRC2:TGID_Z_EN: 1
; COMPUTE_PGM_RSRC2:TIDIG_COMP_CNT: 1
	.section	.text._ZL37rocblas_syrkx_herkx_restricted_kernelIi19rocblas_complex_numIdELi16ELi32ELi8ELb0ELb0ELc78ELc76EKPKS1_KPS1_EviT_T0_PT8_S7_lSA_S7_lS8_PT9_S7_li,"axG",@progbits,_ZL37rocblas_syrkx_herkx_restricted_kernelIi19rocblas_complex_numIdELi16ELi32ELi8ELb0ELb0ELc78ELc76EKPKS1_KPS1_EviT_T0_PT8_S7_lSA_S7_lS8_PT9_S7_li,comdat
	.globl	_ZL37rocblas_syrkx_herkx_restricted_kernelIi19rocblas_complex_numIdELi16ELi32ELi8ELb0ELb0ELc78ELc76EKPKS1_KPS1_EviT_T0_PT8_S7_lSA_S7_lS8_PT9_S7_li ; -- Begin function _ZL37rocblas_syrkx_herkx_restricted_kernelIi19rocblas_complex_numIdELi16ELi32ELi8ELb0ELb0ELc78ELc76EKPKS1_KPS1_EviT_T0_PT8_S7_lSA_S7_lS8_PT9_S7_li
	.p2align	8
	.type	_ZL37rocblas_syrkx_herkx_restricted_kernelIi19rocblas_complex_numIdELi16ELi32ELi8ELb0ELb0ELc78ELc76EKPKS1_KPS1_EviT_T0_PT8_S7_lSA_S7_lS8_PT9_S7_li,@function
_ZL37rocblas_syrkx_herkx_restricted_kernelIi19rocblas_complex_numIdELi16ELi32ELi8ELb0ELb0ELc78ELc76EKPKS1_KPS1_EviT_T0_PT8_S7_lSA_S7_lS8_PT9_S7_li: ; @_ZL37rocblas_syrkx_herkx_restricted_kernelIi19rocblas_complex_numIdELi16ELi32ELi8ELb0ELb0ELc78ELc76EKPKS1_KPS1_EviT_T0_PT8_S7_lSA_S7_lS8_PT9_S7_li
; %bb.0:
	s_load_b64 s[2:3], s[0:1], 0x58
	s_mov_b32 s18, s15
	s_mov_b32 s19, 0
	s_clause 0x1
	s_load_b64 s[16:17], s[0:1], 0x0
	s_load_b128 s[4:7], s[0:1], 0x8
	s_lshl_b64 s[20:21], s[18:19], 3
	v_mov_b32_e32 v16, 0
	v_dual_mov_b32 v17, 0 :: v_dual_and_b32 v20, 0x3ff, v0
	v_bfe_u32 v21, v0, 10, 10
	s_delay_alu instid0(VALU_DEP_3) | instskip(NEXT) | instid1(VALU_DEP_3)
	v_mov_b32_e32 v12, v16
	v_dual_mov_b32 v14, v16 :: v_dual_mov_b32 v15, v17
	v_dual_mov_b32 v19, v17 :: v_dual_mov_b32 v18, v16
	;; [unrolled: 1-line block ×5, first 2 shown]
	v_mov_b32_e32 v7, v17
	s_waitcnt lgkmcnt(0)
	s_add_u32 s2, s2, s20
	s_addc_u32 s3, s3, s21
	s_clause 0x1
	s_load_b64 s[22:23], s[0:1], 0x18
	s_load_b128 s[8:11], s[0:1], 0x48
	s_load_b64 s[2:3], s[2:3], 0x0
	v_dual_mov_b32 v4, v16 :: v_dual_mov_b32 v5, v17
	s_lshl_b32 s18, s13, 5
	s_lshl_b32 s24, s14, 5
	s_cmp_lt_i32 s17, 1
	s_cbranch_scc1 .LBB727_3
; %bb.1:
	s_clause 0x2
	s_load_b32 s12, s[0:1], 0x20
	s_load_b32 s14, s[0:1], 0x38
	s_load_b64 s[26:27], s[0:1], 0x30
	v_lshl_add_u32 v0, v21, 4, v20
	v_and_b32_e32 v6, 7, v20
	v_mov_b32_e32 v4, 0
	v_dual_mov_b32 v5, 0 :: v_dual_lshlrev_b32 v22, 4, v20
	s_delay_alu instid0(VALU_DEP_4)
	v_lshrrev_b32_e32 v7, 3, v0
	v_and_b32_e32 v10, 31, v0
	v_lshlrev_b32_e32 v11, 4, v6
	v_lshrrev_b32_e32 v12, 5, v0
	v_lshl_add_u32 v23, v21, 7, 0x1000
	v_add_nc_u32_e32 v0, s24, v7
	v_add_nc_u32_e32 v2, s18, v10
	v_lshl_or_b32 v14, v7, 7, v11
	v_dual_mov_b32 v19, v5 :: v_dual_mov_b32 v18, v4
	s_delay_alu instid0(VALU_DEP_4)
	v_ashrrev_i32_e32 v1, 31, v0
	v_mov_b32_e32 v17, v5
	s_waitcnt lgkmcnt(0)
	s_ashr_i32 s13, s12, 31
	s_ashr_i32 s15, s14, 31
	s_add_u32 s22, s22, s20
	s_addc_u32 s23, s23, s21
	s_add_u32 s20, s26, s20
	s_load_b64 s[22:23], s[22:23], 0x0
	s_addc_u32 s21, s27, s21
	v_add_nc_u32_e32 v25, 0x1000, v14
	v_mov_b32_e32 v15, v5
	v_ashrrev_i32_e32 v3, 31, v2
	s_load_b64 s[20:21], s[20:21], 0x0
	v_mov_b32_e32 v14, v4
	v_mov_b32_e32 v16, v4
	s_delay_alu instid0(VALU_DEP_3)
	v_mad_i64_i32 v[8:9], null, s12, v12, v[2:3]
	v_mad_i64_i32 v[2:3], null, s14, v6, v[0:1]
	v_mov_b32_e32 v7, v5
	v_dual_mov_b32 v6, v4 :: v_dual_lshlrev_b32 v13, 4, v10
	v_mov_b32_e32 v11, v5
	v_lshlrev_b64 v[0:1], 4, v[8:9]
	v_mov_b32_e32 v10, v4
	v_lshlrev_b64 v[2:3], 4, v[2:3]
	v_lshl_or_b32 v24, v12, 9, v13
	v_mov_b32_e32 v13, v5
	v_mov_b32_e32 v9, v5
	s_waitcnt lgkmcnt(0)
	v_add_co_u32 v0, vcc_lo, v0, s22
	v_add_co_ci_u32_e32 v1, vcc_lo, s23, v1, vcc_lo
	v_add_co_u32 v2, vcc_lo, v2, s20
	v_add_co_ci_u32_e32 v3, vcc_lo, s21, v3, vcc_lo
	s_delay_alu instid0(VALU_DEP_4) | instskip(NEXT) | instid1(VALU_DEP_4)
	v_add_co_u32 v0, vcc_lo, v0, 8
	v_add_co_ci_u32_e32 v1, vcc_lo, 0, v1, vcc_lo
	s_delay_alu instid0(VALU_DEP_4)
	v_add_co_u32 v2, vcc_lo, v2, 8
	v_mov_b32_e32 v12, v4
	v_add_co_ci_u32_e32 v3, vcc_lo, 0, v3, vcc_lo
	v_mov_b32_e32 v8, v4
	s_lshl_b64 s[12:13], s[12:13], 7
	s_lshl_b64 s[14:15], s[14:15], 7
.LBB727_2:                              ; =>This Inner Loop Header: Depth=1
	global_load_b128 v[26:29], v[0:1], off offset:-8
	global_load_b128 v[30:33], v[2:3], off offset:-8
	v_add_co_u32 v0, vcc_lo, v0, s12
	v_add_co_ci_u32_e32 v1, vcc_lo, s13, v1, vcc_lo
	v_add_co_u32 v2, vcc_lo, v2, s14
	v_add_co_ci_u32_e32 v3, vcc_lo, s15, v3, vcc_lo
	s_add_i32 s19, s19, 8
	s_waitcnt vmcnt(1)
	ds_store_b128 v24, v[26:29]
	s_waitcnt vmcnt(0)
	ds_store_b128 v25, v[30:33]
	s_waitcnt lgkmcnt(0)
	s_barrier
	buffer_gl0_inv
	ds_load_b128 v[26:29], v23
	ds_load_b128 v[30:33], v22
	ds_load_b128 v[34:37], v22 offset:256
	ds_load_b128 v[38:41], v23 offset:2048
	;; [unrolled: 1-line block ×13, first 2 shown]
	s_cmp_ge_i32 s19, s17
	s_waitcnt lgkmcnt(13)
	v_mul_f64 v[86:87], v[28:29], v[32:33]
	v_mul_f64 v[88:89], v[26:27], v[32:33]
	s_waitcnt lgkmcnt(12)
	v_mul_f64 v[90:91], v[28:29], v[36:37]
	v_mul_f64 v[92:93], v[26:27], v[36:37]
	;; [unrolled: 3-line block ×3, first 2 shown]
	v_mul_f64 v[96:97], v[40:41], v[36:37]
	v_mul_f64 v[36:37], v[38:39], v[36:37]
	s_waitcnt lgkmcnt(8)
	v_mul_f64 v[98:99], v[44:45], v[52:53]
	v_mul_f64 v[100:101], v[42:43], v[52:53]
	s_waitcnt lgkmcnt(7)
	v_mul_f64 v[102:103], v[44:45], v[56:57]
	v_mul_f64 v[104:105], v[42:43], v[56:57]
	;; [unrolled: 1-line block ×6, first 2 shown]
	s_waitcnt lgkmcnt(3)
	v_mul_f64 v[112:113], v[58:59], v[72:73]
	s_waitcnt lgkmcnt(2)
	v_mul_f64 v[114:115], v[76:77], v[68:69]
	v_mul_f64 v[116:117], v[76:77], v[72:73]
	v_fma_f64 v[86:87], v[26:27], v[30:31], -v[86:87]
	v_fma_f64 v[88:89], v[28:29], v[30:31], v[88:89]
	v_fma_f64 v[90:91], v[26:27], v[34:35], -v[90:91]
	v_fma_f64 v[92:93], v[28:29], v[34:35], v[92:93]
	;; [unrolled: 2-line block ×4, first 2 shown]
	v_mul_f64 v[36:37], v[60:61], v[68:69]
	v_mul_f64 v[40:41], v[58:59], v[68:69]
	;; [unrolled: 1-line block ×5, first 2 shown]
	v_fma_f64 v[98:99], v[42:43], v[50:51], -v[98:99]
	v_fma_f64 v[100:101], v[44:45], v[50:51], v[100:101]
	v_fma_f64 v[42:43], v[42:43], v[54:55], -v[102:103]
	v_fma_f64 v[44:45], v[44:45], v[54:55], v[104:105]
	;; [unrolled: 2-line block ×4, first 2 shown]
	ds_load_b128 v[26:29], v22 offset:1792
	ds_load_b128 v[30:33], v22 offset:2048
	s_waitcnt lgkmcnt(2)
	v_mul_f64 v[56:57], v[64:65], v[84:85]
	v_add_f64 v[16:17], v[16:17], v[86:87]
	v_add_f64 v[18:19], v[18:19], v[88:89]
	;; [unrolled: 1-line block ×8, first 2 shown]
	v_mul_f64 v[86:87], v[62:63], v[84:85]
	s_waitcnt lgkmcnt(1)
	v_mul_f64 v[88:89], v[64:65], v[28:29]
	v_mul_f64 v[90:91], v[62:63], v[28:29]
	v_mul_f64 v[92:93], v[80:81], v[84:85]
	v_mul_f64 v[84:85], v[78:79], v[84:85]
	v_mul_f64 v[94:95], v[80:81], v[28:29]
	v_mul_f64 v[28:29], v[78:79], v[28:29]
	v_fma_f64 v[104:105], v[58:59], v[66:67], -v[36:37]
	v_fma_f64 v[106:107], v[60:61], v[66:67], v[40:41]
	v_fma_f64 v[58:59], v[58:59], v[70:71], -v[96:97]
	v_fma_f64 v[60:61], v[60:61], v[70:71], v[112:113]
	;; [unrolled: 2-line block ×4, first 2 shown]
	ds_load_b128 v[4:7], v22 offset:2304
	ds_load_b128 v[8:11], v23 offset:64
	v_fma_f64 v[56:57], v[62:63], v[82:83], -v[56:57]
	v_add_f64 v[72:73], v[16:17], v[98:99]
	v_add_f64 v[74:75], v[18:19], v[100:101]
	;; [unrolled: 1-line block ×8, first 2 shown]
	ds_load_b128 v[12:15], v23 offset:2112
	ds_load_b128 v[16:19], v23 offset:80
	;; [unrolled: 1-line block ×4, first 2 shown]
	s_waitcnt lgkmcnt(4)
	v_mul_f64 v[54:55], v[10:11], v[32:33]
	v_mul_f64 v[76:77], v[8:9], v[32:33]
	;; [unrolled: 1-line block ×4, first 2 shown]
	v_fma_f64 v[86:87], v[64:65], v[82:83], v[86:87]
	v_fma_f64 v[62:63], v[62:63], v[26:27], -v[88:89]
	v_fma_f64 v[64:65], v[64:65], v[26:27], v[90:91]
	v_fma_f64 v[88:89], v[78:79], v[82:83], -v[92:93]
	;; [unrolled: 2-line block ×3, first 2 shown]
	v_fma_f64 v[80:81], v[80:81], v[26:27], v[28:29]
	s_waitcnt lgkmcnt(3)
	v_mul_f64 v[102:103], v[14:15], v[32:33]
	v_mul_f64 v[32:33], v[12:13], v[32:33]
	;; [unrolled: 1-line block ×4, first 2 shown]
	s_waitcnt lgkmcnt(0)
	v_mul_f64 v[90:91], v[18:19], v[40:41]
	v_mul_f64 v[92:93], v[16:17], v[40:41]
	v_add_f64 v[72:73], v[72:73], v[104:105]
	v_add_f64 v[74:75], v[74:75], v[106:107]
	;; [unrolled: 1-line block ×8, first 2 shown]
	ds_load_b128 v[26:29], v22 offset:2816
	ds_load_b128 v[42:45], v22 offset:3072
	;; [unrolled: 1-line block ×4, first 2 shown]
	v_mul_f64 v[104:105], v[36:37], v[40:41]
	v_mul_f64 v[40:41], v[34:35], v[40:41]
	v_fma_f64 v[54:55], v[8:9], v[30:31], -v[54:55]
	v_fma_f64 v[76:77], v[10:11], v[30:31], v[76:77]
	v_fma_f64 v[98:99], v[8:9], v[4:5], -v[98:99]
	v_fma_f64 v[100:101], v[10:11], v[4:5], v[100:101]
	s_waitcnt lgkmcnt(3)
	v_mul_f64 v[94:95], v[18:19], v[28:29]
	v_mul_f64 v[96:97], v[16:17], v[28:29]
	;; [unrolled: 1-line block ×4, first 2 shown]
	v_fma_f64 v[102:103], v[12:13], v[30:31], -v[102:103]
	v_fma_f64 v[32:33], v[14:15], v[30:31], v[32:33]
	v_fma_f64 v[108:109], v[12:13], v[4:5], -v[108:109]
	v_fma_f64 v[112:113], v[14:15], v[4:5], v[6:7]
	ds_load_b128 v[4:7], v23 offset:2144
	ds_load_b128 v[8:11], v23 offset:112
	;; [unrolled: 1-line block ×4, first 2 shown]
	v_add_f64 v[56:57], v[72:73], v[56:57]
	v_add_f64 v[72:73], v[74:75], v[86:87]
	;; [unrolled: 1-line block ×8, first 2 shown]
	s_waitcnt lgkmcnt(4)
	v_mul_f64 v[70:71], v[52:53], v[44:45]
	v_mul_f64 v[74:75], v[50:51], v[44:45]
	v_mul_f64 v[78:79], v[52:53], v[48:49]
	v_mul_f64 v[80:81], v[50:51], v[48:49]
	s_waitcnt lgkmcnt(3)
	v_mul_f64 v[82:83], v[6:7], v[44:45]
	v_mul_f64 v[44:45], v[4:5], v[44:45]
	;; [unrolled: 1-line block ×4, first 2 shown]
	v_fma_f64 v[86:87], v[16:17], v[38:39], -v[90:91]
	v_fma_f64 v[88:89], v[18:19], v[38:39], v[92:93]
	v_fma_f64 v[90:91], v[16:17], v[26:27], -v[94:95]
	v_fma_f64 v[92:93], v[18:19], v[26:27], v[96:97]
	;; [unrolled: 2-line block ×4, first 2 shown]
	ds_load_b128 v[16:19], v22 offset:3840
	s_waitcnt lgkmcnt(0)
	s_barrier
	buffer_gl0_inv
	v_add_f64 v[36:37], v[56:57], v[54:55]
	v_add_f64 v[40:41], v[72:73], v[76:77]
	;; [unrolled: 1-line block ×8, first 2 shown]
	v_mul_f64 v[64:65], v[10:11], v[30:31]
	v_mul_f64 v[66:67], v[8:9], v[30:31]
	;; [unrolled: 1-line block ×4, first 2 shown]
	v_fma_f64 v[70:71], v[50:51], v[42:43], -v[70:71]
	v_mul_f64 v[68:69], v[10:11], v[18:19]
	v_mul_f64 v[72:73], v[8:9], v[18:19]
	;; [unrolled: 1-line block ×4, first 2 shown]
	v_fma_f64 v[74:75], v[52:53], v[42:43], v[74:75]
	v_fma_f64 v[50:51], v[50:51], v[46:47], -v[78:79]
	v_fma_f64 v[52:53], v[52:53], v[46:47], v[80:81]
	v_fma_f64 v[78:79], v[4:5], v[42:43], -v[82:83]
	;; [unrolled: 2-line block ×3, first 2 shown]
	v_fma_f64 v[6:7], v[6:7], v[46:47], v[48:49]
	v_add_f64 v[36:37], v[36:37], v[86:87]
	v_add_f64 v[40:41], v[40:41], v[88:89]
	;; [unrolled: 1-line block ×8, first 2 shown]
	v_fma_f64 v[38:39], v[8:9], v[28:29], -v[64:65]
	v_fma_f64 v[54:55], v[10:11], v[28:29], v[66:67]
	v_fma_f64 v[56:57], v[12:13], v[28:29], -v[76:77]
	v_fma_f64 v[28:29], v[14:15], v[28:29], v[30:31]
	;; [unrolled: 2-line block ×4, first 2 shown]
	v_add_f64 v[12:13], v[36:37], v[70:71]
	v_add_f64 v[14:15], v[40:41], v[74:75]
	;; [unrolled: 1-line block ×16, first 2 shown]
	s_cbranch_scc0 .LBB727_2
.LBB727_3:
	s_load_b32 s12, s[0:1], 0x60
	v_add_nc_u32_e32 v21, s24, v21
	v_add_nc_u32_e32 v0, s18, v20
	s_delay_alu instid0(VALU_DEP_1) | instskip(SKIP_1) | instid1(VALU_DEP_2)
	v_cmp_le_i32_e64 s0, v21, v0
	v_cmp_gt_i32_e32 vcc_lo, s16, v0
	s_and_b32 s0, s0, vcc_lo
	s_waitcnt lgkmcnt(0)
	v_mad_i64_i32 v[1:2], null, v21, s12, 0
	s_delay_alu instid0(VALU_DEP_1) | instskip(NEXT) | instid1(VALU_DEP_1)
	v_lshlrev_b64 v[1:2], 4, v[1:2]
	v_add_co_u32 v20, s1, s2, v1
	s_delay_alu instid0(VALU_DEP_1)
	v_add_co_ci_u32_e64 v22, s1, s3, v2, s1
	s_and_saveexec_b32 s1, s0
	s_cbranch_execz .LBB727_5
; %bb.4:
	v_ashrrev_i32_e32 v1, 31, v0
	v_mul_f64 v[27:28], s[6:7], v[18:19]
	v_mul_f64 v[18:19], s[4:5], v[18:19]
	s_delay_alu instid0(VALU_DEP_3) | instskip(NEXT) | instid1(VALU_DEP_1)
	v_lshlrev_b64 v[1:2], 4, v[0:1]
	v_add_co_u32 v1, s0, v20, v1
	s_delay_alu instid0(VALU_DEP_1)
	v_add_co_ci_u32_e64 v2, s0, v22, v2, s0
	global_load_b128 v[23:26], v[1:2], off
	v_fma_f64 v[27:28], s[4:5], v[16:17], -v[27:28]
	v_fma_f64 v[18:19], s[6:7], v[16:17], v[18:19]
	s_waitcnt vmcnt(0)
	v_mul_f64 v[29:30], s[10:11], v[25:26]
	v_mul_f64 v[25:26], s[8:9], v[25:26]
	s_delay_alu instid0(VALU_DEP_2) | instskip(NEXT) | instid1(VALU_DEP_2)
	v_fma_f64 v[16:17], s[8:9], v[23:24], -v[29:30]
	v_fma_f64 v[23:24], s[10:11], v[23:24], v[25:26]
	s_delay_alu instid0(VALU_DEP_2) | instskip(NEXT) | instid1(VALU_DEP_2)
	v_add_f64 v[16:17], v[27:28], v[16:17]
	v_add_f64 v[18:19], v[18:19], v[23:24]
	global_store_b128 v[1:2], v[16:19], off
.LBB727_5:
	s_or_b32 exec_lo, exec_lo, s1
	v_add_nc_u32_e32 v2, 16, v0
	s_delay_alu instid0(VALU_DEP_1) | instskip(SKIP_1) | instid1(VALU_DEP_1)
	v_cmp_le_i32_e64 s1, v21, v2
	v_cmp_gt_i32_e64 s0, s16, v2
	s_and_b32 s1, s1, s0
	s_delay_alu instid0(SALU_CYCLE_1)
	s_and_saveexec_b32 s13, s1
	s_cbranch_execz .LBB727_7
; %bb.6:
	v_ashrrev_i32_e32 v3, 31, v2
	v_mul_f64 v[25:26], s[6:7], v[14:15]
	v_mul_f64 v[14:15], s[4:5], v[14:15]
	s_delay_alu instid0(VALU_DEP_3) | instskip(NEXT) | instid1(VALU_DEP_1)
	v_lshlrev_b64 v[16:17], 4, v[2:3]
	v_add_co_u32 v23, s1, v20, v16
	s_delay_alu instid0(VALU_DEP_1)
	v_add_co_ci_u32_e64 v24, s1, v22, v17, s1
	global_load_b128 v[16:19], v[23:24], off
	v_fma_f64 v[25:26], s[4:5], v[12:13], -v[25:26]
	v_fma_f64 v[14:15], s[6:7], v[12:13], v[14:15]
	s_waitcnt vmcnt(0)
	v_mul_f64 v[27:28], s[10:11], v[18:19]
	v_mul_f64 v[18:19], s[8:9], v[18:19]
	s_delay_alu instid0(VALU_DEP_2) | instskip(NEXT) | instid1(VALU_DEP_2)
	v_fma_f64 v[12:13], s[8:9], v[16:17], -v[27:28]
	v_fma_f64 v[16:17], s[10:11], v[16:17], v[18:19]
	s_delay_alu instid0(VALU_DEP_2) | instskip(NEXT) | instid1(VALU_DEP_2)
	v_add_f64 v[12:13], v[25:26], v[12:13]
	v_add_f64 v[14:15], v[14:15], v[16:17]
	global_store_b128 v[23:24], v[12:15], off
.LBB727_7:
	s_or_b32 exec_lo, exec_lo, s13
	v_add_nc_u32_e32 v3, 16, v21
	s_delay_alu instid0(VALU_DEP_1) | instskip(SKIP_1) | instid1(VALU_DEP_2)
	v_mad_i64_i32 v[12:13], null, v3, s12, 0
	v_cmp_le_i32_e64 s1, v3, v0
	v_lshlrev_b64 v[12:13], 4, v[12:13]
	s_delay_alu instid0(VALU_DEP_1) | instskip(NEXT) | instid1(VALU_DEP_1)
	v_add_co_u32 v12, s2, s2, v12
	v_add_co_ci_u32_e64 v13, s2, s3, v13, s2
	s_delay_alu instid0(VALU_DEP_4) | instskip(NEXT) | instid1(SALU_CYCLE_1)
	s_and_b32 s2, s1, vcc_lo
	s_and_saveexec_b32 s1, s2
	s_cbranch_execz .LBB727_9
; %bb.8:
	v_ashrrev_i32_e32 v1, 31, v0
	v_mul_f64 v[18:19], s[6:7], v[10:11]
	v_mul_f64 v[10:11], s[4:5], v[10:11]
	s_delay_alu instid0(VALU_DEP_3) | instskip(NEXT) | instid1(VALU_DEP_1)
	v_lshlrev_b64 v[0:1], 4, v[0:1]
	v_add_co_u32 v0, vcc_lo, v12, v0
	s_delay_alu instid0(VALU_DEP_2)
	v_add_co_ci_u32_e32 v1, vcc_lo, v13, v1, vcc_lo
	global_load_b128 v[14:17], v[0:1], off
	v_fma_f64 v[18:19], s[4:5], v[8:9], -v[18:19]
	v_fma_f64 v[10:11], s[6:7], v[8:9], v[10:11]
	s_waitcnt vmcnt(0)
	v_mul_f64 v[20:21], s[10:11], v[16:17]
	v_mul_f64 v[16:17], s[8:9], v[16:17]
	s_delay_alu instid0(VALU_DEP_2) | instskip(NEXT) | instid1(VALU_DEP_2)
	v_fma_f64 v[8:9], s[8:9], v[14:15], -v[20:21]
	v_fma_f64 v[14:15], s[10:11], v[14:15], v[16:17]
	s_delay_alu instid0(VALU_DEP_2) | instskip(NEXT) | instid1(VALU_DEP_2)
	v_add_f64 v[8:9], v[18:19], v[8:9]
	v_add_f64 v[10:11], v[10:11], v[14:15]
	global_store_b128 v[0:1], v[8:11], off
.LBB727_9:
	s_or_b32 exec_lo, exec_lo, s1
	v_cmp_le_i32_e32 vcc_lo, v3, v2
	s_and_b32 s0, vcc_lo, s0
	s_delay_alu instid0(SALU_CYCLE_1)
	s_and_saveexec_b32 s1, s0
	s_cbranch_execz .LBB727_11
; %bb.10:
	v_ashrrev_i32_e32 v3, 31, v2
	v_mul_f64 v[10:11], s[6:7], v[4:5]
	v_mul_f64 v[4:5], s[4:5], v[4:5]
	s_delay_alu instid0(VALU_DEP_3) | instskip(NEXT) | instid1(VALU_DEP_1)
	v_lshlrev_b64 v[0:1], 4, v[2:3]
	v_add_co_u32 v8, vcc_lo, v12, v0
	s_delay_alu instid0(VALU_DEP_2)
	v_add_co_ci_u32_e32 v9, vcc_lo, v13, v1, vcc_lo
	global_load_b128 v[0:3], v[8:9], off
	v_fma_f64 v[10:11], s[4:5], v[6:7], -v[10:11]
	v_fma_f64 v[4:5], s[6:7], v[6:7], v[4:5]
	s_waitcnt vmcnt(0)
	v_mul_f64 v[12:13], s[10:11], v[2:3]
	v_mul_f64 v[2:3], s[8:9], v[2:3]
	s_delay_alu instid0(VALU_DEP_2) | instskip(NEXT) | instid1(VALU_DEP_2)
	v_fma_f64 v[6:7], s[8:9], v[0:1], -v[12:13]
	v_fma_f64 v[2:3], s[10:11], v[0:1], v[2:3]
	s_delay_alu instid0(VALU_DEP_2) | instskip(NEXT) | instid1(VALU_DEP_2)
	v_add_f64 v[0:1], v[10:11], v[6:7]
	v_add_f64 v[2:3], v[4:5], v[2:3]
	global_store_b128 v[8:9], v[0:3], off
.LBB727_11:
	s_nop 0
	s_sendmsg sendmsg(MSG_DEALLOC_VGPRS)
	s_endpgm
	.section	.rodata,"a",@progbits
	.p2align	6, 0x0
	.amdhsa_kernel _ZL37rocblas_syrkx_herkx_restricted_kernelIi19rocblas_complex_numIdELi16ELi32ELi8ELb0ELb0ELc78ELc76EKPKS1_KPS1_EviT_T0_PT8_S7_lSA_S7_lS8_PT9_S7_li
		.amdhsa_group_segment_fixed_size 8192
		.amdhsa_private_segment_fixed_size 0
		.amdhsa_kernarg_size 116
		.amdhsa_user_sgpr_count 13
		.amdhsa_user_sgpr_dispatch_ptr 0
		.amdhsa_user_sgpr_queue_ptr 0
		.amdhsa_user_sgpr_kernarg_segment_ptr 1
		.amdhsa_user_sgpr_dispatch_id 0
		.amdhsa_user_sgpr_private_segment_size 0
		.amdhsa_wavefront_size32 1
		.amdhsa_uses_dynamic_stack 0
		.amdhsa_enable_private_segment 0
		.amdhsa_system_sgpr_workgroup_id_x 1
		.amdhsa_system_sgpr_workgroup_id_y 1
		.amdhsa_system_sgpr_workgroup_id_z 1
		.amdhsa_system_sgpr_workgroup_info 0
		.amdhsa_system_vgpr_workitem_id 1
		.amdhsa_next_free_vgpr 118
		.amdhsa_next_free_sgpr 28
		.amdhsa_reserve_vcc 1
		.amdhsa_float_round_mode_32 0
		.amdhsa_float_round_mode_16_64 0
		.amdhsa_float_denorm_mode_32 3
		.amdhsa_float_denorm_mode_16_64 3
		.amdhsa_dx10_clamp 1
		.amdhsa_ieee_mode 1
		.amdhsa_fp16_overflow 0
		.amdhsa_workgroup_processor_mode 1
		.amdhsa_memory_ordered 1
		.amdhsa_forward_progress 0
		.amdhsa_shared_vgpr_count 0
		.amdhsa_exception_fp_ieee_invalid_op 0
		.amdhsa_exception_fp_denorm_src 0
		.amdhsa_exception_fp_ieee_div_zero 0
		.amdhsa_exception_fp_ieee_overflow 0
		.amdhsa_exception_fp_ieee_underflow 0
		.amdhsa_exception_fp_ieee_inexact 0
		.amdhsa_exception_int_div_zero 0
	.end_amdhsa_kernel
	.section	.text._ZL37rocblas_syrkx_herkx_restricted_kernelIi19rocblas_complex_numIdELi16ELi32ELi8ELb0ELb0ELc78ELc76EKPKS1_KPS1_EviT_T0_PT8_S7_lSA_S7_lS8_PT9_S7_li,"axG",@progbits,_ZL37rocblas_syrkx_herkx_restricted_kernelIi19rocblas_complex_numIdELi16ELi32ELi8ELb0ELb0ELc78ELc76EKPKS1_KPS1_EviT_T0_PT8_S7_lSA_S7_lS8_PT9_S7_li,comdat
.Lfunc_end727:
	.size	_ZL37rocblas_syrkx_herkx_restricted_kernelIi19rocblas_complex_numIdELi16ELi32ELi8ELb0ELb0ELc78ELc76EKPKS1_KPS1_EviT_T0_PT8_S7_lSA_S7_lS8_PT9_S7_li, .Lfunc_end727-_ZL37rocblas_syrkx_herkx_restricted_kernelIi19rocblas_complex_numIdELi16ELi32ELi8ELb0ELb0ELc78ELc76EKPKS1_KPS1_EviT_T0_PT8_S7_lSA_S7_lS8_PT9_S7_li
                                        ; -- End function
	.section	.AMDGPU.csdata,"",@progbits
; Kernel info:
; codeLenInByte = 3284
; NumSgprs: 30
; NumVgprs: 118
; ScratchSize: 0
; MemoryBound: 0
; FloatMode: 240
; IeeeMode: 1
; LDSByteSize: 8192 bytes/workgroup (compile time only)
; SGPRBlocks: 3
; VGPRBlocks: 14
; NumSGPRsForWavesPerEU: 30
; NumVGPRsForWavesPerEU: 118
; Occupancy: 12
; WaveLimiterHint : 1
; COMPUTE_PGM_RSRC2:SCRATCH_EN: 0
; COMPUTE_PGM_RSRC2:USER_SGPR: 13
; COMPUTE_PGM_RSRC2:TRAP_HANDLER: 0
; COMPUTE_PGM_RSRC2:TGID_X_EN: 1
; COMPUTE_PGM_RSRC2:TGID_Y_EN: 1
; COMPUTE_PGM_RSRC2:TGID_Z_EN: 1
; COMPUTE_PGM_RSRC2:TIDIG_COMP_CNT: 1
	.section	.text._ZL37rocblas_syrkx_herkx_restricted_kernelIi19rocblas_complex_numIdELi16ELi32ELi8ELb0ELb0ELc84ELc85EKPKS1_KPS1_EviT_T0_PT8_S7_lSA_S7_lS8_PT9_S7_li,"axG",@progbits,_ZL37rocblas_syrkx_herkx_restricted_kernelIi19rocblas_complex_numIdELi16ELi32ELi8ELb0ELb0ELc84ELc85EKPKS1_KPS1_EviT_T0_PT8_S7_lSA_S7_lS8_PT9_S7_li,comdat
	.globl	_ZL37rocblas_syrkx_herkx_restricted_kernelIi19rocblas_complex_numIdELi16ELi32ELi8ELb0ELb0ELc84ELc85EKPKS1_KPS1_EviT_T0_PT8_S7_lSA_S7_lS8_PT9_S7_li ; -- Begin function _ZL37rocblas_syrkx_herkx_restricted_kernelIi19rocblas_complex_numIdELi16ELi32ELi8ELb0ELb0ELc84ELc85EKPKS1_KPS1_EviT_T0_PT8_S7_lSA_S7_lS8_PT9_S7_li
	.p2align	8
	.type	_ZL37rocblas_syrkx_herkx_restricted_kernelIi19rocblas_complex_numIdELi16ELi32ELi8ELb0ELb0ELc84ELc85EKPKS1_KPS1_EviT_T0_PT8_S7_lSA_S7_lS8_PT9_S7_li,@function
_ZL37rocblas_syrkx_herkx_restricted_kernelIi19rocblas_complex_numIdELi16ELi32ELi8ELb0ELb0ELc84ELc85EKPKS1_KPS1_EviT_T0_PT8_S7_lSA_S7_lS8_PT9_S7_li: ; @_ZL37rocblas_syrkx_herkx_restricted_kernelIi19rocblas_complex_numIdELi16ELi32ELi8ELb0ELb0ELc84ELc85EKPKS1_KPS1_EviT_T0_PT8_S7_lSA_S7_lS8_PT9_S7_li
; %bb.0:
	s_load_b64 s[8:9], s[0:1], 0x58
	s_mov_b32 s18, s15
	s_mov_b32 s19, 0
	s_clause 0x1
	s_load_b64 s[2:3], s[0:1], 0x0
	s_load_b128 s[4:7], s[0:1], 0x8
	s_lshl_b64 s[20:21], s[18:19], 3
	v_mov_b32_e32 v16, 0
	v_dual_mov_b32 v17, 0 :: v_dual_and_b32 v20, 0x3ff, v0
	v_bfe_u32 v21, v0, 10, 10
	s_delay_alu instid0(VALU_DEP_3) | instskip(NEXT) | instid1(VALU_DEP_3)
	v_mov_b32_e32 v12, v16
	v_dual_mov_b32 v14, v16 :: v_dual_mov_b32 v15, v17
	v_dual_mov_b32 v19, v17 :: v_dual_mov_b32 v18, v16
	;; [unrolled: 1-line block ×5, first 2 shown]
	v_mov_b32_e32 v5, v17
	s_waitcnt lgkmcnt(0)
	s_add_u32 s16, s8, s20
	s_addc_u32 s17, s9, s21
	s_clause 0x1
	s_load_b64 s[22:23], s[0:1], 0x18
	s_load_b128 s[8:11], s[0:1], 0x48
	s_load_b64 s[16:17], s[16:17], 0x0
	v_dual_mov_b32 v6, v16 :: v_dual_mov_b32 v7, v17
	s_lshl_b32 s12, s13, 5
	s_lshl_b32 s13, s14, 5
	s_cmp_lt_i32 s3, 1
	s_cbranch_scc1 .LBB728_3
; %bb.1:
	s_clause 0x2
	s_load_b64 s[14:15], s[0:1], 0x30
	s_load_b32 s18, s[0:1], 0x20
	s_load_b32 s24, s[0:1], 0x38
	v_lshl_add_u32 v2, v21, 4, v20
	v_dual_mov_b32 v1, 0 :: v_dual_and_b32 v0, 7, v20
	s_waitcnt lgkmcnt(0)
	s_add_u32 s22, s22, s20
	v_lshlrev_b32_e32 v22, 4, v20
	v_and_b32_e32 v10, 31, v2
	s_addc_u32 s23, s23, s21
	v_lshrrev_b32_e32 v11, 3, v2
	v_lshrrev_b32_e32 v2, 5, v2
	s_delay_alu instid0(VALU_DEP_3)
	v_dual_mov_b32 v3, v1 :: v_dual_add_nc_u32 v6, s12, v10
	s_load_b64 s[22:23], s[22:23], 0x0
	v_lshl_add_u32 v23, v21, 7, 0x1000
	s_add_u32 s14, s14, s20
	s_addc_u32 s15, s15, s21
	v_mad_i64_i32 v[4:5], null, s18, v6, v[2:3]
	s_load_b64 s[14:15], s[14:15], 0x0
	v_dual_mov_b32 v6, 0 :: v_dual_lshlrev_b32 v3, 4, v0
	v_dual_mov_b32 v7, 0 :: v_dual_add_nc_u32 v12, s13, v11
	v_lshlrev_b32_e32 v10, 4, v10
	s_delay_alu instid0(VALU_DEP_3) | instskip(NEXT) | instid1(VALU_DEP_3)
	v_lshl_or_b32 v3, v11, 7, v3
	v_mov_b32_e32 v15, v7
	s_delay_alu instid0(VALU_DEP_4) | instskip(SKIP_1) | instid1(VALU_DEP_4)
	v_mad_i64_i32 v[8:9], null, s24, v12, v[0:1]
	v_lshlrev_b64 v[0:1], 4, v[4:5]
	v_dual_mov_b32 v4, v6 :: v_dual_add_nc_u32 v25, 0x1000, v3
	v_lshl_or_b32 v24, v2, 9, v10
	v_dual_mov_b32 v14, v6 :: v_dual_mov_b32 v13, v7
	v_lshlrev_b64 v[2:3], 4, v[8:9]
	s_waitcnt lgkmcnt(0)
	v_add_co_u32 v0, vcc_lo, v0, s22
	v_add_co_ci_u32_e32 v1, vcc_lo, s23, v1, vcc_lo
	v_mov_b32_e32 v9, v7
	s_delay_alu instid0(VALU_DEP_4)
	v_add_co_u32 v2, vcc_lo, v2, s14
	v_add_co_ci_u32_e32 v3, vcc_lo, s15, v3, vcc_lo
	v_add_co_u32 v0, vcc_lo, v0, 8
	v_mov_b32_e32 v8, v6
	v_add_co_ci_u32_e32 v1, vcc_lo, 0, v1, vcc_lo
	v_add_co_u32 v2, vcc_lo, v2, 8
	v_dual_mov_b32 v12, v6 :: v_dual_mov_b32 v19, v7
	v_dual_mov_b32 v18, v6 :: v_dual_mov_b32 v17, v7
	v_mov_b32_e32 v5, v7
	v_add_co_ci_u32_e32 v3, vcc_lo, 0, v3, vcc_lo
	v_dual_mov_b32 v11, v7 :: v_dual_mov_b32 v10, v6
	v_mov_b32_e32 v16, v6
.LBB728_2:                              ; =>This Inner Loop Header: Depth=1
	global_load_b128 v[26:29], v[0:1], off offset:-8
	global_load_b128 v[30:33], v[2:3], off offset:-8
	v_add_co_u32 v0, vcc_lo, 0x80, v0
	v_add_co_ci_u32_e32 v1, vcc_lo, 0, v1, vcc_lo
	v_add_co_u32 v2, vcc_lo, 0x80, v2
	v_add_co_ci_u32_e32 v3, vcc_lo, 0, v3, vcc_lo
	s_add_i32 s19, s19, 8
	s_waitcnt vmcnt(1)
	ds_store_b128 v24, v[26:29]
	s_waitcnt vmcnt(0)
	ds_store_b128 v25, v[30:33]
	s_waitcnt lgkmcnt(0)
	s_barrier
	buffer_gl0_inv
	ds_load_b128 v[26:29], v23
	ds_load_b128 v[30:33], v22
	ds_load_b128 v[34:37], v22 offset:256
	ds_load_b128 v[38:41], v23 offset:2048
	;; [unrolled: 1-line block ×13, first 2 shown]
	s_cmp_ge_i32 s19, s3
	s_waitcnt lgkmcnt(13)
	v_mul_f64 v[86:87], v[28:29], v[32:33]
	v_mul_f64 v[88:89], v[26:27], v[32:33]
	s_waitcnt lgkmcnt(12)
	v_mul_f64 v[90:91], v[28:29], v[36:37]
	v_mul_f64 v[92:93], v[26:27], v[36:37]
	;; [unrolled: 3-line block ×3, first 2 shown]
	v_mul_f64 v[96:97], v[40:41], v[36:37]
	v_mul_f64 v[36:37], v[38:39], v[36:37]
	s_waitcnt lgkmcnt(8)
	v_mul_f64 v[98:99], v[44:45], v[52:53]
	v_mul_f64 v[100:101], v[42:43], v[52:53]
	s_waitcnt lgkmcnt(7)
	v_mul_f64 v[102:103], v[44:45], v[56:57]
	v_mul_f64 v[104:105], v[42:43], v[56:57]
	;; [unrolled: 1-line block ×6, first 2 shown]
	s_waitcnt lgkmcnt(3)
	v_mul_f64 v[112:113], v[58:59], v[72:73]
	s_waitcnt lgkmcnt(2)
	v_mul_f64 v[114:115], v[76:77], v[68:69]
	v_mul_f64 v[116:117], v[76:77], v[72:73]
	v_fma_f64 v[86:87], v[26:27], v[30:31], -v[86:87]
	v_fma_f64 v[88:89], v[28:29], v[30:31], v[88:89]
	v_fma_f64 v[90:91], v[26:27], v[34:35], -v[90:91]
	v_fma_f64 v[92:93], v[28:29], v[34:35], v[92:93]
	;; [unrolled: 2-line block ×4, first 2 shown]
	v_mul_f64 v[36:37], v[60:61], v[68:69]
	v_mul_f64 v[40:41], v[58:59], v[68:69]
	;; [unrolled: 1-line block ×5, first 2 shown]
	v_fma_f64 v[98:99], v[42:43], v[50:51], -v[98:99]
	v_fma_f64 v[100:101], v[44:45], v[50:51], v[100:101]
	v_fma_f64 v[42:43], v[42:43], v[54:55], -v[102:103]
	v_fma_f64 v[44:45], v[44:45], v[54:55], v[104:105]
	;; [unrolled: 2-line block ×4, first 2 shown]
	ds_load_b128 v[26:29], v22 offset:1792
	ds_load_b128 v[30:33], v22 offset:2048
	s_waitcnt lgkmcnt(2)
	v_mul_f64 v[56:57], v[64:65], v[84:85]
	v_add_f64 v[16:17], v[16:17], v[86:87]
	v_add_f64 v[18:19], v[18:19], v[88:89]
	;; [unrolled: 1-line block ×8, first 2 shown]
	v_mul_f64 v[86:87], v[62:63], v[84:85]
	s_waitcnt lgkmcnt(1)
	v_mul_f64 v[88:89], v[64:65], v[28:29]
	v_mul_f64 v[90:91], v[62:63], v[28:29]
	;; [unrolled: 1-line block ×6, first 2 shown]
	v_fma_f64 v[104:105], v[58:59], v[66:67], -v[36:37]
	v_fma_f64 v[106:107], v[60:61], v[66:67], v[40:41]
	v_fma_f64 v[58:59], v[58:59], v[70:71], -v[96:97]
	v_fma_f64 v[60:61], v[60:61], v[70:71], v[112:113]
	;; [unrolled: 2-line block ×4, first 2 shown]
	ds_load_b128 v[4:7], v22 offset:2304
	ds_load_b128 v[8:11], v23 offset:64
	v_fma_f64 v[56:57], v[62:63], v[82:83], -v[56:57]
	v_add_f64 v[72:73], v[16:17], v[98:99]
	v_add_f64 v[74:75], v[18:19], v[100:101]
	;; [unrolled: 1-line block ×8, first 2 shown]
	ds_load_b128 v[12:15], v23 offset:2112
	ds_load_b128 v[16:19], v23 offset:80
	;; [unrolled: 1-line block ×4, first 2 shown]
	s_waitcnt lgkmcnt(4)
	v_mul_f64 v[54:55], v[10:11], v[32:33]
	v_mul_f64 v[76:77], v[8:9], v[32:33]
	;; [unrolled: 1-line block ×4, first 2 shown]
	v_fma_f64 v[86:87], v[64:65], v[82:83], v[86:87]
	v_fma_f64 v[62:63], v[62:63], v[26:27], -v[88:89]
	v_fma_f64 v[64:65], v[64:65], v[26:27], v[90:91]
	v_fma_f64 v[88:89], v[78:79], v[82:83], -v[92:93]
	;; [unrolled: 2-line block ×3, first 2 shown]
	v_fma_f64 v[80:81], v[80:81], v[26:27], v[28:29]
	s_waitcnt lgkmcnt(3)
	v_mul_f64 v[102:103], v[14:15], v[32:33]
	v_mul_f64 v[32:33], v[12:13], v[32:33]
	v_mul_f64 v[108:109], v[14:15], v[6:7]
	v_mul_f64 v[6:7], v[12:13], v[6:7]
	s_waitcnt lgkmcnt(0)
	v_mul_f64 v[90:91], v[18:19], v[40:41]
	v_mul_f64 v[92:93], v[16:17], v[40:41]
	v_add_f64 v[72:73], v[72:73], v[104:105]
	v_add_f64 v[74:75], v[74:75], v[106:107]
	;; [unrolled: 1-line block ×8, first 2 shown]
	ds_load_b128 v[26:29], v22 offset:2816
	ds_load_b128 v[42:45], v22 offset:3072
	;; [unrolled: 1-line block ×4, first 2 shown]
	v_mul_f64 v[104:105], v[36:37], v[40:41]
	v_mul_f64 v[40:41], v[34:35], v[40:41]
	v_fma_f64 v[54:55], v[8:9], v[30:31], -v[54:55]
	v_fma_f64 v[76:77], v[10:11], v[30:31], v[76:77]
	v_fma_f64 v[98:99], v[8:9], v[4:5], -v[98:99]
	v_fma_f64 v[100:101], v[10:11], v[4:5], v[100:101]
	s_waitcnt lgkmcnt(3)
	v_mul_f64 v[94:95], v[18:19], v[28:29]
	v_mul_f64 v[96:97], v[16:17], v[28:29]
	;; [unrolled: 1-line block ×4, first 2 shown]
	v_fma_f64 v[102:103], v[12:13], v[30:31], -v[102:103]
	v_fma_f64 v[32:33], v[14:15], v[30:31], v[32:33]
	v_fma_f64 v[108:109], v[12:13], v[4:5], -v[108:109]
	v_fma_f64 v[112:113], v[14:15], v[4:5], v[6:7]
	ds_load_b128 v[4:7], v23 offset:2144
	ds_load_b128 v[8:11], v23 offset:112
	ds_load_b128 v[12:15], v23 offset:2160
	ds_load_b128 v[28:31], v22 offset:3584
	v_add_f64 v[56:57], v[72:73], v[56:57]
	v_add_f64 v[72:73], v[74:75], v[86:87]
	;; [unrolled: 1-line block ×8, first 2 shown]
	s_waitcnt lgkmcnt(4)
	v_mul_f64 v[70:71], v[52:53], v[44:45]
	v_mul_f64 v[74:75], v[50:51], v[44:45]
	;; [unrolled: 1-line block ×4, first 2 shown]
	s_waitcnt lgkmcnt(3)
	v_mul_f64 v[82:83], v[6:7], v[44:45]
	v_mul_f64 v[44:45], v[4:5], v[44:45]
	;; [unrolled: 1-line block ×4, first 2 shown]
	v_fma_f64 v[86:87], v[16:17], v[38:39], -v[90:91]
	v_fma_f64 v[88:89], v[18:19], v[38:39], v[92:93]
	v_fma_f64 v[90:91], v[16:17], v[26:27], -v[94:95]
	v_fma_f64 v[92:93], v[18:19], v[26:27], v[96:97]
	;; [unrolled: 2-line block ×4, first 2 shown]
	ds_load_b128 v[16:19], v22 offset:3840
	s_waitcnt lgkmcnt(0)
	s_barrier
	buffer_gl0_inv
	v_add_f64 v[36:37], v[56:57], v[54:55]
	v_add_f64 v[40:41], v[72:73], v[76:77]
	;; [unrolled: 1-line block ×8, first 2 shown]
	v_mul_f64 v[64:65], v[10:11], v[30:31]
	v_mul_f64 v[66:67], v[8:9], v[30:31]
	;; [unrolled: 1-line block ×4, first 2 shown]
	v_fma_f64 v[70:71], v[50:51], v[42:43], -v[70:71]
	v_mul_f64 v[68:69], v[10:11], v[18:19]
	v_mul_f64 v[72:73], v[8:9], v[18:19]
	v_mul_f64 v[96:97], v[14:15], v[18:19]
	v_mul_f64 v[18:19], v[12:13], v[18:19]
	v_fma_f64 v[74:75], v[52:53], v[42:43], v[74:75]
	v_fma_f64 v[50:51], v[50:51], v[46:47], -v[78:79]
	v_fma_f64 v[52:53], v[52:53], v[46:47], v[80:81]
	v_fma_f64 v[78:79], v[4:5], v[42:43], -v[82:83]
	v_fma_f64 v[42:43], v[6:7], v[42:43], v[44:45]
	v_fma_f64 v[4:5], v[4:5], v[46:47], -v[84:85]
	v_fma_f64 v[6:7], v[6:7], v[46:47], v[48:49]
	v_add_f64 v[36:37], v[36:37], v[86:87]
	v_add_f64 v[40:41], v[40:41], v[88:89]
	;; [unrolled: 1-line block ×8, first 2 shown]
	v_fma_f64 v[38:39], v[8:9], v[28:29], -v[64:65]
	v_fma_f64 v[54:55], v[10:11], v[28:29], v[66:67]
	v_fma_f64 v[56:57], v[12:13], v[28:29], -v[76:77]
	v_fma_f64 v[28:29], v[14:15], v[28:29], v[30:31]
	;; [unrolled: 2-line block ×4, first 2 shown]
	v_add_f64 v[12:13], v[36:37], v[70:71]
	v_add_f64 v[14:15], v[40:41], v[74:75]
	;; [unrolled: 1-line block ×16, first 2 shown]
	s_cbranch_scc0 .LBB728_2
.LBB728_3:
	s_load_b32 s3, s[0:1], 0x60
	v_add_nc_u32_e32 v21, s13, v21
	v_add_nc_u32_e32 v0, s12, v20
	s_delay_alu instid0(VALU_DEP_2) | instskip(NEXT) | instid1(VALU_DEP_2)
	v_cmp_gt_i32_e32 vcc_lo, s2, v21
	v_cmp_le_i32_e64 s0, v0, v21
	s_delay_alu instid0(VALU_DEP_1) | instskip(SKIP_2) | instid1(VALU_DEP_1)
	s_and_b32 s0, vcc_lo, s0
	s_waitcnt lgkmcnt(0)
	v_mad_i64_i32 v[1:2], null, v21, s3, 0
	v_lshlrev_b64 v[1:2], 4, v[1:2]
	s_delay_alu instid0(VALU_DEP_1) | instskip(NEXT) | instid1(VALU_DEP_1)
	v_add_co_u32 v20, s1, s16, v1
	v_add_co_ci_u32_e64 v22, s1, s17, v2, s1
	s_and_saveexec_b32 s1, s0
	s_cbranch_execz .LBB728_5
; %bb.4:
	v_ashrrev_i32_e32 v1, 31, v0
	v_mul_f64 v[27:28], s[6:7], v[18:19]
	v_mul_f64 v[18:19], s[4:5], v[18:19]
	s_delay_alu instid0(VALU_DEP_3) | instskip(NEXT) | instid1(VALU_DEP_1)
	v_lshlrev_b64 v[1:2], 4, v[0:1]
	v_add_co_u32 v1, s0, v20, v1
	s_delay_alu instid0(VALU_DEP_1)
	v_add_co_ci_u32_e64 v2, s0, v22, v2, s0
	global_load_b128 v[23:26], v[1:2], off
	v_fma_f64 v[27:28], s[4:5], v[16:17], -v[27:28]
	v_fma_f64 v[18:19], s[6:7], v[16:17], v[18:19]
	s_waitcnt vmcnt(0)
	v_mul_f64 v[29:30], s[10:11], v[25:26]
	v_mul_f64 v[25:26], s[8:9], v[25:26]
	s_delay_alu instid0(VALU_DEP_2) | instskip(NEXT) | instid1(VALU_DEP_2)
	v_fma_f64 v[16:17], s[8:9], v[23:24], -v[29:30]
	v_fma_f64 v[23:24], s[10:11], v[23:24], v[25:26]
	s_delay_alu instid0(VALU_DEP_2) | instskip(NEXT) | instid1(VALU_DEP_2)
	v_add_f64 v[16:17], v[27:28], v[16:17]
	v_add_f64 v[18:19], v[18:19], v[23:24]
	global_store_b128 v[1:2], v[16:19], off
.LBB728_5:
	s_or_b32 exec_lo, exec_lo, s1
	v_add_nc_u32_e32 v2, 16, v0
	s_delay_alu instid0(VALU_DEP_1) | instskip(NEXT) | instid1(VALU_DEP_1)
	v_cmp_le_i32_e64 s0, v2, v21
	s_and_b32 s1, vcc_lo, s0
	s_delay_alu instid0(SALU_CYCLE_1)
	s_and_saveexec_b32 s0, s1
	s_cbranch_execz .LBB728_7
; %bb.6:
	v_ashrrev_i32_e32 v3, 31, v2
	v_mul_f64 v[25:26], s[6:7], v[14:15]
	v_mul_f64 v[14:15], s[4:5], v[14:15]
	s_delay_alu instid0(VALU_DEP_3) | instskip(NEXT) | instid1(VALU_DEP_1)
	v_lshlrev_b64 v[16:17], 4, v[2:3]
	v_add_co_u32 v23, vcc_lo, v20, v16
	s_delay_alu instid0(VALU_DEP_2)
	v_add_co_ci_u32_e32 v24, vcc_lo, v22, v17, vcc_lo
	global_load_b128 v[16:19], v[23:24], off
	v_fma_f64 v[25:26], s[4:5], v[12:13], -v[25:26]
	v_fma_f64 v[14:15], s[6:7], v[12:13], v[14:15]
	s_waitcnt vmcnt(0)
	v_mul_f64 v[27:28], s[10:11], v[18:19]
	v_mul_f64 v[18:19], s[8:9], v[18:19]
	s_delay_alu instid0(VALU_DEP_2) | instskip(NEXT) | instid1(VALU_DEP_2)
	v_fma_f64 v[12:13], s[8:9], v[16:17], -v[27:28]
	v_fma_f64 v[16:17], s[10:11], v[16:17], v[18:19]
	s_delay_alu instid0(VALU_DEP_2) | instskip(NEXT) | instid1(VALU_DEP_2)
	v_add_f64 v[12:13], v[25:26], v[12:13]
	v_add_f64 v[14:15], v[14:15], v[16:17]
	global_store_b128 v[23:24], v[12:15], off
.LBB728_7:
	s_or_b32 exec_lo, exec_lo, s0
	v_add_nc_u32_e32 v3, 16, v21
	s_delay_alu instid0(VALU_DEP_1) | instskip(SKIP_2) | instid1(VALU_DEP_1)
	v_mad_i64_i32 v[12:13], null, v3, s3, 0
	v_cmp_gt_i32_e32 vcc_lo, s2, v3
	v_cmp_le_i32_e64 s0, v0, v3
	s_and_b32 s0, vcc_lo, s0
	s_delay_alu instid0(VALU_DEP_3) | instskip(NEXT) | instid1(VALU_DEP_1)
	v_lshlrev_b64 v[12:13], 4, v[12:13]
	v_add_co_u32 v12, s1, s16, v12
	s_delay_alu instid0(VALU_DEP_1)
	v_add_co_ci_u32_e64 v13, s1, s17, v13, s1
	s_and_saveexec_b32 s1, s0
	s_cbranch_execz .LBB728_9
; %bb.8:
	v_ashrrev_i32_e32 v1, 31, v0
	v_mul_f64 v[18:19], s[6:7], v[10:11]
	v_mul_f64 v[10:11], s[4:5], v[10:11]
	s_delay_alu instid0(VALU_DEP_3) | instskip(NEXT) | instid1(VALU_DEP_1)
	v_lshlrev_b64 v[0:1], 4, v[0:1]
	v_add_co_u32 v0, s0, v12, v0
	s_delay_alu instid0(VALU_DEP_1)
	v_add_co_ci_u32_e64 v1, s0, v13, v1, s0
	global_load_b128 v[14:17], v[0:1], off
	v_fma_f64 v[18:19], s[4:5], v[8:9], -v[18:19]
	v_fma_f64 v[10:11], s[6:7], v[8:9], v[10:11]
	s_waitcnt vmcnt(0)
	v_mul_f64 v[20:21], s[10:11], v[16:17]
	v_mul_f64 v[16:17], s[8:9], v[16:17]
	s_delay_alu instid0(VALU_DEP_2) | instskip(NEXT) | instid1(VALU_DEP_2)
	v_fma_f64 v[8:9], s[8:9], v[14:15], -v[20:21]
	v_fma_f64 v[14:15], s[10:11], v[14:15], v[16:17]
	s_delay_alu instid0(VALU_DEP_2) | instskip(NEXT) | instid1(VALU_DEP_2)
	v_add_f64 v[8:9], v[18:19], v[8:9]
	v_add_f64 v[10:11], v[10:11], v[14:15]
	global_store_b128 v[0:1], v[8:11], off
.LBB728_9:
	s_or_b32 exec_lo, exec_lo, s1
	v_cmp_le_i32_e64 s0, v2, v3
	s_delay_alu instid0(VALU_DEP_1) | instskip(NEXT) | instid1(SALU_CYCLE_1)
	s_and_b32 s0, vcc_lo, s0
	s_and_saveexec_b32 s1, s0
	s_cbranch_execz .LBB728_11
; %bb.10:
	v_ashrrev_i32_e32 v3, 31, v2
	v_mul_f64 v[10:11], s[6:7], v[6:7]
	v_mul_f64 v[6:7], s[4:5], v[6:7]
	s_delay_alu instid0(VALU_DEP_3) | instskip(NEXT) | instid1(VALU_DEP_1)
	v_lshlrev_b64 v[0:1], 4, v[2:3]
	v_add_co_u32 v8, vcc_lo, v12, v0
	s_delay_alu instid0(VALU_DEP_2)
	v_add_co_ci_u32_e32 v9, vcc_lo, v13, v1, vcc_lo
	global_load_b128 v[0:3], v[8:9], off
	v_fma_f64 v[10:11], s[4:5], v[4:5], -v[10:11]
	v_fma_f64 v[4:5], s[6:7], v[4:5], v[6:7]
	s_waitcnt vmcnt(0)
	v_mul_f64 v[12:13], s[10:11], v[2:3]
	v_mul_f64 v[2:3], s[8:9], v[2:3]
	s_delay_alu instid0(VALU_DEP_2) | instskip(NEXT) | instid1(VALU_DEP_2)
	v_fma_f64 v[6:7], s[8:9], v[0:1], -v[12:13]
	v_fma_f64 v[2:3], s[10:11], v[0:1], v[2:3]
	s_delay_alu instid0(VALU_DEP_2) | instskip(NEXT) | instid1(VALU_DEP_2)
	v_add_f64 v[0:1], v[10:11], v[6:7]
	v_add_f64 v[2:3], v[4:5], v[2:3]
	global_store_b128 v[8:9], v[0:3], off
.LBB728_11:
	s_nop 0
	s_sendmsg sendmsg(MSG_DEALLOC_VGPRS)
	s_endpgm
	.section	.rodata,"a",@progbits
	.p2align	6, 0x0
	.amdhsa_kernel _ZL37rocblas_syrkx_herkx_restricted_kernelIi19rocblas_complex_numIdELi16ELi32ELi8ELb0ELb0ELc84ELc85EKPKS1_KPS1_EviT_T0_PT8_S7_lSA_S7_lS8_PT9_S7_li
		.amdhsa_group_segment_fixed_size 8192
		.amdhsa_private_segment_fixed_size 0
		.amdhsa_kernarg_size 116
		.amdhsa_user_sgpr_count 13
		.amdhsa_user_sgpr_dispatch_ptr 0
		.amdhsa_user_sgpr_queue_ptr 0
		.amdhsa_user_sgpr_kernarg_segment_ptr 1
		.amdhsa_user_sgpr_dispatch_id 0
		.amdhsa_user_sgpr_private_segment_size 0
		.amdhsa_wavefront_size32 1
		.amdhsa_uses_dynamic_stack 0
		.amdhsa_enable_private_segment 0
		.amdhsa_system_sgpr_workgroup_id_x 1
		.amdhsa_system_sgpr_workgroup_id_y 1
		.amdhsa_system_sgpr_workgroup_id_z 1
		.amdhsa_system_sgpr_workgroup_info 0
		.amdhsa_system_vgpr_workitem_id 1
		.amdhsa_next_free_vgpr 118
		.amdhsa_next_free_sgpr 25
		.amdhsa_reserve_vcc 1
		.amdhsa_float_round_mode_32 0
		.amdhsa_float_round_mode_16_64 0
		.amdhsa_float_denorm_mode_32 3
		.amdhsa_float_denorm_mode_16_64 3
		.amdhsa_dx10_clamp 1
		.amdhsa_ieee_mode 1
		.amdhsa_fp16_overflow 0
		.amdhsa_workgroup_processor_mode 1
		.amdhsa_memory_ordered 1
		.amdhsa_forward_progress 0
		.amdhsa_shared_vgpr_count 0
		.amdhsa_exception_fp_ieee_invalid_op 0
		.amdhsa_exception_fp_denorm_src 0
		.amdhsa_exception_fp_ieee_div_zero 0
		.amdhsa_exception_fp_ieee_overflow 0
		.amdhsa_exception_fp_ieee_underflow 0
		.amdhsa_exception_fp_ieee_inexact 0
		.amdhsa_exception_int_div_zero 0
	.end_amdhsa_kernel
	.section	.text._ZL37rocblas_syrkx_herkx_restricted_kernelIi19rocblas_complex_numIdELi16ELi32ELi8ELb0ELb0ELc84ELc85EKPKS1_KPS1_EviT_T0_PT8_S7_lSA_S7_lS8_PT9_S7_li,"axG",@progbits,_ZL37rocblas_syrkx_herkx_restricted_kernelIi19rocblas_complex_numIdELi16ELi32ELi8ELb0ELb0ELc84ELc85EKPKS1_KPS1_EviT_T0_PT8_S7_lSA_S7_lS8_PT9_S7_li,comdat
.Lfunc_end728:
	.size	_ZL37rocblas_syrkx_herkx_restricted_kernelIi19rocblas_complex_numIdELi16ELi32ELi8ELb0ELb0ELc84ELc85EKPKS1_KPS1_EviT_T0_PT8_S7_lSA_S7_lS8_PT9_S7_li, .Lfunc_end728-_ZL37rocblas_syrkx_herkx_restricted_kernelIi19rocblas_complex_numIdELi16ELi32ELi8ELb0ELb0ELc84ELc85EKPKS1_KPS1_EviT_T0_PT8_S7_lSA_S7_lS8_PT9_S7_li
                                        ; -- End function
	.section	.AMDGPU.csdata,"",@progbits
; Kernel info:
; codeLenInByte = 3272
; NumSgprs: 27
; NumVgprs: 118
; ScratchSize: 0
; MemoryBound: 0
; FloatMode: 240
; IeeeMode: 1
; LDSByteSize: 8192 bytes/workgroup (compile time only)
; SGPRBlocks: 3
; VGPRBlocks: 14
; NumSGPRsForWavesPerEU: 27
; NumVGPRsForWavesPerEU: 118
; Occupancy: 12
; WaveLimiterHint : 1
; COMPUTE_PGM_RSRC2:SCRATCH_EN: 0
; COMPUTE_PGM_RSRC2:USER_SGPR: 13
; COMPUTE_PGM_RSRC2:TRAP_HANDLER: 0
; COMPUTE_PGM_RSRC2:TGID_X_EN: 1
; COMPUTE_PGM_RSRC2:TGID_Y_EN: 1
; COMPUTE_PGM_RSRC2:TGID_Z_EN: 1
; COMPUTE_PGM_RSRC2:TIDIG_COMP_CNT: 1
	.section	.text._ZL37rocblas_syrkx_herkx_restricted_kernelIi19rocblas_complex_numIdELi16ELi32ELi8ELb0ELb0ELc67ELc85EKPKS1_KPS1_EviT_T0_PT8_S7_lSA_S7_lS8_PT9_S7_li,"axG",@progbits,_ZL37rocblas_syrkx_herkx_restricted_kernelIi19rocblas_complex_numIdELi16ELi32ELi8ELb0ELb0ELc67ELc85EKPKS1_KPS1_EviT_T0_PT8_S7_lSA_S7_lS8_PT9_S7_li,comdat
	.globl	_ZL37rocblas_syrkx_herkx_restricted_kernelIi19rocblas_complex_numIdELi16ELi32ELi8ELb0ELb0ELc67ELc85EKPKS1_KPS1_EviT_T0_PT8_S7_lSA_S7_lS8_PT9_S7_li ; -- Begin function _ZL37rocblas_syrkx_herkx_restricted_kernelIi19rocblas_complex_numIdELi16ELi32ELi8ELb0ELb0ELc67ELc85EKPKS1_KPS1_EviT_T0_PT8_S7_lSA_S7_lS8_PT9_S7_li
	.p2align	8
	.type	_ZL37rocblas_syrkx_herkx_restricted_kernelIi19rocblas_complex_numIdELi16ELi32ELi8ELb0ELb0ELc67ELc85EKPKS1_KPS1_EviT_T0_PT8_S7_lSA_S7_lS8_PT9_S7_li,@function
_ZL37rocblas_syrkx_herkx_restricted_kernelIi19rocblas_complex_numIdELi16ELi32ELi8ELb0ELb0ELc67ELc85EKPKS1_KPS1_EviT_T0_PT8_S7_lSA_S7_lS8_PT9_S7_li: ; @_ZL37rocblas_syrkx_herkx_restricted_kernelIi19rocblas_complex_numIdELi16ELi32ELi8ELb0ELb0ELc67ELc85EKPKS1_KPS1_EviT_T0_PT8_S7_lSA_S7_lS8_PT9_S7_li
; %bb.0:
	s_load_b64 s[8:9], s[0:1], 0x58
	s_mov_b32 s18, s15
	s_mov_b32 s19, 0
	s_clause 0x1
	s_load_b64 s[2:3], s[0:1], 0x0
	s_load_b128 s[4:7], s[0:1], 0x8
	s_lshl_b64 s[20:21], s[18:19], 3
	v_mov_b32_e32 v16, 0
	v_dual_mov_b32 v17, 0 :: v_dual_and_b32 v20, 0x3ff, v0
	v_bfe_u32 v21, v0, 10, 10
	s_delay_alu instid0(VALU_DEP_3) | instskip(NEXT) | instid1(VALU_DEP_3)
	v_mov_b32_e32 v12, v16
	v_dual_mov_b32 v14, v16 :: v_dual_mov_b32 v15, v17
	v_dual_mov_b32 v19, v17 :: v_dual_mov_b32 v18, v16
	;; [unrolled: 1-line block ×5, first 2 shown]
	v_mov_b32_e32 v5, v17
	s_waitcnt lgkmcnt(0)
	s_add_u32 s16, s8, s20
	s_addc_u32 s17, s9, s21
	s_clause 0x1
	s_load_b64 s[22:23], s[0:1], 0x18
	s_load_b128 s[8:11], s[0:1], 0x48
	s_load_b64 s[16:17], s[16:17], 0x0
	v_dual_mov_b32 v6, v16 :: v_dual_mov_b32 v7, v17
	s_lshl_b32 s12, s13, 5
	s_lshl_b32 s13, s14, 5
	s_cmp_lt_i32 s3, 1
	s_cbranch_scc1 .LBB729_3
; %bb.1:
	s_clause 0x2
	s_load_b64 s[14:15], s[0:1], 0x30
	s_load_b32 s18, s[0:1], 0x20
	s_load_b32 s24, s[0:1], 0x38
	v_lshl_add_u32 v2, v21, 4, v20
	v_dual_mov_b32 v1, 0 :: v_dual_and_b32 v0, 7, v20
	s_waitcnt lgkmcnt(0)
	s_add_u32 s22, s22, s20
	v_lshlrev_b32_e32 v22, 4, v20
	v_and_b32_e32 v10, 31, v2
	s_addc_u32 s23, s23, s21
	v_lshrrev_b32_e32 v11, 3, v2
	v_lshrrev_b32_e32 v2, 5, v2
	s_delay_alu instid0(VALU_DEP_3)
	v_dual_mov_b32 v3, v1 :: v_dual_add_nc_u32 v6, s12, v10
	s_load_b64 s[22:23], s[22:23], 0x0
	v_lshl_add_u32 v23, v21, 7, 0x1000
	s_add_u32 s14, s14, s20
	s_addc_u32 s15, s15, s21
	v_mad_i64_i32 v[4:5], null, s18, v6, v[2:3]
	s_load_b64 s[14:15], s[14:15], 0x0
	v_dual_mov_b32 v6, 0 :: v_dual_lshlrev_b32 v3, 4, v0
	v_dual_mov_b32 v7, 0 :: v_dual_add_nc_u32 v12, s13, v11
	v_lshlrev_b32_e32 v10, 4, v10
	s_delay_alu instid0(VALU_DEP_3) | instskip(NEXT) | instid1(VALU_DEP_3)
	v_lshl_or_b32 v3, v11, 7, v3
	v_mov_b32_e32 v15, v7
	s_delay_alu instid0(VALU_DEP_4) | instskip(SKIP_1) | instid1(VALU_DEP_4)
	v_mad_i64_i32 v[8:9], null, s24, v12, v[0:1]
	v_lshlrev_b64 v[0:1], 4, v[4:5]
	v_dual_mov_b32 v4, v6 :: v_dual_add_nc_u32 v25, 0x1000, v3
	v_lshl_or_b32 v24, v2, 9, v10
	v_dual_mov_b32 v14, v6 :: v_dual_mov_b32 v13, v7
	v_lshlrev_b64 v[2:3], 4, v[8:9]
	s_waitcnt lgkmcnt(0)
	v_add_co_u32 v0, vcc_lo, v0, s22
	v_add_co_ci_u32_e32 v1, vcc_lo, s23, v1, vcc_lo
	v_mov_b32_e32 v9, v7
	s_delay_alu instid0(VALU_DEP_4)
	v_add_co_u32 v2, vcc_lo, v2, s14
	v_add_co_ci_u32_e32 v3, vcc_lo, s15, v3, vcc_lo
	v_add_co_u32 v0, vcc_lo, v0, 8
	v_mov_b32_e32 v8, v6
	v_add_co_ci_u32_e32 v1, vcc_lo, 0, v1, vcc_lo
	v_add_co_u32 v2, vcc_lo, v2, 8
	v_dual_mov_b32 v12, v6 :: v_dual_mov_b32 v19, v7
	v_dual_mov_b32 v18, v6 :: v_dual_mov_b32 v17, v7
	v_mov_b32_e32 v5, v7
	v_add_co_ci_u32_e32 v3, vcc_lo, 0, v3, vcc_lo
	v_dual_mov_b32 v11, v7 :: v_dual_mov_b32 v10, v6
	v_mov_b32_e32 v16, v6
.LBB729_2:                              ; =>This Inner Loop Header: Depth=1
	global_load_b128 v[26:29], v[0:1], off offset:-8
	global_load_b128 v[30:33], v[2:3], off offset:-8
	v_add_co_u32 v0, vcc_lo, 0x80, v0
	v_add_co_ci_u32_e32 v1, vcc_lo, 0, v1, vcc_lo
	v_add_co_u32 v2, vcc_lo, 0x80, v2
	v_add_co_ci_u32_e32 v3, vcc_lo, 0, v3, vcc_lo
	s_add_i32 s19, s19, 8
	s_waitcnt vmcnt(1)
	ds_store_b128 v24, v[26:29]
	s_waitcnt vmcnt(0)
	ds_store_b128 v25, v[30:33]
	s_waitcnt lgkmcnt(0)
	s_barrier
	buffer_gl0_inv
	ds_load_b128 v[26:29], v23
	ds_load_b128 v[30:33], v22
	ds_load_b128 v[34:37], v22 offset:256
	ds_load_b128 v[38:41], v23 offset:2048
	;; [unrolled: 1-line block ×13, first 2 shown]
	s_cmp_ge_i32 s19, s3
	s_waitcnt lgkmcnt(13)
	v_mul_f64 v[86:87], v[28:29], v[32:33]
	v_mul_f64 v[88:89], v[26:27], v[32:33]
	s_waitcnt lgkmcnt(12)
	v_mul_f64 v[90:91], v[28:29], v[36:37]
	v_mul_f64 v[92:93], v[26:27], v[36:37]
	s_waitcnt lgkmcnt(11)
	v_mul_f64 v[94:95], v[40:41], v[32:33]
	v_mul_f64 v[32:33], v[38:39], v[32:33]
	v_mul_f64 v[96:97], v[40:41], v[36:37]
	v_mul_f64 v[36:37], v[38:39], v[36:37]
	s_waitcnt lgkmcnt(8)
	v_mul_f64 v[98:99], v[44:45], v[52:53]
	v_mul_f64 v[100:101], v[42:43], v[52:53]
	s_waitcnt lgkmcnt(7)
	v_mul_f64 v[102:103], v[44:45], v[56:57]
	v_mul_f64 v[104:105], v[42:43], v[56:57]
	;; [unrolled: 1-line block ×6, first 2 shown]
	s_waitcnt lgkmcnt(3)
	v_mul_f64 v[112:113], v[58:59], v[72:73]
	s_waitcnt lgkmcnt(2)
	v_mul_f64 v[114:115], v[76:77], v[68:69]
	v_mul_f64 v[116:117], v[76:77], v[72:73]
	v_fma_f64 v[86:87], v[26:27], v[30:31], -v[86:87]
	v_fma_f64 v[88:89], v[28:29], v[30:31], v[88:89]
	v_fma_f64 v[90:91], v[26:27], v[34:35], -v[90:91]
	v_fma_f64 v[92:93], v[28:29], v[34:35], v[92:93]
	;; [unrolled: 2-line block ×4, first 2 shown]
	v_mul_f64 v[36:37], v[60:61], v[68:69]
	v_mul_f64 v[40:41], v[58:59], v[68:69]
	;; [unrolled: 1-line block ×5, first 2 shown]
	v_fma_f64 v[98:99], v[42:43], v[50:51], -v[98:99]
	v_fma_f64 v[100:101], v[44:45], v[50:51], v[100:101]
	v_fma_f64 v[42:43], v[42:43], v[54:55], -v[102:103]
	v_fma_f64 v[44:45], v[44:45], v[54:55], v[104:105]
	v_fma_f64 v[102:103], v[46:47], v[50:51], -v[106:107]
	v_fma_f64 v[50:51], v[48:49], v[50:51], v[52:53]
	v_fma_f64 v[46:47], v[46:47], v[54:55], -v[108:109]
	v_fma_f64 v[48:49], v[48:49], v[54:55], v[56:57]
	ds_load_b128 v[26:29], v22 offset:1792
	ds_load_b128 v[30:33], v22 offset:2048
	s_waitcnt lgkmcnt(2)
	v_mul_f64 v[56:57], v[64:65], v[84:85]
	v_add_f64 v[16:17], v[16:17], v[86:87]
	v_add_f64 v[18:19], v[18:19], v[88:89]
	;; [unrolled: 1-line block ×8, first 2 shown]
	v_mul_f64 v[86:87], v[62:63], v[84:85]
	s_waitcnt lgkmcnt(1)
	v_mul_f64 v[88:89], v[64:65], v[28:29]
	v_mul_f64 v[90:91], v[62:63], v[28:29]
	;; [unrolled: 1-line block ×6, first 2 shown]
	v_fma_f64 v[104:105], v[58:59], v[66:67], -v[36:37]
	v_fma_f64 v[106:107], v[60:61], v[66:67], v[40:41]
	v_fma_f64 v[58:59], v[58:59], v[70:71], -v[96:97]
	v_fma_f64 v[60:61], v[60:61], v[70:71], v[112:113]
	;; [unrolled: 2-line block ×4, first 2 shown]
	ds_load_b128 v[4:7], v22 offset:2304
	ds_load_b128 v[8:11], v23 offset:64
	v_fma_f64 v[56:57], v[62:63], v[82:83], -v[56:57]
	v_add_f64 v[72:73], v[16:17], v[98:99]
	v_add_f64 v[74:75], v[18:19], v[100:101]
	;; [unrolled: 1-line block ×8, first 2 shown]
	ds_load_b128 v[12:15], v23 offset:2112
	ds_load_b128 v[16:19], v23 offset:80
	;; [unrolled: 1-line block ×4, first 2 shown]
	s_waitcnt lgkmcnt(4)
	v_mul_f64 v[54:55], v[10:11], v[32:33]
	v_mul_f64 v[76:77], v[8:9], v[32:33]
	;; [unrolled: 1-line block ×4, first 2 shown]
	v_fma_f64 v[86:87], v[64:65], v[82:83], v[86:87]
	v_fma_f64 v[62:63], v[62:63], v[26:27], -v[88:89]
	v_fma_f64 v[64:65], v[64:65], v[26:27], v[90:91]
	v_fma_f64 v[88:89], v[78:79], v[82:83], -v[92:93]
	;; [unrolled: 2-line block ×3, first 2 shown]
	v_fma_f64 v[80:81], v[80:81], v[26:27], v[28:29]
	s_waitcnt lgkmcnt(3)
	v_mul_f64 v[102:103], v[14:15], v[32:33]
	v_mul_f64 v[32:33], v[12:13], v[32:33]
	;; [unrolled: 1-line block ×4, first 2 shown]
	s_waitcnt lgkmcnt(0)
	v_mul_f64 v[90:91], v[18:19], v[40:41]
	v_mul_f64 v[92:93], v[16:17], v[40:41]
	v_add_f64 v[72:73], v[72:73], v[104:105]
	v_add_f64 v[74:75], v[74:75], v[106:107]
	;; [unrolled: 1-line block ×8, first 2 shown]
	ds_load_b128 v[26:29], v22 offset:2816
	ds_load_b128 v[42:45], v22 offset:3072
	;; [unrolled: 1-line block ×4, first 2 shown]
	v_mul_f64 v[104:105], v[36:37], v[40:41]
	v_mul_f64 v[40:41], v[34:35], v[40:41]
	v_fma_f64 v[54:55], v[8:9], v[30:31], -v[54:55]
	v_fma_f64 v[76:77], v[10:11], v[30:31], v[76:77]
	v_fma_f64 v[98:99], v[8:9], v[4:5], -v[98:99]
	v_fma_f64 v[100:101], v[10:11], v[4:5], v[100:101]
	s_waitcnt lgkmcnt(3)
	v_mul_f64 v[94:95], v[18:19], v[28:29]
	v_mul_f64 v[96:97], v[16:17], v[28:29]
	;; [unrolled: 1-line block ×4, first 2 shown]
	v_fma_f64 v[102:103], v[12:13], v[30:31], -v[102:103]
	v_fma_f64 v[32:33], v[14:15], v[30:31], v[32:33]
	v_fma_f64 v[108:109], v[12:13], v[4:5], -v[108:109]
	v_fma_f64 v[112:113], v[14:15], v[4:5], v[6:7]
	ds_load_b128 v[4:7], v23 offset:2144
	ds_load_b128 v[8:11], v23 offset:112
	;; [unrolled: 1-line block ×4, first 2 shown]
	v_add_f64 v[56:57], v[72:73], v[56:57]
	v_add_f64 v[72:73], v[74:75], v[86:87]
	v_add_f64 v[58:59], v[58:59], v[62:63]
	v_add_f64 v[60:61], v[60:61], v[64:65]
	v_add_f64 v[62:63], v[84:85], v[88:89]
	v_add_f64 v[64:65], v[66:67], v[82:83]
	v_add_f64 v[66:67], v[68:69], v[78:79]
	v_add_f64 v[68:69], v[70:71], v[80:81]
	s_waitcnt lgkmcnt(4)
	v_mul_f64 v[70:71], v[52:53], v[44:45]
	v_mul_f64 v[74:75], v[50:51], v[44:45]
	;; [unrolled: 1-line block ×4, first 2 shown]
	s_waitcnt lgkmcnt(3)
	v_mul_f64 v[82:83], v[6:7], v[44:45]
	v_mul_f64 v[44:45], v[4:5], v[44:45]
	;; [unrolled: 1-line block ×4, first 2 shown]
	v_fma_f64 v[86:87], v[16:17], v[38:39], -v[90:91]
	v_fma_f64 v[88:89], v[18:19], v[38:39], v[92:93]
	v_fma_f64 v[90:91], v[16:17], v[26:27], -v[94:95]
	v_fma_f64 v[92:93], v[18:19], v[26:27], v[96:97]
	;; [unrolled: 2-line block ×4, first 2 shown]
	ds_load_b128 v[16:19], v22 offset:3840
	s_waitcnt lgkmcnt(0)
	s_barrier
	buffer_gl0_inv
	v_add_f64 v[36:37], v[56:57], v[54:55]
	v_add_f64 v[40:41], v[72:73], v[76:77]
	;; [unrolled: 1-line block ×8, first 2 shown]
	v_mul_f64 v[64:65], v[10:11], v[30:31]
	v_mul_f64 v[66:67], v[8:9], v[30:31]
	;; [unrolled: 1-line block ×4, first 2 shown]
	v_fma_f64 v[70:71], v[50:51], v[42:43], -v[70:71]
	v_mul_f64 v[68:69], v[10:11], v[18:19]
	v_mul_f64 v[72:73], v[8:9], v[18:19]
	;; [unrolled: 1-line block ×4, first 2 shown]
	v_fma_f64 v[74:75], v[52:53], v[42:43], v[74:75]
	v_fma_f64 v[50:51], v[50:51], v[46:47], -v[78:79]
	v_fma_f64 v[52:53], v[52:53], v[46:47], v[80:81]
	v_fma_f64 v[78:79], v[4:5], v[42:43], -v[82:83]
	;; [unrolled: 2-line block ×3, first 2 shown]
	v_fma_f64 v[6:7], v[6:7], v[46:47], v[48:49]
	v_add_f64 v[36:37], v[36:37], v[86:87]
	v_add_f64 v[40:41], v[40:41], v[88:89]
	;; [unrolled: 1-line block ×8, first 2 shown]
	v_fma_f64 v[38:39], v[8:9], v[28:29], -v[64:65]
	v_fma_f64 v[54:55], v[10:11], v[28:29], v[66:67]
	v_fma_f64 v[56:57], v[12:13], v[28:29], -v[76:77]
	v_fma_f64 v[28:29], v[14:15], v[28:29], v[30:31]
	;; [unrolled: 2-line block ×4, first 2 shown]
	v_add_f64 v[12:13], v[36:37], v[70:71]
	v_add_f64 v[14:15], v[40:41], v[74:75]
	;; [unrolled: 1-line block ×16, first 2 shown]
	s_cbranch_scc0 .LBB729_2
.LBB729_3:
	s_load_b32 s3, s[0:1], 0x60
	v_add_nc_u32_e32 v21, s13, v21
	v_add_nc_u32_e32 v0, s12, v20
	s_delay_alu instid0(VALU_DEP_2) | instskip(NEXT) | instid1(VALU_DEP_2)
	v_cmp_gt_i32_e32 vcc_lo, s2, v21
	v_cmp_le_i32_e64 s0, v0, v21
	s_delay_alu instid0(VALU_DEP_1) | instskip(SKIP_2) | instid1(VALU_DEP_1)
	s_and_b32 s0, vcc_lo, s0
	s_waitcnt lgkmcnt(0)
	v_mad_i64_i32 v[1:2], null, v21, s3, 0
	v_lshlrev_b64 v[1:2], 4, v[1:2]
	s_delay_alu instid0(VALU_DEP_1) | instskip(NEXT) | instid1(VALU_DEP_1)
	v_add_co_u32 v20, s1, s16, v1
	v_add_co_ci_u32_e64 v22, s1, s17, v2, s1
	s_and_saveexec_b32 s1, s0
	s_cbranch_execz .LBB729_5
; %bb.4:
	v_ashrrev_i32_e32 v1, 31, v0
	v_mul_f64 v[27:28], s[6:7], v[18:19]
	v_mul_f64 v[18:19], s[4:5], v[18:19]
	s_delay_alu instid0(VALU_DEP_3) | instskip(NEXT) | instid1(VALU_DEP_1)
	v_lshlrev_b64 v[1:2], 4, v[0:1]
	v_add_co_u32 v1, s0, v20, v1
	s_delay_alu instid0(VALU_DEP_1)
	v_add_co_ci_u32_e64 v2, s0, v22, v2, s0
	global_load_b128 v[23:26], v[1:2], off
	v_fma_f64 v[27:28], s[4:5], v[16:17], -v[27:28]
	v_fma_f64 v[18:19], s[6:7], v[16:17], v[18:19]
	s_waitcnt vmcnt(0)
	v_mul_f64 v[29:30], s[10:11], v[25:26]
	v_mul_f64 v[25:26], s[8:9], v[25:26]
	s_delay_alu instid0(VALU_DEP_2) | instskip(NEXT) | instid1(VALU_DEP_2)
	v_fma_f64 v[16:17], s[8:9], v[23:24], -v[29:30]
	v_fma_f64 v[23:24], s[10:11], v[23:24], v[25:26]
	s_delay_alu instid0(VALU_DEP_2) | instskip(NEXT) | instid1(VALU_DEP_2)
	v_add_f64 v[16:17], v[27:28], v[16:17]
	v_add_f64 v[18:19], v[18:19], v[23:24]
	global_store_b128 v[1:2], v[16:19], off
.LBB729_5:
	s_or_b32 exec_lo, exec_lo, s1
	v_add_nc_u32_e32 v2, 16, v0
	s_delay_alu instid0(VALU_DEP_1) | instskip(NEXT) | instid1(VALU_DEP_1)
	v_cmp_le_i32_e64 s0, v2, v21
	s_and_b32 s1, vcc_lo, s0
	s_delay_alu instid0(SALU_CYCLE_1)
	s_and_saveexec_b32 s0, s1
	s_cbranch_execz .LBB729_7
; %bb.6:
	v_ashrrev_i32_e32 v3, 31, v2
	v_mul_f64 v[25:26], s[6:7], v[14:15]
	v_mul_f64 v[14:15], s[4:5], v[14:15]
	s_delay_alu instid0(VALU_DEP_3) | instskip(NEXT) | instid1(VALU_DEP_1)
	v_lshlrev_b64 v[16:17], 4, v[2:3]
	v_add_co_u32 v23, vcc_lo, v20, v16
	s_delay_alu instid0(VALU_DEP_2)
	v_add_co_ci_u32_e32 v24, vcc_lo, v22, v17, vcc_lo
	global_load_b128 v[16:19], v[23:24], off
	v_fma_f64 v[25:26], s[4:5], v[12:13], -v[25:26]
	v_fma_f64 v[14:15], s[6:7], v[12:13], v[14:15]
	s_waitcnt vmcnt(0)
	v_mul_f64 v[27:28], s[10:11], v[18:19]
	v_mul_f64 v[18:19], s[8:9], v[18:19]
	s_delay_alu instid0(VALU_DEP_2) | instskip(NEXT) | instid1(VALU_DEP_2)
	v_fma_f64 v[12:13], s[8:9], v[16:17], -v[27:28]
	v_fma_f64 v[16:17], s[10:11], v[16:17], v[18:19]
	s_delay_alu instid0(VALU_DEP_2) | instskip(NEXT) | instid1(VALU_DEP_2)
	v_add_f64 v[12:13], v[25:26], v[12:13]
	v_add_f64 v[14:15], v[14:15], v[16:17]
	global_store_b128 v[23:24], v[12:15], off
.LBB729_7:
	s_or_b32 exec_lo, exec_lo, s0
	v_add_nc_u32_e32 v3, 16, v21
	s_delay_alu instid0(VALU_DEP_1) | instskip(SKIP_2) | instid1(VALU_DEP_1)
	v_mad_i64_i32 v[12:13], null, v3, s3, 0
	v_cmp_gt_i32_e32 vcc_lo, s2, v3
	v_cmp_le_i32_e64 s0, v0, v3
	s_and_b32 s0, vcc_lo, s0
	s_delay_alu instid0(VALU_DEP_3) | instskip(NEXT) | instid1(VALU_DEP_1)
	v_lshlrev_b64 v[12:13], 4, v[12:13]
	v_add_co_u32 v12, s1, s16, v12
	s_delay_alu instid0(VALU_DEP_1)
	v_add_co_ci_u32_e64 v13, s1, s17, v13, s1
	s_and_saveexec_b32 s1, s0
	s_cbranch_execz .LBB729_9
; %bb.8:
	v_ashrrev_i32_e32 v1, 31, v0
	v_mul_f64 v[18:19], s[6:7], v[10:11]
	v_mul_f64 v[10:11], s[4:5], v[10:11]
	s_delay_alu instid0(VALU_DEP_3) | instskip(NEXT) | instid1(VALU_DEP_1)
	v_lshlrev_b64 v[0:1], 4, v[0:1]
	v_add_co_u32 v0, s0, v12, v0
	s_delay_alu instid0(VALU_DEP_1)
	v_add_co_ci_u32_e64 v1, s0, v13, v1, s0
	global_load_b128 v[14:17], v[0:1], off
	v_fma_f64 v[18:19], s[4:5], v[8:9], -v[18:19]
	v_fma_f64 v[10:11], s[6:7], v[8:9], v[10:11]
	s_waitcnt vmcnt(0)
	v_mul_f64 v[20:21], s[10:11], v[16:17]
	v_mul_f64 v[16:17], s[8:9], v[16:17]
	s_delay_alu instid0(VALU_DEP_2) | instskip(NEXT) | instid1(VALU_DEP_2)
	v_fma_f64 v[8:9], s[8:9], v[14:15], -v[20:21]
	v_fma_f64 v[14:15], s[10:11], v[14:15], v[16:17]
	s_delay_alu instid0(VALU_DEP_2) | instskip(NEXT) | instid1(VALU_DEP_2)
	v_add_f64 v[8:9], v[18:19], v[8:9]
	v_add_f64 v[10:11], v[10:11], v[14:15]
	global_store_b128 v[0:1], v[8:11], off
.LBB729_9:
	s_or_b32 exec_lo, exec_lo, s1
	v_cmp_le_i32_e64 s0, v2, v3
	s_delay_alu instid0(VALU_DEP_1) | instskip(NEXT) | instid1(SALU_CYCLE_1)
	s_and_b32 s0, vcc_lo, s0
	s_and_saveexec_b32 s1, s0
	s_cbranch_execz .LBB729_11
; %bb.10:
	v_ashrrev_i32_e32 v3, 31, v2
	v_mul_f64 v[10:11], s[6:7], v[6:7]
	v_mul_f64 v[6:7], s[4:5], v[6:7]
	s_delay_alu instid0(VALU_DEP_3) | instskip(NEXT) | instid1(VALU_DEP_1)
	v_lshlrev_b64 v[0:1], 4, v[2:3]
	v_add_co_u32 v8, vcc_lo, v12, v0
	s_delay_alu instid0(VALU_DEP_2)
	v_add_co_ci_u32_e32 v9, vcc_lo, v13, v1, vcc_lo
	global_load_b128 v[0:3], v[8:9], off
	v_fma_f64 v[10:11], s[4:5], v[4:5], -v[10:11]
	v_fma_f64 v[4:5], s[6:7], v[4:5], v[6:7]
	s_waitcnt vmcnt(0)
	v_mul_f64 v[12:13], s[10:11], v[2:3]
	v_mul_f64 v[2:3], s[8:9], v[2:3]
	s_delay_alu instid0(VALU_DEP_2) | instskip(NEXT) | instid1(VALU_DEP_2)
	v_fma_f64 v[6:7], s[8:9], v[0:1], -v[12:13]
	v_fma_f64 v[2:3], s[10:11], v[0:1], v[2:3]
	s_delay_alu instid0(VALU_DEP_2) | instskip(NEXT) | instid1(VALU_DEP_2)
	v_add_f64 v[0:1], v[10:11], v[6:7]
	v_add_f64 v[2:3], v[4:5], v[2:3]
	global_store_b128 v[8:9], v[0:3], off
.LBB729_11:
	s_nop 0
	s_sendmsg sendmsg(MSG_DEALLOC_VGPRS)
	s_endpgm
	.section	.rodata,"a",@progbits
	.p2align	6, 0x0
	.amdhsa_kernel _ZL37rocblas_syrkx_herkx_restricted_kernelIi19rocblas_complex_numIdELi16ELi32ELi8ELb0ELb0ELc67ELc85EKPKS1_KPS1_EviT_T0_PT8_S7_lSA_S7_lS8_PT9_S7_li
		.amdhsa_group_segment_fixed_size 8192
		.amdhsa_private_segment_fixed_size 0
		.amdhsa_kernarg_size 116
		.amdhsa_user_sgpr_count 13
		.amdhsa_user_sgpr_dispatch_ptr 0
		.amdhsa_user_sgpr_queue_ptr 0
		.amdhsa_user_sgpr_kernarg_segment_ptr 1
		.amdhsa_user_sgpr_dispatch_id 0
		.amdhsa_user_sgpr_private_segment_size 0
		.amdhsa_wavefront_size32 1
		.amdhsa_uses_dynamic_stack 0
		.amdhsa_enable_private_segment 0
		.amdhsa_system_sgpr_workgroup_id_x 1
		.amdhsa_system_sgpr_workgroup_id_y 1
		.amdhsa_system_sgpr_workgroup_id_z 1
		.amdhsa_system_sgpr_workgroup_info 0
		.amdhsa_system_vgpr_workitem_id 1
		.amdhsa_next_free_vgpr 118
		.amdhsa_next_free_sgpr 25
		.amdhsa_reserve_vcc 1
		.amdhsa_float_round_mode_32 0
		.amdhsa_float_round_mode_16_64 0
		.amdhsa_float_denorm_mode_32 3
		.amdhsa_float_denorm_mode_16_64 3
		.amdhsa_dx10_clamp 1
		.amdhsa_ieee_mode 1
		.amdhsa_fp16_overflow 0
		.amdhsa_workgroup_processor_mode 1
		.amdhsa_memory_ordered 1
		.amdhsa_forward_progress 0
		.amdhsa_shared_vgpr_count 0
		.amdhsa_exception_fp_ieee_invalid_op 0
		.amdhsa_exception_fp_denorm_src 0
		.amdhsa_exception_fp_ieee_div_zero 0
		.amdhsa_exception_fp_ieee_overflow 0
		.amdhsa_exception_fp_ieee_underflow 0
		.amdhsa_exception_fp_ieee_inexact 0
		.amdhsa_exception_int_div_zero 0
	.end_amdhsa_kernel
	.section	.text._ZL37rocblas_syrkx_herkx_restricted_kernelIi19rocblas_complex_numIdELi16ELi32ELi8ELb0ELb0ELc67ELc85EKPKS1_KPS1_EviT_T0_PT8_S7_lSA_S7_lS8_PT9_S7_li,"axG",@progbits,_ZL37rocblas_syrkx_herkx_restricted_kernelIi19rocblas_complex_numIdELi16ELi32ELi8ELb0ELb0ELc67ELc85EKPKS1_KPS1_EviT_T0_PT8_S7_lSA_S7_lS8_PT9_S7_li,comdat
.Lfunc_end729:
	.size	_ZL37rocblas_syrkx_herkx_restricted_kernelIi19rocblas_complex_numIdELi16ELi32ELi8ELb0ELb0ELc67ELc85EKPKS1_KPS1_EviT_T0_PT8_S7_lSA_S7_lS8_PT9_S7_li, .Lfunc_end729-_ZL37rocblas_syrkx_herkx_restricted_kernelIi19rocblas_complex_numIdELi16ELi32ELi8ELb0ELb0ELc67ELc85EKPKS1_KPS1_EviT_T0_PT8_S7_lSA_S7_lS8_PT9_S7_li
                                        ; -- End function
	.section	.AMDGPU.csdata,"",@progbits
; Kernel info:
; codeLenInByte = 3272
; NumSgprs: 27
; NumVgprs: 118
; ScratchSize: 0
; MemoryBound: 0
; FloatMode: 240
; IeeeMode: 1
; LDSByteSize: 8192 bytes/workgroup (compile time only)
; SGPRBlocks: 3
; VGPRBlocks: 14
; NumSGPRsForWavesPerEU: 27
; NumVGPRsForWavesPerEU: 118
; Occupancy: 12
; WaveLimiterHint : 1
; COMPUTE_PGM_RSRC2:SCRATCH_EN: 0
; COMPUTE_PGM_RSRC2:USER_SGPR: 13
; COMPUTE_PGM_RSRC2:TRAP_HANDLER: 0
; COMPUTE_PGM_RSRC2:TGID_X_EN: 1
; COMPUTE_PGM_RSRC2:TGID_Y_EN: 1
; COMPUTE_PGM_RSRC2:TGID_Z_EN: 1
; COMPUTE_PGM_RSRC2:TIDIG_COMP_CNT: 1
	.section	.text._ZL37rocblas_syrkx_herkx_restricted_kernelIi19rocblas_complex_numIdELi16ELi32ELi8ELb0ELb0ELc78ELc85EKPKS1_KPS1_EviT_T0_PT8_S7_lSA_S7_lS8_PT9_S7_li,"axG",@progbits,_ZL37rocblas_syrkx_herkx_restricted_kernelIi19rocblas_complex_numIdELi16ELi32ELi8ELb0ELb0ELc78ELc85EKPKS1_KPS1_EviT_T0_PT8_S7_lSA_S7_lS8_PT9_S7_li,comdat
	.globl	_ZL37rocblas_syrkx_herkx_restricted_kernelIi19rocblas_complex_numIdELi16ELi32ELi8ELb0ELb0ELc78ELc85EKPKS1_KPS1_EviT_T0_PT8_S7_lSA_S7_lS8_PT9_S7_li ; -- Begin function _ZL37rocblas_syrkx_herkx_restricted_kernelIi19rocblas_complex_numIdELi16ELi32ELi8ELb0ELb0ELc78ELc85EKPKS1_KPS1_EviT_T0_PT8_S7_lSA_S7_lS8_PT9_S7_li
	.p2align	8
	.type	_ZL37rocblas_syrkx_herkx_restricted_kernelIi19rocblas_complex_numIdELi16ELi32ELi8ELb0ELb0ELc78ELc85EKPKS1_KPS1_EviT_T0_PT8_S7_lSA_S7_lS8_PT9_S7_li,@function
_ZL37rocblas_syrkx_herkx_restricted_kernelIi19rocblas_complex_numIdELi16ELi32ELi8ELb0ELb0ELc78ELc85EKPKS1_KPS1_EviT_T0_PT8_S7_lSA_S7_lS8_PT9_S7_li: ; @_ZL37rocblas_syrkx_herkx_restricted_kernelIi19rocblas_complex_numIdELi16ELi32ELi8ELb0ELb0ELc78ELc85EKPKS1_KPS1_EviT_T0_PT8_S7_lSA_S7_lS8_PT9_S7_li
; %bb.0:
	s_load_b64 s[8:9], s[0:1], 0x58
	s_mov_b32 s18, s15
	s_mov_b32 s19, 0
	s_clause 0x1
	s_load_b64 s[2:3], s[0:1], 0x0
	s_load_b128 s[4:7], s[0:1], 0x8
	s_lshl_b64 s[20:21], s[18:19], 3
	v_mov_b32_e32 v16, 0
	v_dual_mov_b32 v17, 0 :: v_dual_and_b32 v20, 0x3ff, v0
	v_bfe_u32 v21, v0, 10, 10
	s_delay_alu instid0(VALU_DEP_3) | instskip(NEXT) | instid1(VALU_DEP_3)
	v_mov_b32_e32 v12, v16
	v_dual_mov_b32 v14, v16 :: v_dual_mov_b32 v15, v17
	v_dual_mov_b32 v19, v17 :: v_dual_mov_b32 v18, v16
	;; [unrolled: 1-line block ×5, first 2 shown]
	v_mov_b32_e32 v7, v17
	s_waitcnt lgkmcnt(0)
	s_add_u32 s16, s8, s20
	s_addc_u32 s17, s9, s21
	s_clause 0x1
	s_load_b64 s[22:23], s[0:1], 0x18
	s_load_b128 s[8:11], s[0:1], 0x48
	s_load_b64 s[16:17], s[16:17], 0x0
	v_dual_mov_b32 v4, v16 :: v_dual_mov_b32 v5, v17
	s_lshl_b32 s18, s13, 5
	s_lshl_b32 s24, s14, 5
	s_cmp_lt_i32 s3, 1
	s_cbranch_scc1 .LBB730_3
; %bb.1:
	s_clause 0x2
	s_load_b32 s12, s[0:1], 0x20
	s_load_b32 s14, s[0:1], 0x38
	s_load_b64 s[26:27], s[0:1], 0x30
	v_lshl_add_u32 v0, v21, 4, v20
	v_and_b32_e32 v6, 7, v20
	v_mov_b32_e32 v4, 0
	v_dual_mov_b32 v5, 0 :: v_dual_lshlrev_b32 v22, 4, v20
	s_delay_alu instid0(VALU_DEP_4)
	v_lshrrev_b32_e32 v7, 3, v0
	v_and_b32_e32 v10, 31, v0
	v_lshlrev_b32_e32 v11, 4, v6
	v_lshrrev_b32_e32 v12, 5, v0
	v_lshl_add_u32 v23, v21, 7, 0x1000
	v_add_nc_u32_e32 v0, s24, v7
	v_add_nc_u32_e32 v2, s18, v10
	v_lshl_or_b32 v14, v7, 7, v11
	v_dual_mov_b32 v19, v5 :: v_dual_mov_b32 v18, v4
	s_delay_alu instid0(VALU_DEP_4)
	v_ashrrev_i32_e32 v1, 31, v0
	v_mov_b32_e32 v17, v5
	s_waitcnt lgkmcnt(0)
	s_ashr_i32 s13, s12, 31
	s_ashr_i32 s15, s14, 31
	s_add_u32 s22, s22, s20
	s_addc_u32 s23, s23, s21
	s_add_u32 s20, s26, s20
	s_load_b64 s[22:23], s[22:23], 0x0
	s_addc_u32 s21, s27, s21
	v_add_nc_u32_e32 v25, 0x1000, v14
	v_mov_b32_e32 v15, v5
	v_ashrrev_i32_e32 v3, 31, v2
	s_load_b64 s[20:21], s[20:21], 0x0
	v_mov_b32_e32 v14, v4
	v_mov_b32_e32 v16, v4
	s_delay_alu instid0(VALU_DEP_3)
	v_mad_i64_i32 v[8:9], null, s12, v12, v[2:3]
	v_mad_i64_i32 v[2:3], null, s14, v6, v[0:1]
	v_mov_b32_e32 v7, v5
	v_dual_mov_b32 v6, v4 :: v_dual_lshlrev_b32 v13, 4, v10
	v_mov_b32_e32 v11, v5
	v_lshlrev_b64 v[0:1], 4, v[8:9]
	v_mov_b32_e32 v10, v4
	v_lshlrev_b64 v[2:3], 4, v[2:3]
	v_lshl_or_b32 v24, v12, 9, v13
	v_mov_b32_e32 v13, v5
	v_mov_b32_e32 v9, v5
	s_waitcnt lgkmcnt(0)
	v_add_co_u32 v0, vcc_lo, v0, s22
	v_add_co_ci_u32_e32 v1, vcc_lo, s23, v1, vcc_lo
	v_add_co_u32 v2, vcc_lo, v2, s20
	v_add_co_ci_u32_e32 v3, vcc_lo, s21, v3, vcc_lo
	s_delay_alu instid0(VALU_DEP_4) | instskip(NEXT) | instid1(VALU_DEP_4)
	v_add_co_u32 v0, vcc_lo, v0, 8
	v_add_co_ci_u32_e32 v1, vcc_lo, 0, v1, vcc_lo
	s_delay_alu instid0(VALU_DEP_4)
	v_add_co_u32 v2, vcc_lo, v2, 8
	v_mov_b32_e32 v12, v4
	v_add_co_ci_u32_e32 v3, vcc_lo, 0, v3, vcc_lo
	v_mov_b32_e32 v8, v4
	s_lshl_b64 s[12:13], s[12:13], 7
	s_lshl_b64 s[14:15], s[14:15], 7
.LBB730_2:                              ; =>This Inner Loop Header: Depth=1
	global_load_b128 v[26:29], v[0:1], off offset:-8
	global_load_b128 v[30:33], v[2:3], off offset:-8
	v_add_co_u32 v0, vcc_lo, v0, s12
	v_add_co_ci_u32_e32 v1, vcc_lo, s13, v1, vcc_lo
	v_add_co_u32 v2, vcc_lo, v2, s14
	v_add_co_ci_u32_e32 v3, vcc_lo, s15, v3, vcc_lo
	s_add_i32 s19, s19, 8
	s_waitcnt vmcnt(1)
	ds_store_b128 v24, v[26:29]
	s_waitcnt vmcnt(0)
	ds_store_b128 v25, v[30:33]
	s_waitcnt lgkmcnt(0)
	s_barrier
	buffer_gl0_inv
	ds_load_b128 v[26:29], v23
	ds_load_b128 v[30:33], v22
	ds_load_b128 v[34:37], v22 offset:256
	ds_load_b128 v[38:41], v23 offset:2048
	;; [unrolled: 1-line block ×13, first 2 shown]
	s_cmp_ge_i32 s19, s3
	s_waitcnt lgkmcnt(13)
	v_mul_f64 v[86:87], v[28:29], v[32:33]
	v_mul_f64 v[88:89], v[26:27], v[32:33]
	s_waitcnt lgkmcnt(12)
	v_mul_f64 v[90:91], v[28:29], v[36:37]
	v_mul_f64 v[92:93], v[26:27], v[36:37]
	;; [unrolled: 3-line block ×3, first 2 shown]
	v_mul_f64 v[96:97], v[40:41], v[36:37]
	v_mul_f64 v[36:37], v[38:39], v[36:37]
	s_waitcnt lgkmcnt(8)
	v_mul_f64 v[98:99], v[44:45], v[52:53]
	v_mul_f64 v[100:101], v[42:43], v[52:53]
	s_waitcnt lgkmcnt(7)
	v_mul_f64 v[102:103], v[44:45], v[56:57]
	v_mul_f64 v[104:105], v[42:43], v[56:57]
	;; [unrolled: 1-line block ×6, first 2 shown]
	s_waitcnt lgkmcnt(3)
	v_mul_f64 v[112:113], v[58:59], v[72:73]
	s_waitcnt lgkmcnt(2)
	v_mul_f64 v[114:115], v[76:77], v[68:69]
	v_mul_f64 v[116:117], v[76:77], v[72:73]
	v_fma_f64 v[86:87], v[26:27], v[30:31], -v[86:87]
	v_fma_f64 v[88:89], v[28:29], v[30:31], v[88:89]
	v_fma_f64 v[90:91], v[26:27], v[34:35], -v[90:91]
	v_fma_f64 v[92:93], v[28:29], v[34:35], v[92:93]
	;; [unrolled: 2-line block ×4, first 2 shown]
	v_mul_f64 v[36:37], v[60:61], v[68:69]
	v_mul_f64 v[40:41], v[58:59], v[68:69]
	;; [unrolled: 1-line block ×5, first 2 shown]
	v_fma_f64 v[98:99], v[42:43], v[50:51], -v[98:99]
	v_fma_f64 v[100:101], v[44:45], v[50:51], v[100:101]
	v_fma_f64 v[42:43], v[42:43], v[54:55], -v[102:103]
	v_fma_f64 v[44:45], v[44:45], v[54:55], v[104:105]
	;; [unrolled: 2-line block ×4, first 2 shown]
	ds_load_b128 v[26:29], v22 offset:1792
	ds_load_b128 v[30:33], v22 offset:2048
	s_waitcnt lgkmcnt(2)
	v_mul_f64 v[56:57], v[64:65], v[84:85]
	v_add_f64 v[16:17], v[16:17], v[86:87]
	v_add_f64 v[18:19], v[18:19], v[88:89]
	;; [unrolled: 1-line block ×8, first 2 shown]
	v_mul_f64 v[86:87], v[62:63], v[84:85]
	s_waitcnt lgkmcnt(1)
	v_mul_f64 v[88:89], v[64:65], v[28:29]
	v_mul_f64 v[90:91], v[62:63], v[28:29]
	;; [unrolled: 1-line block ×6, first 2 shown]
	v_fma_f64 v[104:105], v[58:59], v[66:67], -v[36:37]
	v_fma_f64 v[106:107], v[60:61], v[66:67], v[40:41]
	v_fma_f64 v[58:59], v[58:59], v[70:71], -v[96:97]
	v_fma_f64 v[60:61], v[60:61], v[70:71], v[112:113]
	;; [unrolled: 2-line block ×4, first 2 shown]
	ds_load_b128 v[4:7], v22 offset:2304
	ds_load_b128 v[8:11], v23 offset:64
	v_fma_f64 v[56:57], v[62:63], v[82:83], -v[56:57]
	v_add_f64 v[72:73], v[16:17], v[98:99]
	v_add_f64 v[74:75], v[18:19], v[100:101]
	;; [unrolled: 1-line block ×8, first 2 shown]
	ds_load_b128 v[12:15], v23 offset:2112
	ds_load_b128 v[16:19], v23 offset:80
	ds_load_b128 v[34:37], v23 offset:2128
	ds_load_b128 v[38:41], v22 offset:2560
	s_waitcnt lgkmcnt(4)
	v_mul_f64 v[54:55], v[10:11], v[32:33]
	v_mul_f64 v[76:77], v[8:9], v[32:33]
	;; [unrolled: 1-line block ×4, first 2 shown]
	v_fma_f64 v[86:87], v[64:65], v[82:83], v[86:87]
	v_fma_f64 v[62:63], v[62:63], v[26:27], -v[88:89]
	v_fma_f64 v[64:65], v[64:65], v[26:27], v[90:91]
	v_fma_f64 v[88:89], v[78:79], v[82:83], -v[92:93]
	;; [unrolled: 2-line block ×3, first 2 shown]
	v_fma_f64 v[80:81], v[80:81], v[26:27], v[28:29]
	s_waitcnt lgkmcnt(3)
	v_mul_f64 v[102:103], v[14:15], v[32:33]
	v_mul_f64 v[32:33], v[12:13], v[32:33]
	;; [unrolled: 1-line block ×4, first 2 shown]
	s_waitcnt lgkmcnt(0)
	v_mul_f64 v[90:91], v[18:19], v[40:41]
	v_mul_f64 v[92:93], v[16:17], v[40:41]
	v_add_f64 v[72:73], v[72:73], v[104:105]
	v_add_f64 v[74:75], v[74:75], v[106:107]
	;; [unrolled: 1-line block ×8, first 2 shown]
	ds_load_b128 v[26:29], v22 offset:2816
	ds_load_b128 v[42:45], v22 offset:3072
	;; [unrolled: 1-line block ×4, first 2 shown]
	v_mul_f64 v[104:105], v[36:37], v[40:41]
	v_mul_f64 v[40:41], v[34:35], v[40:41]
	v_fma_f64 v[54:55], v[8:9], v[30:31], -v[54:55]
	v_fma_f64 v[76:77], v[10:11], v[30:31], v[76:77]
	v_fma_f64 v[98:99], v[8:9], v[4:5], -v[98:99]
	v_fma_f64 v[100:101], v[10:11], v[4:5], v[100:101]
	s_waitcnt lgkmcnt(3)
	v_mul_f64 v[94:95], v[18:19], v[28:29]
	v_mul_f64 v[96:97], v[16:17], v[28:29]
	;; [unrolled: 1-line block ×4, first 2 shown]
	v_fma_f64 v[102:103], v[12:13], v[30:31], -v[102:103]
	v_fma_f64 v[32:33], v[14:15], v[30:31], v[32:33]
	v_fma_f64 v[108:109], v[12:13], v[4:5], -v[108:109]
	v_fma_f64 v[112:113], v[14:15], v[4:5], v[6:7]
	ds_load_b128 v[4:7], v23 offset:2144
	ds_load_b128 v[8:11], v23 offset:112
	;; [unrolled: 1-line block ×4, first 2 shown]
	v_add_f64 v[56:57], v[72:73], v[56:57]
	v_add_f64 v[72:73], v[74:75], v[86:87]
	;; [unrolled: 1-line block ×8, first 2 shown]
	s_waitcnt lgkmcnt(4)
	v_mul_f64 v[70:71], v[52:53], v[44:45]
	v_mul_f64 v[74:75], v[50:51], v[44:45]
	;; [unrolled: 1-line block ×4, first 2 shown]
	s_waitcnt lgkmcnt(3)
	v_mul_f64 v[82:83], v[6:7], v[44:45]
	v_mul_f64 v[44:45], v[4:5], v[44:45]
	;; [unrolled: 1-line block ×4, first 2 shown]
	v_fma_f64 v[86:87], v[16:17], v[38:39], -v[90:91]
	v_fma_f64 v[88:89], v[18:19], v[38:39], v[92:93]
	v_fma_f64 v[90:91], v[16:17], v[26:27], -v[94:95]
	v_fma_f64 v[92:93], v[18:19], v[26:27], v[96:97]
	;; [unrolled: 2-line block ×4, first 2 shown]
	ds_load_b128 v[16:19], v22 offset:3840
	s_waitcnt lgkmcnt(0)
	s_barrier
	buffer_gl0_inv
	v_add_f64 v[36:37], v[56:57], v[54:55]
	v_add_f64 v[40:41], v[72:73], v[76:77]
	;; [unrolled: 1-line block ×8, first 2 shown]
	v_mul_f64 v[64:65], v[10:11], v[30:31]
	v_mul_f64 v[66:67], v[8:9], v[30:31]
	;; [unrolled: 1-line block ×4, first 2 shown]
	v_fma_f64 v[70:71], v[50:51], v[42:43], -v[70:71]
	v_mul_f64 v[68:69], v[10:11], v[18:19]
	v_mul_f64 v[72:73], v[8:9], v[18:19]
	;; [unrolled: 1-line block ×4, first 2 shown]
	v_fma_f64 v[74:75], v[52:53], v[42:43], v[74:75]
	v_fma_f64 v[50:51], v[50:51], v[46:47], -v[78:79]
	v_fma_f64 v[52:53], v[52:53], v[46:47], v[80:81]
	v_fma_f64 v[78:79], v[4:5], v[42:43], -v[82:83]
	;; [unrolled: 2-line block ×3, first 2 shown]
	v_fma_f64 v[6:7], v[6:7], v[46:47], v[48:49]
	v_add_f64 v[36:37], v[36:37], v[86:87]
	v_add_f64 v[40:41], v[40:41], v[88:89]
	;; [unrolled: 1-line block ×8, first 2 shown]
	v_fma_f64 v[38:39], v[8:9], v[28:29], -v[64:65]
	v_fma_f64 v[54:55], v[10:11], v[28:29], v[66:67]
	v_fma_f64 v[56:57], v[12:13], v[28:29], -v[76:77]
	v_fma_f64 v[28:29], v[14:15], v[28:29], v[30:31]
	;; [unrolled: 2-line block ×4, first 2 shown]
	v_add_f64 v[12:13], v[36:37], v[70:71]
	v_add_f64 v[14:15], v[40:41], v[74:75]
	;; [unrolled: 1-line block ×16, first 2 shown]
	s_cbranch_scc0 .LBB730_2
.LBB730_3:
	s_load_b32 s3, s[0:1], 0x60
	v_add_nc_u32_e32 v21, s24, v21
	v_add_nc_u32_e32 v0, s18, v20
	s_delay_alu instid0(VALU_DEP_2) | instskip(NEXT) | instid1(VALU_DEP_2)
	v_cmp_gt_i32_e32 vcc_lo, s2, v21
	v_cmp_le_i32_e64 s0, v0, v21
	s_delay_alu instid0(VALU_DEP_1) | instskip(SKIP_2) | instid1(VALU_DEP_1)
	s_and_b32 s0, vcc_lo, s0
	s_waitcnt lgkmcnt(0)
	v_mad_i64_i32 v[1:2], null, v21, s3, 0
	v_lshlrev_b64 v[1:2], 4, v[1:2]
	s_delay_alu instid0(VALU_DEP_1) | instskip(NEXT) | instid1(VALU_DEP_1)
	v_add_co_u32 v20, s1, s16, v1
	v_add_co_ci_u32_e64 v22, s1, s17, v2, s1
	s_and_saveexec_b32 s1, s0
	s_cbranch_execz .LBB730_5
; %bb.4:
	v_ashrrev_i32_e32 v1, 31, v0
	v_mul_f64 v[27:28], s[6:7], v[18:19]
	v_mul_f64 v[18:19], s[4:5], v[18:19]
	s_delay_alu instid0(VALU_DEP_3) | instskip(NEXT) | instid1(VALU_DEP_1)
	v_lshlrev_b64 v[1:2], 4, v[0:1]
	v_add_co_u32 v1, s0, v20, v1
	s_delay_alu instid0(VALU_DEP_1)
	v_add_co_ci_u32_e64 v2, s0, v22, v2, s0
	global_load_b128 v[23:26], v[1:2], off
	v_fma_f64 v[27:28], s[4:5], v[16:17], -v[27:28]
	v_fma_f64 v[18:19], s[6:7], v[16:17], v[18:19]
	s_waitcnt vmcnt(0)
	v_mul_f64 v[29:30], s[10:11], v[25:26]
	v_mul_f64 v[25:26], s[8:9], v[25:26]
	s_delay_alu instid0(VALU_DEP_2) | instskip(NEXT) | instid1(VALU_DEP_2)
	v_fma_f64 v[16:17], s[8:9], v[23:24], -v[29:30]
	v_fma_f64 v[23:24], s[10:11], v[23:24], v[25:26]
	s_delay_alu instid0(VALU_DEP_2) | instskip(NEXT) | instid1(VALU_DEP_2)
	v_add_f64 v[16:17], v[27:28], v[16:17]
	v_add_f64 v[18:19], v[18:19], v[23:24]
	global_store_b128 v[1:2], v[16:19], off
.LBB730_5:
	s_or_b32 exec_lo, exec_lo, s1
	v_add_nc_u32_e32 v2, 16, v0
	s_delay_alu instid0(VALU_DEP_1) | instskip(NEXT) | instid1(VALU_DEP_1)
	v_cmp_le_i32_e64 s0, v2, v21
	s_and_b32 s1, vcc_lo, s0
	s_delay_alu instid0(SALU_CYCLE_1)
	s_and_saveexec_b32 s0, s1
	s_cbranch_execz .LBB730_7
; %bb.6:
	v_ashrrev_i32_e32 v3, 31, v2
	v_mul_f64 v[25:26], s[6:7], v[14:15]
	v_mul_f64 v[14:15], s[4:5], v[14:15]
	s_delay_alu instid0(VALU_DEP_3) | instskip(NEXT) | instid1(VALU_DEP_1)
	v_lshlrev_b64 v[16:17], 4, v[2:3]
	v_add_co_u32 v23, vcc_lo, v20, v16
	s_delay_alu instid0(VALU_DEP_2)
	v_add_co_ci_u32_e32 v24, vcc_lo, v22, v17, vcc_lo
	global_load_b128 v[16:19], v[23:24], off
	v_fma_f64 v[25:26], s[4:5], v[12:13], -v[25:26]
	v_fma_f64 v[14:15], s[6:7], v[12:13], v[14:15]
	s_waitcnt vmcnt(0)
	v_mul_f64 v[27:28], s[10:11], v[18:19]
	v_mul_f64 v[18:19], s[8:9], v[18:19]
	s_delay_alu instid0(VALU_DEP_2) | instskip(NEXT) | instid1(VALU_DEP_2)
	v_fma_f64 v[12:13], s[8:9], v[16:17], -v[27:28]
	v_fma_f64 v[16:17], s[10:11], v[16:17], v[18:19]
	s_delay_alu instid0(VALU_DEP_2) | instskip(NEXT) | instid1(VALU_DEP_2)
	v_add_f64 v[12:13], v[25:26], v[12:13]
	v_add_f64 v[14:15], v[14:15], v[16:17]
	global_store_b128 v[23:24], v[12:15], off
.LBB730_7:
	s_or_b32 exec_lo, exec_lo, s0
	v_add_nc_u32_e32 v3, 16, v21
	s_delay_alu instid0(VALU_DEP_1) | instskip(SKIP_2) | instid1(VALU_DEP_1)
	v_mad_i64_i32 v[12:13], null, v3, s3, 0
	v_cmp_gt_i32_e32 vcc_lo, s2, v3
	v_cmp_le_i32_e64 s0, v0, v3
	s_and_b32 s0, vcc_lo, s0
	s_delay_alu instid0(VALU_DEP_3) | instskip(NEXT) | instid1(VALU_DEP_1)
	v_lshlrev_b64 v[12:13], 4, v[12:13]
	v_add_co_u32 v12, s1, s16, v12
	s_delay_alu instid0(VALU_DEP_1)
	v_add_co_ci_u32_e64 v13, s1, s17, v13, s1
	s_and_saveexec_b32 s1, s0
	s_cbranch_execz .LBB730_9
; %bb.8:
	v_ashrrev_i32_e32 v1, 31, v0
	v_mul_f64 v[18:19], s[6:7], v[10:11]
	v_mul_f64 v[10:11], s[4:5], v[10:11]
	s_delay_alu instid0(VALU_DEP_3) | instskip(NEXT) | instid1(VALU_DEP_1)
	v_lshlrev_b64 v[0:1], 4, v[0:1]
	v_add_co_u32 v0, s0, v12, v0
	s_delay_alu instid0(VALU_DEP_1)
	v_add_co_ci_u32_e64 v1, s0, v13, v1, s0
	global_load_b128 v[14:17], v[0:1], off
	v_fma_f64 v[18:19], s[4:5], v[8:9], -v[18:19]
	v_fma_f64 v[10:11], s[6:7], v[8:9], v[10:11]
	s_waitcnt vmcnt(0)
	v_mul_f64 v[20:21], s[10:11], v[16:17]
	v_mul_f64 v[16:17], s[8:9], v[16:17]
	s_delay_alu instid0(VALU_DEP_2) | instskip(NEXT) | instid1(VALU_DEP_2)
	v_fma_f64 v[8:9], s[8:9], v[14:15], -v[20:21]
	v_fma_f64 v[14:15], s[10:11], v[14:15], v[16:17]
	s_delay_alu instid0(VALU_DEP_2) | instskip(NEXT) | instid1(VALU_DEP_2)
	v_add_f64 v[8:9], v[18:19], v[8:9]
	v_add_f64 v[10:11], v[10:11], v[14:15]
	global_store_b128 v[0:1], v[8:11], off
.LBB730_9:
	s_or_b32 exec_lo, exec_lo, s1
	v_cmp_le_i32_e64 s0, v2, v3
	s_delay_alu instid0(VALU_DEP_1) | instskip(NEXT) | instid1(SALU_CYCLE_1)
	s_and_b32 s0, vcc_lo, s0
	s_and_saveexec_b32 s1, s0
	s_cbranch_execz .LBB730_11
; %bb.10:
	v_ashrrev_i32_e32 v3, 31, v2
	v_mul_f64 v[10:11], s[6:7], v[4:5]
	v_mul_f64 v[4:5], s[4:5], v[4:5]
	s_delay_alu instid0(VALU_DEP_3) | instskip(NEXT) | instid1(VALU_DEP_1)
	v_lshlrev_b64 v[0:1], 4, v[2:3]
	v_add_co_u32 v8, vcc_lo, v12, v0
	s_delay_alu instid0(VALU_DEP_2)
	v_add_co_ci_u32_e32 v9, vcc_lo, v13, v1, vcc_lo
	global_load_b128 v[0:3], v[8:9], off
	v_fma_f64 v[10:11], s[4:5], v[6:7], -v[10:11]
	v_fma_f64 v[4:5], s[6:7], v[6:7], v[4:5]
	s_waitcnt vmcnt(0)
	v_mul_f64 v[12:13], s[10:11], v[2:3]
	v_mul_f64 v[2:3], s[8:9], v[2:3]
	s_delay_alu instid0(VALU_DEP_2) | instskip(NEXT) | instid1(VALU_DEP_2)
	v_fma_f64 v[6:7], s[8:9], v[0:1], -v[12:13]
	v_fma_f64 v[2:3], s[10:11], v[0:1], v[2:3]
	s_delay_alu instid0(VALU_DEP_2) | instskip(NEXT) | instid1(VALU_DEP_2)
	v_add_f64 v[0:1], v[10:11], v[6:7]
	v_add_f64 v[2:3], v[4:5], v[2:3]
	global_store_b128 v[8:9], v[0:3], off
.LBB730_11:
	s_nop 0
	s_sendmsg sendmsg(MSG_DEALLOC_VGPRS)
	s_endpgm
	.section	.rodata,"a",@progbits
	.p2align	6, 0x0
	.amdhsa_kernel _ZL37rocblas_syrkx_herkx_restricted_kernelIi19rocblas_complex_numIdELi16ELi32ELi8ELb0ELb0ELc78ELc85EKPKS1_KPS1_EviT_T0_PT8_S7_lSA_S7_lS8_PT9_S7_li
		.amdhsa_group_segment_fixed_size 8192
		.amdhsa_private_segment_fixed_size 0
		.amdhsa_kernarg_size 116
		.amdhsa_user_sgpr_count 13
		.amdhsa_user_sgpr_dispatch_ptr 0
		.amdhsa_user_sgpr_queue_ptr 0
		.amdhsa_user_sgpr_kernarg_segment_ptr 1
		.amdhsa_user_sgpr_dispatch_id 0
		.amdhsa_user_sgpr_private_segment_size 0
		.amdhsa_wavefront_size32 1
		.amdhsa_uses_dynamic_stack 0
		.amdhsa_enable_private_segment 0
		.amdhsa_system_sgpr_workgroup_id_x 1
		.amdhsa_system_sgpr_workgroup_id_y 1
		.amdhsa_system_sgpr_workgroup_id_z 1
		.amdhsa_system_sgpr_workgroup_info 0
		.amdhsa_system_vgpr_workitem_id 1
		.amdhsa_next_free_vgpr 118
		.amdhsa_next_free_sgpr 28
		.amdhsa_reserve_vcc 1
		.amdhsa_float_round_mode_32 0
		.amdhsa_float_round_mode_16_64 0
		.amdhsa_float_denorm_mode_32 3
		.amdhsa_float_denorm_mode_16_64 3
		.amdhsa_dx10_clamp 1
		.amdhsa_ieee_mode 1
		.amdhsa_fp16_overflow 0
		.amdhsa_workgroup_processor_mode 1
		.amdhsa_memory_ordered 1
		.amdhsa_forward_progress 0
		.amdhsa_shared_vgpr_count 0
		.amdhsa_exception_fp_ieee_invalid_op 0
		.amdhsa_exception_fp_denorm_src 0
		.amdhsa_exception_fp_ieee_div_zero 0
		.amdhsa_exception_fp_ieee_overflow 0
		.amdhsa_exception_fp_ieee_underflow 0
		.amdhsa_exception_fp_ieee_inexact 0
		.amdhsa_exception_int_div_zero 0
	.end_amdhsa_kernel
	.section	.text._ZL37rocblas_syrkx_herkx_restricted_kernelIi19rocblas_complex_numIdELi16ELi32ELi8ELb0ELb0ELc78ELc85EKPKS1_KPS1_EviT_T0_PT8_S7_lSA_S7_lS8_PT9_S7_li,"axG",@progbits,_ZL37rocblas_syrkx_herkx_restricted_kernelIi19rocblas_complex_numIdELi16ELi32ELi8ELb0ELb0ELc78ELc85EKPKS1_KPS1_EviT_T0_PT8_S7_lSA_S7_lS8_PT9_S7_li,comdat
.Lfunc_end730:
	.size	_ZL37rocblas_syrkx_herkx_restricted_kernelIi19rocblas_complex_numIdELi16ELi32ELi8ELb0ELb0ELc78ELc85EKPKS1_KPS1_EviT_T0_PT8_S7_lSA_S7_lS8_PT9_S7_li, .Lfunc_end730-_ZL37rocblas_syrkx_herkx_restricted_kernelIi19rocblas_complex_numIdELi16ELi32ELi8ELb0ELb0ELc78ELc85EKPKS1_KPS1_EviT_T0_PT8_S7_lSA_S7_lS8_PT9_S7_li
                                        ; -- End function
	.section	.AMDGPU.csdata,"",@progbits
; Kernel info:
; codeLenInByte = 3284
; NumSgprs: 30
; NumVgprs: 118
; ScratchSize: 0
; MemoryBound: 0
; FloatMode: 240
; IeeeMode: 1
; LDSByteSize: 8192 bytes/workgroup (compile time only)
; SGPRBlocks: 3
; VGPRBlocks: 14
; NumSGPRsForWavesPerEU: 30
; NumVGPRsForWavesPerEU: 118
; Occupancy: 12
; WaveLimiterHint : 1
; COMPUTE_PGM_RSRC2:SCRATCH_EN: 0
; COMPUTE_PGM_RSRC2:USER_SGPR: 13
; COMPUTE_PGM_RSRC2:TRAP_HANDLER: 0
; COMPUTE_PGM_RSRC2:TGID_X_EN: 1
; COMPUTE_PGM_RSRC2:TGID_Y_EN: 1
; COMPUTE_PGM_RSRC2:TGID_Z_EN: 1
; COMPUTE_PGM_RSRC2:TIDIG_COMP_CNT: 1
	.section	.text._ZL41rocblas_syrkx_herkx_small_restrict_kernelIi19rocblas_complex_numIdELi16ELb1ELb0ELc84ELc76EKPKS1_KPS1_EviT_T0_PT6_S7_lSA_S7_lS8_PT7_S7_li,"axG",@progbits,_ZL41rocblas_syrkx_herkx_small_restrict_kernelIi19rocblas_complex_numIdELi16ELb1ELb0ELc84ELc76EKPKS1_KPS1_EviT_T0_PT6_S7_lSA_S7_lS8_PT7_S7_li,comdat
	.globl	_ZL41rocblas_syrkx_herkx_small_restrict_kernelIi19rocblas_complex_numIdELi16ELb1ELb0ELc84ELc76EKPKS1_KPS1_EviT_T0_PT6_S7_lSA_S7_lS8_PT7_S7_li ; -- Begin function _ZL41rocblas_syrkx_herkx_small_restrict_kernelIi19rocblas_complex_numIdELi16ELb1ELb0ELc84ELc76EKPKS1_KPS1_EviT_T0_PT6_S7_lSA_S7_lS8_PT7_S7_li
	.p2align	8
	.type	_ZL41rocblas_syrkx_herkx_small_restrict_kernelIi19rocblas_complex_numIdELi16ELb1ELb0ELc84ELc76EKPKS1_KPS1_EviT_T0_PT6_S7_lSA_S7_lS8_PT7_S7_li,@function
_ZL41rocblas_syrkx_herkx_small_restrict_kernelIi19rocblas_complex_numIdELi16ELb1ELb0ELc84ELc76EKPKS1_KPS1_EviT_T0_PT6_S7_lSA_S7_lS8_PT7_S7_li: ; @_ZL41rocblas_syrkx_herkx_small_restrict_kernelIi19rocblas_complex_numIdELi16ELb1ELb0ELc84ELc76EKPKS1_KPS1_EviT_T0_PT6_S7_lSA_S7_lS8_PT7_S7_li
; %bb.0:
	s_clause 0x1
	s_load_b64 s[2:3], s[0:1], 0x58
	s_load_b64 s[16:17], s[0:1], 0x18
	s_mov_b32 s8, s15
	s_mov_b32 s9, 0
	v_dual_mov_b32 v5, 0 :: v_dual_and_b32 v2, 0x3ff, v0
	s_lshl_b64 s[10:11], s[8:9], 3
	s_load_b32 s8, s[0:1], 0x4
	v_bfe_u32 v1, v0, 10, 10
	v_mov_b32_e32 v6, 0
	v_lshl_add_u32 v0, s13, 4, v2
	s_delay_alu instid0(VALU_DEP_3) | instskip(NEXT) | instid1(VALU_DEP_3)
	v_lshl_add_u32 v9, s14, 4, v1
	v_dual_mov_b32 v8, v6 :: v_dual_mov_b32 v7, v5
	s_waitcnt lgkmcnt(0)
	s_add_u32 s2, s2, s10
	s_addc_u32 s3, s3, s11
	s_load_b128 s[4:7], s[0:1], 0x8
	s_load_b64 s[2:3], s[2:3], 0x0
	s_cmp_lt_i32 s8, 1
	s_cbranch_scc1 .LBB731_3
; %bb.1:
	s_clause 0x2
	s_load_b64 s[12:13], s[0:1], 0x30
	s_load_b32 s14, s[0:1], 0x38
	s_load_b32 s15, s[0:1], 0x20
	v_dual_mov_b32 v5, 0 :: v_dual_lshlrev_b32 v4, 8, v1
	v_lshlrev_b32_e32 v14, 4, v1
	v_mov_b32_e32 v6, 0
	v_lshlrev_b32_e32 v10, 4, v2
	s_delay_alu instid0(VALU_DEP_4) | instskip(NEXT) | instid1(VALU_DEP_2)
	v_add_nc_u32_e32 v11, 0x1000, v4
	v_add_nc_u32_e32 v12, v10, v4
	s_waitcnt lgkmcnt(0)
	s_add_u32 s12, s12, s10
	s_addc_u32 s13, s13, s11
	v_mad_i64_i32 v[2:3], null, s14, v9, 0
	s_load_b64 s[12:13], s[12:13], 0x0
	s_add_u32 s10, s16, s10
	s_addc_u32 s11, s17, s11
	v_mad_i64_i32 v[7:8], null, s15, v0, 0
	s_load_b64 s[10:11], s[10:11], 0x0
	s_delay_alu instid0(VALU_DEP_2) | instskip(NEXT) | instid1(VALU_DEP_2)
	v_lshlrev_b64 v[1:2], 4, v[2:3]
	v_lshlrev_b64 v[3:4], 4, v[7:8]
	v_dual_mov_b32 v8, v6 :: v_dual_mov_b32 v7, v5
	s_delay_alu instid0(VALU_DEP_3) | instskip(NEXT) | instid1(VALU_DEP_4)
	v_add_co_u32 v1, vcc_lo, v1, v10
	v_add_co_ci_u32_e32 v2, vcc_lo, 0, v2, vcc_lo
	s_delay_alu instid0(VALU_DEP_4)
	v_add_co_u32 v3, vcc_lo, v3, v14
	v_add_co_ci_u32_e32 v4, vcc_lo, 0, v4, vcc_lo
	s_waitcnt lgkmcnt(0)
	v_add_co_u32 v1, vcc_lo, s12, v1
	v_add_co_ci_u32_e32 v2, vcc_lo, s13, v2, vcc_lo
	v_add_co_u32 v3, vcc_lo, s10, v3
	v_add_nc_u32_e32 v13, v11, v10
	v_add_co_ci_u32_e32 v4, vcc_lo, s11, v4, vcc_lo
.LBB731_2:                              ; =>This Inner Loop Header: Depth=1
	global_load_b128 v[14:17], v[3:4], off
	global_load_b128 v[18:21], v[1:2], off
	v_add_co_u32 v1, vcc_lo, 0x100, v1
	v_add_co_ci_u32_e32 v2, vcc_lo, 0, v2, vcc_lo
	v_add_co_u32 v3, vcc_lo, 0x100, v3
	v_add_co_ci_u32_e32 v4, vcc_lo, 0, v4, vcc_lo
	s_add_i32 s9, s9, 16
	s_waitcnt vmcnt(1)
	ds_store_2addr_b64 v12, v[14:15], v[16:17] offset1:1
	s_waitcnt vmcnt(0)
	ds_store_2addr_b64 v13, v[18:19], v[20:21] offset1:1
	s_waitcnt lgkmcnt(0)
	s_barrier
	buffer_gl0_inv
	ds_load_b128 v[14:17], v10
	ds_load_b128 v[18:21], v11
	ds_load_b128 v[22:25], v11 offset:16
	ds_load_b128 v[26:29], v10 offset:256
	s_cmp_lt_i32 s9, s8
	s_waitcnt lgkmcnt(2)
	v_mul_f64 v[30:31], v[20:21], v[16:17]
	v_mul_f64 v[16:17], v[18:19], v[16:17]
	s_waitcnt lgkmcnt(0)
	v_mul_f64 v[36:37], v[24:25], v[28:29]
	v_mul_f64 v[38:39], v[22:23], v[28:29]
	s_delay_alu instid0(VALU_DEP_4) | instskip(NEXT) | instid1(VALU_DEP_4)
	v_fma_f64 v[40:41], v[18:19], v[14:15], -v[30:31]
	v_fma_f64 v[42:43], v[20:21], v[14:15], v[16:17]
	ds_load_b128 v[14:17], v10 offset:512
	ds_load_b128 v[18:21], v11 offset:32
	;; [unrolled: 1-line block ×4, first 2 shown]
	v_fma_f64 v[22:23], v[22:23], v[26:27], -v[36:37]
	v_fma_f64 v[24:25], v[24:25], v[26:27], v[38:39]
	s_waitcnt lgkmcnt(2)
	v_mul_f64 v[44:45], v[20:21], v[16:17]
	v_mul_f64 v[16:17], v[18:19], v[16:17]
	s_waitcnt lgkmcnt(0)
	v_mul_f64 v[26:27], v[30:31], v[34:35]
	v_mul_f64 v[34:35], v[28:29], v[34:35]
	v_add_f64 v[7:8], v[7:8], v[40:41]
	v_add_f64 v[5:6], v[5:6], v[42:43]
	v_fma_f64 v[36:37], v[18:19], v[14:15], -v[44:45]
	v_fma_f64 v[38:39], v[20:21], v[14:15], v[16:17]
	v_fma_f64 v[26:27], v[28:29], v[32:33], -v[26:27]
	v_fma_f64 v[28:29], v[30:31], v[32:33], v[34:35]
	v_add_f64 v[40:41], v[7:8], v[22:23]
	v_add_f64 v[42:43], v[5:6], v[24:25]
	ds_load_b128 v[5:8], v10 offset:1024
	ds_load_b128 v[14:17], v11 offset:64
	ds_load_b128 v[18:21], v11 offset:80
	ds_load_b128 v[22:25], v10 offset:1280
	s_waitcnt lgkmcnt(2)
	v_mul_f64 v[44:45], v[16:17], v[7:8]
	v_mul_f64 v[7:8], v[14:15], v[7:8]
	s_waitcnt lgkmcnt(0)
	v_mul_f64 v[34:35], v[20:21], v[24:25]
	v_add_f64 v[30:31], v[40:41], v[36:37]
	v_add_f64 v[32:33], v[42:43], v[38:39]
	v_mul_f64 v[36:37], v[18:19], v[24:25]
	v_fma_f64 v[38:39], v[14:15], v[5:6], -v[44:45]
	v_fma_f64 v[40:41], v[16:17], v[5:6], v[7:8]
	v_fma_f64 v[18:19], v[18:19], v[22:23], -v[34:35]
	v_add_f64 v[42:43], v[30:31], v[26:27]
	v_add_f64 v[32:33], v[32:33], v[28:29]
	ds_load_b128 v[5:8], v10 offset:1536
	ds_load_b128 v[14:17], v11 offset:96
	;; [unrolled: 1-line block ×4, first 2 shown]
	v_fma_f64 v[20:21], v[20:21], v[22:23], v[36:37]
	s_waitcnt lgkmcnt(2)
	v_mul_f64 v[44:45], v[16:17], v[7:8]
	v_mul_f64 v[7:8], v[14:15], v[7:8]
	s_waitcnt lgkmcnt(0)
	v_mul_f64 v[34:35], v[26:27], v[30:31]
	v_mul_f64 v[36:37], v[24:25], v[30:31]
	v_add_f64 v[22:23], v[42:43], v[38:39]
	v_add_f64 v[32:33], v[32:33], v[40:41]
	v_fma_f64 v[38:39], v[14:15], v[5:6], -v[44:45]
	v_fma_f64 v[40:41], v[16:17], v[5:6], v[7:8]
	v_fma_f64 v[24:25], v[24:25], v[28:29], -v[34:35]
	v_fma_f64 v[26:27], v[26:27], v[28:29], v[36:37]
	v_add_f64 v[22:23], v[22:23], v[18:19]
	v_add_f64 v[42:43], v[32:33], v[20:21]
	ds_load_b128 v[5:8], v10 offset:2048
	ds_load_b128 v[14:17], v11 offset:128
	;; [unrolled: 1-line block ×4, first 2 shown]
	s_waitcnt lgkmcnt(2)
	v_mul_f64 v[44:45], v[16:17], v[7:8]
	v_mul_f64 v[7:8], v[14:15], v[7:8]
	s_waitcnt lgkmcnt(0)
	v_mul_f64 v[34:35], v[20:21], v[32:33]
	v_mul_f64 v[32:33], v[18:19], v[32:33]
	v_add_f64 v[22:23], v[22:23], v[38:39]
	v_add_f64 v[28:29], v[42:43], v[40:41]
	v_fma_f64 v[36:37], v[14:15], v[5:6], -v[44:45]
	v_fma_f64 v[38:39], v[16:17], v[5:6], v[7:8]
	v_fma_f64 v[18:19], v[18:19], v[30:31], -v[34:35]
	v_fma_f64 v[20:21], v[20:21], v[30:31], v[32:33]
	v_add_f64 v[40:41], v[22:23], v[24:25]
	v_add_f64 v[42:43], v[28:29], v[26:27]
	ds_load_b128 v[5:8], v10 offset:2560
	ds_load_b128 v[14:17], v11 offset:160
	;; [unrolled: 1-line block ×4, first 2 shown]
	s_waitcnt lgkmcnt(2)
	v_mul_f64 v[44:45], v[16:17], v[7:8]
	v_mul_f64 v[7:8], v[14:15], v[7:8]
	s_waitcnt lgkmcnt(0)
	v_mul_f64 v[34:35], v[24:25], v[28:29]
	v_add_f64 v[30:31], v[40:41], v[36:37]
	v_add_f64 v[32:33], v[42:43], v[38:39]
	v_mul_f64 v[36:37], v[22:23], v[28:29]
	v_fma_f64 v[38:39], v[14:15], v[5:6], -v[44:45]
	v_fma_f64 v[40:41], v[16:17], v[5:6], v[7:8]
	v_fma_f64 v[22:23], v[22:23], v[26:27], -v[34:35]
	v_add_f64 v[42:43], v[30:31], v[18:19]
	v_add_f64 v[32:33], v[32:33], v[20:21]
	ds_load_b128 v[5:8], v10 offset:3072
	ds_load_b128 v[14:17], v11 offset:192
	;; [unrolled: 1-line block ×4, first 2 shown]
	v_fma_f64 v[24:25], v[24:25], v[26:27], v[36:37]
	s_waitcnt lgkmcnt(2)
	v_mul_f64 v[44:45], v[16:17], v[7:8]
	v_mul_f64 v[7:8], v[14:15], v[7:8]
	s_waitcnt lgkmcnt(0)
	v_mul_f64 v[34:35], v[20:21], v[30:31]
	v_mul_f64 v[36:37], v[18:19], v[30:31]
	v_add_f64 v[26:27], v[42:43], v[38:39]
	v_add_f64 v[32:33], v[32:33], v[40:41]
	v_fma_f64 v[38:39], v[14:15], v[5:6], -v[44:45]
	v_fma_f64 v[40:41], v[16:17], v[5:6], v[7:8]
	v_fma_f64 v[18:19], v[18:19], v[28:29], -v[34:35]
	v_fma_f64 v[20:21], v[20:21], v[28:29], v[36:37]
	v_add_f64 v[26:27], v[26:27], v[22:23]
	v_add_f64 v[42:43], v[32:33], v[24:25]
	ds_load_b128 v[5:8], v10 offset:3584
	ds_load_b128 v[14:17], v11 offset:224
	;; [unrolled: 1-line block ×4, first 2 shown]
	s_waitcnt lgkmcnt(0)
	s_barrier
	buffer_gl0_inv
	v_mul_f64 v[44:45], v[16:17], v[7:8]
	v_mul_f64 v[7:8], v[14:15], v[7:8]
	;; [unrolled: 1-line block ×4, first 2 shown]
	v_add_f64 v[26:27], v[26:27], v[38:39]
	v_add_f64 v[28:29], v[42:43], v[40:41]
	v_fma_f64 v[14:15], v[14:15], v[5:6], -v[44:45]
	v_fma_f64 v[5:6], v[16:17], v[5:6], v[7:8]
	s_delay_alu instid0(VALU_DEP_4) | instskip(NEXT) | instid1(VALU_DEP_4)
	v_add_f64 v[7:8], v[26:27], v[18:19]
	v_add_f64 v[16:17], v[28:29], v[20:21]
	v_fma_f64 v[18:19], v[22:23], v[30:31], -v[34:35]
	v_fma_f64 v[20:21], v[24:25], v[30:31], v[32:33]
	s_delay_alu instid0(VALU_DEP_4) | instskip(NEXT) | instid1(VALU_DEP_4)
	v_add_f64 v[7:8], v[7:8], v[14:15]
	v_add_f64 v[5:6], v[16:17], v[5:6]
	s_delay_alu instid0(VALU_DEP_2) | instskip(NEXT) | instid1(VALU_DEP_2)
	v_add_f64 v[7:8], v[7:8], v[18:19]
	v_add_f64 v[5:6], v[5:6], v[20:21]
	s_cbranch_scc1 .LBB731_2
.LBB731_3:
	s_mov_b32 s8, exec_lo
	v_cmpx_le_i32_e64 v9, v0
	s_cbranch_execz .LBB731_5
; %bb.4:
	s_waitcnt lgkmcnt(0)
	s_delay_alu instid0(VALU_DEP_2) | instskip(SKIP_2) | instid1(VALU_DEP_2)
	v_mul_f64 v[1:2], s[6:7], v[5:6]
	v_mul_f64 v[4:5], s[4:5], v[5:6]
	s_load_b32 s0, s[0:1], 0x60
	v_fma_f64 v[2:3], s[4:5], v[7:8], -v[1:2]
	s_delay_alu instid0(VALU_DEP_2) | instskip(SKIP_3) | instid1(VALU_DEP_1)
	v_fma_f64 v[4:5], s[6:7], v[7:8], v[4:5]
	s_waitcnt lgkmcnt(0)
	v_mad_i64_i32 v[6:7], null, s0, v9, 0
	v_ashrrev_i32_e32 v1, 31, v0
	v_lshlrev_b64 v[0:1], 4, v[0:1]
	s_delay_alu instid0(VALU_DEP_3) | instskip(NEXT) | instid1(VALU_DEP_1)
	v_lshlrev_b64 v[6:7], 4, v[6:7]
	v_add_co_u32 v6, vcc_lo, s2, v6
	s_delay_alu instid0(VALU_DEP_2) | instskip(NEXT) | instid1(VALU_DEP_2)
	v_add_co_ci_u32_e32 v7, vcc_lo, s3, v7, vcc_lo
	v_add_co_u32 v0, vcc_lo, v6, v0
	s_delay_alu instid0(VALU_DEP_2)
	v_add_co_ci_u32_e32 v1, vcc_lo, v7, v1, vcc_lo
	global_store_b128 v[0:1], v[2:5], off
.LBB731_5:
	s_nop 0
	s_sendmsg sendmsg(MSG_DEALLOC_VGPRS)
	s_endpgm
	.section	.rodata,"a",@progbits
	.p2align	6, 0x0
	.amdhsa_kernel _ZL41rocblas_syrkx_herkx_small_restrict_kernelIi19rocblas_complex_numIdELi16ELb1ELb0ELc84ELc76EKPKS1_KPS1_EviT_T0_PT6_S7_lSA_S7_lS8_PT7_S7_li
		.amdhsa_group_segment_fixed_size 8192
		.amdhsa_private_segment_fixed_size 0
		.amdhsa_kernarg_size 116
		.amdhsa_user_sgpr_count 13
		.amdhsa_user_sgpr_dispatch_ptr 0
		.amdhsa_user_sgpr_queue_ptr 0
		.amdhsa_user_sgpr_kernarg_segment_ptr 1
		.amdhsa_user_sgpr_dispatch_id 0
		.amdhsa_user_sgpr_private_segment_size 0
		.amdhsa_wavefront_size32 1
		.amdhsa_uses_dynamic_stack 0
		.amdhsa_enable_private_segment 0
		.amdhsa_system_sgpr_workgroup_id_x 1
		.amdhsa_system_sgpr_workgroup_id_y 1
		.amdhsa_system_sgpr_workgroup_id_z 1
		.amdhsa_system_sgpr_workgroup_info 0
		.amdhsa_system_vgpr_workitem_id 1
		.amdhsa_next_free_vgpr 46
		.amdhsa_next_free_sgpr 18
		.amdhsa_reserve_vcc 1
		.amdhsa_float_round_mode_32 0
		.amdhsa_float_round_mode_16_64 0
		.amdhsa_float_denorm_mode_32 3
		.amdhsa_float_denorm_mode_16_64 3
		.amdhsa_dx10_clamp 1
		.amdhsa_ieee_mode 1
		.amdhsa_fp16_overflow 0
		.amdhsa_workgroup_processor_mode 1
		.amdhsa_memory_ordered 1
		.amdhsa_forward_progress 0
		.amdhsa_shared_vgpr_count 0
		.amdhsa_exception_fp_ieee_invalid_op 0
		.amdhsa_exception_fp_denorm_src 0
		.amdhsa_exception_fp_ieee_div_zero 0
		.amdhsa_exception_fp_ieee_overflow 0
		.amdhsa_exception_fp_ieee_underflow 0
		.amdhsa_exception_fp_ieee_inexact 0
		.amdhsa_exception_int_div_zero 0
	.end_amdhsa_kernel
	.section	.text._ZL41rocblas_syrkx_herkx_small_restrict_kernelIi19rocblas_complex_numIdELi16ELb1ELb0ELc84ELc76EKPKS1_KPS1_EviT_T0_PT6_S7_lSA_S7_lS8_PT7_S7_li,"axG",@progbits,_ZL41rocblas_syrkx_herkx_small_restrict_kernelIi19rocblas_complex_numIdELi16ELb1ELb0ELc84ELc76EKPKS1_KPS1_EviT_T0_PT6_S7_lSA_S7_lS8_PT7_S7_li,comdat
.Lfunc_end731:
	.size	_ZL41rocblas_syrkx_herkx_small_restrict_kernelIi19rocblas_complex_numIdELi16ELb1ELb0ELc84ELc76EKPKS1_KPS1_EviT_T0_PT6_S7_lSA_S7_lS8_PT7_S7_li, .Lfunc_end731-_ZL41rocblas_syrkx_herkx_small_restrict_kernelIi19rocblas_complex_numIdELi16ELb1ELb0ELc84ELc76EKPKS1_KPS1_EviT_T0_PT6_S7_lSA_S7_lS8_PT7_S7_li
                                        ; -- End function
	.section	.AMDGPU.csdata,"",@progbits
; Kernel info:
; codeLenInByte = 1704
; NumSgprs: 20
; NumVgprs: 46
; ScratchSize: 0
; MemoryBound: 0
; FloatMode: 240
; IeeeMode: 1
; LDSByteSize: 8192 bytes/workgroup (compile time only)
; SGPRBlocks: 2
; VGPRBlocks: 5
; NumSGPRsForWavesPerEU: 20
; NumVGPRsForWavesPerEU: 46
; Occupancy: 16
; WaveLimiterHint : 1
; COMPUTE_PGM_RSRC2:SCRATCH_EN: 0
; COMPUTE_PGM_RSRC2:USER_SGPR: 13
; COMPUTE_PGM_RSRC2:TRAP_HANDLER: 0
; COMPUTE_PGM_RSRC2:TGID_X_EN: 1
; COMPUTE_PGM_RSRC2:TGID_Y_EN: 1
; COMPUTE_PGM_RSRC2:TGID_Z_EN: 1
; COMPUTE_PGM_RSRC2:TIDIG_COMP_CNT: 1
	.section	.text._ZL41rocblas_syrkx_herkx_small_restrict_kernelIi19rocblas_complex_numIdELi16ELb1ELb0ELc67ELc76EKPKS1_KPS1_EviT_T0_PT6_S7_lSA_S7_lS8_PT7_S7_li,"axG",@progbits,_ZL41rocblas_syrkx_herkx_small_restrict_kernelIi19rocblas_complex_numIdELi16ELb1ELb0ELc67ELc76EKPKS1_KPS1_EviT_T0_PT6_S7_lSA_S7_lS8_PT7_S7_li,comdat
	.globl	_ZL41rocblas_syrkx_herkx_small_restrict_kernelIi19rocblas_complex_numIdELi16ELb1ELb0ELc67ELc76EKPKS1_KPS1_EviT_T0_PT6_S7_lSA_S7_lS8_PT7_S7_li ; -- Begin function _ZL41rocblas_syrkx_herkx_small_restrict_kernelIi19rocblas_complex_numIdELi16ELb1ELb0ELc67ELc76EKPKS1_KPS1_EviT_T0_PT6_S7_lSA_S7_lS8_PT7_S7_li
	.p2align	8
	.type	_ZL41rocblas_syrkx_herkx_small_restrict_kernelIi19rocblas_complex_numIdELi16ELb1ELb0ELc67ELc76EKPKS1_KPS1_EviT_T0_PT6_S7_lSA_S7_lS8_PT7_S7_li,@function
_ZL41rocblas_syrkx_herkx_small_restrict_kernelIi19rocblas_complex_numIdELi16ELb1ELb0ELc67ELc76EKPKS1_KPS1_EviT_T0_PT6_S7_lSA_S7_lS8_PT7_S7_li: ; @_ZL41rocblas_syrkx_herkx_small_restrict_kernelIi19rocblas_complex_numIdELi16ELb1ELb0ELc67ELc76EKPKS1_KPS1_EviT_T0_PT6_S7_lSA_S7_lS8_PT7_S7_li
; %bb.0:
	s_clause 0x1
	s_load_b64 s[2:3], s[0:1], 0x58
	s_load_b64 s[16:17], s[0:1], 0x18
	s_mov_b32 s8, s15
	s_mov_b32 s9, 0
	v_dual_mov_b32 v5, 0 :: v_dual_and_b32 v2, 0x3ff, v0
	s_lshl_b64 s[10:11], s[8:9], 3
	s_load_b32 s8, s[0:1], 0x4
	v_bfe_u32 v1, v0, 10, 10
	v_mov_b32_e32 v6, 0
	v_lshl_add_u32 v0, s13, 4, v2
	s_delay_alu instid0(VALU_DEP_3) | instskip(NEXT) | instid1(VALU_DEP_3)
	v_lshl_add_u32 v9, s14, 4, v1
	v_dual_mov_b32 v8, v6 :: v_dual_mov_b32 v7, v5
	s_waitcnt lgkmcnt(0)
	s_add_u32 s2, s2, s10
	s_addc_u32 s3, s3, s11
	s_load_b128 s[4:7], s[0:1], 0x8
	s_load_b64 s[2:3], s[2:3], 0x0
	s_cmp_lt_i32 s8, 1
	s_cbranch_scc1 .LBB732_3
; %bb.1:
	s_clause 0x2
	s_load_b64 s[12:13], s[0:1], 0x30
	s_load_b32 s14, s[0:1], 0x20
	s_load_b32 s15, s[0:1], 0x38
	v_dual_mov_b32 v5, 0 :: v_dual_lshlrev_b32 v12, 8, v1
	v_lshlrev_b32_e32 v14, 4, v1
	v_mov_b32_e32 v6, 0
	v_lshlrev_b32_e32 v10, 4, v2
	s_delay_alu instid0(VALU_DEP_4)
	v_add_nc_u32_e32 v11, 0x1000, v12
	s_waitcnt lgkmcnt(0)
	s_add_u32 s12, s12, s10
	s_addc_u32 s13, s13, s11
	s_add_u32 s10, s16, s10
	s_addc_u32 s11, s17, s11
	v_mad_i64_i32 v[3:4], null, s14, v0, 0
	s_load_b64 s[10:11], s[10:11], 0x0
	v_mad_i64_i32 v[7:8], null, s15, v9, 0
	s_load_b64 s[12:13], s[12:13], 0x0
	s_delay_alu instid0(VALU_DEP_2) | instskip(NEXT) | instid1(VALU_DEP_2)
	v_lshlrev_b64 v[1:2], 4, v[3:4]
	v_lshlrev_b64 v[3:4], 4, v[7:8]
	s_delay_alu instid0(VALU_DEP_2) | instskip(NEXT) | instid1(VALU_DEP_3)
	v_add_co_u32 v1, vcc_lo, v1, v14
	v_add_co_ci_u32_e32 v2, vcc_lo, 0, v2, vcc_lo
	s_delay_alu instid0(VALU_DEP_3) | instskip(NEXT) | instid1(VALU_DEP_4)
	v_add_co_u32 v3, vcc_lo, v3, v10
	v_add_co_ci_u32_e32 v4, vcc_lo, 0, v4, vcc_lo
	s_waitcnt lgkmcnt(0)
	v_add_co_u32 v7, vcc_lo, v1, s10
	v_add_co_ci_u32_e32 v8, vcc_lo, s11, v2, vcc_lo
	v_add_co_u32 v1, vcc_lo, s12, v3
	v_add_co_ci_u32_e32 v2, vcc_lo, s13, v4, vcc_lo
	s_delay_alu instid0(VALU_DEP_4) | instskip(NEXT) | instid1(VALU_DEP_4)
	v_add_co_u32 v3, vcc_lo, v7, 8
	v_add_co_ci_u32_e32 v4, vcc_lo, 0, v8, vcc_lo
	v_dual_mov_b32 v8, v6 :: v_dual_mov_b32 v7, v5
	v_add_nc_u32_e32 v12, v10, v12
	v_add_nc_u32_e32 v13, v11, v10
.LBB732_2:                              ; =>This Inner Loop Header: Depth=1
	global_load_b128 v[14:17], v[3:4], off offset:-8
	global_load_b128 v[18:21], v[1:2], off
	v_add_co_u32 v1, vcc_lo, 0x100, v1
	v_add_co_ci_u32_e32 v2, vcc_lo, 0, v2, vcc_lo
	v_add_co_u32 v3, vcc_lo, 0x100, v3
	v_add_co_ci_u32_e32 v4, vcc_lo, 0, v4, vcc_lo
	s_add_i32 s9, s9, 16
	s_waitcnt vmcnt(1)
	ds_store_b128 v12, v[14:17]
	s_waitcnt vmcnt(0)
	ds_store_2addr_b64 v13, v[18:19], v[20:21] offset1:1
	s_waitcnt lgkmcnt(0)
	s_barrier
	buffer_gl0_inv
	ds_load_b128 v[14:17], v10
	ds_load_b128 v[18:21], v11
	ds_load_b128 v[22:25], v11 offset:16
	ds_load_b128 v[26:29], v10 offset:256
	s_cmp_lt_i32 s9, s8
	s_waitcnt lgkmcnt(2)
	v_mul_f64 v[30:31], v[20:21], v[16:17]
	v_mul_f64 v[16:17], v[18:19], v[16:17]
	s_waitcnt lgkmcnt(0)
	v_mul_f64 v[36:37], v[24:25], v[28:29]
	v_mul_f64 v[38:39], v[22:23], v[28:29]
	s_delay_alu instid0(VALU_DEP_4) | instskip(NEXT) | instid1(VALU_DEP_4)
	v_fma_f64 v[40:41], v[18:19], v[14:15], -v[30:31]
	v_fma_f64 v[42:43], v[20:21], v[14:15], v[16:17]
	ds_load_b128 v[14:17], v10 offset:512
	ds_load_b128 v[18:21], v11 offset:32
	;; [unrolled: 1-line block ×4, first 2 shown]
	v_fma_f64 v[22:23], v[22:23], v[26:27], -v[36:37]
	v_fma_f64 v[24:25], v[24:25], v[26:27], v[38:39]
	s_waitcnt lgkmcnt(2)
	v_mul_f64 v[44:45], v[20:21], v[16:17]
	v_mul_f64 v[16:17], v[18:19], v[16:17]
	s_waitcnt lgkmcnt(0)
	v_mul_f64 v[26:27], v[30:31], v[34:35]
	v_mul_f64 v[34:35], v[28:29], v[34:35]
	v_add_f64 v[7:8], v[7:8], v[40:41]
	v_add_f64 v[5:6], v[5:6], v[42:43]
	v_fma_f64 v[36:37], v[18:19], v[14:15], -v[44:45]
	v_fma_f64 v[38:39], v[20:21], v[14:15], v[16:17]
	v_fma_f64 v[26:27], v[28:29], v[32:33], -v[26:27]
	v_fma_f64 v[28:29], v[30:31], v[32:33], v[34:35]
	v_add_f64 v[40:41], v[7:8], v[22:23]
	v_add_f64 v[42:43], v[5:6], v[24:25]
	ds_load_b128 v[5:8], v10 offset:1024
	ds_load_b128 v[14:17], v11 offset:64
	;; [unrolled: 1-line block ×4, first 2 shown]
	s_waitcnt lgkmcnt(2)
	v_mul_f64 v[44:45], v[16:17], v[7:8]
	v_mul_f64 v[7:8], v[14:15], v[7:8]
	s_waitcnt lgkmcnt(0)
	v_mul_f64 v[34:35], v[20:21], v[24:25]
	v_add_f64 v[30:31], v[40:41], v[36:37]
	v_add_f64 v[32:33], v[42:43], v[38:39]
	v_mul_f64 v[36:37], v[18:19], v[24:25]
	v_fma_f64 v[38:39], v[14:15], v[5:6], -v[44:45]
	v_fma_f64 v[40:41], v[16:17], v[5:6], v[7:8]
	v_fma_f64 v[18:19], v[18:19], v[22:23], -v[34:35]
	v_add_f64 v[42:43], v[30:31], v[26:27]
	v_add_f64 v[32:33], v[32:33], v[28:29]
	ds_load_b128 v[5:8], v10 offset:1536
	ds_load_b128 v[14:17], v11 offset:96
	;; [unrolled: 1-line block ×4, first 2 shown]
	v_fma_f64 v[20:21], v[20:21], v[22:23], v[36:37]
	s_waitcnt lgkmcnt(2)
	v_mul_f64 v[44:45], v[16:17], v[7:8]
	v_mul_f64 v[7:8], v[14:15], v[7:8]
	s_waitcnt lgkmcnt(0)
	v_mul_f64 v[34:35], v[26:27], v[30:31]
	v_mul_f64 v[36:37], v[24:25], v[30:31]
	v_add_f64 v[22:23], v[42:43], v[38:39]
	v_add_f64 v[32:33], v[32:33], v[40:41]
	v_fma_f64 v[38:39], v[14:15], v[5:6], -v[44:45]
	v_fma_f64 v[40:41], v[16:17], v[5:6], v[7:8]
	v_fma_f64 v[24:25], v[24:25], v[28:29], -v[34:35]
	v_fma_f64 v[26:27], v[26:27], v[28:29], v[36:37]
	v_add_f64 v[22:23], v[22:23], v[18:19]
	v_add_f64 v[42:43], v[32:33], v[20:21]
	ds_load_b128 v[5:8], v10 offset:2048
	ds_load_b128 v[14:17], v11 offset:128
	;; [unrolled: 1-line block ×4, first 2 shown]
	s_waitcnt lgkmcnt(2)
	v_mul_f64 v[44:45], v[16:17], v[7:8]
	v_mul_f64 v[7:8], v[14:15], v[7:8]
	s_waitcnt lgkmcnt(0)
	v_mul_f64 v[34:35], v[20:21], v[32:33]
	v_mul_f64 v[32:33], v[18:19], v[32:33]
	v_add_f64 v[22:23], v[22:23], v[38:39]
	v_add_f64 v[28:29], v[42:43], v[40:41]
	v_fma_f64 v[36:37], v[14:15], v[5:6], -v[44:45]
	v_fma_f64 v[38:39], v[16:17], v[5:6], v[7:8]
	v_fma_f64 v[18:19], v[18:19], v[30:31], -v[34:35]
	v_fma_f64 v[20:21], v[20:21], v[30:31], v[32:33]
	v_add_f64 v[40:41], v[22:23], v[24:25]
	v_add_f64 v[42:43], v[28:29], v[26:27]
	ds_load_b128 v[5:8], v10 offset:2560
	ds_load_b128 v[14:17], v11 offset:160
	;; [unrolled: 1-line block ×4, first 2 shown]
	s_waitcnt lgkmcnt(2)
	v_mul_f64 v[44:45], v[16:17], v[7:8]
	v_mul_f64 v[7:8], v[14:15], v[7:8]
	s_waitcnt lgkmcnt(0)
	v_mul_f64 v[34:35], v[24:25], v[28:29]
	v_add_f64 v[30:31], v[40:41], v[36:37]
	v_add_f64 v[32:33], v[42:43], v[38:39]
	v_mul_f64 v[36:37], v[22:23], v[28:29]
	v_fma_f64 v[38:39], v[14:15], v[5:6], -v[44:45]
	v_fma_f64 v[40:41], v[16:17], v[5:6], v[7:8]
	v_fma_f64 v[22:23], v[22:23], v[26:27], -v[34:35]
	v_add_f64 v[42:43], v[30:31], v[18:19]
	v_add_f64 v[32:33], v[32:33], v[20:21]
	ds_load_b128 v[5:8], v10 offset:3072
	ds_load_b128 v[14:17], v11 offset:192
	;; [unrolled: 1-line block ×4, first 2 shown]
	v_fma_f64 v[24:25], v[24:25], v[26:27], v[36:37]
	s_waitcnt lgkmcnt(2)
	v_mul_f64 v[44:45], v[16:17], v[7:8]
	v_mul_f64 v[7:8], v[14:15], v[7:8]
	s_waitcnt lgkmcnt(0)
	v_mul_f64 v[34:35], v[20:21], v[30:31]
	v_mul_f64 v[36:37], v[18:19], v[30:31]
	v_add_f64 v[26:27], v[42:43], v[38:39]
	v_add_f64 v[32:33], v[32:33], v[40:41]
	v_fma_f64 v[38:39], v[14:15], v[5:6], -v[44:45]
	v_fma_f64 v[40:41], v[16:17], v[5:6], v[7:8]
	v_fma_f64 v[18:19], v[18:19], v[28:29], -v[34:35]
	v_fma_f64 v[20:21], v[20:21], v[28:29], v[36:37]
	v_add_f64 v[26:27], v[26:27], v[22:23]
	v_add_f64 v[42:43], v[32:33], v[24:25]
	ds_load_b128 v[5:8], v10 offset:3584
	ds_load_b128 v[14:17], v11 offset:224
	;; [unrolled: 1-line block ×4, first 2 shown]
	s_waitcnt lgkmcnt(0)
	s_barrier
	buffer_gl0_inv
	v_mul_f64 v[44:45], v[16:17], v[7:8]
	v_mul_f64 v[7:8], v[14:15], v[7:8]
	;; [unrolled: 1-line block ×4, first 2 shown]
	v_add_f64 v[26:27], v[26:27], v[38:39]
	v_add_f64 v[28:29], v[42:43], v[40:41]
	v_fma_f64 v[14:15], v[14:15], v[5:6], -v[44:45]
	v_fma_f64 v[5:6], v[16:17], v[5:6], v[7:8]
	s_delay_alu instid0(VALU_DEP_4) | instskip(NEXT) | instid1(VALU_DEP_4)
	v_add_f64 v[7:8], v[26:27], v[18:19]
	v_add_f64 v[16:17], v[28:29], v[20:21]
	v_fma_f64 v[18:19], v[22:23], v[30:31], -v[34:35]
	v_fma_f64 v[20:21], v[24:25], v[30:31], v[32:33]
	s_delay_alu instid0(VALU_DEP_4) | instskip(NEXT) | instid1(VALU_DEP_4)
	v_add_f64 v[7:8], v[7:8], v[14:15]
	v_add_f64 v[5:6], v[16:17], v[5:6]
	s_delay_alu instid0(VALU_DEP_2) | instskip(NEXT) | instid1(VALU_DEP_2)
	v_add_f64 v[7:8], v[7:8], v[18:19]
	v_add_f64 v[5:6], v[5:6], v[20:21]
	s_cbranch_scc1 .LBB732_2
.LBB732_3:
	s_mov_b32 s8, exec_lo
	v_cmpx_le_i32_e64 v9, v0
	s_cbranch_execz .LBB732_5
; %bb.4:
	s_waitcnt lgkmcnt(0)
	s_delay_alu instid0(VALU_DEP_2) | instskip(SKIP_2) | instid1(VALU_DEP_2)
	v_mul_f64 v[1:2], s[6:7], v[5:6]
	v_mul_f64 v[4:5], s[4:5], v[5:6]
	s_load_b32 s0, s[0:1], 0x60
	v_fma_f64 v[2:3], s[4:5], v[7:8], -v[1:2]
	s_delay_alu instid0(VALU_DEP_2) | instskip(SKIP_3) | instid1(VALU_DEP_1)
	v_fma_f64 v[4:5], s[6:7], v[7:8], v[4:5]
	s_waitcnt lgkmcnt(0)
	v_mad_i64_i32 v[6:7], null, s0, v9, 0
	v_ashrrev_i32_e32 v1, 31, v0
	v_lshlrev_b64 v[0:1], 4, v[0:1]
	s_delay_alu instid0(VALU_DEP_3) | instskip(NEXT) | instid1(VALU_DEP_1)
	v_lshlrev_b64 v[6:7], 4, v[6:7]
	v_add_co_u32 v6, vcc_lo, s2, v6
	s_delay_alu instid0(VALU_DEP_2) | instskip(NEXT) | instid1(VALU_DEP_2)
	v_add_co_ci_u32_e32 v7, vcc_lo, s3, v7, vcc_lo
	v_add_co_u32 v0, vcc_lo, v6, v0
	s_delay_alu instid0(VALU_DEP_2)
	v_add_co_ci_u32_e32 v1, vcc_lo, v7, v1, vcc_lo
	global_store_b128 v[0:1], v[2:5], off
.LBB732_5:
	s_nop 0
	s_sendmsg sendmsg(MSG_DEALLOC_VGPRS)
	s_endpgm
	.section	.rodata,"a",@progbits
	.p2align	6, 0x0
	.amdhsa_kernel _ZL41rocblas_syrkx_herkx_small_restrict_kernelIi19rocblas_complex_numIdELi16ELb1ELb0ELc67ELc76EKPKS1_KPS1_EviT_T0_PT6_S7_lSA_S7_lS8_PT7_S7_li
		.amdhsa_group_segment_fixed_size 8192
		.amdhsa_private_segment_fixed_size 0
		.amdhsa_kernarg_size 116
		.amdhsa_user_sgpr_count 13
		.amdhsa_user_sgpr_dispatch_ptr 0
		.amdhsa_user_sgpr_queue_ptr 0
		.amdhsa_user_sgpr_kernarg_segment_ptr 1
		.amdhsa_user_sgpr_dispatch_id 0
		.amdhsa_user_sgpr_private_segment_size 0
		.amdhsa_wavefront_size32 1
		.amdhsa_uses_dynamic_stack 0
		.amdhsa_enable_private_segment 0
		.amdhsa_system_sgpr_workgroup_id_x 1
		.amdhsa_system_sgpr_workgroup_id_y 1
		.amdhsa_system_sgpr_workgroup_id_z 1
		.amdhsa_system_sgpr_workgroup_info 0
		.amdhsa_system_vgpr_workitem_id 1
		.amdhsa_next_free_vgpr 46
		.amdhsa_next_free_sgpr 18
		.amdhsa_reserve_vcc 1
		.amdhsa_float_round_mode_32 0
		.amdhsa_float_round_mode_16_64 0
		.amdhsa_float_denorm_mode_32 3
		.amdhsa_float_denorm_mode_16_64 3
		.amdhsa_dx10_clamp 1
		.amdhsa_ieee_mode 1
		.amdhsa_fp16_overflow 0
		.amdhsa_workgroup_processor_mode 1
		.amdhsa_memory_ordered 1
		.amdhsa_forward_progress 0
		.amdhsa_shared_vgpr_count 0
		.amdhsa_exception_fp_ieee_invalid_op 0
		.amdhsa_exception_fp_denorm_src 0
		.amdhsa_exception_fp_ieee_div_zero 0
		.amdhsa_exception_fp_ieee_overflow 0
		.amdhsa_exception_fp_ieee_underflow 0
		.amdhsa_exception_fp_ieee_inexact 0
		.amdhsa_exception_int_div_zero 0
	.end_amdhsa_kernel
	.section	.text._ZL41rocblas_syrkx_herkx_small_restrict_kernelIi19rocblas_complex_numIdELi16ELb1ELb0ELc67ELc76EKPKS1_KPS1_EviT_T0_PT6_S7_lSA_S7_lS8_PT7_S7_li,"axG",@progbits,_ZL41rocblas_syrkx_herkx_small_restrict_kernelIi19rocblas_complex_numIdELi16ELb1ELb0ELc67ELc76EKPKS1_KPS1_EviT_T0_PT6_S7_lSA_S7_lS8_PT7_S7_li,comdat
.Lfunc_end732:
	.size	_ZL41rocblas_syrkx_herkx_small_restrict_kernelIi19rocblas_complex_numIdELi16ELb1ELb0ELc67ELc76EKPKS1_KPS1_EviT_T0_PT6_S7_lSA_S7_lS8_PT7_S7_li, .Lfunc_end732-_ZL41rocblas_syrkx_herkx_small_restrict_kernelIi19rocblas_complex_numIdELi16ELb1ELb0ELc67ELc76EKPKS1_KPS1_EviT_T0_PT6_S7_lSA_S7_lS8_PT7_S7_li
                                        ; -- End function
	.section	.AMDGPU.csdata,"",@progbits
; Kernel info:
; codeLenInByte = 1720
; NumSgprs: 20
; NumVgprs: 46
; ScratchSize: 0
; MemoryBound: 0
; FloatMode: 240
; IeeeMode: 1
; LDSByteSize: 8192 bytes/workgroup (compile time only)
; SGPRBlocks: 2
; VGPRBlocks: 5
; NumSGPRsForWavesPerEU: 20
; NumVGPRsForWavesPerEU: 46
; Occupancy: 16
; WaveLimiterHint : 1
; COMPUTE_PGM_RSRC2:SCRATCH_EN: 0
; COMPUTE_PGM_RSRC2:USER_SGPR: 13
; COMPUTE_PGM_RSRC2:TRAP_HANDLER: 0
; COMPUTE_PGM_RSRC2:TGID_X_EN: 1
; COMPUTE_PGM_RSRC2:TGID_Y_EN: 1
; COMPUTE_PGM_RSRC2:TGID_Z_EN: 1
; COMPUTE_PGM_RSRC2:TIDIG_COMP_CNT: 1
	.section	.text._ZL41rocblas_syrkx_herkx_small_restrict_kernelIi19rocblas_complex_numIdELi16ELb1ELb0ELc78ELc76EKPKS1_KPS1_EviT_T0_PT6_S7_lSA_S7_lS8_PT7_S7_li,"axG",@progbits,_ZL41rocblas_syrkx_herkx_small_restrict_kernelIi19rocblas_complex_numIdELi16ELb1ELb0ELc78ELc76EKPKS1_KPS1_EviT_T0_PT6_S7_lSA_S7_lS8_PT7_S7_li,comdat
	.globl	_ZL41rocblas_syrkx_herkx_small_restrict_kernelIi19rocblas_complex_numIdELi16ELb1ELb0ELc78ELc76EKPKS1_KPS1_EviT_T0_PT6_S7_lSA_S7_lS8_PT7_S7_li ; -- Begin function _ZL41rocblas_syrkx_herkx_small_restrict_kernelIi19rocblas_complex_numIdELi16ELb1ELb0ELc78ELc76EKPKS1_KPS1_EviT_T0_PT6_S7_lSA_S7_lS8_PT7_S7_li
	.p2align	8
	.type	_ZL41rocblas_syrkx_herkx_small_restrict_kernelIi19rocblas_complex_numIdELi16ELb1ELb0ELc78ELc76EKPKS1_KPS1_EviT_T0_PT6_S7_lSA_S7_lS8_PT7_S7_li,@function
_ZL41rocblas_syrkx_herkx_small_restrict_kernelIi19rocblas_complex_numIdELi16ELb1ELb0ELc78ELc76EKPKS1_KPS1_EviT_T0_PT6_S7_lSA_S7_lS8_PT7_S7_li: ; @_ZL41rocblas_syrkx_herkx_small_restrict_kernelIi19rocblas_complex_numIdELi16ELb1ELb0ELc78ELc76EKPKS1_KPS1_EviT_T0_PT6_S7_lSA_S7_lS8_PT7_S7_li
; %bb.0:
	s_clause 0x1
	s_load_b64 s[2:3], s[0:1], 0x58
	s_load_b64 s[16:17], s[0:1], 0x18
	s_mov_b32 s8, s15
	s_mov_b32 s9, 0
	v_and_b32_e32 v5, 0x3ff, v0
	s_lshl_b64 s[10:11], s[8:9], 3
	s_load_b32 s8, s[0:1], 0x4
	v_mov_b32_e32 v7, 0
	v_mov_b32_e32 v8, 0
	v_bfe_u32 v4, v0, 10, 10
	v_lshl_add_u32 v0, s13, 4, v5
	s_delay_alu instid0(VALU_DEP_3) | instskip(NEXT) | instid1(VALU_DEP_3)
	v_dual_mov_b32 v10, v8 :: v_dual_mov_b32 v9, v7
	v_lshl_add_u32 v2, s14, 4, v4
	s_delay_alu instid0(VALU_DEP_3)
	v_ashrrev_i32_e32 v1, 31, v0
	s_waitcnt lgkmcnt(0)
	s_add_u32 s2, s2, s10
	s_addc_u32 s3, s3, s11
	s_load_b128 s[4:7], s[0:1], 0x8
	s_load_b64 s[2:3], s[2:3], 0x0
	s_cmp_lt_i32 s8, 1
	s_cbranch_scc1 .LBB733_3
; %bb.1:
	s_clause 0x2
	s_load_b32 s12, s[0:1], 0x20
	s_load_b32 s14, s[0:1], 0x38
	s_load_b64 s[18:19], s[0:1], 0x30
	v_ashrrev_i32_e32 v3, 31, v2
	v_lshlrev_b32_e32 v13, 8, v4
	v_lshlrev_b32_e32 v11, 4, v5
	v_lshlrev_b64 v[9:10], 4, v[0:1]
	s_waitcnt lgkmcnt(0)
	s_ashr_i32 s13, s12, 31
	s_ashr_i32 s15, s14, 31
	s_add_u32 s18, s18, s10
	s_addc_u32 s19, s19, s11
	v_mad_i64_i32 v[6:7], null, s14, v5, 0
	s_load_b64 s[18:19], s[18:19], 0x0
	s_add_u32 s10, s16, s10
	s_addc_u32 s11, s17, s11
	v_mad_i64_i32 v[15:16], null, s12, v4, 0
	s_load_b64 s[10:11], s[10:11], 0x0
	v_lshlrev_b64 v[3:4], 4, v[2:3]
	s_delay_alu instid0(VALU_DEP_3)
	v_lshlrev_b64 v[5:6], 4, v[6:7]
	v_mov_b32_e32 v7, 0
	v_mov_b32_e32 v8, 0
	v_add_nc_u32_e32 v12, 0x1000, v13
	v_lshlrev_b64 v[15:16], 4, v[15:16]
	s_lshl_b64 s[12:13], s[12:13], 8
	v_add_co_u32 v3, vcc_lo, v5, v3
	v_add_co_ci_u32_e32 v4, vcc_lo, v6, v4, vcc_lo
	s_delay_alu instid0(VALU_DEP_3) | instskip(NEXT) | instid1(VALU_DEP_4)
	v_add_co_u32 v5, vcc_lo, v15, v9
	v_add_co_ci_u32_e32 v6, vcc_lo, v16, v10, vcc_lo
	s_waitcnt lgkmcnt(0)
	v_add_co_u32 v9, vcc_lo, v3, s18
	v_add_co_ci_u32_e32 v10, vcc_lo, s19, v4, vcc_lo
	v_add_co_u32 v3, vcc_lo, s10, v5
	v_add_co_ci_u32_e32 v4, vcc_lo, s11, v6, vcc_lo
	s_delay_alu instid0(VALU_DEP_4) | instskip(NEXT) | instid1(VALU_DEP_4)
	v_add_co_u32 v5, vcc_lo, v9, 8
	v_add_co_ci_u32_e32 v6, vcc_lo, 0, v10, vcc_lo
	v_dual_mov_b32 v10, v8 :: v_dual_mov_b32 v9, v7
	v_add_nc_u32_e32 v13, v11, v13
	v_add_nc_u32_e32 v14, v12, v11
	s_lshl_b64 s[10:11], s[14:15], 8
.LBB733_2:                              ; =>This Inner Loop Header: Depth=1
	global_load_b128 v[15:18], v[3:4], off
	global_load_b128 v[19:22], v[5:6], off offset:-8
	v_add_co_u32 v5, vcc_lo, v5, s10
	v_add_co_ci_u32_e32 v6, vcc_lo, s11, v6, vcc_lo
	v_add_co_u32 v3, vcc_lo, v3, s12
	v_add_co_ci_u32_e32 v4, vcc_lo, s13, v4, vcc_lo
	s_add_i32 s9, s9, 16
	s_waitcnt vmcnt(1)
	ds_store_2addr_b64 v13, v[15:16], v[17:18] offset1:1
	s_waitcnt vmcnt(0)
	ds_store_b128 v14, v[19:22]
	s_waitcnt lgkmcnt(0)
	s_barrier
	buffer_gl0_inv
	ds_load_b128 v[15:18], v11
	ds_load_b128 v[19:22], v12
	ds_load_b128 v[23:26], v12 offset:16
	ds_load_b128 v[27:30], v11 offset:256
	s_cmp_lt_i32 s9, s8
	s_waitcnt lgkmcnt(2)
	v_mul_f64 v[31:32], v[21:22], v[17:18]
	v_mul_f64 v[17:18], v[19:20], v[17:18]
	s_waitcnt lgkmcnt(0)
	v_mul_f64 v[37:38], v[25:26], v[29:30]
	v_mul_f64 v[39:40], v[23:24], v[29:30]
	s_delay_alu instid0(VALU_DEP_4) | instskip(NEXT) | instid1(VALU_DEP_4)
	v_fma_f64 v[41:42], v[19:20], v[15:16], -v[31:32]
	v_fma_f64 v[43:44], v[21:22], v[15:16], v[17:18]
	ds_load_b128 v[15:18], v11 offset:512
	ds_load_b128 v[19:22], v12 offset:32
	;; [unrolled: 1-line block ×4, first 2 shown]
	v_fma_f64 v[23:24], v[23:24], v[27:28], -v[37:38]
	v_fma_f64 v[25:26], v[25:26], v[27:28], v[39:40]
	s_waitcnt lgkmcnt(2)
	v_mul_f64 v[45:46], v[21:22], v[17:18]
	v_mul_f64 v[17:18], v[19:20], v[17:18]
	s_waitcnt lgkmcnt(0)
	v_mul_f64 v[27:28], v[31:32], v[35:36]
	v_mul_f64 v[35:36], v[29:30], v[35:36]
	v_add_f64 v[9:10], v[9:10], v[41:42]
	v_add_f64 v[7:8], v[7:8], v[43:44]
	v_fma_f64 v[37:38], v[19:20], v[15:16], -v[45:46]
	v_fma_f64 v[39:40], v[21:22], v[15:16], v[17:18]
	v_fma_f64 v[27:28], v[29:30], v[33:34], -v[27:28]
	v_fma_f64 v[29:30], v[31:32], v[33:34], v[35:36]
	v_add_f64 v[41:42], v[9:10], v[23:24]
	v_add_f64 v[43:44], v[7:8], v[25:26]
	ds_load_b128 v[7:10], v11 offset:1024
	ds_load_b128 v[15:18], v12 offset:64
	;; [unrolled: 1-line block ×4, first 2 shown]
	s_waitcnt lgkmcnt(2)
	v_mul_f64 v[45:46], v[17:18], v[9:10]
	v_mul_f64 v[9:10], v[15:16], v[9:10]
	s_waitcnt lgkmcnt(0)
	v_mul_f64 v[35:36], v[21:22], v[25:26]
	v_add_f64 v[31:32], v[41:42], v[37:38]
	v_add_f64 v[33:34], v[43:44], v[39:40]
	v_mul_f64 v[37:38], v[19:20], v[25:26]
	v_fma_f64 v[39:40], v[15:16], v[7:8], -v[45:46]
	v_fma_f64 v[41:42], v[17:18], v[7:8], v[9:10]
	v_fma_f64 v[19:20], v[19:20], v[23:24], -v[35:36]
	v_add_f64 v[43:44], v[31:32], v[27:28]
	v_add_f64 v[33:34], v[33:34], v[29:30]
	ds_load_b128 v[7:10], v11 offset:1536
	ds_load_b128 v[15:18], v12 offset:96
	;; [unrolled: 1-line block ×4, first 2 shown]
	v_fma_f64 v[21:22], v[21:22], v[23:24], v[37:38]
	s_waitcnt lgkmcnt(2)
	v_mul_f64 v[45:46], v[17:18], v[9:10]
	v_mul_f64 v[9:10], v[15:16], v[9:10]
	s_waitcnt lgkmcnt(0)
	v_mul_f64 v[35:36], v[27:28], v[31:32]
	v_mul_f64 v[37:38], v[25:26], v[31:32]
	v_add_f64 v[23:24], v[43:44], v[39:40]
	v_add_f64 v[33:34], v[33:34], v[41:42]
	v_fma_f64 v[39:40], v[15:16], v[7:8], -v[45:46]
	v_fma_f64 v[41:42], v[17:18], v[7:8], v[9:10]
	v_fma_f64 v[25:26], v[25:26], v[29:30], -v[35:36]
	v_fma_f64 v[27:28], v[27:28], v[29:30], v[37:38]
	v_add_f64 v[23:24], v[23:24], v[19:20]
	v_add_f64 v[43:44], v[33:34], v[21:22]
	ds_load_b128 v[7:10], v11 offset:2048
	ds_load_b128 v[15:18], v12 offset:128
	;; [unrolled: 1-line block ×4, first 2 shown]
	s_waitcnt lgkmcnt(2)
	v_mul_f64 v[45:46], v[17:18], v[9:10]
	v_mul_f64 v[9:10], v[15:16], v[9:10]
	s_waitcnt lgkmcnt(0)
	v_mul_f64 v[35:36], v[21:22], v[33:34]
	v_mul_f64 v[33:34], v[19:20], v[33:34]
	v_add_f64 v[23:24], v[23:24], v[39:40]
	v_add_f64 v[29:30], v[43:44], v[41:42]
	v_fma_f64 v[37:38], v[15:16], v[7:8], -v[45:46]
	v_fma_f64 v[39:40], v[17:18], v[7:8], v[9:10]
	v_fma_f64 v[19:20], v[19:20], v[31:32], -v[35:36]
	v_fma_f64 v[21:22], v[21:22], v[31:32], v[33:34]
	v_add_f64 v[41:42], v[23:24], v[25:26]
	v_add_f64 v[43:44], v[29:30], v[27:28]
	ds_load_b128 v[7:10], v11 offset:2560
	ds_load_b128 v[15:18], v12 offset:160
	;; [unrolled: 1-line block ×4, first 2 shown]
	s_waitcnt lgkmcnt(2)
	v_mul_f64 v[45:46], v[17:18], v[9:10]
	v_mul_f64 v[9:10], v[15:16], v[9:10]
	s_waitcnt lgkmcnt(0)
	v_mul_f64 v[35:36], v[25:26], v[29:30]
	v_add_f64 v[31:32], v[41:42], v[37:38]
	v_add_f64 v[33:34], v[43:44], v[39:40]
	v_mul_f64 v[37:38], v[23:24], v[29:30]
	v_fma_f64 v[39:40], v[15:16], v[7:8], -v[45:46]
	v_fma_f64 v[41:42], v[17:18], v[7:8], v[9:10]
	v_fma_f64 v[23:24], v[23:24], v[27:28], -v[35:36]
	v_add_f64 v[43:44], v[31:32], v[19:20]
	v_add_f64 v[33:34], v[33:34], v[21:22]
	ds_load_b128 v[7:10], v11 offset:3072
	ds_load_b128 v[15:18], v12 offset:192
	;; [unrolled: 1-line block ×4, first 2 shown]
	v_fma_f64 v[25:26], v[25:26], v[27:28], v[37:38]
	s_waitcnt lgkmcnt(2)
	v_mul_f64 v[45:46], v[17:18], v[9:10]
	v_mul_f64 v[9:10], v[15:16], v[9:10]
	s_waitcnt lgkmcnt(0)
	v_mul_f64 v[35:36], v[21:22], v[31:32]
	v_mul_f64 v[37:38], v[19:20], v[31:32]
	v_add_f64 v[27:28], v[43:44], v[39:40]
	v_add_f64 v[33:34], v[33:34], v[41:42]
	v_fma_f64 v[39:40], v[15:16], v[7:8], -v[45:46]
	v_fma_f64 v[41:42], v[17:18], v[7:8], v[9:10]
	v_fma_f64 v[19:20], v[19:20], v[29:30], -v[35:36]
	v_fma_f64 v[21:22], v[21:22], v[29:30], v[37:38]
	v_add_f64 v[27:28], v[27:28], v[23:24]
	v_add_f64 v[43:44], v[33:34], v[25:26]
	ds_load_b128 v[7:10], v11 offset:3584
	ds_load_b128 v[15:18], v12 offset:224
	;; [unrolled: 1-line block ×4, first 2 shown]
	s_waitcnt lgkmcnt(0)
	s_barrier
	buffer_gl0_inv
	v_mul_f64 v[45:46], v[17:18], v[9:10]
	v_mul_f64 v[9:10], v[15:16], v[9:10]
	;; [unrolled: 1-line block ×4, first 2 shown]
	v_add_f64 v[27:28], v[27:28], v[39:40]
	v_add_f64 v[29:30], v[43:44], v[41:42]
	v_fma_f64 v[15:16], v[15:16], v[7:8], -v[45:46]
	v_fma_f64 v[7:8], v[17:18], v[7:8], v[9:10]
	s_delay_alu instid0(VALU_DEP_4) | instskip(NEXT) | instid1(VALU_DEP_4)
	v_add_f64 v[9:10], v[27:28], v[19:20]
	v_add_f64 v[17:18], v[29:30], v[21:22]
	v_fma_f64 v[19:20], v[23:24], v[31:32], -v[35:36]
	v_fma_f64 v[21:22], v[25:26], v[31:32], v[33:34]
	s_delay_alu instid0(VALU_DEP_4) | instskip(NEXT) | instid1(VALU_DEP_4)
	v_add_f64 v[9:10], v[9:10], v[15:16]
	v_add_f64 v[7:8], v[17:18], v[7:8]
	s_delay_alu instid0(VALU_DEP_2) | instskip(NEXT) | instid1(VALU_DEP_2)
	v_add_f64 v[9:10], v[9:10], v[19:20]
	v_add_f64 v[7:8], v[7:8], v[21:22]
	s_cbranch_scc1 .LBB733_2
.LBB733_3:
	s_mov_b32 s8, exec_lo
	v_cmpx_le_i32_e64 v2, v0
	s_cbranch_execz .LBB733_5
; %bb.4:
	s_waitcnt lgkmcnt(0)
	s_delay_alu instid0(VALU_DEP_2)
	v_mul_f64 v[3:4], s[6:7], v[7:8]
	v_mul_f64 v[5:6], s[4:5], v[7:8]
	s_load_b32 s0, s[0:1], 0x60
	v_lshlrev_b64 v[0:1], 4, v[0:1]
	s_waitcnt lgkmcnt(0)
	v_mad_i64_i32 v[7:8], null, s0, v2, 0
	s_delay_alu instid0(VALU_DEP_1) | instskip(NEXT) | instid1(VALU_DEP_1)
	v_lshlrev_b64 v[7:8], 4, v[7:8]
	v_add_co_u32 v2, vcc_lo, s2, v7
	v_fma_f64 v[3:4], s[4:5], v[9:10], -v[3:4]
	v_fma_f64 v[5:6], s[6:7], v[9:10], v[5:6]
	s_delay_alu instid0(VALU_DEP_4) | instskip(NEXT) | instid1(VALU_DEP_4)
	v_add_co_ci_u32_e32 v7, vcc_lo, s3, v8, vcc_lo
	v_add_co_u32 v0, vcc_lo, v2, v0
	s_delay_alu instid0(VALU_DEP_2)
	v_add_co_ci_u32_e32 v1, vcc_lo, v7, v1, vcc_lo
	global_store_b128 v[0:1], v[3:6], off
.LBB733_5:
	s_nop 0
	s_sendmsg sendmsg(MSG_DEALLOC_VGPRS)
	s_endpgm
	.section	.rodata,"a",@progbits
	.p2align	6, 0x0
	.amdhsa_kernel _ZL41rocblas_syrkx_herkx_small_restrict_kernelIi19rocblas_complex_numIdELi16ELb1ELb0ELc78ELc76EKPKS1_KPS1_EviT_T0_PT6_S7_lSA_S7_lS8_PT7_S7_li
		.amdhsa_group_segment_fixed_size 8192
		.amdhsa_private_segment_fixed_size 0
		.amdhsa_kernarg_size 116
		.amdhsa_user_sgpr_count 13
		.amdhsa_user_sgpr_dispatch_ptr 0
		.amdhsa_user_sgpr_queue_ptr 0
		.amdhsa_user_sgpr_kernarg_segment_ptr 1
		.amdhsa_user_sgpr_dispatch_id 0
		.amdhsa_user_sgpr_private_segment_size 0
		.amdhsa_wavefront_size32 1
		.amdhsa_uses_dynamic_stack 0
		.amdhsa_enable_private_segment 0
		.amdhsa_system_sgpr_workgroup_id_x 1
		.amdhsa_system_sgpr_workgroup_id_y 1
		.amdhsa_system_sgpr_workgroup_id_z 1
		.amdhsa_system_sgpr_workgroup_info 0
		.amdhsa_system_vgpr_workitem_id 1
		.amdhsa_next_free_vgpr 47
		.amdhsa_next_free_sgpr 20
		.amdhsa_reserve_vcc 1
		.amdhsa_float_round_mode_32 0
		.amdhsa_float_round_mode_16_64 0
		.amdhsa_float_denorm_mode_32 3
		.amdhsa_float_denorm_mode_16_64 3
		.amdhsa_dx10_clamp 1
		.amdhsa_ieee_mode 1
		.amdhsa_fp16_overflow 0
		.amdhsa_workgroup_processor_mode 1
		.amdhsa_memory_ordered 1
		.amdhsa_forward_progress 0
		.amdhsa_shared_vgpr_count 0
		.amdhsa_exception_fp_ieee_invalid_op 0
		.amdhsa_exception_fp_denorm_src 0
		.amdhsa_exception_fp_ieee_div_zero 0
		.amdhsa_exception_fp_ieee_overflow 0
		.amdhsa_exception_fp_ieee_underflow 0
		.amdhsa_exception_fp_ieee_inexact 0
		.amdhsa_exception_int_div_zero 0
	.end_amdhsa_kernel
	.section	.text._ZL41rocblas_syrkx_herkx_small_restrict_kernelIi19rocblas_complex_numIdELi16ELb1ELb0ELc78ELc76EKPKS1_KPS1_EviT_T0_PT6_S7_lSA_S7_lS8_PT7_S7_li,"axG",@progbits,_ZL41rocblas_syrkx_herkx_small_restrict_kernelIi19rocblas_complex_numIdELi16ELb1ELb0ELc78ELc76EKPKS1_KPS1_EviT_T0_PT6_S7_lSA_S7_lS8_PT7_S7_li,comdat
.Lfunc_end733:
	.size	_ZL41rocblas_syrkx_herkx_small_restrict_kernelIi19rocblas_complex_numIdELi16ELb1ELb0ELc78ELc76EKPKS1_KPS1_EviT_T0_PT6_S7_lSA_S7_lS8_PT7_S7_li, .Lfunc_end733-_ZL41rocblas_syrkx_herkx_small_restrict_kernelIi19rocblas_complex_numIdELi16ELb1ELb0ELc78ELc76EKPKS1_KPS1_EviT_T0_PT6_S7_lSA_S7_lS8_PT7_S7_li
                                        ; -- End function
	.section	.AMDGPU.csdata,"",@progbits
; Kernel info:
; codeLenInByte = 1736
; NumSgprs: 22
; NumVgprs: 47
; ScratchSize: 0
; MemoryBound: 0
; FloatMode: 240
; IeeeMode: 1
; LDSByteSize: 8192 bytes/workgroup (compile time only)
; SGPRBlocks: 2
; VGPRBlocks: 5
; NumSGPRsForWavesPerEU: 22
; NumVGPRsForWavesPerEU: 47
; Occupancy: 16
; WaveLimiterHint : 1
; COMPUTE_PGM_RSRC2:SCRATCH_EN: 0
; COMPUTE_PGM_RSRC2:USER_SGPR: 13
; COMPUTE_PGM_RSRC2:TRAP_HANDLER: 0
; COMPUTE_PGM_RSRC2:TGID_X_EN: 1
; COMPUTE_PGM_RSRC2:TGID_Y_EN: 1
; COMPUTE_PGM_RSRC2:TGID_Z_EN: 1
; COMPUTE_PGM_RSRC2:TIDIG_COMP_CNT: 1
	.section	.text._ZL41rocblas_syrkx_herkx_small_restrict_kernelIi19rocblas_complex_numIdELi16ELb1ELb0ELc84ELc85EKPKS1_KPS1_EviT_T0_PT6_S7_lSA_S7_lS8_PT7_S7_li,"axG",@progbits,_ZL41rocblas_syrkx_herkx_small_restrict_kernelIi19rocblas_complex_numIdELi16ELb1ELb0ELc84ELc85EKPKS1_KPS1_EviT_T0_PT6_S7_lSA_S7_lS8_PT7_S7_li,comdat
	.globl	_ZL41rocblas_syrkx_herkx_small_restrict_kernelIi19rocblas_complex_numIdELi16ELb1ELb0ELc84ELc85EKPKS1_KPS1_EviT_T0_PT6_S7_lSA_S7_lS8_PT7_S7_li ; -- Begin function _ZL41rocblas_syrkx_herkx_small_restrict_kernelIi19rocblas_complex_numIdELi16ELb1ELb0ELc84ELc85EKPKS1_KPS1_EviT_T0_PT6_S7_lSA_S7_lS8_PT7_S7_li
	.p2align	8
	.type	_ZL41rocblas_syrkx_herkx_small_restrict_kernelIi19rocblas_complex_numIdELi16ELb1ELb0ELc84ELc85EKPKS1_KPS1_EviT_T0_PT6_S7_lSA_S7_lS8_PT7_S7_li,@function
_ZL41rocblas_syrkx_herkx_small_restrict_kernelIi19rocblas_complex_numIdELi16ELb1ELb0ELc84ELc85EKPKS1_KPS1_EviT_T0_PT6_S7_lSA_S7_lS8_PT7_S7_li: ; @_ZL41rocblas_syrkx_herkx_small_restrict_kernelIi19rocblas_complex_numIdELi16ELb1ELb0ELc84ELc85EKPKS1_KPS1_EviT_T0_PT6_S7_lSA_S7_lS8_PT7_S7_li
; %bb.0:
	s_clause 0x1
	s_load_b64 s[2:3], s[0:1], 0x58
	s_load_b64 s[16:17], s[0:1], 0x18
	s_mov_b32 s8, s15
	s_mov_b32 s9, 0
	v_dual_mov_b32 v5, 0 :: v_dual_and_b32 v2, 0x3ff, v0
	s_lshl_b64 s[10:11], s[8:9], 3
	s_load_b32 s8, s[0:1], 0x4
	v_bfe_u32 v1, v0, 10, 10
	v_mov_b32_e32 v6, 0
	v_lshl_add_u32 v0, s13, 4, v2
	s_delay_alu instid0(VALU_DEP_3) | instskip(NEXT) | instid1(VALU_DEP_3)
	v_lshl_add_u32 v9, s14, 4, v1
	v_dual_mov_b32 v8, v6 :: v_dual_mov_b32 v7, v5
	s_waitcnt lgkmcnt(0)
	s_add_u32 s2, s2, s10
	s_addc_u32 s3, s3, s11
	s_load_b128 s[4:7], s[0:1], 0x8
	s_load_b64 s[2:3], s[2:3], 0x0
	s_cmp_lt_i32 s8, 1
	s_cbranch_scc1 .LBB734_3
; %bb.1:
	s_clause 0x2
	s_load_b64 s[12:13], s[0:1], 0x30
	s_load_b32 s14, s[0:1], 0x38
	s_load_b32 s15, s[0:1], 0x20
	v_dual_mov_b32 v5, 0 :: v_dual_lshlrev_b32 v4, 8, v1
	v_lshlrev_b32_e32 v14, 4, v1
	v_mov_b32_e32 v6, 0
	v_lshlrev_b32_e32 v10, 4, v2
	s_delay_alu instid0(VALU_DEP_4) | instskip(NEXT) | instid1(VALU_DEP_2)
	v_add_nc_u32_e32 v11, 0x1000, v4
	v_add_nc_u32_e32 v12, v10, v4
	s_waitcnt lgkmcnt(0)
	s_add_u32 s12, s12, s10
	s_addc_u32 s13, s13, s11
	v_mad_i64_i32 v[2:3], null, s14, v9, 0
	s_load_b64 s[12:13], s[12:13], 0x0
	s_add_u32 s10, s16, s10
	s_addc_u32 s11, s17, s11
	v_mad_i64_i32 v[7:8], null, s15, v0, 0
	s_load_b64 s[10:11], s[10:11], 0x0
	s_delay_alu instid0(VALU_DEP_2) | instskip(NEXT) | instid1(VALU_DEP_2)
	v_lshlrev_b64 v[1:2], 4, v[2:3]
	v_lshlrev_b64 v[3:4], 4, v[7:8]
	v_dual_mov_b32 v8, v6 :: v_dual_mov_b32 v7, v5
	s_delay_alu instid0(VALU_DEP_3) | instskip(NEXT) | instid1(VALU_DEP_4)
	v_add_co_u32 v1, vcc_lo, v1, v10
	v_add_co_ci_u32_e32 v2, vcc_lo, 0, v2, vcc_lo
	s_delay_alu instid0(VALU_DEP_4)
	v_add_co_u32 v3, vcc_lo, v3, v14
	v_add_co_ci_u32_e32 v4, vcc_lo, 0, v4, vcc_lo
	s_waitcnt lgkmcnt(0)
	v_add_co_u32 v1, vcc_lo, s12, v1
	v_add_co_ci_u32_e32 v2, vcc_lo, s13, v2, vcc_lo
	v_add_co_u32 v3, vcc_lo, s10, v3
	v_add_nc_u32_e32 v13, v11, v10
	v_add_co_ci_u32_e32 v4, vcc_lo, s11, v4, vcc_lo
.LBB734_2:                              ; =>This Inner Loop Header: Depth=1
	global_load_b128 v[14:17], v[3:4], off
	global_load_b128 v[18:21], v[1:2], off
	v_add_co_u32 v1, vcc_lo, 0x100, v1
	v_add_co_ci_u32_e32 v2, vcc_lo, 0, v2, vcc_lo
	v_add_co_u32 v3, vcc_lo, 0x100, v3
	v_add_co_ci_u32_e32 v4, vcc_lo, 0, v4, vcc_lo
	s_add_i32 s9, s9, 16
	s_waitcnt vmcnt(1)
	ds_store_2addr_b64 v12, v[14:15], v[16:17] offset1:1
	s_waitcnt vmcnt(0)
	ds_store_2addr_b64 v13, v[18:19], v[20:21] offset1:1
	s_waitcnt lgkmcnt(0)
	s_barrier
	buffer_gl0_inv
	ds_load_b128 v[14:17], v10
	ds_load_b128 v[18:21], v11
	ds_load_b128 v[22:25], v11 offset:16
	ds_load_b128 v[26:29], v10 offset:256
	s_cmp_lt_i32 s9, s8
	s_waitcnt lgkmcnt(2)
	v_mul_f64 v[30:31], v[20:21], v[16:17]
	v_mul_f64 v[16:17], v[18:19], v[16:17]
	s_waitcnt lgkmcnt(0)
	v_mul_f64 v[36:37], v[24:25], v[28:29]
	v_mul_f64 v[38:39], v[22:23], v[28:29]
	s_delay_alu instid0(VALU_DEP_4) | instskip(NEXT) | instid1(VALU_DEP_4)
	v_fma_f64 v[40:41], v[18:19], v[14:15], -v[30:31]
	v_fma_f64 v[42:43], v[20:21], v[14:15], v[16:17]
	ds_load_b128 v[14:17], v10 offset:512
	ds_load_b128 v[18:21], v11 offset:32
	ds_load_b128 v[28:31], v11 offset:48
	ds_load_b128 v[32:35], v10 offset:768
	v_fma_f64 v[22:23], v[22:23], v[26:27], -v[36:37]
	v_fma_f64 v[24:25], v[24:25], v[26:27], v[38:39]
	s_waitcnt lgkmcnt(2)
	v_mul_f64 v[44:45], v[20:21], v[16:17]
	v_mul_f64 v[16:17], v[18:19], v[16:17]
	s_waitcnt lgkmcnt(0)
	v_mul_f64 v[26:27], v[30:31], v[34:35]
	v_mul_f64 v[34:35], v[28:29], v[34:35]
	v_add_f64 v[7:8], v[7:8], v[40:41]
	v_add_f64 v[5:6], v[5:6], v[42:43]
	v_fma_f64 v[36:37], v[18:19], v[14:15], -v[44:45]
	v_fma_f64 v[38:39], v[20:21], v[14:15], v[16:17]
	v_fma_f64 v[26:27], v[28:29], v[32:33], -v[26:27]
	v_fma_f64 v[28:29], v[30:31], v[32:33], v[34:35]
	v_add_f64 v[40:41], v[7:8], v[22:23]
	v_add_f64 v[42:43], v[5:6], v[24:25]
	ds_load_b128 v[5:8], v10 offset:1024
	ds_load_b128 v[14:17], v11 offset:64
	;; [unrolled: 1-line block ×4, first 2 shown]
	s_waitcnt lgkmcnt(2)
	v_mul_f64 v[44:45], v[16:17], v[7:8]
	v_mul_f64 v[7:8], v[14:15], v[7:8]
	s_waitcnt lgkmcnt(0)
	v_mul_f64 v[34:35], v[20:21], v[24:25]
	v_add_f64 v[30:31], v[40:41], v[36:37]
	v_add_f64 v[32:33], v[42:43], v[38:39]
	v_mul_f64 v[36:37], v[18:19], v[24:25]
	v_fma_f64 v[38:39], v[14:15], v[5:6], -v[44:45]
	v_fma_f64 v[40:41], v[16:17], v[5:6], v[7:8]
	v_fma_f64 v[18:19], v[18:19], v[22:23], -v[34:35]
	v_add_f64 v[42:43], v[30:31], v[26:27]
	v_add_f64 v[32:33], v[32:33], v[28:29]
	ds_load_b128 v[5:8], v10 offset:1536
	ds_load_b128 v[14:17], v11 offset:96
	;; [unrolled: 1-line block ×4, first 2 shown]
	v_fma_f64 v[20:21], v[20:21], v[22:23], v[36:37]
	s_waitcnt lgkmcnt(2)
	v_mul_f64 v[44:45], v[16:17], v[7:8]
	v_mul_f64 v[7:8], v[14:15], v[7:8]
	s_waitcnt lgkmcnt(0)
	v_mul_f64 v[34:35], v[26:27], v[30:31]
	v_mul_f64 v[36:37], v[24:25], v[30:31]
	v_add_f64 v[22:23], v[42:43], v[38:39]
	v_add_f64 v[32:33], v[32:33], v[40:41]
	v_fma_f64 v[38:39], v[14:15], v[5:6], -v[44:45]
	v_fma_f64 v[40:41], v[16:17], v[5:6], v[7:8]
	v_fma_f64 v[24:25], v[24:25], v[28:29], -v[34:35]
	v_fma_f64 v[26:27], v[26:27], v[28:29], v[36:37]
	v_add_f64 v[22:23], v[22:23], v[18:19]
	v_add_f64 v[42:43], v[32:33], v[20:21]
	ds_load_b128 v[5:8], v10 offset:2048
	ds_load_b128 v[14:17], v11 offset:128
	;; [unrolled: 1-line block ×4, first 2 shown]
	s_waitcnt lgkmcnt(2)
	v_mul_f64 v[44:45], v[16:17], v[7:8]
	v_mul_f64 v[7:8], v[14:15], v[7:8]
	s_waitcnt lgkmcnt(0)
	v_mul_f64 v[34:35], v[20:21], v[32:33]
	v_mul_f64 v[32:33], v[18:19], v[32:33]
	v_add_f64 v[22:23], v[22:23], v[38:39]
	v_add_f64 v[28:29], v[42:43], v[40:41]
	v_fma_f64 v[36:37], v[14:15], v[5:6], -v[44:45]
	v_fma_f64 v[38:39], v[16:17], v[5:6], v[7:8]
	v_fma_f64 v[18:19], v[18:19], v[30:31], -v[34:35]
	v_fma_f64 v[20:21], v[20:21], v[30:31], v[32:33]
	v_add_f64 v[40:41], v[22:23], v[24:25]
	v_add_f64 v[42:43], v[28:29], v[26:27]
	ds_load_b128 v[5:8], v10 offset:2560
	ds_load_b128 v[14:17], v11 offset:160
	;; [unrolled: 1-line block ×4, first 2 shown]
	s_waitcnt lgkmcnt(2)
	v_mul_f64 v[44:45], v[16:17], v[7:8]
	v_mul_f64 v[7:8], v[14:15], v[7:8]
	s_waitcnt lgkmcnt(0)
	v_mul_f64 v[34:35], v[24:25], v[28:29]
	v_add_f64 v[30:31], v[40:41], v[36:37]
	v_add_f64 v[32:33], v[42:43], v[38:39]
	v_mul_f64 v[36:37], v[22:23], v[28:29]
	v_fma_f64 v[38:39], v[14:15], v[5:6], -v[44:45]
	v_fma_f64 v[40:41], v[16:17], v[5:6], v[7:8]
	v_fma_f64 v[22:23], v[22:23], v[26:27], -v[34:35]
	v_add_f64 v[42:43], v[30:31], v[18:19]
	v_add_f64 v[32:33], v[32:33], v[20:21]
	ds_load_b128 v[5:8], v10 offset:3072
	ds_load_b128 v[14:17], v11 offset:192
	;; [unrolled: 1-line block ×4, first 2 shown]
	v_fma_f64 v[24:25], v[24:25], v[26:27], v[36:37]
	s_waitcnt lgkmcnt(2)
	v_mul_f64 v[44:45], v[16:17], v[7:8]
	v_mul_f64 v[7:8], v[14:15], v[7:8]
	s_waitcnt lgkmcnt(0)
	v_mul_f64 v[34:35], v[20:21], v[30:31]
	v_mul_f64 v[36:37], v[18:19], v[30:31]
	v_add_f64 v[26:27], v[42:43], v[38:39]
	v_add_f64 v[32:33], v[32:33], v[40:41]
	v_fma_f64 v[38:39], v[14:15], v[5:6], -v[44:45]
	v_fma_f64 v[40:41], v[16:17], v[5:6], v[7:8]
	v_fma_f64 v[18:19], v[18:19], v[28:29], -v[34:35]
	v_fma_f64 v[20:21], v[20:21], v[28:29], v[36:37]
	v_add_f64 v[26:27], v[26:27], v[22:23]
	v_add_f64 v[42:43], v[32:33], v[24:25]
	ds_load_b128 v[5:8], v10 offset:3584
	ds_load_b128 v[14:17], v11 offset:224
	;; [unrolled: 1-line block ×4, first 2 shown]
	s_waitcnt lgkmcnt(0)
	s_barrier
	buffer_gl0_inv
	v_mul_f64 v[44:45], v[16:17], v[7:8]
	v_mul_f64 v[7:8], v[14:15], v[7:8]
	;; [unrolled: 1-line block ×4, first 2 shown]
	v_add_f64 v[26:27], v[26:27], v[38:39]
	v_add_f64 v[28:29], v[42:43], v[40:41]
	v_fma_f64 v[14:15], v[14:15], v[5:6], -v[44:45]
	v_fma_f64 v[5:6], v[16:17], v[5:6], v[7:8]
	s_delay_alu instid0(VALU_DEP_4) | instskip(NEXT) | instid1(VALU_DEP_4)
	v_add_f64 v[7:8], v[26:27], v[18:19]
	v_add_f64 v[16:17], v[28:29], v[20:21]
	v_fma_f64 v[18:19], v[22:23], v[30:31], -v[34:35]
	v_fma_f64 v[20:21], v[24:25], v[30:31], v[32:33]
	s_delay_alu instid0(VALU_DEP_4) | instskip(NEXT) | instid1(VALU_DEP_4)
	v_add_f64 v[7:8], v[7:8], v[14:15]
	v_add_f64 v[5:6], v[16:17], v[5:6]
	s_delay_alu instid0(VALU_DEP_2) | instskip(NEXT) | instid1(VALU_DEP_2)
	v_add_f64 v[7:8], v[7:8], v[18:19]
	v_add_f64 v[5:6], v[5:6], v[20:21]
	s_cbranch_scc1 .LBB734_2
.LBB734_3:
	s_mov_b32 s8, exec_lo
	v_cmpx_le_i32_e64 v0, v9
	s_cbranch_execz .LBB734_5
; %bb.4:
	s_waitcnt lgkmcnt(0)
	s_delay_alu instid0(VALU_DEP_2) | instskip(SKIP_2) | instid1(VALU_DEP_2)
	v_mul_f64 v[1:2], s[6:7], v[5:6]
	v_mul_f64 v[4:5], s[4:5], v[5:6]
	s_load_b32 s0, s[0:1], 0x60
	v_fma_f64 v[2:3], s[4:5], v[7:8], -v[1:2]
	s_delay_alu instid0(VALU_DEP_2) | instskip(SKIP_3) | instid1(VALU_DEP_1)
	v_fma_f64 v[4:5], s[6:7], v[7:8], v[4:5]
	s_waitcnt lgkmcnt(0)
	v_mad_i64_i32 v[6:7], null, s0, v9, 0
	v_ashrrev_i32_e32 v1, 31, v0
	v_lshlrev_b64 v[0:1], 4, v[0:1]
	s_delay_alu instid0(VALU_DEP_3) | instskip(NEXT) | instid1(VALU_DEP_1)
	v_lshlrev_b64 v[6:7], 4, v[6:7]
	v_add_co_u32 v6, vcc_lo, s2, v6
	s_delay_alu instid0(VALU_DEP_2) | instskip(NEXT) | instid1(VALU_DEP_2)
	v_add_co_ci_u32_e32 v7, vcc_lo, s3, v7, vcc_lo
	v_add_co_u32 v0, vcc_lo, v6, v0
	s_delay_alu instid0(VALU_DEP_2)
	v_add_co_ci_u32_e32 v1, vcc_lo, v7, v1, vcc_lo
	global_store_b128 v[0:1], v[2:5], off
.LBB734_5:
	s_nop 0
	s_sendmsg sendmsg(MSG_DEALLOC_VGPRS)
	s_endpgm
	.section	.rodata,"a",@progbits
	.p2align	6, 0x0
	.amdhsa_kernel _ZL41rocblas_syrkx_herkx_small_restrict_kernelIi19rocblas_complex_numIdELi16ELb1ELb0ELc84ELc85EKPKS1_KPS1_EviT_T0_PT6_S7_lSA_S7_lS8_PT7_S7_li
		.amdhsa_group_segment_fixed_size 8192
		.amdhsa_private_segment_fixed_size 0
		.amdhsa_kernarg_size 116
		.amdhsa_user_sgpr_count 13
		.amdhsa_user_sgpr_dispatch_ptr 0
		.amdhsa_user_sgpr_queue_ptr 0
		.amdhsa_user_sgpr_kernarg_segment_ptr 1
		.amdhsa_user_sgpr_dispatch_id 0
		.amdhsa_user_sgpr_private_segment_size 0
		.amdhsa_wavefront_size32 1
		.amdhsa_uses_dynamic_stack 0
		.amdhsa_enable_private_segment 0
		.amdhsa_system_sgpr_workgroup_id_x 1
		.amdhsa_system_sgpr_workgroup_id_y 1
		.amdhsa_system_sgpr_workgroup_id_z 1
		.amdhsa_system_sgpr_workgroup_info 0
		.amdhsa_system_vgpr_workitem_id 1
		.amdhsa_next_free_vgpr 46
		.amdhsa_next_free_sgpr 18
		.amdhsa_reserve_vcc 1
		.amdhsa_float_round_mode_32 0
		.amdhsa_float_round_mode_16_64 0
		.amdhsa_float_denorm_mode_32 3
		.amdhsa_float_denorm_mode_16_64 3
		.amdhsa_dx10_clamp 1
		.amdhsa_ieee_mode 1
		.amdhsa_fp16_overflow 0
		.amdhsa_workgroup_processor_mode 1
		.amdhsa_memory_ordered 1
		.amdhsa_forward_progress 0
		.amdhsa_shared_vgpr_count 0
		.amdhsa_exception_fp_ieee_invalid_op 0
		.amdhsa_exception_fp_denorm_src 0
		.amdhsa_exception_fp_ieee_div_zero 0
		.amdhsa_exception_fp_ieee_overflow 0
		.amdhsa_exception_fp_ieee_underflow 0
		.amdhsa_exception_fp_ieee_inexact 0
		.amdhsa_exception_int_div_zero 0
	.end_amdhsa_kernel
	.section	.text._ZL41rocblas_syrkx_herkx_small_restrict_kernelIi19rocblas_complex_numIdELi16ELb1ELb0ELc84ELc85EKPKS1_KPS1_EviT_T0_PT6_S7_lSA_S7_lS8_PT7_S7_li,"axG",@progbits,_ZL41rocblas_syrkx_herkx_small_restrict_kernelIi19rocblas_complex_numIdELi16ELb1ELb0ELc84ELc85EKPKS1_KPS1_EviT_T0_PT6_S7_lSA_S7_lS8_PT7_S7_li,comdat
.Lfunc_end734:
	.size	_ZL41rocblas_syrkx_herkx_small_restrict_kernelIi19rocblas_complex_numIdELi16ELb1ELb0ELc84ELc85EKPKS1_KPS1_EviT_T0_PT6_S7_lSA_S7_lS8_PT7_S7_li, .Lfunc_end734-_ZL41rocblas_syrkx_herkx_small_restrict_kernelIi19rocblas_complex_numIdELi16ELb1ELb0ELc84ELc85EKPKS1_KPS1_EviT_T0_PT6_S7_lSA_S7_lS8_PT7_S7_li
                                        ; -- End function
	.section	.AMDGPU.csdata,"",@progbits
; Kernel info:
; codeLenInByte = 1704
; NumSgprs: 20
; NumVgprs: 46
; ScratchSize: 0
; MemoryBound: 0
; FloatMode: 240
; IeeeMode: 1
; LDSByteSize: 8192 bytes/workgroup (compile time only)
; SGPRBlocks: 2
; VGPRBlocks: 5
; NumSGPRsForWavesPerEU: 20
; NumVGPRsForWavesPerEU: 46
; Occupancy: 16
; WaveLimiterHint : 1
; COMPUTE_PGM_RSRC2:SCRATCH_EN: 0
; COMPUTE_PGM_RSRC2:USER_SGPR: 13
; COMPUTE_PGM_RSRC2:TRAP_HANDLER: 0
; COMPUTE_PGM_RSRC2:TGID_X_EN: 1
; COMPUTE_PGM_RSRC2:TGID_Y_EN: 1
; COMPUTE_PGM_RSRC2:TGID_Z_EN: 1
; COMPUTE_PGM_RSRC2:TIDIG_COMP_CNT: 1
	.section	.text._ZL41rocblas_syrkx_herkx_small_restrict_kernelIi19rocblas_complex_numIdELi16ELb1ELb0ELc67ELc85EKPKS1_KPS1_EviT_T0_PT6_S7_lSA_S7_lS8_PT7_S7_li,"axG",@progbits,_ZL41rocblas_syrkx_herkx_small_restrict_kernelIi19rocblas_complex_numIdELi16ELb1ELb0ELc67ELc85EKPKS1_KPS1_EviT_T0_PT6_S7_lSA_S7_lS8_PT7_S7_li,comdat
	.globl	_ZL41rocblas_syrkx_herkx_small_restrict_kernelIi19rocblas_complex_numIdELi16ELb1ELb0ELc67ELc85EKPKS1_KPS1_EviT_T0_PT6_S7_lSA_S7_lS8_PT7_S7_li ; -- Begin function _ZL41rocblas_syrkx_herkx_small_restrict_kernelIi19rocblas_complex_numIdELi16ELb1ELb0ELc67ELc85EKPKS1_KPS1_EviT_T0_PT6_S7_lSA_S7_lS8_PT7_S7_li
	.p2align	8
	.type	_ZL41rocblas_syrkx_herkx_small_restrict_kernelIi19rocblas_complex_numIdELi16ELb1ELb0ELc67ELc85EKPKS1_KPS1_EviT_T0_PT6_S7_lSA_S7_lS8_PT7_S7_li,@function
_ZL41rocblas_syrkx_herkx_small_restrict_kernelIi19rocblas_complex_numIdELi16ELb1ELb0ELc67ELc85EKPKS1_KPS1_EviT_T0_PT6_S7_lSA_S7_lS8_PT7_S7_li: ; @_ZL41rocblas_syrkx_herkx_small_restrict_kernelIi19rocblas_complex_numIdELi16ELb1ELb0ELc67ELc85EKPKS1_KPS1_EviT_T0_PT6_S7_lSA_S7_lS8_PT7_S7_li
; %bb.0:
	s_clause 0x1
	s_load_b64 s[2:3], s[0:1], 0x58
	s_load_b64 s[16:17], s[0:1], 0x18
	s_mov_b32 s8, s15
	s_mov_b32 s9, 0
	v_dual_mov_b32 v5, 0 :: v_dual_and_b32 v2, 0x3ff, v0
	s_lshl_b64 s[10:11], s[8:9], 3
	s_load_b32 s8, s[0:1], 0x4
	v_bfe_u32 v1, v0, 10, 10
	v_mov_b32_e32 v6, 0
	v_lshl_add_u32 v0, s13, 4, v2
	s_delay_alu instid0(VALU_DEP_3) | instskip(NEXT) | instid1(VALU_DEP_3)
	v_lshl_add_u32 v9, s14, 4, v1
	v_dual_mov_b32 v8, v6 :: v_dual_mov_b32 v7, v5
	s_waitcnt lgkmcnt(0)
	s_add_u32 s2, s2, s10
	s_addc_u32 s3, s3, s11
	s_load_b128 s[4:7], s[0:1], 0x8
	s_load_b64 s[2:3], s[2:3], 0x0
	s_cmp_lt_i32 s8, 1
	s_cbranch_scc1 .LBB735_3
; %bb.1:
	s_clause 0x2
	s_load_b64 s[12:13], s[0:1], 0x30
	s_load_b32 s14, s[0:1], 0x20
	s_load_b32 s15, s[0:1], 0x38
	v_dual_mov_b32 v5, 0 :: v_dual_lshlrev_b32 v12, 8, v1
	v_lshlrev_b32_e32 v14, 4, v1
	v_mov_b32_e32 v6, 0
	v_lshlrev_b32_e32 v10, 4, v2
	s_delay_alu instid0(VALU_DEP_4)
	v_add_nc_u32_e32 v11, 0x1000, v12
	s_waitcnt lgkmcnt(0)
	s_add_u32 s12, s12, s10
	s_addc_u32 s13, s13, s11
	s_add_u32 s10, s16, s10
	s_addc_u32 s11, s17, s11
	v_mad_i64_i32 v[3:4], null, s14, v0, 0
	s_load_b64 s[10:11], s[10:11], 0x0
	v_mad_i64_i32 v[7:8], null, s15, v9, 0
	s_load_b64 s[12:13], s[12:13], 0x0
	s_delay_alu instid0(VALU_DEP_2) | instskip(NEXT) | instid1(VALU_DEP_2)
	v_lshlrev_b64 v[1:2], 4, v[3:4]
	v_lshlrev_b64 v[3:4], 4, v[7:8]
	s_delay_alu instid0(VALU_DEP_2) | instskip(NEXT) | instid1(VALU_DEP_3)
	v_add_co_u32 v1, vcc_lo, v1, v14
	v_add_co_ci_u32_e32 v2, vcc_lo, 0, v2, vcc_lo
	s_delay_alu instid0(VALU_DEP_3) | instskip(NEXT) | instid1(VALU_DEP_4)
	v_add_co_u32 v3, vcc_lo, v3, v10
	v_add_co_ci_u32_e32 v4, vcc_lo, 0, v4, vcc_lo
	s_waitcnt lgkmcnt(0)
	v_add_co_u32 v7, vcc_lo, v1, s10
	v_add_co_ci_u32_e32 v8, vcc_lo, s11, v2, vcc_lo
	v_add_co_u32 v1, vcc_lo, s12, v3
	v_add_co_ci_u32_e32 v2, vcc_lo, s13, v4, vcc_lo
	s_delay_alu instid0(VALU_DEP_4) | instskip(NEXT) | instid1(VALU_DEP_4)
	v_add_co_u32 v3, vcc_lo, v7, 8
	v_add_co_ci_u32_e32 v4, vcc_lo, 0, v8, vcc_lo
	v_dual_mov_b32 v8, v6 :: v_dual_mov_b32 v7, v5
	v_add_nc_u32_e32 v12, v10, v12
	v_add_nc_u32_e32 v13, v11, v10
.LBB735_2:                              ; =>This Inner Loop Header: Depth=1
	global_load_b128 v[14:17], v[3:4], off offset:-8
	global_load_b128 v[18:21], v[1:2], off
	v_add_co_u32 v1, vcc_lo, 0x100, v1
	v_add_co_ci_u32_e32 v2, vcc_lo, 0, v2, vcc_lo
	v_add_co_u32 v3, vcc_lo, 0x100, v3
	v_add_co_ci_u32_e32 v4, vcc_lo, 0, v4, vcc_lo
	s_add_i32 s9, s9, 16
	s_waitcnt vmcnt(1)
	ds_store_b128 v12, v[14:17]
	s_waitcnt vmcnt(0)
	ds_store_2addr_b64 v13, v[18:19], v[20:21] offset1:1
	s_waitcnt lgkmcnt(0)
	s_barrier
	buffer_gl0_inv
	ds_load_b128 v[14:17], v10
	ds_load_b128 v[18:21], v11
	ds_load_b128 v[22:25], v11 offset:16
	ds_load_b128 v[26:29], v10 offset:256
	s_cmp_lt_i32 s9, s8
	s_waitcnt lgkmcnt(2)
	v_mul_f64 v[30:31], v[20:21], v[16:17]
	v_mul_f64 v[16:17], v[18:19], v[16:17]
	s_waitcnt lgkmcnt(0)
	v_mul_f64 v[36:37], v[24:25], v[28:29]
	v_mul_f64 v[38:39], v[22:23], v[28:29]
	s_delay_alu instid0(VALU_DEP_4) | instskip(NEXT) | instid1(VALU_DEP_4)
	v_fma_f64 v[40:41], v[18:19], v[14:15], -v[30:31]
	v_fma_f64 v[42:43], v[20:21], v[14:15], v[16:17]
	ds_load_b128 v[14:17], v10 offset:512
	ds_load_b128 v[18:21], v11 offset:32
	;; [unrolled: 1-line block ×4, first 2 shown]
	v_fma_f64 v[22:23], v[22:23], v[26:27], -v[36:37]
	v_fma_f64 v[24:25], v[24:25], v[26:27], v[38:39]
	s_waitcnt lgkmcnt(2)
	v_mul_f64 v[44:45], v[20:21], v[16:17]
	v_mul_f64 v[16:17], v[18:19], v[16:17]
	s_waitcnt lgkmcnt(0)
	v_mul_f64 v[26:27], v[30:31], v[34:35]
	v_mul_f64 v[34:35], v[28:29], v[34:35]
	v_add_f64 v[7:8], v[7:8], v[40:41]
	v_add_f64 v[5:6], v[5:6], v[42:43]
	v_fma_f64 v[36:37], v[18:19], v[14:15], -v[44:45]
	v_fma_f64 v[38:39], v[20:21], v[14:15], v[16:17]
	v_fma_f64 v[26:27], v[28:29], v[32:33], -v[26:27]
	v_fma_f64 v[28:29], v[30:31], v[32:33], v[34:35]
	v_add_f64 v[40:41], v[7:8], v[22:23]
	v_add_f64 v[42:43], v[5:6], v[24:25]
	ds_load_b128 v[5:8], v10 offset:1024
	ds_load_b128 v[14:17], v11 offset:64
	;; [unrolled: 1-line block ×4, first 2 shown]
	s_waitcnt lgkmcnt(2)
	v_mul_f64 v[44:45], v[16:17], v[7:8]
	v_mul_f64 v[7:8], v[14:15], v[7:8]
	s_waitcnt lgkmcnt(0)
	v_mul_f64 v[34:35], v[20:21], v[24:25]
	v_add_f64 v[30:31], v[40:41], v[36:37]
	v_add_f64 v[32:33], v[42:43], v[38:39]
	v_mul_f64 v[36:37], v[18:19], v[24:25]
	v_fma_f64 v[38:39], v[14:15], v[5:6], -v[44:45]
	v_fma_f64 v[40:41], v[16:17], v[5:6], v[7:8]
	v_fma_f64 v[18:19], v[18:19], v[22:23], -v[34:35]
	v_add_f64 v[42:43], v[30:31], v[26:27]
	v_add_f64 v[32:33], v[32:33], v[28:29]
	ds_load_b128 v[5:8], v10 offset:1536
	ds_load_b128 v[14:17], v11 offset:96
	;; [unrolled: 1-line block ×4, first 2 shown]
	v_fma_f64 v[20:21], v[20:21], v[22:23], v[36:37]
	s_waitcnt lgkmcnt(2)
	v_mul_f64 v[44:45], v[16:17], v[7:8]
	v_mul_f64 v[7:8], v[14:15], v[7:8]
	s_waitcnt lgkmcnt(0)
	v_mul_f64 v[34:35], v[26:27], v[30:31]
	v_mul_f64 v[36:37], v[24:25], v[30:31]
	v_add_f64 v[22:23], v[42:43], v[38:39]
	v_add_f64 v[32:33], v[32:33], v[40:41]
	v_fma_f64 v[38:39], v[14:15], v[5:6], -v[44:45]
	v_fma_f64 v[40:41], v[16:17], v[5:6], v[7:8]
	v_fma_f64 v[24:25], v[24:25], v[28:29], -v[34:35]
	v_fma_f64 v[26:27], v[26:27], v[28:29], v[36:37]
	v_add_f64 v[22:23], v[22:23], v[18:19]
	v_add_f64 v[42:43], v[32:33], v[20:21]
	ds_load_b128 v[5:8], v10 offset:2048
	ds_load_b128 v[14:17], v11 offset:128
	ds_load_b128 v[18:21], v11 offset:144
	ds_load_b128 v[30:33], v10 offset:2304
	s_waitcnt lgkmcnt(2)
	v_mul_f64 v[44:45], v[16:17], v[7:8]
	v_mul_f64 v[7:8], v[14:15], v[7:8]
	s_waitcnt lgkmcnt(0)
	v_mul_f64 v[34:35], v[20:21], v[32:33]
	v_mul_f64 v[32:33], v[18:19], v[32:33]
	v_add_f64 v[22:23], v[22:23], v[38:39]
	v_add_f64 v[28:29], v[42:43], v[40:41]
	v_fma_f64 v[36:37], v[14:15], v[5:6], -v[44:45]
	v_fma_f64 v[38:39], v[16:17], v[5:6], v[7:8]
	v_fma_f64 v[18:19], v[18:19], v[30:31], -v[34:35]
	v_fma_f64 v[20:21], v[20:21], v[30:31], v[32:33]
	v_add_f64 v[40:41], v[22:23], v[24:25]
	v_add_f64 v[42:43], v[28:29], v[26:27]
	ds_load_b128 v[5:8], v10 offset:2560
	ds_load_b128 v[14:17], v11 offset:160
	;; [unrolled: 1-line block ×4, first 2 shown]
	s_waitcnt lgkmcnt(2)
	v_mul_f64 v[44:45], v[16:17], v[7:8]
	v_mul_f64 v[7:8], v[14:15], v[7:8]
	s_waitcnt lgkmcnt(0)
	v_mul_f64 v[34:35], v[24:25], v[28:29]
	v_add_f64 v[30:31], v[40:41], v[36:37]
	v_add_f64 v[32:33], v[42:43], v[38:39]
	v_mul_f64 v[36:37], v[22:23], v[28:29]
	v_fma_f64 v[38:39], v[14:15], v[5:6], -v[44:45]
	v_fma_f64 v[40:41], v[16:17], v[5:6], v[7:8]
	v_fma_f64 v[22:23], v[22:23], v[26:27], -v[34:35]
	v_add_f64 v[42:43], v[30:31], v[18:19]
	v_add_f64 v[32:33], v[32:33], v[20:21]
	ds_load_b128 v[5:8], v10 offset:3072
	ds_load_b128 v[14:17], v11 offset:192
	;; [unrolled: 1-line block ×4, first 2 shown]
	v_fma_f64 v[24:25], v[24:25], v[26:27], v[36:37]
	s_waitcnt lgkmcnt(2)
	v_mul_f64 v[44:45], v[16:17], v[7:8]
	v_mul_f64 v[7:8], v[14:15], v[7:8]
	s_waitcnt lgkmcnt(0)
	v_mul_f64 v[34:35], v[20:21], v[30:31]
	v_mul_f64 v[36:37], v[18:19], v[30:31]
	v_add_f64 v[26:27], v[42:43], v[38:39]
	v_add_f64 v[32:33], v[32:33], v[40:41]
	v_fma_f64 v[38:39], v[14:15], v[5:6], -v[44:45]
	v_fma_f64 v[40:41], v[16:17], v[5:6], v[7:8]
	v_fma_f64 v[18:19], v[18:19], v[28:29], -v[34:35]
	v_fma_f64 v[20:21], v[20:21], v[28:29], v[36:37]
	v_add_f64 v[26:27], v[26:27], v[22:23]
	v_add_f64 v[42:43], v[32:33], v[24:25]
	ds_load_b128 v[5:8], v10 offset:3584
	ds_load_b128 v[14:17], v11 offset:224
	;; [unrolled: 1-line block ×4, first 2 shown]
	s_waitcnt lgkmcnt(0)
	s_barrier
	buffer_gl0_inv
	v_mul_f64 v[44:45], v[16:17], v[7:8]
	v_mul_f64 v[7:8], v[14:15], v[7:8]
	;; [unrolled: 1-line block ×4, first 2 shown]
	v_add_f64 v[26:27], v[26:27], v[38:39]
	v_add_f64 v[28:29], v[42:43], v[40:41]
	v_fma_f64 v[14:15], v[14:15], v[5:6], -v[44:45]
	v_fma_f64 v[5:6], v[16:17], v[5:6], v[7:8]
	s_delay_alu instid0(VALU_DEP_4) | instskip(NEXT) | instid1(VALU_DEP_4)
	v_add_f64 v[7:8], v[26:27], v[18:19]
	v_add_f64 v[16:17], v[28:29], v[20:21]
	v_fma_f64 v[18:19], v[22:23], v[30:31], -v[34:35]
	v_fma_f64 v[20:21], v[24:25], v[30:31], v[32:33]
	s_delay_alu instid0(VALU_DEP_4) | instskip(NEXT) | instid1(VALU_DEP_4)
	v_add_f64 v[7:8], v[7:8], v[14:15]
	v_add_f64 v[5:6], v[16:17], v[5:6]
	s_delay_alu instid0(VALU_DEP_2) | instskip(NEXT) | instid1(VALU_DEP_2)
	v_add_f64 v[7:8], v[7:8], v[18:19]
	v_add_f64 v[5:6], v[5:6], v[20:21]
	s_cbranch_scc1 .LBB735_2
.LBB735_3:
	s_mov_b32 s8, exec_lo
	v_cmpx_le_i32_e64 v0, v9
	s_cbranch_execz .LBB735_5
; %bb.4:
	s_waitcnt lgkmcnt(0)
	s_delay_alu instid0(VALU_DEP_2) | instskip(SKIP_2) | instid1(VALU_DEP_2)
	v_mul_f64 v[1:2], s[6:7], v[5:6]
	v_mul_f64 v[4:5], s[4:5], v[5:6]
	s_load_b32 s0, s[0:1], 0x60
	v_fma_f64 v[2:3], s[4:5], v[7:8], -v[1:2]
	s_delay_alu instid0(VALU_DEP_2) | instskip(SKIP_3) | instid1(VALU_DEP_1)
	v_fma_f64 v[4:5], s[6:7], v[7:8], v[4:5]
	s_waitcnt lgkmcnt(0)
	v_mad_i64_i32 v[6:7], null, s0, v9, 0
	v_ashrrev_i32_e32 v1, 31, v0
	v_lshlrev_b64 v[0:1], 4, v[0:1]
	s_delay_alu instid0(VALU_DEP_3) | instskip(NEXT) | instid1(VALU_DEP_1)
	v_lshlrev_b64 v[6:7], 4, v[6:7]
	v_add_co_u32 v6, vcc_lo, s2, v6
	s_delay_alu instid0(VALU_DEP_2) | instskip(NEXT) | instid1(VALU_DEP_2)
	v_add_co_ci_u32_e32 v7, vcc_lo, s3, v7, vcc_lo
	v_add_co_u32 v0, vcc_lo, v6, v0
	s_delay_alu instid0(VALU_DEP_2)
	v_add_co_ci_u32_e32 v1, vcc_lo, v7, v1, vcc_lo
	global_store_b128 v[0:1], v[2:5], off
.LBB735_5:
	s_nop 0
	s_sendmsg sendmsg(MSG_DEALLOC_VGPRS)
	s_endpgm
	.section	.rodata,"a",@progbits
	.p2align	6, 0x0
	.amdhsa_kernel _ZL41rocblas_syrkx_herkx_small_restrict_kernelIi19rocblas_complex_numIdELi16ELb1ELb0ELc67ELc85EKPKS1_KPS1_EviT_T0_PT6_S7_lSA_S7_lS8_PT7_S7_li
		.amdhsa_group_segment_fixed_size 8192
		.amdhsa_private_segment_fixed_size 0
		.amdhsa_kernarg_size 116
		.amdhsa_user_sgpr_count 13
		.amdhsa_user_sgpr_dispatch_ptr 0
		.amdhsa_user_sgpr_queue_ptr 0
		.amdhsa_user_sgpr_kernarg_segment_ptr 1
		.amdhsa_user_sgpr_dispatch_id 0
		.amdhsa_user_sgpr_private_segment_size 0
		.amdhsa_wavefront_size32 1
		.amdhsa_uses_dynamic_stack 0
		.amdhsa_enable_private_segment 0
		.amdhsa_system_sgpr_workgroup_id_x 1
		.amdhsa_system_sgpr_workgroup_id_y 1
		.amdhsa_system_sgpr_workgroup_id_z 1
		.amdhsa_system_sgpr_workgroup_info 0
		.amdhsa_system_vgpr_workitem_id 1
		.amdhsa_next_free_vgpr 46
		.amdhsa_next_free_sgpr 18
		.amdhsa_reserve_vcc 1
		.amdhsa_float_round_mode_32 0
		.amdhsa_float_round_mode_16_64 0
		.amdhsa_float_denorm_mode_32 3
		.amdhsa_float_denorm_mode_16_64 3
		.amdhsa_dx10_clamp 1
		.amdhsa_ieee_mode 1
		.amdhsa_fp16_overflow 0
		.amdhsa_workgroup_processor_mode 1
		.amdhsa_memory_ordered 1
		.amdhsa_forward_progress 0
		.amdhsa_shared_vgpr_count 0
		.amdhsa_exception_fp_ieee_invalid_op 0
		.amdhsa_exception_fp_denorm_src 0
		.amdhsa_exception_fp_ieee_div_zero 0
		.amdhsa_exception_fp_ieee_overflow 0
		.amdhsa_exception_fp_ieee_underflow 0
		.amdhsa_exception_fp_ieee_inexact 0
		.amdhsa_exception_int_div_zero 0
	.end_amdhsa_kernel
	.section	.text._ZL41rocblas_syrkx_herkx_small_restrict_kernelIi19rocblas_complex_numIdELi16ELb1ELb0ELc67ELc85EKPKS1_KPS1_EviT_T0_PT6_S7_lSA_S7_lS8_PT7_S7_li,"axG",@progbits,_ZL41rocblas_syrkx_herkx_small_restrict_kernelIi19rocblas_complex_numIdELi16ELb1ELb0ELc67ELc85EKPKS1_KPS1_EviT_T0_PT6_S7_lSA_S7_lS8_PT7_S7_li,comdat
.Lfunc_end735:
	.size	_ZL41rocblas_syrkx_herkx_small_restrict_kernelIi19rocblas_complex_numIdELi16ELb1ELb0ELc67ELc85EKPKS1_KPS1_EviT_T0_PT6_S7_lSA_S7_lS8_PT7_S7_li, .Lfunc_end735-_ZL41rocblas_syrkx_herkx_small_restrict_kernelIi19rocblas_complex_numIdELi16ELb1ELb0ELc67ELc85EKPKS1_KPS1_EviT_T0_PT6_S7_lSA_S7_lS8_PT7_S7_li
                                        ; -- End function
	.section	.AMDGPU.csdata,"",@progbits
; Kernel info:
; codeLenInByte = 1720
; NumSgprs: 20
; NumVgprs: 46
; ScratchSize: 0
; MemoryBound: 0
; FloatMode: 240
; IeeeMode: 1
; LDSByteSize: 8192 bytes/workgroup (compile time only)
; SGPRBlocks: 2
; VGPRBlocks: 5
; NumSGPRsForWavesPerEU: 20
; NumVGPRsForWavesPerEU: 46
; Occupancy: 16
; WaveLimiterHint : 1
; COMPUTE_PGM_RSRC2:SCRATCH_EN: 0
; COMPUTE_PGM_RSRC2:USER_SGPR: 13
; COMPUTE_PGM_RSRC2:TRAP_HANDLER: 0
; COMPUTE_PGM_RSRC2:TGID_X_EN: 1
; COMPUTE_PGM_RSRC2:TGID_Y_EN: 1
; COMPUTE_PGM_RSRC2:TGID_Z_EN: 1
; COMPUTE_PGM_RSRC2:TIDIG_COMP_CNT: 1
	.section	.text._ZL41rocblas_syrkx_herkx_small_restrict_kernelIi19rocblas_complex_numIdELi16ELb1ELb0ELc78ELc85EKPKS1_KPS1_EviT_T0_PT6_S7_lSA_S7_lS8_PT7_S7_li,"axG",@progbits,_ZL41rocblas_syrkx_herkx_small_restrict_kernelIi19rocblas_complex_numIdELi16ELb1ELb0ELc78ELc85EKPKS1_KPS1_EviT_T0_PT6_S7_lSA_S7_lS8_PT7_S7_li,comdat
	.globl	_ZL41rocblas_syrkx_herkx_small_restrict_kernelIi19rocblas_complex_numIdELi16ELb1ELb0ELc78ELc85EKPKS1_KPS1_EviT_T0_PT6_S7_lSA_S7_lS8_PT7_S7_li ; -- Begin function _ZL41rocblas_syrkx_herkx_small_restrict_kernelIi19rocblas_complex_numIdELi16ELb1ELb0ELc78ELc85EKPKS1_KPS1_EviT_T0_PT6_S7_lSA_S7_lS8_PT7_S7_li
	.p2align	8
	.type	_ZL41rocblas_syrkx_herkx_small_restrict_kernelIi19rocblas_complex_numIdELi16ELb1ELb0ELc78ELc85EKPKS1_KPS1_EviT_T0_PT6_S7_lSA_S7_lS8_PT7_S7_li,@function
_ZL41rocblas_syrkx_herkx_small_restrict_kernelIi19rocblas_complex_numIdELi16ELb1ELb0ELc78ELc85EKPKS1_KPS1_EviT_T0_PT6_S7_lSA_S7_lS8_PT7_S7_li: ; @_ZL41rocblas_syrkx_herkx_small_restrict_kernelIi19rocblas_complex_numIdELi16ELb1ELb0ELc78ELc85EKPKS1_KPS1_EviT_T0_PT6_S7_lSA_S7_lS8_PT7_S7_li
; %bb.0:
	s_clause 0x1
	s_load_b64 s[2:3], s[0:1], 0x58
	s_load_b64 s[16:17], s[0:1], 0x18
	s_mov_b32 s8, s15
	s_mov_b32 s9, 0
	v_and_b32_e32 v5, 0x3ff, v0
	s_lshl_b64 s[10:11], s[8:9], 3
	s_load_b32 s8, s[0:1], 0x4
	v_mov_b32_e32 v7, 0
	v_mov_b32_e32 v8, 0
	v_bfe_u32 v4, v0, 10, 10
	v_lshl_add_u32 v0, s13, 4, v5
	s_delay_alu instid0(VALU_DEP_3) | instskip(NEXT) | instid1(VALU_DEP_3)
	v_dual_mov_b32 v10, v8 :: v_dual_mov_b32 v9, v7
	v_lshl_add_u32 v2, s14, 4, v4
	s_delay_alu instid0(VALU_DEP_3)
	v_ashrrev_i32_e32 v1, 31, v0
	s_waitcnt lgkmcnt(0)
	s_add_u32 s2, s2, s10
	s_addc_u32 s3, s3, s11
	s_load_b128 s[4:7], s[0:1], 0x8
	s_load_b64 s[2:3], s[2:3], 0x0
	s_cmp_lt_i32 s8, 1
	s_cbranch_scc1 .LBB736_3
; %bb.1:
	s_clause 0x2
	s_load_b32 s12, s[0:1], 0x20
	s_load_b32 s14, s[0:1], 0x38
	s_load_b64 s[18:19], s[0:1], 0x30
	v_ashrrev_i32_e32 v3, 31, v2
	v_lshlrev_b32_e32 v13, 8, v4
	v_lshlrev_b32_e32 v11, 4, v5
	v_lshlrev_b64 v[9:10], 4, v[0:1]
	s_waitcnt lgkmcnt(0)
	s_ashr_i32 s13, s12, 31
	s_ashr_i32 s15, s14, 31
	s_add_u32 s18, s18, s10
	s_addc_u32 s19, s19, s11
	v_mad_i64_i32 v[6:7], null, s14, v5, 0
	s_load_b64 s[18:19], s[18:19], 0x0
	s_add_u32 s10, s16, s10
	s_addc_u32 s11, s17, s11
	v_mad_i64_i32 v[15:16], null, s12, v4, 0
	s_load_b64 s[10:11], s[10:11], 0x0
	v_lshlrev_b64 v[3:4], 4, v[2:3]
	s_delay_alu instid0(VALU_DEP_3)
	v_lshlrev_b64 v[5:6], 4, v[6:7]
	v_mov_b32_e32 v7, 0
	v_mov_b32_e32 v8, 0
	v_add_nc_u32_e32 v12, 0x1000, v13
	v_lshlrev_b64 v[15:16], 4, v[15:16]
	s_lshl_b64 s[12:13], s[12:13], 8
	v_add_co_u32 v3, vcc_lo, v5, v3
	v_add_co_ci_u32_e32 v4, vcc_lo, v6, v4, vcc_lo
	s_delay_alu instid0(VALU_DEP_3) | instskip(NEXT) | instid1(VALU_DEP_4)
	v_add_co_u32 v5, vcc_lo, v15, v9
	v_add_co_ci_u32_e32 v6, vcc_lo, v16, v10, vcc_lo
	s_waitcnt lgkmcnt(0)
	v_add_co_u32 v9, vcc_lo, v3, s18
	v_add_co_ci_u32_e32 v10, vcc_lo, s19, v4, vcc_lo
	v_add_co_u32 v3, vcc_lo, s10, v5
	v_add_co_ci_u32_e32 v4, vcc_lo, s11, v6, vcc_lo
	s_delay_alu instid0(VALU_DEP_4) | instskip(NEXT) | instid1(VALU_DEP_4)
	v_add_co_u32 v5, vcc_lo, v9, 8
	v_add_co_ci_u32_e32 v6, vcc_lo, 0, v10, vcc_lo
	v_dual_mov_b32 v10, v8 :: v_dual_mov_b32 v9, v7
	v_add_nc_u32_e32 v13, v11, v13
	v_add_nc_u32_e32 v14, v12, v11
	s_lshl_b64 s[10:11], s[14:15], 8
.LBB736_2:                              ; =>This Inner Loop Header: Depth=1
	global_load_b128 v[15:18], v[3:4], off
	global_load_b128 v[19:22], v[5:6], off offset:-8
	v_add_co_u32 v5, vcc_lo, v5, s10
	v_add_co_ci_u32_e32 v6, vcc_lo, s11, v6, vcc_lo
	v_add_co_u32 v3, vcc_lo, v3, s12
	v_add_co_ci_u32_e32 v4, vcc_lo, s13, v4, vcc_lo
	s_add_i32 s9, s9, 16
	s_waitcnt vmcnt(1)
	ds_store_2addr_b64 v13, v[15:16], v[17:18] offset1:1
	s_waitcnt vmcnt(0)
	ds_store_b128 v14, v[19:22]
	s_waitcnt lgkmcnt(0)
	s_barrier
	buffer_gl0_inv
	ds_load_b128 v[15:18], v11
	ds_load_b128 v[19:22], v12
	ds_load_b128 v[23:26], v12 offset:16
	ds_load_b128 v[27:30], v11 offset:256
	s_cmp_lt_i32 s9, s8
	s_waitcnt lgkmcnt(2)
	v_mul_f64 v[31:32], v[21:22], v[17:18]
	v_mul_f64 v[17:18], v[19:20], v[17:18]
	s_waitcnt lgkmcnt(0)
	v_mul_f64 v[37:38], v[25:26], v[29:30]
	v_mul_f64 v[39:40], v[23:24], v[29:30]
	s_delay_alu instid0(VALU_DEP_4) | instskip(NEXT) | instid1(VALU_DEP_4)
	v_fma_f64 v[41:42], v[19:20], v[15:16], -v[31:32]
	v_fma_f64 v[43:44], v[21:22], v[15:16], v[17:18]
	ds_load_b128 v[15:18], v11 offset:512
	ds_load_b128 v[19:22], v12 offset:32
	;; [unrolled: 1-line block ×4, first 2 shown]
	v_fma_f64 v[23:24], v[23:24], v[27:28], -v[37:38]
	v_fma_f64 v[25:26], v[25:26], v[27:28], v[39:40]
	s_waitcnt lgkmcnt(2)
	v_mul_f64 v[45:46], v[21:22], v[17:18]
	v_mul_f64 v[17:18], v[19:20], v[17:18]
	s_waitcnt lgkmcnt(0)
	v_mul_f64 v[27:28], v[31:32], v[35:36]
	v_mul_f64 v[35:36], v[29:30], v[35:36]
	v_add_f64 v[9:10], v[9:10], v[41:42]
	v_add_f64 v[7:8], v[7:8], v[43:44]
	v_fma_f64 v[37:38], v[19:20], v[15:16], -v[45:46]
	v_fma_f64 v[39:40], v[21:22], v[15:16], v[17:18]
	v_fma_f64 v[27:28], v[29:30], v[33:34], -v[27:28]
	v_fma_f64 v[29:30], v[31:32], v[33:34], v[35:36]
	v_add_f64 v[41:42], v[9:10], v[23:24]
	v_add_f64 v[43:44], v[7:8], v[25:26]
	ds_load_b128 v[7:10], v11 offset:1024
	ds_load_b128 v[15:18], v12 offset:64
	;; [unrolled: 1-line block ×4, first 2 shown]
	s_waitcnt lgkmcnt(2)
	v_mul_f64 v[45:46], v[17:18], v[9:10]
	v_mul_f64 v[9:10], v[15:16], v[9:10]
	s_waitcnt lgkmcnt(0)
	v_mul_f64 v[35:36], v[21:22], v[25:26]
	v_add_f64 v[31:32], v[41:42], v[37:38]
	v_add_f64 v[33:34], v[43:44], v[39:40]
	v_mul_f64 v[37:38], v[19:20], v[25:26]
	v_fma_f64 v[39:40], v[15:16], v[7:8], -v[45:46]
	v_fma_f64 v[41:42], v[17:18], v[7:8], v[9:10]
	v_fma_f64 v[19:20], v[19:20], v[23:24], -v[35:36]
	v_add_f64 v[43:44], v[31:32], v[27:28]
	v_add_f64 v[33:34], v[33:34], v[29:30]
	ds_load_b128 v[7:10], v11 offset:1536
	ds_load_b128 v[15:18], v12 offset:96
	;; [unrolled: 1-line block ×4, first 2 shown]
	v_fma_f64 v[21:22], v[21:22], v[23:24], v[37:38]
	s_waitcnt lgkmcnt(2)
	v_mul_f64 v[45:46], v[17:18], v[9:10]
	v_mul_f64 v[9:10], v[15:16], v[9:10]
	s_waitcnt lgkmcnt(0)
	v_mul_f64 v[35:36], v[27:28], v[31:32]
	v_mul_f64 v[37:38], v[25:26], v[31:32]
	v_add_f64 v[23:24], v[43:44], v[39:40]
	v_add_f64 v[33:34], v[33:34], v[41:42]
	v_fma_f64 v[39:40], v[15:16], v[7:8], -v[45:46]
	v_fma_f64 v[41:42], v[17:18], v[7:8], v[9:10]
	v_fma_f64 v[25:26], v[25:26], v[29:30], -v[35:36]
	v_fma_f64 v[27:28], v[27:28], v[29:30], v[37:38]
	v_add_f64 v[23:24], v[23:24], v[19:20]
	v_add_f64 v[43:44], v[33:34], v[21:22]
	ds_load_b128 v[7:10], v11 offset:2048
	ds_load_b128 v[15:18], v12 offset:128
	;; [unrolled: 1-line block ×4, first 2 shown]
	s_waitcnt lgkmcnt(2)
	v_mul_f64 v[45:46], v[17:18], v[9:10]
	v_mul_f64 v[9:10], v[15:16], v[9:10]
	s_waitcnt lgkmcnt(0)
	v_mul_f64 v[35:36], v[21:22], v[33:34]
	v_mul_f64 v[33:34], v[19:20], v[33:34]
	v_add_f64 v[23:24], v[23:24], v[39:40]
	v_add_f64 v[29:30], v[43:44], v[41:42]
	v_fma_f64 v[37:38], v[15:16], v[7:8], -v[45:46]
	v_fma_f64 v[39:40], v[17:18], v[7:8], v[9:10]
	v_fma_f64 v[19:20], v[19:20], v[31:32], -v[35:36]
	v_fma_f64 v[21:22], v[21:22], v[31:32], v[33:34]
	v_add_f64 v[41:42], v[23:24], v[25:26]
	v_add_f64 v[43:44], v[29:30], v[27:28]
	ds_load_b128 v[7:10], v11 offset:2560
	ds_load_b128 v[15:18], v12 offset:160
	;; [unrolled: 1-line block ×4, first 2 shown]
	s_waitcnt lgkmcnt(2)
	v_mul_f64 v[45:46], v[17:18], v[9:10]
	v_mul_f64 v[9:10], v[15:16], v[9:10]
	s_waitcnt lgkmcnt(0)
	v_mul_f64 v[35:36], v[25:26], v[29:30]
	v_add_f64 v[31:32], v[41:42], v[37:38]
	v_add_f64 v[33:34], v[43:44], v[39:40]
	v_mul_f64 v[37:38], v[23:24], v[29:30]
	v_fma_f64 v[39:40], v[15:16], v[7:8], -v[45:46]
	v_fma_f64 v[41:42], v[17:18], v[7:8], v[9:10]
	v_fma_f64 v[23:24], v[23:24], v[27:28], -v[35:36]
	v_add_f64 v[43:44], v[31:32], v[19:20]
	v_add_f64 v[33:34], v[33:34], v[21:22]
	ds_load_b128 v[7:10], v11 offset:3072
	ds_load_b128 v[15:18], v12 offset:192
	ds_load_b128 v[19:22], v12 offset:208
	ds_load_b128 v[29:32], v11 offset:3328
	v_fma_f64 v[25:26], v[25:26], v[27:28], v[37:38]
	s_waitcnt lgkmcnt(2)
	v_mul_f64 v[45:46], v[17:18], v[9:10]
	v_mul_f64 v[9:10], v[15:16], v[9:10]
	s_waitcnt lgkmcnt(0)
	v_mul_f64 v[35:36], v[21:22], v[31:32]
	v_mul_f64 v[37:38], v[19:20], v[31:32]
	v_add_f64 v[27:28], v[43:44], v[39:40]
	v_add_f64 v[33:34], v[33:34], v[41:42]
	v_fma_f64 v[39:40], v[15:16], v[7:8], -v[45:46]
	v_fma_f64 v[41:42], v[17:18], v[7:8], v[9:10]
	v_fma_f64 v[19:20], v[19:20], v[29:30], -v[35:36]
	v_fma_f64 v[21:22], v[21:22], v[29:30], v[37:38]
	v_add_f64 v[27:28], v[27:28], v[23:24]
	v_add_f64 v[43:44], v[33:34], v[25:26]
	ds_load_b128 v[7:10], v11 offset:3584
	ds_load_b128 v[15:18], v12 offset:224
	;; [unrolled: 1-line block ×4, first 2 shown]
	s_waitcnt lgkmcnt(0)
	s_barrier
	buffer_gl0_inv
	v_mul_f64 v[45:46], v[17:18], v[9:10]
	v_mul_f64 v[9:10], v[15:16], v[9:10]
	;; [unrolled: 1-line block ×4, first 2 shown]
	v_add_f64 v[27:28], v[27:28], v[39:40]
	v_add_f64 v[29:30], v[43:44], v[41:42]
	v_fma_f64 v[15:16], v[15:16], v[7:8], -v[45:46]
	v_fma_f64 v[7:8], v[17:18], v[7:8], v[9:10]
	s_delay_alu instid0(VALU_DEP_4) | instskip(NEXT) | instid1(VALU_DEP_4)
	v_add_f64 v[9:10], v[27:28], v[19:20]
	v_add_f64 v[17:18], v[29:30], v[21:22]
	v_fma_f64 v[19:20], v[23:24], v[31:32], -v[35:36]
	v_fma_f64 v[21:22], v[25:26], v[31:32], v[33:34]
	s_delay_alu instid0(VALU_DEP_4) | instskip(NEXT) | instid1(VALU_DEP_4)
	v_add_f64 v[9:10], v[9:10], v[15:16]
	v_add_f64 v[7:8], v[17:18], v[7:8]
	s_delay_alu instid0(VALU_DEP_2) | instskip(NEXT) | instid1(VALU_DEP_2)
	v_add_f64 v[9:10], v[9:10], v[19:20]
	v_add_f64 v[7:8], v[7:8], v[21:22]
	s_cbranch_scc1 .LBB736_2
.LBB736_3:
	s_mov_b32 s8, exec_lo
	v_cmpx_le_i32_e64 v0, v2
	s_cbranch_execz .LBB736_5
; %bb.4:
	s_waitcnt lgkmcnt(0)
	s_delay_alu instid0(VALU_DEP_2)
	v_mul_f64 v[3:4], s[6:7], v[7:8]
	v_mul_f64 v[5:6], s[4:5], v[7:8]
	s_load_b32 s0, s[0:1], 0x60
	v_lshlrev_b64 v[0:1], 4, v[0:1]
	s_waitcnt lgkmcnt(0)
	v_mad_i64_i32 v[7:8], null, s0, v2, 0
	s_delay_alu instid0(VALU_DEP_1) | instskip(NEXT) | instid1(VALU_DEP_1)
	v_lshlrev_b64 v[7:8], 4, v[7:8]
	v_add_co_u32 v2, vcc_lo, s2, v7
	v_fma_f64 v[3:4], s[4:5], v[9:10], -v[3:4]
	v_fma_f64 v[5:6], s[6:7], v[9:10], v[5:6]
	s_delay_alu instid0(VALU_DEP_4) | instskip(NEXT) | instid1(VALU_DEP_4)
	v_add_co_ci_u32_e32 v7, vcc_lo, s3, v8, vcc_lo
	v_add_co_u32 v0, vcc_lo, v2, v0
	s_delay_alu instid0(VALU_DEP_2)
	v_add_co_ci_u32_e32 v1, vcc_lo, v7, v1, vcc_lo
	global_store_b128 v[0:1], v[3:6], off
.LBB736_5:
	s_nop 0
	s_sendmsg sendmsg(MSG_DEALLOC_VGPRS)
	s_endpgm
	.section	.rodata,"a",@progbits
	.p2align	6, 0x0
	.amdhsa_kernel _ZL41rocblas_syrkx_herkx_small_restrict_kernelIi19rocblas_complex_numIdELi16ELb1ELb0ELc78ELc85EKPKS1_KPS1_EviT_T0_PT6_S7_lSA_S7_lS8_PT7_S7_li
		.amdhsa_group_segment_fixed_size 8192
		.amdhsa_private_segment_fixed_size 0
		.amdhsa_kernarg_size 116
		.amdhsa_user_sgpr_count 13
		.amdhsa_user_sgpr_dispatch_ptr 0
		.amdhsa_user_sgpr_queue_ptr 0
		.amdhsa_user_sgpr_kernarg_segment_ptr 1
		.amdhsa_user_sgpr_dispatch_id 0
		.amdhsa_user_sgpr_private_segment_size 0
		.amdhsa_wavefront_size32 1
		.amdhsa_uses_dynamic_stack 0
		.amdhsa_enable_private_segment 0
		.amdhsa_system_sgpr_workgroup_id_x 1
		.amdhsa_system_sgpr_workgroup_id_y 1
		.amdhsa_system_sgpr_workgroup_id_z 1
		.amdhsa_system_sgpr_workgroup_info 0
		.amdhsa_system_vgpr_workitem_id 1
		.amdhsa_next_free_vgpr 47
		.amdhsa_next_free_sgpr 20
		.amdhsa_reserve_vcc 1
		.amdhsa_float_round_mode_32 0
		.amdhsa_float_round_mode_16_64 0
		.amdhsa_float_denorm_mode_32 3
		.amdhsa_float_denorm_mode_16_64 3
		.amdhsa_dx10_clamp 1
		.amdhsa_ieee_mode 1
		.amdhsa_fp16_overflow 0
		.amdhsa_workgroup_processor_mode 1
		.amdhsa_memory_ordered 1
		.amdhsa_forward_progress 0
		.amdhsa_shared_vgpr_count 0
		.amdhsa_exception_fp_ieee_invalid_op 0
		.amdhsa_exception_fp_denorm_src 0
		.amdhsa_exception_fp_ieee_div_zero 0
		.amdhsa_exception_fp_ieee_overflow 0
		.amdhsa_exception_fp_ieee_underflow 0
		.amdhsa_exception_fp_ieee_inexact 0
		.amdhsa_exception_int_div_zero 0
	.end_amdhsa_kernel
	.section	.text._ZL41rocblas_syrkx_herkx_small_restrict_kernelIi19rocblas_complex_numIdELi16ELb1ELb0ELc78ELc85EKPKS1_KPS1_EviT_T0_PT6_S7_lSA_S7_lS8_PT7_S7_li,"axG",@progbits,_ZL41rocblas_syrkx_herkx_small_restrict_kernelIi19rocblas_complex_numIdELi16ELb1ELb0ELc78ELc85EKPKS1_KPS1_EviT_T0_PT6_S7_lSA_S7_lS8_PT7_S7_li,comdat
.Lfunc_end736:
	.size	_ZL41rocblas_syrkx_herkx_small_restrict_kernelIi19rocblas_complex_numIdELi16ELb1ELb0ELc78ELc85EKPKS1_KPS1_EviT_T0_PT6_S7_lSA_S7_lS8_PT7_S7_li, .Lfunc_end736-_ZL41rocblas_syrkx_herkx_small_restrict_kernelIi19rocblas_complex_numIdELi16ELb1ELb0ELc78ELc85EKPKS1_KPS1_EviT_T0_PT6_S7_lSA_S7_lS8_PT7_S7_li
                                        ; -- End function
	.section	.AMDGPU.csdata,"",@progbits
; Kernel info:
; codeLenInByte = 1736
; NumSgprs: 22
; NumVgprs: 47
; ScratchSize: 0
; MemoryBound: 0
; FloatMode: 240
; IeeeMode: 1
; LDSByteSize: 8192 bytes/workgroup (compile time only)
; SGPRBlocks: 2
; VGPRBlocks: 5
; NumSGPRsForWavesPerEU: 22
; NumVGPRsForWavesPerEU: 47
; Occupancy: 16
; WaveLimiterHint : 1
; COMPUTE_PGM_RSRC2:SCRATCH_EN: 0
; COMPUTE_PGM_RSRC2:USER_SGPR: 13
; COMPUTE_PGM_RSRC2:TRAP_HANDLER: 0
; COMPUTE_PGM_RSRC2:TGID_X_EN: 1
; COMPUTE_PGM_RSRC2:TGID_Y_EN: 1
; COMPUTE_PGM_RSRC2:TGID_Z_EN: 1
; COMPUTE_PGM_RSRC2:TIDIG_COMP_CNT: 1
	.section	.text._ZL41rocblas_syrkx_herkx_small_restrict_kernelIi19rocblas_complex_numIdELi16ELb0ELb0ELc84ELc76EKPKS1_KPS1_EviT_T0_PT6_S7_lSA_S7_lS8_PT7_S7_li,"axG",@progbits,_ZL41rocblas_syrkx_herkx_small_restrict_kernelIi19rocblas_complex_numIdELi16ELb0ELb0ELc84ELc76EKPKS1_KPS1_EviT_T0_PT6_S7_lSA_S7_lS8_PT7_S7_li,comdat
	.globl	_ZL41rocblas_syrkx_herkx_small_restrict_kernelIi19rocblas_complex_numIdELi16ELb0ELb0ELc84ELc76EKPKS1_KPS1_EviT_T0_PT6_S7_lSA_S7_lS8_PT7_S7_li ; -- Begin function _ZL41rocblas_syrkx_herkx_small_restrict_kernelIi19rocblas_complex_numIdELi16ELb0ELb0ELc84ELc76EKPKS1_KPS1_EviT_T0_PT6_S7_lSA_S7_lS8_PT7_S7_li
	.p2align	8
	.type	_ZL41rocblas_syrkx_herkx_small_restrict_kernelIi19rocblas_complex_numIdELi16ELb0ELb0ELc84ELc76EKPKS1_KPS1_EviT_T0_PT6_S7_lSA_S7_lS8_PT7_S7_li,@function
_ZL41rocblas_syrkx_herkx_small_restrict_kernelIi19rocblas_complex_numIdELi16ELb0ELb0ELc84ELc76EKPKS1_KPS1_EviT_T0_PT6_S7_lSA_S7_lS8_PT7_S7_li: ; @_ZL41rocblas_syrkx_herkx_small_restrict_kernelIi19rocblas_complex_numIdELi16ELb0ELb0ELc84ELc76EKPKS1_KPS1_EviT_T0_PT6_S7_lSA_S7_lS8_PT7_S7_li
; %bb.0:
	s_load_b64 s[2:3], s[0:1], 0x58
	s_mov_b32 s16, s15
	s_mov_b32 s17, 0
	s_clause 0x1
	s_load_b32 s12, s[0:1], 0x4
	s_load_b128 s[4:7], s[0:1], 0x8
	s_lshl_b64 s[18:19], s[16:17], 3
	v_dual_mov_b32 v5, 0 :: v_dual_and_b32 v2, 0x3ff, v0
	v_bfe_u32 v1, v0, 10, 10
	v_mov_b32_e32 v6, 0
	s_delay_alu instid0(VALU_DEP_3) | instskip(NEXT) | instid1(VALU_DEP_3)
	v_lshl_add_u32 v0, s13, 4, v2
	v_lshl_add_u32 v9, s14, 4, v1
	s_delay_alu instid0(VALU_DEP_3)
	v_dual_mov_b32 v8, v6 :: v_dual_mov_b32 v7, v5
	s_waitcnt lgkmcnt(0)
	s_add_u32 s2, s2, s18
	s_addc_u32 s3, s3, s19
	s_clause 0x1
	s_load_b64 s[20:21], s[0:1], 0x18
	s_load_b128 s[8:11], s[0:1], 0x48
	s_load_b64 s[2:3], s[2:3], 0x0
	s_cmp_lt_i32 s12, 1
	s_cbranch_scc1 .LBB737_3
; %bb.1:
	s_clause 0x2
	s_load_b64 s[14:15], s[0:1], 0x30
	s_load_b32 s13, s[0:1], 0x38
	s_load_b32 s16, s[0:1], 0x20
	v_dual_mov_b32 v5, 0 :: v_dual_lshlrev_b32 v4, 8, v1
	v_lshlrev_b32_e32 v14, 4, v1
	v_mov_b32_e32 v6, 0
	v_lshlrev_b32_e32 v10, 4, v2
	s_delay_alu instid0(VALU_DEP_4) | instskip(NEXT) | instid1(VALU_DEP_2)
	v_add_nc_u32_e32 v11, 0x1000, v4
	v_add_nc_u32_e32 v12, v10, v4
	s_waitcnt lgkmcnt(0)
	s_add_u32 s14, s14, s18
	s_addc_u32 s15, s15, s19
	v_mad_i64_i32 v[2:3], null, s13, v9, 0
	s_load_b64 s[14:15], s[14:15], 0x0
	s_add_u32 s18, s20, s18
	s_addc_u32 s19, s21, s19
	v_mad_i64_i32 v[7:8], null, s16, v0, 0
	s_load_b64 s[18:19], s[18:19], 0x0
	s_delay_alu instid0(VALU_DEP_2) | instskip(NEXT) | instid1(VALU_DEP_2)
	v_lshlrev_b64 v[1:2], 4, v[2:3]
	v_lshlrev_b64 v[3:4], 4, v[7:8]
	v_dual_mov_b32 v8, v6 :: v_dual_mov_b32 v7, v5
	s_delay_alu instid0(VALU_DEP_3) | instskip(NEXT) | instid1(VALU_DEP_4)
	v_add_co_u32 v1, vcc_lo, v1, v10
	v_add_co_ci_u32_e32 v2, vcc_lo, 0, v2, vcc_lo
	s_delay_alu instid0(VALU_DEP_4)
	v_add_co_u32 v3, vcc_lo, v3, v14
	v_add_co_ci_u32_e32 v4, vcc_lo, 0, v4, vcc_lo
	s_waitcnt lgkmcnt(0)
	v_add_co_u32 v1, vcc_lo, s14, v1
	v_add_co_ci_u32_e32 v2, vcc_lo, s15, v2, vcc_lo
	v_add_co_u32 v3, vcc_lo, s18, v3
	v_add_nc_u32_e32 v13, v11, v10
	v_add_co_ci_u32_e32 v4, vcc_lo, s19, v4, vcc_lo
.LBB737_2:                              ; =>This Inner Loop Header: Depth=1
	global_load_b128 v[14:17], v[3:4], off
	global_load_b128 v[18:21], v[1:2], off
	v_add_co_u32 v1, vcc_lo, 0x100, v1
	v_add_co_ci_u32_e32 v2, vcc_lo, 0, v2, vcc_lo
	v_add_co_u32 v3, vcc_lo, 0x100, v3
	v_add_co_ci_u32_e32 v4, vcc_lo, 0, v4, vcc_lo
	s_add_i32 s17, s17, 16
	s_waitcnt vmcnt(1)
	ds_store_2addr_b64 v12, v[14:15], v[16:17] offset1:1
	s_waitcnt vmcnt(0)
	ds_store_2addr_b64 v13, v[18:19], v[20:21] offset1:1
	s_waitcnt lgkmcnt(0)
	s_barrier
	buffer_gl0_inv
	ds_load_b128 v[14:17], v10
	ds_load_b128 v[18:21], v11
	ds_load_b128 v[22:25], v11 offset:16
	ds_load_b128 v[26:29], v10 offset:256
	s_cmp_lt_i32 s17, s12
	s_waitcnt lgkmcnt(2)
	v_mul_f64 v[30:31], v[20:21], v[16:17]
	v_mul_f64 v[16:17], v[18:19], v[16:17]
	s_waitcnt lgkmcnt(0)
	v_mul_f64 v[36:37], v[24:25], v[28:29]
	v_mul_f64 v[38:39], v[22:23], v[28:29]
	s_delay_alu instid0(VALU_DEP_4) | instskip(NEXT) | instid1(VALU_DEP_4)
	v_fma_f64 v[40:41], v[18:19], v[14:15], -v[30:31]
	v_fma_f64 v[42:43], v[20:21], v[14:15], v[16:17]
	ds_load_b128 v[14:17], v10 offset:512
	ds_load_b128 v[18:21], v11 offset:32
	;; [unrolled: 1-line block ×4, first 2 shown]
	v_fma_f64 v[22:23], v[22:23], v[26:27], -v[36:37]
	v_fma_f64 v[24:25], v[24:25], v[26:27], v[38:39]
	s_waitcnt lgkmcnt(2)
	v_mul_f64 v[44:45], v[20:21], v[16:17]
	v_mul_f64 v[16:17], v[18:19], v[16:17]
	s_waitcnt lgkmcnt(0)
	v_mul_f64 v[26:27], v[30:31], v[34:35]
	v_mul_f64 v[34:35], v[28:29], v[34:35]
	v_add_f64 v[7:8], v[7:8], v[40:41]
	v_add_f64 v[5:6], v[5:6], v[42:43]
	v_fma_f64 v[36:37], v[18:19], v[14:15], -v[44:45]
	v_fma_f64 v[38:39], v[20:21], v[14:15], v[16:17]
	v_fma_f64 v[26:27], v[28:29], v[32:33], -v[26:27]
	v_fma_f64 v[28:29], v[30:31], v[32:33], v[34:35]
	v_add_f64 v[40:41], v[7:8], v[22:23]
	v_add_f64 v[42:43], v[5:6], v[24:25]
	ds_load_b128 v[5:8], v10 offset:1024
	ds_load_b128 v[14:17], v11 offset:64
	;; [unrolled: 1-line block ×4, first 2 shown]
	s_waitcnt lgkmcnt(2)
	v_mul_f64 v[44:45], v[16:17], v[7:8]
	v_mul_f64 v[7:8], v[14:15], v[7:8]
	s_waitcnt lgkmcnt(0)
	v_mul_f64 v[34:35], v[20:21], v[24:25]
	v_add_f64 v[30:31], v[40:41], v[36:37]
	v_add_f64 v[32:33], v[42:43], v[38:39]
	v_mul_f64 v[36:37], v[18:19], v[24:25]
	v_fma_f64 v[38:39], v[14:15], v[5:6], -v[44:45]
	v_fma_f64 v[40:41], v[16:17], v[5:6], v[7:8]
	v_fma_f64 v[18:19], v[18:19], v[22:23], -v[34:35]
	v_add_f64 v[42:43], v[30:31], v[26:27]
	v_add_f64 v[32:33], v[32:33], v[28:29]
	ds_load_b128 v[5:8], v10 offset:1536
	ds_load_b128 v[14:17], v11 offset:96
	;; [unrolled: 1-line block ×4, first 2 shown]
	v_fma_f64 v[20:21], v[20:21], v[22:23], v[36:37]
	s_waitcnt lgkmcnt(2)
	v_mul_f64 v[44:45], v[16:17], v[7:8]
	v_mul_f64 v[7:8], v[14:15], v[7:8]
	s_waitcnt lgkmcnt(0)
	v_mul_f64 v[34:35], v[26:27], v[30:31]
	v_mul_f64 v[36:37], v[24:25], v[30:31]
	v_add_f64 v[22:23], v[42:43], v[38:39]
	v_add_f64 v[32:33], v[32:33], v[40:41]
	v_fma_f64 v[38:39], v[14:15], v[5:6], -v[44:45]
	v_fma_f64 v[40:41], v[16:17], v[5:6], v[7:8]
	v_fma_f64 v[24:25], v[24:25], v[28:29], -v[34:35]
	v_fma_f64 v[26:27], v[26:27], v[28:29], v[36:37]
	v_add_f64 v[22:23], v[22:23], v[18:19]
	v_add_f64 v[42:43], v[32:33], v[20:21]
	ds_load_b128 v[5:8], v10 offset:2048
	ds_load_b128 v[14:17], v11 offset:128
	;; [unrolled: 1-line block ×4, first 2 shown]
	s_waitcnt lgkmcnt(2)
	v_mul_f64 v[44:45], v[16:17], v[7:8]
	v_mul_f64 v[7:8], v[14:15], v[7:8]
	s_waitcnt lgkmcnt(0)
	v_mul_f64 v[34:35], v[20:21], v[32:33]
	v_mul_f64 v[32:33], v[18:19], v[32:33]
	v_add_f64 v[22:23], v[22:23], v[38:39]
	v_add_f64 v[28:29], v[42:43], v[40:41]
	v_fma_f64 v[36:37], v[14:15], v[5:6], -v[44:45]
	v_fma_f64 v[38:39], v[16:17], v[5:6], v[7:8]
	v_fma_f64 v[18:19], v[18:19], v[30:31], -v[34:35]
	v_fma_f64 v[20:21], v[20:21], v[30:31], v[32:33]
	v_add_f64 v[40:41], v[22:23], v[24:25]
	v_add_f64 v[42:43], v[28:29], v[26:27]
	ds_load_b128 v[5:8], v10 offset:2560
	ds_load_b128 v[14:17], v11 offset:160
	;; [unrolled: 1-line block ×4, first 2 shown]
	s_waitcnt lgkmcnt(2)
	v_mul_f64 v[44:45], v[16:17], v[7:8]
	v_mul_f64 v[7:8], v[14:15], v[7:8]
	s_waitcnt lgkmcnt(0)
	v_mul_f64 v[34:35], v[24:25], v[28:29]
	v_add_f64 v[30:31], v[40:41], v[36:37]
	v_add_f64 v[32:33], v[42:43], v[38:39]
	v_mul_f64 v[36:37], v[22:23], v[28:29]
	v_fma_f64 v[38:39], v[14:15], v[5:6], -v[44:45]
	v_fma_f64 v[40:41], v[16:17], v[5:6], v[7:8]
	v_fma_f64 v[22:23], v[22:23], v[26:27], -v[34:35]
	v_add_f64 v[42:43], v[30:31], v[18:19]
	v_add_f64 v[32:33], v[32:33], v[20:21]
	ds_load_b128 v[5:8], v10 offset:3072
	ds_load_b128 v[14:17], v11 offset:192
	ds_load_b128 v[18:21], v11 offset:208
	ds_load_b128 v[28:31], v10 offset:3328
	v_fma_f64 v[24:25], v[24:25], v[26:27], v[36:37]
	s_waitcnt lgkmcnt(2)
	v_mul_f64 v[44:45], v[16:17], v[7:8]
	v_mul_f64 v[7:8], v[14:15], v[7:8]
	s_waitcnt lgkmcnt(0)
	v_mul_f64 v[34:35], v[20:21], v[30:31]
	v_mul_f64 v[36:37], v[18:19], v[30:31]
	v_add_f64 v[26:27], v[42:43], v[38:39]
	v_add_f64 v[32:33], v[32:33], v[40:41]
	v_fma_f64 v[38:39], v[14:15], v[5:6], -v[44:45]
	v_fma_f64 v[40:41], v[16:17], v[5:6], v[7:8]
	v_fma_f64 v[18:19], v[18:19], v[28:29], -v[34:35]
	v_fma_f64 v[20:21], v[20:21], v[28:29], v[36:37]
	v_add_f64 v[26:27], v[26:27], v[22:23]
	v_add_f64 v[42:43], v[32:33], v[24:25]
	ds_load_b128 v[5:8], v10 offset:3584
	ds_load_b128 v[14:17], v11 offset:224
	ds_load_b128 v[22:25], v11 offset:240
	ds_load_b128 v[30:33], v10 offset:3840
	s_waitcnt lgkmcnt(0)
	s_barrier
	buffer_gl0_inv
	v_mul_f64 v[44:45], v[16:17], v[7:8]
	v_mul_f64 v[7:8], v[14:15], v[7:8]
	v_mul_f64 v[34:35], v[24:25], v[32:33]
	v_mul_f64 v[32:33], v[22:23], v[32:33]
	v_add_f64 v[26:27], v[26:27], v[38:39]
	v_add_f64 v[28:29], v[42:43], v[40:41]
	v_fma_f64 v[14:15], v[14:15], v[5:6], -v[44:45]
	v_fma_f64 v[5:6], v[16:17], v[5:6], v[7:8]
	s_delay_alu instid0(VALU_DEP_4) | instskip(NEXT) | instid1(VALU_DEP_4)
	v_add_f64 v[7:8], v[26:27], v[18:19]
	v_add_f64 v[16:17], v[28:29], v[20:21]
	v_fma_f64 v[18:19], v[22:23], v[30:31], -v[34:35]
	v_fma_f64 v[20:21], v[24:25], v[30:31], v[32:33]
	s_delay_alu instid0(VALU_DEP_4) | instskip(NEXT) | instid1(VALU_DEP_4)
	v_add_f64 v[7:8], v[7:8], v[14:15]
	v_add_f64 v[5:6], v[16:17], v[5:6]
	s_delay_alu instid0(VALU_DEP_2) | instskip(NEXT) | instid1(VALU_DEP_2)
	v_add_f64 v[7:8], v[7:8], v[18:19]
	v_add_f64 v[5:6], v[5:6], v[20:21]
	s_cbranch_scc1 .LBB737_2
.LBB737_3:
	s_mov_b32 s12, exec_lo
	v_cmpx_le_i32_e64 v9, v0
	s_cbranch_execz .LBB737_5
; %bb.4:
	s_load_b32 s0, s[0:1], 0x60
	v_ashrrev_i32_e32 v1, 31, v0
	s_delay_alu instid0(VALU_DEP_3) | instskip(SKIP_1) | instid1(VALU_DEP_3)
	v_mul_f64 v[11:12], s[6:7], v[5:6]
	v_mul_f64 v[4:5], s[4:5], v[5:6]
	v_lshlrev_b64 v[0:1], 4, v[0:1]
	s_waitcnt lgkmcnt(0)
	v_mad_i64_i32 v[2:3], null, s0, v9, 0
	s_delay_alu instid0(VALU_DEP_1) | instskip(NEXT) | instid1(VALU_DEP_1)
	v_lshlrev_b64 v[2:3], 4, v[2:3]
	v_add_co_u32 v2, vcc_lo, s2, v2
	s_delay_alu instid0(VALU_DEP_2) | instskip(NEXT) | instid1(VALU_DEP_2)
	v_add_co_ci_u32_e32 v3, vcc_lo, s3, v3, vcc_lo
	v_add_co_u32 v9, vcc_lo, v2, v0
	s_delay_alu instid0(VALU_DEP_2)
	v_add_co_ci_u32_e32 v10, vcc_lo, v3, v1, vcc_lo
	v_fma_f64 v[11:12], s[4:5], v[7:8], -v[11:12]
	v_fma_f64 v[4:5], s[6:7], v[7:8], v[4:5]
	global_load_b128 v[0:3], v[9:10], off
	s_waitcnt vmcnt(0)
	v_mul_f64 v[13:14], s[10:11], v[2:3]
	v_mul_f64 v[2:3], s[8:9], v[2:3]
	s_delay_alu instid0(VALU_DEP_2) | instskip(NEXT) | instid1(VALU_DEP_2)
	v_fma_f64 v[6:7], s[8:9], v[0:1], -v[13:14]
	v_fma_f64 v[2:3], s[10:11], v[0:1], v[2:3]
	s_delay_alu instid0(VALU_DEP_2) | instskip(NEXT) | instid1(VALU_DEP_2)
	v_add_f64 v[0:1], v[11:12], v[6:7]
	v_add_f64 v[2:3], v[4:5], v[2:3]
	global_store_b128 v[9:10], v[0:3], off
.LBB737_5:
	s_nop 0
	s_sendmsg sendmsg(MSG_DEALLOC_VGPRS)
	s_endpgm
	.section	.rodata,"a",@progbits
	.p2align	6, 0x0
	.amdhsa_kernel _ZL41rocblas_syrkx_herkx_small_restrict_kernelIi19rocblas_complex_numIdELi16ELb0ELb0ELc84ELc76EKPKS1_KPS1_EviT_T0_PT6_S7_lSA_S7_lS8_PT7_S7_li
		.amdhsa_group_segment_fixed_size 8192
		.amdhsa_private_segment_fixed_size 0
		.amdhsa_kernarg_size 116
		.amdhsa_user_sgpr_count 13
		.amdhsa_user_sgpr_dispatch_ptr 0
		.amdhsa_user_sgpr_queue_ptr 0
		.amdhsa_user_sgpr_kernarg_segment_ptr 1
		.amdhsa_user_sgpr_dispatch_id 0
		.amdhsa_user_sgpr_private_segment_size 0
		.amdhsa_wavefront_size32 1
		.amdhsa_uses_dynamic_stack 0
		.amdhsa_enable_private_segment 0
		.amdhsa_system_sgpr_workgroup_id_x 1
		.amdhsa_system_sgpr_workgroup_id_y 1
		.amdhsa_system_sgpr_workgroup_id_z 1
		.amdhsa_system_sgpr_workgroup_info 0
		.amdhsa_system_vgpr_workitem_id 1
		.amdhsa_next_free_vgpr 46
		.amdhsa_next_free_sgpr 22
		.amdhsa_reserve_vcc 1
		.amdhsa_float_round_mode_32 0
		.amdhsa_float_round_mode_16_64 0
		.amdhsa_float_denorm_mode_32 3
		.amdhsa_float_denorm_mode_16_64 3
		.amdhsa_dx10_clamp 1
		.amdhsa_ieee_mode 1
		.amdhsa_fp16_overflow 0
		.amdhsa_workgroup_processor_mode 1
		.amdhsa_memory_ordered 1
		.amdhsa_forward_progress 0
		.amdhsa_shared_vgpr_count 0
		.amdhsa_exception_fp_ieee_invalid_op 0
		.amdhsa_exception_fp_denorm_src 0
		.amdhsa_exception_fp_ieee_div_zero 0
		.amdhsa_exception_fp_ieee_overflow 0
		.amdhsa_exception_fp_ieee_underflow 0
		.amdhsa_exception_fp_ieee_inexact 0
		.amdhsa_exception_int_div_zero 0
	.end_amdhsa_kernel
	.section	.text._ZL41rocblas_syrkx_herkx_small_restrict_kernelIi19rocblas_complex_numIdELi16ELb0ELb0ELc84ELc76EKPKS1_KPS1_EviT_T0_PT6_S7_lSA_S7_lS8_PT7_S7_li,"axG",@progbits,_ZL41rocblas_syrkx_herkx_small_restrict_kernelIi19rocblas_complex_numIdELi16ELb0ELb0ELc84ELc76EKPKS1_KPS1_EviT_T0_PT6_S7_lSA_S7_lS8_PT7_S7_li,comdat
.Lfunc_end737:
	.size	_ZL41rocblas_syrkx_herkx_small_restrict_kernelIi19rocblas_complex_numIdELi16ELb0ELb0ELc84ELc76EKPKS1_KPS1_EviT_T0_PT6_S7_lSA_S7_lS8_PT7_S7_li, .Lfunc_end737-_ZL41rocblas_syrkx_herkx_small_restrict_kernelIi19rocblas_complex_numIdELi16ELb0ELb0ELc84ELc76EKPKS1_KPS1_EviT_T0_PT6_S7_lSA_S7_lS8_PT7_S7_li
                                        ; -- End function
	.section	.AMDGPU.csdata,"",@progbits
; Kernel info:
; codeLenInByte = 1780
; NumSgprs: 24
; NumVgprs: 46
; ScratchSize: 0
; MemoryBound: 0
; FloatMode: 240
; IeeeMode: 1
; LDSByteSize: 8192 bytes/workgroup (compile time only)
; SGPRBlocks: 2
; VGPRBlocks: 5
; NumSGPRsForWavesPerEU: 24
; NumVGPRsForWavesPerEU: 46
; Occupancy: 16
; WaveLimiterHint : 1
; COMPUTE_PGM_RSRC2:SCRATCH_EN: 0
; COMPUTE_PGM_RSRC2:USER_SGPR: 13
; COMPUTE_PGM_RSRC2:TRAP_HANDLER: 0
; COMPUTE_PGM_RSRC2:TGID_X_EN: 1
; COMPUTE_PGM_RSRC2:TGID_Y_EN: 1
; COMPUTE_PGM_RSRC2:TGID_Z_EN: 1
; COMPUTE_PGM_RSRC2:TIDIG_COMP_CNT: 1
	.section	.text._ZL41rocblas_syrkx_herkx_small_restrict_kernelIi19rocblas_complex_numIdELi16ELb0ELb0ELc67ELc76EKPKS1_KPS1_EviT_T0_PT6_S7_lSA_S7_lS8_PT7_S7_li,"axG",@progbits,_ZL41rocblas_syrkx_herkx_small_restrict_kernelIi19rocblas_complex_numIdELi16ELb0ELb0ELc67ELc76EKPKS1_KPS1_EviT_T0_PT6_S7_lSA_S7_lS8_PT7_S7_li,comdat
	.globl	_ZL41rocblas_syrkx_herkx_small_restrict_kernelIi19rocblas_complex_numIdELi16ELb0ELb0ELc67ELc76EKPKS1_KPS1_EviT_T0_PT6_S7_lSA_S7_lS8_PT7_S7_li ; -- Begin function _ZL41rocblas_syrkx_herkx_small_restrict_kernelIi19rocblas_complex_numIdELi16ELb0ELb0ELc67ELc76EKPKS1_KPS1_EviT_T0_PT6_S7_lSA_S7_lS8_PT7_S7_li
	.p2align	8
	.type	_ZL41rocblas_syrkx_herkx_small_restrict_kernelIi19rocblas_complex_numIdELi16ELb0ELb0ELc67ELc76EKPKS1_KPS1_EviT_T0_PT6_S7_lSA_S7_lS8_PT7_S7_li,@function
_ZL41rocblas_syrkx_herkx_small_restrict_kernelIi19rocblas_complex_numIdELi16ELb0ELb0ELc67ELc76EKPKS1_KPS1_EviT_T0_PT6_S7_lSA_S7_lS8_PT7_S7_li: ; @_ZL41rocblas_syrkx_herkx_small_restrict_kernelIi19rocblas_complex_numIdELi16ELb0ELb0ELc67ELc76EKPKS1_KPS1_EviT_T0_PT6_S7_lSA_S7_lS8_PT7_S7_li
; %bb.0:
	s_load_b64 s[2:3], s[0:1], 0x58
	s_mov_b32 s16, s15
	s_mov_b32 s17, 0
	s_clause 0x1
	s_load_b32 s12, s[0:1], 0x4
	s_load_b128 s[4:7], s[0:1], 0x8
	s_lshl_b64 s[18:19], s[16:17], 3
	v_dual_mov_b32 v5, 0 :: v_dual_and_b32 v2, 0x3ff, v0
	v_bfe_u32 v1, v0, 10, 10
	v_mov_b32_e32 v6, 0
	s_delay_alu instid0(VALU_DEP_3) | instskip(NEXT) | instid1(VALU_DEP_3)
	v_lshl_add_u32 v0, s13, 4, v2
	v_lshl_add_u32 v9, s14, 4, v1
	s_delay_alu instid0(VALU_DEP_3)
	v_dual_mov_b32 v8, v6 :: v_dual_mov_b32 v7, v5
	s_waitcnt lgkmcnt(0)
	s_add_u32 s2, s2, s18
	s_addc_u32 s3, s3, s19
	s_clause 0x1
	s_load_b64 s[20:21], s[0:1], 0x18
	s_load_b128 s[8:11], s[0:1], 0x48
	s_load_b64 s[2:3], s[2:3], 0x0
	s_cmp_lt_i32 s12, 1
	s_cbranch_scc1 .LBB738_3
; %bb.1:
	s_clause 0x2
	s_load_b64 s[14:15], s[0:1], 0x30
	s_load_b32 s13, s[0:1], 0x20
	s_load_b32 s16, s[0:1], 0x38
	v_dual_mov_b32 v5, 0 :: v_dual_lshlrev_b32 v12, 8, v1
	v_lshlrev_b32_e32 v14, 4, v1
	v_mov_b32_e32 v6, 0
	v_lshlrev_b32_e32 v10, 4, v2
	s_delay_alu instid0(VALU_DEP_4)
	v_add_nc_u32_e32 v11, 0x1000, v12
	s_waitcnt lgkmcnt(0)
	s_add_u32 s14, s14, s18
	s_addc_u32 s15, s15, s19
	s_add_u32 s18, s20, s18
	s_addc_u32 s19, s21, s19
	v_mad_i64_i32 v[3:4], null, s13, v0, 0
	s_load_b64 s[18:19], s[18:19], 0x0
	v_mad_i64_i32 v[7:8], null, s16, v9, 0
	s_load_b64 s[14:15], s[14:15], 0x0
	s_delay_alu instid0(VALU_DEP_2) | instskip(NEXT) | instid1(VALU_DEP_2)
	v_lshlrev_b64 v[1:2], 4, v[3:4]
	v_lshlrev_b64 v[3:4], 4, v[7:8]
	s_delay_alu instid0(VALU_DEP_2) | instskip(NEXT) | instid1(VALU_DEP_3)
	v_add_co_u32 v1, vcc_lo, v1, v14
	v_add_co_ci_u32_e32 v2, vcc_lo, 0, v2, vcc_lo
	s_delay_alu instid0(VALU_DEP_3) | instskip(NEXT) | instid1(VALU_DEP_4)
	v_add_co_u32 v3, vcc_lo, v3, v10
	v_add_co_ci_u32_e32 v4, vcc_lo, 0, v4, vcc_lo
	s_waitcnt lgkmcnt(0)
	v_add_co_u32 v7, vcc_lo, v1, s18
	v_add_co_ci_u32_e32 v8, vcc_lo, s19, v2, vcc_lo
	v_add_co_u32 v1, vcc_lo, s14, v3
	v_add_co_ci_u32_e32 v2, vcc_lo, s15, v4, vcc_lo
	s_delay_alu instid0(VALU_DEP_4) | instskip(NEXT) | instid1(VALU_DEP_4)
	v_add_co_u32 v3, vcc_lo, v7, 8
	v_add_co_ci_u32_e32 v4, vcc_lo, 0, v8, vcc_lo
	v_dual_mov_b32 v8, v6 :: v_dual_mov_b32 v7, v5
	v_add_nc_u32_e32 v12, v10, v12
	v_add_nc_u32_e32 v13, v11, v10
.LBB738_2:                              ; =>This Inner Loop Header: Depth=1
	global_load_b128 v[14:17], v[3:4], off offset:-8
	global_load_b128 v[18:21], v[1:2], off
	v_add_co_u32 v1, vcc_lo, 0x100, v1
	v_add_co_ci_u32_e32 v2, vcc_lo, 0, v2, vcc_lo
	v_add_co_u32 v3, vcc_lo, 0x100, v3
	v_add_co_ci_u32_e32 v4, vcc_lo, 0, v4, vcc_lo
	s_add_i32 s17, s17, 16
	s_waitcnt vmcnt(1)
	ds_store_b128 v12, v[14:17]
	s_waitcnt vmcnt(0)
	ds_store_2addr_b64 v13, v[18:19], v[20:21] offset1:1
	s_waitcnt lgkmcnt(0)
	s_barrier
	buffer_gl0_inv
	ds_load_b128 v[14:17], v10
	ds_load_b128 v[18:21], v11
	ds_load_b128 v[22:25], v11 offset:16
	ds_load_b128 v[26:29], v10 offset:256
	s_cmp_lt_i32 s17, s12
	s_waitcnt lgkmcnt(2)
	v_mul_f64 v[30:31], v[20:21], v[16:17]
	v_mul_f64 v[16:17], v[18:19], v[16:17]
	s_waitcnt lgkmcnt(0)
	v_mul_f64 v[36:37], v[24:25], v[28:29]
	v_mul_f64 v[38:39], v[22:23], v[28:29]
	s_delay_alu instid0(VALU_DEP_4) | instskip(NEXT) | instid1(VALU_DEP_4)
	v_fma_f64 v[40:41], v[18:19], v[14:15], -v[30:31]
	v_fma_f64 v[42:43], v[20:21], v[14:15], v[16:17]
	ds_load_b128 v[14:17], v10 offset:512
	ds_load_b128 v[18:21], v11 offset:32
	;; [unrolled: 1-line block ×4, first 2 shown]
	v_fma_f64 v[22:23], v[22:23], v[26:27], -v[36:37]
	v_fma_f64 v[24:25], v[24:25], v[26:27], v[38:39]
	s_waitcnt lgkmcnt(2)
	v_mul_f64 v[44:45], v[20:21], v[16:17]
	v_mul_f64 v[16:17], v[18:19], v[16:17]
	s_waitcnt lgkmcnt(0)
	v_mul_f64 v[26:27], v[30:31], v[34:35]
	v_mul_f64 v[34:35], v[28:29], v[34:35]
	v_add_f64 v[7:8], v[7:8], v[40:41]
	v_add_f64 v[5:6], v[5:6], v[42:43]
	v_fma_f64 v[36:37], v[18:19], v[14:15], -v[44:45]
	v_fma_f64 v[38:39], v[20:21], v[14:15], v[16:17]
	v_fma_f64 v[26:27], v[28:29], v[32:33], -v[26:27]
	v_fma_f64 v[28:29], v[30:31], v[32:33], v[34:35]
	v_add_f64 v[40:41], v[7:8], v[22:23]
	v_add_f64 v[42:43], v[5:6], v[24:25]
	ds_load_b128 v[5:8], v10 offset:1024
	ds_load_b128 v[14:17], v11 offset:64
	;; [unrolled: 1-line block ×4, first 2 shown]
	s_waitcnt lgkmcnt(2)
	v_mul_f64 v[44:45], v[16:17], v[7:8]
	v_mul_f64 v[7:8], v[14:15], v[7:8]
	s_waitcnt lgkmcnt(0)
	v_mul_f64 v[34:35], v[20:21], v[24:25]
	v_add_f64 v[30:31], v[40:41], v[36:37]
	v_add_f64 v[32:33], v[42:43], v[38:39]
	v_mul_f64 v[36:37], v[18:19], v[24:25]
	v_fma_f64 v[38:39], v[14:15], v[5:6], -v[44:45]
	v_fma_f64 v[40:41], v[16:17], v[5:6], v[7:8]
	v_fma_f64 v[18:19], v[18:19], v[22:23], -v[34:35]
	v_add_f64 v[42:43], v[30:31], v[26:27]
	v_add_f64 v[32:33], v[32:33], v[28:29]
	ds_load_b128 v[5:8], v10 offset:1536
	ds_load_b128 v[14:17], v11 offset:96
	ds_load_b128 v[24:27], v11 offset:112
	ds_load_b128 v[28:31], v10 offset:1792
	v_fma_f64 v[20:21], v[20:21], v[22:23], v[36:37]
	s_waitcnt lgkmcnt(2)
	v_mul_f64 v[44:45], v[16:17], v[7:8]
	v_mul_f64 v[7:8], v[14:15], v[7:8]
	s_waitcnt lgkmcnt(0)
	v_mul_f64 v[34:35], v[26:27], v[30:31]
	v_mul_f64 v[36:37], v[24:25], v[30:31]
	v_add_f64 v[22:23], v[42:43], v[38:39]
	v_add_f64 v[32:33], v[32:33], v[40:41]
	v_fma_f64 v[38:39], v[14:15], v[5:6], -v[44:45]
	v_fma_f64 v[40:41], v[16:17], v[5:6], v[7:8]
	v_fma_f64 v[24:25], v[24:25], v[28:29], -v[34:35]
	v_fma_f64 v[26:27], v[26:27], v[28:29], v[36:37]
	v_add_f64 v[22:23], v[22:23], v[18:19]
	v_add_f64 v[42:43], v[32:33], v[20:21]
	ds_load_b128 v[5:8], v10 offset:2048
	ds_load_b128 v[14:17], v11 offset:128
	ds_load_b128 v[18:21], v11 offset:144
	ds_load_b128 v[30:33], v10 offset:2304
	s_waitcnt lgkmcnt(2)
	v_mul_f64 v[44:45], v[16:17], v[7:8]
	v_mul_f64 v[7:8], v[14:15], v[7:8]
	s_waitcnt lgkmcnt(0)
	v_mul_f64 v[34:35], v[20:21], v[32:33]
	v_mul_f64 v[32:33], v[18:19], v[32:33]
	v_add_f64 v[22:23], v[22:23], v[38:39]
	v_add_f64 v[28:29], v[42:43], v[40:41]
	v_fma_f64 v[36:37], v[14:15], v[5:6], -v[44:45]
	v_fma_f64 v[38:39], v[16:17], v[5:6], v[7:8]
	v_fma_f64 v[18:19], v[18:19], v[30:31], -v[34:35]
	v_fma_f64 v[20:21], v[20:21], v[30:31], v[32:33]
	v_add_f64 v[40:41], v[22:23], v[24:25]
	v_add_f64 v[42:43], v[28:29], v[26:27]
	ds_load_b128 v[5:8], v10 offset:2560
	ds_load_b128 v[14:17], v11 offset:160
	ds_load_b128 v[22:25], v11 offset:176
	ds_load_b128 v[26:29], v10 offset:2816
	s_waitcnt lgkmcnt(2)
	v_mul_f64 v[44:45], v[16:17], v[7:8]
	v_mul_f64 v[7:8], v[14:15], v[7:8]
	s_waitcnt lgkmcnt(0)
	v_mul_f64 v[34:35], v[24:25], v[28:29]
	v_add_f64 v[30:31], v[40:41], v[36:37]
	v_add_f64 v[32:33], v[42:43], v[38:39]
	v_mul_f64 v[36:37], v[22:23], v[28:29]
	v_fma_f64 v[38:39], v[14:15], v[5:6], -v[44:45]
	v_fma_f64 v[40:41], v[16:17], v[5:6], v[7:8]
	v_fma_f64 v[22:23], v[22:23], v[26:27], -v[34:35]
	v_add_f64 v[42:43], v[30:31], v[18:19]
	v_add_f64 v[32:33], v[32:33], v[20:21]
	ds_load_b128 v[5:8], v10 offset:3072
	ds_load_b128 v[14:17], v11 offset:192
	;; [unrolled: 1-line block ×4, first 2 shown]
	v_fma_f64 v[24:25], v[24:25], v[26:27], v[36:37]
	s_waitcnt lgkmcnt(2)
	v_mul_f64 v[44:45], v[16:17], v[7:8]
	v_mul_f64 v[7:8], v[14:15], v[7:8]
	s_waitcnt lgkmcnt(0)
	v_mul_f64 v[34:35], v[20:21], v[30:31]
	v_mul_f64 v[36:37], v[18:19], v[30:31]
	v_add_f64 v[26:27], v[42:43], v[38:39]
	v_add_f64 v[32:33], v[32:33], v[40:41]
	v_fma_f64 v[38:39], v[14:15], v[5:6], -v[44:45]
	v_fma_f64 v[40:41], v[16:17], v[5:6], v[7:8]
	v_fma_f64 v[18:19], v[18:19], v[28:29], -v[34:35]
	v_fma_f64 v[20:21], v[20:21], v[28:29], v[36:37]
	v_add_f64 v[26:27], v[26:27], v[22:23]
	v_add_f64 v[42:43], v[32:33], v[24:25]
	ds_load_b128 v[5:8], v10 offset:3584
	ds_load_b128 v[14:17], v11 offset:224
	;; [unrolled: 1-line block ×4, first 2 shown]
	s_waitcnt lgkmcnt(0)
	s_barrier
	buffer_gl0_inv
	v_mul_f64 v[44:45], v[16:17], v[7:8]
	v_mul_f64 v[7:8], v[14:15], v[7:8]
	v_mul_f64 v[34:35], v[24:25], v[32:33]
	v_mul_f64 v[32:33], v[22:23], v[32:33]
	v_add_f64 v[26:27], v[26:27], v[38:39]
	v_add_f64 v[28:29], v[42:43], v[40:41]
	v_fma_f64 v[14:15], v[14:15], v[5:6], -v[44:45]
	v_fma_f64 v[5:6], v[16:17], v[5:6], v[7:8]
	s_delay_alu instid0(VALU_DEP_4) | instskip(NEXT) | instid1(VALU_DEP_4)
	v_add_f64 v[7:8], v[26:27], v[18:19]
	v_add_f64 v[16:17], v[28:29], v[20:21]
	v_fma_f64 v[18:19], v[22:23], v[30:31], -v[34:35]
	v_fma_f64 v[20:21], v[24:25], v[30:31], v[32:33]
	s_delay_alu instid0(VALU_DEP_4) | instskip(NEXT) | instid1(VALU_DEP_4)
	v_add_f64 v[7:8], v[7:8], v[14:15]
	v_add_f64 v[5:6], v[16:17], v[5:6]
	s_delay_alu instid0(VALU_DEP_2) | instskip(NEXT) | instid1(VALU_DEP_2)
	v_add_f64 v[7:8], v[7:8], v[18:19]
	v_add_f64 v[5:6], v[5:6], v[20:21]
	s_cbranch_scc1 .LBB738_2
.LBB738_3:
	s_mov_b32 s12, exec_lo
	v_cmpx_le_i32_e64 v9, v0
	s_cbranch_execz .LBB738_5
; %bb.4:
	s_load_b32 s0, s[0:1], 0x60
	v_ashrrev_i32_e32 v1, 31, v0
	s_delay_alu instid0(VALU_DEP_3) | instskip(SKIP_1) | instid1(VALU_DEP_3)
	v_mul_f64 v[11:12], s[6:7], v[5:6]
	v_mul_f64 v[4:5], s[4:5], v[5:6]
	v_lshlrev_b64 v[0:1], 4, v[0:1]
	s_waitcnt lgkmcnt(0)
	v_mad_i64_i32 v[2:3], null, s0, v9, 0
	s_delay_alu instid0(VALU_DEP_1) | instskip(NEXT) | instid1(VALU_DEP_1)
	v_lshlrev_b64 v[2:3], 4, v[2:3]
	v_add_co_u32 v2, vcc_lo, s2, v2
	s_delay_alu instid0(VALU_DEP_2) | instskip(NEXT) | instid1(VALU_DEP_2)
	v_add_co_ci_u32_e32 v3, vcc_lo, s3, v3, vcc_lo
	v_add_co_u32 v9, vcc_lo, v2, v0
	s_delay_alu instid0(VALU_DEP_2)
	v_add_co_ci_u32_e32 v10, vcc_lo, v3, v1, vcc_lo
	v_fma_f64 v[11:12], s[4:5], v[7:8], -v[11:12]
	v_fma_f64 v[4:5], s[6:7], v[7:8], v[4:5]
	global_load_b128 v[0:3], v[9:10], off
	s_waitcnt vmcnt(0)
	v_mul_f64 v[13:14], s[10:11], v[2:3]
	v_mul_f64 v[2:3], s[8:9], v[2:3]
	s_delay_alu instid0(VALU_DEP_2) | instskip(NEXT) | instid1(VALU_DEP_2)
	v_fma_f64 v[6:7], s[8:9], v[0:1], -v[13:14]
	v_fma_f64 v[2:3], s[10:11], v[0:1], v[2:3]
	s_delay_alu instid0(VALU_DEP_2) | instskip(NEXT) | instid1(VALU_DEP_2)
	v_add_f64 v[0:1], v[11:12], v[6:7]
	v_add_f64 v[2:3], v[4:5], v[2:3]
	global_store_b128 v[9:10], v[0:3], off
.LBB738_5:
	s_nop 0
	s_sendmsg sendmsg(MSG_DEALLOC_VGPRS)
	s_endpgm
	.section	.rodata,"a",@progbits
	.p2align	6, 0x0
	.amdhsa_kernel _ZL41rocblas_syrkx_herkx_small_restrict_kernelIi19rocblas_complex_numIdELi16ELb0ELb0ELc67ELc76EKPKS1_KPS1_EviT_T0_PT6_S7_lSA_S7_lS8_PT7_S7_li
		.amdhsa_group_segment_fixed_size 8192
		.amdhsa_private_segment_fixed_size 0
		.amdhsa_kernarg_size 116
		.amdhsa_user_sgpr_count 13
		.amdhsa_user_sgpr_dispatch_ptr 0
		.amdhsa_user_sgpr_queue_ptr 0
		.amdhsa_user_sgpr_kernarg_segment_ptr 1
		.amdhsa_user_sgpr_dispatch_id 0
		.amdhsa_user_sgpr_private_segment_size 0
		.amdhsa_wavefront_size32 1
		.amdhsa_uses_dynamic_stack 0
		.amdhsa_enable_private_segment 0
		.amdhsa_system_sgpr_workgroup_id_x 1
		.amdhsa_system_sgpr_workgroup_id_y 1
		.amdhsa_system_sgpr_workgroup_id_z 1
		.amdhsa_system_sgpr_workgroup_info 0
		.amdhsa_system_vgpr_workitem_id 1
		.amdhsa_next_free_vgpr 46
		.amdhsa_next_free_sgpr 22
		.amdhsa_reserve_vcc 1
		.amdhsa_float_round_mode_32 0
		.amdhsa_float_round_mode_16_64 0
		.amdhsa_float_denorm_mode_32 3
		.amdhsa_float_denorm_mode_16_64 3
		.amdhsa_dx10_clamp 1
		.amdhsa_ieee_mode 1
		.amdhsa_fp16_overflow 0
		.amdhsa_workgroup_processor_mode 1
		.amdhsa_memory_ordered 1
		.amdhsa_forward_progress 0
		.amdhsa_shared_vgpr_count 0
		.amdhsa_exception_fp_ieee_invalid_op 0
		.amdhsa_exception_fp_denorm_src 0
		.amdhsa_exception_fp_ieee_div_zero 0
		.amdhsa_exception_fp_ieee_overflow 0
		.amdhsa_exception_fp_ieee_underflow 0
		.amdhsa_exception_fp_ieee_inexact 0
		.amdhsa_exception_int_div_zero 0
	.end_amdhsa_kernel
	.section	.text._ZL41rocblas_syrkx_herkx_small_restrict_kernelIi19rocblas_complex_numIdELi16ELb0ELb0ELc67ELc76EKPKS1_KPS1_EviT_T0_PT6_S7_lSA_S7_lS8_PT7_S7_li,"axG",@progbits,_ZL41rocblas_syrkx_herkx_small_restrict_kernelIi19rocblas_complex_numIdELi16ELb0ELb0ELc67ELc76EKPKS1_KPS1_EviT_T0_PT6_S7_lSA_S7_lS8_PT7_S7_li,comdat
.Lfunc_end738:
	.size	_ZL41rocblas_syrkx_herkx_small_restrict_kernelIi19rocblas_complex_numIdELi16ELb0ELb0ELc67ELc76EKPKS1_KPS1_EviT_T0_PT6_S7_lSA_S7_lS8_PT7_S7_li, .Lfunc_end738-_ZL41rocblas_syrkx_herkx_small_restrict_kernelIi19rocblas_complex_numIdELi16ELb0ELb0ELc67ELc76EKPKS1_KPS1_EviT_T0_PT6_S7_lSA_S7_lS8_PT7_S7_li
                                        ; -- End function
	.section	.AMDGPU.csdata,"",@progbits
; Kernel info:
; codeLenInByte = 1796
; NumSgprs: 24
; NumVgprs: 46
; ScratchSize: 0
; MemoryBound: 0
; FloatMode: 240
; IeeeMode: 1
; LDSByteSize: 8192 bytes/workgroup (compile time only)
; SGPRBlocks: 2
; VGPRBlocks: 5
; NumSGPRsForWavesPerEU: 24
; NumVGPRsForWavesPerEU: 46
; Occupancy: 16
; WaveLimiterHint : 1
; COMPUTE_PGM_RSRC2:SCRATCH_EN: 0
; COMPUTE_PGM_RSRC2:USER_SGPR: 13
; COMPUTE_PGM_RSRC2:TRAP_HANDLER: 0
; COMPUTE_PGM_RSRC2:TGID_X_EN: 1
; COMPUTE_PGM_RSRC2:TGID_Y_EN: 1
; COMPUTE_PGM_RSRC2:TGID_Z_EN: 1
; COMPUTE_PGM_RSRC2:TIDIG_COMP_CNT: 1
	.section	.text._ZL41rocblas_syrkx_herkx_small_restrict_kernelIi19rocblas_complex_numIdELi16ELb0ELb0ELc78ELc76EKPKS1_KPS1_EviT_T0_PT6_S7_lSA_S7_lS8_PT7_S7_li,"axG",@progbits,_ZL41rocblas_syrkx_herkx_small_restrict_kernelIi19rocblas_complex_numIdELi16ELb0ELb0ELc78ELc76EKPKS1_KPS1_EviT_T0_PT6_S7_lSA_S7_lS8_PT7_S7_li,comdat
	.globl	_ZL41rocblas_syrkx_herkx_small_restrict_kernelIi19rocblas_complex_numIdELi16ELb0ELb0ELc78ELc76EKPKS1_KPS1_EviT_T0_PT6_S7_lSA_S7_lS8_PT7_S7_li ; -- Begin function _ZL41rocblas_syrkx_herkx_small_restrict_kernelIi19rocblas_complex_numIdELi16ELb0ELb0ELc78ELc76EKPKS1_KPS1_EviT_T0_PT6_S7_lSA_S7_lS8_PT7_S7_li
	.p2align	8
	.type	_ZL41rocblas_syrkx_herkx_small_restrict_kernelIi19rocblas_complex_numIdELi16ELb0ELb0ELc78ELc76EKPKS1_KPS1_EviT_T0_PT6_S7_lSA_S7_lS8_PT7_S7_li,@function
_ZL41rocblas_syrkx_herkx_small_restrict_kernelIi19rocblas_complex_numIdELi16ELb0ELb0ELc78ELc76EKPKS1_KPS1_EviT_T0_PT6_S7_lSA_S7_lS8_PT7_S7_li: ; @_ZL41rocblas_syrkx_herkx_small_restrict_kernelIi19rocblas_complex_numIdELi16ELb0ELb0ELc78ELc76EKPKS1_KPS1_EviT_T0_PT6_S7_lSA_S7_lS8_PT7_S7_li
; %bb.0:
	s_load_b64 s[2:3], s[0:1], 0x58
	s_mov_b32 s16, s15
	s_mov_b32 s17, 0
	v_and_b32_e32 v5, 0x3ff, v0
	s_lshl_b64 s[18:19], s[16:17], 3
	s_clause 0x1
	s_load_b32 s16, s[0:1], 0x4
	s_load_b128 s[4:7], s[0:1], 0x8
	v_mov_b32_e32 v7, 0
	v_mov_b32_e32 v8, 0
	v_bfe_u32 v4, v0, 10, 10
	v_lshl_add_u32 v0, s13, 4, v5
	s_delay_alu instid0(VALU_DEP_3) | instskip(NEXT) | instid1(VALU_DEP_3)
	v_dual_mov_b32 v10, v8 :: v_dual_mov_b32 v9, v7
	v_lshl_add_u32 v2, s14, 4, v4
	s_delay_alu instid0(VALU_DEP_3)
	v_ashrrev_i32_e32 v1, 31, v0
	s_waitcnt lgkmcnt(0)
	s_add_u32 s2, s2, s18
	s_addc_u32 s3, s3, s19
	s_clause 0x1
	s_load_b64 s[20:21], s[0:1], 0x18
	s_load_b128 s[8:11], s[0:1], 0x48
	s_load_b64 s[2:3], s[2:3], 0x0
	s_cmp_lt_i32 s16, 1
	s_cbranch_scc1 .LBB739_3
; %bb.1:
	s_clause 0x2
	s_load_b32 s14, s[0:1], 0x20
	s_load_b32 s12, s[0:1], 0x38
	s_load_b64 s[22:23], s[0:1], 0x30
	v_ashrrev_i32_e32 v3, 31, v2
	v_lshlrev_b32_e32 v13, 8, v4
	v_lshlrev_b32_e32 v11, 4, v5
	v_lshlrev_b64 v[9:10], 4, v[0:1]
	s_waitcnt lgkmcnt(0)
	s_ashr_i32 s15, s14, 31
	s_ashr_i32 s13, s12, 31
	s_add_u32 s22, s22, s18
	s_addc_u32 s23, s23, s19
	v_mad_i64_i32 v[6:7], null, s12, v5, 0
	s_load_b64 s[22:23], s[22:23], 0x0
	s_add_u32 s18, s20, s18
	s_addc_u32 s19, s21, s19
	v_mad_i64_i32 v[15:16], null, s14, v4, 0
	s_load_b64 s[18:19], s[18:19], 0x0
	v_lshlrev_b64 v[3:4], 4, v[2:3]
	s_delay_alu instid0(VALU_DEP_3)
	v_lshlrev_b64 v[5:6], 4, v[6:7]
	v_mov_b32_e32 v7, 0
	v_mov_b32_e32 v8, 0
	v_add_nc_u32_e32 v12, 0x1000, v13
	v_lshlrev_b64 v[15:16], 4, v[15:16]
	s_lshl_b64 s[12:13], s[12:13], 8
	v_add_co_u32 v3, vcc_lo, v5, v3
	v_add_co_ci_u32_e32 v4, vcc_lo, v6, v4, vcc_lo
	s_delay_alu instid0(VALU_DEP_3) | instskip(NEXT) | instid1(VALU_DEP_4)
	v_add_co_u32 v5, vcc_lo, v15, v9
	v_add_co_ci_u32_e32 v6, vcc_lo, v16, v10, vcc_lo
	s_waitcnt lgkmcnt(0)
	v_add_co_u32 v9, vcc_lo, v3, s22
	v_add_co_ci_u32_e32 v10, vcc_lo, s23, v4, vcc_lo
	v_add_co_u32 v3, vcc_lo, s18, v5
	v_add_co_ci_u32_e32 v4, vcc_lo, s19, v6, vcc_lo
	s_delay_alu instid0(VALU_DEP_4) | instskip(NEXT) | instid1(VALU_DEP_4)
	v_add_co_u32 v5, vcc_lo, v9, 8
	v_add_co_ci_u32_e32 v6, vcc_lo, 0, v10, vcc_lo
	v_dual_mov_b32 v10, v8 :: v_dual_mov_b32 v9, v7
	v_add_nc_u32_e32 v13, v11, v13
	v_add_nc_u32_e32 v14, v12, v11
	s_lshl_b64 s[14:15], s[14:15], 8
.LBB739_2:                              ; =>This Inner Loop Header: Depth=1
	global_load_b128 v[15:18], v[3:4], off
	global_load_b128 v[19:22], v[5:6], off offset:-8
	v_add_co_u32 v5, vcc_lo, v5, s12
	v_add_co_ci_u32_e32 v6, vcc_lo, s13, v6, vcc_lo
	v_add_co_u32 v3, vcc_lo, v3, s14
	v_add_co_ci_u32_e32 v4, vcc_lo, s15, v4, vcc_lo
	s_add_i32 s17, s17, 16
	s_waitcnt vmcnt(1)
	ds_store_2addr_b64 v13, v[15:16], v[17:18] offset1:1
	s_waitcnt vmcnt(0)
	ds_store_b128 v14, v[19:22]
	s_waitcnt lgkmcnt(0)
	s_barrier
	buffer_gl0_inv
	ds_load_b128 v[15:18], v11
	ds_load_b128 v[19:22], v12
	ds_load_b128 v[23:26], v12 offset:16
	ds_load_b128 v[27:30], v11 offset:256
	s_cmp_lt_i32 s17, s16
	s_waitcnt lgkmcnt(2)
	v_mul_f64 v[31:32], v[21:22], v[17:18]
	v_mul_f64 v[17:18], v[19:20], v[17:18]
	s_waitcnt lgkmcnt(0)
	v_mul_f64 v[37:38], v[25:26], v[29:30]
	v_mul_f64 v[39:40], v[23:24], v[29:30]
	s_delay_alu instid0(VALU_DEP_4) | instskip(NEXT) | instid1(VALU_DEP_4)
	v_fma_f64 v[41:42], v[19:20], v[15:16], -v[31:32]
	v_fma_f64 v[43:44], v[21:22], v[15:16], v[17:18]
	ds_load_b128 v[15:18], v11 offset:512
	ds_load_b128 v[19:22], v12 offset:32
	;; [unrolled: 1-line block ×4, first 2 shown]
	v_fma_f64 v[23:24], v[23:24], v[27:28], -v[37:38]
	v_fma_f64 v[25:26], v[25:26], v[27:28], v[39:40]
	s_waitcnt lgkmcnt(2)
	v_mul_f64 v[45:46], v[21:22], v[17:18]
	v_mul_f64 v[17:18], v[19:20], v[17:18]
	s_waitcnt lgkmcnt(0)
	v_mul_f64 v[27:28], v[31:32], v[35:36]
	v_mul_f64 v[35:36], v[29:30], v[35:36]
	v_add_f64 v[9:10], v[9:10], v[41:42]
	v_add_f64 v[7:8], v[7:8], v[43:44]
	v_fma_f64 v[37:38], v[19:20], v[15:16], -v[45:46]
	v_fma_f64 v[39:40], v[21:22], v[15:16], v[17:18]
	v_fma_f64 v[27:28], v[29:30], v[33:34], -v[27:28]
	v_fma_f64 v[29:30], v[31:32], v[33:34], v[35:36]
	v_add_f64 v[41:42], v[9:10], v[23:24]
	v_add_f64 v[43:44], v[7:8], v[25:26]
	ds_load_b128 v[7:10], v11 offset:1024
	ds_load_b128 v[15:18], v12 offset:64
	;; [unrolled: 1-line block ×4, first 2 shown]
	s_waitcnt lgkmcnt(2)
	v_mul_f64 v[45:46], v[17:18], v[9:10]
	v_mul_f64 v[9:10], v[15:16], v[9:10]
	s_waitcnt lgkmcnt(0)
	v_mul_f64 v[35:36], v[21:22], v[25:26]
	v_add_f64 v[31:32], v[41:42], v[37:38]
	v_add_f64 v[33:34], v[43:44], v[39:40]
	v_mul_f64 v[37:38], v[19:20], v[25:26]
	v_fma_f64 v[39:40], v[15:16], v[7:8], -v[45:46]
	v_fma_f64 v[41:42], v[17:18], v[7:8], v[9:10]
	v_fma_f64 v[19:20], v[19:20], v[23:24], -v[35:36]
	v_add_f64 v[43:44], v[31:32], v[27:28]
	v_add_f64 v[33:34], v[33:34], v[29:30]
	ds_load_b128 v[7:10], v11 offset:1536
	ds_load_b128 v[15:18], v12 offset:96
	;; [unrolled: 1-line block ×4, first 2 shown]
	v_fma_f64 v[21:22], v[21:22], v[23:24], v[37:38]
	s_waitcnt lgkmcnt(2)
	v_mul_f64 v[45:46], v[17:18], v[9:10]
	v_mul_f64 v[9:10], v[15:16], v[9:10]
	s_waitcnt lgkmcnt(0)
	v_mul_f64 v[35:36], v[27:28], v[31:32]
	v_mul_f64 v[37:38], v[25:26], v[31:32]
	v_add_f64 v[23:24], v[43:44], v[39:40]
	v_add_f64 v[33:34], v[33:34], v[41:42]
	v_fma_f64 v[39:40], v[15:16], v[7:8], -v[45:46]
	v_fma_f64 v[41:42], v[17:18], v[7:8], v[9:10]
	v_fma_f64 v[25:26], v[25:26], v[29:30], -v[35:36]
	v_fma_f64 v[27:28], v[27:28], v[29:30], v[37:38]
	v_add_f64 v[23:24], v[23:24], v[19:20]
	v_add_f64 v[43:44], v[33:34], v[21:22]
	ds_load_b128 v[7:10], v11 offset:2048
	ds_load_b128 v[15:18], v12 offset:128
	;; [unrolled: 1-line block ×4, first 2 shown]
	s_waitcnt lgkmcnt(2)
	v_mul_f64 v[45:46], v[17:18], v[9:10]
	v_mul_f64 v[9:10], v[15:16], v[9:10]
	s_waitcnt lgkmcnt(0)
	v_mul_f64 v[35:36], v[21:22], v[33:34]
	v_mul_f64 v[33:34], v[19:20], v[33:34]
	v_add_f64 v[23:24], v[23:24], v[39:40]
	v_add_f64 v[29:30], v[43:44], v[41:42]
	v_fma_f64 v[37:38], v[15:16], v[7:8], -v[45:46]
	v_fma_f64 v[39:40], v[17:18], v[7:8], v[9:10]
	v_fma_f64 v[19:20], v[19:20], v[31:32], -v[35:36]
	v_fma_f64 v[21:22], v[21:22], v[31:32], v[33:34]
	v_add_f64 v[41:42], v[23:24], v[25:26]
	v_add_f64 v[43:44], v[29:30], v[27:28]
	ds_load_b128 v[7:10], v11 offset:2560
	ds_load_b128 v[15:18], v12 offset:160
	ds_load_b128 v[23:26], v12 offset:176
	ds_load_b128 v[27:30], v11 offset:2816
	s_waitcnt lgkmcnt(2)
	v_mul_f64 v[45:46], v[17:18], v[9:10]
	v_mul_f64 v[9:10], v[15:16], v[9:10]
	s_waitcnt lgkmcnt(0)
	v_mul_f64 v[35:36], v[25:26], v[29:30]
	v_add_f64 v[31:32], v[41:42], v[37:38]
	v_add_f64 v[33:34], v[43:44], v[39:40]
	v_mul_f64 v[37:38], v[23:24], v[29:30]
	v_fma_f64 v[39:40], v[15:16], v[7:8], -v[45:46]
	v_fma_f64 v[41:42], v[17:18], v[7:8], v[9:10]
	v_fma_f64 v[23:24], v[23:24], v[27:28], -v[35:36]
	v_add_f64 v[43:44], v[31:32], v[19:20]
	v_add_f64 v[33:34], v[33:34], v[21:22]
	ds_load_b128 v[7:10], v11 offset:3072
	ds_load_b128 v[15:18], v12 offset:192
	;; [unrolled: 1-line block ×4, first 2 shown]
	v_fma_f64 v[25:26], v[25:26], v[27:28], v[37:38]
	s_waitcnt lgkmcnt(2)
	v_mul_f64 v[45:46], v[17:18], v[9:10]
	v_mul_f64 v[9:10], v[15:16], v[9:10]
	s_waitcnt lgkmcnt(0)
	v_mul_f64 v[35:36], v[21:22], v[31:32]
	v_mul_f64 v[37:38], v[19:20], v[31:32]
	v_add_f64 v[27:28], v[43:44], v[39:40]
	v_add_f64 v[33:34], v[33:34], v[41:42]
	v_fma_f64 v[39:40], v[15:16], v[7:8], -v[45:46]
	v_fma_f64 v[41:42], v[17:18], v[7:8], v[9:10]
	v_fma_f64 v[19:20], v[19:20], v[29:30], -v[35:36]
	v_fma_f64 v[21:22], v[21:22], v[29:30], v[37:38]
	v_add_f64 v[27:28], v[27:28], v[23:24]
	v_add_f64 v[43:44], v[33:34], v[25:26]
	ds_load_b128 v[7:10], v11 offset:3584
	ds_load_b128 v[15:18], v12 offset:224
	;; [unrolled: 1-line block ×4, first 2 shown]
	s_waitcnt lgkmcnt(0)
	s_barrier
	buffer_gl0_inv
	v_mul_f64 v[45:46], v[17:18], v[9:10]
	v_mul_f64 v[9:10], v[15:16], v[9:10]
	;; [unrolled: 1-line block ×4, first 2 shown]
	v_add_f64 v[27:28], v[27:28], v[39:40]
	v_add_f64 v[29:30], v[43:44], v[41:42]
	v_fma_f64 v[15:16], v[15:16], v[7:8], -v[45:46]
	v_fma_f64 v[7:8], v[17:18], v[7:8], v[9:10]
	s_delay_alu instid0(VALU_DEP_4) | instskip(NEXT) | instid1(VALU_DEP_4)
	v_add_f64 v[9:10], v[27:28], v[19:20]
	v_add_f64 v[17:18], v[29:30], v[21:22]
	v_fma_f64 v[19:20], v[23:24], v[31:32], -v[35:36]
	v_fma_f64 v[21:22], v[25:26], v[31:32], v[33:34]
	s_delay_alu instid0(VALU_DEP_4) | instskip(NEXT) | instid1(VALU_DEP_4)
	v_add_f64 v[9:10], v[9:10], v[15:16]
	v_add_f64 v[7:8], v[17:18], v[7:8]
	s_delay_alu instid0(VALU_DEP_2) | instskip(NEXT) | instid1(VALU_DEP_2)
	v_add_f64 v[9:10], v[9:10], v[19:20]
	v_add_f64 v[7:8], v[7:8], v[21:22]
	s_cbranch_scc1 .LBB739_2
.LBB739_3:
	s_mov_b32 s12, exec_lo
	v_cmpx_le_i32_e64 v2, v0
	s_cbranch_execz .LBB739_5
; %bb.4:
	s_load_b32 s0, s[0:1], 0x60
	v_lshlrev_b64 v[0:1], 4, v[0:1]
	s_delay_alu instid0(VALU_DEP_3) | instskip(SKIP_3) | instid1(VALU_DEP_1)
	v_mul_f64 v[11:12], s[6:7], v[7:8]
	v_mul_f64 v[6:7], s[4:5], v[7:8]
	s_waitcnt lgkmcnt(0)
	v_mad_i64_i32 v[3:4], null, s0, v2, 0
	v_lshlrev_b64 v[2:3], 4, v[3:4]
	s_delay_alu instid0(VALU_DEP_1) | instskip(NEXT) | instid1(VALU_DEP_2)
	v_add_co_u32 v2, vcc_lo, s2, v2
	v_add_co_ci_u32_e32 v3, vcc_lo, s3, v3, vcc_lo
	s_delay_alu instid0(VALU_DEP_2) | instskip(NEXT) | instid1(VALU_DEP_2)
	v_add_co_u32 v4, vcc_lo, v2, v0
	v_add_co_ci_u32_e32 v5, vcc_lo, v3, v1, vcc_lo
	v_fma_f64 v[11:12], s[4:5], v[9:10], -v[11:12]
	v_fma_f64 v[6:7], s[6:7], v[9:10], v[6:7]
	global_load_b128 v[0:3], v[4:5], off
	s_waitcnt vmcnt(0)
	v_mul_f64 v[13:14], s[10:11], v[2:3]
	v_mul_f64 v[2:3], s[8:9], v[2:3]
	s_delay_alu instid0(VALU_DEP_2) | instskip(NEXT) | instid1(VALU_DEP_2)
	v_fma_f64 v[8:9], s[8:9], v[0:1], -v[13:14]
	v_fma_f64 v[2:3], s[10:11], v[0:1], v[2:3]
	s_delay_alu instid0(VALU_DEP_2) | instskip(NEXT) | instid1(VALU_DEP_2)
	v_add_f64 v[0:1], v[11:12], v[8:9]
	v_add_f64 v[2:3], v[6:7], v[2:3]
	global_store_b128 v[4:5], v[0:3], off
.LBB739_5:
	s_nop 0
	s_sendmsg sendmsg(MSG_DEALLOC_VGPRS)
	s_endpgm
	.section	.rodata,"a",@progbits
	.p2align	6, 0x0
	.amdhsa_kernel _ZL41rocblas_syrkx_herkx_small_restrict_kernelIi19rocblas_complex_numIdELi16ELb0ELb0ELc78ELc76EKPKS1_KPS1_EviT_T0_PT6_S7_lSA_S7_lS8_PT7_S7_li
		.amdhsa_group_segment_fixed_size 8192
		.amdhsa_private_segment_fixed_size 0
		.amdhsa_kernarg_size 116
		.amdhsa_user_sgpr_count 13
		.amdhsa_user_sgpr_dispatch_ptr 0
		.amdhsa_user_sgpr_queue_ptr 0
		.amdhsa_user_sgpr_kernarg_segment_ptr 1
		.amdhsa_user_sgpr_dispatch_id 0
		.amdhsa_user_sgpr_private_segment_size 0
		.amdhsa_wavefront_size32 1
		.amdhsa_uses_dynamic_stack 0
		.amdhsa_enable_private_segment 0
		.amdhsa_system_sgpr_workgroup_id_x 1
		.amdhsa_system_sgpr_workgroup_id_y 1
		.amdhsa_system_sgpr_workgroup_id_z 1
		.amdhsa_system_sgpr_workgroup_info 0
		.amdhsa_system_vgpr_workitem_id 1
		.amdhsa_next_free_vgpr 47
		.amdhsa_next_free_sgpr 24
		.amdhsa_reserve_vcc 1
		.amdhsa_float_round_mode_32 0
		.amdhsa_float_round_mode_16_64 0
		.amdhsa_float_denorm_mode_32 3
		.amdhsa_float_denorm_mode_16_64 3
		.amdhsa_dx10_clamp 1
		.amdhsa_ieee_mode 1
		.amdhsa_fp16_overflow 0
		.amdhsa_workgroup_processor_mode 1
		.amdhsa_memory_ordered 1
		.amdhsa_forward_progress 0
		.amdhsa_shared_vgpr_count 0
		.amdhsa_exception_fp_ieee_invalid_op 0
		.amdhsa_exception_fp_denorm_src 0
		.amdhsa_exception_fp_ieee_div_zero 0
		.amdhsa_exception_fp_ieee_overflow 0
		.amdhsa_exception_fp_ieee_underflow 0
		.amdhsa_exception_fp_ieee_inexact 0
		.amdhsa_exception_int_div_zero 0
	.end_amdhsa_kernel
	.section	.text._ZL41rocblas_syrkx_herkx_small_restrict_kernelIi19rocblas_complex_numIdELi16ELb0ELb0ELc78ELc76EKPKS1_KPS1_EviT_T0_PT6_S7_lSA_S7_lS8_PT7_S7_li,"axG",@progbits,_ZL41rocblas_syrkx_herkx_small_restrict_kernelIi19rocblas_complex_numIdELi16ELb0ELb0ELc78ELc76EKPKS1_KPS1_EviT_T0_PT6_S7_lSA_S7_lS8_PT7_S7_li,comdat
.Lfunc_end739:
	.size	_ZL41rocblas_syrkx_herkx_small_restrict_kernelIi19rocblas_complex_numIdELi16ELb0ELb0ELc78ELc76EKPKS1_KPS1_EviT_T0_PT6_S7_lSA_S7_lS8_PT7_S7_li, .Lfunc_end739-_ZL41rocblas_syrkx_herkx_small_restrict_kernelIi19rocblas_complex_numIdELi16ELb0ELb0ELc78ELc76EKPKS1_KPS1_EviT_T0_PT6_S7_lSA_S7_lS8_PT7_S7_li
                                        ; -- End function
	.section	.AMDGPU.csdata,"",@progbits
; Kernel info:
; codeLenInByte = 1808
; NumSgprs: 26
; NumVgprs: 47
; ScratchSize: 0
; MemoryBound: 0
; FloatMode: 240
; IeeeMode: 1
; LDSByteSize: 8192 bytes/workgroup (compile time only)
; SGPRBlocks: 3
; VGPRBlocks: 5
; NumSGPRsForWavesPerEU: 26
; NumVGPRsForWavesPerEU: 47
; Occupancy: 16
; WaveLimiterHint : 1
; COMPUTE_PGM_RSRC2:SCRATCH_EN: 0
; COMPUTE_PGM_RSRC2:USER_SGPR: 13
; COMPUTE_PGM_RSRC2:TRAP_HANDLER: 0
; COMPUTE_PGM_RSRC2:TGID_X_EN: 1
; COMPUTE_PGM_RSRC2:TGID_Y_EN: 1
; COMPUTE_PGM_RSRC2:TGID_Z_EN: 1
; COMPUTE_PGM_RSRC2:TIDIG_COMP_CNT: 1
	.section	.text._ZL41rocblas_syrkx_herkx_small_restrict_kernelIi19rocblas_complex_numIdELi16ELb0ELb0ELc84ELc85EKPKS1_KPS1_EviT_T0_PT6_S7_lSA_S7_lS8_PT7_S7_li,"axG",@progbits,_ZL41rocblas_syrkx_herkx_small_restrict_kernelIi19rocblas_complex_numIdELi16ELb0ELb0ELc84ELc85EKPKS1_KPS1_EviT_T0_PT6_S7_lSA_S7_lS8_PT7_S7_li,comdat
	.globl	_ZL41rocblas_syrkx_herkx_small_restrict_kernelIi19rocblas_complex_numIdELi16ELb0ELb0ELc84ELc85EKPKS1_KPS1_EviT_T0_PT6_S7_lSA_S7_lS8_PT7_S7_li ; -- Begin function _ZL41rocblas_syrkx_herkx_small_restrict_kernelIi19rocblas_complex_numIdELi16ELb0ELb0ELc84ELc85EKPKS1_KPS1_EviT_T0_PT6_S7_lSA_S7_lS8_PT7_S7_li
	.p2align	8
	.type	_ZL41rocblas_syrkx_herkx_small_restrict_kernelIi19rocblas_complex_numIdELi16ELb0ELb0ELc84ELc85EKPKS1_KPS1_EviT_T0_PT6_S7_lSA_S7_lS8_PT7_S7_li,@function
_ZL41rocblas_syrkx_herkx_small_restrict_kernelIi19rocblas_complex_numIdELi16ELb0ELb0ELc84ELc85EKPKS1_KPS1_EviT_T0_PT6_S7_lSA_S7_lS8_PT7_S7_li: ; @_ZL41rocblas_syrkx_herkx_small_restrict_kernelIi19rocblas_complex_numIdELi16ELb0ELb0ELc84ELc85EKPKS1_KPS1_EviT_T0_PT6_S7_lSA_S7_lS8_PT7_S7_li
; %bb.0:
	s_load_b64 s[2:3], s[0:1], 0x58
	s_mov_b32 s16, s15
	s_mov_b32 s17, 0
	s_clause 0x1
	s_load_b32 s12, s[0:1], 0x4
	s_load_b128 s[4:7], s[0:1], 0x8
	s_lshl_b64 s[18:19], s[16:17], 3
	v_dual_mov_b32 v5, 0 :: v_dual_and_b32 v2, 0x3ff, v0
	v_bfe_u32 v1, v0, 10, 10
	v_mov_b32_e32 v6, 0
	s_delay_alu instid0(VALU_DEP_3) | instskip(NEXT) | instid1(VALU_DEP_3)
	v_lshl_add_u32 v0, s13, 4, v2
	v_lshl_add_u32 v9, s14, 4, v1
	s_delay_alu instid0(VALU_DEP_3)
	v_dual_mov_b32 v8, v6 :: v_dual_mov_b32 v7, v5
	s_waitcnt lgkmcnt(0)
	s_add_u32 s2, s2, s18
	s_addc_u32 s3, s3, s19
	s_clause 0x1
	s_load_b64 s[20:21], s[0:1], 0x18
	s_load_b128 s[8:11], s[0:1], 0x48
	s_load_b64 s[2:3], s[2:3], 0x0
	s_cmp_lt_i32 s12, 1
	s_cbranch_scc1 .LBB740_3
; %bb.1:
	s_clause 0x2
	s_load_b64 s[14:15], s[0:1], 0x30
	s_load_b32 s13, s[0:1], 0x38
	s_load_b32 s16, s[0:1], 0x20
	v_dual_mov_b32 v5, 0 :: v_dual_lshlrev_b32 v4, 8, v1
	v_lshlrev_b32_e32 v14, 4, v1
	v_mov_b32_e32 v6, 0
	v_lshlrev_b32_e32 v10, 4, v2
	s_delay_alu instid0(VALU_DEP_4) | instskip(NEXT) | instid1(VALU_DEP_2)
	v_add_nc_u32_e32 v11, 0x1000, v4
	v_add_nc_u32_e32 v12, v10, v4
	s_waitcnt lgkmcnt(0)
	s_add_u32 s14, s14, s18
	s_addc_u32 s15, s15, s19
	v_mad_i64_i32 v[2:3], null, s13, v9, 0
	s_load_b64 s[14:15], s[14:15], 0x0
	s_add_u32 s18, s20, s18
	s_addc_u32 s19, s21, s19
	v_mad_i64_i32 v[7:8], null, s16, v0, 0
	s_load_b64 s[18:19], s[18:19], 0x0
	s_delay_alu instid0(VALU_DEP_2) | instskip(NEXT) | instid1(VALU_DEP_2)
	v_lshlrev_b64 v[1:2], 4, v[2:3]
	v_lshlrev_b64 v[3:4], 4, v[7:8]
	v_dual_mov_b32 v8, v6 :: v_dual_mov_b32 v7, v5
	s_delay_alu instid0(VALU_DEP_3) | instskip(NEXT) | instid1(VALU_DEP_4)
	v_add_co_u32 v1, vcc_lo, v1, v10
	v_add_co_ci_u32_e32 v2, vcc_lo, 0, v2, vcc_lo
	s_delay_alu instid0(VALU_DEP_4)
	v_add_co_u32 v3, vcc_lo, v3, v14
	v_add_co_ci_u32_e32 v4, vcc_lo, 0, v4, vcc_lo
	s_waitcnt lgkmcnt(0)
	v_add_co_u32 v1, vcc_lo, s14, v1
	v_add_co_ci_u32_e32 v2, vcc_lo, s15, v2, vcc_lo
	v_add_co_u32 v3, vcc_lo, s18, v3
	v_add_nc_u32_e32 v13, v11, v10
	v_add_co_ci_u32_e32 v4, vcc_lo, s19, v4, vcc_lo
.LBB740_2:                              ; =>This Inner Loop Header: Depth=1
	global_load_b128 v[14:17], v[3:4], off
	global_load_b128 v[18:21], v[1:2], off
	v_add_co_u32 v1, vcc_lo, 0x100, v1
	v_add_co_ci_u32_e32 v2, vcc_lo, 0, v2, vcc_lo
	v_add_co_u32 v3, vcc_lo, 0x100, v3
	v_add_co_ci_u32_e32 v4, vcc_lo, 0, v4, vcc_lo
	s_add_i32 s17, s17, 16
	s_waitcnt vmcnt(1)
	ds_store_2addr_b64 v12, v[14:15], v[16:17] offset1:1
	s_waitcnt vmcnt(0)
	ds_store_2addr_b64 v13, v[18:19], v[20:21] offset1:1
	s_waitcnt lgkmcnt(0)
	s_barrier
	buffer_gl0_inv
	ds_load_b128 v[14:17], v10
	ds_load_b128 v[18:21], v11
	ds_load_b128 v[22:25], v11 offset:16
	ds_load_b128 v[26:29], v10 offset:256
	s_cmp_lt_i32 s17, s12
	s_waitcnt lgkmcnt(2)
	v_mul_f64 v[30:31], v[20:21], v[16:17]
	v_mul_f64 v[16:17], v[18:19], v[16:17]
	s_waitcnt lgkmcnt(0)
	v_mul_f64 v[36:37], v[24:25], v[28:29]
	v_mul_f64 v[38:39], v[22:23], v[28:29]
	s_delay_alu instid0(VALU_DEP_4) | instskip(NEXT) | instid1(VALU_DEP_4)
	v_fma_f64 v[40:41], v[18:19], v[14:15], -v[30:31]
	v_fma_f64 v[42:43], v[20:21], v[14:15], v[16:17]
	ds_load_b128 v[14:17], v10 offset:512
	ds_load_b128 v[18:21], v11 offset:32
	;; [unrolled: 1-line block ×4, first 2 shown]
	v_fma_f64 v[22:23], v[22:23], v[26:27], -v[36:37]
	v_fma_f64 v[24:25], v[24:25], v[26:27], v[38:39]
	s_waitcnt lgkmcnt(2)
	v_mul_f64 v[44:45], v[20:21], v[16:17]
	v_mul_f64 v[16:17], v[18:19], v[16:17]
	s_waitcnt lgkmcnt(0)
	v_mul_f64 v[26:27], v[30:31], v[34:35]
	v_mul_f64 v[34:35], v[28:29], v[34:35]
	v_add_f64 v[7:8], v[7:8], v[40:41]
	v_add_f64 v[5:6], v[5:6], v[42:43]
	v_fma_f64 v[36:37], v[18:19], v[14:15], -v[44:45]
	v_fma_f64 v[38:39], v[20:21], v[14:15], v[16:17]
	v_fma_f64 v[26:27], v[28:29], v[32:33], -v[26:27]
	v_fma_f64 v[28:29], v[30:31], v[32:33], v[34:35]
	v_add_f64 v[40:41], v[7:8], v[22:23]
	v_add_f64 v[42:43], v[5:6], v[24:25]
	ds_load_b128 v[5:8], v10 offset:1024
	ds_load_b128 v[14:17], v11 offset:64
	;; [unrolled: 1-line block ×4, first 2 shown]
	s_waitcnt lgkmcnt(2)
	v_mul_f64 v[44:45], v[16:17], v[7:8]
	v_mul_f64 v[7:8], v[14:15], v[7:8]
	s_waitcnt lgkmcnt(0)
	v_mul_f64 v[34:35], v[20:21], v[24:25]
	v_add_f64 v[30:31], v[40:41], v[36:37]
	v_add_f64 v[32:33], v[42:43], v[38:39]
	v_mul_f64 v[36:37], v[18:19], v[24:25]
	v_fma_f64 v[38:39], v[14:15], v[5:6], -v[44:45]
	v_fma_f64 v[40:41], v[16:17], v[5:6], v[7:8]
	v_fma_f64 v[18:19], v[18:19], v[22:23], -v[34:35]
	v_add_f64 v[42:43], v[30:31], v[26:27]
	v_add_f64 v[32:33], v[32:33], v[28:29]
	ds_load_b128 v[5:8], v10 offset:1536
	ds_load_b128 v[14:17], v11 offset:96
	ds_load_b128 v[24:27], v11 offset:112
	ds_load_b128 v[28:31], v10 offset:1792
	v_fma_f64 v[20:21], v[20:21], v[22:23], v[36:37]
	s_waitcnt lgkmcnt(2)
	v_mul_f64 v[44:45], v[16:17], v[7:8]
	v_mul_f64 v[7:8], v[14:15], v[7:8]
	s_waitcnt lgkmcnt(0)
	v_mul_f64 v[34:35], v[26:27], v[30:31]
	v_mul_f64 v[36:37], v[24:25], v[30:31]
	v_add_f64 v[22:23], v[42:43], v[38:39]
	v_add_f64 v[32:33], v[32:33], v[40:41]
	v_fma_f64 v[38:39], v[14:15], v[5:6], -v[44:45]
	v_fma_f64 v[40:41], v[16:17], v[5:6], v[7:8]
	v_fma_f64 v[24:25], v[24:25], v[28:29], -v[34:35]
	v_fma_f64 v[26:27], v[26:27], v[28:29], v[36:37]
	v_add_f64 v[22:23], v[22:23], v[18:19]
	v_add_f64 v[42:43], v[32:33], v[20:21]
	ds_load_b128 v[5:8], v10 offset:2048
	ds_load_b128 v[14:17], v11 offset:128
	;; [unrolled: 1-line block ×4, first 2 shown]
	s_waitcnt lgkmcnt(2)
	v_mul_f64 v[44:45], v[16:17], v[7:8]
	v_mul_f64 v[7:8], v[14:15], v[7:8]
	s_waitcnt lgkmcnt(0)
	v_mul_f64 v[34:35], v[20:21], v[32:33]
	v_mul_f64 v[32:33], v[18:19], v[32:33]
	v_add_f64 v[22:23], v[22:23], v[38:39]
	v_add_f64 v[28:29], v[42:43], v[40:41]
	v_fma_f64 v[36:37], v[14:15], v[5:6], -v[44:45]
	v_fma_f64 v[38:39], v[16:17], v[5:6], v[7:8]
	v_fma_f64 v[18:19], v[18:19], v[30:31], -v[34:35]
	v_fma_f64 v[20:21], v[20:21], v[30:31], v[32:33]
	v_add_f64 v[40:41], v[22:23], v[24:25]
	v_add_f64 v[42:43], v[28:29], v[26:27]
	ds_load_b128 v[5:8], v10 offset:2560
	ds_load_b128 v[14:17], v11 offset:160
	;; [unrolled: 1-line block ×4, first 2 shown]
	s_waitcnt lgkmcnt(2)
	v_mul_f64 v[44:45], v[16:17], v[7:8]
	v_mul_f64 v[7:8], v[14:15], v[7:8]
	s_waitcnt lgkmcnt(0)
	v_mul_f64 v[34:35], v[24:25], v[28:29]
	v_add_f64 v[30:31], v[40:41], v[36:37]
	v_add_f64 v[32:33], v[42:43], v[38:39]
	v_mul_f64 v[36:37], v[22:23], v[28:29]
	v_fma_f64 v[38:39], v[14:15], v[5:6], -v[44:45]
	v_fma_f64 v[40:41], v[16:17], v[5:6], v[7:8]
	v_fma_f64 v[22:23], v[22:23], v[26:27], -v[34:35]
	v_add_f64 v[42:43], v[30:31], v[18:19]
	v_add_f64 v[32:33], v[32:33], v[20:21]
	ds_load_b128 v[5:8], v10 offset:3072
	ds_load_b128 v[14:17], v11 offset:192
	;; [unrolled: 1-line block ×4, first 2 shown]
	v_fma_f64 v[24:25], v[24:25], v[26:27], v[36:37]
	s_waitcnt lgkmcnt(2)
	v_mul_f64 v[44:45], v[16:17], v[7:8]
	v_mul_f64 v[7:8], v[14:15], v[7:8]
	s_waitcnt lgkmcnt(0)
	v_mul_f64 v[34:35], v[20:21], v[30:31]
	v_mul_f64 v[36:37], v[18:19], v[30:31]
	v_add_f64 v[26:27], v[42:43], v[38:39]
	v_add_f64 v[32:33], v[32:33], v[40:41]
	v_fma_f64 v[38:39], v[14:15], v[5:6], -v[44:45]
	v_fma_f64 v[40:41], v[16:17], v[5:6], v[7:8]
	v_fma_f64 v[18:19], v[18:19], v[28:29], -v[34:35]
	v_fma_f64 v[20:21], v[20:21], v[28:29], v[36:37]
	v_add_f64 v[26:27], v[26:27], v[22:23]
	v_add_f64 v[42:43], v[32:33], v[24:25]
	ds_load_b128 v[5:8], v10 offset:3584
	ds_load_b128 v[14:17], v11 offset:224
	;; [unrolled: 1-line block ×4, first 2 shown]
	s_waitcnt lgkmcnt(0)
	s_barrier
	buffer_gl0_inv
	v_mul_f64 v[44:45], v[16:17], v[7:8]
	v_mul_f64 v[7:8], v[14:15], v[7:8]
	;; [unrolled: 1-line block ×4, first 2 shown]
	v_add_f64 v[26:27], v[26:27], v[38:39]
	v_add_f64 v[28:29], v[42:43], v[40:41]
	v_fma_f64 v[14:15], v[14:15], v[5:6], -v[44:45]
	v_fma_f64 v[5:6], v[16:17], v[5:6], v[7:8]
	s_delay_alu instid0(VALU_DEP_4) | instskip(NEXT) | instid1(VALU_DEP_4)
	v_add_f64 v[7:8], v[26:27], v[18:19]
	v_add_f64 v[16:17], v[28:29], v[20:21]
	v_fma_f64 v[18:19], v[22:23], v[30:31], -v[34:35]
	v_fma_f64 v[20:21], v[24:25], v[30:31], v[32:33]
	s_delay_alu instid0(VALU_DEP_4) | instskip(NEXT) | instid1(VALU_DEP_4)
	v_add_f64 v[7:8], v[7:8], v[14:15]
	v_add_f64 v[5:6], v[16:17], v[5:6]
	s_delay_alu instid0(VALU_DEP_2) | instskip(NEXT) | instid1(VALU_DEP_2)
	v_add_f64 v[7:8], v[7:8], v[18:19]
	v_add_f64 v[5:6], v[5:6], v[20:21]
	s_cbranch_scc1 .LBB740_2
.LBB740_3:
	s_mov_b32 s12, exec_lo
	v_cmpx_le_i32_e64 v0, v9
	s_cbranch_execz .LBB740_5
; %bb.4:
	s_load_b32 s0, s[0:1], 0x60
	v_ashrrev_i32_e32 v1, 31, v0
	s_delay_alu instid0(VALU_DEP_3) | instskip(SKIP_1) | instid1(VALU_DEP_3)
	v_mul_f64 v[11:12], s[6:7], v[5:6]
	v_mul_f64 v[4:5], s[4:5], v[5:6]
	v_lshlrev_b64 v[0:1], 4, v[0:1]
	s_waitcnt lgkmcnt(0)
	v_mad_i64_i32 v[2:3], null, s0, v9, 0
	s_delay_alu instid0(VALU_DEP_1) | instskip(NEXT) | instid1(VALU_DEP_1)
	v_lshlrev_b64 v[2:3], 4, v[2:3]
	v_add_co_u32 v2, vcc_lo, s2, v2
	s_delay_alu instid0(VALU_DEP_2) | instskip(NEXT) | instid1(VALU_DEP_2)
	v_add_co_ci_u32_e32 v3, vcc_lo, s3, v3, vcc_lo
	v_add_co_u32 v9, vcc_lo, v2, v0
	s_delay_alu instid0(VALU_DEP_2)
	v_add_co_ci_u32_e32 v10, vcc_lo, v3, v1, vcc_lo
	v_fma_f64 v[11:12], s[4:5], v[7:8], -v[11:12]
	v_fma_f64 v[4:5], s[6:7], v[7:8], v[4:5]
	global_load_b128 v[0:3], v[9:10], off
	s_waitcnt vmcnt(0)
	v_mul_f64 v[13:14], s[10:11], v[2:3]
	v_mul_f64 v[2:3], s[8:9], v[2:3]
	s_delay_alu instid0(VALU_DEP_2) | instskip(NEXT) | instid1(VALU_DEP_2)
	v_fma_f64 v[6:7], s[8:9], v[0:1], -v[13:14]
	v_fma_f64 v[2:3], s[10:11], v[0:1], v[2:3]
	s_delay_alu instid0(VALU_DEP_2) | instskip(NEXT) | instid1(VALU_DEP_2)
	v_add_f64 v[0:1], v[11:12], v[6:7]
	v_add_f64 v[2:3], v[4:5], v[2:3]
	global_store_b128 v[9:10], v[0:3], off
.LBB740_5:
	s_nop 0
	s_sendmsg sendmsg(MSG_DEALLOC_VGPRS)
	s_endpgm
	.section	.rodata,"a",@progbits
	.p2align	6, 0x0
	.amdhsa_kernel _ZL41rocblas_syrkx_herkx_small_restrict_kernelIi19rocblas_complex_numIdELi16ELb0ELb0ELc84ELc85EKPKS1_KPS1_EviT_T0_PT6_S7_lSA_S7_lS8_PT7_S7_li
		.amdhsa_group_segment_fixed_size 8192
		.amdhsa_private_segment_fixed_size 0
		.amdhsa_kernarg_size 116
		.amdhsa_user_sgpr_count 13
		.amdhsa_user_sgpr_dispatch_ptr 0
		.amdhsa_user_sgpr_queue_ptr 0
		.amdhsa_user_sgpr_kernarg_segment_ptr 1
		.amdhsa_user_sgpr_dispatch_id 0
		.amdhsa_user_sgpr_private_segment_size 0
		.amdhsa_wavefront_size32 1
		.amdhsa_uses_dynamic_stack 0
		.amdhsa_enable_private_segment 0
		.amdhsa_system_sgpr_workgroup_id_x 1
		.amdhsa_system_sgpr_workgroup_id_y 1
		.amdhsa_system_sgpr_workgroup_id_z 1
		.amdhsa_system_sgpr_workgroup_info 0
		.amdhsa_system_vgpr_workitem_id 1
		.amdhsa_next_free_vgpr 46
		.amdhsa_next_free_sgpr 22
		.amdhsa_reserve_vcc 1
		.amdhsa_float_round_mode_32 0
		.amdhsa_float_round_mode_16_64 0
		.amdhsa_float_denorm_mode_32 3
		.amdhsa_float_denorm_mode_16_64 3
		.amdhsa_dx10_clamp 1
		.amdhsa_ieee_mode 1
		.amdhsa_fp16_overflow 0
		.amdhsa_workgroup_processor_mode 1
		.amdhsa_memory_ordered 1
		.amdhsa_forward_progress 0
		.amdhsa_shared_vgpr_count 0
		.amdhsa_exception_fp_ieee_invalid_op 0
		.amdhsa_exception_fp_denorm_src 0
		.amdhsa_exception_fp_ieee_div_zero 0
		.amdhsa_exception_fp_ieee_overflow 0
		.amdhsa_exception_fp_ieee_underflow 0
		.amdhsa_exception_fp_ieee_inexact 0
		.amdhsa_exception_int_div_zero 0
	.end_amdhsa_kernel
	.section	.text._ZL41rocblas_syrkx_herkx_small_restrict_kernelIi19rocblas_complex_numIdELi16ELb0ELb0ELc84ELc85EKPKS1_KPS1_EviT_T0_PT6_S7_lSA_S7_lS8_PT7_S7_li,"axG",@progbits,_ZL41rocblas_syrkx_herkx_small_restrict_kernelIi19rocblas_complex_numIdELi16ELb0ELb0ELc84ELc85EKPKS1_KPS1_EviT_T0_PT6_S7_lSA_S7_lS8_PT7_S7_li,comdat
.Lfunc_end740:
	.size	_ZL41rocblas_syrkx_herkx_small_restrict_kernelIi19rocblas_complex_numIdELi16ELb0ELb0ELc84ELc85EKPKS1_KPS1_EviT_T0_PT6_S7_lSA_S7_lS8_PT7_S7_li, .Lfunc_end740-_ZL41rocblas_syrkx_herkx_small_restrict_kernelIi19rocblas_complex_numIdELi16ELb0ELb0ELc84ELc85EKPKS1_KPS1_EviT_T0_PT6_S7_lSA_S7_lS8_PT7_S7_li
                                        ; -- End function
	.section	.AMDGPU.csdata,"",@progbits
; Kernel info:
; codeLenInByte = 1780
; NumSgprs: 24
; NumVgprs: 46
; ScratchSize: 0
; MemoryBound: 0
; FloatMode: 240
; IeeeMode: 1
; LDSByteSize: 8192 bytes/workgroup (compile time only)
; SGPRBlocks: 2
; VGPRBlocks: 5
; NumSGPRsForWavesPerEU: 24
; NumVGPRsForWavesPerEU: 46
; Occupancy: 16
; WaveLimiterHint : 1
; COMPUTE_PGM_RSRC2:SCRATCH_EN: 0
; COMPUTE_PGM_RSRC2:USER_SGPR: 13
; COMPUTE_PGM_RSRC2:TRAP_HANDLER: 0
; COMPUTE_PGM_RSRC2:TGID_X_EN: 1
; COMPUTE_PGM_RSRC2:TGID_Y_EN: 1
; COMPUTE_PGM_RSRC2:TGID_Z_EN: 1
; COMPUTE_PGM_RSRC2:TIDIG_COMP_CNT: 1
	.section	.text._ZL41rocblas_syrkx_herkx_small_restrict_kernelIi19rocblas_complex_numIdELi16ELb0ELb0ELc67ELc85EKPKS1_KPS1_EviT_T0_PT6_S7_lSA_S7_lS8_PT7_S7_li,"axG",@progbits,_ZL41rocblas_syrkx_herkx_small_restrict_kernelIi19rocblas_complex_numIdELi16ELb0ELb0ELc67ELc85EKPKS1_KPS1_EviT_T0_PT6_S7_lSA_S7_lS8_PT7_S7_li,comdat
	.globl	_ZL41rocblas_syrkx_herkx_small_restrict_kernelIi19rocblas_complex_numIdELi16ELb0ELb0ELc67ELc85EKPKS1_KPS1_EviT_T0_PT6_S7_lSA_S7_lS8_PT7_S7_li ; -- Begin function _ZL41rocblas_syrkx_herkx_small_restrict_kernelIi19rocblas_complex_numIdELi16ELb0ELb0ELc67ELc85EKPKS1_KPS1_EviT_T0_PT6_S7_lSA_S7_lS8_PT7_S7_li
	.p2align	8
	.type	_ZL41rocblas_syrkx_herkx_small_restrict_kernelIi19rocblas_complex_numIdELi16ELb0ELb0ELc67ELc85EKPKS1_KPS1_EviT_T0_PT6_S7_lSA_S7_lS8_PT7_S7_li,@function
_ZL41rocblas_syrkx_herkx_small_restrict_kernelIi19rocblas_complex_numIdELi16ELb0ELb0ELc67ELc85EKPKS1_KPS1_EviT_T0_PT6_S7_lSA_S7_lS8_PT7_S7_li: ; @_ZL41rocblas_syrkx_herkx_small_restrict_kernelIi19rocblas_complex_numIdELi16ELb0ELb0ELc67ELc85EKPKS1_KPS1_EviT_T0_PT6_S7_lSA_S7_lS8_PT7_S7_li
; %bb.0:
	s_load_b64 s[2:3], s[0:1], 0x58
	s_mov_b32 s16, s15
	s_mov_b32 s17, 0
	s_clause 0x1
	s_load_b32 s12, s[0:1], 0x4
	s_load_b128 s[4:7], s[0:1], 0x8
	s_lshl_b64 s[18:19], s[16:17], 3
	v_dual_mov_b32 v5, 0 :: v_dual_and_b32 v2, 0x3ff, v0
	v_bfe_u32 v1, v0, 10, 10
	v_mov_b32_e32 v6, 0
	s_delay_alu instid0(VALU_DEP_3) | instskip(NEXT) | instid1(VALU_DEP_3)
	v_lshl_add_u32 v0, s13, 4, v2
	v_lshl_add_u32 v9, s14, 4, v1
	s_delay_alu instid0(VALU_DEP_3)
	v_dual_mov_b32 v8, v6 :: v_dual_mov_b32 v7, v5
	s_waitcnt lgkmcnt(0)
	s_add_u32 s2, s2, s18
	s_addc_u32 s3, s3, s19
	s_clause 0x1
	s_load_b64 s[20:21], s[0:1], 0x18
	s_load_b128 s[8:11], s[0:1], 0x48
	s_load_b64 s[2:3], s[2:3], 0x0
	s_cmp_lt_i32 s12, 1
	s_cbranch_scc1 .LBB741_3
; %bb.1:
	s_clause 0x2
	s_load_b64 s[14:15], s[0:1], 0x30
	s_load_b32 s13, s[0:1], 0x20
	s_load_b32 s16, s[0:1], 0x38
	v_dual_mov_b32 v5, 0 :: v_dual_lshlrev_b32 v12, 8, v1
	v_lshlrev_b32_e32 v14, 4, v1
	v_mov_b32_e32 v6, 0
	v_lshlrev_b32_e32 v10, 4, v2
	s_delay_alu instid0(VALU_DEP_4)
	v_add_nc_u32_e32 v11, 0x1000, v12
	s_waitcnt lgkmcnt(0)
	s_add_u32 s14, s14, s18
	s_addc_u32 s15, s15, s19
	s_add_u32 s18, s20, s18
	s_addc_u32 s19, s21, s19
	v_mad_i64_i32 v[3:4], null, s13, v0, 0
	s_load_b64 s[18:19], s[18:19], 0x0
	v_mad_i64_i32 v[7:8], null, s16, v9, 0
	s_load_b64 s[14:15], s[14:15], 0x0
	s_delay_alu instid0(VALU_DEP_2) | instskip(NEXT) | instid1(VALU_DEP_2)
	v_lshlrev_b64 v[1:2], 4, v[3:4]
	v_lshlrev_b64 v[3:4], 4, v[7:8]
	s_delay_alu instid0(VALU_DEP_2) | instskip(NEXT) | instid1(VALU_DEP_3)
	v_add_co_u32 v1, vcc_lo, v1, v14
	v_add_co_ci_u32_e32 v2, vcc_lo, 0, v2, vcc_lo
	s_delay_alu instid0(VALU_DEP_3) | instskip(NEXT) | instid1(VALU_DEP_4)
	v_add_co_u32 v3, vcc_lo, v3, v10
	v_add_co_ci_u32_e32 v4, vcc_lo, 0, v4, vcc_lo
	s_waitcnt lgkmcnt(0)
	v_add_co_u32 v7, vcc_lo, v1, s18
	v_add_co_ci_u32_e32 v8, vcc_lo, s19, v2, vcc_lo
	v_add_co_u32 v1, vcc_lo, s14, v3
	v_add_co_ci_u32_e32 v2, vcc_lo, s15, v4, vcc_lo
	s_delay_alu instid0(VALU_DEP_4) | instskip(NEXT) | instid1(VALU_DEP_4)
	v_add_co_u32 v3, vcc_lo, v7, 8
	v_add_co_ci_u32_e32 v4, vcc_lo, 0, v8, vcc_lo
	v_dual_mov_b32 v8, v6 :: v_dual_mov_b32 v7, v5
	v_add_nc_u32_e32 v12, v10, v12
	v_add_nc_u32_e32 v13, v11, v10
.LBB741_2:                              ; =>This Inner Loop Header: Depth=1
	global_load_b128 v[14:17], v[3:4], off offset:-8
	global_load_b128 v[18:21], v[1:2], off
	v_add_co_u32 v1, vcc_lo, 0x100, v1
	v_add_co_ci_u32_e32 v2, vcc_lo, 0, v2, vcc_lo
	v_add_co_u32 v3, vcc_lo, 0x100, v3
	v_add_co_ci_u32_e32 v4, vcc_lo, 0, v4, vcc_lo
	s_add_i32 s17, s17, 16
	s_waitcnt vmcnt(1)
	ds_store_b128 v12, v[14:17]
	s_waitcnt vmcnt(0)
	ds_store_2addr_b64 v13, v[18:19], v[20:21] offset1:1
	s_waitcnt lgkmcnt(0)
	s_barrier
	buffer_gl0_inv
	ds_load_b128 v[14:17], v10
	ds_load_b128 v[18:21], v11
	ds_load_b128 v[22:25], v11 offset:16
	ds_load_b128 v[26:29], v10 offset:256
	s_cmp_lt_i32 s17, s12
	s_waitcnt lgkmcnt(2)
	v_mul_f64 v[30:31], v[20:21], v[16:17]
	v_mul_f64 v[16:17], v[18:19], v[16:17]
	s_waitcnt lgkmcnt(0)
	v_mul_f64 v[36:37], v[24:25], v[28:29]
	v_mul_f64 v[38:39], v[22:23], v[28:29]
	s_delay_alu instid0(VALU_DEP_4) | instskip(NEXT) | instid1(VALU_DEP_4)
	v_fma_f64 v[40:41], v[18:19], v[14:15], -v[30:31]
	v_fma_f64 v[42:43], v[20:21], v[14:15], v[16:17]
	ds_load_b128 v[14:17], v10 offset:512
	ds_load_b128 v[18:21], v11 offset:32
	;; [unrolled: 1-line block ×4, first 2 shown]
	v_fma_f64 v[22:23], v[22:23], v[26:27], -v[36:37]
	v_fma_f64 v[24:25], v[24:25], v[26:27], v[38:39]
	s_waitcnt lgkmcnt(2)
	v_mul_f64 v[44:45], v[20:21], v[16:17]
	v_mul_f64 v[16:17], v[18:19], v[16:17]
	s_waitcnt lgkmcnt(0)
	v_mul_f64 v[26:27], v[30:31], v[34:35]
	v_mul_f64 v[34:35], v[28:29], v[34:35]
	v_add_f64 v[7:8], v[7:8], v[40:41]
	v_add_f64 v[5:6], v[5:6], v[42:43]
	v_fma_f64 v[36:37], v[18:19], v[14:15], -v[44:45]
	v_fma_f64 v[38:39], v[20:21], v[14:15], v[16:17]
	v_fma_f64 v[26:27], v[28:29], v[32:33], -v[26:27]
	v_fma_f64 v[28:29], v[30:31], v[32:33], v[34:35]
	v_add_f64 v[40:41], v[7:8], v[22:23]
	v_add_f64 v[42:43], v[5:6], v[24:25]
	ds_load_b128 v[5:8], v10 offset:1024
	ds_load_b128 v[14:17], v11 offset:64
	;; [unrolled: 1-line block ×4, first 2 shown]
	s_waitcnt lgkmcnt(2)
	v_mul_f64 v[44:45], v[16:17], v[7:8]
	v_mul_f64 v[7:8], v[14:15], v[7:8]
	s_waitcnt lgkmcnt(0)
	v_mul_f64 v[34:35], v[20:21], v[24:25]
	v_add_f64 v[30:31], v[40:41], v[36:37]
	v_add_f64 v[32:33], v[42:43], v[38:39]
	v_mul_f64 v[36:37], v[18:19], v[24:25]
	v_fma_f64 v[38:39], v[14:15], v[5:6], -v[44:45]
	v_fma_f64 v[40:41], v[16:17], v[5:6], v[7:8]
	v_fma_f64 v[18:19], v[18:19], v[22:23], -v[34:35]
	v_add_f64 v[42:43], v[30:31], v[26:27]
	v_add_f64 v[32:33], v[32:33], v[28:29]
	ds_load_b128 v[5:8], v10 offset:1536
	ds_load_b128 v[14:17], v11 offset:96
	;; [unrolled: 1-line block ×4, first 2 shown]
	v_fma_f64 v[20:21], v[20:21], v[22:23], v[36:37]
	s_waitcnt lgkmcnt(2)
	v_mul_f64 v[44:45], v[16:17], v[7:8]
	v_mul_f64 v[7:8], v[14:15], v[7:8]
	s_waitcnt lgkmcnt(0)
	v_mul_f64 v[34:35], v[26:27], v[30:31]
	v_mul_f64 v[36:37], v[24:25], v[30:31]
	v_add_f64 v[22:23], v[42:43], v[38:39]
	v_add_f64 v[32:33], v[32:33], v[40:41]
	v_fma_f64 v[38:39], v[14:15], v[5:6], -v[44:45]
	v_fma_f64 v[40:41], v[16:17], v[5:6], v[7:8]
	v_fma_f64 v[24:25], v[24:25], v[28:29], -v[34:35]
	v_fma_f64 v[26:27], v[26:27], v[28:29], v[36:37]
	v_add_f64 v[22:23], v[22:23], v[18:19]
	v_add_f64 v[42:43], v[32:33], v[20:21]
	ds_load_b128 v[5:8], v10 offset:2048
	ds_load_b128 v[14:17], v11 offset:128
	;; [unrolled: 1-line block ×4, first 2 shown]
	s_waitcnt lgkmcnt(2)
	v_mul_f64 v[44:45], v[16:17], v[7:8]
	v_mul_f64 v[7:8], v[14:15], v[7:8]
	s_waitcnt lgkmcnt(0)
	v_mul_f64 v[34:35], v[20:21], v[32:33]
	v_mul_f64 v[32:33], v[18:19], v[32:33]
	v_add_f64 v[22:23], v[22:23], v[38:39]
	v_add_f64 v[28:29], v[42:43], v[40:41]
	v_fma_f64 v[36:37], v[14:15], v[5:6], -v[44:45]
	v_fma_f64 v[38:39], v[16:17], v[5:6], v[7:8]
	v_fma_f64 v[18:19], v[18:19], v[30:31], -v[34:35]
	v_fma_f64 v[20:21], v[20:21], v[30:31], v[32:33]
	v_add_f64 v[40:41], v[22:23], v[24:25]
	v_add_f64 v[42:43], v[28:29], v[26:27]
	ds_load_b128 v[5:8], v10 offset:2560
	ds_load_b128 v[14:17], v11 offset:160
	ds_load_b128 v[22:25], v11 offset:176
	ds_load_b128 v[26:29], v10 offset:2816
	s_waitcnt lgkmcnt(2)
	v_mul_f64 v[44:45], v[16:17], v[7:8]
	v_mul_f64 v[7:8], v[14:15], v[7:8]
	s_waitcnt lgkmcnt(0)
	v_mul_f64 v[34:35], v[24:25], v[28:29]
	v_add_f64 v[30:31], v[40:41], v[36:37]
	v_add_f64 v[32:33], v[42:43], v[38:39]
	v_mul_f64 v[36:37], v[22:23], v[28:29]
	v_fma_f64 v[38:39], v[14:15], v[5:6], -v[44:45]
	v_fma_f64 v[40:41], v[16:17], v[5:6], v[7:8]
	v_fma_f64 v[22:23], v[22:23], v[26:27], -v[34:35]
	v_add_f64 v[42:43], v[30:31], v[18:19]
	v_add_f64 v[32:33], v[32:33], v[20:21]
	ds_load_b128 v[5:8], v10 offset:3072
	ds_load_b128 v[14:17], v11 offset:192
	;; [unrolled: 1-line block ×4, first 2 shown]
	v_fma_f64 v[24:25], v[24:25], v[26:27], v[36:37]
	s_waitcnt lgkmcnt(2)
	v_mul_f64 v[44:45], v[16:17], v[7:8]
	v_mul_f64 v[7:8], v[14:15], v[7:8]
	s_waitcnt lgkmcnt(0)
	v_mul_f64 v[34:35], v[20:21], v[30:31]
	v_mul_f64 v[36:37], v[18:19], v[30:31]
	v_add_f64 v[26:27], v[42:43], v[38:39]
	v_add_f64 v[32:33], v[32:33], v[40:41]
	v_fma_f64 v[38:39], v[14:15], v[5:6], -v[44:45]
	v_fma_f64 v[40:41], v[16:17], v[5:6], v[7:8]
	v_fma_f64 v[18:19], v[18:19], v[28:29], -v[34:35]
	v_fma_f64 v[20:21], v[20:21], v[28:29], v[36:37]
	v_add_f64 v[26:27], v[26:27], v[22:23]
	v_add_f64 v[42:43], v[32:33], v[24:25]
	ds_load_b128 v[5:8], v10 offset:3584
	ds_load_b128 v[14:17], v11 offset:224
	;; [unrolled: 1-line block ×4, first 2 shown]
	s_waitcnt lgkmcnt(0)
	s_barrier
	buffer_gl0_inv
	v_mul_f64 v[44:45], v[16:17], v[7:8]
	v_mul_f64 v[7:8], v[14:15], v[7:8]
	;; [unrolled: 1-line block ×4, first 2 shown]
	v_add_f64 v[26:27], v[26:27], v[38:39]
	v_add_f64 v[28:29], v[42:43], v[40:41]
	v_fma_f64 v[14:15], v[14:15], v[5:6], -v[44:45]
	v_fma_f64 v[5:6], v[16:17], v[5:6], v[7:8]
	s_delay_alu instid0(VALU_DEP_4) | instskip(NEXT) | instid1(VALU_DEP_4)
	v_add_f64 v[7:8], v[26:27], v[18:19]
	v_add_f64 v[16:17], v[28:29], v[20:21]
	v_fma_f64 v[18:19], v[22:23], v[30:31], -v[34:35]
	v_fma_f64 v[20:21], v[24:25], v[30:31], v[32:33]
	s_delay_alu instid0(VALU_DEP_4) | instskip(NEXT) | instid1(VALU_DEP_4)
	v_add_f64 v[7:8], v[7:8], v[14:15]
	v_add_f64 v[5:6], v[16:17], v[5:6]
	s_delay_alu instid0(VALU_DEP_2) | instskip(NEXT) | instid1(VALU_DEP_2)
	v_add_f64 v[7:8], v[7:8], v[18:19]
	v_add_f64 v[5:6], v[5:6], v[20:21]
	s_cbranch_scc1 .LBB741_2
.LBB741_3:
	s_mov_b32 s12, exec_lo
	v_cmpx_le_i32_e64 v0, v9
	s_cbranch_execz .LBB741_5
; %bb.4:
	s_load_b32 s0, s[0:1], 0x60
	v_ashrrev_i32_e32 v1, 31, v0
	s_delay_alu instid0(VALU_DEP_3) | instskip(SKIP_1) | instid1(VALU_DEP_3)
	v_mul_f64 v[11:12], s[6:7], v[5:6]
	v_mul_f64 v[4:5], s[4:5], v[5:6]
	v_lshlrev_b64 v[0:1], 4, v[0:1]
	s_waitcnt lgkmcnt(0)
	v_mad_i64_i32 v[2:3], null, s0, v9, 0
	s_delay_alu instid0(VALU_DEP_1) | instskip(NEXT) | instid1(VALU_DEP_1)
	v_lshlrev_b64 v[2:3], 4, v[2:3]
	v_add_co_u32 v2, vcc_lo, s2, v2
	s_delay_alu instid0(VALU_DEP_2) | instskip(NEXT) | instid1(VALU_DEP_2)
	v_add_co_ci_u32_e32 v3, vcc_lo, s3, v3, vcc_lo
	v_add_co_u32 v9, vcc_lo, v2, v0
	s_delay_alu instid0(VALU_DEP_2)
	v_add_co_ci_u32_e32 v10, vcc_lo, v3, v1, vcc_lo
	v_fma_f64 v[11:12], s[4:5], v[7:8], -v[11:12]
	v_fma_f64 v[4:5], s[6:7], v[7:8], v[4:5]
	global_load_b128 v[0:3], v[9:10], off
	s_waitcnt vmcnt(0)
	v_mul_f64 v[13:14], s[10:11], v[2:3]
	v_mul_f64 v[2:3], s[8:9], v[2:3]
	s_delay_alu instid0(VALU_DEP_2) | instskip(NEXT) | instid1(VALU_DEP_2)
	v_fma_f64 v[6:7], s[8:9], v[0:1], -v[13:14]
	v_fma_f64 v[2:3], s[10:11], v[0:1], v[2:3]
	s_delay_alu instid0(VALU_DEP_2) | instskip(NEXT) | instid1(VALU_DEP_2)
	v_add_f64 v[0:1], v[11:12], v[6:7]
	v_add_f64 v[2:3], v[4:5], v[2:3]
	global_store_b128 v[9:10], v[0:3], off
.LBB741_5:
	s_nop 0
	s_sendmsg sendmsg(MSG_DEALLOC_VGPRS)
	s_endpgm
	.section	.rodata,"a",@progbits
	.p2align	6, 0x0
	.amdhsa_kernel _ZL41rocblas_syrkx_herkx_small_restrict_kernelIi19rocblas_complex_numIdELi16ELb0ELb0ELc67ELc85EKPKS1_KPS1_EviT_T0_PT6_S7_lSA_S7_lS8_PT7_S7_li
		.amdhsa_group_segment_fixed_size 8192
		.amdhsa_private_segment_fixed_size 0
		.amdhsa_kernarg_size 116
		.amdhsa_user_sgpr_count 13
		.amdhsa_user_sgpr_dispatch_ptr 0
		.amdhsa_user_sgpr_queue_ptr 0
		.amdhsa_user_sgpr_kernarg_segment_ptr 1
		.amdhsa_user_sgpr_dispatch_id 0
		.amdhsa_user_sgpr_private_segment_size 0
		.amdhsa_wavefront_size32 1
		.amdhsa_uses_dynamic_stack 0
		.amdhsa_enable_private_segment 0
		.amdhsa_system_sgpr_workgroup_id_x 1
		.amdhsa_system_sgpr_workgroup_id_y 1
		.amdhsa_system_sgpr_workgroup_id_z 1
		.amdhsa_system_sgpr_workgroup_info 0
		.amdhsa_system_vgpr_workitem_id 1
		.amdhsa_next_free_vgpr 46
		.amdhsa_next_free_sgpr 22
		.amdhsa_reserve_vcc 1
		.amdhsa_float_round_mode_32 0
		.amdhsa_float_round_mode_16_64 0
		.amdhsa_float_denorm_mode_32 3
		.amdhsa_float_denorm_mode_16_64 3
		.amdhsa_dx10_clamp 1
		.amdhsa_ieee_mode 1
		.amdhsa_fp16_overflow 0
		.amdhsa_workgroup_processor_mode 1
		.amdhsa_memory_ordered 1
		.amdhsa_forward_progress 0
		.amdhsa_shared_vgpr_count 0
		.amdhsa_exception_fp_ieee_invalid_op 0
		.amdhsa_exception_fp_denorm_src 0
		.amdhsa_exception_fp_ieee_div_zero 0
		.amdhsa_exception_fp_ieee_overflow 0
		.amdhsa_exception_fp_ieee_underflow 0
		.amdhsa_exception_fp_ieee_inexact 0
		.amdhsa_exception_int_div_zero 0
	.end_amdhsa_kernel
	.section	.text._ZL41rocblas_syrkx_herkx_small_restrict_kernelIi19rocblas_complex_numIdELi16ELb0ELb0ELc67ELc85EKPKS1_KPS1_EviT_T0_PT6_S7_lSA_S7_lS8_PT7_S7_li,"axG",@progbits,_ZL41rocblas_syrkx_herkx_small_restrict_kernelIi19rocblas_complex_numIdELi16ELb0ELb0ELc67ELc85EKPKS1_KPS1_EviT_T0_PT6_S7_lSA_S7_lS8_PT7_S7_li,comdat
.Lfunc_end741:
	.size	_ZL41rocblas_syrkx_herkx_small_restrict_kernelIi19rocblas_complex_numIdELi16ELb0ELb0ELc67ELc85EKPKS1_KPS1_EviT_T0_PT6_S7_lSA_S7_lS8_PT7_S7_li, .Lfunc_end741-_ZL41rocblas_syrkx_herkx_small_restrict_kernelIi19rocblas_complex_numIdELi16ELb0ELb0ELc67ELc85EKPKS1_KPS1_EviT_T0_PT6_S7_lSA_S7_lS8_PT7_S7_li
                                        ; -- End function
	.section	.AMDGPU.csdata,"",@progbits
; Kernel info:
; codeLenInByte = 1796
; NumSgprs: 24
; NumVgprs: 46
; ScratchSize: 0
; MemoryBound: 0
; FloatMode: 240
; IeeeMode: 1
; LDSByteSize: 8192 bytes/workgroup (compile time only)
; SGPRBlocks: 2
; VGPRBlocks: 5
; NumSGPRsForWavesPerEU: 24
; NumVGPRsForWavesPerEU: 46
; Occupancy: 16
; WaveLimiterHint : 1
; COMPUTE_PGM_RSRC2:SCRATCH_EN: 0
; COMPUTE_PGM_RSRC2:USER_SGPR: 13
; COMPUTE_PGM_RSRC2:TRAP_HANDLER: 0
; COMPUTE_PGM_RSRC2:TGID_X_EN: 1
; COMPUTE_PGM_RSRC2:TGID_Y_EN: 1
; COMPUTE_PGM_RSRC2:TGID_Z_EN: 1
; COMPUTE_PGM_RSRC2:TIDIG_COMP_CNT: 1
	.section	.text._ZL41rocblas_syrkx_herkx_small_restrict_kernelIi19rocblas_complex_numIdELi16ELb0ELb0ELc78ELc85EKPKS1_KPS1_EviT_T0_PT6_S7_lSA_S7_lS8_PT7_S7_li,"axG",@progbits,_ZL41rocblas_syrkx_herkx_small_restrict_kernelIi19rocblas_complex_numIdELi16ELb0ELb0ELc78ELc85EKPKS1_KPS1_EviT_T0_PT6_S7_lSA_S7_lS8_PT7_S7_li,comdat
	.globl	_ZL41rocblas_syrkx_herkx_small_restrict_kernelIi19rocblas_complex_numIdELi16ELb0ELb0ELc78ELc85EKPKS1_KPS1_EviT_T0_PT6_S7_lSA_S7_lS8_PT7_S7_li ; -- Begin function _ZL41rocblas_syrkx_herkx_small_restrict_kernelIi19rocblas_complex_numIdELi16ELb0ELb0ELc78ELc85EKPKS1_KPS1_EviT_T0_PT6_S7_lSA_S7_lS8_PT7_S7_li
	.p2align	8
	.type	_ZL41rocblas_syrkx_herkx_small_restrict_kernelIi19rocblas_complex_numIdELi16ELb0ELb0ELc78ELc85EKPKS1_KPS1_EviT_T0_PT6_S7_lSA_S7_lS8_PT7_S7_li,@function
_ZL41rocblas_syrkx_herkx_small_restrict_kernelIi19rocblas_complex_numIdELi16ELb0ELb0ELc78ELc85EKPKS1_KPS1_EviT_T0_PT6_S7_lSA_S7_lS8_PT7_S7_li: ; @_ZL41rocblas_syrkx_herkx_small_restrict_kernelIi19rocblas_complex_numIdELi16ELb0ELb0ELc78ELc85EKPKS1_KPS1_EviT_T0_PT6_S7_lSA_S7_lS8_PT7_S7_li
; %bb.0:
	s_load_b64 s[2:3], s[0:1], 0x58
	s_mov_b32 s16, s15
	s_mov_b32 s17, 0
	v_and_b32_e32 v5, 0x3ff, v0
	s_lshl_b64 s[18:19], s[16:17], 3
	s_clause 0x1
	s_load_b32 s16, s[0:1], 0x4
	s_load_b128 s[4:7], s[0:1], 0x8
	v_mov_b32_e32 v7, 0
	v_mov_b32_e32 v8, 0
	v_bfe_u32 v4, v0, 10, 10
	v_lshl_add_u32 v0, s13, 4, v5
	s_delay_alu instid0(VALU_DEP_3) | instskip(NEXT) | instid1(VALU_DEP_3)
	v_dual_mov_b32 v10, v8 :: v_dual_mov_b32 v9, v7
	v_lshl_add_u32 v2, s14, 4, v4
	s_delay_alu instid0(VALU_DEP_3)
	v_ashrrev_i32_e32 v1, 31, v0
	s_waitcnt lgkmcnt(0)
	s_add_u32 s2, s2, s18
	s_addc_u32 s3, s3, s19
	s_clause 0x1
	s_load_b64 s[20:21], s[0:1], 0x18
	s_load_b128 s[8:11], s[0:1], 0x48
	s_load_b64 s[2:3], s[2:3], 0x0
	s_cmp_lt_i32 s16, 1
	s_cbranch_scc1 .LBB742_3
; %bb.1:
	s_clause 0x2
	s_load_b32 s14, s[0:1], 0x20
	s_load_b32 s12, s[0:1], 0x38
	s_load_b64 s[22:23], s[0:1], 0x30
	v_ashrrev_i32_e32 v3, 31, v2
	v_lshlrev_b32_e32 v13, 8, v4
	v_lshlrev_b32_e32 v11, 4, v5
	v_lshlrev_b64 v[9:10], 4, v[0:1]
	s_waitcnt lgkmcnt(0)
	s_ashr_i32 s15, s14, 31
	s_ashr_i32 s13, s12, 31
	s_add_u32 s22, s22, s18
	s_addc_u32 s23, s23, s19
	v_mad_i64_i32 v[6:7], null, s12, v5, 0
	s_load_b64 s[22:23], s[22:23], 0x0
	s_add_u32 s18, s20, s18
	s_addc_u32 s19, s21, s19
	v_mad_i64_i32 v[15:16], null, s14, v4, 0
	s_load_b64 s[18:19], s[18:19], 0x0
	v_lshlrev_b64 v[3:4], 4, v[2:3]
	s_delay_alu instid0(VALU_DEP_3)
	v_lshlrev_b64 v[5:6], 4, v[6:7]
	v_mov_b32_e32 v7, 0
	v_mov_b32_e32 v8, 0
	v_add_nc_u32_e32 v12, 0x1000, v13
	v_lshlrev_b64 v[15:16], 4, v[15:16]
	s_lshl_b64 s[12:13], s[12:13], 8
	v_add_co_u32 v3, vcc_lo, v5, v3
	v_add_co_ci_u32_e32 v4, vcc_lo, v6, v4, vcc_lo
	s_delay_alu instid0(VALU_DEP_3) | instskip(NEXT) | instid1(VALU_DEP_4)
	v_add_co_u32 v5, vcc_lo, v15, v9
	v_add_co_ci_u32_e32 v6, vcc_lo, v16, v10, vcc_lo
	s_waitcnt lgkmcnt(0)
	v_add_co_u32 v9, vcc_lo, v3, s22
	v_add_co_ci_u32_e32 v10, vcc_lo, s23, v4, vcc_lo
	v_add_co_u32 v3, vcc_lo, s18, v5
	v_add_co_ci_u32_e32 v4, vcc_lo, s19, v6, vcc_lo
	s_delay_alu instid0(VALU_DEP_4) | instskip(NEXT) | instid1(VALU_DEP_4)
	v_add_co_u32 v5, vcc_lo, v9, 8
	v_add_co_ci_u32_e32 v6, vcc_lo, 0, v10, vcc_lo
	v_dual_mov_b32 v10, v8 :: v_dual_mov_b32 v9, v7
	v_add_nc_u32_e32 v13, v11, v13
	v_add_nc_u32_e32 v14, v12, v11
	s_lshl_b64 s[14:15], s[14:15], 8
.LBB742_2:                              ; =>This Inner Loop Header: Depth=1
	global_load_b128 v[15:18], v[3:4], off
	global_load_b128 v[19:22], v[5:6], off offset:-8
	v_add_co_u32 v5, vcc_lo, v5, s12
	v_add_co_ci_u32_e32 v6, vcc_lo, s13, v6, vcc_lo
	v_add_co_u32 v3, vcc_lo, v3, s14
	v_add_co_ci_u32_e32 v4, vcc_lo, s15, v4, vcc_lo
	s_add_i32 s17, s17, 16
	s_waitcnt vmcnt(1)
	ds_store_2addr_b64 v13, v[15:16], v[17:18] offset1:1
	s_waitcnt vmcnt(0)
	ds_store_b128 v14, v[19:22]
	s_waitcnt lgkmcnt(0)
	s_barrier
	buffer_gl0_inv
	ds_load_b128 v[15:18], v11
	ds_load_b128 v[19:22], v12
	ds_load_b128 v[23:26], v12 offset:16
	ds_load_b128 v[27:30], v11 offset:256
	s_cmp_lt_i32 s17, s16
	s_waitcnt lgkmcnt(2)
	v_mul_f64 v[31:32], v[21:22], v[17:18]
	v_mul_f64 v[17:18], v[19:20], v[17:18]
	s_waitcnt lgkmcnt(0)
	v_mul_f64 v[37:38], v[25:26], v[29:30]
	v_mul_f64 v[39:40], v[23:24], v[29:30]
	s_delay_alu instid0(VALU_DEP_4) | instskip(NEXT) | instid1(VALU_DEP_4)
	v_fma_f64 v[41:42], v[19:20], v[15:16], -v[31:32]
	v_fma_f64 v[43:44], v[21:22], v[15:16], v[17:18]
	ds_load_b128 v[15:18], v11 offset:512
	ds_load_b128 v[19:22], v12 offset:32
	;; [unrolled: 1-line block ×4, first 2 shown]
	v_fma_f64 v[23:24], v[23:24], v[27:28], -v[37:38]
	v_fma_f64 v[25:26], v[25:26], v[27:28], v[39:40]
	s_waitcnt lgkmcnt(2)
	v_mul_f64 v[45:46], v[21:22], v[17:18]
	v_mul_f64 v[17:18], v[19:20], v[17:18]
	s_waitcnt lgkmcnt(0)
	v_mul_f64 v[27:28], v[31:32], v[35:36]
	v_mul_f64 v[35:36], v[29:30], v[35:36]
	v_add_f64 v[9:10], v[9:10], v[41:42]
	v_add_f64 v[7:8], v[7:8], v[43:44]
	v_fma_f64 v[37:38], v[19:20], v[15:16], -v[45:46]
	v_fma_f64 v[39:40], v[21:22], v[15:16], v[17:18]
	v_fma_f64 v[27:28], v[29:30], v[33:34], -v[27:28]
	v_fma_f64 v[29:30], v[31:32], v[33:34], v[35:36]
	v_add_f64 v[41:42], v[9:10], v[23:24]
	v_add_f64 v[43:44], v[7:8], v[25:26]
	ds_load_b128 v[7:10], v11 offset:1024
	ds_load_b128 v[15:18], v12 offset:64
	ds_load_b128 v[19:22], v12 offset:80
	ds_load_b128 v[23:26], v11 offset:1280
	s_waitcnt lgkmcnt(2)
	v_mul_f64 v[45:46], v[17:18], v[9:10]
	v_mul_f64 v[9:10], v[15:16], v[9:10]
	s_waitcnt lgkmcnt(0)
	v_mul_f64 v[35:36], v[21:22], v[25:26]
	v_add_f64 v[31:32], v[41:42], v[37:38]
	v_add_f64 v[33:34], v[43:44], v[39:40]
	v_mul_f64 v[37:38], v[19:20], v[25:26]
	v_fma_f64 v[39:40], v[15:16], v[7:8], -v[45:46]
	v_fma_f64 v[41:42], v[17:18], v[7:8], v[9:10]
	v_fma_f64 v[19:20], v[19:20], v[23:24], -v[35:36]
	v_add_f64 v[43:44], v[31:32], v[27:28]
	v_add_f64 v[33:34], v[33:34], v[29:30]
	ds_load_b128 v[7:10], v11 offset:1536
	ds_load_b128 v[15:18], v12 offset:96
	ds_load_b128 v[25:28], v12 offset:112
	ds_load_b128 v[29:32], v11 offset:1792
	v_fma_f64 v[21:22], v[21:22], v[23:24], v[37:38]
	s_waitcnt lgkmcnt(2)
	v_mul_f64 v[45:46], v[17:18], v[9:10]
	v_mul_f64 v[9:10], v[15:16], v[9:10]
	s_waitcnt lgkmcnt(0)
	v_mul_f64 v[35:36], v[27:28], v[31:32]
	v_mul_f64 v[37:38], v[25:26], v[31:32]
	v_add_f64 v[23:24], v[43:44], v[39:40]
	v_add_f64 v[33:34], v[33:34], v[41:42]
	v_fma_f64 v[39:40], v[15:16], v[7:8], -v[45:46]
	v_fma_f64 v[41:42], v[17:18], v[7:8], v[9:10]
	v_fma_f64 v[25:26], v[25:26], v[29:30], -v[35:36]
	v_fma_f64 v[27:28], v[27:28], v[29:30], v[37:38]
	v_add_f64 v[23:24], v[23:24], v[19:20]
	v_add_f64 v[43:44], v[33:34], v[21:22]
	ds_load_b128 v[7:10], v11 offset:2048
	ds_load_b128 v[15:18], v12 offset:128
	;; [unrolled: 1-line block ×4, first 2 shown]
	s_waitcnt lgkmcnt(2)
	v_mul_f64 v[45:46], v[17:18], v[9:10]
	v_mul_f64 v[9:10], v[15:16], v[9:10]
	s_waitcnt lgkmcnt(0)
	v_mul_f64 v[35:36], v[21:22], v[33:34]
	v_mul_f64 v[33:34], v[19:20], v[33:34]
	v_add_f64 v[23:24], v[23:24], v[39:40]
	v_add_f64 v[29:30], v[43:44], v[41:42]
	v_fma_f64 v[37:38], v[15:16], v[7:8], -v[45:46]
	v_fma_f64 v[39:40], v[17:18], v[7:8], v[9:10]
	v_fma_f64 v[19:20], v[19:20], v[31:32], -v[35:36]
	v_fma_f64 v[21:22], v[21:22], v[31:32], v[33:34]
	v_add_f64 v[41:42], v[23:24], v[25:26]
	v_add_f64 v[43:44], v[29:30], v[27:28]
	ds_load_b128 v[7:10], v11 offset:2560
	ds_load_b128 v[15:18], v12 offset:160
	;; [unrolled: 1-line block ×4, first 2 shown]
	s_waitcnt lgkmcnt(2)
	v_mul_f64 v[45:46], v[17:18], v[9:10]
	v_mul_f64 v[9:10], v[15:16], v[9:10]
	s_waitcnt lgkmcnt(0)
	v_mul_f64 v[35:36], v[25:26], v[29:30]
	v_add_f64 v[31:32], v[41:42], v[37:38]
	v_add_f64 v[33:34], v[43:44], v[39:40]
	v_mul_f64 v[37:38], v[23:24], v[29:30]
	v_fma_f64 v[39:40], v[15:16], v[7:8], -v[45:46]
	v_fma_f64 v[41:42], v[17:18], v[7:8], v[9:10]
	v_fma_f64 v[23:24], v[23:24], v[27:28], -v[35:36]
	v_add_f64 v[43:44], v[31:32], v[19:20]
	v_add_f64 v[33:34], v[33:34], v[21:22]
	ds_load_b128 v[7:10], v11 offset:3072
	ds_load_b128 v[15:18], v12 offset:192
	;; [unrolled: 1-line block ×4, first 2 shown]
	v_fma_f64 v[25:26], v[25:26], v[27:28], v[37:38]
	s_waitcnt lgkmcnt(2)
	v_mul_f64 v[45:46], v[17:18], v[9:10]
	v_mul_f64 v[9:10], v[15:16], v[9:10]
	s_waitcnt lgkmcnt(0)
	v_mul_f64 v[35:36], v[21:22], v[31:32]
	v_mul_f64 v[37:38], v[19:20], v[31:32]
	v_add_f64 v[27:28], v[43:44], v[39:40]
	v_add_f64 v[33:34], v[33:34], v[41:42]
	v_fma_f64 v[39:40], v[15:16], v[7:8], -v[45:46]
	v_fma_f64 v[41:42], v[17:18], v[7:8], v[9:10]
	v_fma_f64 v[19:20], v[19:20], v[29:30], -v[35:36]
	v_fma_f64 v[21:22], v[21:22], v[29:30], v[37:38]
	v_add_f64 v[27:28], v[27:28], v[23:24]
	v_add_f64 v[43:44], v[33:34], v[25:26]
	ds_load_b128 v[7:10], v11 offset:3584
	ds_load_b128 v[15:18], v12 offset:224
	;; [unrolled: 1-line block ×4, first 2 shown]
	s_waitcnt lgkmcnt(0)
	s_barrier
	buffer_gl0_inv
	v_mul_f64 v[45:46], v[17:18], v[9:10]
	v_mul_f64 v[9:10], v[15:16], v[9:10]
	;; [unrolled: 1-line block ×4, first 2 shown]
	v_add_f64 v[27:28], v[27:28], v[39:40]
	v_add_f64 v[29:30], v[43:44], v[41:42]
	v_fma_f64 v[15:16], v[15:16], v[7:8], -v[45:46]
	v_fma_f64 v[7:8], v[17:18], v[7:8], v[9:10]
	s_delay_alu instid0(VALU_DEP_4) | instskip(NEXT) | instid1(VALU_DEP_4)
	v_add_f64 v[9:10], v[27:28], v[19:20]
	v_add_f64 v[17:18], v[29:30], v[21:22]
	v_fma_f64 v[19:20], v[23:24], v[31:32], -v[35:36]
	v_fma_f64 v[21:22], v[25:26], v[31:32], v[33:34]
	s_delay_alu instid0(VALU_DEP_4) | instskip(NEXT) | instid1(VALU_DEP_4)
	v_add_f64 v[9:10], v[9:10], v[15:16]
	v_add_f64 v[7:8], v[17:18], v[7:8]
	s_delay_alu instid0(VALU_DEP_2) | instskip(NEXT) | instid1(VALU_DEP_2)
	v_add_f64 v[9:10], v[9:10], v[19:20]
	v_add_f64 v[7:8], v[7:8], v[21:22]
	s_cbranch_scc1 .LBB742_2
.LBB742_3:
	s_mov_b32 s12, exec_lo
	v_cmpx_le_i32_e64 v0, v2
	s_cbranch_execz .LBB742_5
; %bb.4:
	s_load_b32 s0, s[0:1], 0x60
	v_lshlrev_b64 v[0:1], 4, v[0:1]
	s_delay_alu instid0(VALU_DEP_3) | instskip(SKIP_3) | instid1(VALU_DEP_1)
	v_mul_f64 v[11:12], s[6:7], v[7:8]
	v_mul_f64 v[6:7], s[4:5], v[7:8]
	s_waitcnt lgkmcnt(0)
	v_mad_i64_i32 v[3:4], null, s0, v2, 0
	v_lshlrev_b64 v[2:3], 4, v[3:4]
	s_delay_alu instid0(VALU_DEP_1) | instskip(NEXT) | instid1(VALU_DEP_2)
	v_add_co_u32 v2, vcc_lo, s2, v2
	v_add_co_ci_u32_e32 v3, vcc_lo, s3, v3, vcc_lo
	s_delay_alu instid0(VALU_DEP_2) | instskip(NEXT) | instid1(VALU_DEP_2)
	v_add_co_u32 v4, vcc_lo, v2, v0
	v_add_co_ci_u32_e32 v5, vcc_lo, v3, v1, vcc_lo
	v_fma_f64 v[11:12], s[4:5], v[9:10], -v[11:12]
	v_fma_f64 v[6:7], s[6:7], v[9:10], v[6:7]
	global_load_b128 v[0:3], v[4:5], off
	s_waitcnt vmcnt(0)
	v_mul_f64 v[13:14], s[10:11], v[2:3]
	v_mul_f64 v[2:3], s[8:9], v[2:3]
	s_delay_alu instid0(VALU_DEP_2) | instskip(NEXT) | instid1(VALU_DEP_2)
	v_fma_f64 v[8:9], s[8:9], v[0:1], -v[13:14]
	v_fma_f64 v[2:3], s[10:11], v[0:1], v[2:3]
	s_delay_alu instid0(VALU_DEP_2) | instskip(NEXT) | instid1(VALU_DEP_2)
	v_add_f64 v[0:1], v[11:12], v[8:9]
	v_add_f64 v[2:3], v[6:7], v[2:3]
	global_store_b128 v[4:5], v[0:3], off
.LBB742_5:
	s_nop 0
	s_sendmsg sendmsg(MSG_DEALLOC_VGPRS)
	s_endpgm
	.section	.rodata,"a",@progbits
	.p2align	6, 0x0
	.amdhsa_kernel _ZL41rocblas_syrkx_herkx_small_restrict_kernelIi19rocblas_complex_numIdELi16ELb0ELb0ELc78ELc85EKPKS1_KPS1_EviT_T0_PT6_S7_lSA_S7_lS8_PT7_S7_li
		.amdhsa_group_segment_fixed_size 8192
		.amdhsa_private_segment_fixed_size 0
		.amdhsa_kernarg_size 116
		.amdhsa_user_sgpr_count 13
		.amdhsa_user_sgpr_dispatch_ptr 0
		.amdhsa_user_sgpr_queue_ptr 0
		.amdhsa_user_sgpr_kernarg_segment_ptr 1
		.amdhsa_user_sgpr_dispatch_id 0
		.amdhsa_user_sgpr_private_segment_size 0
		.amdhsa_wavefront_size32 1
		.amdhsa_uses_dynamic_stack 0
		.amdhsa_enable_private_segment 0
		.amdhsa_system_sgpr_workgroup_id_x 1
		.amdhsa_system_sgpr_workgroup_id_y 1
		.amdhsa_system_sgpr_workgroup_id_z 1
		.amdhsa_system_sgpr_workgroup_info 0
		.amdhsa_system_vgpr_workitem_id 1
		.amdhsa_next_free_vgpr 47
		.amdhsa_next_free_sgpr 24
		.amdhsa_reserve_vcc 1
		.amdhsa_float_round_mode_32 0
		.amdhsa_float_round_mode_16_64 0
		.amdhsa_float_denorm_mode_32 3
		.amdhsa_float_denorm_mode_16_64 3
		.amdhsa_dx10_clamp 1
		.amdhsa_ieee_mode 1
		.amdhsa_fp16_overflow 0
		.amdhsa_workgroup_processor_mode 1
		.amdhsa_memory_ordered 1
		.amdhsa_forward_progress 0
		.amdhsa_shared_vgpr_count 0
		.amdhsa_exception_fp_ieee_invalid_op 0
		.amdhsa_exception_fp_denorm_src 0
		.amdhsa_exception_fp_ieee_div_zero 0
		.amdhsa_exception_fp_ieee_overflow 0
		.amdhsa_exception_fp_ieee_underflow 0
		.amdhsa_exception_fp_ieee_inexact 0
		.amdhsa_exception_int_div_zero 0
	.end_amdhsa_kernel
	.section	.text._ZL41rocblas_syrkx_herkx_small_restrict_kernelIi19rocblas_complex_numIdELi16ELb0ELb0ELc78ELc85EKPKS1_KPS1_EviT_T0_PT6_S7_lSA_S7_lS8_PT7_S7_li,"axG",@progbits,_ZL41rocblas_syrkx_herkx_small_restrict_kernelIi19rocblas_complex_numIdELi16ELb0ELb0ELc78ELc85EKPKS1_KPS1_EviT_T0_PT6_S7_lSA_S7_lS8_PT7_S7_li,comdat
.Lfunc_end742:
	.size	_ZL41rocblas_syrkx_herkx_small_restrict_kernelIi19rocblas_complex_numIdELi16ELb0ELb0ELc78ELc85EKPKS1_KPS1_EviT_T0_PT6_S7_lSA_S7_lS8_PT7_S7_li, .Lfunc_end742-_ZL41rocblas_syrkx_herkx_small_restrict_kernelIi19rocblas_complex_numIdELi16ELb0ELb0ELc78ELc85EKPKS1_KPS1_EviT_T0_PT6_S7_lSA_S7_lS8_PT7_S7_li
                                        ; -- End function
	.section	.AMDGPU.csdata,"",@progbits
; Kernel info:
; codeLenInByte = 1808
; NumSgprs: 26
; NumVgprs: 47
; ScratchSize: 0
; MemoryBound: 0
; FloatMode: 240
; IeeeMode: 1
; LDSByteSize: 8192 bytes/workgroup (compile time only)
; SGPRBlocks: 3
; VGPRBlocks: 5
; NumSGPRsForWavesPerEU: 26
; NumVGPRsForWavesPerEU: 47
; Occupancy: 16
; WaveLimiterHint : 1
; COMPUTE_PGM_RSRC2:SCRATCH_EN: 0
; COMPUTE_PGM_RSRC2:USER_SGPR: 13
; COMPUTE_PGM_RSRC2:TRAP_HANDLER: 0
; COMPUTE_PGM_RSRC2:TGID_X_EN: 1
; COMPUTE_PGM_RSRC2:TGID_Y_EN: 1
; COMPUTE_PGM_RSRC2:TGID_Z_EN: 1
; COMPUTE_PGM_RSRC2:TIDIG_COMP_CNT: 1
	.section	.text._ZL32rocblas_syrkx_herkx_small_kernelIi19rocblas_complex_numIdELi16ELb1ELb0ELc84ELc76EKPKS1_KPS1_EviT_T0_PT6_S7_lSA_S7_lS8_PT7_S7_li,"axG",@progbits,_ZL32rocblas_syrkx_herkx_small_kernelIi19rocblas_complex_numIdELi16ELb1ELb0ELc84ELc76EKPKS1_KPS1_EviT_T0_PT6_S7_lSA_S7_lS8_PT7_S7_li,comdat
	.globl	_ZL32rocblas_syrkx_herkx_small_kernelIi19rocblas_complex_numIdELi16ELb1ELb0ELc84ELc76EKPKS1_KPS1_EviT_T0_PT6_S7_lSA_S7_lS8_PT7_S7_li ; -- Begin function _ZL32rocblas_syrkx_herkx_small_kernelIi19rocblas_complex_numIdELi16ELb1ELb0ELc84ELc76EKPKS1_KPS1_EviT_T0_PT6_S7_lSA_S7_lS8_PT7_S7_li
	.p2align	8
	.type	_ZL32rocblas_syrkx_herkx_small_kernelIi19rocblas_complex_numIdELi16ELb1ELb0ELc84ELc76EKPKS1_KPS1_EviT_T0_PT6_S7_lSA_S7_lS8_PT7_S7_li,@function
_ZL32rocblas_syrkx_herkx_small_kernelIi19rocblas_complex_numIdELi16ELb1ELb0ELc84ELc76EKPKS1_KPS1_EviT_T0_PT6_S7_lSA_S7_lS8_PT7_S7_li: ; @_ZL32rocblas_syrkx_herkx_small_kernelIi19rocblas_complex_numIdELi16ELb1ELb0ELc84ELc76EKPKS1_KPS1_EviT_T0_PT6_S7_lSA_S7_lS8_PT7_S7_li
; %bb.0:
	s_clause 0x1
	s_load_b64 s[2:3], s[0:1], 0x58
	s_load_b64 s[20:21], s[0:1], 0x18
	s_mov_b32 s10, s15
	s_mov_b32 s11, 0
	s_load_b64 s[16:17], s[0:1], 0x0
	s_lshl_b64 s[18:19], s[10:11], 3
	v_dual_mov_b32 v9, 0 :: v_dual_and_b32 v14, 0x3ff, v0
	v_bfe_u32 v15, v0, 10, 10
	v_mov_b32_e32 v10, 0
	s_delay_alu instid0(VALU_DEP_3) | instskip(NEXT) | instid1(VALU_DEP_3)
	v_lshl_add_u32 v4, s13, 4, v14
	v_lshl_add_u32 v13, s14, 4, v15
	s_delay_alu instid0(VALU_DEP_3)
	v_dual_mov_b32 v12, v10 :: v_dual_mov_b32 v11, v9
	s_waitcnt lgkmcnt(0)
	s_add_u32 s2, s2, s18
	s_addc_u32 s3, s3, s19
	s_load_b128 s[4:7], s[0:1], 0x8
	s_load_b64 s[8:9], s[2:3], 0x0
	v_cmp_gt_i32_e32 vcc_lo, s16, v4
	s_cmp_lt_i32 s17, 1
	s_cbranch_scc1 .LBB743_11
; %bb.1:
	s_clause 0x2
	s_load_b64 s[12:13], s[0:1], 0x30
	s_load_b32 s3, s[0:1], 0x38
	s_load_b32 s10, s[0:1], 0x20
	v_lshlrev_b32_e32 v7, 8, v15
	v_dual_mov_b32 v9, 0 :: v_dual_lshlrev_b32 v16, 4, v14
	v_mov_b32_e32 v10, 0
	v_lshlrev_b32_e32 v8, 4, v15
	s_delay_alu instid0(VALU_DEP_4)
	v_add_nc_u32_e32 v17, 0x1000, v7
	v_cmp_gt_i32_e64 s2, s16, v13
	v_add_nc_u32_e32 v18, v16, v7
	v_dual_mov_b32 v12, v10 :: v_dual_mov_b32 v11, v9
	s_waitcnt lgkmcnt(0)
	s_add_u32 s12, s12, s18
	s_addc_u32 s13, s13, s19
	v_mad_i64_i32 v[0:1], null, s3, v13, 0
	s_load_b64 s[12:13], s[12:13], 0x0
	s_add_u32 s14, s20, s18
	s_addc_u32 s15, s21, s19
	v_mad_i64_i32 v[2:3], null, s10, v4, 0
	s_load_b64 s[14:15], s[14:15], 0x0
	s_delay_alu instid0(VALU_DEP_2) | instskip(SKIP_2) | instid1(VALU_DEP_3)
	v_lshlrev_b64 v[5:6], 4, v[0:1]
	v_dual_mov_b32 v0, 0 :: v_dual_add_nc_u32 v19, v17, v16
	s_xor_b32 s2, s2, -1
	v_lshlrev_b64 v[1:2], 4, v[2:3]
	s_delay_alu instid0(VALU_DEP_3) | instskip(NEXT) | instid1(VALU_DEP_1)
	v_add_co_u32 v3, s3, v5, v16
	v_add_co_ci_u32_e64 v6, s3, 0, v6, s3
	s_delay_alu instid0(VALU_DEP_3) | instskip(NEXT) | instid1(VALU_DEP_1)
	v_add_co_u32 v1, s3, v1, v8
	v_add_co_ci_u32_e64 v2, s3, 0, v2, s3
	s_waitcnt lgkmcnt(0)
	v_add_co_u32 v5, s3, s12, v3
	s_delay_alu instid0(VALU_DEP_1) | instskip(SKIP_1) | instid1(VALU_DEP_1)
	v_add_co_ci_u32_e64 v6, s3, s13, v6, s3
	v_add_co_u32 v7, s3, s14, v1
	v_add_co_ci_u32_e64 v8, s3, s15, v2, s3
	s_xor_b32 s3, vcc_lo, -1
	s_branch .LBB743_3
.LBB743_2:                              ;   in Loop: Header=BB743_3 Depth=1
	s_or_b32 exec_lo, exec_lo, s10
	s_waitcnt lgkmcnt(0)
	s_barrier
	buffer_gl0_inv
	ds_load_b128 v[20:23], v16
	ds_load_b128 v[24:27], v17
	ds_load_b128 v[28:31], v17 offset:16
	ds_load_b128 v[32:35], v16 offset:256
	v_add_co_u32 v5, vcc_lo, 0x100, v5
	v_add_co_ci_u32_e32 v6, vcc_lo, 0, v6, vcc_lo
	v_add_co_u32 v7, vcc_lo, 0x100, v7
	v_add_co_ci_u32_e32 v8, vcc_lo, 0, v8, vcc_lo
	s_add_i32 s11, s11, 16
	s_delay_alu instid0(SALU_CYCLE_1)
	s_cmp_ge_i32 s11, s17
	s_waitcnt lgkmcnt(2)
	v_mul_f64 v[1:2], v[26:27], v[22:23]
	v_mul_f64 v[22:23], v[24:25], v[22:23]
	s_waitcnt lgkmcnt(0)
	v_mul_f64 v[42:43], v[30:31], v[34:35]
	v_mul_f64 v[44:45], v[28:29], v[34:35]
	s_delay_alu instid0(VALU_DEP_4) | instskip(NEXT) | instid1(VALU_DEP_4)
	v_fma_f64 v[1:2], v[24:25], v[20:21], -v[1:2]
	v_fma_f64 v[46:47], v[26:27], v[20:21], v[22:23]
	ds_load_b128 v[20:23], v16 offset:512
	ds_load_b128 v[24:27], v17 offset:32
	;; [unrolled: 1-line block ×4, first 2 shown]
	v_fma_f64 v[28:29], v[28:29], v[32:33], -v[42:43]
	v_fma_f64 v[30:31], v[30:31], v[32:33], v[44:45]
	s_waitcnt lgkmcnt(2)
	v_mul_f64 v[48:49], v[26:27], v[22:23]
	v_mul_f64 v[22:23], v[24:25], v[22:23]
	s_waitcnt lgkmcnt(0)
	v_mul_f64 v[32:33], v[36:37], v[40:41]
	v_mul_f64 v[40:41], v[34:35], v[40:41]
	v_add_f64 v[1:2], v[11:12], v[1:2]
	v_add_f64 v[9:10], v[9:10], v[46:47]
	v_fma_f64 v[42:43], v[24:25], v[20:21], -v[48:49]
	v_fma_f64 v[44:45], v[26:27], v[20:21], v[22:23]
	v_fma_f64 v[32:33], v[34:35], v[38:39], -v[32:33]
	v_fma_f64 v[34:35], v[36:37], v[38:39], v[40:41]
	v_add_f64 v[1:2], v[1:2], v[28:29]
	v_add_f64 v[46:47], v[9:10], v[30:31]
	ds_load_b128 v[9:12], v16 offset:1024
	ds_load_b128 v[20:23], v17 offset:64
	;; [unrolled: 1-line block ×4, first 2 shown]
	s_waitcnt lgkmcnt(2)
	v_mul_f64 v[48:49], v[22:23], v[11:12]
	v_mul_f64 v[11:12], v[20:21], v[11:12]
	s_waitcnt lgkmcnt(0)
	v_mul_f64 v[38:39], v[26:27], v[30:31]
	v_mul_f64 v[40:41], v[24:25], v[30:31]
	v_add_f64 v[1:2], v[1:2], v[42:43]
	v_add_f64 v[36:37], v[46:47], v[44:45]
	v_fma_f64 v[42:43], v[20:21], v[9:10], -v[48:49]
	v_fma_f64 v[44:45], v[22:23], v[9:10], v[11:12]
	v_fma_f64 v[24:25], v[24:25], v[28:29], -v[38:39]
	v_fma_f64 v[26:27], v[26:27], v[28:29], v[40:41]
	v_add_f64 v[1:2], v[1:2], v[32:33]
	v_add_f64 v[46:47], v[36:37], v[34:35]
	ds_load_b128 v[9:12], v16 offset:1536
	ds_load_b128 v[20:23], v17 offset:96
	ds_load_b128 v[30:33], v17 offset:112
	ds_load_b128 v[34:37], v16 offset:1792
	s_waitcnt lgkmcnt(2)
	v_mul_f64 v[48:49], v[22:23], v[11:12]
	v_mul_f64 v[11:12], v[20:21], v[11:12]
	s_waitcnt lgkmcnt(0)
	v_mul_f64 v[40:41], v[32:33], v[36:37]
	v_add_f64 v[1:2], v[1:2], v[42:43]
	v_add_f64 v[28:29], v[46:47], v[44:45]
	v_mul_f64 v[42:43], v[30:31], v[36:37]
	v_fma_f64 v[44:45], v[20:21], v[9:10], -v[48:49]
	v_fma_f64 v[46:47], v[22:23], v[9:10], v[11:12]
	v_fma_f64 v[30:31], v[30:31], v[34:35], -v[40:41]
	v_add_f64 v[1:2], v[1:2], v[24:25]
	v_add_f64 v[28:29], v[28:29], v[26:27]
	ds_load_b128 v[9:12], v16 offset:2048
	ds_load_b128 v[20:23], v17 offset:128
	;; [unrolled: 1-line block ×4, first 2 shown]
	v_fma_f64 v[32:33], v[32:33], v[34:35], v[42:43]
	s_waitcnt lgkmcnt(2)
	v_mul_f64 v[48:49], v[22:23], v[11:12]
	v_mul_f64 v[11:12], v[20:21], v[11:12]
	s_waitcnt lgkmcnt(0)
	v_mul_f64 v[40:41], v[26:27], v[38:39]
	v_mul_f64 v[38:39], v[24:25], v[38:39]
	v_add_f64 v[1:2], v[1:2], v[44:45]
	v_add_f64 v[28:29], v[28:29], v[46:47]
	v_fma_f64 v[42:43], v[20:21], v[9:10], -v[48:49]
	v_fma_f64 v[44:45], v[22:23], v[9:10], v[11:12]
	v_fma_f64 v[24:25], v[24:25], v[36:37], -v[40:41]
	v_fma_f64 v[26:27], v[26:27], v[36:37], v[38:39]
	v_add_f64 v[1:2], v[1:2], v[30:31]
	v_add_f64 v[46:47], v[28:29], v[32:33]
	ds_load_b128 v[9:12], v16 offset:2560
	ds_load_b128 v[20:23], v17 offset:160
	;; [unrolled: 1-line block ×4, first 2 shown]
	s_waitcnt lgkmcnt(2)
	v_mul_f64 v[48:49], v[22:23], v[11:12]
	v_mul_f64 v[11:12], v[20:21], v[11:12]
	s_waitcnt lgkmcnt(0)
	v_mul_f64 v[38:39], v[30:31], v[34:35]
	v_mul_f64 v[40:41], v[28:29], v[34:35]
	v_add_f64 v[1:2], v[1:2], v[42:43]
	v_add_f64 v[36:37], v[46:47], v[44:45]
	v_fma_f64 v[42:43], v[20:21], v[9:10], -v[48:49]
	v_fma_f64 v[44:45], v[22:23], v[9:10], v[11:12]
	v_fma_f64 v[28:29], v[28:29], v[32:33], -v[38:39]
	v_fma_f64 v[30:31], v[30:31], v[32:33], v[40:41]
	v_add_f64 v[1:2], v[1:2], v[24:25]
	v_add_f64 v[46:47], v[36:37], v[26:27]
	ds_load_b128 v[9:12], v16 offset:3072
	ds_load_b128 v[20:23], v17 offset:192
	ds_load_b128 v[24:27], v17 offset:208
	ds_load_b128 v[34:37], v16 offset:3328
	s_waitcnt lgkmcnt(2)
	v_mul_f64 v[48:49], v[22:23], v[11:12]
	v_mul_f64 v[11:12], v[20:21], v[11:12]
	s_waitcnt lgkmcnt(0)
	v_mul_f64 v[40:41], v[26:27], v[36:37]
	v_add_f64 v[1:2], v[1:2], v[42:43]
	v_add_f64 v[32:33], v[46:47], v[44:45]
	v_mul_f64 v[42:43], v[24:25], v[36:37]
	v_fma_f64 v[44:45], v[20:21], v[9:10], -v[48:49]
	v_fma_f64 v[46:47], v[22:23], v[9:10], v[11:12]
	v_fma_f64 v[24:25], v[24:25], v[34:35], -v[40:41]
	v_add_f64 v[1:2], v[1:2], v[28:29]
	v_add_f64 v[32:33], v[32:33], v[30:31]
	ds_load_b128 v[9:12], v16 offset:3584
	ds_load_b128 v[20:23], v17 offset:224
	;; [unrolled: 1-line block ×4, first 2 shown]
	v_fma_f64 v[26:27], v[26:27], v[34:35], v[42:43]
	s_waitcnt lgkmcnt(0)
	s_barrier
	buffer_gl0_inv
	v_mul_f64 v[48:49], v[22:23], v[11:12]
	v_mul_f64 v[11:12], v[20:21], v[11:12]
	v_mul_f64 v[34:35], v[30:31], v[38:39]
	v_mul_f64 v[38:39], v[28:29], v[38:39]
	v_add_f64 v[1:2], v[1:2], v[44:45]
	v_add_f64 v[32:33], v[32:33], v[46:47]
	v_fma_f64 v[20:21], v[20:21], v[9:10], -v[48:49]
	v_fma_f64 v[9:10], v[22:23], v[9:10], v[11:12]
	v_fma_f64 v[22:23], v[28:29], v[36:37], -v[34:35]
	v_add_f64 v[1:2], v[1:2], v[24:25]
	v_add_f64 v[11:12], v[32:33], v[26:27]
	v_fma_f64 v[24:25], v[30:31], v[36:37], v[38:39]
	s_delay_alu instid0(VALU_DEP_3) | instskip(NEXT) | instid1(VALU_DEP_3)
	v_add_f64 v[1:2], v[1:2], v[20:21]
	v_add_f64 v[9:10], v[11:12], v[9:10]
	s_delay_alu instid0(VALU_DEP_2) | instskip(NEXT) | instid1(VALU_DEP_2)
	v_add_f64 v[11:12], v[1:2], v[22:23]
	v_add_f64 v[9:10], v[9:10], v[24:25]
	s_cbranch_scc1 .LBB743_11
.LBB743_3:                              ; =>This Inner Loop Header: Depth=1
	v_add_nc_u32_e32 v1, s11, v15
	s_delay_alu instid0(VALU_DEP_1) | instskip(SKIP_1) | instid1(SALU_CYCLE_1)
	v_cmp_le_i32_e32 vcc_lo, s17, v1
	s_or_b32 s10, s3, vcc_lo
	s_and_saveexec_b32 s12, s10
	s_delay_alu instid0(SALU_CYCLE_1)
	s_xor_b32 s10, exec_lo, s12
	s_cbranch_execz .LBB743_5
; %bb.4:                                ;   in Loop: Header=BB743_3 Depth=1
	v_mov_b32_e32 v1, v0
	v_mov_b32_e32 v2, v0
	v_mov_b32_e32 v3, v0
	ds_store_b128 v18, v[0:3]
.LBB743_5:                              ;   in Loop: Header=BB743_3 Depth=1
	s_and_not1_saveexec_b32 s10, s10
	s_cbranch_execz .LBB743_7
; %bb.6:                                ;   in Loop: Header=BB743_3 Depth=1
	global_load_b128 v[20:23], v[7:8], off
	s_waitcnt vmcnt(0)
	ds_store_2addr_b64 v18, v[20:21], v[22:23] offset1:1
.LBB743_7:                              ;   in Loop: Header=BB743_3 Depth=1
	s_or_b32 exec_lo, exec_lo, s10
	v_add_nc_u32_e32 v1, s11, v14
	s_delay_alu instid0(VALU_DEP_1) | instskip(SKIP_1) | instid1(SALU_CYCLE_1)
	v_cmp_le_i32_e32 vcc_lo, s17, v1
	s_or_b32 s10, s2, vcc_lo
	s_and_saveexec_b32 s12, s10
	s_delay_alu instid0(SALU_CYCLE_1)
	s_xor_b32 s10, exec_lo, s12
	s_cbranch_execz .LBB743_9
; %bb.8:                                ;   in Loop: Header=BB743_3 Depth=1
	v_mov_b32_e32 v1, v0
	v_mov_b32_e32 v2, v0
	;; [unrolled: 1-line block ×3, first 2 shown]
	ds_store_b128 v19, v[0:3]
.LBB743_9:                              ;   in Loop: Header=BB743_3 Depth=1
	s_and_not1_saveexec_b32 s10, s10
	s_cbranch_execz .LBB743_2
; %bb.10:                               ;   in Loop: Header=BB743_3 Depth=1
	global_load_b128 v[20:23], v[5:6], off
	s_waitcnt vmcnt(0)
	ds_store_2addr_b64 v19, v[20:21], v[22:23] offset1:1
	s_branch .LBB743_2
.LBB743_11:
	v_cmp_le_i32_e32 vcc_lo, v13, v4
	v_cmp_gt_i32_e64 s2, s16, v4
	s_delay_alu instid0(VALU_DEP_1) | instskip(NEXT) | instid1(SALU_CYCLE_1)
	s_and_b32 s2, vcc_lo, s2
	s_and_saveexec_b32 s3, s2
	s_cbranch_execz .LBB743_13
; %bb.12:
	s_waitcnt lgkmcnt(0)
	s_delay_alu instid0(VALU_DEP_3) | instskip(SKIP_3) | instid1(VALU_DEP_1)
	v_mul_f64 v[0:1], s[6:7], v[9:10]
	v_mul_f64 v[2:3], s[4:5], v[9:10]
	s_load_b32 s0, s[0:1], 0x60
	v_ashrrev_i32_e32 v5, 31, v4
	v_lshlrev_b64 v[4:5], 4, v[4:5]
	s_waitcnt lgkmcnt(0)
	v_mad_i64_i32 v[6:7], null, s0, v13, 0
	s_delay_alu instid0(VALU_DEP_1) | instskip(NEXT) | instid1(VALU_DEP_1)
	v_lshlrev_b64 v[6:7], 4, v[6:7]
	v_add_co_u32 v6, vcc_lo, s8, v6
	v_fma_f64 v[0:1], s[4:5], v[11:12], -v[0:1]
	v_fma_f64 v[2:3], s[6:7], v[11:12], v[2:3]
	s_delay_alu instid0(VALU_DEP_4) | instskip(NEXT) | instid1(VALU_DEP_4)
	v_add_co_ci_u32_e32 v7, vcc_lo, s9, v7, vcc_lo
	v_add_co_u32 v4, vcc_lo, v6, v4
	s_delay_alu instid0(VALU_DEP_2)
	v_add_co_ci_u32_e32 v5, vcc_lo, v7, v5, vcc_lo
	global_store_b128 v[4:5], v[0:3], off
.LBB743_13:
	s_nop 0
	s_sendmsg sendmsg(MSG_DEALLOC_VGPRS)
	s_endpgm
	.section	.rodata,"a",@progbits
	.p2align	6, 0x0
	.amdhsa_kernel _ZL32rocblas_syrkx_herkx_small_kernelIi19rocblas_complex_numIdELi16ELb1ELb0ELc84ELc76EKPKS1_KPS1_EviT_T0_PT6_S7_lSA_S7_lS8_PT7_S7_li
		.amdhsa_group_segment_fixed_size 8192
		.amdhsa_private_segment_fixed_size 0
		.amdhsa_kernarg_size 116
		.amdhsa_user_sgpr_count 13
		.amdhsa_user_sgpr_dispatch_ptr 0
		.amdhsa_user_sgpr_queue_ptr 0
		.amdhsa_user_sgpr_kernarg_segment_ptr 1
		.amdhsa_user_sgpr_dispatch_id 0
		.amdhsa_user_sgpr_private_segment_size 0
		.amdhsa_wavefront_size32 1
		.amdhsa_uses_dynamic_stack 0
		.amdhsa_enable_private_segment 0
		.amdhsa_system_sgpr_workgroup_id_x 1
		.amdhsa_system_sgpr_workgroup_id_y 1
		.amdhsa_system_sgpr_workgroup_id_z 1
		.amdhsa_system_sgpr_workgroup_info 0
		.amdhsa_system_vgpr_workitem_id 1
		.amdhsa_next_free_vgpr 50
		.amdhsa_next_free_sgpr 22
		.amdhsa_reserve_vcc 1
		.amdhsa_float_round_mode_32 0
		.amdhsa_float_round_mode_16_64 0
		.amdhsa_float_denorm_mode_32 3
		.amdhsa_float_denorm_mode_16_64 3
		.amdhsa_dx10_clamp 1
		.amdhsa_ieee_mode 1
		.amdhsa_fp16_overflow 0
		.amdhsa_workgroup_processor_mode 1
		.amdhsa_memory_ordered 1
		.amdhsa_forward_progress 0
		.amdhsa_shared_vgpr_count 0
		.amdhsa_exception_fp_ieee_invalid_op 0
		.amdhsa_exception_fp_denorm_src 0
		.amdhsa_exception_fp_ieee_div_zero 0
		.amdhsa_exception_fp_ieee_overflow 0
		.amdhsa_exception_fp_ieee_underflow 0
		.amdhsa_exception_fp_ieee_inexact 0
		.amdhsa_exception_int_div_zero 0
	.end_amdhsa_kernel
	.section	.text._ZL32rocblas_syrkx_herkx_small_kernelIi19rocblas_complex_numIdELi16ELb1ELb0ELc84ELc76EKPKS1_KPS1_EviT_T0_PT6_S7_lSA_S7_lS8_PT7_S7_li,"axG",@progbits,_ZL32rocblas_syrkx_herkx_small_kernelIi19rocblas_complex_numIdELi16ELb1ELb0ELc84ELc76EKPKS1_KPS1_EviT_T0_PT6_S7_lSA_S7_lS8_PT7_S7_li,comdat
.Lfunc_end743:
	.size	_ZL32rocblas_syrkx_herkx_small_kernelIi19rocblas_complex_numIdELi16ELb1ELb0ELc84ELc76EKPKS1_KPS1_EviT_T0_PT6_S7_lSA_S7_lS8_PT7_S7_li, .Lfunc_end743-_ZL32rocblas_syrkx_herkx_small_kernelIi19rocblas_complex_numIdELi16ELb1ELb0ELc84ELc76EKPKS1_KPS1_EviT_T0_PT6_S7_lSA_S7_lS8_PT7_S7_li
                                        ; -- End function
	.section	.AMDGPU.csdata,"",@progbits
; Kernel info:
; codeLenInByte = 1896
; NumSgprs: 24
; NumVgprs: 50
; ScratchSize: 0
; MemoryBound: 0
; FloatMode: 240
; IeeeMode: 1
; LDSByteSize: 8192 bytes/workgroup (compile time only)
; SGPRBlocks: 2
; VGPRBlocks: 6
; NumSGPRsForWavesPerEU: 24
; NumVGPRsForWavesPerEU: 50
; Occupancy: 16
; WaveLimiterHint : 1
; COMPUTE_PGM_RSRC2:SCRATCH_EN: 0
; COMPUTE_PGM_RSRC2:USER_SGPR: 13
; COMPUTE_PGM_RSRC2:TRAP_HANDLER: 0
; COMPUTE_PGM_RSRC2:TGID_X_EN: 1
; COMPUTE_PGM_RSRC2:TGID_Y_EN: 1
; COMPUTE_PGM_RSRC2:TGID_Z_EN: 1
; COMPUTE_PGM_RSRC2:TIDIG_COMP_CNT: 1
	.section	.text._ZL32rocblas_syrkx_herkx_small_kernelIi19rocblas_complex_numIdELi16ELb1ELb0ELc67ELc76EKPKS1_KPS1_EviT_T0_PT6_S7_lSA_S7_lS8_PT7_S7_li,"axG",@progbits,_ZL32rocblas_syrkx_herkx_small_kernelIi19rocblas_complex_numIdELi16ELb1ELb0ELc67ELc76EKPKS1_KPS1_EviT_T0_PT6_S7_lSA_S7_lS8_PT7_S7_li,comdat
	.globl	_ZL32rocblas_syrkx_herkx_small_kernelIi19rocblas_complex_numIdELi16ELb1ELb0ELc67ELc76EKPKS1_KPS1_EviT_T0_PT6_S7_lSA_S7_lS8_PT7_S7_li ; -- Begin function _ZL32rocblas_syrkx_herkx_small_kernelIi19rocblas_complex_numIdELi16ELb1ELb0ELc67ELc76EKPKS1_KPS1_EviT_T0_PT6_S7_lSA_S7_lS8_PT7_S7_li
	.p2align	8
	.type	_ZL32rocblas_syrkx_herkx_small_kernelIi19rocblas_complex_numIdELi16ELb1ELb0ELc67ELc76EKPKS1_KPS1_EviT_T0_PT6_S7_lSA_S7_lS8_PT7_S7_li,@function
_ZL32rocblas_syrkx_herkx_small_kernelIi19rocblas_complex_numIdELi16ELb1ELb0ELc67ELc76EKPKS1_KPS1_EviT_T0_PT6_S7_lSA_S7_lS8_PT7_S7_li: ; @_ZL32rocblas_syrkx_herkx_small_kernelIi19rocblas_complex_numIdELi16ELb1ELb0ELc67ELc76EKPKS1_KPS1_EviT_T0_PT6_S7_lSA_S7_lS8_PT7_S7_li
; %bb.0:
	s_clause 0x1
	s_load_b64 s[2:3], s[0:1], 0x58
	s_load_b64 s[20:21], s[0:1], 0x18
	s_mov_b32 s10, s15
	s_mov_b32 s11, 0
	s_load_b64 s[16:17], s[0:1], 0x0
	s_lshl_b64 s[18:19], s[10:11], 3
	v_dual_mov_b32 v12, 0 :: v_dual_and_b32 v17, 0x3ff, v0
	v_bfe_u32 v18, v0, 10, 10
	v_mov_b32_e32 v13, 0
	s_delay_alu instid0(VALU_DEP_3) | instskip(NEXT) | instid1(VALU_DEP_3)
	v_lshl_add_u32 v5, s13, 4, v17
	v_lshl_add_u32 v16, s14, 4, v18
	s_delay_alu instid0(VALU_DEP_3)
	v_dual_mov_b32 v15, v13 :: v_dual_mov_b32 v14, v12
	s_waitcnt lgkmcnt(0)
	s_add_u32 s2, s2, s18
	s_addc_u32 s3, s3, s19
	s_load_b128 s[4:7], s[0:1], 0x8
	s_load_b64 s[8:9], s[2:3], 0x0
	v_cmp_gt_i32_e32 vcc_lo, s16, v5
	s_cmp_lt_i32 s17, 1
	s_cbranch_scc1 .LBB744_9
; %bb.1:
	s_clause 0x2
	s_load_b64 s[12:13], s[0:1], 0x30
	s_load_b32 s3, s[0:1], 0x20
	s_load_b32 s10, s[0:1], 0x38
	v_dual_mov_b32 v0, 0 :: v_dual_lshlrev_b32 v9, 4, v18
	v_dual_mov_b32 v6, 0 :: v_dual_lshlrev_b32 v19, 4, v17
	;; [unrolled: 1-line block ×3, first 2 shown]
	v_cmp_gt_i32_e64 s2, s16, v16
	s_delay_alu instid0(VALU_DEP_2) | instskip(NEXT) | instid1(VALU_DEP_4)
	v_dual_mov_b32 v13, v7 :: v_dual_add_nc_u32 v20, 0x1000, v8
	v_dual_mov_b32 v12, v6 :: v_dual_add_nc_u32 v21, v19, v8
	s_delay_alu instid0(VALU_DEP_2)
	v_dual_mov_b32 v15, v7 :: v_dual_add_nc_u32 v22, v20, v19
	v_mov_b32_e32 v14, v6
	s_waitcnt lgkmcnt(0)
	s_add_u32 s12, s12, s18
	s_addc_u32 s13, s13, s19
	s_add_u32 s14, s20, s18
	s_addc_u32 s15, s21, s19
	v_mad_i64_i32 v[1:2], null, s3, v5, 0
	s_load_b64 s[14:15], s[14:15], 0x0
	v_mad_i64_i32 v[3:4], null, s10, v16, 0
	s_load_b64 s[12:13], s[12:13], 0x0
	s_delay_alu instid0(VALU_DEP_2) | instskip(NEXT) | instid1(VALU_DEP_2)
	v_lshlrev_b64 v[1:2], 4, v[1:2]
	v_lshlrev_b64 v[3:4], 4, v[3:4]
	s_delay_alu instid0(VALU_DEP_2) | instskip(NEXT) | instid1(VALU_DEP_1)
	v_add_co_u32 v1, s3, v1, v9
	v_add_co_ci_u32_e64 v2, s3, 0, v2, s3
	s_delay_alu instid0(VALU_DEP_3) | instskip(NEXT) | instid1(VALU_DEP_1)
	v_add_co_u32 v3, s3, v3, v19
	v_add_co_ci_u32_e64 v4, s3, 0, v4, s3
	s_waitcnt lgkmcnt(0)
	v_add_co_u32 v1, s3, v1, s14
	s_delay_alu instid0(VALU_DEP_1) | instskip(SKIP_1) | instid1(VALU_DEP_1)
	v_add_co_ci_u32_e64 v2, s3, s15, v2, s3
	v_add_co_u32 v8, s3, s12, v3
	v_add_co_ci_u32_e64 v9, s3, s13, v4, s3
	s_delay_alu instid0(VALU_DEP_4) | instskip(NEXT) | instid1(VALU_DEP_1)
	v_add_co_u32 v10, s3, v1, 8
	v_add_co_ci_u32_e64 v11, s3, 0, v2, s3
	s_xor_b32 s3, s2, -1
	s_branch .LBB744_3
.LBB744_2:                              ;   in Loop: Header=BB744_3 Depth=1
	s_or_b32 exec_lo, exec_lo, s2
	s_waitcnt lgkmcnt(0)
	s_barrier
	buffer_gl0_inv
	ds_load_b128 v[1:4], v19
	ds_load_b128 v[23:26], v20
	ds_load_b128 v[27:30], v20 offset:16
	ds_load_b128 v[31:34], v19 offset:256
	v_add_co_u32 v8, s2, 0x100, v8
	s_delay_alu instid0(VALU_DEP_1) | instskip(SKIP_1) | instid1(VALU_DEP_1)
	v_add_co_ci_u32_e64 v9, s2, 0, v9, s2
	v_add_co_u32 v10, s2, 0x100, v10
	v_add_co_ci_u32_e64 v11, s2, 0, v11, s2
	s_add_i32 s11, s11, 16
	s_delay_alu instid0(SALU_CYCLE_1)
	s_cmp_ge_i32 s11, s17
	s_waitcnt lgkmcnt(2)
	v_mul_f64 v[35:36], v[25:26], v[3:4]
	v_mul_f64 v[3:4], v[23:24], v[3:4]
	s_waitcnt lgkmcnt(0)
	v_mul_f64 v[41:42], v[29:30], v[33:34]
	v_mul_f64 v[43:44], v[27:28], v[33:34]
	s_delay_alu instid0(VALU_DEP_4) | instskip(NEXT) | instid1(VALU_DEP_4)
	v_fma_f64 v[45:46], v[23:24], v[1:2], -v[35:36]
	v_fma_f64 v[47:48], v[25:26], v[1:2], v[3:4]
	ds_load_b128 v[1:4], v19 offset:512
	ds_load_b128 v[23:26], v20 offset:32
	;; [unrolled: 1-line block ×4, first 2 shown]
	v_fma_f64 v[27:28], v[27:28], v[31:32], -v[41:42]
	v_fma_f64 v[29:30], v[29:30], v[31:32], v[43:44]
	s_waitcnt lgkmcnt(2)
	v_mul_f64 v[49:50], v[25:26], v[3:4]
	v_mul_f64 v[3:4], v[23:24], v[3:4]
	s_waitcnt lgkmcnt(0)
	v_mul_f64 v[31:32], v[35:36], v[39:40]
	v_mul_f64 v[39:40], v[33:34], v[39:40]
	v_add_f64 v[14:15], v[14:15], v[45:46]
	v_add_f64 v[12:13], v[12:13], v[47:48]
	v_fma_f64 v[41:42], v[23:24], v[1:2], -v[49:50]
	v_fma_f64 v[43:44], v[25:26], v[1:2], v[3:4]
	v_fma_f64 v[31:32], v[33:34], v[37:38], -v[31:32]
	v_fma_f64 v[33:34], v[35:36], v[37:38], v[39:40]
	v_add_f64 v[45:46], v[14:15], v[27:28]
	v_add_f64 v[47:48], v[12:13], v[29:30]
	ds_load_b128 v[1:4], v19 offset:1024
	ds_load_b128 v[12:15], v20 offset:64
	;; [unrolled: 1-line block ×4, first 2 shown]
	s_waitcnt lgkmcnt(2)
	v_mul_f64 v[49:50], v[14:15], v[3:4]
	v_mul_f64 v[3:4], v[12:13], v[3:4]
	s_waitcnt lgkmcnt(0)
	v_mul_f64 v[39:40], v[25:26], v[29:30]
	v_add_f64 v[35:36], v[45:46], v[41:42]
	v_add_f64 v[37:38], v[47:48], v[43:44]
	v_mul_f64 v[41:42], v[23:24], v[29:30]
	v_fma_f64 v[43:44], v[12:13], v[1:2], -v[49:50]
	v_fma_f64 v[45:46], v[14:15], v[1:2], v[3:4]
	v_fma_f64 v[23:24], v[23:24], v[27:28], -v[39:40]
	v_add_f64 v[47:48], v[35:36], v[31:32]
	v_add_f64 v[37:38], v[37:38], v[33:34]
	ds_load_b128 v[1:4], v19 offset:1536
	ds_load_b128 v[12:15], v20 offset:96
	;; [unrolled: 1-line block ×4, first 2 shown]
	v_fma_f64 v[25:26], v[25:26], v[27:28], v[41:42]
	s_waitcnt lgkmcnt(2)
	v_mul_f64 v[49:50], v[14:15], v[3:4]
	v_mul_f64 v[3:4], v[12:13], v[3:4]
	s_waitcnt lgkmcnt(0)
	v_mul_f64 v[39:40], v[31:32], v[35:36]
	v_mul_f64 v[41:42], v[29:30], v[35:36]
	v_add_f64 v[27:28], v[47:48], v[43:44]
	v_add_f64 v[37:38], v[37:38], v[45:46]
	v_fma_f64 v[43:44], v[12:13], v[1:2], -v[49:50]
	v_fma_f64 v[45:46], v[14:15], v[1:2], v[3:4]
	v_fma_f64 v[29:30], v[29:30], v[33:34], -v[39:40]
	v_fma_f64 v[31:32], v[31:32], v[33:34], v[41:42]
	v_add_f64 v[27:28], v[27:28], v[23:24]
	v_add_f64 v[47:48], v[37:38], v[25:26]
	ds_load_b128 v[1:4], v19 offset:2048
	ds_load_b128 v[12:15], v20 offset:128
	ds_load_b128 v[23:26], v20 offset:144
	ds_load_b128 v[35:38], v19 offset:2304
	s_waitcnt lgkmcnt(2)
	v_mul_f64 v[49:50], v[14:15], v[3:4]
	v_mul_f64 v[3:4], v[12:13], v[3:4]
	s_waitcnt lgkmcnt(0)
	v_mul_f64 v[39:40], v[25:26], v[37:38]
	v_mul_f64 v[37:38], v[23:24], v[37:38]
	v_add_f64 v[27:28], v[27:28], v[43:44]
	v_add_f64 v[33:34], v[47:48], v[45:46]
	v_fma_f64 v[41:42], v[12:13], v[1:2], -v[49:50]
	v_fma_f64 v[43:44], v[14:15], v[1:2], v[3:4]
	v_fma_f64 v[23:24], v[23:24], v[35:36], -v[39:40]
	v_fma_f64 v[25:26], v[25:26], v[35:36], v[37:38]
	v_add_f64 v[45:46], v[27:28], v[29:30]
	v_add_f64 v[47:48], v[33:34], v[31:32]
	ds_load_b128 v[1:4], v19 offset:2560
	ds_load_b128 v[12:15], v20 offset:160
	;; [unrolled: 1-line block ×4, first 2 shown]
	s_waitcnt lgkmcnt(2)
	v_mul_f64 v[49:50], v[14:15], v[3:4]
	v_mul_f64 v[3:4], v[12:13], v[3:4]
	s_waitcnt lgkmcnt(0)
	v_mul_f64 v[39:40], v[29:30], v[33:34]
	v_add_f64 v[35:36], v[45:46], v[41:42]
	v_add_f64 v[37:38], v[47:48], v[43:44]
	v_mul_f64 v[41:42], v[27:28], v[33:34]
	v_fma_f64 v[43:44], v[12:13], v[1:2], -v[49:50]
	v_fma_f64 v[45:46], v[14:15], v[1:2], v[3:4]
	v_fma_f64 v[27:28], v[27:28], v[31:32], -v[39:40]
	v_add_f64 v[47:48], v[35:36], v[23:24]
	v_add_f64 v[37:38], v[37:38], v[25:26]
	ds_load_b128 v[1:4], v19 offset:3072
	ds_load_b128 v[12:15], v20 offset:192
	;; [unrolled: 1-line block ×4, first 2 shown]
	v_fma_f64 v[29:30], v[29:30], v[31:32], v[41:42]
	s_waitcnt lgkmcnt(2)
	v_mul_f64 v[49:50], v[14:15], v[3:4]
	v_mul_f64 v[3:4], v[12:13], v[3:4]
	s_waitcnt lgkmcnt(0)
	v_mul_f64 v[39:40], v[25:26], v[35:36]
	v_mul_f64 v[41:42], v[23:24], v[35:36]
	v_add_f64 v[31:32], v[47:48], v[43:44]
	v_add_f64 v[37:38], v[37:38], v[45:46]
	v_fma_f64 v[43:44], v[12:13], v[1:2], -v[49:50]
	v_fma_f64 v[45:46], v[14:15], v[1:2], v[3:4]
	v_fma_f64 v[23:24], v[23:24], v[33:34], -v[39:40]
	v_fma_f64 v[25:26], v[25:26], v[33:34], v[41:42]
	v_add_f64 v[31:32], v[31:32], v[27:28]
	v_add_f64 v[47:48], v[37:38], v[29:30]
	ds_load_b128 v[1:4], v19 offset:3584
	ds_load_b128 v[12:15], v20 offset:224
	;; [unrolled: 1-line block ×4, first 2 shown]
	s_waitcnt lgkmcnt(0)
	s_barrier
	buffer_gl0_inv
	v_mul_f64 v[49:50], v[14:15], v[3:4]
	v_mul_f64 v[3:4], v[12:13], v[3:4]
	;; [unrolled: 1-line block ×4, first 2 shown]
	v_add_f64 v[31:32], v[31:32], v[43:44]
	v_add_f64 v[33:34], v[47:48], v[45:46]
	v_fma_f64 v[12:13], v[12:13], v[1:2], -v[49:50]
	v_fma_f64 v[1:2], v[14:15], v[1:2], v[3:4]
	s_delay_alu instid0(VALU_DEP_4) | instskip(NEXT) | instid1(VALU_DEP_4)
	v_add_f64 v[3:4], v[31:32], v[23:24]
	v_add_f64 v[14:15], v[33:34], v[25:26]
	v_fma_f64 v[23:24], v[27:28], v[35:36], -v[39:40]
	v_fma_f64 v[25:26], v[29:30], v[35:36], v[37:38]
	s_delay_alu instid0(VALU_DEP_4) | instskip(NEXT) | instid1(VALU_DEP_4)
	v_add_f64 v[3:4], v[3:4], v[12:13]
	v_add_f64 v[1:2], v[14:15], v[1:2]
	s_delay_alu instid0(VALU_DEP_2) | instskip(NEXT) | instid1(VALU_DEP_2)
	v_add_f64 v[14:15], v[3:4], v[23:24]
	v_add_f64 v[12:13], v[1:2], v[25:26]
	s_cbranch_scc1 .LBB744_9
.LBB744_3:                              ; =>This Inner Loop Header: Depth=1
	v_add_nc_u32_e32 v1, s11, v18
	v_dual_mov_b32 v3, v6 :: v_dual_mov_b32 v4, v7
	s_delay_alu instid0(VALU_DEP_2) | instskip(SKIP_1) | instid1(VALU_DEP_2)
	v_cmp_gt_i32_e64 s2, s17, v1
	v_dual_mov_b32 v1, v6 :: v_dual_mov_b32 v2, v7
	s_and_b32 s10, vcc_lo, s2
	s_delay_alu instid0(SALU_CYCLE_1)
	s_and_saveexec_b32 s2, s10
	s_cbranch_execz .LBB744_5
; %bb.4:                                ;   in Loop: Header=BB744_3 Depth=1
	global_load_b128 v[1:4], v[10:11], off offset:-8
.LBB744_5:                              ;   in Loop: Header=BB744_3 Depth=1
	s_or_b32 exec_lo, exec_lo, s2
	v_add_nc_u32_e32 v23, s11, v17
	s_waitcnt vmcnt(0)
	ds_store_b128 v21, v[1:4]
	v_cmp_le_i32_e64 s2, s17, v23
	s_delay_alu instid0(VALU_DEP_1) | instskip(NEXT) | instid1(SALU_CYCLE_1)
	s_or_b32 s2, s3, s2
	s_and_saveexec_b32 s10, s2
	s_delay_alu instid0(SALU_CYCLE_1)
	s_xor_b32 s2, exec_lo, s10
	s_cbranch_execz .LBB744_7
; %bb.6:                                ;   in Loop: Header=BB744_3 Depth=1
	v_mov_b32_e32 v1, v0
	v_mov_b32_e32 v2, v0
	v_mov_b32_e32 v3, v0
	ds_store_b128 v22, v[0:3]
.LBB744_7:                              ;   in Loop: Header=BB744_3 Depth=1
	s_and_not1_saveexec_b32 s2, s2
	s_cbranch_execz .LBB744_2
; %bb.8:                                ;   in Loop: Header=BB744_3 Depth=1
	global_load_b128 v[1:4], v[8:9], off
	s_waitcnt vmcnt(0)
	ds_store_2addr_b64 v22, v[1:2], v[3:4] offset1:1
	s_branch .LBB744_2
.LBB744_9:
	v_cmp_le_i32_e32 vcc_lo, v16, v5
	v_cmp_gt_i32_e64 s2, s16, v5
	s_delay_alu instid0(VALU_DEP_1) | instskip(NEXT) | instid1(SALU_CYCLE_1)
	s_and_b32 s2, vcc_lo, s2
	s_and_saveexec_b32 s3, s2
	s_cbranch_execz .LBB744_11
; %bb.10:
	s_waitcnt lgkmcnt(0)
	s_delay_alu instid0(VALU_DEP_3) | instskip(SKIP_3) | instid1(VALU_DEP_1)
	v_mul_f64 v[0:1], s[6:7], v[12:13]
	v_mul_f64 v[2:3], s[4:5], v[12:13]
	s_load_b32 s0, s[0:1], 0x60
	v_ashrrev_i32_e32 v6, 31, v5
	v_lshlrev_b64 v[4:5], 4, v[5:6]
	s_waitcnt lgkmcnt(0)
	v_mad_i64_i32 v[7:8], null, s0, v16, 0
	s_delay_alu instid0(VALU_DEP_1) | instskip(NEXT) | instid1(VALU_DEP_1)
	v_lshlrev_b64 v[7:8], 4, v[7:8]
	v_add_co_u32 v6, vcc_lo, s8, v7
	v_fma_f64 v[0:1], s[4:5], v[14:15], -v[0:1]
	v_fma_f64 v[2:3], s[6:7], v[14:15], v[2:3]
	s_delay_alu instid0(VALU_DEP_4) | instskip(NEXT) | instid1(VALU_DEP_4)
	v_add_co_ci_u32_e32 v7, vcc_lo, s9, v8, vcc_lo
	v_add_co_u32 v4, vcc_lo, v6, v4
	s_delay_alu instid0(VALU_DEP_2)
	v_add_co_ci_u32_e32 v5, vcc_lo, v7, v5, vcc_lo
	global_store_b128 v[4:5], v[0:3], off
.LBB744_11:
	s_nop 0
	s_sendmsg sendmsg(MSG_DEALLOC_VGPRS)
	s_endpgm
	.section	.rodata,"a",@progbits
	.p2align	6, 0x0
	.amdhsa_kernel _ZL32rocblas_syrkx_herkx_small_kernelIi19rocblas_complex_numIdELi16ELb1ELb0ELc67ELc76EKPKS1_KPS1_EviT_T0_PT6_S7_lSA_S7_lS8_PT7_S7_li
		.amdhsa_group_segment_fixed_size 8192
		.amdhsa_private_segment_fixed_size 0
		.amdhsa_kernarg_size 116
		.amdhsa_user_sgpr_count 13
		.amdhsa_user_sgpr_dispatch_ptr 0
		.amdhsa_user_sgpr_queue_ptr 0
		.amdhsa_user_sgpr_kernarg_segment_ptr 1
		.amdhsa_user_sgpr_dispatch_id 0
		.amdhsa_user_sgpr_private_segment_size 0
		.amdhsa_wavefront_size32 1
		.amdhsa_uses_dynamic_stack 0
		.amdhsa_enable_private_segment 0
		.amdhsa_system_sgpr_workgroup_id_x 1
		.amdhsa_system_sgpr_workgroup_id_y 1
		.amdhsa_system_sgpr_workgroup_id_z 1
		.amdhsa_system_sgpr_workgroup_info 0
		.amdhsa_system_vgpr_workitem_id 1
		.amdhsa_next_free_vgpr 51
		.amdhsa_next_free_sgpr 22
		.amdhsa_reserve_vcc 1
		.amdhsa_float_round_mode_32 0
		.amdhsa_float_round_mode_16_64 0
		.amdhsa_float_denorm_mode_32 3
		.amdhsa_float_denorm_mode_16_64 3
		.amdhsa_dx10_clamp 1
		.amdhsa_ieee_mode 1
		.amdhsa_fp16_overflow 0
		.amdhsa_workgroup_processor_mode 1
		.amdhsa_memory_ordered 1
		.amdhsa_forward_progress 0
		.amdhsa_shared_vgpr_count 0
		.amdhsa_exception_fp_ieee_invalid_op 0
		.amdhsa_exception_fp_denorm_src 0
		.amdhsa_exception_fp_ieee_div_zero 0
		.amdhsa_exception_fp_ieee_overflow 0
		.amdhsa_exception_fp_ieee_underflow 0
		.amdhsa_exception_fp_ieee_inexact 0
		.amdhsa_exception_int_div_zero 0
	.end_amdhsa_kernel
	.section	.text._ZL32rocblas_syrkx_herkx_small_kernelIi19rocblas_complex_numIdELi16ELb1ELb0ELc67ELc76EKPKS1_KPS1_EviT_T0_PT6_S7_lSA_S7_lS8_PT7_S7_li,"axG",@progbits,_ZL32rocblas_syrkx_herkx_small_kernelIi19rocblas_complex_numIdELi16ELb1ELb0ELc67ELc76EKPKS1_KPS1_EviT_T0_PT6_S7_lSA_S7_lS8_PT7_S7_li,comdat
.Lfunc_end744:
	.size	_ZL32rocblas_syrkx_herkx_small_kernelIi19rocblas_complex_numIdELi16ELb1ELb0ELc67ELc76EKPKS1_KPS1_EviT_T0_PT6_S7_lSA_S7_lS8_PT7_S7_li, .Lfunc_end744-_ZL32rocblas_syrkx_herkx_small_kernelIi19rocblas_complex_numIdELi16ELb1ELb0ELc67ELc76EKPKS1_KPS1_EviT_T0_PT6_S7_lSA_S7_lS8_PT7_S7_li
                                        ; -- End function
	.section	.AMDGPU.csdata,"",@progbits
; Kernel info:
; codeLenInByte = 1932
; NumSgprs: 24
; NumVgprs: 51
; ScratchSize: 0
; MemoryBound: 1
; FloatMode: 240
; IeeeMode: 1
; LDSByteSize: 8192 bytes/workgroup (compile time only)
; SGPRBlocks: 2
; VGPRBlocks: 6
; NumSGPRsForWavesPerEU: 24
; NumVGPRsForWavesPerEU: 51
; Occupancy: 16
; WaveLimiterHint : 1
; COMPUTE_PGM_RSRC2:SCRATCH_EN: 0
; COMPUTE_PGM_RSRC2:USER_SGPR: 13
; COMPUTE_PGM_RSRC2:TRAP_HANDLER: 0
; COMPUTE_PGM_RSRC2:TGID_X_EN: 1
; COMPUTE_PGM_RSRC2:TGID_Y_EN: 1
; COMPUTE_PGM_RSRC2:TGID_Z_EN: 1
; COMPUTE_PGM_RSRC2:TIDIG_COMP_CNT: 1
	.section	.text._ZL32rocblas_syrkx_herkx_small_kernelIi19rocblas_complex_numIdELi16ELb1ELb0ELc78ELc76EKPKS1_KPS1_EviT_T0_PT6_S7_lSA_S7_lS8_PT7_S7_li,"axG",@progbits,_ZL32rocblas_syrkx_herkx_small_kernelIi19rocblas_complex_numIdELi16ELb1ELb0ELc78ELc76EKPKS1_KPS1_EviT_T0_PT6_S7_lSA_S7_lS8_PT7_S7_li,comdat
	.globl	_ZL32rocblas_syrkx_herkx_small_kernelIi19rocblas_complex_numIdELi16ELb1ELb0ELc78ELc76EKPKS1_KPS1_EviT_T0_PT6_S7_lSA_S7_lS8_PT7_S7_li ; -- Begin function _ZL32rocblas_syrkx_herkx_small_kernelIi19rocblas_complex_numIdELi16ELb1ELb0ELc78ELc76EKPKS1_KPS1_EviT_T0_PT6_S7_lSA_S7_lS8_PT7_S7_li
	.p2align	8
	.type	_ZL32rocblas_syrkx_herkx_small_kernelIi19rocblas_complex_numIdELi16ELb1ELb0ELc78ELc76EKPKS1_KPS1_EviT_T0_PT6_S7_lSA_S7_lS8_PT7_S7_li,@function
_ZL32rocblas_syrkx_herkx_small_kernelIi19rocblas_complex_numIdELi16ELb1ELb0ELc78ELc76EKPKS1_KPS1_EviT_T0_PT6_S7_lSA_S7_lS8_PT7_S7_li: ; @_ZL32rocblas_syrkx_herkx_small_kernelIi19rocblas_complex_numIdELi16ELb1ELb0ELc78ELc76EKPKS1_KPS1_EviT_T0_PT6_S7_lSA_S7_lS8_PT7_S7_li
; %bb.0:
	s_clause 0x1
	s_load_b64 s[2:3], s[0:1], 0x58
	s_load_b64 s[20:21], s[0:1], 0x18
	s_mov_b32 s10, s15
	s_mov_b32 s11, 0
	s_load_b64 s[16:17], s[0:1], 0x0
	s_lshl_b64 s[18:19], s[10:11], 3
	v_and_b32_e32 v16, 0x3ff, v0
	v_mov_b32_e32 v12, 0
	v_mov_b32_e32 v13, 0
	v_bfe_u32 v17, v0, 10, 10
	s_delay_alu instid0(VALU_DEP_4) | instskip(NEXT) | instid1(VALU_DEP_3)
	v_lshl_add_u32 v5, s13, 4, v16
	v_dual_mov_b32 v15, v13 :: v_dual_mov_b32 v14, v12
	s_delay_alu instid0(VALU_DEP_3) | instskip(NEXT) | instid1(VALU_DEP_3)
	v_lshl_add_u32 v7, s14, 4, v17
	v_ashrrev_i32_e32 v6, 31, v5
	s_waitcnt lgkmcnt(0)
	s_add_u32 s2, s2, s18
	s_addc_u32 s3, s3, s19
	s_load_b128 s[4:7], s[0:1], 0x8
	s_load_b64 s[8:9], s[2:3], 0x0
	v_cmp_gt_i32_e64 s2, s16, v5
	s_cmp_lt_i32 s17, 1
	s_cbranch_scc1 .LBB745_9
; %bb.1:
	s_clause 0x2
	s_load_b32 s14, s[0:1], 0x20
	s_load_b32 s12, s[0:1], 0x38
	s_load_b64 s[22:23], s[0:1], 0x30
	v_ashrrev_i32_e32 v8, 31, v7
	v_lshlrev_b64 v[1:2], 4, v[5:6]
	v_dual_mov_b32 v12, 0 :: v_dual_lshlrev_b32 v11, 8, v17
	v_dual_mov_b32 v13, 0 :: v_dual_lshlrev_b32 v18, 4, v16
	s_delay_alu instid0(VALU_DEP_4) | instskip(NEXT) | instid1(VALU_DEP_3)
	v_lshlrev_b64 v[14:15], 4, v[7:8]
	v_dual_mov_b32 v0, 0 :: v_dual_add_nc_u32 v19, 0x1000, v11
	s_delay_alu instid0(VALU_DEP_3) | instskip(SKIP_1) | instid1(VALU_DEP_3)
	v_add_nc_u32_e32 v20, v18, v11
	v_cmp_gt_i32_e32 vcc_lo, s16, v7
	v_add_nc_u32_e32 v21, v19, v18
	s_waitcnt lgkmcnt(0)
	s_ashr_i32 s15, s14, 31
	s_ashr_i32 s13, s12, 31
	s_add_u32 s22, s22, s18
	s_addc_u32 s23, s23, s19
	v_mad_i64_i32 v[3:4], null, s12, v16, 0
	s_load_b64 s[22:23], s[22:23], 0x0
	s_add_u32 s18, s20, s18
	s_addc_u32 s19, s21, s19
	v_mad_i64_i32 v[9:10], null, s14, v17, 0
	s_load_b64 s[18:19], s[18:19], 0x0
	s_delay_alu instid0(VALU_DEP_2) | instskip(SKIP_2) | instid1(VALU_DEP_2)
	v_lshlrev_b64 v[3:4], 4, v[3:4]
	s_lshl_b64 s[12:13], s[12:13], 8
	s_lshl_b64 s[14:15], s[14:15], 8
	v_lshlrev_b64 v[8:9], 4, v[9:10]
	s_delay_alu instid0(VALU_DEP_2) | instskip(NEXT) | instid1(VALU_DEP_1)
	v_add_co_u32 v3, s3, v3, v14
	v_add_co_ci_u32_e64 v4, s3, v4, v15, s3
	v_dual_mov_b32 v15, v13 :: v_dual_mov_b32 v14, v12
	s_delay_alu instid0(VALU_DEP_4) | instskip(NEXT) | instid1(VALU_DEP_1)
	v_add_co_u32 v1, s3, v8, v1
	v_add_co_ci_u32_e64 v2, s3, v9, v2, s3
	s_waitcnt lgkmcnt(0)
	v_add_co_u32 v3, s3, v3, s22
	s_delay_alu instid0(VALU_DEP_1) | instskip(SKIP_1) | instid1(VALU_DEP_1)
	v_add_co_ci_u32_e64 v4, s3, s23, v4, s3
	v_add_co_u32 v8, s3, s18, v1
	v_add_co_ci_u32_e64 v9, s3, s19, v2, s3
	s_delay_alu instid0(VALU_DEP_4) | instskip(NEXT) | instid1(VALU_DEP_1)
	v_add_co_u32 v10, s3, v3, 8
	v_add_co_ci_u32_e64 v11, s3, 0, v4, s3
	s_xor_b32 s3, s2, -1
	s_branch .LBB745_3
.LBB745_2:                              ;   in Loop: Header=BB745_3 Depth=1
	s_or_b32 exec_lo, exec_lo, s2
	s_waitcnt vmcnt(0)
	ds_store_b128 v21, v[1:4]
	s_waitcnt lgkmcnt(0)
	s_barrier
	buffer_gl0_inv
	ds_load_b128 v[1:4], v18
	ds_load_b128 v[22:25], v19
	ds_load_b128 v[26:29], v19 offset:16
	ds_load_b128 v[30:33], v18 offset:256
	v_add_co_u32 v10, s2, v10, s12
	s_delay_alu instid0(VALU_DEP_1) | instskip(SKIP_1) | instid1(VALU_DEP_1)
	v_add_co_ci_u32_e64 v11, s2, s13, v11, s2
	v_add_co_u32 v8, s2, v8, s14
	v_add_co_ci_u32_e64 v9, s2, s15, v9, s2
	s_add_i32 s11, s11, 16
	s_delay_alu instid0(SALU_CYCLE_1)
	s_cmp_ge_i32 s11, s17
	s_waitcnt lgkmcnt(2)
	v_mul_f64 v[34:35], v[24:25], v[3:4]
	v_mul_f64 v[3:4], v[22:23], v[3:4]
	s_waitcnt lgkmcnt(0)
	v_mul_f64 v[40:41], v[28:29], v[32:33]
	v_mul_f64 v[42:43], v[26:27], v[32:33]
	s_delay_alu instid0(VALU_DEP_4) | instskip(NEXT) | instid1(VALU_DEP_4)
	v_fma_f64 v[44:45], v[22:23], v[1:2], -v[34:35]
	v_fma_f64 v[46:47], v[24:25], v[1:2], v[3:4]
	ds_load_b128 v[1:4], v18 offset:512
	ds_load_b128 v[22:25], v19 offset:32
	;; [unrolled: 1-line block ×4, first 2 shown]
	v_fma_f64 v[26:27], v[26:27], v[30:31], -v[40:41]
	v_fma_f64 v[28:29], v[28:29], v[30:31], v[42:43]
	s_waitcnt lgkmcnt(2)
	v_mul_f64 v[48:49], v[24:25], v[3:4]
	v_mul_f64 v[3:4], v[22:23], v[3:4]
	s_waitcnt lgkmcnt(0)
	v_mul_f64 v[30:31], v[34:35], v[38:39]
	v_mul_f64 v[38:39], v[32:33], v[38:39]
	v_add_f64 v[14:15], v[14:15], v[44:45]
	v_add_f64 v[12:13], v[12:13], v[46:47]
	v_fma_f64 v[40:41], v[22:23], v[1:2], -v[48:49]
	v_fma_f64 v[42:43], v[24:25], v[1:2], v[3:4]
	v_fma_f64 v[30:31], v[32:33], v[36:37], -v[30:31]
	v_fma_f64 v[32:33], v[34:35], v[36:37], v[38:39]
	v_add_f64 v[44:45], v[14:15], v[26:27]
	v_add_f64 v[46:47], v[12:13], v[28:29]
	ds_load_b128 v[1:4], v18 offset:1024
	ds_load_b128 v[12:15], v19 offset:64
	ds_load_b128 v[22:25], v19 offset:80
	ds_load_b128 v[26:29], v18 offset:1280
	s_waitcnt lgkmcnt(2)
	v_mul_f64 v[48:49], v[14:15], v[3:4]
	v_mul_f64 v[3:4], v[12:13], v[3:4]
	s_waitcnt lgkmcnt(0)
	v_mul_f64 v[38:39], v[24:25], v[28:29]
	v_add_f64 v[34:35], v[44:45], v[40:41]
	v_add_f64 v[36:37], v[46:47], v[42:43]
	v_mul_f64 v[40:41], v[22:23], v[28:29]
	v_fma_f64 v[42:43], v[12:13], v[1:2], -v[48:49]
	v_fma_f64 v[44:45], v[14:15], v[1:2], v[3:4]
	v_fma_f64 v[22:23], v[22:23], v[26:27], -v[38:39]
	v_add_f64 v[46:47], v[34:35], v[30:31]
	v_add_f64 v[36:37], v[36:37], v[32:33]
	ds_load_b128 v[1:4], v18 offset:1536
	ds_load_b128 v[12:15], v19 offset:96
	;; [unrolled: 1-line block ×4, first 2 shown]
	v_fma_f64 v[24:25], v[24:25], v[26:27], v[40:41]
	s_waitcnt lgkmcnt(2)
	v_mul_f64 v[48:49], v[14:15], v[3:4]
	v_mul_f64 v[3:4], v[12:13], v[3:4]
	s_waitcnt lgkmcnt(0)
	v_mul_f64 v[38:39], v[30:31], v[34:35]
	v_mul_f64 v[40:41], v[28:29], v[34:35]
	v_add_f64 v[26:27], v[46:47], v[42:43]
	v_add_f64 v[36:37], v[36:37], v[44:45]
	v_fma_f64 v[42:43], v[12:13], v[1:2], -v[48:49]
	v_fma_f64 v[44:45], v[14:15], v[1:2], v[3:4]
	v_fma_f64 v[28:29], v[28:29], v[32:33], -v[38:39]
	v_fma_f64 v[30:31], v[30:31], v[32:33], v[40:41]
	v_add_f64 v[26:27], v[26:27], v[22:23]
	v_add_f64 v[46:47], v[36:37], v[24:25]
	ds_load_b128 v[1:4], v18 offset:2048
	ds_load_b128 v[12:15], v19 offset:128
	;; [unrolled: 1-line block ×4, first 2 shown]
	s_waitcnt lgkmcnt(2)
	v_mul_f64 v[48:49], v[14:15], v[3:4]
	v_mul_f64 v[3:4], v[12:13], v[3:4]
	s_waitcnt lgkmcnt(0)
	v_mul_f64 v[38:39], v[24:25], v[36:37]
	v_mul_f64 v[36:37], v[22:23], v[36:37]
	v_add_f64 v[26:27], v[26:27], v[42:43]
	v_add_f64 v[32:33], v[46:47], v[44:45]
	v_fma_f64 v[40:41], v[12:13], v[1:2], -v[48:49]
	v_fma_f64 v[42:43], v[14:15], v[1:2], v[3:4]
	v_fma_f64 v[22:23], v[22:23], v[34:35], -v[38:39]
	v_fma_f64 v[24:25], v[24:25], v[34:35], v[36:37]
	v_add_f64 v[44:45], v[26:27], v[28:29]
	v_add_f64 v[46:47], v[32:33], v[30:31]
	ds_load_b128 v[1:4], v18 offset:2560
	ds_load_b128 v[12:15], v19 offset:160
	ds_load_b128 v[26:29], v19 offset:176
	ds_load_b128 v[30:33], v18 offset:2816
	s_waitcnt lgkmcnt(2)
	v_mul_f64 v[48:49], v[14:15], v[3:4]
	v_mul_f64 v[3:4], v[12:13], v[3:4]
	s_waitcnt lgkmcnt(0)
	v_mul_f64 v[38:39], v[28:29], v[32:33]
	v_add_f64 v[34:35], v[44:45], v[40:41]
	v_add_f64 v[36:37], v[46:47], v[42:43]
	v_mul_f64 v[40:41], v[26:27], v[32:33]
	v_fma_f64 v[42:43], v[12:13], v[1:2], -v[48:49]
	v_fma_f64 v[44:45], v[14:15], v[1:2], v[3:4]
	v_fma_f64 v[26:27], v[26:27], v[30:31], -v[38:39]
	v_add_f64 v[46:47], v[34:35], v[22:23]
	v_add_f64 v[36:37], v[36:37], v[24:25]
	ds_load_b128 v[1:4], v18 offset:3072
	ds_load_b128 v[12:15], v19 offset:192
	;; [unrolled: 1-line block ×4, first 2 shown]
	v_fma_f64 v[28:29], v[28:29], v[30:31], v[40:41]
	s_waitcnt lgkmcnt(2)
	v_mul_f64 v[48:49], v[14:15], v[3:4]
	v_mul_f64 v[3:4], v[12:13], v[3:4]
	s_waitcnt lgkmcnt(0)
	v_mul_f64 v[38:39], v[24:25], v[34:35]
	v_mul_f64 v[40:41], v[22:23], v[34:35]
	v_add_f64 v[30:31], v[46:47], v[42:43]
	v_add_f64 v[36:37], v[36:37], v[44:45]
	v_fma_f64 v[42:43], v[12:13], v[1:2], -v[48:49]
	v_fma_f64 v[44:45], v[14:15], v[1:2], v[3:4]
	v_fma_f64 v[22:23], v[22:23], v[32:33], -v[38:39]
	v_fma_f64 v[24:25], v[24:25], v[32:33], v[40:41]
	v_add_f64 v[30:31], v[30:31], v[26:27]
	v_add_f64 v[46:47], v[36:37], v[28:29]
	ds_load_b128 v[1:4], v18 offset:3584
	ds_load_b128 v[12:15], v19 offset:224
	;; [unrolled: 1-line block ×4, first 2 shown]
	s_waitcnt lgkmcnt(0)
	s_barrier
	buffer_gl0_inv
	v_mul_f64 v[48:49], v[14:15], v[3:4]
	v_mul_f64 v[3:4], v[12:13], v[3:4]
	;; [unrolled: 1-line block ×4, first 2 shown]
	v_add_f64 v[30:31], v[30:31], v[42:43]
	v_add_f64 v[32:33], v[46:47], v[44:45]
	v_fma_f64 v[12:13], v[12:13], v[1:2], -v[48:49]
	v_fma_f64 v[1:2], v[14:15], v[1:2], v[3:4]
	s_delay_alu instid0(VALU_DEP_4) | instskip(NEXT) | instid1(VALU_DEP_4)
	v_add_f64 v[3:4], v[30:31], v[22:23]
	v_add_f64 v[14:15], v[32:33], v[24:25]
	v_fma_f64 v[22:23], v[26:27], v[34:35], -v[38:39]
	v_fma_f64 v[24:25], v[28:29], v[34:35], v[36:37]
	s_delay_alu instid0(VALU_DEP_4) | instskip(NEXT) | instid1(VALU_DEP_4)
	v_add_f64 v[3:4], v[3:4], v[12:13]
	v_add_f64 v[1:2], v[14:15], v[1:2]
	s_delay_alu instid0(VALU_DEP_2) | instskip(NEXT) | instid1(VALU_DEP_2)
	v_add_f64 v[14:15], v[3:4], v[22:23]
	v_add_f64 v[12:13], v[1:2], v[24:25]
	s_cbranch_scc1 .LBB745_9
.LBB745_3:                              ; =>This Inner Loop Header: Depth=1
	v_add_nc_u32_e32 v1, s11, v17
	s_delay_alu instid0(VALU_DEP_1) | instskip(NEXT) | instid1(VALU_DEP_1)
	v_cmp_le_i32_e64 s2, s17, v1
	s_or_b32 s2, s3, s2
	s_delay_alu instid0(SALU_CYCLE_1) | instskip(NEXT) | instid1(SALU_CYCLE_1)
	s_and_saveexec_b32 s10, s2
	s_xor_b32 s2, exec_lo, s10
	s_cbranch_execz .LBB745_5
; %bb.4:                                ;   in Loop: Header=BB745_3 Depth=1
	v_mov_b32_e32 v1, v0
	v_mov_b32_e32 v2, v0
	;; [unrolled: 1-line block ×3, first 2 shown]
	ds_store_b128 v20, v[0:3]
.LBB745_5:                              ;   in Loop: Header=BB745_3 Depth=1
	s_and_not1_saveexec_b32 s2, s2
	s_cbranch_execz .LBB745_7
; %bb.6:                                ;   in Loop: Header=BB745_3 Depth=1
	global_load_b128 v[1:4], v[8:9], off
	s_waitcnt vmcnt(0)
	ds_store_2addr_b64 v20, v[1:2], v[3:4] offset1:1
.LBB745_7:                              ;   in Loop: Header=BB745_3 Depth=1
	s_or_b32 exec_lo, exec_lo, s2
	v_add_nc_u32_e32 v3, s11, v16
	v_mov_b32_e32 v1, 0
	v_mov_b32_e32 v2, 0
	s_delay_alu instid0(VALU_DEP_3) | instskip(NEXT) | instid1(VALU_DEP_2)
	v_cmp_gt_i32_e64 s2, s17, v3
	v_dual_mov_b32 v4, v2 :: v_dual_mov_b32 v3, v1
	s_delay_alu instid0(VALU_DEP_2) | instskip(NEXT) | instid1(SALU_CYCLE_1)
	s_and_b32 s10, vcc_lo, s2
	s_and_saveexec_b32 s2, s10
	s_cbranch_execz .LBB745_2
; %bb.8:                                ;   in Loop: Header=BB745_3 Depth=1
	global_load_b128 v[1:4], v[10:11], off offset:-8
	s_branch .LBB745_2
.LBB745_9:
	v_cmp_le_i32_e32 vcc_lo, v7, v5
	v_cmp_gt_i32_e64 s2, s16, v5
	s_delay_alu instid0(VALU_DEP_1) | instskip(NEXT) | instid1(SALU_CYCLE_1)
	s_and_b32 s2, vcc_lo, s2
	s_and_saveexec_b32 s3, s2
	s_cbranch_execz .LBB745_11
; %bb.10:
	s_waitcnt lgkmcnt(0)
	s_delay_alu instid0(VALU_DEP_3)
	v_mul_f64 v[0:1], s[6:7], v[12:13]
	v_mul_f64 v[2:3], s[4:5], v[12:13]
	s_load_b32 s0, s[0:1], 0x60
	v_lshlrev_b64 v[4:5], 4, v[5:6]
	s_waitcnt lgkmcnt(0)
	v_mad_i64_i32 v[8:9], null, s0, v7, 0
	s_delay_alu instid0(VALU_DEP_1) | instskip(NEXT) | instid1(VALU_DEP_1)
	v_lshlrev_b64 v[7:8], 4, v[8:9]
	v_add_co_u32 v6, vcc_lo, s8, v7
	v_fma_f64 v[0:1], s[4:5], v[14:15], -v[0:1]
	v_fma_f64 v[2:3], s[6:7], v[14:15], v[2:3]
	s_delay_alu instid0(VALU_DEP_4) | instskip(NEXT) | instid1(VALU_DEP_4)
	v_add_co_ci_u32_e32 v7, vcc_lo, s9, v8, vcc_lo
	v_add_co_u32 v4, vcc_lo, v6, v4
	s_delay_alu instid0(VALU_DEP_2)
	v_add_co_ci_u32_e32 v5, vcc_lo, v7, v5, vcc_lo
	global_store_b128 v[4:5], v[0:3], off
.LBB745_11:
	s_nop 0
	s_sendmsg sendmsg(MSG_DEALLOC_VGPRS)
	s_endpgm
	.section	.rodata,"a",@progbits
	.p2align	6, 0x0
	.amdhsa_kernel _ZL32rocblas_syrkx_herkx_small_kernelIi19rocblas_complex_numIdELi16ELb1ELb0ELc78ELc76EKPKS1_KPS1_EviT_T0_PT6_S7_lSA_S7_lS8_PT7_S7_li
		.amdhsa_group_segment_fixed_size 8192
		.amdhsa_private_segment_fixed_size 0
		.amdhsa_kernarg_size 116
		.amdhsa_user_sgpr_count 13
		.amdhsa_user_sgpr_dispatch_ptr 0
		.amdhsa_user_sgpr_queue_ptr 0
		.amdhsa_user_sgpr_kernarg_segment_ptr 1
		.amdhsa_user_sgpr_dispatch_id 0
		.amdhsa_user_sgpr_private_segment_size 0
		.amdhsa_wavefront_size32 1
		.amdhsa_uses_dynamic_stack 0
		.amdhsa_enable_private_segment 0
		.amdhsa_system_sgpr_workgroup_id_x 1
		.amdhsa_system_sgpr_workgroup_id_y 1
		.amdhsa_system_sgpr_workgroup_id_z 1
		.amdhsa_system_sgpr_workgroup_info 0
		.amdhsa_system_vgpr_workitem_id 1
		.amdhsa_next_free_vgpr 50
		.amdhsa_next_free_sgpr 24
		.amdhsa_reserve_vcc 1
		.amdhsa_float_round_mode_32 0
		.amdhsa_float_round_mode_16_64 0
		.amdhsa_float_denorm_mode_32 3
		.amdhsa_float_denorm_mode_16_64 3
		.amdhsa_dx10_clamp 1
		.amdhsa_ieee_mode 1
		.amdhsa_fp16_overflow 0
		.amdhsa_workgroup_processor_mode 1
		.amdhsa_memory_ordered 1
		.amdhsa_forward_progress 0
		.amdhsa_shared_vgpr_count 0
		.amdhsa_exception_fp_ieee_invalid_op 0
		.amdhsa_exception_fp_denorm_src 0
		.amdhsa_exception_fp_ieee_div_zero 0
		.amdhsa_exception_fp_ieee_overflow 0
		.amdhsa_exception_fp_ieee_underflow 0
		.amdhsa_exception_fp_ieee_inexact 0
		.amdhsa_exception_int_div_zero 0
	.end_amdhsa_kernel
	.section	.text._ZL32rocblas_syrkx_herkx_small_kernelIi19rocblas_complex_numIdELi16ELb1ELb0ELc78ELc76EKPKS1_KPS1_EviT_T0_PT6_S7_lSA_S7_lS8_PT7_S7_li,"axG",@progbits,_ZL32rocblas_syrkx_herkx_small_kernelIi19rocblas_complex_numIdELi16ELb1ELb0ELc78ELc76EKPKS1_KPS1_EviT_T0_PT6_S7_lSA_S7_lS8_PT7_S7_li,comdat
.Lfunc_end745:
	.size	_ZL32rocblas_syrkx_herkx_small_kernelIi19rocblas_complex_numIdELi16ELb1ELb0ELc78ELc76EKPKS1_KPS1_EviT_T0_PT6_S7_lSA_S7_lS8_PT7_S7_li, .Lfunc_end745-_ZL32rocblas_syrkx_herkx_small_kernelIi19rocblas_complex_numIdELi16ELb1ELb0ELc78ELc76EKPKS1_KPS1_EviT_T0_PT6_S7_lSA_S7_lS8_PT7_S7_li
                                        ; -- End function
	.section	.AMDGPU.csdata,"",@progbits
; Kernel info:
; codeLenInByte = 1948
; NumSgprs: 26
; NumVgprs: 50
; ScratchSize: 0
; MemoryBound: 1
; FloatMode: 240
; IeeeMode: 1
; LDSByteSize: 8192 bytes/workgroup (compile time only)
; SGPRBlocks: 3
; VGPRBlocks: 6
; NumSGPRsForWavesPerEU: 26
; NumVGPRsForWavesPerEU: 50
; Occupancy: 16
; WaveLimiterHint : 1
; COMPUTE_PGM_RSRC2:SCRATCH_EN: 0
; COMPUTE_PGM_RSRC2:USER_SGPR: 13
; COMPUTE_PGM_RSRC2:TRAP_HANDLER: 0
; COMPUTE_PGM_RSRC2:TGID_X_EN: 1
; COMPUTE_PGM_RSRC2:TGID_Y_EN: 1
; COMPUTE_PGM_RSRC2:TGID_Z_EN: 1
; COMPUTE_PGM_RSRC2:TIDIG_COMP_CNT: 1
	.section	.text._ZL32rocblas_syrkx_herkx_small_kernelIi19rocblas_complex_numIdELi16ELb1ELb0ELc84ELc85EKPKS1_KPS1_EviT_T0_PT6_S7_lSA_S7_lS8_PT7_S7_li,"axG",@progbits,_ZL32rocblas_syrkx_herkx_small_kernelIi19rocblas_complex_numIdELi16ELb1ELb0ELc84ELc85EKPKS1_KPS1_EviT_T0_PT6_S7_lSA_S7_lS8_PT7_S7_li,comdat
	.globl	_ZL32rocblas_syrkx_herkx_small_kernelIi19rocblas_complex_numIdELi16ELb1ELb0ELc84ELc85EKPKS1_KPS1_EviT_T0_PT6_S7_lSA_S7_lS8_PT7_S7_li ; -- Begin function _ZL32rocblas_syrkx_herkx_small_kernelIi19rocblas_complex_numIdELi16ELb1ELb0ELc84ELc85EKPKS1_KPS1_EviT_T0_PT6_S7_lSA_S7_lS8_PT7_S7_li
	.p2align	8
	.type	_ZL32rocblas_syrkx_herkx_small_kernelIi19rocblas_complex_numIdELi16ELb1ELb0ELc84ELc85EKPKS1_KPS1_EviT_T0_PT6_S7_lSA_S7_lS8_PT7_S7_li,@function
_ZL32rocblas_syrkx_herkx_small_kernelIi19rocblas_complex_numIdELi16ELb1ELb0ELc84ELc85EKPKS1_KPS1_EviT_T0_PT6_S7_lSA_S7_lS8_PT7_S7_li: ; @_ZL32rocblas_syrkx_herkx_small_kernelIi19rocblas_complex_numIdELi16ELb1ELb0ELc84ELc85EKPKS1_KPS1_EviT_T0_PT6_S7_lSA_S7_lS8_PT7_S7_li
; %bb.0:
	s_clause 0x1
	s_load_b64 s[2:3], s[0:1], 0x58
	s_load_b64 s[20:21], s[0:1], 0x18
	s_mov_b32 s10, s15
	s_mov_b32 s11, 0
	s_load_b64 s[16:17], s[0:1], 0x0
	s_lshl_b64 s[18:19], s[10:11], 3
	v_bfe_u32 v14, v0, 10, 10
	v_mov_b32_e32 v9, 0
	v_dual_mov_b32 v10, 0 :: v_dual_and_b32 v15, 0x3ff, v0
	s_delay_alu instid0(VALU_DEP_3) | instskip(NEXT) | instid1(VALU_DEP_2)
	v_lshl_add_u32 v13, s14, 4, v14
	v_lshl_add_u32 v4, s13, 4, v15
	s_delay_alu instid0(VALU_DEP_3)
	v_dual_mov_b32 v12, v10 :: v_dual_mov_b32 v11, v9
	s_waitcnt lgkmcnt(0)
	s_add_u32 s2, s2, s18
	s_addc_u32 s3, s3, s19
	s_load_b128 s[4:7], s[0:1], 0x8
	s_load_b64 s[8:9], s[2:3], 0x0
	v_cmp_gt_i32_e32 vcc_lo, s16, v13
	s_cmp_lt_i32 s17, 1
	s_cbranch_scc1 .LBB746_11
; %bb.1:
	s_clause 0x2
	s_load_b64 s[12:13], s[0:1], 0x30
	s_load_b32 s3, s[0:1], 0x38
	s_load_b32 s10, s[0:1], 0x20
	v_lshlrev_b32_e32 v7, 8, v14
	v_dual_mov_b32 v9, 0 :: v_dual_lshlrev_b32 v16, 4, v15
	v_mov_b32_e32 v10, 0
	v_lshlrev_b32_e32 v8, 4, v14
	s_delay_alu instid0(VALU_DEP_4)
	v_add_nc_u32_e32 v17, 0x1000, v7
	v_cmp_gt_i32_e64 s2, s16, v4
	v_add_nc_u32_e32 v18, v16, v7
	v_dual_mov_b32 v12, v10 :: v_dual_mov_b32 v11, v9
	s_waitcnt lgkmcnt(0)
	s_add_u32 s12, s12, s18
	s_addc_u32 s13, s13, s19
	v_mad_i64_i32 v[0:1], null, s3, v13, 0
	s_load_b64 s[12:13], s[12:13], 0x0
	s_add_u32 s14, s20, s18
	s_addc_u32 s15, s21, s19
	v_mad_i64_i32 v[2:3], null, s10, v4, 0
	s_load_b64 s[14:15], s[14:15], 0x0
	s_delay_alu instid0(VALU_DEP_2) | instskip(SKIP_2) | instid1(VALU_DEP_3)
	v_lshlrev_b64 v[5:6], 4, v[0:1]
	v_dual_mov_b32 v0, 0 :: v_dual_add_nc_u32 v19, v17, v16
	s_xor_b32 s2, s2, -1
	v_lshlrev_b64 v[1:2], 4, v[2:3]
	s_delay_alu instid0(VALU_DEP_3) | instskip(NEXT) | instid1(VALU_DEP_1)
	v_add_co_u32 v3, s3, v5, v16
	v_add_co_ci_u32_e64 v6, s3, 0, v6, s3
	s_delay_alu instid0(VALU_DEP_3) | instskip(NEXT) | instid1(VALU_DEP_1)
	v_add_co_u32 v1, s3, v1, v8
	v_add_co_ci_u32_e64 v2, s3, 0, v2, s3
	s_waitcnt lgkmcnt(0)
	v_add_co_u32 v5, s3, s12, v3
	s_delay_alu instid0(VALU_DEP_1) | instskip(SKIP_1) | instid1(VALU_DEP_1)
	v_add_co_ci_u32_e64 v6, s3, s13, v6, s3
	v_add_co_u32 v7, s3, s14, v1
	v_add_co_ci_u32_e64 v8, s3, s15, v2, s3
	s_xor_b32 s3, vcc_lo, -1
	s_branch .LBB746_3
.LBB746_2:                              ;   in Loop: Header=BB746_3 Depth=1
	s_or_b32 exec_lo, exec_lo, s10
	s_waitcnt lgkmcnt(0)
	s_barrier
	buffer_gl0_inv
	ds_load_b128 v[20:23], v16
	ds_load_b128 v[24:27], v17
	ds_load_b128 v[28:31], v17 offset:16
	ds_load_b128 v[32:35], v16 offset:256
	v_add_co_u32 v5, vcc_lo, 0x100, v5
	v_add_co_ci_u32_e32 v6, vcc_lo, 0, v6, vcc_lo
	v_add_co_u32 v7, vcc_lo, 0x100, v7
	v_add_co_ci_u32_e32 v8, vcc_lo, 0, v8, vcc_lo
	s_add_i32 s11, s11, 16
	s_delay_alu instid0(SALU_CYCLE_1)
	s_cmp_ge_i32 s11, s17
	s_waitcnt lgkmcnt(2)
	v_mul_f64 v[1:2], v[26:27], v[22:23]
	v_mul_f64 v[22:23], v[24:25], v[22:23]
	s_waitcnt lgkmcnt(0)
	v_mul_f64 v[42:43], v[30:31], v[34:35]
	v_mul_f64 v[44:45], v[28:29], v[34:35]
	s_delay_alu instid0(VALU_DEP_4) | instskip(NEXT) | instid1(VALU_DEP_4)
	v_fma_f64 v[1:2], v[24:25], v[20:21], -v[1:2]
	v_fma_f64 v[46:47], v[26:27], v[20:21], v[22:23]
	ds_load_b128 v[20:23], v16 offset:512
	ds_load_b128 v[24:27], v17 offset:32
	;; [unrolled: 1-line block ×4, first 2 shown]
	v_fma_f64 v[28:29], v[28:29], v[32:33], -v[42:43]
	v_fma_f64 v[30:31], v[30:31], v[32:33], v[44:45]
	s_waitcnt lgkmcnt(2)
	v_mul_f64 v[48:49], v[26:27], v[22:23]
	v_mul_f64 v[22:23], v[24:25], v[22:23]
	s_waitcnt lgkmcnt(0)
	v_mul_f64 v[32:33], v[36:37], v[40:41]
	v_mul_f64 v[40:41], v[34:35], v[40:41]
	v_add_f64 v[1:2], v[11:12], v[1:2]
	v_add_f64 v[9:10], v[9:10], v[46:47]
	v_fma_f64 v[42:43], v[24:25], v[20:21], -v[48:49]
	v_fma_f64 v[44:45], v[26:27], v[20:21], v[22:23]
	v_fma_f64 v[32:33], v[34:35], v[38:39], -v[32:33]
	v_fma_f64 v[34:35], v[36:37], v[38:39], v[40:41]
	v_add_f64 v[1:2], v[1:2], v[28:29]
	v_add_f64 v[46:47], v[9:10], v[30:31]
	ds_load_b128 v[9:12], v16 offset:1024
	ds_load_b128 v[20:23], v17 offset:64
	;; [unrolled: 1-line block ×4, first 2 shown]
	s_waitcnt lgkmcnt(2)
	v_mul_f64 v[48:49], v[22:23], v[11:12]
	v_mul_f64 v[11:12], v[20:21], v[11:12]
	s_waitcnt lgkmcnt(0)
	v_mul_f64 v[38:39], v[26:27], v[30:31]
	v_mul_f64 v[40:41], v[24:25], v[30:31]
	v_add_f64 v[1:2], v[1:2], v[42:43]
	v_add_f64 v[36:37], v[46:47], v[44:45]
	v_fma_f64 v[42:43], v[20:21], v[9:10], -v[48:49]
	v_fma_f64 v[44:45], v[22:23], v[9:10], v[11:12]
	v_fma_f64 v[24:25], v[24:25], v[28:29], -v[38:39]
	v_fma_f64 v[26:27], v[26:27], v[28:29], v[40:41]
	v_add_f64 v[1:2], v[1:2], v[32:33]
	v_add_f64 v[46:47], v[36:37], v[34:35]
	ds_load_b128 v[9:12], v16 offset:1536
	ds_load_b128 v[20:23], v17 offset:96
	;; [unrolled: 1-line block ×4, first 2 shown]
	s_waitcnt lgkmcnt(2)
	v_mul_f64 v[48:49], v[22:23], v[11:12]
	v_mul_f64 v[11:12], v[20:21], v[11:12]
	s_waitcnt lgkmcnt(0)
	v_mul_f64 v[40:41], v[32:33], v[36:37]
	v_add_f64 v[1:2], v[1:2], v[42:43]
	v_add_f64 v[28:29], v[46:47], v[44:45]
	v_mul_f64 v[42:43], v[30:31], v[36:37]
	v_fma_f64 v[44:45], v[20:21], v[9:10], -v[48:49]
	v_fma_f64 v[46:47], v[22:23], v[9:10], v[11:12]
	v_fma_f64 v[30:31], v[30:31], v[34:35], -v[40:41]
	v_add_f64 v[1:2], v[1:2], v[24:25]
	v_add_f64 v[28:29], v[28:29], v[26:27]
	ds_load_b128 v[9:12], v16 offset:2048
	ds_load_b128 v[20:23], v17 offset:128
	;; [unrolled: 1-line block ×4, first 2 shown]
	v_fma_f64 v[32:33], v[32:33], v[34:35], v[42:43]
	s_waitcnt lgkmcnt(2)
	v_mul_f64 v[48:49], v[22:23], v[11:12]
	v_mul_f64 v[11:12], v[20:21], v[11:12]
	s_waitcnt lgkmcnt(0)
	v_mul_f64 v[40:41], v[26:27], v[38:39]
	v_mul_f64 v[38:39], v[24:25], v[38:39]
	v_add_f64 v[1:2], v[1:2], v[44:45]
	v_add_f64 v[28:29], v[28:29], v[46:47]
	v_fma_f64 v[42:43], v[20:21], v[9:10], -v[48:49]
	v_fma_f64 v[44:45], v[22:23], v[9:10], v[11:12]
	v_fma_f64 v[24:25], v[24:25], v[36:37], -v[40:41]
	v_fma_f64 v[26:27], v[26:27], v[36:37], v[38:39]
	v_add_f64 v[1:2], v[1:2], v[30:31]
	v_add_f64 v[46:47], v[28:29], v[32:33]
	ds_load_b128 v[9:12], v16 offset:2560
	ds_load_b128 v[20:23], v17 offset:160
	ds_load_b128 v[28:31], v17 offset:176
	ds_load_b128 v[32:35], v16 offset:2816
	s_waitcnt lgkmcnt(2)
	v_mul_f64 v[48:49], v[22:23], v[11:12]
	v_mul_f64 v[11:12], v[20:21], v[11:12]
	s_waitcnt lgkmcnt(0)
	v_mul_f64 v[38:39], v[30:31], v[34:35]
	v_mul_f64 v[40:41], v[28:29], v[34:35]
	v_add_f64 v[1:2], v[1:2], v[42:43]
	v_add_f64 v[36:37], v[46:47], v[44:45]
	v_fma_f64 v[42:43], v[20:21], v[9:10], -v[48:49]
	v_fma_f64 v[44:45], v[22:23], v[9:10], v[11:12]
	v_fma_f64 v[28:29], v[28:29], v[32:33], -v[38:39]
	v_fma_f64 v[30:31], v[30:31], v[32:33], v[40:41]
	v_add_f64 v[1:2], v[1:2], v[24:25]
	v_add_f64 v[46:47], v[36:37], v[26:27]
	ds_load_b128 v[9:12], v16 offset:3072
	ds_load_b128 v[20:23], v17 offset:192
	;; [unrolled: 1-line block ×4, first 2 shown]
	s_waitcnt lgkmcnt(2)
	v_mul_f64 v[48:49], v[22:23], v[11:12]
	v_mul_f64 v[11:12], v[20:21], v[11:12]
	s_waitcnt lgkmcnt(0)
	v_mul_f64 v[40:41], v[26:27], v[36:37]
	v_add_f64 v[1:2], v[1:2], v[42:43]
	v_add_f64 v[32:33], v[46:47], v[44:45]
	v_mul_f64 v[42:43], v[24:25], v[36:37]
	v_fma_f64 v[44:45], v[20:21], v[9:10], -v[48:49]
	v_fma_f64 v[46:47], v[22:23], v[9:10], v[11:12]
	v_fma_f64 v[24:25], v[24:25], v[34:35], -v[40:41]
	v_add_f64 v[1:2], v[1:2], v[28:29]
	v_add_f64 v[32:33], v[32:33], v[30:31]
	ds_load_b128 v[9:12], v16 offset:3584
	ds_load_b128 v[20:23], v17 offset:224
	;; [unrolled: 1-line block ×4, first 2 shown]
	v_fma_f64 v[26:27], v[26:27], v[34:35], v[42:43]
	s_waitcnt lgkmcnt(0)
	s_barrier
	buffer_gl0_inv
	v_mul_f64 v[48:49], v[22:23], v[11:12]
	v_mul_f64 v[11:12], v[20:21], v[11:12]
	;; [unrolled: 1-line block ×4, first 2 shown]
	v_add_f64 v[1:2], v[1:2], v[44:45]
	v_add_f64 v[32:33], v[32:33], v[46:47]
	v_fma_f64 v[20:21], v[20:21], v[9:10], -v[48:49]
	v_fma_f64 v[9:10], v[22:23], v[9:10], v[11:12]
	v_fma_f64 v[22:23], v[28:29], v[36:37], -v[34:35]
	v_add_f64 v[1:2], v[1:2], v[24:25]
	v_add_f64 v[11:12], v[32:33], v[26:27]
	v_fma_f64 v[24:25], v[30:31], v[36:37], v[38:39]
	s_delay_alu instid0(VALU_DEP_3) | instskip(NEXT) | instid1(VALU_DEP_3)
	v_add_f64 v[1:2], v[1:2], v[20:21]
	v_add_f64 v[9:10], v[11:12], v[9:10]
	s_delay_alu instid0(VALU_DEP_2) | instskip(NEXT) | instid1(VALU_DEP_2)
	v_add_f64 v[11:12], v[1:2], v[22:23]
	v_add_f64 v[9:10], v[9:10], v[24:25]
	s_cbranch_scc1 .LBB746_11
.LBB746_3:                              ; =>This Inner Loop Header: Depth=1
	v_add_nc_u32_e32 v1, s11, v14
	s_delay_alu instid0(VALU_DEP_1) | instskip(SKIP_1) | instid1(SALU_CYCLE_1)
	v_cmp_le_i32_e32 vcc_lo, s17, v1
	s_or_b32 s10, s2, vcc_lo
	s_and_saveexec_b32 s12, s10
	s_delay_alu instid0(SALU_CYCLE_1)
	s_xor_b32 s10, exec_lo, s12
	s_cbranch_execz .LBB746_5
; %bb.4:                                ;   in Loop: Header=BB746_3 Depth=1
	v_mov_b32_e32 v1, v0
	v_mov_b32_e32 v2, v0
	;; [unrolled: 1-line block ×3, first 2 shown]
	ds_store_b128 v18, v[0:3]
.LBB746_5:                              ;   in Loop: Header=BB746_3 Depth=1
	s_and_not1_saveexec_b32 s10, s10
	s_cbranch_execz .LBB746_7
; %bb.6:                                ;   in Loop: Header=BB746_3 Depth=1
	global_load_b128 v[20:23], v[7:8], off
	s_waitcnt vmcnt(0)
	ds_store_2addr_b64 v18, v[20:21], v[22:23] offset1:1
.LBB746_7:                              ;   in Loop: Header=BB746_3 Depth=1
	s_or_b32 exec_lo, exec_lo, s10
	v_add_nc_u32_e32 v1, s11, v15
	s_delay_alu instid0(VALU_DEP_1) | instskip(SKIP_1) | instid1(SALU_CYCLE_1)
	v_cmp_le_i32_e32 vcc_lo, s17, v1
	s_or_b32 s10, s3, vcc_lo
	s_and_saveexec_b32 s12, s10
	s_delay_alu instid0(SALU_CYCLE_1)
	s_xor_b32 s10, exec_lo, s12
	s_cbranch_execz .LBB746_9
; %bb.8:                                ;   in Loop: Header=BB746_3 Depth=1
	v_mov_b32_e32 v1, v0
	v_mov_b32_e32 v2, v0
	v_mov_b32_e32 v3, v0
	ds_store_b128 v19, v[0:3]
.LBB746_9:                              ;   in Loop: Header=BB746_3 Depth=1
	s_and_not1_saveexec_b32 s10, s10
	s_cbranch_execz .LBB746_2
; %bb.10:                               ;   in Loop: Header=BB746_3 Depth=1
	global_load_b128 v[20:23], v[5:6], off
	s_waitcnt vmcnt(0)
	ds_store_2addr_b64 v19, v[20:21], v[22:23] offset1:1
	s_branch .LBB746_2
.LBB746_11:
	v_cmp_le_i32_e32 vcc_lo, v4, v13
	v_cmp_gt_i32_e64 s2, s16, v13
	s_delay_alu instid0(VALU_DEP_1) | instskip(NEXT) | instid1(SALU_CYCLE_1)
	s_and_b32 s2, vcc_lo, s2
	s_and_saveexec_b32 s3, s2
	s_cbranch_execz .LBB746_13
; %bb.12:
	s_waitcnt lgkmcnt(0)
	s_delay_alu instid0(VALU_DEP_3) | instskip(SKIP_3) | instid1(VALU_DEP_1)
	v_mul_f64 v[0:1], s[6:7], v[9:10]
	v_mul_f64 v[2:3], s[4:5], v[9:10]
	s_load_b32 s0, s[0:1], 0x60
	v_ashrrev_i32_e32 v5, 31, v4
	v_lshlrev_b64 v[4:5], 4, v[4:5]
	s_waitcnt lgkmcnt(0)
	v_mad_i64_i32 v[6:7], null, s0, v13, 0
	s_delay_alu instid0(VALU_DEP_1) | instskip(NEXT) | instid1(VALU_DEP_1)
	v_lshlrev_b64 v[6:7], 4, v[6:7]
	v_add_co_u32 v6, vcc_lo, s8, v6
	v_fma_f64 v[0:1], s[4:5], v[11:12], -v[0:1]
	v_fma_f64 v[2:3], s[6:7], v[11:12], v[2:3]
	s_delay_alu instid0(VALU_DEP_4) | instskip(NEXT) | instid1(VALU_DEP_4)
	v_add_co_ci_u32_e32 v7, vcc_lo, s9, v7, vcc_lo
	v_add_co_u32 v4, vcc_lo, v6, v4
	s_delay_alu instid0(VALU_DEP_2)
	v_add_co_ci_u32_e32 v5, vcc_lo, v7, v5, vcc_lo
	global_store_b128 v[4:5], v[0:3], off
.LBB746_13:
	s_nop 0
	s_sendmsg sendmsg(MSG_DEALLOC_VGPRS)
	s_endpgm
	.section	.rodata,"a",@progbits
	.p2align	6, 0x0
	.amdhsa_kernel _ZL32rocblas_syrkx_herkx_small_kernelIi19rocblas_complex_numIdELi16ELb1ELb0ELc84ELc85EKPKS1_KPS1_EviT_T0_PT6_S7_lSA_S7_lS8_PT7_S7_li
		.amdhsa_group_segment_fixed_size 8192
		.amdhsa_private_segment_fixed_size 0
		.amdhsa_kernarg_size 116
		.amdhsa_user_sgpr_count 13
		.amdhsa_user_sgpr_dispatch_ptr 0
		.amdhsa_user_sgpr_queue_ptr 0
		.amdhsa_user_sgpr_kernarg_segment_ptr 1
		.amdhsa_user_sgpr_dispatch_id 0
		.amdhsa_user_sgpr_private_segment_size 0
		.amdhsa_wavefront_size32 1
		.amdhsa_uses_dynamic_stack 0
		.amdhsa_enable_private_segment 0
		.amdhsa_system_sgpr_workgroup_id_x 1
		.amdhsa_system_sgpr_workgroup_id_y 1
		.amdhsa_system_sgpr_workgroup_id_z 1
		.amdhsa_system_sgpr_workgroup_info 0
		.amdhsa_system_vgpr_workitem_id 1
		.amdhsa_next_free_vgpr 50
		.amdhsa_next_free_sgpr 22
		.amdhsa_reserve_vcc 1
		.amdhsa_float_round_mode_32 0
		.amdhsa_float_round_mode_16_64 0
		.amdhsa_float_denorm_mode_32 3
		.amdhsa_float_denorm_mode_16_64 3
		.amdhsa_dx10_clamp 1
		.amdhsa_ieee_mode 1
		.amdhsa_fp16_overflow 0
		.amdhsa_workgroup_processor_mode 1
		.amdhsa_memory_ordered 1
		.amdhsa_forward_progress 0
		.amdhsa_shared_vgpr_count 0
		.amdhsa_exception_fp_ieee_invalid_op 0
		.amdhsa_exception_fp_denorm_src 0
		.amdhsa_exception_fp_ieee_div_zero 0
		.amdhsa_exception_fp_ieee_overflow 0
		.amdhsa_exception_fp_ieee_underflow 0
		.amdhsa_exception_fp_ieee_inexact 0
		.amdhsa_exception_int_div_zero 0
	.end_amdhsa_kernel
	.section	.text._ZL32rocblas_syrkx_herkx_small_kernelIi19rocblas_complex_numIdELi16ELb1ELb0ELc84ELc85EKPKS1_KPS1_EviT_T0_PT6_S7_lSA_S7_lS8_PT7_S7_li,"axG",@progbits,_ZL32rocblas_syrkx_herkx_small_kernelIi19rocblas_complex_numIdELi16ELb1ELb0ELc84ELc85EKPKS1_KPS1_EviT_T0_PT6_S7_lSA_S7_lS8_PT7_S7_li,comdat
.Lfunc_end746:
	.size	_ZL32rocblas_syrkx_herkx_small_kernelIi19rocblas_complex_numIdELi16ELb1ELb0ELc84ELc85EKPKS1_KPS1_EviT_T0_PT6_S7_lSA_S7_lS8_PT7_S7_li, .Lfunc_end746-_ZL32rocblas_syrkx_herkx_small_kernelIi19rocblas_complex_numIdELi16ELb1ELb0ELc84ELc85EKPKS1_KPS1_EviT_T0_PT6_S7_lSA_S7_lS8_PT7_S7_li
                                        ; -- End function
	.section	.AMDGPU.csdata,"",@progbits
; Kernel info:
; codeLenInByte = 1896
; NumSgprs: 24
; NumVgprs: 50
; ScratchSize: 0
; MemoryBound: 0
; FloatMode: 240
; IeeeMode: 1
; LDSByteSize: 8192 bytes/workgroup (compile time only)
; SGPRBlocks: 2
; VGPRBlocks: 6
; NumSGPRsForWavesPerEU: 24
; NumVGPRsForWavesPerEU: 50
; Occupancy: 16
; WaveLimiterHint : 1
; COMPUTE_PGM_RSRC2:SCRATCH_EN: 0
; COMPUTE_PGM_RSRC2:USER_SGPR: 13
; COMPUTE_PGM_RSRC2:TRAP_HANDLER: 0
; COMPUTE_PGM_RSRC2:TGID_X_EN: 1
; COMPUTE_PGM_RSRC2:TGID_Y_EN: 1
; COMPUTE_PGM_RSRC2:TGID_Z_EN: 1
; COMPUTE_PGM_RSRC2:TIDIG_COMP_CNT: 1
	.section	.text._ZL32rocblas_syrkx_herkx_small_kernelIi19rocblas_complex_numIdELi16ELb1ELb0ELc67ELc85EKPKS1_KPS1_EviT_T0_PT6_S7_lSA_S7_lS8_PT7_S7_li,"axG",@progbits,_ZL32rocblas_syrkx_herkx_small_kernelIi19rocblas_complex_numIdELi16ELb1ELb0ELc67ELc85EKPKS1_KPS1_EviT_T0_PT6_S7_lSA_S7_lS8_PT7_S7_li,comdat
	.globl	_ZL32rocblas_syrkx_herkx_small_kernelIi19rocblas_complex_numIdELi16ELb1ELb0ELc67ELc85EKPKS1_KPS1_EviT_T0_PT6_S7_lSA_S7_lS8_PT7_S7_li ; -- Begin function _ZL32rocblas_syrkx_herkx_small_kernelIi19rocblas_complex_numIdELi16ELb1ELb0ELc67ELc85EKPKS1_KPS1_EviT_T0_PT6_S7_lSA_S7_lS8_PT7_S7_li
	.p2align	8
	.type	_ZL32rocblas_syrkx_herkx_small_kernelIi19rocblas_complex_numIdELi16ELb1ELb0ELc67ELc85EKPKS1_KPS1_EviT_T0_PT6_S7_lSA_S7_lS8_PT7_S7_li,@function
_ZL32rocblas_syrkx_herkx_small_kernelIi19rocblas_complex_numIdELi16ELb1ELb0ELc67ELc85EKPKS1_KPS1_EviT_T0_PT6_S7_lSA_S7_lS8_PT7_S7_li: ; @_ZL32rocblas_syrkx_herkx_small_kernelIi19rocblas_complex_numIdELi16ELb1ELb0ELc67ELc85EKPKS1_KPS1_EviT_T0_PT6_S7_lSA_S7_lS8_PT7_S7_li
; %bb.0:
	s_clause 0x1
	s_load_b64 s[2:3], s[0:1], 0x58
	s_load_b64 s[20:21], s[0:1], 0x18
	s_mov_b32 s10, s15
	s_mov_b32 s11, 0
	s_load_b64 s[16:17], s[0:1], 0x0
	s_lshl_b64 s[18:19], s[10:11], 3
	v_bfe_u32 v17, v0, 10, 10
	v_mov_b32_e32 v12, 0
	v_dual_mov_b32 v13, 0 :: v_dual_and_b32 v18, 0x3ff, v0
	s_delay_alu instid0(VALU_DEP_3) | instskip(NEXT) | instid1(VALU_DEP_2)
	v_lshl_add_u32 v16, s14, 4, v17
	v_lshl_add_u32 v5, s13, 4, v18
	s_delay_alu instid0(VALU_DEP_3)
	v_dual_mov_b32 v15, v13 :: v_dual_mov_b32 v14, v12
	s_waitcnt lgkmcnt(0)
	s_add_u32 s2, s2, s18
	s_addc_u32 s3, s3, s19
	s_load_b128 s[4:7], s[0:1], 0x8
	s_load_b64 s[8:9], s[2:3], 0x0
	v_cmp_gt_i32_e64 s2, s16, v16
	s_cmp_lt_i32 s17, 1
	s_cbranch_scc1 .LBB747_9
; %bb.1:
	s_clause 0x2
	s_load_b64 s[12:13], s[0:1], 0x30
	s_load_b32 s3, s[0:1], 0x20
	s_load_b32 s10, s[0:1], 0x38
	v_dual_mov_b32 v0, 0 :: v_dual_lshlrev_b32 v9, 4, v17
	v_dual_mov_b32 v6, 0 :: v_dual_lshlrev_b32 v19, 4, v18
	;; [unrolled: 1-line block ×3, first 2 shown]
	v_cmp_gt_i32_e32 vcc_lo, s16, v5
	s_delay_alu instid0(VALU_DEP_2) | instskip(NEXT) | instid1(VALU_DEP_4)
	v_dual_mov_b32 v13, v7 :: v_dual_add_nc_u32 v20, 0x1000, v8
	v_dual_mov_b32 v12, v6 :: v_dual_add_nc_u32 v21, v19, v8
	s_delay_alu instid0(VALU_DEP_2)
	v_dual_mov_b32 v15, v7 :: v_dual_add_nc_u32 v22, v20, v19
	v_mov_b32_e32 v14, v6
	s_waitcnt lgkmcnt(0)
	s_add_u32 s12, s12, s18
	s_addc_u32 s13, s13, s19
	s_add_u32 s14, s20, s18
	s_addc_u32 s15, s21, s19
	v_mad_i64_i32 v[1:2], null, s3, v5, 0
	s_load_b64 s[14:15], s[14:15], 0x0
	v_mad_i64_i32 v[3:4], null, s10, v16, 0
	s_load_b64 s[12:13], s[12:13], 0x0
	s_delay_alu instid0(VALU_DEP_2) | instskip(NEXT) | instid1(VALU_DEP_2)
	v_lshlrev_b64 v[1:2], 4, v[1:2]
	v_lshlrev_b64 v[3:4], 4, v[3:4]
	s_delay_alu instid0(VALU_DEP_2) | instskip(NEXT) | instid1(VALU_DEP_1)
	v_add_co_u32 v1, s3, v1, v9
	v_add_co_ci_u32_e64 v2, s3, 0, v2, s3
	s_delay_alu instid0(VALU_DEP_3) | instskip(NEXT) | instid1(VALU_DEP_1)
	v_add_co_u32 v3, s3, v3, v19
	v_add_co_ci_u32_e64 v4, s3, 0, v4, s3
	s_waitcnt lgkmcnt(0)
	v_add_co_u32 v1, s3, v1, s14
	s_delay_alu instid0(VALU_DEP_1) | instskip(SKIP_1) | instid1(VALU_DEP_1)
	v_add_co_ci_u32_e64 v2, s3, s15, v2, s3
	v_add_co_u32 v8, s3, s12, v3
	v_add_co_ci_u32_e64 v9, s3, s13, v4, s3
	s_delay_alu instid0(VALU_DEP_4) | instskip(NEXT) | instid1(VALU_DEP_1)
	v_add_co_u32 v10, s3, v1, 8
	v_add_co_ci_u32_e64 v11, s3, 0, v2, s3
	s_xor_b32 s3, s2, -1
	s_branch .LBB747_3
.LBB747_2:                              ;   in Loop: Header=BB747_3 Depth=1
	s_or_b32 exec_lo, exec_lo, s2
	s_waitcnt lgkmcnt(0)
	s_barrier
	buffer_gl0_inv
	ds_load_b128 v[1:4], v19
	ds_load_b128 v[23:26], v20
	ds_load_b128 v[27:30], v20 offset:16
	ds_load_b128 v[31:34], v19 offset:256
	v_add_co_u32 v8, s2, 0x100, v8
	s_delay_alu instid0(VALU_DEP_1) | instskip(SKIP_1) | instid1(VALU_DEP_1)
	v_add_co_ci_u32_e64 v9, s2, 0, v9, s2
	v_add_co_u32 v10, s2, 0x100, v10
	v_add_co_ci_u32_e64 v11, s2, 0, v11, s2
	s_add_i32 s11, s11, 16
	s_delay_alu instid0(SALU_CYCLE_1)
	s_cmp_ge_i32 s11, s17
	s_waitcnt lgkmcnt(2)
	v_mul_f64 v[35:36], v[25:26], v[3:4]
	v_mul_f64 v[3:4], v[23:24], v[3:4]
	s_waitcnt lgkmcnt(0)
	v_mul_f64 v[41:42], v[29:30], v[33:34]
	v_mul_f64 v[43:44], v[27:28], v[33:34]
	s_delay_alu instid0(VALU_DEP_4) | instskip(NEXT) | instid1(VALU_DEP_4)
	v_fma_f64 v[45:46], v[23:24], v[1:2], -v[35:36]
	v_fma_f64 v[47:48], v[25:26], v[1:2], v[3:4]
	ds_load_b128 v[1:4], v19 offset:512
	ds_load_b128 v[23:26], v20 offset:32
	;; [unrolled: 1-line block ×4, first 2 shown]
	v_fma_f64 v[27:28], v[27:28], v[31:32], -v[41:42]
	v_fma_f64 v[29:30], v[29:30], v[31:32], v[43:44]
	s_waitcnt lgkmcnt(2)
	v_mul_f64 v[49:50], v[25:26], v[3:4]
	v_mul_f64 v[3:4], v[23:24], v[3:4]
	s_waitcnt lgkmcnt(0)
	v_mul_f64 v[31:32], v[35:36], v[39:40]
	v_mul_f64 v[39:40], v[33:34], v[39:40]
	v_add_f64 v[14:15], v[14:15], v[45:46]
	v_add_f64 v[12:13], v[12:13], v[47:48]
	v_fma_f64 v[41:42], v[23:24], v[1:2], -v[49:50]
	v_fma_f64 v[43:44], v[25:26], v[1:2], v[3:4]
	v_fma_f64 v[31:32], v[33:34], v[37:38], -v[31:32]
	v_fma_f64 v[33:34], v[35:36], v[37:38], v[39:40]
	v_add_f64 v[45:46], v[14:15], v[27:28]
	v_add_f64 v[47:48], v[12:13], v[29:30]
	ds_load_b128 v[1:4], v19 offset:1024
	ds_load_b128 v[12:15], v20 offset:64
	;; [unrolled: 1-line block ×4, first 2 shown]
	s_waitcnt lgkmcnt(2)
	v_mul_f64 v[49:50], v[14:15], v[3:4]
	v_mul_f64 v[3:4], v[12:13], v[3:4]
	s_waitcnt lgkmcnt(0)
	v_mul_f64 v[39:40], v[25:26], v[29:30]
	v_add_f64 v[35:36], v[45:46], v[41:42]
	v_add_f64 v[37:38], v[47:48], v[43:44]
	v_mul_f64 v[41:42], v[23:24], v[29:30]
	v_fma_f64 v[43:44], v[12:13], v[1:2], -v[49:50]
	v_fma_f64 v[45:46], v[14:15], v[1:2], v[3:4]
	v_fma_f64 v[23:24], v[23:24], v[27:28], -v[39:40]
	v_add_f64 v[47:48], v[35:36], v[31:32]
	v_add_f64 v[37:38], v[37:38], v[33:34]
	ds_load_b128 v[1:4], v19 offset:1536
	ds_load_b128 v[12:15], v20 offset:96
	;; [unrolled: 1-line block ×4, first 2 shown]
	v_fma_f64 v[25:26], v[25:26], v[27:28], v[41:42]
	s_waitcnt lgkmcnt(2)
	v_mul_f64 v[49:50], v[14:15], v[3:4]
	v_mul_f64 v[3:4], v[12:13], v[3:4]
	s_waitcnt lgkmcnt(0)
	v_mul_f64 v[39:40], v[31:32], v[35:36]
	v_mul_f64 v[41:42], v[29:30], v[35:36]
	v_add_f64 v[27:28], v[47:48], v[43:44]
	v_add_f64 v[37:38], v[37:38], v[45:46]
	v_fma_f64 v[43:44], v[12:13], v[1:2], -v[49:50]
	v_fma_f64 v[45:46], v[14:15], v[1:2], v[3:4]
	v_fma_f64 v[29:30], v[29:30], v[33:34], -v[39:40]
	v_fma_f64 v[31:32], v[31:32], v[33:34], v[41:42]
	v_add_f64 v[27:28], v[27:28], v[23:24]
	v_add_f64 v[47:48], v[37:38], v[25:26]
	ds_load_b128 v[1:4], v19 offset:2048
	ds_load_b128 v[12:15], v20 offset:128
	;; [unrolled: 1-line block ×4, first 2 shown]
	s_waitcnt lgkmcnt(2)
	v_mul_f64 v[49:50], v[14:15], v[3:4]
	v_mul_f64 v[3:4], v[12:13], v[3:4]
	s_waitcnt lgkmcnt(0)
	v_mul_f64 v[39:40], v[25:26], v[37:38]
	v_mul_f64 v[37:38], v[23:24], v[37:38]
	v_add_f64 v[27:28], v[27:28], v[43:44]
	v_add_f64 v[33:34], v[47:48], v[45:46]
	v_fma_f64 v[41:42], v[12:13], v[1:2], -v[49:50]
	v_fma_f64 v[43:44], v[14:15], v[1:2], v[3:4]
	v_fma_f64 v[23:24], v[23:24], v[35:36], -v[39:40]
	v_fma_f64 v[25:26], v[25:26], v[35:36], v[37:38]
	v_add_f64 v[45:46], v[27:28], v[29:30]
	v_add_f64 v[47:48], v[33:34], v[31:32]
	ds_load_b128 v[1:4], v19 offset:2560
	ds_load_b128 v[12:15], v20 offset:160
	;; [unrolled: 1-line block ×4, first 2 shown]
	s_waitcnt lgkmcnt(2)
	v_mul_f64 v[49:50], v[14:15], v[3:4]
	v_mul_f64 v[3:4], v[12:13], v[3:4]
	s_waitcnt lgkmcnt(0)
	v_mul_f64 v[39:40], v[29:30], v[33:34]
	v_add_f64 v[35:36], v[45:46], v[41:42]
	v_add_f64 v[37:38], v[47:48], v[43:44]
	v_mul_f64 v[41:42], v[27:28], v[33:34]
	v_fma_f64 v[43:44], v[12:13], v[1:2], -v[49:50]
	v_fma_f64 v[45:46], v[14:15], v[1:2], v[3:4]
	v_fma_f64 v[27:28], v[27:28], v[31:32], -v[39:40]
	v_add_f64 v[47:48], v[35:36], v[23:24]
	v_add_f64 v[37:38], v[37:38], v[25:26]
	ds_load_b128 v[1:4], v19 offset:3072
	ds_load_b128 v[12:15], v20 offset:192
	;; [unrolled: 1-line block ×4, first 2 shown]
	v_fma_f64 v[29:30], v[29:30], v[31:32], v[41:42]
	s_waitcnt lgkmcnt(2)
	v_mul_f64 v[49:50], v[14:15], v[3:4]
	v_mul_f64 v[3:4], v[12:13], v[3:4]
	s_waitcnt lgkmcnt(0)
	v_mul_f64 v[39:40], v[25:26], v[35:36]
	v_mul_f64 v[41:42], v[23:24], v[35:36]
	v_add_f64 v[31:32], v[47:48], v[43:44]
	v_add_f64 v[37:38], v[37:38], v[45:46]
	v_fma_f64 v[43:44], v[12:13], v[1:2], -v[49:50]
	v_fma_f64 v[45:46], v[14:15], v[1:2], v[3:4]
	v_fma_f64 v[23:24], v[23:24], v[33:34], -v[39:40]
	v_fma_f64 v[25:26], v[25:26], v[33:34], v[41:42]
	v_add_f64 v[31:32], v[31:32], v[27:28]
	v_add_f64 v[47:48], v[37:38], v[29:30]
	ds_load_b128 v[1:4], v19 offset:3584
	ds_load_b128 v[12:15], v20 offset:224
	;; [unrolled: 1-line block ×4, first 2 shown]
	s_waitcnt lgkmcnt(0)
	s_barrier
	buffer_gl0_inv
	v_mul_f64 v[49:50], v[14:15], v[3:4]
	v_mul_f64 v[3:4], v[12:13], v[3:4]
	;; [unrolled: 1-line block ×4, first 2 shown]
	v_add_f64 v[31:32], v[31:32], v[43:44]
	v_add_f64 v[33:34], v[47:48], v[45:46]
	v_fma_f64 v[12:13], v[12:13], v[1:2], -v[49:50]
	v_fma_f64 v[1:2], v[14:15], v[1:2], v[3:4]
	s_delay_alu instid0(VALU_DEP_4) | instskip(NEXT) | instid1(VALU_DEP_4)
	v_add_f64 v[3:4], v[31:32], v[23:24]
	v_add_f64 v[14:15], v[33:34], v[25:26]
	v_fma_f64 v[23:24], v[27:28], v[35:36], -v[39:40]
	v_fma_f64 v[25:26], v[29:30], v[35:36], v[37:38]
	s_delay_alu instid0(VALU_DEP_4) | instskip(NEXT) | instid1(VALU_DEP_4)
	v_add_f64 v[3:4], v[3:4], v[12:13]
	v_add_f64 v[1:2], v[14:15], v[1:2]
	s_delay_alu instid0(VALU_DEP_2) | instskip(NEXT) | instid1(VALU_DEP_2)
	v_add_f64 v[14:15], v[3:4], v[23:24]
	v_add_f64 v[12:13], v[1:2], v[25:26]
	s_cbranch_scc1 .LBB747_9
.LBB747_3:                              ; =>This Inner Loop Header: Depth=1
	v_add_nc_u32_e32 v1, s11, v17
	v_dual_mov_b32 v3, v6 :: v_dual_mov_b32 v4, v7
	s_delay_alu instid0(VALU_DEP_2) | instskip(SKIP_1) | instid1(VALU_DEP_2)
	v_cmp_gt_i32_e64 s2, s17, v1
	v_dual_mov_b32 v1, v6 :: v_dual_mov_b32 v2, v7
	s_and_b32 s10, vcc_lo, s2
	s_delay_alu instid0(SALU_CYCLE_1)
	s_and_saveexec_b32 s2, s10
	s_cbranch_execz .LBB747_5
; %bb.4:                                ;   in Loop: Header=BB747_3 Depth=1
	global_load_b128 v[1:4], v[10:11], off offset:-8
.LBB747_5:                              ;   in Loop: Header=BB747_3 Depth=1
	s_or_b32 exec_lo, exec_lo, s2
	v_add_nc_u32_e32 v23, s11, v18
	s_waitcnt vmcnt(0)
	ds_store_b128 v21, v[1:4]
	v_cmp_le_i32_e64 s2, s17, v23
	s_delay_alu instid0(VALU_DEP_1) | instskip(NEXT) | instid1(SALU_CYCLE_1)
	s_or_b32 s2, s3, s2
	s_and_saveexec_b32 s10, s2
	s_delay_alu instid0(SALU_CYCLE_1)
	s_xor_b32 s2, exec_lo, s10
	s_cbranch_execz .LBB747_7
; %bb.6:                                ;   in Loop: Header=BB747_3 Depth=1
	v_mov_b32_e32 v1, v0
	v_mov_b32_e32 v2, v0
	;; [unrolled: 1-line block ×3, first 2 shown]
	ds_store_b128 v22, v[0:3]
.LBB747_7:                              ;   in Loop: Header=BB747_3 Depth=1
	s_and_not1_saveexec_b32 s2, s2
	s_cbranch_execz .LBB747_2
; %bb.8:                                ;   in Loop: Header=BB747_3 Depth=1
	global_load_b128 v[1:4], v[8:9], off
	s_waitcnt vmcnt(0)
	ds_store_2addr_b64 v22, v[1:2], v[3:4] offset1:1
	s_branch .LBB747_2
.LBB747_9:
	v_cmp_le_i32_e32 vcc_lo, v5, v16
	v_cmp_gt_i32_e64 s2, s16, v16
	s_delay_alu instid0(VALU_DEP_1) | instskip(NEXT) | instid1(SALU_CYCLE_1)
	s_and_b32 s2, vcc_lo, s2
	s_and_saveexec_b32 s3, s2
	s_cbranch_execz .LBB747_11
; %bb.10:
	s_waitcnt lgkmcnt(0)
	s_delay_alu instid0(VALU_DEP_3) | instskip(SKIP_3) | instid1(VALU_DEP_1)
	v_mul_f64 v[0:1], s[6:7], v[12:13]
	v_mul_f64 v[2:3], s[4:5], v[12:13]
	s_load_b32 s0, s[0:1], 0x60
	v_ashrrev_i32_e32 v6, 31, v5
	v_lshlrev_b64 v[4:5], 4, v[5:6]
	s_waitcnt lgkmcnt(0)
	v_mad_i64_i32 v[7:8], null, s0, v16, 0
	s_delay_alu instid0(VALU_DEP_1) | instskip(NEXT) | instid1(VALU_DEP_1)
	v_lshlrev_b64 v[7:8], 4, v[7:8]
	v_add_co_u32 v6, vcc_lo, s8, v7
	v_fma_f64 v[0:1], s[4:5], v[14:15], -v[0:1]
	v_fma_f64 v[2:3], s[6:7], v[14:15], v[2:3]
	s_delay_alu instid0(VALU_DEP_4) | instskip(NEXT) | instid1(VALU_DEP_4)
	v_add_co_ci_u32_e32 v7, vcc_lo, s9, v8, vcc_lo
	v_add_co_u32 v4, vcc_lo, v6, v4
	s_delay_alu instid0(VALU_DEP_2)
	v_add_co_ci_u32_e32 v5, vcc_lo, v7, v5, vcc_lo
	global_store_b128 v[4:5], v[0:3], off
.LBB747_11:
	s_nop 0
	s_sendmsg sendmsg(MSG_DEALLOC_VGPRS)
	s_endpgm
	.section	.rodata,"a",@progbits
	.p2align	6, 0x0
	.amdhsa_kernel _ZL32rocblas_syrkx_herkx_small_kernelIi19rocblas_complex_numIdELi16ELb1ELb0ELc67ELc85EKPKS1_KPS1_EviT_T0_PT6_S7_lSA_S7_lS8_PT7_S7_li
		.amdhsa_group_segment_fixed_size 8192
		.amdhsa_private_segment_fixed_size 0
		.amdhsa_kernarg_size 116
		.amdhsa_user_sgpr_count 13
		.amdhsa_user_sgpr_dispatch_ptr 0
		.amdhsa_user_sgpr_queue_ptr 0
		.amdhsa_user_sgpr_kernarg_segment_ptr 1
		.amdhsa_user_sgpr_dispatch_id 0
		.amdhsa_user_sgpr_private_segment_size 0
		.amdhsa_wavefront_size32 1
		.amdhsa_uses_dynamic_stack 0
		.amdhsa_enable_private_segment 0
		.amdhsa_system_sgpr_workgroup_id_x 1
		.amdhsa_system_sgpr_workgroup_id_y 1
		.amdhsa_system_sgpr_workgroup_id_z 1
		.amdhsa_system_sgpr_workgroup_info 0
		.amdhsa_system_vgpr_workitem_id 1
		.amdhsa_next_free_vgpr 51
		.amdhsa_next_free_sgpr 22
		.amdhsa_reserve_vcc 1
		.amdhsa_float_round_mode_32 0
		.amdhsa_float_round_mode_16_64 0
		.amdhsa_float_denorm_mode_32 3
		.amdhsa_float_denorm_mode_16_64 3
		.amdhsa_dx10_clamp 1
		.amdhsa_ieee_mode 1
		.amdhsa_fp16_overflow 0
		.amdhsa_workgroup_processor_mode 1
		.amdhsa_memory_ordered 1
		.amdhsa_forward_progress 0
		.amdhsa_shared_vgpr_count 0
		.amdhsa_exception_fp_ieee_invalid_op 0
		.amdhsa_exception_fp_denorm_src 0
		.amdhsa_exception_fp_ieee_div_zero 0
		.amdhsa_exception_fp_ieee_overflow 0
		.amdhsa_exception_fp_ieee_underflow 0
		.amdhsa_exception_fp_ieee_inexact 0
		.amdhsa_exception_int_div_zero 0
	.end_amdhsa_kernel
	.section	.text._ZL32rocblas_syrkx_herkx_small_kernelIi19rocblas_complex_numIdELi16ELb1ELb0ELc67ELc85EKPKS1_KPS1_EviT_T0_PT6_S7_lSA_S7_lS8_PT7_S7_li,"axG",@progbits,_ZL32rocblas_syrkx_herkx_small_kernelIi19rocblas_complex_numIdELi16ELb1ELb0ELc67ELc85EKPKS1_KPS1_EviT_T0_PT6_S7_lSA_S7_lS8_PT7_S7_li,comdat
.Lfunc_end747:
	.size	_ZL32rocblas_syrkx_herkx_small_kernelIi19rocblas_complex_numIdELi16ELb1ELb0ELc67ELc85EKPKS1_KPS1_EviT_T0_PT6_S7_lSA_S7_lS8_PT7_S7_li, .Lfunc_end747-_ZL32rocblas_syrkx_herkx_small_kernelIi19rocblas_complex_numIdELi16ELb1ELb0ELc67ELc85EKPKS1_KPS1_EviT_T0_PT6_S7_lSA_S7_lS8_PT7_S7_li
                                        ; -- End function
	.section	.AMDGPU.csdata,"",@progbits
; Kernel info:
; codeLenInByte = 1932
; NumSgprs: 24
; NumVgprs: 51
; ScratchSize: 0
; MemoryBound: 1
; FloatMode: 240
; IeeeMode: 1
; LDSByteSize: 8192 bytes/workgroup (compile time only)
; SGPRBlocks: 2
; VGPRBlocks: 6
; NumSGPRsForWavesPerEU: 24
; NumVGPRsForWavesPerEU: 51
; Occupancy: 16
; WaveLimiterHint : 1
; COMPUTE_PGM_RSRC2:SCRATCH_EN: 0
; COMPUTE_PGM_RSRC2:USER_SGPR: 13
; COMPUTE_PGM_RSRC2:TRAP_HANDLER: 0
; COMPUTE_PGM_RSRC2:TGID_X_EN: 1
; COMPUTE_PGM_RSRC2:TGID_Y_EN: 1
; COMPUTE_PGM_RSRC2:TGID_Z_EN: 1
; COMPUTE_PGM_RSRC2:TIDIG_COMP_CNT: 1
	.section	.text._ZL32rocblas_syrkx_herkx_small_kernelIi19rocblas_complex_numIdELi16ELb1ELb0ELc78ELc85EKPKS1_KPS1_EviT_T0_PT6_S7_lSA_S7_lS8_PT7_S7_li,"axG",@progbits,_ZL32rocblas_syrkx_herkx_small_kernelIi19rocblas_complex_numIdELi16ELb1ELb0ELc78ELc85EKPKS1_KPS1_EviT_T0_PT6_S7_lSA_S7_lS8_PT7_S7_li,comdat
	.globl	_ZL32rocblas_syrkx_herkx_small_kernelIi19rocblas_complex_numIdELi16ELb1ELb0ELc78ELc85EKPKS1_KPS1_EviT_T0_PT6_S7_lSA_S7_lS8_PT7_S7_li ; -- Begin function _ZL32rocblas_syrkx_herkx_small_kernelIi19rocblas_complex_numIdELi16ELb1ELb0ELc78ELc85EKPKS1_KPS1_EviT_T0_PT6_S7_lSA_S7_lS8_PT7_S7_li
	.p2align	8
	.type	_ZL32rocblas_syrkx_herkx_small_kernelIi19rocblas_complex_numIdELi16ELb1ELb0ELc78ELc85EKPKS1_KPS1_EviT_T0_PT6_S7_lSA_S7_lS8_PT7_S7_li,@function
_ZL32rocblas_syrkx_herkx_small_kernelIi19rocblas_complex_numIdELi16ELb1ELb0ELc78ELc85EKPKS1_KPS1_EviT_T0_PT6_S7_lSA_S7_lS8_PT7_S7_li: ; @_ZL32rocblas_syrkx_herkx_small_kernelIi19rocblas_complex_numIdELi16ELb1ELb0ELc78ELc85EKPKS1_KPS1_EviT_T0_PT6_S7_lSA_S7_lS8_PT7_S7_li
; %bb.0:
	s_clause 0x1
	s_load_b64 s[2:3], s[0:1], 0x58
	s_load_b64 s[20:21], s[0:1], 0x18
	s_mov_b32 s10, s15
	s_mov_b32 s11, 0
	s_load_b64 s[16:17], s[0:1], 0x0
	s_lshl_b64 s[18:19], s[10:11], 3
	v_and_b32_e32 v16, 0x3ff, v0
	v_bfe_u32 v17, v0, 10, 10
	v_mov_b32_e32 v12, 0
	v_mov_b32_e32 v13, 0
	s_delay_alu instid0(VALU_DEP_4) | instskip(NEXT) | instid1(VALU_DEP_4)
	v_lshl_add_u32 v5, s13, 4, v16
	v_lshl_add_u32 v7, s14, 4, v17
	s_delay_alu instid0(VALU_DEP_3) | instskip(NEXT) | instid1(VALU_DEP_3)
	v_dual_mov_b32 v15, v13 :: v_dual_mov_b32 v14, v12
	v_ashrrev_i32_e32 v6, 31, v5
	s_waitcnt lgkmcnt(0)
	s_add_u32 s2, s2, s18
	s_addc_u32 s3, s3, s19
	s_load_b128 s[4:7], s[0:1], 0x8
	s_load_b64 s[8:9], s[2:3], 0x0
	v_cmp_gt_i32_e32 vcc_lo, s16, v7
	s_cmp_lt_i32 s17, 1
	s_cbranch_scc1 .LBB748_9
; %bb.1:
	s_clause 0x2
	s_load_b32 s14, s[0:1], 0x20
	s_load_b32 s12, s[0:1], 0x38
	s_load_b64 s[22:23], s[0:1], 0x30
	v_ashrrev_i32_e32 v8, 31, v7
	v_lshlrev_b64 v[1:2], 4, v[5:6]
	v_dual_mov_b32 v12, 0 :: v_dual_lshlrev_b32 v11, 8, v17
	v_dual_mov_b32 v13, 0 :: v_dual_lshlrev_b32 v18, 4, v16
	s_delay_alu instid0(VALU_DEP_4) | instskip(NEXT) | instid1(VALU_DEP_3)
	v_lshlrev_b64 v[14:15], 4, v[7:8]
	v_dual_mov_b32 v0, 0 :: v_dual_add_nc_u32 v19, 0x1000, v11
	v_cmp_gt_i32_e64 s2, s16, v5
	s_delay_alu instid0(VALU_DEP_4) | instskip(NEXT) | instid1(VALU_DEP_3)
	v_add_nc_u32_e32 v20, v18, v11
	v_add_nc_u32_e32 v21, v19, v18
	s_waitcnt lgkmcnt(0)
	s_ashr_i32 s15, s14, 31
	s_ashr_i32 s13, s12, 31
	s_add_u32 s22, s22, s18
	s_addc_u32 s23, s23, s19
	v_mad_i64_i32 v[3:4], null, s12, v16, 0
	s_load_b64 s[22:23], s[22:23], 0x0
	s_add_u32 s18, s20, s18
	s_addc_u32 s19, s21, s19
	v_mad_i64_i32 v[9:10], null, s14, v17, 0
	s_load_b64 s[18:19], s[18:19], 0x0
	s_delay_alu instid0(VALU_DEP_2) | instskip(SKIP_2) | instid1(VALU_DEP_2)
	v_lshlrev_b64 v[3:4], 4, v[3:4]
	s_lshl_b64 s[12:13], s[12:13], 8
	s_lshl_b64 s[14:15], s[14:15], 8
	v_lshlrev_b64 v[8:9], 4, v[9:10]
	s_delay_alu instid0(VALU_DEP_2) | instskip(NEXT) | instid1(VALU_DEP_1)
	v_add_co_u32 v3, s3, v3, v14
	v_add_co_ci_u32_e64 v4, s3, v4, v15, s3
	v_dual_mov_b32 v15, v13 :: v_dual_mov_b32 v14, v12
	s_delay_alu instid0(VALU_DEP_4) | instskip(NEXT) | instid1(VALU_DEP_1)
	v_add_co_u32 v1, s3, v8, v1
	v_add_co_ci_u32_e64 v2, s3, v9, v2, s3
	s_waitcnt lgkmcnt(0)
	v_add_co_u32 v3, s3, v3, s22
	s_delay_alu instid0(VALU_DEP_1) | instskip(SKIP_1) | instid1(VALU_DEP_1)
	v_add_co_ci_u32_e64 v4, s3, s23, v4, s3
	v_add_co_u32 v8, s3, s18, v1
	v_add_co_ci_u32_e64 v9, s3, s19, v2, s3
	s_delay_alu instid0(VALU_DEP_4) | instskip(NEXT) | instid1(VALU_DEP_1)
	v_add_co_u32 v10, s3, v3, 8
	v_add_co_ci_u32_e64 v11, s3, 0, v4, s3
	s_xor_b32 s3, s2, -1
	s_branch .LBB748_3
.LBB748_2:                              ;   in Loop: Header=BB748_3 Depth=1
	s_or_b32 exec_lo, exec_lo, s2
	s_waitcnt vmcnt(0)
	ds_store_b128 v21, v[1:4]
	s_waitcnt lgkmcnt(0)
	s_barrier
	buffer_gl0_inv
	ds_load_b128 v[1:4], v18
	ds_load_b128 v[22:25], v19
	ds_load_b128 v[26:29], v19 offset:16
	ds_load_b128 v[30:33], v18 offset:256
	v_add_co_u32 v10, s2, v10, s12
	s_delay_alu instid0(VALU_DEP_1) | instskip(SKIP_1) | instid1(VALU_DEP_1)
	v_add_co_ci_u32_e64 v11, s2, s13, v11, s2
	v_add_co_u32 v8, s2, v8, s14
	v_add_co_ci_u32_e64 v9, s2, s15, v9, s2
	s_add_i32 s11, s11, 16
	s_delay_alu instid0(SALU_CYCLE_1)
	s_cmp_ge_i32 s11, s17
	s_waitcnt lgkmcnt(2)
	v_mul_f64 v[34:35], v[24:25], v[3:4]
	v_mul_f64 v[3:4], v[22:23], v[3:4]
	s_waitcnt lgkmcnt(0)
	v_mul_f64 v[40:41], v[28:29], v[32:33]
	v_mul_f64 v[42:43], v[26:27], v[32:33]
	s_delay_alu instid0(VALU_DEP_4) | instskip(NEXT) | instid1(VALU_DEP_4)
	v_fma_f64 v[44:45], v[22:23], v[1:2], -v[34:35]
	v_fma_f64 v[46:47], v[24:25], v[1:2], v[3:4]
	ds_load_b128 v[1:4], v18 offset:512
	ds_load_b128 v[22:25], v19 offset:32
	;; [unrolled: 1-line block ×4, first 2 shown]
	v_fma_f64 v[26:27], v[26:27], v[30:31], -v[40:41]
	v_fma_f64 v[28:29], v[28:29], v[30:31], v[42:43]
	s_waitcnt lgkmcnt(2)
	v_mul_f64 v[48:49], v[24:25], v[3:4]
	v_mul_f64 v[3:4], v[22:23], v[3:4]
	s_waitcnt lgkmcnt(0)
	v_mul_f64 v[30:31], v[34:35], v[38:39]
	v_mul_f64 v[38:39], v[32:33], v[38:39]
	v_add_f64 v[14:15], v[14:15], v[44:45]
	v_add_f64 v[12:13], v[12:13], v[46:47]
	v_fma_f64 v[40:41], v[22:23], v[1:2], -v[48:49]
	v_fma_f64 v[42:43], v[24:25], v[1:2], v[3:4]
	v_fma_f64 v[30:31], v[32:33], v[36:37], -v[30:31]
	v_fma_f64 v[32:33], v[34:35], v[36:37], v[38:39]
	v_add_f64 v[44:45], v[14:15], v[26:27]
	v_add_f64 v[46:47], v[12:13], v[28:29]
	ds_load_b128 v[1:4], v18 offset:1024
	ds_load_b128 v[12:15], v19 offset:64
	;; [unrolled: 1-line block ×4, first 2 shown]
	s_waitcnt lgkmcnt(2)
	v_mul_f64 v[48:49], v[14:15], v[3:4]
	v_mul_f64 v[3:4], v[12:13], v[3:4]
	s_waitcnt lgkmcnt(0)
	v_mul_f64 v[38:39], v[24:25], v[28:29]
	v_add_f64 v[34:35], v[44:45], v[40:41]
	v_add_f64 v[36:37], v[46:47], v[42:43]
	v_mul_f64 v[40:41], v[22:23], v[28:29]
	v_fma_f64 v[42:43], v[12:13], v[1:2], -v[48:49]
	v_fma_f64 v[44:45], v[14:15], v[1:2], v[3:4]
	v_fma_f64 v[22:23], v[22:23], v[26:27], -v[38:39]
	v_add_f64 v[46:47], v[34:35], v[30:31]
	v_add_f64 v[36:37], v[36:37], v[32:33]
	ds_load_b128 v[1:4], v18 offset:1536
	ds_load_b128 v[12:15], v19 offset:96
	;; [unrolled: 1-line block ×4, first 2 shown]
	v_fma_f64 v[24:25], v[24:25], v[26:27], v[40:41]
	s_waitcnt lgkmcnt(2)
	v_mul_f64 v[48:49], v[14:15], v[3:4]
	v_mul_f64 v[3:4], v[12:13], v[3:4]
	s_waitcnt lgkmcnt(0)
	v_mul_f64 v[38:39], v[30:31], v[34:35]
	v_mul_f64 v[40:41], v[28:29], v[34:35]
	v_add_f64 v[26:27], v[46:47], v[42:43]
	v_add_f64 v[36:37], v[36:37], v[44:45]
	v_fma_f64 v[42:43], v[12:13], v[1:2], -v[48:49]
	v_fma_f64 v[44:45], v[14:15], v[1:2], v[3:4]
	v_fma_f64 v[28:29], v[28:29], v[32:33], -v[38:39]
	v_fma_f64 v[30:31], v[30:31], v[32:33], v[40:41]
	v_add_f64 v[26:27], v[26:27], v[22:23]
	v_add_f64 v[46:47], v[36:37], v[24:25]
	ds_load_b128 v[1:4], v18 offset:2048
	ds_load_b128 v[12:15], v19 offset:128
	;; [unrolled: 1-line block ×4, first 2 shown]
	s_waitcnt lgkmcnt(2)
	v_mul_f64 v[48:49], v[14:15], v[3:4]
	v_mul_f64 v[3:4], v[12:13], v[3:4]
	s_waitcnt lgkmcnt(0)
	v_mul_f64 v[38:39], v[24:25], v[36:37]
	v_mul_f64 v[36:37], v[22:23], v[36:37]
	v_add_f64 v[26:27], v[26:27], v[42:43]
	v_add_f64 v[32:33], v[46:47], v[44:45]
	v_fma_f64 v[40:41], v[12:13], v[1:2], -v[48:49]
	v_fma_f64 v[42:43], v[14:15], v[1:2], v[3:4]
	v_fma_f64 v[22:23], v[22:23], v[34:35], -v[38:39]
	v_fma_f64 v[24:25], v[24:25], v[34:35], v[36:37]
	v_add_f64 v[44:45], v[26:27], v[28:29]
	v_add_f64 v[46:47], v[32:33], v[30:31]
	ds_load_b128 v[1:4], v18 offset:2560
	ds_load_b128 v[12:15], v19 offset:160
	;; [unrolled: 1-line block ×4, first 2 shown]
	s_waitcnt lgkmcnt(2)
	v_mul_f64 v[48:49], v[14:15], v[3:4]
	v_mul_f64 v[3:4], v[12:13], v[3:4]
	s_waitcnt lgkmcnt(0)
	v_mul_f64 v[38:39], v[28:29], v[32:33]
	v_add_f64 v[34:35], v[44:45], v[40:41]
	v_add_f64 v[36:37], v[46:47], v[42:43]
	v_mul_f64 v[40:41], v[26:27], v[32:33]
	v_fma_f64 v[42:43], v[12:13], v[1:2], -v[48:49]
	v_fma_f64 v[44:45], v[14:15], v[1:2], v[3:4]
	v_fma_f64 v[26:27], v[26:27], v[30:31], -v[38:39]
	v_add_f64 v[46:47], v[34:35], v[22:23]
	v_add_f64 v[36:37], v[36:37], v[24:25]
	ds_load_b128 v[1:4], v18 offset:3072
	ds_load_b128 v[12:15], v19 offset:192
	;; [unrolled: 1-line block ×4, first 2 shown]
	v_fma_f64 v[28:29], v[28:29], v[30:31], v[40:41]
	s_waitcnt lgkmcnt(2)
	v_mul_f64 v[48:49], v[14:15], v[3:4]
	v_mul_f64 v[3:4], v[12:13], v[3:4]
	s_waitcnt lgkmcnt(0)
	v_mul_f64 v[38:39], v[24:25], v[34:35]
	v_mul_f64 v[40:41], v[22:23], v[34:35]
	v_add_f64 v[30:31], v[46:47], v[42:43]
	v_add_f64 v[36:37], v[36:37], v[44:45]
	v_fma_f64 v[42:43], v[12:13], v[1:2], -v[48:49]
	v_fma_f64 v[44:45], v[14:15], v[1:2], v[3:4]
	v_fma_f64 v[22:23], v[22:23], v[32:33], -v[38:39]
	v_fma_f64 v[24:25], v[24:25], v[32:33], v[40:41]
	v_add_f64 v[30:31], v[30:31], v[26:27]
	v_add_f64 v[46:47], v[36:37], v[28:29]
	ds_load_b128 v[1:4], v18 offset:3584
	ds_load_b128 v[12:15], v19 offset:224
	;; [unrolled: 1-line block ×4, first 2 shown]
	s_waitcnt lgkmcnt(0)
	s_barrier
	buffer_gl0_inv
	v_mul_f64 v[48:49], v[14:15], v[3:4]
	v_mul_f64 v[3:4], v[12:13], v[3:4]
	;; [unrolled: 1-line block ×4, first 2 shown]
	v_add_f64 v[30:31], v[30:31], v[42:43]
	v_add_f64 v[32:33], v[46:47], v[44:45]
	v_fma_f64 v[12:13], v[12:13], v[1:2], -v[48:49]
	v_fma_f64 v[1:2], v[14:15], v[1:2], v[3:4]
	s_delay_alu instid0(VALU_DEP_4) | instskip(NEXT) | instid1(VALU_DEP_4)
	v_add_f64 v[3:4], v[30:31], v[22:23]
	v_add_f64 v[14:15], v[32:33], v[24:25]
	v_fma_f64 v[22:23], v[26:27], v[34:35], -v[38:39]
	v_fma_f64 v[24:25], v[28:29], v[34:35], v[36:37]
	s_delay_alu instid0(VALU_DEP_4) | instskip(NEXT) | instid1(VALU_DEP_4)
	v_add_f64 v[3:4], v[3:4], v[12:13]
	v_add_f64 v[1:2], v[14:15], v[1:2]
	s_delay_alu instid0(VALU_DEP_2) | instskip(NEXT) | instid1(VALU_DEP_2)
	v_add_f64 v[14:15], v[3:4], v[22:23]
	v_add_f64 v[12:13], v[1:2], v[24:25]
	s_cbranch_scc1 .LBB748_9
.LBB748_3:                              ; =>This Inner Loop Header: Depth=1
	v_add_nc_u32_e32 v1, s11, v17
	s_delay_alu instid0(VALU_DEP_1) | instskip(NEXT) | instid1(VALU_DEP_1)
	v_cmp_le_i32_e64 s2, s17, v1
	s_or_b32 s2, s3, s2
	s_delay_alu instid0(SALU_CYCLE_1) | instskip(NEXT) | instid1(SALU_CYCLE_1)
	s_and_saveexec_b32 s10, s2
	s_xor_b32 s2, exec_lo, s10
	s_cbranch_execz .LBB748_5
; %bb.4:                                ;   in Loop: Header=BB748_3 Depth=1
	v_mov_b32_e32 v1, v0
	v_mov_b32_e32 v2, v0
	;; [unrolled: 1-line block ×3, first 2 shown]
	ds_store_b128 v20, v[0:3]
.LBB748_5:                              ;   in Loop: Header=BB748_3 Depth=1
	s_and_not1_saveexec_b32 s2, s2
	s_cbranch_execz .LBB748_7
; %bb.6:                                ;   in Loop: Header=BB748_3 Depth=1
	global_load_b128 v[1:4], v[8:9], off
	s_waitcnt vmcnt(0)
	ds_store_2addr_b64 v20, v[1:2], v[3:4] offset1:1
.LBB748_7:                              ;   in Loop: Header=BB748_3 Depth=1
	s_or_b32 exec_lo, exec_lo, s2
	v_add_nc_u32_e32 v3, s11, v16
	v_mov_b32_e32 v1, 0
	v_mov_b32_e32 v2, 0
	s_delay_alu instid0(VALU_DEP_3) | instskip(NEXT) | instid1(VALU_DEP_2)
	v_cmp_gt_i32_e64 s2, s17, v3
	v_dual_mov_b32 v4, v2 :: v_dual_mov_b32 v3, v1
	s_delay_alu instid0(VALU_DEP_2) | instskip(NEXT) | instid1(SALU_CYCLE_1)
	s_and_b32 s10, vcc_lo, s2
	s_and_saveexec_b32 s2, s10
	s_cbranch_execz .LBB748_2
; %bb.8:                                ;   in Loop: Header=BB748_3 Depth=1
	global_load_b128 v[1:4], v[10:11], off offset:-8
	s_branch .LBB748_2
.LBB748_9:
	v_cmp_le_i32_e32 vcc_lo, v5, v7
	v_cmp_gt_i32_e64 s2, s16, v7
	s_delay_alu instid0(VALU_DEP_1) | instskip(NEXT) | instid1(SALU_CYCLE_1)
	s_and_b32 s2, vcc_lo, s2
	s_and_saveexec_b32 s3, s2
	s_cbranch_execz .LBB748_11
; %bb.10:
	s_waitcnt lgkmcnt(0)
	s_delay_alu instid0(VALU_DEP_3)
	v_mul_f64 v[0:1], s[6:7], v[12:13]
	v_mul_f64 v[2:3], s[4:5], v[12:13]
	s_load_b32 s0, s[0:1], 0x60
	v_lshlrev_b64 v[4:5], 4, v[5:6]
	s_waitcnt lgkmcnt(0)
	v_mad_i64_i32 v[8:9], null, s0, v7, 0
	s_delay_alu instid0(VALU_DEP_1) | instskip(NEXT) | instid1(VALU_DEP_1)
	v_lshlrev_b64 v[7:8], 4, v[8:9]
	v_add_co_u32 v6, vcc_lo, s8, v7
	v_fma_f64 v[0:1], s[4:5], v[14:15], -v[0:1]
	v_fma_f64 v[2:3], s[6:7], v[14:15], v[2:3]
	s_delay_alu instid0(VALU_DEP_4) | instskip(NEXT) | instid1(VALU_DEP_4)
	v_add_co_ci_u32_e32 v7, vcc_lo, s9, v8, vcc_lo
	v_add_co_u32 v4, vcc_lo, v6, v4
	s_delay_alu instid0(VALU_DEP_2)
	v_add_co_ci_u32_e32 v5, vcc_lo, v7, v5, vcc_lo
	global_store_b128 v[4:5], v[0:3], off
.LBB748_11:
	s_nop 0
	s_sendmsg sendmsg(MSG_DEALLOC_VGPRS)
	s_endpgm
	.section	.rodata,"a",@progbits
	.p2align	6, 0x0
	.amdhsa_kernel _ZL32rocblas_syrkx_herkx_small_kernelIi19rocblas_complex_numIdELi16ELb1ELb0ELc78ELc85EKPKS1_KPS1_EviT_T0_PT6_S7_lSA_S7_lS8_PT7_S7_li
		.amdhsa_group_segment_fixed_size 8192
		.amdhsa_private_segment_fixed_size 0
		.amdhsa_kernarg_size 116
		.amdhsa_user_sgpr_count 13
		.amdhsa_user_sgpr_dispatch_ptr 0
		.amdhsa_user_sgpr_queue_ptr 0
		.amdhsa_user_sgpr_kernarg_segment_ptr 1
		.amdhsa_user_sgpr_dispatch_id 0
		.amdhsa_user_sgpr_private_segment_size 0
		.amdhsa_wavefront_size32 1
		.amdhsa_uses_dynamic_stack 0
		.amdhsa_enable_private_segment 0
		.amdhsa_system_sgpr_workgroup_id_x 1
		.amdhsa_system_sgpr_workgroup_id_y 1
		.amdhsa_system_sgpr_workgroup_id_z 1
		.amdhsa_system_sgpr_workgroup_info 0
		.amdhsa_system_vgpr_workitem_id 1
		.amdhsa_next_free_vgpr 50
		.amdhsa_next_free_sgpr 24
		.amdhsa_reserve_vcc 1
		.amdhsa_float_round_mode_32 0
		.amdhsa_float_round_mode_16_64 0
		.amdhsa_float_denorm_mode_32 3
		.amdhsa_float_denorm_mode_16_64 3
		.amdhsa_dx10_clamp 1
		.amdhsa_ieee_mode 1
		.amdhsa_fp16_overflow 0
		.amdhsa_workgroup_processor_mode 1
		.amdhsa_memory_ordered 1
		.amdhsa_forward_progress 0
		.amdhsa_shared_vgpr_count 0
		.amdhsa_exception_fp_ieee_invalid_op 0
		.amdhsa_exception_fp_denorm_src 0
		.amdhsa_exception_fp_ieee_div_zero 0
		.amdhsa_exception_fp_ieee_overflow 0
		.amdhsa_exception_fp_ieee_underflow 0
		.amdhsa_exception_fp_ieee_inexact 0
		.amdhsa_exception_int_div_zero 0
	.end_amdhsa_kernel
	.section	.text._ZL32rocblas_syrkx_herkx_small_kernelIi19rocblas_complex_numIdELi16ELb1ELb0ELc78ELc85EKPKS1_KPS1_EviT_T0_PT6_S7_lSA_S7_lS8_PT7_S7_li,"axG",@progbits,_ZL32rocblas_syrkx_herkx_small_kernelIi19rocblas_complex_numIdELi16ELb1ELb0ELc78ELc85EKPKS1_KPS1_EviT_T0_PT6_S7_lSA_S7_lS8_PT7_S7_li,comdat
.Lfunc_end748:
	.size	_ZL32rocblas_syrkx_herkx_small_kernelIi19rocblas_complex_numIdELi16ELb1ELb0ELc78ELc85EKPKS1_KPS1_EviT_T0_PT6_S7_lSA_S7_lS8_PT7_S7_li, .Lfunc_end748-_ZL32rocblas_syrkx_herkx_small_kernelIi19rocblas_complex_numIdELi16ELb1ELb0ELc78ELc85EKPKS1_KPS1_EviT_T0_PT6_S7_lSA_S7_lS8_PT7_S7_li
                                        ; -- End function
	.section	.AMDGPU.csdata,"",@progbits
; Kernel info:
; codeLenInByte = 1948
; NumSgprs: 26
; NumVgprs: 50
; ScratchSize: 0
; MemoryBound: 1
; FloatMode: 240
; IeeeMode: 1
; LDSByteSize: 8192 bytes/workgroup (compile time only)
; SGPRBlocks: 3
; VGPRBlocks: 6
; NumSGPRsForWavesPerEU: 26
; NumVGPRsForWavesPerEU: 50
; Occupancy: 16
; WaveLimiterHint : 1
; COMPUTE_PGM_RSRC2:SCRATCH_EN: 0
; COMPUTE_PGM_RSRC2:USER_SGPR: 13
; COMPUTE_PGM_RSRC2:TRAP_HANDLER: 0
; COMPUTE_PGM_RSRC2:TGID_X_EN: 1
; COMPUTE_PGM_RSRC2:TGID_Y_EN: 1
; COMPUTE_PGM_RSRC2:TGID_Z_EN: 1
; COMPUTE_PGM_RSRC2:TIDIG_COMP_CNT: 1
	.section	.text._ZL32rocblas_syrkx_herkx_small_kernelIi19rocblas_complex_numIdELi16ELb0ELb0ELc84ELc76EKPKS1_KPS1_EviT_T0_PT6_S7_lSA_S7_lS8_PT7_S7_li,"axG",@progbits,_ZL32rocblas_syrkx_herkx_small_kernelIi19rocblas_complex_numIdELi16ELb0ELb0ELc84ELc76EKPKS1_KPS1_EviT_T0_PT6_S7_lSA_S7_lS8_PT7_S7_li,comdat
	.globl	_ZL32rocblas_syrkx_herkx_small_kernelIi19rocblas_complex_numIdELi16ELb0ELb0ELc84ELc76EKPKS1_KPS1_EviT_T0_PT6_S7_lSA_S7_lS8_PT7_S7_li ; -- Begin function _ZL32rocblas_syrkx_herkx_small_kernelIi19rocblas_complex_numIdELi16ELb0ELb0ELc84ELc76EKPKS1_KPS1_EviT_T0_PT6_S7_lSA_S7_lS8_PT7_S7_li
	.p2align	8
	.type	_ZL32rocblas_syrkx_herkx_small_kernelIi19rocblas_complex_numIdELi16ELb0ELb0ELc84ELc76EKPKS1_KPS1_EviT_T0_PT6_S7_lSA_S7_lS8_PT7_S7_li,@function
_ZL32rocblas_syrkx_herkx_small_kernelIi19rocblas_complex_numIdELi16ELb0ELb0ELc84ELc76EKPKS1_KPS1_EviT_T0_PT6_S7_lSA_S7_lS8_PT7_S7_li: ; @_ZL32rocblas_syrkx_herkx_small_kernelIi19rocblas_complex_numIdELi16ELb0ELb0ELc84ELc76EKPKS1_KPS1_EviT_T0_PT6_S7_lSA_S7_lS8_PT7_S7_li
; %bb.0:
	s_load_b64 s[2:3], s[0:1], 0x58
	s_mov_b32 s18, s15
	s_mov_b32 s19, 0
	s_clause 0x1
	s_load_b64 s[20:21], s[0:1], 0x0
	s_load_b128 s[4:7], s[0:1], 0x8
	s_lshl_b64 s[22:23], s[18:19], 3
	v_dual_mov_b32 v9, 0 :: v_dual_and_b32 v14, 0x3ff, v0
	v_bfe_u32 v15, v0, 10, 10
	v_mov_b32_e32 v10, 0
	s_delay_alu instid0(VALU_DEP_3) | instskip(NEXT) | instid1(VALU_DEP_3)
	v_lshl_add_u32 v4, s13, 4, v14
	v_lshl_add_u32 v13, s14, 4, v15
	s_delay_alu instid0(VALU_DEP_3)
	v_dual_mov_b32 v12, v10 :: v_dual_mov_b32 v11, v9
	s_waitcnt lgkmcnt(0)
	s_add_u32 s2, s2, s22
	s_addc_u32 s3, s3, s23
	s_clause 0x1
	s_load_b64 s[24:25], s[0:1], 0x18
	s_load_b128 s[8:11], s[0:1], 0x48
	s_load_b64 s[16:17], s[2:3], 0x0
	v_cmp_gt_i32_e32 vcc_lo, s20, v4
	s_cmp_lt_i32 s21, 1
	s_cbranch_scc1 .LBB749_11
; %bb.1:
	s_clause 0x2
	s_load_b64 s[12:13], s[0:1], 0x30
	s_load_b32 s3, s[0:1], 0x38
	s_load_b32 s14, s[0:1], 0x20
	v_lshlrev_b32_e32 v7, 8, v15
	v_dual_mov_b32 v9, 0 :: v_dual_lshlrev_b32 v16, 4, v14
	v_mov_b32_e32 v10, 0
	v_lshlrev_b32_e32 v8, 4, v15
	s_delay_alu instid0(VALU_DEP_4)
	v_add_nc_u32_e32 v17, 0x1000, v7
	v_cmp_gt_i32_e64 s2, s20, v13
	v_add_nc_u32_e32 v18, v16, v7
	v_dual_mov_b32 v12, v10 :: v_dual_mov_b32 v11, v9
	s_waitcnt lgkmcnt(0)
	s_add_u32 s12, s12, s22
	s_addc_u32 s13, s13, s23
	v_mad_i64_i32 v[0:1], null, s3, v13, 0
	v_mad_i64_i32 v[2:3], null, s14, v4, 0
	s_load_b64 s[12:13], s[12:13], 0x0
	s_add_u32 s14, s24, s22
	s_addc_u32 s15, s25, s23
	s_xor_b32 s2, s2, -1
	s_load_b64 s[14:15], s[14:15], 0x0
	s_delay_alu instid0(VALU_DEP_2) | instskip(SKIP_3) | instid1(VALU_DEP_4)
	v_lshlrev_b64 v[5:6], 4, v[0:1]
	v_mov_b32_e32 v0, 0
	v_lshlrev_b64 v[1:2], 4, v[2:3]
	v_add_nc_u32_e32 v19, v17, v16
	v_add_co_u32 v3, s3, v5, v16
	s_delay_alu instid0(VALU_DEP_1) | instskip(NEXT) | instid1(VALU_DEP_4)
	v_add_co_ci_u32_e64 v6, s3, 0, v6, s3
	v_add_co_u32 v1, s3, v1, v8
	s_delay_alu instid0(VALU_DEP_1) | instskip(SKIP_2) | instid1(VALU_DEP_1)
	v_add_co_ci_u32_e64 v2, s3, 0, v2, s3
	s_waitcnt lgkmcnt(0)
	v_add_co_u32 v5, s3, s12, v3
	v_add_co_ci_u32_e64 v6, s3, s13, v6, s3
	v_add_co_u32 v7, s3, s14, v1
	s_delay_alu instid0(VALU_DEP_1)
	v_add_co_ci_u32_e64 v8, s3, s15, v2, s3
	s_xor_b32 s3, vcc_lo, -1
	s_branch .LBB749_3
.LBB749_2:                              ;   in Loop: Header=BB749_3 Depth=1
	s_or_b32 exec_lo, exec_lo, s12
	s_waitcnt lgkmcnt(0)
	s_barrier
	buffer_gl0_inv
	ds_load_b128 v[20:23], v16
	ds_load_b128 v[24:27], v17
	ds_load_b128 v[28:31], v17 offset:16
	ds_load_b128 v[32:35], v16 offset:256
	v_add_co_u32 v5, vcc_lo, 0x100, v5
	v_add_co_ci_u32_e32 v6, vcc_lo, 0, v6, vcc_lo
	v_add_co_u32 v7, vcc_lo, 0x100, v7
	v_add_co_ci_u32_e32 v8, vcc_lo, 0, v8, vcc_lo
	s_add_i32 s19, s19, 16
	s_delay_alu instid0(SALU_CYCLE_1)
	s_cmp_ge_i32 s19, s21
	s_waitcnt lgkmcnt(2)
	v_mul_f64 v[1:2], v[26:27], v[22:23]
	v_mul_f64 v[22:23], v[24:25], v[22:23]
	s_waitcnt lgkmcnt(0)
	v_mul_f64 v[42:43], v[30:31], v[34:35]
	v_mul_f64 v[44:45], v[28:29], v[34:35]
	s_delay_alu instid0(VALU_DEP_4) | instskip(NEXT) | instid1(VALU_DEP_4)
	v_fma_f64 v[1:2], v[24:25], v[20:21], -v[1:2]
	v_fma_f64 v[46:47], v[26:27], v[20:21], v[22:23]
	ds_load_b128 v[20:23], v16 offset:512
	ds_load_b128 v[24:27], v17 offset:32
	ds_load_b128 v[34:37], v17 offset:48
	ds_load_b128 v[38:41], v16 offset:768
	v_fma_f64 v[28:29], v[28:29], v[32:33], -v[42:43]
	v_fma_f64 v[30:31], v[30:31], v[32:33], v[44:45]
	s_waitcnt lgkmcnt(2)
	v_mul_f64 v[48:49], v[26:27], v[22:23]
	v_mul_f64 v[22:23], v[24:25], v[22:23]
	s_waitcnt lgkmcnt(0)
	v_mul_f64 v[32:33], v[36:37], v[40:41]
	v_mul_f64 v[40:41], v[34:35], v[40:41]
	v_add_f64 v[1:2], v[11:12], v[1:2]
	v_add_f64 v[9:10], v[9:10], v[46:47]
	v_fma_f64 v[42:43], v[24:25], v[20:21], -v[48:49]
	v_fma_f64 v[44:45], v[26:27], v[20:21], v[22:23]
	v_fma_f64 v[32:33], v[34:35], v[38:39], -v[32:33]
	v_fma_f64 v[34:35], v[36:37], v[38:39], v[40:41]
	v_add_f64 v[1:2], v[1:2], v[28:29]
	v_add_f64 v[46:47], v[9:10], v[30:31]
	ds_load_b128 v[9:12], v16 offset:1024
	ds_load_b128 v[20:23], v17 offset:64
	;; [unrolled: 1-line block ×4, first 2 shown]
	s_waitcnt lgkmcnt(2)
	v_mul_f64 v[48:49], v[22:23], v[11:12]
	v_mul_f64 v[11:12], v[20:21], v[11:12]
	s_waitcnt lgkmcnt(0)
	v_mul_f64 v[38:39], v[26:27], v[30:31]
	v_mul_f64 v[40:41], v[24:25], v[30:31]
	v_add_f64 v[1:2], v[1:2], v[42:43]
	v_add_f64 v[36:37], v[46:47], v[44:45]
	v_fma_f64 v[42:43], v[20:21], v[9:10], -v[48:49]
	v_fma_f64 v[44:45], v[22:23], v[9:10], v[11:12]
	v_fma_f64 v[24:25], v[24:25], v[28:29], -v[38:39]
	v_fma_f64 v[26:27], v[26:27], v[28:29], v[40:41]
	v_add_f64 v[1:2], v[1:2], v[32:33]
	v_add_f64 v[46:47], v[36:37], v[34:35]
	ds_load_b128 v[9:12], v16 offset:1536
	ds_load_b128 v[20:23], v17 offset:96
	ds_load_b128 v[30:33], v17 offset:112
	ds_load_b128 v[34:37], v16 offset:1792
	s_waitcnt lgkmcnt(2)
	v_mul_f64 v[48:49], v[22:23], v[11:12]
	v_mul_f64 v[11:12], v[20:21], v[11:12]
	s_waitcnt lgkmcnt(0)
	v_mul_f64 v[40:41], v[32:33], v[36:37]
	v_add_f64 v[1:2], v[1:2], v[42:43]
	v_add_f64 v[28:29], v[46:47], v[44:45]
	v_mul_f64 v[42:43], v[30:31], v[36:37]
	v_fma_f64 v[44:45], v[20:21], v[9:10], -v[48:49]
	v_fma_f64 v[46:47], v[22:23], v[9:10], v[11:12]
	v_fma_f64 v[30:31], v[30:31], v[34:35], -v[40:41]
	v_add_f64 v[1:2], v[1:2], v[24:25]
	v_add_f64 v[28:29], v[28:29], v[26:27]
	ds_load_b128 v[9:12], v16 offset:2048
	ds_load_b128 v[20:23], v17 offset:128
	;; [unrolled: 1-line block ×4, first 2 shown]
	v_fma_f64 v[32:33], v[32:33], v[34:35], v[42:43]
	s_waitcnt lgkmcnt(2)
	v_mul_f64 v[48:49], v[22:23], v[11:12]
	v_mul_f64 v[11:12], v[20:21], v[11:12]
	s_waitcnt lgkmcnt(0)
	v_mul_f64 v[40:41], v[26:27], v[38:39]
	v_mul_f64 v[38:39], v[24:25], v[38:39]
	v_add_f64 v[1:2], v[1:2], v[44:45]
	v_add_f64 v[28:29], v[28:29], v[46:47]
	v_fma_f64 v[42:43], v[20:21], v[9:10], -v[48:49]
	v_fma_f64 v[44:45], v[22:23], v[9:10], v[11:12]
	v_fma_f64 v[24:25], v[24:25], v[36:37], -v[40:41]
	v_fma_f64 v[26:27], v[26:27], v[36:37], v[38:39]
	v_add_f64 v[1:2], v[1:2], v[30:31]
	v_add_f64 v[46:47], v[28:29], v[32:33]
	ds_load_b128 v[9:12], v16 offset:2560
	ds_load_b128 v[20:23], v17 offset:160
	;; [unrolled: 1-line block ×4, first 2 shown]
	s_waitcnt lgkmcnt(2)
	v_mul_f64 v[48:49], v[22:23], v[11:12]
	v_mul_f64 v[11:12], v[20:21], v[11:12]
	s_waitcnt lgkmcnt(0)
	v_mul_f64 v[38:39], v[30:31], v[34:35]
	v_mul_f64 v[40:41], v[28:29], v[34:35]
	v_add_f64 v[1:2], v[1:2], v[42:43]
	v_add_f64 v[36:37], v[46:47], v[44:45]
	v_fma_f64 v[42:43], v[20:21], v[9:10], -v[48:49]
	v_fma_f64 v[44:45], v[22:23], v[9:10], v[11:12]
	v_fma_f64 v[28:29], v[28:29], v[32:33], -v[38:39]
	v_fma_f64 v[30:31], v[30:31], v[32:33], v[40:41]
	v_add_f64 v[1:2], v[1:2], v[24:25]
	v_add_f64 v[46:47], v[36:37], v[26:27]
	ds_load_b128 v[9:12], v16 offset:3072
	ds_load_b128 v[20:23], v17 offset:192
	;; [unrolled: 1-line block ×4, first 2 shown]
	s_waitcnt lgkmcnt(2)
	v_mul_f64 v[48:49], v[22:23], v[11:12]
	v_mul_f64 v[11:12], v[20:21], v[11:12]
	s_waitcnt lgkmcnt(0)
	v_mul_f64 v[40:41], v[26:27], v[36:37]
	v_add_f64 v[1:2], v[1:2], v[42:43]
	v_add_f64 v[32:33], v[46:47], v[44:45]
	v_mul_f64 v[42:43], v[24:25], v[36:37]
	v_fma_f64 v[44:45], v[20:21], v[9:10], -v[48:49]
	v_fma_f64 v[46:47], v[22:23], v[9:10], v[11:12]
	v_fma_f64 v[24:25], v[24:25], v[34:35], -v[40:41]
	v_add_f64 v[1:2], v[1:2], v[28:29]
	v_add_f64 v[32:33], v[32:33], v[30:31]
	ds_load_b128 v[9:12], v16 offset:3584
	ds_load_b128 v[20:23], v17 offset:224
	;; [unrolled: 1-line block ×4, first 2 shown]
	v_fma_f64 v[26:27], v[26:27], v[34:35], v[42:43]
	s_waitcnt lgkmcnt(0)
	s_barrier
	buffer_gl0_inv
	v_mul_f64 v[48:49], v[22:23], v[11:12]
	v_mul_f64 v[11:12], v[20:21], v[11:12]
	;; [unrolled: 1-line block ×4, first 2 shown]
	v_add_f64 v[1:2], v[1:2], v[44:45]
	v_add_f64 v[32:33], v[32:33], v[46:47]
	v_fma_f64 v[20:21], v[20:21], v[9:10], -v[48:49]
	v_fma_f64 v[9:10], v[22:23], v[9:10], v[11:12]
	v_fma_f64 v[22:23], v[28:29], v[36:37], -v[34:35]
	v_add_f64 v[1:2], v[1:2], v[24:25]
	v_add_f64 v[11:12], v[32:33], v[26:27]
	v_fma_f64 v[24:25], v[30:31], v[36:37], v[38:39]
	s_delay_alu instid0(VALU_DEP_3) | instskip(NEXT) | instid1(VALU_DEP_3)
	v_add_f64 v[1:2], v[1:2], v[20:21]
	v_add_f64 v[9:10], v[11:12], v[9:10]
	s_delay_alu instid0(VALU_DEP_2) | instskip(NEXT) | instid1(VALU_DEP_2)
	v_add_f64 v[11:12], v[1:2], v[22:23]
	v_add_f64 v[9:10], v[9:10], v[24:25]
	s_cbranch_scc1 .LBB749_11
.LBB749_3:                              ; =>This Inner Loop Header: Depth=1
	v_add_nc_u32_e32 v1, s19, v15
	s_delay_alu instid0(VALU_DEP_1) | instskip(SKIP_1) | instid1(SALU_CYCLE_1)
	v_cmp_le_i32_e32 vcc_lo, s21, v1
	s_or_b32 s12, s3, vcc_lo
	s_and_saveexec_b32 s13, s12
	s_delay_alu instid0(SALU_CYCLE_1)
	s_xor_b32 s12, exec_lo, s13
	s_cbranch_execz .LBB749_5
; %bb.4:                                ;   in Loop: Header=BB749_3 Depth=1
	v_mov_b32_e32 v1, v0
	v_mov_b32_e32 v2, v0
	;; [unrolled: 1-line block ×3, first 2 shown]
	ds_store_b128 v18, v[0:3]
.LBB749_5:                              ;   in Loop: Header=BB749_3 Depth=1
	s_and_not1_saveexec_b32 s12, s12
	s_cbranch_execz .LBB749_7
; %bb.6:                                ;   in Loop: Header=BB749_3 Depth=1
	global_load_b128 v[20:23], v[7:8], off
	s_waitcnt vmcnt(0)
	ds_store_2addr_b64 v18, v[20:21], v[22:23] offset1:1
.LBB749_7:                              ;   in Loop: Header=BB749_3 Depth=1
	s_or_b32 exec_lo, exec_lo, s12
	v_add_nc_u32_e32 v1, s19, v14
	s_delay_alu instid0(VALU_DEP_1) | instskip(SKIP_1) | instid1(SALU_CYCLE_1)
	v_cmp_le_i32_e32 vcc_lo, s21, v1
	s_or_b32 s12, s2, vcc_lo
	s_and_saveexec_b32 s13, s12
	s_delay_alu instid0(SALU_CYCLE_1)
	s_xor_b32 s12, exec_lo, s13
	s_cbranch_execz .LBB749_9
; %bb.8:                                ;   in Loop: Header=BB749_3 Depth=1
	v_mov_b32_e32 v1, v0
	v_mov_b32_e32 v2, v0
	v_mov_b32_e32 v3, v0
	ds_store_b128 v19, v[0:3]
.LBB749_9:                              ;   in Loop: Header=BB749_3 Depth=1
	s_and_not1_saveexec_b32 s12, s12
	s_cbranch_execz .LBB749_2
; %bb.10:                               ;   in Loop: Header=BB749_3 Depth=1
	global_load_b128 v[20:23], v[5:6], off
	s_waitcnt vmcnt(0)
	ds_store_2addr_b64 v19, v[20:21], v[22:23] offset1:1
	s_branch .LBB749_2
.LBB749_11:
	v_cmp_le_i32_e32 vcc_lo, v13, v4
	v_cmp_gt_i32_e64 s2, s20, v4
	s_delay_alu instid0(VALU_DEP_1) | instskip(NEXT) | instid1(SALU_CYCLE_1)
	s_and_b32 s2, vcc_lo, s2
	s_and_saveexec_b32 s3, s2
	s_cbranch_execz .LBB749_13
; %bb.12:
	s_load_b32 s0, s[0:1], 0x60
	v_ashrrev_i32_e32 v5, 31, v4
	s_delay_alu instid0(VALU_DEP_4) | instskip(SKIP_1) | instid1(VALU_DEP_3)
	v_mul_f64 v[6:7], s[6:7], v[9:10]
	v_mul_f64 v[8:9], s[4:5], v[9:10]
	v_lshlrev_b64 v[2:3], 4, v[4:5]
	s_waitcnt lgkmcnt(0)
	v_mad_i64_i32 v[0:1], null, s0, v13, 0
	s_delay_alu instid0(VALU_DEP_1) | instskip(NEXT) | instid1(VALU_DEP_1)
	v_lshlrev_b64 v[0:1], 4, v[0:1]
	v_add_co_u32 v0, vcc_lo, s16, v0
	s_delay_alu instid0(VALU_DEP_2) | instskip(NEXT) | instid1(VALU_DEP_2)
	v_add_co_ci_u32_e32 v1, vcc_lo, s17, v1, vcc_lo
	v_add_co_u32 v4, vcc_lo, v0, v2
	s_delay_alu instid0(VALU_DEP_2)
	v_add_co_ci_u32_e32 v5, vcc_lo, v1, v3, vcc_lo
	v_fma_f64 v[6:7], s[4:5], v[11:12], -v[6:7]
	v_fma_f64 v[8:9], s[6:7], v[11:12], v[8:9]
	global_load_b128 v[0:3], v[4:5], off
	s_waitcnt vmcnt(0)
	v_mul_f64 v[13:14], s[10:11], v[2:3]
	v_mul_f64 v[2:3], s[8:9], v[2:3]
	s_delay_alu instid0(VALU_DEP_2) | instskip(NEXT) | instid1(VALU_DEP_2)
	v_fma_f64 v[10:11], s[8:9], v[0:1], -v[13:14]
	v_fma_f64 v[2:3], s[10:11], v[0:1], v[2:3]
	s_delay_alu instid0(VALU_DEP_2) | instskip(NEXT) | instid1(VALU_DEP_2)
	v_add_f64 v[0:1], v[6:7], v[10:11]
	v_add_f64 v[2:3], v[8:9], v[2:3]
	global_store_b128 v[4:5], v[0:3], off
.LBB749_13:
	s_nop 0
	s_sendmsg sendmsg(MSG_DEALLOC_VGPRS)
	s_endpgm
	.section	.rodata,"a",@progbits
	.p2align	6, 0x0
	.amdhsa_kernel _ZL32rocblas_syrkx_herkx_small_kernelIi19rocblas_complex_numIdELi16ELb0ELb0ELc84ELc76EKPKS1_KPS1_EviT_T0_PT6_S7_lSA_S7_lS8_PT7_S7_li
		.amdhsa_group_segment_fixed_size 8192
		.amdhsa_private_segment_fixed_size 0
		.amdhsa_kernarg_size 116
		.amdhsa_user_sgpr_count 13
		.amdhsa_user_sgpr_dispatch_ptr 0
		.amdhsa_user_sgpr_queue_ptr 0
		.amdhsa_user_sgpr_kernarg_segment_ptr 1
		.amdhsa_user_sgpr_dispatch_id 0
		.amdhsa_user_sgpr_private_segment_size 0
		.amdhsa_wavefront_size32 1
		.amdhsa_uses_dynamic_stack 0
		.amdhsa_enable_private_segment 0
		.amdhsa_system_sgpr_workgroup_id_x 1
		.amdhsa_system_sgpr_workgroup_id_y 1
		.amdhsa_system_sgpr_workgroup_id_z 1
		.amdhsa_system_sgpr_workgroup_info 0
		.amdhsa_system_vgpr_workitem_id 1
		.amdhsa_next_free_vgpr 50
		.amdhsa_next_free_sgpr 26
		.amdhsa_reserve_vcc 1
		.amdhsa_float_round_mode_32 0
		.amdhsa_float_round_mode_16_64 0
		.amdhsa_float_denorm_mode_32 3
		.amdhsa_float_denorm_mode_16_64 3
		.amdhsa_dx10_clamp 1
		.amdhsa_ieee_mode 1
		.amdhsa_fp16_overflow 0
		.amdhsa_workgroup_processor_mode 1
		.amdhsa_memory_ordered 1
		.amdhsa_forward_progress 0
		.amdhsa_shared_vgpr_count 0
		.amdhsa_exception_fp_ieee_invalid_op 0
		.amdhsa_exception_fp_denorm_src 0
		.amdhsa_exception_fp_ieee_div_zero 0
		.amdhsa_exception_fp_ieee_overflow 0
		.amdhsa_exception_fp_ieee_underflow 0
		.amdhsa_exception_fp_ieee_inexact 0
		.amdhsa_exception_int_div_zero 0
	.end_amdhsa_kernel
	.section	.text._ZL32rocblas_syrkx_herkx_small_kernelIi19rocblas_complex_numIdELi16ELb0ELb0ELc84ELc76EKPKS1_KPS1_EviT_T0_PT6_S7_lSA_S7_lS8_PT7_S7_li,"axG",@progbits,_ZL32rocblas_syrkx_herkx_small_kernelIi19rocblas_complex_numIdELi16ELb0ELb0ELc84ELc76EKPKS1_KPS1_EviT_T0_PT6_S7_lSA_S7_lS8_PT7_S7_li,comdat
.Lfunc_end749:
	.size	_ZL32rocblas_syrkx_herkx_small_kernelIi19rocblas_complex_numIdELi16ELb0ELb0ELc84ELc76EKPKS1_KPS1_EviT_T0_PT6_S7_lSA_S7_lS8_PT7_S7_li, .Lfunc_end749-_ZL32rocblas_syrkx_herkx_small_kernelIi19rocblas_complex_numIdELi16ELb0ELb0ELc84ELc76EKPKS1_KPS1_EviT_T0_PT6_S7_lSA_S7_lS8_PT7_S7_li
                                        ; -- End function
	.section	.AMDGPU.csdata,"",@progbits
; Kernel info:
; codeLenInByte = 1972
; NumSgprs: 28
; NumVgprs: 50
; ScratchSize: 0
; MemoryBound: 0
; FloatMode: 240
; IeeeMode: 1
; LDSByteSize: 8192 bytes/workgroup (compile time only)
; SGPRBlocks: 3
; VGPRBlocks: 6
; NumSGPRsForWavesPerEU: 28
; NumVGPRsForWavesPerEU: 50
; Occupancy: 16
; WaveLimiterHint : 1
; COMPUTE_PGM_RSRC2:SCRATCH_EN: 0
; COMPUTE_PGM_RSRC2:USER_SGPR: 13
; COMPUTE_PGM_RSRC2:TRAP_HANDLER: 0
; COMPUTE_PGM_RSRC2:TGID_X_EN: 1
; COMPUTE_PGM_RSRC2:TGID_Y_EN: 1
; COMPUTE_PGM_RSRC2:TGID_Z_EN: 1
; COMPUTE_PGM_RSRC2:TIDIG_COMP_CNT: 1
	.section	.text._ZL32rocblas_syrkx_herkx_small_kernelIi19rocblas_complex_numIdELi16ELb0ELb0ELc67ELc76EKPKS1_KPS1_EviT_T0_PT6_S7_lSA_S7_lS8_PT7_S7_li,"axG",@progbits,_ZL32rocblas_syrkx_herkx_small_kernelIi19rocblas_complex_numIdELi16ELb0ELb0ELc67ELc76EKPKS1_KPS1_EviT_T0_PT6_S7_lSA_S7_lS8_PT7_S7_li,comdat
	.globl	_ZL32rocblas_syrkx_herkx_small_kernelIi19rocblas_complex_numIdELi16ELb0ELb0ELc67ELc76EKPKS1_KPS1_EviT_T0_PT6_S7_lSA_S7_lS8_PT7_S7_li ; -- Begin function _ZL32rocblas_syrkx_herkx_small_kernelIi19rocblas_complex_numIdELi16ELb0ELb0ELc67ELc76EKPKS1_KPS1_EviT_T0_PT6_S7_lSA_S7_lS8_PT7_S7_li
	.p2align	8
	.type	_ZL32rocblas_syrkx_herkx_small_kernelIi19rocblas_complex_numIdELi16ELb0ELb0ELc67ELc76EKPKS1_KPS1_EviT_T0_PT6_S7_lSA_S7_lS8_PT7_S7_li,@function
_ZL32rocblas_syrkx_herkx_small_kernelIi19rocblas_complex_numIdELi16ELb0ELb0ELc67ELc76EKPKS1_KPS1_EviT_T0_PT6_S7_lSA_S7_lS8_PT7_S7_li: ; @_ZL32rocblas_syrkx_herkx_small_kernelIi19rocblas_complex_numIdELi16ELb0ELb0ELc67ELc76EKPKS1_KPS1_EviT_T0_PT6_S7_lSA_S7_lS8_PT7_S7_li
; %bb.0:
	s_load_b64 s[2:3], s[0:1], 0x58
	s_mov_b32 s18, s15
	s_mov_b32 s19, 0
	s_clause 0x1
	s_load_b64 s[20:21], s[0:1], 0x0
	s_load_b128 s[4:7], s[0:1], 0x8
	s_lshl_b64 s[22:23], s[18:19], 3
	v_dual_mov_b32 v12, 0 :: v_dual_and_b32 v17, 0x3ff, v0
	v_bfe_u32 v18, v0, 10, 10
	v_mov_b32_e32 v13, 0
	s_delay_alu instid0(VALU_DEP_3) | instskip(NEXT) | instid1(VALU_DEP_3)
	v_lshl_add_u32 v5, s13, 4, v17
	v_lshl_add_u32 v16, s14, 4, v18
	s_delay_alu instid0(VALU_DEP_3)
	v_dual_mov_b32 v15, v13 :: v_dual_mov_b32 v14, v12
	s_waitcnt lgkmcnt(0)
	s_add_u32 s2, s2, s22
	s_addc_u32 s3, s3, s23
	s_clause 0x1
	s_load_b64 s[24:25], s[0:1], 0x18
	s_load_b128 s[8:11], s[0:1], 0x48
	s_load_b64 s[16:17], s[2:3], 0x0
	v_cmp_gt_i32_e32 vcc_lo, s20, v5
	s_cmp_lt_i32 s21, 1
	s_cbranch_scc1 .LBB750_9
; %bb.1:
	s_clause 0x2
	s_load_b64 s[12:13], s[0:1], 0x30
	s_load_b32 s3, s[0:1], 0x20
	s_load_b32 s18, s[0:1], 0x38
	v_dual_mov_b32 v0, 0 :: v_dual_lshlrev_b32 v9, 4, v18
	v_dual_mov_b32 v6, 0 :: v_dual_lshlrev_b32 v19, 4, v17
	;; [unrolled: 1-line block ×3, first 2 shown]
	v_cmp_gt_i32_e64 s2, s20, v16
	s_delay_alu instid0(VALU_DEP_2) | instskip(NEXT) | instid1(VALU_DEP_4)
	v_dual_mov_b32 v13, v7 :: v_dual_add_nc_u32 v20, 0x1000, v8
	v_dual_mov_b32 v12, v6 :: v_dual_add_nc_u32 v21, v19, v8
	s_delay_alu instid0(VALU_DEP_2)
	v_dual_mov_b32 v15, v7 :: v_dual_add_nc_u32 v22, v20, v19
	v_mov_b32_e32 v14, v6
	s_waitcnt lgkmcnt(0)
	s_add_u32 s12, s12, s22
	s_addc_u32 s13, s13, s23
	s_add_u32 s14, s24, s22
	s_addc_u32 s15, s25, s23
	v_mad_i64_i32 v[1:2], null, s3, v5, 0
	s_load_b64 s[14:15], s[14:15], 0x0
	v_mad_i64_i32 v[3:4], null, s18, v16, 0
	s_load_b64 s[12:13], s[12:13], 0x0
	s_delay_alu instid0(VALU_DEP_2) | instskip(NEXT) | instid1(VALU_DEP_2)
	v_lshlrev_b64 v[1:2], 4, v[1:2]
	v_lshlrev_b64 v[3:4], 4, v[3:4]
	s_delay_alu instid0(VALU_DEP_2) | instskip(NEXT) | instid1(VALU_DEP_1)
	v_add_co_u32 v1, s3, v1, v9
	v_add_co_ci_u32_e64 v2, s3, 0, v2, s3
	s_delay_alu instid0(VALU_DEP_3) | instskip(NEXT) | instid1(VALU_DEP_1)
	v_add_co_u32 v3, s3, v3, v19
	v_add_co_ci_u32_e64 v4, s3, 0, v4, s3
	s_waitcnt lgkmcnt(0)
	v_add_co_u32 v1, s3, v1, s14
	s_delay_alu instid0(VALU_DEP_1) | instskip(SKIP_1) | instid1(VALU_DEP_1)
	v_add_co_ci_u32_e64 v2, s3, s15, v2, s3
	v_add_co_u32 v8, s3, s12, v3
	v_add_co_ci_u32_e64 v9, s3, s13, v4, s3
	s_delay_alu instid0(VALU_DEP_4) | instskip(NEXT) | instid1(VALU_DEP_1)
	v_add_co_u32 v10, s3, v1, 8
	v_add_co_ci_u32_e64 v11, s3, 0, v2, s3
	s_xor_b32 s3, s2, -1
	s_branch .LBB750_3
.LBB750_2:                              ;   in Loop: Header=BB750_3 Depth=1
	s_or_b32 exec_lo, exec_lo, s2
	s_waitcnt lgkmcnt(0)
	s_barrier
	buffer_gl0_inv
	ds_load_b128 v[1:4], v19
	ds_load_b128 v[23:26], v20
	ds_load_b128 v[27:30], v20 offset:16
	ds_load_b128 v[31:34], v19 offset:256
	v_add_co_u32 v8, s2, 0x100, v8
	s_delay_alu instid0(VALU_DEP_1) | instskip(SKIP_1) | instid1(VALU_DEP_1)
	v_add_co_ci_u32_e64 v9, s2, 0, v9, s2
	v_add_co_u32 v10, s2, 0x100, v10
	v_add_co_ci_u32_e64 v11, s2, 0, v11, s2
	s_add_i32 s19, s19, 16
	s_delay_alu instid0(SALU_CYCLE_1)
	s_cmp_ge_i32 s19, s21
	s_waitcnt lgkmcnt(2)
	v_mul_f64 v[35:36], v[25:26], v[3:4]
	v_mul_f64 v[3:4], v[23:24], v[3:4]
	s_waitcnt lgkmcnt(0)
	v_mul_f64 v[41:42], v[29:30], v[33:34]
	v_mul_f64 v[43:44], v[27:28], v[33:34]
	s_delay_alu instid0(VALU_DEP_4) | instskip(NEXT) | instid1(VALU_DEP_4)
	v_fma_f64 v[45:46], v[23:24], v[1:2], -v[35:36]
	v_fma_f64 v[47:48], v[25:26], v[1:2], v[3:4]
	ds_load_b128 v[1:4], v19 offset:512
	ds_load_b128 v[23:26], v20 offset:32
	;; [unrolled: 1-line block ×4, first 2 shown]
	v_fma_f64 v[27:28], v[27:28], v[31:32], -v[41:42]
	v_fma_f64 v[29:30], v[29:30], v[31:32], v[43:44]
	s_waitcnt lgkmcnt(2)
	v_mul_f64 v[49:50], v[25:26], v[3:4]
	v_mul_f64 v[3:4], v[23:24], v[3:4]
	s_waitcnt lgkmcnt(0)
	v_mul_f64 v[31:32], v[35:36], v[39:40]
	v_mul_f64 v[39:40], v[33:34], v[39:40]
	v_add_f64 v[14:15], v[14:15], v[45:46]
	v_add_f64 v[12:13], v[12:13], v[47:48]
	v_fma_f64 v[41:42], v[23:24], v[1:2], -v[49:50]
	v_fma_f64 v[43:44], v[25:26], v[1:2], v[3:4]
	v_fma_f64 v[31:32], v[33:34], v[37:38], -v[31:32]
	v_fma_f64 v[33:34], v[35:36], v[37:38], v[39:40]
	v_add_f64 v[45:46], v[14:15], v[27:28]
	v_add_f64 v[47:48], v[12:13], v[29:30]
	ds_load_b128 v[1:4], v19 offset:1024
	ds_load_b128 v[12:15], v20 offset:64
	;; [unrolled: 1-line block ×4, first 2 shown]
	s_waitcnt lgkmcnt(2)
	v_mul_f64 v[49:50], v[14:15], v[3:4]
	v_mul_f64 v[3:4], v[12:13], v[3:4]
	s_waitcnt lgkmcnt(0)
	v_mul_f64 v[39:40], v[25:26], v[29:30]
	v_add_f64 v[35:36], v[45:46], v[41:42]
	v_add_f64 v[37:38], v[47:48], v[43:44]
	v_mul_f64 v[41:42], v[23:24], v[29:30]
	v_fma_f64 v[43:44], v[12:13], v[1:2], -v[49:50]
	v_fma_f64 v[45:46], v[14:15], v[1:2], v[3:4]
	v_fma_f64 v[23:24], v[23:24], v[27:28], -v[39:40]
	v_add_f64 v[47:48], v[35:36], v[31:32]
	v_add_f64 v[37:38], v[37:38], v[33:34]
	ds_load_b128 v[1:4], v19 offset:1536
	ds_load_b128 v[12:15], v20 offset:96
	;; [unrolled: 1-line block ×4, first 2 shown]
	v_fma_f64 v[25:26], v[25:26], v[27:28], v[41:42]
	s_waitcnt lgkmcnt(2)
	v_mul_f64 v[49:50], v[14:15], v[3:4]
	v_mul_f64 v[3:4], v[12:13], v[3:4]
	s_waitcnt lgkmcnt(0)
	v_mul_f64 v[39:40], v[31:32], v[35:36]
	v_mul_f64 v[41:42], v[29:30], v[35:36]
	v_add_f64 v[27:28], v[47:48], v[43:44]
	v_add_f64 v[37:38], v[37:38], v[45:46]
	v_fma_f64 v[43:44], v[12:13], v[1:2], -v[49:50]
	v_fma_f64 v[45:46], v[14:15], v[1:2], v[3:4]
	v_fma_f64 v[29:30], v[29:30], v[33:34], -v[39:40]
	v_fma_f64 v[31:32], v[31:32], v[33:34], v[41:42]
	v_add_f64 v[27:28], v[27:28], v[23:24]
	v_add_f64 v[47:48], v[37:38], v[25:26]
	ds_load_b128 v[1:4], v19 offset:2048
	ds_load_b128 v[12:15], v20 offset:128
	;; [unrolled: 1-line block ×4, first 2 shown]
	s_waitcnt lgkmcnt(2)
	v_mul_f64 v[49:50], v[14:15], v[3:4]
	v_mul_f64 v[3:4], v[12:13], v[3:4]
	s_waitcnt lgkmcnt(0)
	v_mul_f64 v[39:40], v[25:26], v[37:38]
	v_mul_f64 v[37:38], v[23:24], v[37:38]
	v_add_f64 v[27:28], v[27:28], v[43:44]
	v_add_f64 v[33:34], v[47:48], v[45:46]
	v_fma_f64 v[41:42], v[12:13], v[1:2], -v[49:50]
	v_fma_f64 v[43:44], v[14:15], v[1:2], v[3:4]
	v_fma_f64 v[23:24], v[23:24], v[35:36], -v[39:40]
	v_fma_f64 v[25:26], v[25:26], v[35:36], v[37:38]
	v_add_f64 v[45:46], v[27:28], v[29:30]
	v_add_f64 v[47:48], v[33:34], v[31:32]
	ds_load_b128 v[1:4], v19 offset:2560
	ds_load_b128 v[12:15], v20 offset:160
	;; [unrolled: 1-line block ×4, first 2 shown]
	s_waitcnt lgkmcnt(2)
	v_mul_f64 v[49:50], v[14:15], v[3:4]
	v_mul_f64 v[3:4], v[12:13], v[3:4]
	s_waitcnt lgkmcnt(0)
	v_mul_f64 v[39:40], v[29:30], v[33:34]
	v_add_f64 v[35:36], v[45:46], v[41:42]
	v_add_f64 v[37:38], v[47:48], v[43:44]
	v_mul_f64 v[41:42], v[27:28], v[33:34]
	v_fma_f64 v[43:44], v[12:13], v[1:2], -v[49:50]
	v_fma_f64 v[45:46], v[14:15], v[1:2], v[3:4]
	v_fma_f64 v[27:28], v[27:28], v[31:32], -v[39:40]
	v_add_f64 v[47:48], v[35:36], v[23:24]
	v_add_f64 v[37:38], v[37:38], v[25:26]
	ds_load_b128 v[1:4], v19 offset:3072
	ds_load_b128 v[12:15], v20 offset:192
	;; [unrolled: 1-line block ×4, first 2 shown]
	v_fma_f64 v[29:30], v[29:30], v[31:32], v[41:42]
	s_waitcnt lgkmcnt(2)
	v_mul_f64 v[49:50], v[14:15], v[3:4]
	v_mul_f64 v[3:4], v[12:13], v[3:4]
	s_waitcnt lgkmcnt(0)
	v_mul_f64 v[39:40], v[25:26], v[35:36]
	v_mul_f64 v[41:42], v[23:24], v[35:36]
	v_add_f64 v[31:32], v[47:48], v[43:44]
	v_add_f64 v[37:38], v[37:38], v[45:46]
	v_fma_f64 v[43:44], v[12:13], v[1:2], -v[49:50]
	v_fma_f64 v[45:46], v[14:15], v[1:2], v[3:4]
	v_fma_f64 v[23:24], v[23:24], v[33:34], -v[39:40]
	v_fma_f64 v[25:26], v[25:26], v[33:34], v[41:42]
	v_add_f64 v[31:32], v[31:32], v[27:28]
	v_add_f64 v[47:48], v[37:38], v[29:30]
	ds_load_b128 v[1:4], v19 offset:3584
	ds_load_b128 v[12:15], v20 offset:224
	;; [unrolled: 1-line block ×4, first 2 shown]
	s_waitcnt lgkmcnt(0)
	s_barrier
	buffer_gl0_inv
	v_mul_f64 v[49:50], v[14:15], v[3:4]
	v_mul_f64 v[3:4], v[12:13], v[3:4]
	;; [unrolled: 1-line block ×4, first 2 shown]
	v_add_f64 v[31:32], v[31:32], v[43:44]
	v_add_f64 v[33:34], v[47:48], v[45:46]
	v_fma_f64 v[12:13], v[12:13], v[1:2], -v[49:50]
	v_fma_f64 v[1:2], v[14:15], v[1:2], v[3:4]
	s_delay_alu instid0(VALU_DEP_4) | instskip(NEXT) | instid1(VALU_DEP_4)
	v_add_f64 v[3:4], v[31:32], v[23:24]
	v_add_f64 v[14:15], v[33:34], v[25:26]
	v_fma_f64 v[23:24], v[27:28], v[35:36], -v[39:40]
	v_fma_f64 v[25:26], v[29:30], v[35:36], v[37:38]
	s_delay_alu instid0(VALU_DEP_4) | instskip(NEXT) | instid1(VALU_DEP_4)
	v_add_f64 v[3:4], v[3:4], v[12:13]
	v_add_f64 v[1:2], v[14:15], v[1:2]
	s_delay_alu instid0(VALU_DEP_2) | instskip(NEXT) | instid1(VALU_DEP_2)
	v_add_f64 v[14:15], v[3:4], v[23:24]
	v_add_f64 v[12:13], v[1:2], v[25:26]
	s_cbranch_scc1 .LBB750_9
.LBB750_3:                              ; =>This Inner Loop Header: Depth=1
	v_add_nc_u32_e32 v1, s19, v18
	v_dual_mov_b32 v3, v6 :: v_dual_mov_b32 v4, v7
	s_delay_alu instid0(VALU_DEP_2) | instskip(SKIP_1) | instid1(VALU_DEP_2)
	v_cmp_gt_i32_e64 s2, s21, v1
	v_dual_mov_b32 v1, v6 :: v_dual_mov_b32 v2, v7
	s_and_b32 s12, vcc_lo, s2
	s_delay_alu instid0(SALU_CYCLE_1)
	s_and_saveexec_b32 s2, s12
	s_cbranch_execz .LBB750_5
; %bb.4:                                ;   in Loop: Header=BB750_3 Depth=1
	global_load_b128 v[1:4], v[10:11], off offset:-8
.LBB750_5:                              ;   in Loop: Header=BB750_3 Depth=1
	s_or_b32 exec_lo, exec_lo, s2
	v_add_nc_u32_e32 v23, s19, v17
	s_waitcnt vmcnt(0)
	ds_store_b128 v21, v[1:4]
	v_cmp_le_i32_e64 s2, s21, v23
	s_delay_alu instid0(VALU_DEP_1) | instskip(NEXT) | instid1(SALU_CYCLE_1)
	s_or_b32 s2, s3, s2
	s_and_saveexec_b32 s12, s2
	s_delay_alu instid0(SALU_CYCLE_1)
	s_xor_b32 s2, exec_lo, s12
	s_cbranch_execz .LBB750_7
; %bb.6:                                ;   in Loop: Header=BB750_3 Depth=1
	v_mov_b32_e32 v1, v0
	v_mov_b32_e32 v2, v0
	;; [unrolled: 1-line block ×3, first 2 shown]
	ds_store_b128 v22, v[0:3]
.LBB750_7:                              ;   in Loop: Header=BB750_3 Depth=1
	s_and_not1_saveexec_b32 s2, s2
	s_cbranch_execz .LBB750_2
; %bb.8:                                ;   in Loop: Header=BB750_3 Depth=1
	global_load_b128 v[1:4], v[8:9], off
	s_waitcnt vmcnt(0)
	ds_store_2addr_b64 v22, v[1:2], v[3:4] offset1:1
	s_branch .LBB750_2
.LBB750_9:
	v_cmp_le_i32_e32 vcc_lo, v16, v5
	v_cmp_gt_i32_e64 s2, s20, v5
	s_delay_alu instid0(VALU_DEP_1) | instskip(NEXT) | instid1(SALU_CYCLE_1)
	s_and_b32 s2, vcc_lo, s2
	s_and_saveexec_b32 s3, s2
	s_cbranch_execz .LBB750_11
; %bb.10:
	s_load_b32 s0, s[0:1], 0x60
	v_ashrrev_i32_e32 v6, 31, v5
	s_delay_alu instid0(VALU_DEP_4) | instskip(NEXT) | instid1(VALU_DEP_2)
	v_mul_f64 v[8:9], s[4:5], v[12:13]
	v_lshlrev_b64 v[2:3], 4, v[5:6]
	v_mul_f64 v[6:7], s[6:7], v[12:13]
	s_waitcnt lgkmcnt(0)
	v_mad_i64_i32 v[0:1], null, s0, v16, 0
	s_delay_alu instid0(VALU_DEP_1) | instskip(NEXT) | instid1(VALU_DEP_1)
	v_lshlrev_b64 v[0:1], 4, v[0:1]
	v_add_co_u32 v0, vcc_lo, s16, v0
	s_delay_alu instid0(VALU_DEP_2) | instskip(NEXT) | instid1(VALU_DEP_2)
	v_add_co_ci_u32_e32 v1, vcc_lo, s17, v1, vcc_lo
	v_add_co_u32 v4, vcc_lo, v0, v2
	s_delay_alu instid0(VALU_DEP_2)
	v_add_co_ci_u32_e32 v5, vcc_lo, v1, v3, vcc_lo
	v_fma_f64 v[8:9], s[6:7], v[14:15], v[8:9]
	v_fma_f64 v[6:7], s[4:5], v[14:15], -v[6:7]
	global_load_b128 v[0:3], v[4:5], off
	s_waitcnt vmcnt(0)
	v_mul_f64 v[10:11], s[10:11], v[2:3]
	v_mul_f64 v[2:3], s[8:9], v[2:3]
	s_delay_alu instid0(VALU_DEP_2) | instskip(NEXT) | instid1(VALU_DEP_2)
	v_fma_f64 v[10:11], s[8:9], v[0:1], -v[10:11]
	v_fma_f64 v[2:3], s[10:11], v[0:1], v[2:3]
	s_delay_alu instid0(VALU_DEP_2) | instskip(NEXT) | instid1(VALU_DEP_2)
	v_add_f64 v[0:1], v[6:7], v[10:11]
	v_add_f64 v[2:3], v[8:9], v[2:3]
	global_store_b128 v[4:5], v[0:3], off
.LBB750_11:
	s_nop 0
	s_sendmsg sendmsg(MSG_DEALLOC_VGPRS)
	s_endpgm
	.section	.rodata,"a",@progbits
	.p2align	6, 0x0
	.amdhsa_kernel _ZL32rocblas_syrkx_herkx_small_kernelIi19rocblas_complex_numIdELi16ELb0ELb0ELc67ELc76EKPKS1_KPS1_EviT_T0_PT6_S7_lSA_S7_lS8_PT7_S7_li
		.amdhsa_group_segment_fixed_size 8192
		.amdhsa_private_segment_fixed_size 0
		.amdhsa_kernarg_size 116
		.amdhsa_user_sgpr_count 13
		.amdhsa_user_sgpr_dispatch_ptr 0
		.amdhsa_user_sgpr_queue_ptr 0
		.amdhsa_user_sgpr_kernarg_segment_ptr 1
		.amdhsa_user_sgpr_dispatch_id 0
		.amdhsa_user_sgpr_private_segment_size 0
		.amdhsa_wavefront_size32 1
		.amdhsa_uses_dynamic_stack 0
		.amdhsa_enable_private_segment 0
		.amdhsa_system_sgpr_workgroup_id_x 1
		.amdhsa_system_sgpr_workgroup_id_y 1
		.amdhsa_system_sgpr_workgroup_id_z 1
		.amdhsa_system_sgpr_workgroup_info 0
		.amdhsa_system_vgpr_workitem_id 1
		.amdhsa_next_free_vgpr 51
		.amdhsa_next_free_sgpr 26
		.amdhsa_reserve_vcc 1
		.amdhsa_float_round_mode_32 0
		.amdhsa_float_round_mode_16_64 0
		.amdhsa_float_denorm_mode_32 3
		.amdhsa_float_denorm_mode_16_64 3
		.amdhsa_dx10_clamp 1
		.amdhsa_ieee_mode 1
		.amdhsa_fp16_overflow 0
		.amdhsa_workgroup_processor_mode 1
		.amdhsa_memory_ordered 1
		.amdhsa_forward_progress 0
		.amdhsa_shared_vgpr_count 0
		.amdhsa_exception_fp_ieee_invalid_op 0
		.amdhsa_exception_fp_denorm_src 0
		.amdhsa_exception_fp_ieee_div_zero 0
		.amdhsa_exception_fp_ieee_overflow 0
		.amdhsa_exception_fp_ieee_underflow 0
		.amdhsa_exception_fp_ieee_inexact 0
		.amdhsa_exception_int_div_zero 0
	.end_amdhsa_kernel
	.section	.text._ZL32rocblas_syrkx_herkx_small_kernelIi19rocblas_complex_numIdELi16ELb0ELb0ELc67ELc76EKPKS1_KPS1_EviT_T0_PT6_S7_lSA_S7_lS8_PT7_S7_li,"axG",@progbits,_ZL32rocblas_syrkx_herkx_small_kernelIi19rocblas_complex_numIdELi16ELb0ELb0ELc67ELc76EKPKS1_KPS1_EviT_T0_PT6_S7_lSA_S7_lS8_PT7_S7_li,comdat
.Lfunc_end750:
	.size	_ZL32rocblas_syrkx_herkx_small_kernelIi19rocblas_complex_numIdELi16ELb0ELb0ELc67ELc76EKPKS1_KPS1_EviT_T0_PT6_S7_lSA_S7_lS8_PT7_S7_li, .Lfunc_end750-_ZL32rocblas_syrkx_herkx_small_kernelIi19rocblas_complex_numIdELi16ELb0ELb0ELc67ELc76EKPKS1_KPS1_EviT_T0_PT6_S7_lSA_S7_lS8_PT7_S7_li
                                        ; -- End function
	.section	.AMDGPU.csdata,"",@progbits
; Kernel info:
; codeLenInByte = 2008
; NumSgprs: 28
; NumVgprs: 51
; ScratchSize: 0
; MemoryBound: 1
; FloatMode: 240
; IeeeMode: 1
; LDSByteSize: 8192 bytes/workgroup (compile time only)
; SGPRBlocks: 3
; VGPRBlocks: 6
; NumSGPRsForWavesPerEU: 28
; NumVGPRsForWavesPerEU: 51
; Occupancy: 16
; WaveLimiterHint : 1
; COMPUTE_PGM_RSRC2:SCRATCH_EN: 0
; COMPUTE_PGM_RSRC2:USER_SGPR: 13
; COMPUTE_PGM_RSRC2:TRAP_HANDLER: 0
; COMPUTE_PGM_RSRC2:TGID_X_EN: 1
; COMPUTE_PGM_RSRC2:TGID_Y_EN: 1
; COMPUTE_PGM_RSRC2:TGID_Z_EN: 1
; COMPUTE_PGM_RSRC2:TIDIG_COMP_CNT: 1
	.section	.text._ZL32rocblas_syrkx_herkx_small_kernelIi19rocblas_complex_numIdELi16ELb0ELb0ELc78ELc76EKPKS1_KPS1_EviT_T0_PT6_S7_lSA_S7_lS8_PT7_S7_li,"axG",@progbits,_ZL32rocblas_syrkx_herkx_small_kernelIi19rocblas_complex_numIdELi16ELb0ELb0ELc78ELc76EKPKS1_KPS1_EviT_T0_PT6_S7_lSA_S7_lS8_PT7_S7_li,comdat
	.globl	_ZL32rocblas_syrkx_herkx_small_kernelIi19rocblas_complex_numIdELi16ELb0ELb0ELc78ELc76EKPKS1_KPS1_EviT_T0_PT6_S7_lSA_S7_lS8_PT7_S7_li ; -- Begin function _ZL32rocblas_syrkx_herkx_small_kernelIi19rocblas_complex_numIdELi16ELb0ELb0ELc78ELc76EKPKS1_KPS1_EviT_T0_PT6_S7_lSA_S7_lS8_PT7_S7_li
	.p2align	8
	.type	_ZL32rocblas_syrkx_herkx_small_kernelIi19rocblas_complex_numIdELi16ELb0ELb0ELc78ELc76EKPKS1_KPS1_EviT_T0_PT6_S7_lSA_S7_lS8_PT7_S7_li,@function
_ZL32rocblas_syrkx_herkx_small_kernelIi19rocblas_complex_numIdELi16ELb0ELb0ELc78ELc76EKPKS1_KPS1_EviT_T0_PT6_S7_lSA_S7_lS8_PT7_S7_li: ; @_ZL32rocblas_syrkx_herkx_small_kernelIi19rocblas_complex_numIdELi16ELb0ELb0ELc78ELc76EKPKS1_KPS1_EviT_T0_PT6_S7_lSA_S7_lS8_PT7_S7_li
; %bb.0:
	s_load_b64 s[2:3], s[0:1], 0x58
	s_mov_b32 s18, s15
	s_mov_b32 s19, 0
	s_clause 0x1
	s_load_b64 s[20:21], s[0:1], 0x0
	s_load_b128 s[4:7], s[0:1], 0x8
	s_lshl_b64 s[22:23], s[18:19], 3
	v_and_b32_e32 v16, 0x3ff, v0
	v_mov_b32_e32 v12, 0
	v_mov_b32_e32 v13, 0
	v_bfe_u32 v17, v0, 10, 10
	s_delay_alu instid0(VALU_DEP_4) | instskip(NEXT) | instid1(VALU_DEP_3)
	v_lshl_add_u32 v5, s13, 4, v16
	v_dual_mov_b32 v15, v13 :: v_dual_mov_b32 v14, v12
	s_delay_alu instid0(VALU_DEP_3) | instskip(NEXT) | instid1(VALU_DEP_3)
	v_lshl_add_u32 v7, s14, 4, v17
	v_ashrrev_i32_e32 v6, 31, v5
	s_waitcnt lgkmcnt(0)
	s_add_u32 s2, s2, s22
	s_addc_u32 s3, s3, s23
	s_clause 0x1
	s_load_b64 s[24:25], s[0:1], 0x18
	s_load_b128 s[8:11], s[0:1], 0x48
	s_load_b64 s[16:17], s[2:3], 0x0
	v_cmp_gt_i32_e64 s2, s20, v5
	s_cmp_lt_i32 s21, 1
	s_cbranch_scc1 .LBB751_9
; %bb.1:
	s_clause 0x2
	s_load_b32 s14, s[0:1], 0x20
	s_load_b32 s12, s[0:1], 0x38
	s_load_b64 s[26:27], s[0:1], 0x30
	v_ashrrev_i32_e32 v8, 31, v7
	v_lshlrev_b64 v[1:2], 4, v[5:6]
	v_dual_mov_b32 v12, 0 :: v_dual_lshlrev_b32 v11, 8, v17
	v_dual_mov_b32 v13, 0 :: v_dual_lshlrev_b32 v18, 4, v16
	s_delay_alu instid0(VALU_DEP_4) | instskip(NEXT) | instid1(VALU_DEP_3)
	v_lshlrev_b64 v[14:15], 4, v[7:8]
	v_dual_mov_b32 v0, 0 :: v_dual_add_nc_u32 v19, 0x1000, v11
	s_delay_alu instid0(VALU_DEP_3) | instskip(SKIP_1) | instid1(VALU_DEP_3)
	v_add_nc_u32_e32 v20, v18, v11
	v_cmp_gt_i32_e32 vcc_lo, s20, v7
	v_add_nc_u32_e32 v21, v19, v18
	s_waitcnt lgkmcnt(0)
	s_ashr_i32 s15, s14, 31
	s_ashr_i32 s13, s12, 31
	s_add_u32 s26, s26, s22
	s_addc_u32 s27, s27, s23
	v_mad_i64_i32 v[3:4], null, s12, v16, 0
	s_load_b64 s[26:27], s[26:27], 0x0
	s_add_u32 s22, s24, s22
	s_addc_u32 s23, s25, s23
	v_mad_i64_i32 v[9:10], null, s14, v17, 0
	s_load_b64 s[22:23], s[22:23], 0x0
	s_delay_alu instid0(VALU_DEP_2) | instskip(SKIP_2) | instid1(VALU_DEP_2)
	v_lshlrev_b64 v[3:4], 4, v[3:4]
	s_lshl_b64 s[12:13], s[12:13], 8
	s_lshl_b64 s[14:15], s[14:15], 8
	v_lshlrev_b64 v[8:9], 4, v[9:10]
	s_delay_alu instid0(VALU_DEP_2) | instskip(NEXT) | instid1(VALU_DEP_1)
	v_add_co_u32 v3, s3, v3, v14
	v_add_co_ci_u32_e64 v4, s3, v4, v15, s3
	v_dual_mov_b32 v15, v13 :: v_dual_mov_b32 v14, v12
	s_delay_alu instid0(VALU_DEP_4) | instskip(NEXT) | instid1(VALU_DEP_1)
	v_add_co_u32 v1, s3, v8, v1
	v_add_co_ci_u32_e64 v2, s3, v9, v2, s3
	s_waitcnt lgkmcnt(0)
	v_add_co_u32 v3, s3, v3, s26
	s_delay_alu instid0(VALU_DEP_1) | instskip(SKIP_1) | instid1(VALU_DEP_1)
	v_add_co_ci_u32_e64 v4, s3, s27, v4, s3
	v_add_co_u32 v8, s3, s22, v1
	v_add_co_ci_u32_e64 v9, s3, s23, v2, s3
	s_delay_alu instid0(VALU_DEP_4) | instskip(NEXT) | instid1(VALU_DEP_1)
	v_add_co_u32 v10, s3, v3, 8
	v_add_co_ci_u32_e64 v11, s3, 0, v4, s3
	s_xor_b32 s3, s2, -1
	s_branch .LBB751_3
.LBB751_2:                              ;   in Loop: Header=BB751_3 Depth=1
	s_or_b32 exec_lo, exec_lo, s2
	s_waitcnt vmcnt(0)
	ds_store_b128 v21, v[1:4]
	s_waitcnt lgkmcnt(0)
	s_barrier
	buffer_gl0_inv
	ds_load_b128 v[1:4], v18
	ds_load_b128 v[22:25], v19
	ds_load_b128 v[26:29], v19 offset:16
	ds_load_b128 v[30:33], v18 offset:256
	v_add_co_u32 v10, s2, v10, s12
	s_delay_alu instid0(VALU_DEP_1) | instskip(SKIP_1) | instid1(VALU_DEP_1)
	v_add_co_ci_u32_e64 v11, s2, s13, v11, s2
	v_add_co_u32 v8, s2, v8, s14
	v_add_co_ci_u32_e64 v9, s2, s15, v9, s2
	s_add_i32 s19, s19, 16
	s_delay_alu instid0(SALU_CYCLE_1)
	s_cmp_ge_i32 s19, s21
	s_waitcnt lgkmcnt(2)
	v_mul_f64 v[34:35], v[24:25], v[3:4]
	v_mul_f64 v[3:4], v[22:23], v[3:4]
	s_waitcnt lgkmcnt(0)
	v_mul_f64 v[40:41], v[28:29], v[32:33]
	v_mul_f64 v[42:43], v[26:27], v[32:33]
	s_delay_alu instid0(VALU_DEP_4) | instskip(NEXT) | instid1(VALU_DEP_4)
	v_fma_f64 v[44:45], v[22:23], v[1:2], -v[34:35]
	v_fma_f64 v[46:47], v[24:25], v[1:2], v[3:4]
	ds_load_b128 v[1:4], v18 offset:512
	ds_load_b128 v[22:25], v19 offset:32
	;; [unrolled: 1-line block ×4, first 2 shown]
	v_fma_f64 v[26:27], v[26:27], v[30:31], -v[40:41]
	v_fma_f64 v[28:29], v[28:29], v[30:31], v[42:43]
	s_waitcnt lgkmcnt(2)
	v_mul_f64 v[48:49], v[24:25], v[3:4]
	v_mul_f64 v[3:4], v[22:23], v[3:4]
	s_waitcnt lgkmcnt(0)
	v_mul_f64 v[30:31], v[34:35], v[38:39]
	v_mul_f64 v[38:39], v[32:33], v[38:39]
	v_add_f64 v[14:15], v[14:15], v[44:45]
	v_add_f64 v[12:13], v[12:13], v[46:47]
	v_fma_f64 v[40:41], v[22:23], v[1:2], -v[48:49]
	v_fma_f64 v[42:43], v[24:25], v[1:2], v[3:4]
	v_fma_f64 v[30:31], v[32:33], v[36:37], -v[30:31]
	v_fma_f64 v[32:33], v[34:35], v[36:37], v[38:39]
	v_add_f64 v[44:45], v[14:15], v[26:27]
	v_add_f64 v[46:47], v[12:13], v[28:29]
	ds_load_b128 v[1:4], v18 offset:1024
	ds_load_b128 v[12:15], v19 offset:64
	;; [unrolled: 1-line block ×4, first 2 shown]
	s_waitcnt lgkmcnt(2)
	v_mul_f64 v[48:49], v[14:15], v[3:4]
	v_mul_f64 v[3:4], v[12:13], v[3:4]
	s_waitcnt lgkmcnt(0)
	v_mul_f64 v[38:39], v[24:25], v[28:29]
	v_add_f64 v[34:35], v[44:45], v[40:41]
	v_add_f64 v[36:37], v[46:47], v[42:43]
	v_mul_f64 v[40:41], v[22:23], v[28:29]
	v_fma_f64 v[42:43], v[12:13], v[1:2], -v[48:49]
	v_fma_f64 v[44:45], v[14:15], v[1:2], v[3:4]
	v_fma_f64 v[22:23], v[22:23], v[26:27], -v[38:39]
	v_add_f64 v[46:47], v[34:35], v[30:31]
	v_add_f64 v[36:37], v[36:37], v[32:33]
	ds_load_b128 v[1:4], v18 offset:1536
	ds_load_b128 v[12:15], v19 offset:96
	;; [unrolled: 1-line block ×4, first 2 shown]
	v_fma_f64 v[24:25], v[24:25], v[26:27], v[40:41]
	s_waitcnt lgkmcnt(2)
	v_mul_f64 v[48:49], v[14:15], v[3:4]
	v_mul_f64 v[3:4], v[12:13], v[3:4]
	s_waitcnt lgkmcnt(0)
	v_mul_f64 v[38:39], v[30:31], v[34:35]
	v_mul_f64 v[40:41], v[28:29], v[34:35]
	v_add_f64 v[26:27], v[46:47], v[42:43]
	v_add_f64 v[36:37], v[36:37], v[44:45]
	v_fma_f64 v[42:43], v[12:13], v[1:2], -v[48:49]
	v_fma_f64 v[44:45], v[14:15], v[1:2], v[3:4]
	v_fma_f64 v[28:29], v[28:29], v[32:33], -v[38:39]
	v_fma_f64 v[30:31], v[30:31], v[32:33], v[40:41]
	v_add_f64 v[26:27], v[26:27], v[22:23]
	v_add_f64 v[46:47], v[36:37], v[24:25]
	ds_load_b128 v[1:4], v18 offset:2048
	ds_load_b128 v[12:15], v19 offset:128
	;; [unrolled: 1-line block ×4, first 2 shown]
	s_waitcnt lgkmcnt(2)
	v_mul_f64 v[48:49], v[14:15], v[3:4]
	v_mul_f64 v[3:4], v[12:13], v[3:4]
	s_waitcnt lgkmcnt(0)
	v_mul_f64 v[38:39], v[24:25], v[36:37]
	v_mul_f64 v[36:37], v[22:23], v[36:37]
	v_add_f64 v[26:27], v[26:27], v[42:43]
	v_add_f64 v[32:33], v[46:47], v[44:45]
	v_fma_f64 v[40:41], v[12:13], v[1:2], -v[48:49]
	v_fma_f64 v[42:43], v[14:15], v[1:2], v[3:4]
	v_fma_f64 v[22:23], v[22:23], v[34:35], -v[38:39]
	v_fma_f64 v[24:25], v[24:25], v[34:35], v[36:37]
	v_add_f64 v[44:45], v[26:27], v[28:29]
	v_add_f64 v[46:47], v[32:33], v[30:31]
	ds_load_b128 v[1:4], v18 offset:2560
	ds_load_b128 v[12:15], v19 offset:160
	;; [unrolled: 1-line block ×4, first 2 shown]
	s_waitcnt lgkmcnt(2)
	v_mul_f64 v[48:49], v[14:15], v[3:4]
	v_mul_f64 v[3:4], v[12:13], v[3:4]
	s_waitcnt lgkmcnt(0)
	v_mul_f64 v[38:39], v[28:29], v[32:33]
	v_add_f64 v[34:35], v[44:45], v[40:41]
	v_add_f64 v[36:37], v[46:47], v[42:43]
	v_mul_f64 v[40:41], v[26:27], v[32:33]
	v_fma_f64 v[42:43], v[12:13], v[1:2], -v[48:49]
	v_fma_f64 v[44:45], v[14:15], v[1:2], v[3:4]
	v_fma_f64 v[26:27], v[26:27], v[30:31], -v[38:39]
	v_add_f64 v[46:47], v[34:35], v[22:23]
	v_add_f64 v[36:37], v[36:37], v[24:25]
	ds_load_b128 v[1:4], v18 offset:3072
	ds_load_b128 v[12:15], v19 offset:192
	;; [unrolled: 1-line block ×4, first 2 shown]
	v_fma_f64 v[28:29], v[28:29], v[30:31], v[40:41]
	s_waitcnt lgkmcnt(2)
	v_mul_f64 v[48:49], v[14:15], v[3:4]
	v_mul_f64 v[3:4], v[12:13], v[3:4]
	s_waitcnt lgkmcnt(0)
	v_mul_f64 v[38:39], v[24:25], v[34:35]
	v_mul_f64 v[40:41], v[22:23], v[34:35]
	v_add_f64 v[30:31], v[46:47], v[42:43]
	v_add_f64 v[36:37], v[36:37], v[44:45]
	v_fma_f64 v[42:43], v[12:13], v[1:2], -v[48:49]
	v_fma_f64 v[44:45], v[14:15], v[1:2], v[3:4]
	v_fma_f64 v[22:23], v[22:23], v[32:33], -v[38:39]
	v_fma_f64 v[24:25], v[24:25], v[32:33], v[40:41]
	v_add_f64 v[30:31], v[30:31], v[26:27]
	v_add_f64 v[46:47], v[36:37], v[28:29]
	ds_load_b128 v[1:4], v18 offset:3584
	ds_load_b128 v[12:15], v19 offset:224
	;; [unrolled: 1-line block ×4, first 2 shown]
	s_waitcnt lgkmcnt(0)
	s_barrier
	buffer_gl0_inv
	v_mul_f64 v[48:49], v[14:15], v[3:4]
	v_mul_f64 v[3:4], v[12:13], v[3:4]
	v_mul_f64 v[38:39], v[28:29], v[36:37]
	v_mul_f64 v[36:37], v[26:27], v[36:37]
	v_add_f64 v[30:31], v[30:31], v[42:43]
	v_add_f64 v[32:33], v[46:47], v[44:45]
	v_fma_f64 v[12:13], v[12:13], v[1:2], -v[48:49]
	v_fma_f64 v[1:2], v[14:15], v[1:2], v[3:4]
	s_delay_alu instid0(VALU_DEP_4) | instskip(NEXT) | instid1(VALU_DEP_4)
	v_add_f64 v[3:4], v[30:31], v[22:23]
	v_add_f64 v[14:15], v[32:33], v[24:25]
	v_fma_f64 v[22:23], v[26:27], v[34:35], -v[38:39]
	v_fma_f64 v[24:25], v[28:29], v[34:35], v[36:37]
	s_delay_alu instid0(VALU_DEP_4) | instskip(NEXT) | instid1(VALU_DEP_4)
	v_add_f64 v[3:4], v[3:4], v[12:13]
	v_add_f64 v[1:2], v[14:15], v[1:2]
	s_delay_alu instid0(VALU_DEP_2) | instskip(NEXT) | instid1(VALU_DEP_2)
	v_add_f64 v[14:15], v[3:4], v[22:23]
	v_add_f64 v[12:13], v[1:2], v[24:25]
	s_cbranch_scc1 .LBB751_9
.LBB751_3:                              ; =>This Inner Loop Header: Depth=1
	v_add_nc_u32_e32 v1, s19, v17
	s_delay_alu instid0(VALU_DEP_1) | instskip(NEXT) | instid1(VALU_DEP_1)
	v_cmp_le_i32_e64 s2, s21, v1
	s_or_b32 s2, s3, s2
	s_delay_alu instid0(SALU_CYCLE_1) | instskip(NEXT) | instid1(SALU_CYCLE_1)
	s_and_saveexec_b32 s18, s2
	s_xor_b32 s2, exec_lo, s18
	s_cbranch_execz .LBB751_5
; %bb.4:                                ;   in Loop: Header=BB751_3 Depth=1
	v_mov_b32_e32 v1, v0
	v_mov_b32_e32 v2, v0
	;; [unrolled: 1-line block ×3, first 2 shown]
	ds_store_b128 v20, v[0:3]
.LBB751_5:                              ;   in Loop: Header=BB751_3 Depth=1
	s_and_not1_saveexec_b32 s2, s2
	s_cbranch_execz .LBB751_7
; %bb.6:                                ;   in Loop: Header=BB751_3 Depth=1
	global_load_b128 v[1:4], v[8:9], off
	s_waitcnt vmcnt(0)
	ds_store_2addr_b64 v20, v[1:2], v[3:4] offset1:1
.LBB751_7:                              ;   in Loop: Header=BB751_3 Depth=1
	s_or_b32 exec_lo, exec_lo, s2
	v_add_nc_u32_e32 v3, s19, v16
	v_mov_b32_e32 v1, 0
	v_mov_b32_e32 v2, 0
	s_delay_alu instid0(VALU_DEP_3) | instskip(NEXT) | instid1(VALU_DEP_2)
	v_cmp_gt_i32_e64 s2, s21, v3
	v_dual_mov_b32 v4, v2 :: v_dual_mov_b32 v3, v1
	s_delay_alu instid0(VALU_DEP_2) | instskip(NEXT) | instid1(SALU_CYCLE_1)
	s_and_b32 s18, vcc_lo, s2
	s_and_saveexec_b32 s2, s18
	s_cbranch_execz .LBB751_2
; %bb.8:                                ;   in Loop: Header=BB751_3 Depth=1
	global_load_b128 v[1:4], v[10:11], off offset:-8
	s_branch .LBB751_2
.LBB751_9:
	v_cmp_le_i32_e32 vcc_lo, v7, v5
	v_cmp_gt_i32_e64 s2, s20, v5
	s_delay_alu instid0(VALU_DEP_1) | instskip(NEXT) | instid1(SALU_CYCLE_1)
	s_and_b32 s2, vcc_lo, s2
	s_and_saveexec_b32 s3, s2
	s_cbranch_execz .LBB751_11
; %bb.10:
	s_load_b32 s0, s[0:1], 0x60
	v_lshlrev_b64 v[2:3], 4, v[5:6]
	s_delay_alu instid0(VALU_DEP_4) | instskip(SKIP_3) | instid1(VALU_DEP_2)
	v_mul_f64 v[8:9], s[4:5], v[12:13]
	s_waitcnt lgkmcnt(0)
	v_mad_i64_i32 v[0:1], null, s0, v7, 0
	v_mul_f64 v[6:7], s[6:7], v[12:13]
	v_lshlrev_b64 v[0:1], 4, v[0:1]
	s_delay_alu instid0(VALU_DEP_1) | instskip(NEXT) | instid1(VALU_DEP_2)
	v_add_co_u32 v0, vcc_lo, s16, v0
	v_add_co_ci_u32_e32 v1, vcc_lo, s17, v1, vcc_lo
	s_delay_alu instid0(VALU_DEP_2) | instskip(NEXT) | instid1(VALU_DEP_2)
	v_add_co_u32 v4, vcc_lo, v0, v2
	v_add_co_ci_u32_e32 v5, vcc_lo, v1, v3, vcc_lo
	v_fma_f64 v[8:9], s[6:7], v[14:15], v[8:9]
	global_load_b128 v[0:3], v[4:5], off
	v_fma_f64 v[6:7], s[4:5], v[14:15], -v[6:7]
	s_waitcnt vmcnt(0)
	v_mul_f64 v[10:11], s[10:11], v[2:3]
	v_mul_f64 v[2:3], s[8:9], v[2:3]
	s_delay_alu instid0(VALU_DEP_2) | instskip(NEXT) | instid1(VALU_DEP_2)
	v_fma_f64 v[10:11], s[8:9], v[0:1], -v[10:11]
	v_fma_f64 v[2:3], s[10:11], v[0:1], v[2:3]
	s_delay_alu instid0(VALU_DEP_2) | instskip(NEXT) | instid1(VALU_DEP_2)
	v_add_f64 v[0:1], v[6:7], v[10:11]
	v_add_f64 v[2:3], v[8:9], v[2:3]
	global_store_b128 v[4:5], v[0:3], off
.LBB751_11:
	s_nop 0
	s_sendmsg sendmsg(MSG_DEALLOC_VGPRS)
	s_endpgm
	.section	.rodata,"a",@progbits
	.p2align	6, 0x0
	.amdhsa_kernel _ZL32rocblas_syrkx_herkx_small_kernelIi19rocblas_complex_numIdELi16ELb0ELb0ELc78ELc76EKPKS1_KPS1_EviT_T0_PT6_S7_lSA_S7_lS8_PT7_S7_li
		.amdhsa_group_segment_fixed_size 8192
		.amdhsa_private_segment_fixed_size 0
		.amdhsa_kernarg_size 116
		.amdhsa_user_sgpr_count 13
		.amdhsa_user_sgpr_dispatch_ptr 0
		.amdhsa_user_sgpr_queue_ptr 0
		.amdhsa_user_sgpr_kernarg_segment_ptr 1
		.amdhsa_user_sgpr_dispatch_id 0
		.amdhsa_user_sgpr_private_segment_size 0
		.amdhsa_wavefront_size32 1
		.amdhsa_uses_dynamic_stack 0
		.amdhsa_enable_private_segment 0
		.amdhsa_system_sgpr_workgroup_id_x 1
		.amdhsa_system_sgpr_workgroup_id_y 1
		.amdhsa_system_sgpr_workgroup_id_z 1
		.amdhsa_system_sgpr_workgroup_info 0
		.amdhsa_system_vgpr_workitem_id 1
		.amdhsa_next_free_vgpr 50
		.amdhsa_next_free_sgpr 28
		.amdhsa_reserve_vcc 1
		.amdhsa_float_round_mode_32 0
		.amdhsa_float_round_mode_16_64 0
		.amdhsa_float_denorm_mode_32 3
		.amdhsa_float_denorm_mode_16_64 3
		.amdhsa_dx10_clamp 1
		.amdhsa_ieee_mode 1
		.amdhsa_fp16_overflow 0
		.amdhsa_workgroup_processor_mode 1
		.amdhsa_memory_ordered 1
		.amdhsa_forward_progress 0
		.amdhsa_shared_vgpr_count 0
		.amdhsa_exception_fp_ieee_invalid_op 0
		.amdhsa_exception_fp_denorm_src 0
		.amdhsa_exception_fp_ieee_div_zero 0
		.amdhsa_exception_fp_ieee_overflow 0
		.amdhsa_exception_fp_ieee_underflow 0
		.amdhsa_exception_fp_ieee_inexact 0
		.amdhsa_exception_int_div_zero 0
	.end_amdhsa_kernel
	.section	.text._ZL32rocblas_syrkx_herkx_small_kernelIi19rocblas_complex_numIdELi16ELb0ELb0ELc78ELc76EKPKS1_KPS1_EviT_T0_PT6_S7_lSA_S7_lS8_PT7_S7_li,"axG",@progbits,_ZL32rocblas_syrkx_herkx_small_kernelIi19rocblas_complex_numIdELi16ELb0ELb0ELc78ELc76EKPKS1_KPS1_EviT_T0_PT6_S7_lSA_S7_lS8_PT7_S7_li,comdat
.Lfunc_end751:
	.size	_ZL32rocblas_syrkx_herkx_small_kernelIi19rocblas_complex_numIdELi16ELb0ELb0ELc78ELc76EKPKS1_KPS1_EviT_T0_PT6_S7_lSA_S7_lS8_PT7_S7_li, .Lfunc_end751-_ZL32rocblas_syrkx_herkx_small_kernelIi19rocblas_complex_numIdELi16ELb0ELb0ELc78ELc76EKPKS1_KPS1_EviT_T0_PT6_S7_lSA_S7_lS8_PT7_S7_li
                                        ; -- End function
	.section	.AMDGPU.csdata,"",@progbits
; Kernel info:
; codeLenInByte = 2020
; NumSgprs: 30
; NumVgprs: 50
; ScratchSize: 0
; MemoryBound: 1
; FloatMode: 240
; IeeeMode: 1
; LDSByteSize: 8192 bytes/workgroup (compile time only)
; SGPRBlocks: 3
; VGPRBlocks: 6
; NumSGPRsForWavesPerEU: 30
; NumVGPRsForWavesPerEU: 50
; Occupancy: 16
; WaveLimiterHint : 1
; COMPUTE_PGM_RSRC2:SCRATCH_EN: 0
; COMPUTE_PGM_RSRC2:USER_SGPR: 13
; COMPUTE_PGM_RSRC2:TRAP_HANDLER: 0
; COMPUTE_PGM_RSRC2:TGID_X_EN: 1
; COMPUTE_PGM_RSRC2:TGID_Y_EN: 1
; COMPUTE_PGM_RSRC2:TGID_Z_EN: 1
; COMPUTE_PGM_RSRC2:TIDIG_COMP_CNT: 1
	.section	.text._ZL32rocblas_syrkx_herkx_small_kernelIi19rocblas_complex_numIdELi16ELb0ELb0ELc84ELc85EKPKS1_KPS1_EviT_T0_PT6_S7_lSA_S7_lS8_PT7_S7_li,"axG",@progbits,_ZL32rocblas_syrkx_herkx_small_kernelIi19rocblas_complex_numIdELi16ELb0ELb0ELc84ELc85EKPKS1_KPS1_EviT_T0_PT6_S7_lSA_S7_lS8_PT7_S7_li,comdat
	.globl	_ZL32rocblas_syrkx_herkx_small_kernelIi19rocblas_complex_numIdELi16ELb0ELb0ELc84ELc85EKPKS1_KPS1_EviT_T0_PT6_S7_lSA_S7_lS8_PT7_S7_li ; -- Begin function _ZL32rocblas_syrkx_herkx_small_kernelIi19rocblas_complex_numIdELi16ELb0ELb0ELc84ELc85EKPKS1_KPS1_EviT_T0_PT6_S7_lSA_S7_lS8_PT7_S7_li
	.p2align	8
	.type	_ZL32rocblas_syrkx_herkx_small_kernelIi19rocblas_complex_numIdELi16ELb0ELb0ELc84ELc85EKPKS1_KPS1_EviT_T0_PT6_S7_lSA_S7_lS8_PT7_S7_li,@function
_ZL32rocblas_syrkx_herkx_small_kernelIi19rocblas_complex_numIdELi16ELb0ELb0ELc84ELc85EKPKS1_KPS1_EviT_T0_PT6_S7_lSA_S7_lS8_PT7_S7_li: ; @_ZL32rocblas_syrkx_herkx_small_kernelIi19rocblas_complex_numIdELi16ELb0ELb0ELc84ELc85EKPKS1_KPS1_EviT_T0_PT6_S7_lSA_S7_lS8_PT7_S7_li
; %bb.0:
	s_load_b64 s[2:3], s[0:1], 0x58
	s_mov_b32 s18, s15
	s_mov_b32 s19, 0
	s_clause 0x1
	s_load_b64 s[20:21], s[0:1], 0x0
	s_load_b128 s[4:7], s[0:1], 0x8
	s_lshl_b64 s[22:23], s[18:19], 3
	v_bfe_u32 v14, v0, 10, 10
	v_mov_b32_e32 v9, 0
	v_dual_mov_b32 v10, 0 :: v_dual_and_b32 v15, 0x3ff, v0
	s_delay_alu instid0(VALU_DEP_3) | instskip(NEXT) | instid1(VALU_DEP_2)
	v_lshl_add_u32 v13, s14, 4, v14
	v_lshl_add_u32 v4, s13, 4, v15
	s_delay_alu instid0(VALU_DEP_3)
	v_dual_mov_b32 v12, v10 :: v_dual_mov_b32 v11, v9
	s_waitcnt lgkmcnt(0)
	s_add_u32 s2, s2, s22
	s_addc_u32 s3, s3, s23
	s_clause 0x1
	s_load_b64 s[24:25], s[0:1], 0x18
	s_load_b128 s[8:11], s[0:1], 0x48
	s_load_b64 s[16:17], s[2:3], 0x0
	v_cmp_gt_i32_e32 vcc_lo, s20, v13
	s_cmp_lt_i32 s21, 1
	s_cbranch_scc1 .LBB752_11
; %bb.1:
	s_clause 0x2
	s_load_b64 s[12:13], s[0:1], 0x30
	s_load_b32 s3, s[0:1], 0x38
	s_load_b32 s14, s[0:1], 0x20
	v_lshlrev_b32_e32 v7, 8, v14
	v_dual_mov_b32 v9, 0 :: v_dual_lshlrev_b32 v16, 4, v15
	v_mov_b32_e32 v10, 0
	v_lshlrev_b32_e32 v8, 4, v14
	s_delay_alu instid0(VALU_DEP_4)
	v_add_nc_u32_e32 v17, 0x1000, v7
	v_cmp_gt_i32_e64 s2, s20, v4
	v_add_nc_u32_e32 v18, v16, v7
	v_dual_mov_b32 v12, v10 :: v_dual_mov_b32 v11, v9
	s_waitcnt lgkmcnt(0)
	s_add_u32 s12, s12, s22
	s_addc_u32 s13, s13, s23
	v_mad_i64_i32 v[0:1], null, s3, v13, 0
	v_mad_i64_i32 v[2:3], null, s14, v4, 0
	s_load_b64 s[12:13], s[12:13], 0x0
	s_add_u32 s14, s24, s22
	s_addc_u32 s15, s25, s23
	s_xor_b32 s2, s2, -1
	s_load_b64 s[14:15], s[14:15], 0x0
	s_delay_alu instid0(VALU_DEP_2) | instskip(SKIP_3) | instid1(VALU_DEP_4)
	v_lshlrev_b64 v[5:6], 4, v[0:1]
	v_mov_b32_e32 v0, 0
	v_lshlrev_b64 v[1:2], 4, v[2:3]
	v_add_nc_u32_e32 v19, v17, v16
	v_add_co_u32 v3, s3, v5, v16
	s_delay_alu instid0(VALU_DEP_1) | instskip(NEXT) | instid1(VALU_DEP_4)
	v_add_co_ci_u32_e64 v6, s3, 0, v6, s3
	v_add_co_u32 v1, s3, v1, v8
	s_delay_alu instid0(VALU_DEP_1) | instskip(SKIP_2) | instid1(VALU_DEP_1)
	v_add_co_ci_u32_e64 v2, s3, 0, v2, s3
	s_waitcnt lgkmcnt(0)
	v_add_co_u32 v5, s3, s12, v3
	v_add_co_ci_u32_e64 v6, s3, s13, v6, s3
	v_add_co_u32 v7, s3, s14, v1
	s_delay_alu instid0(VALU_DEP_1)
	v_add_co_ci_u32_e64 v8, s3, s15, v2, s3
	s_xor_b32 s3, vcc_lo, -1
	s_branch .LBB752_3
.LBB752_2:                              ;   in Loop: Header=BB752_3 Depth=1
	s_or_b32 exec_lo, exec_lo, s12
	s_waitcnt lgkmcnt(0)
	s_barrier
	buffer_gl0_inv
	ds_load_b128 v[20:23], v16
	ds_load_b128 v[24:27], v17
	ds_load_b128 v[28:31], v17 offset:16
	ds_load_b128 v[32:35], v16 offset:256
	v_add_co_u32 v5, vcc_lo, 0x100, v5
	v_add_co_ci_u32_e32 v6, vcc_lo, 0, v6, vcc_lo
	v_add_co_u32 v7, vcc_lo, 0x100, v7
	v_add_co_ci_u32_e32 v8, vcc_lo, 0, v8, vcc_lo
	s_add_i32 s19, s19, 16
	s_delay_alu instid0(SALU_CYCLE_1)
	s_cmp_ge_i32 s19, s21
	s_waitcnt lgkmcnt(2)
	v_mul_f64 v[1:2], v[26:27], v[22:23]
	v_mul_f64 v[22:23], v[24:25], v[22:23]
	s_waitcnt lgkmcnt(0)
	v_mul_f64 v[42:43], v[30:31], v[34:35]
	v_mul_f64 v[44:45], v[28:29], v[34:35]
	s_delay_alu instid0(VALU_DEP_4) | instskip(NEXT) | instid1(VALU_DEP_4)
	v_fma_f64 v[1:2], v[24:25], v[20:21], -v[1:2]
	v_fma_f64 v[46:47], v[26:27], v[20:21], v[22:23]
	ds_load_b128 v[20:23], v16 offset:512
	ds_load_b128 v[24:27], v17 offset:32
	;; [unrolled: 1-line block ×4, first 2 shown]
	v_fma_f64 v[28:29], v[28:29], v[32:33], -v[42:43]
	v_fma_f64 v[30:31], v[30:31], v[32:33], v[44:45]
	s_waitcnt lgkmcnt(2)
	v_mul_f64 v[48:49], v[26:27], v[22:23]
	v_mul_f64 v[22:23], v[24:25], v[22:23]
	s_waitcnt lgkmcnt(0)
	v_mul_f64 v[32:33], v[36:37], v[40:41]
	v_mul_f64 v[40:41], v[34:35], v[40:41]
	v_add_f64 v[1:2], v[11:12], v[1:2]
	v_add_f64 v[9:10], v[9:10], v[46:47]
	v_fma_f64 v[42:43], v[24:25], v[20:21], -v[48:49]
	v_fma_f64 v[44:45], v[26:27], v[20:21], v[22:23]
	v_fma_f64 v[32:33], v[34:35], v[38:39], -v[32:33]
	v_fma_f64 v[34:35], v[36:37], v[38:39], v[40:41]
	v_add_f64 v[1:2], v[1:2], v[28:29]
	v_add_f64 v[46:47], v[9:10], v[30:31]
	ds_load_b128 v[9:12], v16 offset:1024
	ds_load_b128 v[20:23], v17 offset:64
	ds_load_b128 v[24:27], v17 offset:80
	ds_load_b128 v[28:31], v16 offset:1280
	s_waitcnt lgkmcnt(2)
	v_mul_f64 v[48:49], v[22:23], v[11:12]
	v_mul_f64 v[11:12], v[20:21], v[11:12]
	s_waitcnt lgkmcnt(0)
	v_mul_f64 v[38:39], v[26:27], v[30:31]
	v_mul_f64 v[40:41], v[24:25], v[30:31]
	v_add_f64 v[1:2], v[1:2], v[42:43]
	v_add_f64 v[36:37], v[46:47], v[44:45]
	v_fma_f64 v[42:43], v[20:21], v[9:10], -v[48:49]
	v_fma_f64 v[44:45], v[22:23], v[9:10], v[11:12]
	v_fma_f64 v[24:25], v[24:25], v[28:29], -v[38:39]
	v_fma_f64 v[26:27], v[26:27], v[28:29], v[40:41]
	v_add_f64 v[1:2], v[1:2], v[32:33]
	v_add_f64 v[46:47], v[36:37], v[34:35]
	ds_load_b128 v[9:12], v16 offset:1536
	ds_load_b128 v[20:23], v17 offset:96
	;; [unrolled: 1-line block ×4, first 2 shown]
	s_waitcnt lgkmcnt(2)
	v_mul_f64 v[48:49], v[22:23], v[11:12]
	v_mul_f64 v[11:12], v[20:21], v[11:12]
	s_waitcnt lgkmcnt(0)
	v_mul_f64 v[40:41], v[32:33], v[36:37]
	v_add_f64 v[1:2], v[1:2], v[42:43]
	v_add_f64 v[28:29], v[46:47], v[44:45]
	v_mul_f64 v[42:43], v[30:31], v[36:37]
	v_fma_f64 v[44:45], v[20:21], v[9:10], -v[48:49]
	v_fma_f64 v[46:47], v[22:23], v[9:10], v[11:12]
	v_fma_f64 v[30:31], v[30:31], v[34:35], -v[40:41]
	v_add_f64 v[1:2], v[1:2], v[24:25]
	v_add_f64 v[28:29], v[28:29], v[26:27]
	ds_load_b128 v[9:12], v16 offset:2048
	ds_load_b128 v[20:23], v17 offset:128
	;; [unrolled: 1-line block ×4, first 2 shown]
	v_fma_f64 v[32:33], v[32:33], v[34:35], v[42:43]
	s_waitcnt lgkmcnt(2)
	v_mul_f64 v[48:49], v[22:23], v[11:12]
	v_mul_f64 v[11:12], v[20:21], v[11:12]
	s_waitcnt lgkmcnt(0)
	v_mul_f64 v[40:41], v[26:27], v[38:39]
	v_mul_f64 v[38:39], v[24:25], v[38:39]
	v_add_f64 v[1:2], v[1:2], v[44:45]
	v_add_f64 v[28:29], v[28:29], v[46:47]
	v_fma_f64 v[42:43], v[20:21], v[9:10], -v[48:49]
	v_fma_f64 v[44:45], v[22:23], v[9:10], v[11:12]
	v_fma_f64 v[24:25], v[24:25], v[36:37], -v[40:41]
	v_fma_f64 v[26:27], v[26:27], v[36:37], v[38:39]
	v_add_f64 v[1:2], v[1:2], v[30:31]
	v_add_f64 v[46:47], v[28:29], v[32:33]
	ds_load_b128 v[9:12], v16 offset:2560
	ds_load_b128 v[20:23], v17 offset:160
	;; [unrolled: 1-line block ×4, first 2 shown]
	s_waitcnt lgkmcnt(2)
	v_mul_f64 v[48:49], v[22:23], v[11:12]
	v_mul_f64 v[11:12], v[20:21], v[11:12]
	s_waitcnt lgkmcnt(0)
	v_mul_f64 v[38:39], v[30:31], v[34:35]
	v_mul_f64 v[40:41], v[28:29], v[34:35]
	v_add_f64 v[1:2], v[1:2], v[42:43]
	v_add_f64 v[36:37], v[46:47], v[44:45]
	v_fma_f64 v[42:43], v[20:21], v[9:10], -v[48:49]
	v_fma_f64 v[44:45], v[22:23], v[9:10], v[11:12]
	v_fma_f64 v[28:29], v[28:29], v[32:33], -v[38:39]
	v_fma_f64 v[30:31], v[30:31], v[32:33], v[40:41]
	v_add_f64 v[1:2], v[1:2], v[24:25]
	v_add_f64 v[46:47], v[36:37], v[26:27]
	ds_load_b128 v[9:12], v16 offset:3072
	ds_load_b128 v[20:23], v17 offset:192
	;; [unrolled: 1-line block ×4, first 2 shown]
	s_waitcnt lgkmcnt(2)
	v_mul_f64 v[48:49], v[22:23], v[11:12]
	v_mul_f64 v[11:12], v[20:21], v[11:12]
	s_waitcnt lgkmcnt(0)
	v_mul_f64 v[40:41], v[26:27], v[36:37]
	v_add_f64 v[1:2], v[1:2], v[42:43]
	v_add_f64 v[32:33], v[46:47], v[44:45]
	v_mul_f64 v[42:43], v[24:25], v[36:37]
	v_fma_f64 v[44:45], v[20:21], v[9:10], -v[48:49]
	v_fma_f64 v[46:47], v[22:23], v[9:10], v[11:12]
	v_fma_f64 v[24:25], v[24:25], v[34:35], -v[40:41]
	v_add_f64 v[1:2], v[1:2], v[28:29]
	v_add_f64 v[32:33], v[32:33], v[30:31]
	ds_load_b128 v[9:12], v16 offset:3584
	ds_load_b128 v[20:23], v17 offset:224
	;; [unrolled: 1-line block ×4, first 2 shown]
	v_fma_f64 v[26:27], v[26:27], v[34:35], v[42:43]
	s_waitcnt lgkmcnt(0)
	s_barrier
	buffer_gl0_inv
	v_mul_f64 v[48:49], v[22:23], v[11:12]
	v_mul_f64 v[11:12], v[20:21], v[11:12]
	;; [unrolled: 1-line block ×4, first 2 shown]
	v_add_f64 v[1:2], v[1:2], v[44:45]
	v_add_f64 v[32:33], v[32:33], v[46:47]
	v_fma_f64 v[20:21], v[20:21], v[9:10], -v[48:49]
	v_fma_f64 v[9:10], v[22:23], v[9:10], v[11:12]
	v_fma_f64 v[22:23], v[28:29], v[36:37], -v[34:35]
	v_add_f64 v[1:2], v[1:2], v[24:25]
	v_add_f64 v[11:12], v[32:33], v[26:27]
	v_fma_f64 v[24:25], v[30:31], v[36:37], v[38:39]
	s_delay_alu instid0(VALU_DEP_3) | instskip(NEXT) | instid1(VALU_DEP_3)
	v_add_f64 v[1:2], v[1:2], v[20:21]
	v_add_f64 v[9:10], v[11:12], v[9:10]
	s_delay_alu instid0(VALU_DEP_2) | instskip(NEXT) | instid1(VALU_DEP_2)
	v_add_f64 v[11:12], v[1:2], v[22:23]
	v_add_f64 v[9:10], v[9:10], v[24:25]
	s_cbranch_scc1 .LBB752_11
.LBB752_3:                              ; =>This Inner Loop Header: Depth=1
	v_add_nc_u32_e32 v1, s19, v14
	s_delay_alu instid0(VALU_DEP_1) | instskip(SKIP_1) | instid1(SALU_CYCLE_1)
	v_cmp_le_i32_e32 vcc_lo, s21, v1
	s_or_b32 s12, s2, vcc_lo
	s_and_saveexec_b32 s13, s12
	s_delay_alu instid0(SALU_CYCLE_1)
	s_xor_b32 s12, exec_lo, s13
	s_cbranch_execz .LBB752_5
; %bb.4:                                ;   in Loop: Header=BB752_3 Depth=1
	v_mov_b32_e32 v1, v0
	v_mov_b32_e32 v2, v0
	;; [unrolled: 1-line block ×3, first 2 shown]
	ds_store_b128 v18, v[0:3]
.LBB752_5:                              ;   in Loop: Header=BB752_3 Depth=1
	s_and_not1_saveexec_b32 s12, s12
	s_cbranch_execz .LBB752_7
; %bb.6:                                ;   in Loop: Header=BB752_3 Depth=1
	global_load_b128 v[20:23], v[7:8], off
	s_waitcnt vmcnt(0)
	ds_store_2addr_b64 v18, v[20:21], v[22:23] offset1:1
.LBB752_7:                              ;   in Loop: Header=BB752_3 Depth=1
	s_or_b32 exec_lo, exec_lo, s12
	v_add_nc_u32_e32 v1, s19, v15
	s_delay_alu instid0(VALU_DEP_1) | instskip(SKIP_1) | instid1(SALU_CYCLE_1)
	v_cmp_le_i32_e32 vcc_lo, s21, v1
	s_or_b32 s12, s3, vcc_lo
	s_and_saveexec_b32 s13, s12
	s_delay_alu instid0(SALU_CYCLE_1)
	s_xor_b32 s12, exec_lo, s13
	s_cbranch_execz .LBB752_9
; %bb.8:                                ;   in Loop: Header=BB752_3 Depth=1
	v_mov_b32_e32 v1, v0
	v_mov_b32_e32 v2, v0
	;; [unrolled: 1-line block ×3, first 2 shown]
	ds_store_b128 v19, v[0:3]
.LBB752_9:                              ;   in Loop: Header=BB752_3 Depth=1
	s_and_not1_saveexec_b32 s12, s12
	s_cbranch_execz .LBB752_2
; %bb.10:                               ;   in Loop: Header=BB752_3 Depth=1
	global_load_b128 v[20:23], v[5:6], off
	s_waitcnt vmcnt(0)
	ds_store_2addr_b64 v19, v[20:21], v[22:23] offset1:1
	s_branch .LBB752_2
.LBB752_11:
	v_cmp_le_i32_e32 vcc_lo, v4, v13
	v_cmp_gt_i32_e64 s2, s20, v13
	s_delay_alu instid0(VALU_DEP_1) | instskip(NEXT) | instid1(SALU_CYCLE_1)
	s_and_b32 s2, vcc_lo, s2
	s_and_saveexec_b32 s3, s2
	s_cbranch_execz .LBB752_13
; %bb.12:
	s_load_b32 s0, s[0:1], 0x60
	v_ashrrev_i32_e32 v5, 31, v4
	s_delay_alu instid0(VALU_DEP_4) | instskip(SKIP_1) | instid1(VALU_DEP_3)
	v_mul_f64 v[6:7], s[6:7], v[9:10]
	v_mul_f64 v[8:9], s[4:5], v[9:10]
	v_lshlrev_b64 v[2:3], 4, v[4:5]
	s_waitcnt lgkmcnt(0)
	v_mad_i64_i32 v[0:1], null, s0, v13, 0
	s_delay_alu instid0(VALU_DEP_1) | instskip(NEXT) | instid1(VALU_DEP_1)
	v_lshlrev_b64 v[0:1], 4, v[0:1]
	v_add_co_u32 v0, vcc_lo, s16, v0
	s_delay_alu instid0(VALU_DEP_2) | instskip(NEXT) | instid1(VALU_DEP_2)
	v_add_co_ci_u32_e32 v1, vcc_lo, s17, v1, vcc_lo
	v_add_co_u32 v4, vcc_lo, v0, v2
	s_delay_alu instid0(VALU_DEP_2)
	v_add_co_ci_u32_e32 v5, vcc_lo, v1, v3, vcc_lo
	v_fma_f64 v[6:7], s[4:5], v[11:12], -v[6:7]
	v_fma_f64 v[8:9], s[6:7], v[11:12], v[8:9]
	global_load_b128 v[0:3], v[4:5], off
	s_waitcnt vmcnt(0)
	v_mul_f64 v[13:14], s[10:11], v[2:3]
	v_mul_f64 v[2:3], s[8:9], v[2:3]
	s_delay_alu instid0(VALU_DEP_2) | instskip(NEXT) | instid1(VALU_DEP_2)
	v_fma_f64 v[10:11], s[8:9], v[0:1], -v[13:14]
	v_fma_f64 v[2:3], s[10:11], v[0:1], v[2:3]
	s_delay_alu instid0(VALU_DEP_2) | instskip(NEXT) | instid1(VALU_DEP_2)
	v_add_f64 v[0:1], v[6:7], v[10:11]
	v_add_f64 v[2:3], v[8:9], v[2:3]
	global_store_b128 v[4:5], v[0:3], off
.LBB752_13:
	s_nop 0
	s_sendmsg sendmsg(MSG_DEALLOC_VGPRS)
	s_endpgm
	.section	.rodata,"a",@progbits
	.p2align	6, 0x0
	.amdhsa_kernel _ZL32rocblas_syrkx_herkx_small_kernelIi19rocblas_complex_numIdELi16ELb0ELb0ELc84ELc85EKPKS1_KPS1_EviT_T0_PT6_S7_lSA_S7_lS8_PT7_S7_li
		.amdhsa_group_segment_fixed_size 8192
		.amdhsa_private_segment_fixed_size 0
		.amdhsa_kernarg_size 116
		.amdhsa_user_sgpr_count 13
		.amdhsa_user_sgpr_dispatch_ptr 0
		.amdhsa_user_sgpr_queue_ptr 0
		.amdhsa_user_sgpr_kernarg_segment_ptr 1
		.amdhsa_user_sgpr_dispatch_id 0
		.amdhsa_user_sgpr_private_segment_size 0
		.amdhsa_wavefront_size32 1
		.amdhsa_uses_dynamic_stack 0
		.amdhsa_enable_private_segment 0
		.amdhsa_system_sgpr_workgroup_id_x 1
		.amdhsa_system_sgpr_workgroup_id_y 1
		.amdhsa_system_sgpr_workgroup_id_z 1
		.amdhsa_system_sgpr_workgroup_info 0
		.amdhsa_system_vgpr_workitem_id 1
		.amdhsa_next_free_vgpr 50
		.amdhsa_next_free_sgpr 26
		.amdhsa_reserve_vcc 1
		.amdhsa_float_round_mode_32 0
		.amdhsa_float_round_mode_16_64 0
		.amdhsa_float_denorm_mode_32 3
		.amdhsa_float_denorm_mode_16_64 3
		.amdhsa_dx10_clamp 1
		.amdhsa_ieee_mode 1
		.amdhsa_fp16_overflow 0
		.amdhsa_workgroup_processor_mode 1
		.amdhsa_memory_ordered 1
		.amdhsa_forward_progress 0
		.amdhsa_shared_vgpr_count 0
		.amdhsa_exception_fp_ieee_invalid_op 0
		.amdhsa_exception_fp_denorm_src 0
		.amdhsa_exception_fp_ieee_div_zero 0
		.amdhsa_exception_fp_ieee_overflow 0
		.amdhsa_exception_fp_ieee_underflow 0
		.amdhsa_exception_fp_ieee_inexact 0
		.amdhsa_exception_int_div_zero 0
	.end_amdhsa_kernel
	.section	.text._ZL32rocblas_syrkx_herkx_small_kernelIi19rocblas_complex_numIdELi16ELb0ELb0ELc84ELc85EKPKS1_KPS1_EviT_T0_PT6_S7_lSA_S7_lS8_PT7_S7_li,"axG",@progbits,_ZL32rocblas_syrkx_herkx_small_kernelIi19rocblas_complex_numIdELi16ELb0ELb0ELc84ELc85EKPKS1_KPS1_EviT_T0_PT6_S7_lSA_S7_lS8_PT7_S7_li,comdat
.Lfunc_end752:
	.size	_ZL32rocblas_syrkx_herkx_small_kernelIi19rocblas_complex_numIdELi16ELb0ELb0ELc84ELc85EKPKS1_KPS1_EviT_T0_PT6_S7_lSA_S7_lS8_PT7_S7_li, .Lfunc_end752-_ZL32rocblas_syrkx_herkx_small_kernelIi19rocblas_complex_numIdELi16ELb0ELb0ELc84ELc85EKPKS1_KPS1_EviT_T0_PT6_S7_lSA_S7_lS8_PT7_S7_li
                                        ; -- End function
	.section	.AMDGPU.csdata,"",@progbits
; Kernel info:
; codeLenInByte = 1972
; NumSgprs: 28
; NumVgprs: 50
; ScratchSize: 0
; MemoryBound: 0
; FloatMode: 240
; IeeeMode: 1
; LDSByteSize: 8192 bytes/workgroup (compile time only)
; SGPRBlocks: 3
; VGPRBlocks: 6
; NumSGPRsForWavesPerEU: 28
; NumVGPRsForWavesPerEU: 50
; Occupancy: 16
; WaveLimiterHint : 1
; COMPUTE_PGM_RSRC2:SCRATCH_EN: 0
; COMPUTE_PGM_RSRC2:USER_SGPR: 13
; COMPUTE_PGM_RSRC2:TRAP_HANDLER: 0
; COMPUTE_PGM_RSRC2:TGID_X_EN: 1
; COMPUTE_PGM_RSRC2:TGID_Y_EN: 1
; COMPUTE_PGM_RSRC2:TGID_Z_EN: 1
; COMPUTE_PGM_RSRC2:TIDIG_COMP_CNT: 1
	.section	.text._ZL32rocblas_syrkx_herkx_small_kernelIi19rocblas_complex_numIdELi16ELb0ELb0ELc67ELc85EKPKS1_KPS1_EviT_T0_PT6_S7_lSA_S7_lS8_PT7_S7_li,"axG",@progbits,_ZL32rocblas_syrkx_herkx_small_kernelIi19rocblas_complex_numIdELi16ELb0ELb0ELc67ELc85EKPKS1_KPS1_EviT_T0_PT6_S7_lSA_S7_lS8_PT7_S7_li,comdat
	.globl	_ZL32rocblas_syrkx_herkx_small_kernelIi19rocblas_complex_numIdELi16ELb0ELb0ELc67ELc85EKPKS1_KPS1_EviT_T0_PT6_S7_lSA_S7_lS8_PT7_S7_li ; -- Begin function _ZL32rocblas_syrkx_herkx_small_kernelIi19rocblas_complex_numIdELi16ELb0ELb0ELc67ELc85EKPKS1_KPS1_EviT_T0_PT6_S7_lSA_S7_lS8_PT7_S7_li
	.p2align	8
	.type	_ZL32rocblas_syrkx_herkx_small_kernelIi19rocblas_complex_numIdELi16ELb0ELb0ELc67ELc85EKPKS1_KPS1_EviT_T0_PT6_S7_lSA_S7_lS8_PT7_S7_li,@function
_ZL32rocblas_syrkx_herkx_small_kernelIi19rocblas_complex_numIdELi16ELb0ELb0ELc67ELc85EKPKS1_KPS1_EviT_T0_PT6_S7_lSA_S7_lS8_PT7_S7_li: ; @_ZL32rocblas_syrkx_herkx_small_kernelIi19rocblas_complex_numIdELi16ELb0ELb0ELc67ELc85EKPKS1_KPS1_EviT_T0_PT6_S7_lSA_S7_lS8_PT7_S7_li
; %bb.0:
	s_load_b64 s[2:3], s[0:1], 0x58
	s_mov_b32 s18, s15
	s_mov_b32 s19, 0
	s_clause 0x1
	s_load_b64 s[20:21], s[0:1], 0x0
	s_load_b128 s[4:7], s[0:1], 0x8
	s_lshl_b64 s[22:23], s[18:19], 3
	v_bfe_u32 v17, v0, 10, 10
	v_mov_b32_e32 v12, 0
	v_dual_mov_b32 v13, 0 :: v_dual_and_b32 v18, 0x3ff, v0
	s_delay_alu instid0(VALU_DEP_3) | instskip(NEXT) | instid1(VALU_DEP_2)
	v_lshl_add_u32 v16, s14, 4, v17
	v_lshl_add_u32 v5, s13, 4, v18
	s_delay_alu instid0(VALU_DEP_3)
	v_dual_mov_b32 v15, v13 :: v_dual_mov_b32 v14, v12
	s_waitcnt lgkmcnt(0)
	s_add_u32 s2, s2, s22
	s_addc_u32 s3, s3, s23
	s_clause 0x1
	s_load_b64 s[24:25], s[0:1], 0x18
	s_load_b128 s[8:11], s[0:1], 0x48
	s_load_b64 s[16:17], s[2:3], 0x0
	v_cmp_gt_i32_e64 s2, s20, v16
	s_cmp_lt_i32 s21, 1
	s_cbranch_scc1 .LBB753_9
; %bb.1:
	s_clause 0x2
	s_load_b64 s[12:13], s[0:1], 0x30
	s_load_b32 s3, s[0:1], 0x20
	s_load_b32 s18, s[0:1], 0x38
	v_dual_mov_b32 v0, 0 :: v_dual_lshlrev_b32 v9, 4, v17
	v_dual_mov_b32 v6, 0 :: v_dual_lshlrev_b32 v19, 4, v18
	;; [unrolled: 1-line block ×3, first 2 shown]
	v_cmp_gt_i32_e32 vcc_lo, s20, v5
	s_delay_alu instid0(VALU_DEP_2) | instskip(NEXT) | instid1(VALU_DEP_4)
	v_dual_mov_b32 v13, v7 :: v_dual_add_nc_u32 v20, 0x1000, v8
	v_dual_mov_b32 v12, v6 :: v_dual_add_nc_u32 v21, v19, v8
	s_delay_alu instid0(VALU_DEP_2)
	v_dual_mov_b32 v15, v7 :: v_dual_add_nc_u32 v22, v20, v19
	v_mov_b32_e32 v14, v6
	s_waitcnt lgkmcnt(0)
	s_add_u32 s12, s12, s22
	s_addc_u32 s13, s13, s23
	s_add_u32 s14, s24, s22
	s_addc_u32 s15, s25, s23
	v_mad_i64_i32 v[1:2], null, s3, v5, 0
	s_load_b64 s[14:15], s[14:15], 0x0
	v_mad_i64_i32 v[3:4], null, s18, v16, 0
	s_load_b64 s[12:13], s[12:13], 0x0
	s_delay_alu instid0(VALU_DEP_2) | instskip(NEXT) | instid1(VALU_DEP_2)
	v_lshlrev_b64 v[1:2], 4, v[1:2]
	v_lshlrev_b64 v[3:4], 4, v[3:4]
	s_delay_alu instid0(VALU_DEP_2) | instskip(NEXT) | instid1(VALU_DEP_1)
	v_add_co_u32 v1, s3, v1, v9
	v_add_co_ci_u32_e64 v2, s3, 0, v2, s3
	s_delay_alu instid0(VALU_DEP_3) | instskip(NEXT) | instid1(VALU_DEP_1)
	v_add_co_u32 v3, s3, v3, v19
	v_add_co_ci_u32_e64 v4, s3, 0, v4, s3
	s_waitcnt lgkmcnt(0)
	v_add_co_u32 v1, s3, v1, s14
	s_delay_alu instid0(VALU_DEP_1) | instskip(SKIP_1) | instid1(VALU_DEP_1)
	v_add_co_ci_u32_e64 v2, s3, s15, v2, s3
	v_add_co_u32 v8, s3, s12, v3
	v_add_co_ci_u32_e64 v9, s3, s13, v4, s3
	s_delay_alu instid0(VALU_DEP_4) | instskip(NEXT) | instid1(VALU_DEP_1)
	v_add_co_u32 v10, s3, v1, 8
	v_add_co_ci_u32_e64 v11, s3, 0, v2, s3
	s_xor_b32 s3, s2, -1
	s_branch .LBB753_3
.LBB753_2:                              ;   in Loop: Header=BB753_3 Depth=1
	s_or_b32 exec_lo, exec_lo, s2
	s_waitcnt lgkmcnt(0)
	s_barrier
	buffer_gl0_inv
	ds_load_b128 v[1:4], v19
	ds_load_b128 v[23:26], v20
	ds_load_b128 v[27:30], v20 offset:16
	ds_load_b128 v[31:34], v19 offset:256
	v_add_co_u32 v8, s2, 0x100, v8
	s_delay_alu instid0(VALU_DEP_1) | instskip(SKIP_1) | instid1(VALU_DEP_1)
	v_add_co_ci_u32_e64 v9, s2, 0, v9, s2
	v_add_co_u32 v10, s2, 0x100, v10
	v_add_co_ci_u32_e64 v11, s2, 0, v11, s2
	s_add_i32 s19, s19, 16
	s_delay_alu instid0(SALU_CYCLE_1)
	s_cmp_ge_i32 s19, s21
	s_waitcnt lgkmcnt(2)
	v_mul_f64 v[35:36], v[25:26], v[3:4]
	v_mul_f64 v[3:4], v[23:24], v[3:4]
	s_waitcnt lgkmcnt(0)
	v_mul_f64 v[41:42], v[29:30], v[33:34]
	v_mul_f64 v[43:44], v[27:28], v[33:34]
	s_delay_alu instid0(VALU_DEP_4) | instskip(NEXT) | instid1(VALU_DEP_4)
	v_fma_f64 v[45:46], v[23:24], v[1:2], -v[35:36]
	v_fma_f64 v[47:48], v[25:26], v[1:2], v[3:4]
	ds_load_b128 v[1:4], v19 offset:512
	ds_load_b128 v[23:26], v20 offset:32
	;; [unrolled: 1-line block ×4, first 2 shown]
	v_fma_f64 v[27:28], v[27:28], v[31:32], -v[41:42]
	v_fma_f64 v[29:30], v[29:30], v[31:32], v[43:44]
	s_waitcnt lgkmcnt(2)
	v_mul_f64 v[49:50], v[25:26], v[3:4]
	v_mul_f64 v[3:4], v[23:24], v[3:4]
	s_waitcnt lgkmcnt(0)
	v_mul_f64 v[31:32], v[35:36], v[39:40]
	v_mul_f64 v[39:40], v[33:34], v[39:40]
	v_add_f64 v[14:15], v[14:15], v[45:46]
	v_add_f64 v[12:13], v[12:13], v[47:48]
	v_fma_f64 v[41:42], v[23:24], v[1:2], -v[49:50]
	v_fma_f64 v[43:44], v[25:26], v[1:2], v[3:4]
	v_fma_f64 v[31:32], v[33:34], v[37:38], -v[31:32]
	v_fma_f64 v[33:34], v[35:36], v[37:38], v[39:40]
	v_add_f64 v[45:46], v[14:15], v[27:28]
	v_add_f64 v[47:48], v[12:13], v[29:30]
	ds_load_b128 v[1:4], v19 offset:1024
	ds_load_b128 v[12:15], v20 offset:64
	;; [unrolled: 1-line block ×4, first 2 shown]
	s_waitcnt lgkmcnt(2)
	v_mul_f64 v[49:50], v[14:15], v[3:4]
	v_mul_f64 v[3:4], v[12:13], v[3:4]
	s_waitcnt lgkmcnt(0)
	v_mul_f64 v[39:40], v[25:26], v[29:30]
	v_add_f64 v[35:36], v[45:46], v[41:42]
	v_add_f64 v[37:38], v[47:48], v[43:44]
	v_mul_f64 v[41:42], v[23:24], v[29:30]
	v_fma_f64 v[43:44], v[12:13], v[1:2], -v[49:50]
	v_fma_f64 v[45:46], v[14:15], v[1:2], v[3:4]
	v_fma_f64 v[23:24], v[23:24], v[27:28], -v[39:40]
	v_add_f64 v[47:48], v[35:36], v[31:32]
	v_add_f64 v[37:38], v[37:38], v[33:34]
	ds_load_b128 v[1:4], v19 offset:1536
	ds_load_b128 v[12:15], v20 offset:96
	;; [unrolled: 1-line block ×4, first 2 shown]
	v_fma_f64 v[25:26], v[25:26], v[27:28], v[41:42]
	s_waitcnt lgkmcnt(2)
	v_mul_f64 v[49:50], v[14:15], v[3:4]
	v_mul_f64 v[3:4], v[12:13], v[3:4]
	s_waitcnt lgkmcnt(0)
	v_mul_f64 v[39:40], v[31:32], v[35:36]
	v_mul_f64 v[41:42], v[29:30], v[35:36]
	v_add_f64 v[27:28], v[47:48], v[43:44]
	v_add_f64 v[37:38], v[37:38], v[45:46]
	v_fma_f64 v[43:44], v[12:13], v[1:2], -v[49:50]
	v_fma_f64 v[45:46], v[14:15], v[1:2], v[3:4]
	v_fma_f64 v[29:30], v[29:30], v[33:34], -v[39:40]
	v_fma_f64 v[31:32], v[31:32], v[33:34], v[41:42]
	v_add_f64 v[27:28], v[27:28], v[23:24]
	v_add_f64 v[47:48], v[37:38], v[25:26]
	ds_load_b128 v[1:4], v19 offset:2048
	ds_load_b128 v[12:15], v20 offset:128
	;; [unrolled: 1-line block ×4, first 2 shown]
	s_waitcnt lgkmcnt(2)
	v_mul_f64 v[49:50], v[14:15], v[3:4]
	v_mul_f64 v[3:4], v[12:13], v[3:4]
	s_waitcnt lgkmcnt(0)
	v_mul_f64 v[39:40], v[25:26], v[37:38]
	v_mul_f64 v[37:38], v[23:24], v[37:38]
	v_add_f64 v[27:28], v[27:28], v[43:44]
	v_add_f64 v[33:34], v[47:48], v[45:46]
	v_fma_f64 v[41:42], v[12:13], v[1:2], -v[49:50]
	v_fma_f64 v[43:44], v[14:15], v[1:2], v[3:4]
	v_fma_f64 v[23:24], v[23:24], v[35:36], -v[39:40]
	v_fma_f64 v[25:26], v[25:26], v[35:36], v[37:38]
	v_add_f64 v[45:46], v[27:28], v[29:30]
	v_add_f64 v[47:48], v[33:34], v[31:32]
	ds_load_b128 v[1:4], v19 offset:2560
	ds_load_b128 v[12:15], v20 offset:160
	;; [unrolled: 1-line block ×4, first 2 shown]
	s_waitcnt lgkmcnt(2)
	v_mul_f64 v[49:50], v[14:15], v[3:4]
	v_mul_f64 v[3:4], v[12:13], v[3:4]
	s_waitcnt lgkmcnt(0)
	v_mul_f64 v[39:40], v[29:30], v[33:34]
	v_add_f64 v[35:36], v[45:46], v[41:42]
	v_add_f64 v[37:38], v[47:48], v[43:44]
	v_mul_f64 v[41:42], v[27:28], v[33:34]
	v_fma_f64 v[43:44], v[12:13], v[1:2], -v[49:50]
	v_fma_f64 v[45:46], v[14:15], v[1:2], v[3:4]
	v_fma_f64 v[27:28], v[27:28], v[31:32], -v[39:40]
	v_add_f64 v[47:48], v[35:36], v[23:24]
	v_add_f64 v[37:38], v[37:38], v[25:26]
	ds_load_b128 v[1:4], v19 offset:3072
	ds_load_b128 v[12:15], v20 offset:192
	;; [unrolled: 1-line block ×4, first 2 shown]
	v_fma_f64 v[29:30], v[29:30], v[31:32], v[41:42]
	s_waitcnt lgkmcnt(2)
	v_mul_f64 v[49:50], v[14:15], v[3:4]
	v_mul_f64 v[3:4], v[12:13], v[3:4]
	s_waitcnt lgkmcnt(0)
	v_mul_f64 v[39:40], v[25:26], v[35:36]
	v_mul_f64 v[41:42], v[23:24], v[35:36]
	v_add_f64 v[31:32], v[47:48], v[43:44]
	v_add_f64 v[37:38], v[37:38], v[45:46]
	v_fma_f64 v[43:44], v[12:13], v[1:2], -v[49:50]
	v_fma_f64 v[45:46], v[14:15], v[1:2], v[3:4]
	v_fma_f64 v[23:24], v[23:24], v[33:34], -v[39:40]
	v_fma_f64 v[25:26], v[25:26], v[33:34], v[41:42]
	v_add_f64 v[31:32], v[31:32], v[27:28]
	v_add_f64 v[47:48], v[37:38], v[29:30]
	ds_load_b128 v[1:4], v19 offset:3584
	ds_load_b128 v[12:15], v20 offset:224
	ds_load_b128 v[27:30], v20 offset:240
	ds_load_b128 v[35:38], v19 offset:3840
	s_waitcnt lgkmcnt(0)
	s_barrier
	buffer_gl0_inv
	v_mul_f64 v[49:50], v[14:15], v[3:4]
	v_mul_f64 v[3:4], v[12:13], v[3:4]
	;; [unrolled: 1-line block ×4, first 2 shown]
	v_add_f64 v[31:32], v[31:32], v[43:44]
	v_add_f64 v[33:34], v[47:48], v[45:46]
	v_fma_f64 v[12:13], v[12:13], v[1:2], -v[49:50]
	v_fma_f64 v[1:2], v[14:15], v[1:2], v[3:4]
	s_delay_alu instid0(VALU_DEP_4) | instskip(NEXT) | instid1(VALU_DEP_4)
	v_add_f64 v[3:4], v[31:32], v[23:24]
	v_add_f64 v[14:15], v[33:34], v[25:26]
	v_fma_f64 v[23:24], v[27:28], v[35:36], -v[39:40]
	v_fma_f64 v[25:26], v[29:30], v[35:36], v[37:38]
	s_delay_alu instid0(VALU_DEP_4) | instskip(NEXT) | instid1(VALU_DEP_4)
	v_add_f64 v[3:4], v[3:4], v[12:13]
	v_add_f64 v[1:2], v[14:15], v[1:2]
	s_delay_alu instid0(VALU_DEP_2) | instskip(NEXT) | instid1(VALU_DEP_2)
	v_add_f64 v[14:15], v[3:4], v[23:24]
	v_add_f64 v[12:13], v[1:2], v[25:26]
	s_cbranch_scc1 .LBB753_9
.LBB753_3:                              ; =>This Inner Loop Header: Depth=1
	v_add_nc_u32_e32 v1, s19, v17
	v_dual_mov_b32 v3, v6 :: v_dual_mov_b32 v4, v7
	s_delay_alu instid0(VALU_DEP_2) | instskip(SKIP_1) | instid1(VALU_DEP_2)
	v_cmp_gt_i32_e64 s2, s21, v1
	v_dual_mov_b32 v1, v6 :: v_dual_mov_b32 v2, v7
	s_and_b32 s12, vcc_lo, s2
	s_delay_alu instid0(SALU_CYCLE_1)
	s_and_saveexec_b32 s2, s12
	s_cbranch_execz .LBB753_5
; %bb.4:                                ;   in Loop: Header=BB753_3 Depth=1
	global_load_b128 v[1:4], v[10:11], off offset:-8
.LBB753_5:                              ;   in Loop: Header=BB753_3 Depth=1
	s_or_b32 exec_lo, exec_lo, s2
	v_add_nc_u32_e32 v23, s19, v18
	s_waitcnt vmcnt(0)
	ds_store_b128 v21, v[1:4]
	v_cmp_le_i32_e64 s2, s21, v23
	s_delay_alu instid0(VALU_DEP_1) | instskip(NEXT) | instid1(SALU_CYCLE_1)
	s_or_b32 s2, s3, s2
	s_and_saveexec_b32 s12, s2
	s_delay_alu instid0(SALU_CYCLE_1)
	s_xor_b32 s2, exec_lo, s12
	s_cbranch_execz .LBB753_7
; %bb.6:                                ;   in Loop: Header=BB753_3 Depth=1
	v_mov_b32_e32 v1, v0
	v_mov_b32_e32 v2, v0
	;; [unrolled: 1-line block ×3, first 2 shown]
	ds_store_b128 v22, v[0:3]
.LBB753_7:                              ;   in Loop: Header=BB753_3 Depth=1
	s_and_not1_saveexec_b32 s2, s2
	s_cbranch_execz .LBB753_2
; %bb.8:                                ;   in Loop: Header=BB753_3 Depth=1
	global_load_b128 v[1:4], v[8:9], off
	s_waitcnt vmcnt(0)
	ds_store_2addr_b64 v22, v[1:2], v[3:4] offset1:1
	s_branch .LBB753_2
.LBB753_9:
	v_cmp_le_i32_e32 vcc_lo, v5, v16
	v_cmp_gt_i32_e64 s2, s20, v16
	s_delay_alu instid0(VALU_DEP_1) | instskip(NEXT) | instid1(SALU_CYCLE_1)
	s_and_b32 s2, vcc_lo, s2
	s_and_saveexec_b32 s3, s2
	s_cbranch_execz .LBB753_11
; %bb.10:
	s_load_b32 s0, s[0:1], 0x60
	v_ashrrev_i32_e32 v6, 31, v5
	s_delay_alu instid0(VALU_DEP_4) | instskip(NEXT) | instid1(VALU_DEP_2)
	v_mul_f64 v[8:9], s[4:5], v[12:13]
	v_lshlrev_b64 v[2:3], 4, v[5:6]
	v_mul_f64 v[6:7], s[6:7], v[12:13]
	s_waitcnt lgkmcnt(0)
	v_mad_i64_i32 v[0:1], null, s0, v16, 0
	s_delay_alu instid0(VALU_DEP_1) | instskip(NEXT) | instid1(VALU_DEP_1)
	v_lshlrev_b64 v[0:1], 4, v[0:1]
	v_add_co_u32 v0, vcc_lo, s16, v0
	s_delay_alu instid0(VALU_DEP_2) | instskip(NEXT) | instid1(VALU_DEP_2)
	v_add_co_ci_u32_e32 v1, vcc_lo, s17, v1, vcc_lo
	v_add_co_u32 v4, vcc_lo, v0, v2
	s_delay_alu instid0(VALU_DEP_2)
	v_add_co_ci_u32_e32 v5, vcc_lo, v1, v3, vcc_lo
	v_fma_f64 v[8:9], s[6:7], v[14:15], v[8:9]
	v_fma_f64 v[6:7], s[4:5], v[14:15], -v[6:7]
	global_load_b128 v[0:3], v[4:5], off
	s_waitcnt vmcnt(0)
	v_mul_f64 v[10:11], s[10:11], v[2:3]
	v_mul_f64 v[2:3], s[8:9], v[2:3]
	s_delay_alu instid0(VALU_DEP_2) | instskip(NEXT) | instid1(VALU_DEP_2)
	v_fma_f64 v[10:11], s[8:9], v[0:1], -v[10:11]
	v_fma_f64 v[2:3], s[10:11], v[0:1], v[2:3]
	s_delay_alu instid0(VALU_DEP_2) | instskip(NEXT) | instid1(VALU_DEP_2)
	v_add_f64 v[0:1], v[6:7], v[10:11]
	v_add_f64 v[2:3], v[8:9], v[2:3]
	global_store_b128 v[4:5], v[0:3], off
.LBB753_11:
	s_nop 0
	s_sendmsg sendmsg(MSG_DEALLOC_VGPRS)
	s_endpgm
	.section	.rodata,"a",@progbits
	.p2align	6, 0x0
	.amdhsa_kernel _ZL32rocblas_syrkx_herkx_small_kernelIi19rocblas_complex_numIdELi16ELb0ELb0ELc67ELc85EKPKS1_KPS1_EviT_T0_PT6_S7_lSA_S7_lS8_PT7_S7_li
		.amdhsa_group_segment_fixed_size 8192
		.amdhsa_private_segment_fixed_size 0
		.amdhsa_kernarg_size 116
		.amdhsa_user_sgpr_count 13
		.amdhsa_user_sgpr_dispatch_ptr 0
		.amdhsa_user_sgpr_queue_ptr 0
		.amdhsa_user_sgpr_kernarg_segment_ptr 1
		.amdhsa_user_sgpr_dispatch_id 0
		.amdhsa_user_sgpr_private_segment_size 0
		.amdhsa_wavefront_size32 1
		.amdhsa_uses_dynamic_stack 0
		.amdhsa_enable_private_segment 0
		.amdhsa_system_sgpr_workgroup_id_x 1
		.amdhsa_system_sgpr_workgroup_id_y 1
		.amdhsa_system_sgpr_workgroup_id_z 1
		.amdhsa_system_sgpr_workgroup_info 0
		.amdhsa_system_vgpr_workitem_id 1
		.amdhsa_next_free_vgpr 51
		.amdhsa_next_free_sgpr 26
		.amdhsa_reserve_vcc 1
		.amdhsa_float_round_mode_32 0
		.amdhsa_float_round_mode_16_64 0
		.amdhsa_float_denorm_mode_32 3
		.amdhsa_float_denorm_mode_16_64 3
		.amdhsa_dx10_clamp 1
		.amdhsa_ieee_mode 1
		.amdhsa_fp16_overflow 0
		.amdhsa_workgroup_processor_mode 1
		.amdhsa_memory_ordered 1
		.amdhsa_forward_progress 0
		.amdhsa_shared_vgpr_count 0
		.amdhsa_exception_fp_ieee_invalid_op 0
		.amdhsa_exception_fp_denorm_src 0
		.amdhsa_exception_fp_ieee_div_zero 0
		.amdhsa_exception_fp_ieee_overflow 0
		.amdhsa_exception_fp_ieee_underflow 0
		.amdhsa_exception_fp_ieee_inexact 0
		.amdhsa_exception_int_div_zero 0
	.end_amdhsa_kernel
	.section	.text._ZL32rocblas_syrkx_herkx_small_kernelIi19rocblas_complex_numIdELi16ELb0ELb0ELc67ELc85EKPKS1_KPS1_EviT_T0_PT6_S7_lSA_S7_lS8_PT7_S7_li,"axG",@progbits,_ZL32rocblas_syrkx_herkx_small_kernelIi19rocblas_complex_numIdELi16ELb0ELb0ELc67ELc85EKPKS1_KPS1_EviT_T0_PT6_S7_lSA_S7_lS8_PT7_S7_li,comdat
.Lfunc_end753:
	.size	_ZL32rocblas_syrkx_herkx_small_kernelIi19rocblas_complex_numIdELi16ELb0ELb0ELc67ELc85EKPKS1_KPS1_EviT_T0_PT6_S7_lSA_S7_lS8_PT7_S7_li, .Lfunc_end753-_ZL32rocblas_syrkx_herkx_small_kernelIi19rocblas_complex_numIdELi16ELb0ELb0ELc67ELc85EKPKS1_KPS1_EviT_T0_PT6_S7_lSA_S7_lS8_PT7_S7_li
                                        ; -- End function
	.section	.AMDGPU.csdata,"",@progbits
; Kernel info:
; codeLenInByte = 2008
; NumSgprs: 28
; NumVgprs: 51
; ScratchSize: 0
; MemoryBound: 1
; FloatMode: 240
; IeeeMode: 1
; LDSByteSize: 8192 bytes/workgroup (compile time only)
; SGPRBlocks: 3
; VGPRBlocks: 6
; NumSGPRsForWavesPerEU: 28
; NumVGPRsForWavesPerEU: 51
; Occupancy: 16
; WaveLimiterHint : 1
; COMPUTE_PGM_RSRC2:SCRATCH_EN: 0
; COMPUTE_PGM_RSRC2:USER_SGPR: 13
; COMPUTE_PGM_RSRC2:TRAP_HANDLER: 0
; COMPUTE_PGM_RSRC2:TGID_X_EN: 1
; COMPUTE_PGM_RSRC2:TGID_Y_EN: 1
; COMPUTE_PGM_RSRC2:TGID_Z_EN: 1
; COMPUTE_PGM_RSRC2:TIDIG_COMP_CNT: 1
	.section	.text._ZL32rocblas_syrkx_herkx_small_kernelIi19rocblas_complex_numIdELi16ELb0ELb0ELc78ELc85EKPKS1_KPS1_EviT_T0_PT6_S7_lSA_S7_lS8_PT7_S7_li,"axG",@progbits,_ZL32rocblas_syrkx_herkx_small_kernelIi19rocblas_complex_numIdELi16ELb0ELb0ELc78ELc85EKPKS1_KPS1_EviT_T0_PT6_S7_lSA_S7_lS8_PT7_S7_li,comdat
	.globl	_ZL32rocblas_syrkx_herkx_small_kernelIi19rocblas_complex_numIdELi16ELb0ELb0ELc78ELc85EKPKS1_KPS1_EviT_T0_PT6_S7_lSA_S7_lS8_PT7_S7_li ; -- Begin function _ZL32rocblas_syrkx_herkx_small_kernelIi19rocblas_complex_numIdELi16ELb0ELb0ELc78ELc85EKPKS1_KPS1_EviT_T0_PT6_S7_lSA_S7_lS8_PT7_S7_li
	.p2align	8
	.type	_ZL32rocblas_syrkx_herkx_small_kernelIi19rocblas_complex_numIdELi16ELb0ELb0ELc78ELc85EKPKS1_KPS1_EviT_T0_PT6_S7_lSA_S7_lS8_PT7_S7_li,@function
_ZL32rocblas_syrkx_herkx_small_kernelIi19rocblas_complex_numIdELi16ELb0ELb0ELc78ELc85EKPKS1_KPS1_EviT_T0_PT6_S7_lSA_S7_lS8_PT7_S7_li: ; @_ZL32rocblas_syrkx_herkx_small_kernelIi19rocblas_complex_numIdELi16ELb0ELb0ELc78ELc85EKPKS1_KPS1_EviT_T0_PT6_S7_lSA_S7_lS8_PT7_S7_li
; %bb.0:
	s_load_b64 s[2:3], s[0:1], 0x58
	s_mov_b32 s18, s15
	s_mov_b32 s19, 0
	s_clause 0x1
	s_load_b64 s[20:21], s[0:1], 0x0
	s_load_b128 s[4:7], s[0:1], 0x8
	s_lshl_b64 s[22:23], s[18:19], 3
	v_and_b32_e32 v16, 0x3ff, v0
	v_bfe_u32 v17, v0, 10, 10
	v_mov_b32_e32 v12, 0
	v_mov_b32_e32 v13, 0
	s_delay_alu instid0(VALU_DEP_4) | instskip(NEXT) | instid1(VALU_DEP_4)
	v_lshl_add_u32 v5, s13, 4, v16
	v_lshl_add_u32 v7, s14, 4, v17
	s_delay_alu instid0(VALU_DEP_3) | instskip(NEXT) | instid1(VALU_DEP_3)
	v_dual_mov_b32 v15, v13 :: v_dual_mov_b32 v14, v12
	v_ashrrev_i32_e32 v6, 31, v5
	s_waitcnt lgkmcnt(0)
	s_add_u32 s2, s2, s22
	s_addc_u32 s3, s3, s23
	s_clause 0x1
	s_load_b64 s[24:25], s[0:1], 0x18
	s_load_b128 s[8:11], s[0:1], 0x48
	s_load_b64 s[16:17], s[2:3], 0x0
	v_cmp_gt_i32_e32 vcc_lo, s20, v7
	s_cmp_lt_i32 s21, 1
	s_cbranch_scc1 .LBB754_9
; %bb.1:
	s_clause 0x2
	s_load_b32 s14, s[0:1], 0x20
	s_load_b32 s12, s[0:1], 0x38
	s_load_b64 s[26:27], s[0:1], 0x30
	v_ashrrev_i32_e32 v8, 31, v7
	v_lshlrev_b64 v[1:2], 4, v[5:6]
	v_dual_mov_b32 v12, 0 :: v_dual_lshlrev_b32 v11, 8, v17
	v_dual_mov_b32 v13, 0 :: v_dual_lshlrev_b32 v18, 4, v16
	s_delay_alu instid0(VALU_DEP_4) | instskip(NEXT) | instid1(VALU_DEP_3)
	v_lshlrev_b64 v[14:15], 4, v[7:8]
	v_dual_mov_b32 v0, 0 :: v_dual_add_nc_u32 v19, 0x1000, v11
	v_cmp_gt_i32_e64 s2, s20, v5
	s_delay_alu instid0(VALU_DEP_4) | instskip(NEXT) | instid1(VALU_DEP_3)
	v_add_nc_u32_e32 v20, v18, v11
	v_add_nc_u32_e32 v21, v19, v18
	s_waitcnt lgkmcnt(0)
	s_ashr_i32 s15, s14, 31
	s_ashr_i32 s13, s12, 31
	s_add_u32 s26, s26, s22
	s_addc_u32 s27, s27, s23
	v_mad_i64_i32 v[3:4], null, s12, v16, 0
	s_load_b64 s[26:27], s[26:27], 0x0
	s_add_u32 s22, s24, s22
	s_addc_u32 s23, s25, s23
	v_mad_i64_i32 v[9:10], null, s14, v17, 0
	s_load_b64 s[22:23], s[22:23], 0x0
	s_delay_alu instid0(VALU_DEP_2) | instskip(SKIP_2) | instid1(VALU_DEP_2)
	v_lshlrev_b64 v[3:4], 4, v[3:4]
	s_lshl_b64 s[12:13], s[12:13], 8
	s_lshl_b64 s[14:15], s[14:15], 8
	v_lshlrev_b64 v[8:9], 4, v[9:10]
	s_delay_alu instid0(VALU_DEP_2) | instskip(NEXT) | instid1(VALU_DEP_1)
	v_add_co_u32 v3, s3, v3, v14
	v_add_co_ci_u32_e64 v4, s3, v4, v15, s3
	v_dual_mov_b32 v15, v13 :: v_dual_mov_b32 v14, v12
	s_delay_alu instid0(VALU_DEP_4) | instskip(NEXT) | instid1(VALU_DEP_1)
	v_add_co_u32 v1, s3, v8, v1
	v_add_co_ci_u32_e64 v2, s3, v9, v2, s3
	s_waitcnt lgkmcnt(0)
	v_add_co_u32 v3, s3, v3, s26
	s_delay_alu instid0(VALU_DEP_1) | instskip(SKIP_1) | instid1(VALU_DEP_1)
	v_add_co_ci_u32_e64 v4, s3, s27, v4, s3
	v_add_co_u32 v8, s3, s22, v1
	v_add_co_ci_u32_e64 v9, s3, s23, v2, s3
	s_delay_alu instid0(VALU_DEP_4) | instskip(NEXT) | instid1(VALU_DEP_1)
	v_add_co_u32 v10, s3, v3, 8
	v_add_co_ci_u32_e64 v11, s3, 0, v4, s3
	s_xor_b32 s3, s2, -1
	s_branch .LBB754_3
.LBB754_2:                              ;   in Loop: Header=BB754_3 Depth=1
	s_or_b32 exec_lo, exec_lo, s2
	s_waitcnt vmcnt(0)
	ds_store_b128 v21, v[1:4]
	s_waitcnt lgkmcnt(0)
	s_barrier
	buffer_gl0_inv
	ds_load_b128 v[1:4], v18
	ds_load_b128 v[22:25], v19
	ds_load_b128 v[26:29], v19 offset:16
	ds_load_b128 v[30:33], v18 offset:256
	v_add_co_u32 v10, s2, v10, s12
	s_delay_alu instid0(VALU_DEP_1) | instskip(SKIP_1) | instid1(VALU_DEP_1)
	v_add_co_ci_u32_e64 v11, s2, s13, v11, s2
	v_add_co_u32 v8, s2, v8, s14
	v_add_co_ci_u32_e64 v9, s2, s15, v9, s2
	s_add_i32 s19, s19, 16
	s_delay_alu instid0(SALU_CYCLE_1)
	s_cmp_ge_i32 s19, s21
	s_waitcnt lgkmcnt(2)
	v_mul_f64 v[34:35], v[24:25], v[3:4]
	v_mul_f64 v[3:4], v[22:23], v[3:4]
	s_waitcnt lgkmcnt(0)
	v_mul_f64 v[40:41], v[28:29], v[32:33]
	v_mul_f64 v[42:43], v[26:27], v[32:33]
	s_delay_alu instid0(VALU_DEP_4) | instskip(NEXT) | instid1(VALU_DEP_4)
	v_fma_f64 v[44:45], v[22:23], v[1:2], -v[34:35]
	v_fma_f64 v[46:47], v[24:25], v[1:2], v[3:4]
	ds_load_b128 v[1:4], v18 offset:512
	ds_load_b128 v[22:25], v19 offset:32
	;; [unrolled: 1-line block ×4, first 2 shown]
	v_fma_f64 v[26:27], v[26:27], v[30:31], -v[40:41]
	v_fma_f64 v[28:29], v[28:29], v[30:31], v[42:43]
	s_waitcnt lgkmcnt(2)
	v_mul_f64 v[48:49], v[24:25], v[3:4]
	v_mul_f64 v[3:4], v[22:23], v[3:4]
	s_waitcnt lgkmcnt(0)
	v_mul_f64 v[30:31], v[34:35], v[38:39]
	v_mul_f64 v[38:39], v[32:33], v[38:39]
	v_add_f64 v[14:15], v[14:15], v[44:45]
	v_add_f64 v[12:13], v[12:13], v[46:47]
	v_fma_f64 v[40:41], v[22:23], v[1:2], -v[48:49]
	v_fma_f64 v[42:43], v[24:25], v[1:2], v[3:4]
	v_fma_f64 v[30:31], v[32:33], v[36:37], -v[30:31]
	v_fma_f64 v[32:33], v[34:35], v[36:37], v[38:39]
	v_add_f64 v[44:45], v[14:15], v[26:27]
	v_add_f64 v[46:47], v[12:13], v[28:29]
	ds_load_b128 v[1:4], v18 offset:1024
	ds_load_b128 v[12:15], v19 offset:64
	;; [unrolled: 1-line block ×4, first 2 shown]
	s_waitcnt lgkmcnt(2)
	v_mul_f64 v[48:49], v[14:15], v[3:4]
	v_mul_f64 v[3:4], v[12:13], v[3:4]
	s_waitcnt lgkmcnt(0)
	v_mul_f64 v[38:39], v[24:25], v[28:29]
	v_add_f64 v[34:35], v[44:45], v[40:41]
	v_add_f64 v[36:37], v[46:47], v[42:43]
	v_mul_f64 v[40:41], v[22:23], v[28:29]
	v_fma_f64 v[42:43], v[12:13], v[1:2], -v[48:49]
	v_fma_f64 v[44:45], v[14:15], v[1:2], v[3:4]
	v_fma_f64 v[22:23], v[22:23], v[26:27], -v[38:39]
	v_add_f64 v[46:47], v[34:35], v[30:31]
	v_add_f64 v[36:37], v[36:37], v[32:33]
	ds_load_b128 v[1:4], v18 offset:1536
	ds_load_b128 v[12:15], v19 offset:96
	;; [unrolled: 1-line block ×4, first 2 shown]
	v_fma_f64 v[24:25], v[24:25], v[26:27], v[40:41]
	s_waitcnt lgkmcnt(2)
	v_mul_f64 v[48:49], v[14:15], v[3:4]
	v_mul_f64 v[3:4], v[12:13], v[3:4]
	s_waitcnt lgkmcnt(0)
	v_mul_f64 v[38:39], v[30:31], v[34:35]
	v_mul_f64 v[40:41], v[28:29], v[34:35]
	v_add_f64 v[26:27], v[46:47], v[42:43]
	v_add_f64 v[36:37], v[36:37], v[44:45]
	v_fma_f64 v[42:43], v[12:13], v[1:2], -v[48:49]
	v_fma_f64 v[44:45], v[14:15], v[1:2], v[3:4]
	v_fma_f64 v[28:29], v[28:29], v[32:33], -v[38:39]
	v_fma_f64 v[30:31], v[30:31], v[32:33], v[40:41]
	v_add_f64 v[26:27], v[26:27], v[22:23]
	v_add_f64 v[46:47], v[36:37], v[24:25]
	ds_load_b128 v[1:4], v18 offset:2048
	ds_load_b128 v[12:15], v19 offset:128
	;; [unrolled: 1-line block ×4, first 2 shown]
	s_waitcnt lgkmcnt(2)
	v_mul_f64 v[48:49], v[14:15], v[3:4]
	v_mul_f64 v[3:4], v[12:13], v[3:4]
	s_waitcnt lgkmcnt(0)
	v_mul_f64 v[38:39], v[24:25], v[36:37]
	v_mul_f64 v[36:37], v[22:23], v[36:37]
	v_add_f64 v[26:27], v[26:27], v[42:43]
	v_add_f64 v[32:33], v[46:47], v[44:45]
	v_fma_f64 v[40:41], v[12:13], v[1:2], -v[48:49]
	v_fma_f64 v[42:43], v[14:15], v[1:2], v[3:4]
	v_fma_f64 v[22:23], v[22:23], v[34:35], -v[38:39]
	v_fma_f64 v[24:25], v[24:25], v[34:35], v[36:37]
	v_add_f64 v[44:45], v[26:27], v[28:29]
	v_add_f64 v[46:47], v[32:33], v[30:31]
	ds_load_b128 v[1:4], v18 offset:2560
	ds_load_b128 v[12:15], v19 offset:160
	;; [unrolled: 1-line block ×4, first 2 shown]
	s_waitcnt lgkmcnt(2)
	v_mul_f64 v[48:49], v[14:15], v[3:4]
	v_mul_f64 v[3:4], v[12:13], v[3:4]
	s_waitcnt lgkmcnt(0)
	v_mul_f64 v[38:39], v[28:29], v[32:33]
	v_add_f64 v[34:35], v[44:45], v[40:41]
	v_add_f64 v[36:37], v[46:47], v[42:43]
	v_mul_f64 v[40:41], v[26:27], v[32:33]
	v_fma_f64 v[42:43], v[12:13], v[1:2], -v[48:49]
	v_fma_f64 v[44:45], v[14:15], v[1:2], v[3:4]
	v_fma_f64 v[26:27], v[26:27], v[30:31], -v[38:39]
	v_add_f64 v[46:47], v[34:35], v[22:23]
	v_add_f64 v[36:37], v[36:37], v[24:25]
	ds_load_b128 v[1:4], v18 offset:3072
	ds_load_b128 v[12:15], v19 offset:192
	;; [unrolled: 1-line block ×4, first 2 shown]
	v_fma_f64 v[28:29], v[28:29], v[30:31], v[40:41]
	s_waitcnt lgkmcnt(2)
	v_mul_f64 v[48:49], v[14:15], v[3:4]
	v_mul_f64 v[3:4], v[12:13], v[3:4]
	s_waitcnt lgkmcnt(0)
	v_mul_f64 v[38:39], v[24:25], v[34:35]
	v_mul_f64 v[40:41], v[22:23], v[34:35]
	v_add_f64 v[30:31], v[46:47], v[42:43]
	v_add_f64 v[36:37], v[36:37], v[44:45]
	v_fma_f64 v[42:43], v[12:13], v[1:2], -v[48:49]
	v_fma_f64 v[44:45], v[14:15], v[1:2], v[3:4]
	v_fma_f64 v[22:23], v[22:23], v[32:33], -v[38:39]
	v_fma_f64 v[24:25], v[24:25], v[32:33], v[40:41]
	v_add_f64 v[30:31], v[30:31], v[26:27]
	v_add_f64 v[46:47], v[36:37], v[28:29]
	ds_load_b128 v[1:4], v18 offset:3584
	ds_load_b128 v[12:15], v19 offset:224
	;; [unrolled: 1-line block ×4, first 2 shown]
	s_waitcnt lgkmcnt(0)
	s_barrier
	buffer_gl0_inv
	v_mul_f64 v[48:49], v[14:15], v[3:4]
	v_mul_f64 v[3:4], v[12:13], v[3:4]
	v_mul_f64 v[38:39], v[28:29], v[36:37]
	v_mul_f64 v[36:37], v[26:27], v[36:37]
	v_add_f64 v[30:31], v[30:31], v[42:43]
	v_add_f64 v[32:33], v[46:47], v[44:45]
	v_fma_f64 v[12:13], v[12:13], v[1:2], -v[48:49]
	v_fma_f64 v[1:2], v[14:15], v[1:2], v[3:4]
	s_delay_alu instid0(VALU_DEP_4) | instskip(NEXT) | instid1(VALU_DEP_4)
	v_add_f64 v[3:4], v[30:31], v[22:23]
	v_add_f64 v[14:15], v[32:33], v[24:25]
	v_fma_f64 v[22:23], v[26:27], v[34:35], -v[38:39]
	v_fma_f64 v[24:25], v[28:29], v[34:35], v[36:37]
	s_delay_alu instid0(VALU_DEP_4) | instskip(NEXT) | instid1(VALU_DEP_4)
	v_add_f64 v[3:4], v[3:4], v[12:13]
	v_add_f64 v[1:2], v[14:15], v[1:2]
	s_delay_alu instid0(VALU_DEP_2) | instskip(NEXT) | instid1(VALU_DEP_2)
	v_add_f64 v[14:15], v[3:4], v[22:23]
	v_add_f64 v[12:13], v[1:2], v[24:25]
	s_cbranch_scc1 .LBB754_9
.LBB754_3:                              ; =>This Inner Loop Header: Depth=1
	v_add_nc_u32_e32 v1, s19, v17
	s_delay_alu instid0(VALU_DEP_1) | instskip(NEXT) | instid1(VALU_DEP_1)
	v_cmp_le_i32_e64 s2, s21, v1
	s_or_b32 s2, s3, s2
	s_delay_alu instid0(SALU_CYCLE_1) | instskip(NEXT) | instid1(SALU_CYCLE_1)
	s_and_saveexec_b32 s18, s2
	s_xor_b32 s2, exec_lo, s18
	s_cbranch_execz .LBB754_5
; %bb.4:                                ;   in Loop: Header=BB754_3 Depth=1
	v_mov_b32_e32 v1, v0
	v_mov_b32_e32 v2, v0
	;; [unrolled: 1-line block ×3, first 2 shown]
	ds_store_b128 v20, v[0:3]
.LBB754_5:                              ;   in Loop: Header=BB754_3 Depth=1
	s_and_not1_saveexec_b32 s2, s2
	s_cbranch_execz .LBB754_7
; %bb.6:                                ;   in Loop: Header=BB754_3 Depth=1
	global_load_b128 v[1:4], v[8:9], off
	s_waitcnt vmcnt(0)
	ds_store_2addr_b64 v20, v[1:2], v[3:4] offset1:1
.LBB754_7:                              ;   in Loop: Header=BB754_3 Depth=1
	s_or_b32 exec_lo, exec_lo, s2
	v_add_nc_u32_e32 v3, s19, v16
	v_mov_b32_e32 v1, 0
	v_mov_b32_e32 v2, 0
	s_delay_alu instid0(VALU_DEP_3) | instskip(NEXT) | instid1(VALU_DEP_2)
	v_cmp_gt_i32_e64 s2, s21, v3
	v_dual_mov_b32 v4, v2 :: v_dual_mov_b32 v3, v1
	s_delay_alu instid0(VALU_DEP_2) | instskip(NEXT) | instid1(SALU_CYCLE_1)
	s_and_b32 s18, vcc_lo, s2
	s_and_saveexec_b32 s2, s18
	s_cbranch_execz .LBB754_2
; %bb.8:                                ;   in Loop: Header=BB754_3 Depth=1
	global_load_b128 v[1:4], v[10:11], off offset:-8
	s_branch .LBB754_2
.LBB754_9:
	v_cmp_le_i32_e32 vcc_lo, v5, v7
	v_cmp_gt_i32_e64 s2, s20, v7
	s_delay_alu instid0(VALU_DEP_1) | instskip(NEXT) | instid1(SALU_CYCLE_1)
	s_and_b32 s2, vcc_lo, s2
	s_and_saveexec_b32 s3, s2
	s_cbranch_execz .LBB754_11
; %bb.10:
	s_load_b32 s0, s[0:1], 0x60
	v_lshlrev_b64 v[2:3], 4, v[5:6]
	s_delay_alu instid0(VALU_DEP_4) | instskip(SKIP_3) | instid1(VALU_DEP_2)
	v_mul_f64 v[8:9], s[4:5], v[12:13]
	s_waitcnt lgkmcnt(0)
	v_mad_i64_i32 v[0:1], null, s0, v7, 0
	v_mul_f64 v[6:7], s[6:7], v[12:13]
	v_lshlrev_b64 v[0:1], 4, v[0:1]
	s_delay_alu instid0(VALU_DEP_1) | instskip(NEXT) | instid1(VALU_DEP_2)
	v_add_co_u32 v0, vcc_lo, s16, v0
	v_add_co_ci_u32_e32 v1, vcc_lo, s17, v1, vcc_lo
	s_delay_alu instid0(VALU_DEP_2) | instskip(NEXT) | instid1(VALU_DEP_2)
	v_add_co_u32 v4, vcc_lo, v0, v2
	v_add_co_ci_u32_e32 v5, vcc_lo, v1, v3, vcc_lo
	v_fma_f64 v[8:9], s[6:7], v[14:15], v[8:9]
	global_load_b128 v[0:3], v[4:5], off
	v_fma_f64 v[6:7], s[4:5], v[14:15], -v[6:7]
	s_waitcnt vmcnt(0)
	v_mul_f64 v[10:11], s[10:11], v[2:3]
	v_mul_f64 v[2:3], s[8:9], v[2:3]
	s_delay_alu instid0(VALU_DEP_2) | instskip(NEXT) | instid1(VALU_DEP_2)
	v_fma_f64 v[10:11], s[8:9], v[0:1], -v[10:11]
	v_fma_f64 v[2:3], s[10:11], v[0:1], v[2:3]
	s_delay_alu instid0(VALU_DEP_2) | instskip(NEXT) | instid1(VALU_DEP_2)
	v_add_f64 v[0:1], v[6:7], v[10:11]
	v_add_f64 v[2:3], v[8:9], v[2:3]
	global_store_b128 v[4:5], v[0:3], off
.LBB754_11:
	s_nop 0
	s_sendmsg sendmsg(MSG_DEALLOC_VGPRS)
	s_endpgm
	.section	.rodata,"a",@progbits
	.p2align	6, 0x0
	.amdhsa_kernel _ZL32rocblas_syrkx_herkx_small_kernelIi19rocblas_complex_numIdELi16ELb0ELb0ELc78ELc85EKPKS1_KPS1_EviT_T0_PT6_S7_lSA_S7_lS8_PT7_S7_li
		.amdhsa_group_segment_fixed_size 8192
		.amdhsa_private_segment_fixed_size 0
		.amdhsa_kernarg_size 116
		.amdhsa_user_sgpr_count 13
		.amdhsa_user_sgpr_dispatch_ptr 0
		.amdhsa_user_sgpr_queue_ptr 0
		.amdhsa_user_sgpr_kernarg_segment_ptr 1
		.amdhsa_user_sgpr_dispatch_id 0
		.amdhsa_user_sgpr_private_segment_size 0
		.amdhsa_wavefront_size32 1
		.amdhsa_uses_dynamic_stack 0
		.amdhsa_enable_private_segment 0
		.amdhsa_system_sgpr_workgroup_id_x 1
		.amdhsa_system_sgpr_workgroup_id_y 1
		.amdhsa_system_sgpr_workgroup_id_z 1
		.amdhsa_system_sgpr_workgroup_info 0
		.amdhsa_system_vgpr_workitem_id 1
		.amdhsa_next_free_vgpr 50
		.amdhsa_next_free_sgpr 28
		.amdhsa_reserve_vcc 1
		.amdhsa_float_round_mode_32 0
		.amdhsa_float_round_mode_16_64 0
		.amdhsa_float_denorm_mode_32 3
		.amdhsa_float_denorm_mode_16_64 3
		.amdhsa_dx10_clamp 1
		.amdhsa_ieee_mode 1
		.amdhsa_fp16_overflow 0
		.amdhsa_workgroup_processor_mode 1
		.amdhsa_memory_ordered 1
		.amdhsa_forward_progress 0
		.amdhsa_shared_vgpr_count 0
		.amdhsa_exception_fp_ieee_invalid_op 0
		.amdhsa_exception_fp_denorm_src 0
		.amdhsa_exception_fp_ieee_div_zero 0
		.amdhsa_exception_fp_ieee_overflow 0
		.amdhsa_exception_fp_ieee_underflow 0
		.amdhsa_exception_fp_ieee_inexact 0
		.amdhsa_exception_int_div_zero 0
	.end_amdhsa_kernel
	.section	.text._ZL32rocblas_syrkx_herkx_small_kernelIi19rocblas_complex_numIdELi16ELb0ELb0ELc78ELc85EKPKS1_KPS1_EviT_T0_PT6_S7_lSA_S7_lS8_PT7_S7_li,"axG",@progbits,_ZL32rocblas_syrkx_herkx_small_kernelIi19rocblas_complex_numIdELi16ELb0ELb0ELc78ELc85EKPKS1_KPS1_EviT_T0_PT6_S7_lSA_S7_lS8_PT7_S7_li,comdat
.Lfunc_end754:
	.size	_ZL32rocblas_syrkx_herkx_small_kernelIi19rocblas_complex_numIdELi16ELb0ELb0ELc78ELc85EKPKS1_KPS1_EviT_T0_PT6_S7_lSA_S7_lS8_PT7_S7_li, .Lfunc_end754-_ZL32rocblas_syrkx_herkx_small_kernelIi19rocblas_complex_numIdELi16ELb0ELb0ELc78ELc85EKPKS1_KPS1_EviT_T0_PT6_S7_lSA_S7_lS8_PT7_S7_li
                                        ; -- End function
	.section	.AMDGPU.csdata,"",@progbits
; Kernel info:
; codeLenInByte = 2020
; NumSgprs: 30
; NumVgprs: 50
; ScratchSize: 0
; MemoryBound: 1
; FloatMode: 240
; IeeeMode: 1
; LDSByteSize: 8192 bytes/workgroup (compile time only)
; SGPRBlocks: 3
; VGPRBlocks: 6
; NumSGPRsForWavesPerEU: 30
; NumVGPRsForWavesPerEU: 50
; Occupancy: 16
; WaveLimiterHint : 1
; COMPUTE_PGM_RSRC2:SCRATCH_EN: 0
; COMPUTE_PGM_RSRC2:USER_SGPR: 13
; COMPUTE_PGM_RSRC2:TRAP_HANDLER: 0
; COMPUTE_PGM_RSRC2:TGID_X_EN: 1
; COMPUTE_PGM_RSRC2:TGID_Y_EN: 1
; COMPUTE_PGM_RSRC2:TGID_Z_EN: 1
; COMPUTE_PGM_RSRC2:TIDIG_COMP_CNT: 1
	.section	.text._ZL34rocblas_syrkx_herkx_general_kernelIi19rocblas_complex_numIdELi16ELi32ELi8ELb1ELb0ELc84ELc76EKPKS1_KPS1_EviT_T0_PT8_S7_lSA_S7_lS8_PT9_S7_li,"axG",@progbits,_ZL34rocblas_syrkx_herkx_general_kernelIi19rocblas_complex_numIdELi16ELi32ELi8ELb1ELb0ELc84ELc76EKPKS1_KPS1_EviT_T0_PT8_S7_lSA_S7_lS8_PT9_S7_li,comdat
	.globl	_ZL34rocblas_syrkx_herkx_general_kernelIi19rocblas_complex_numIdELi16ELi32ELi8ELb1ELb0ELc84ELc76EKPKS1_KPS1_EviT_T0_PT8_S7_lSA_S7_lS8_PT9_S7_li ; -- Begin function _ZL34rocblas_syrkx_herkx_general_kernelIi19rocblas_complex_numIdELi16ELi32ELi8ELb1ELb0ELc84ELc76EKPKS1_KPS1_EviT_T0_PT8_S7_lSA_S7_lS8_PT9_S7_li
	.p2align	8
	.type	_ZL34rocblas_syrkx_herkx_general_kernelIi19rocblas_complex_numIdELi16ELi32ELi8ELb1ELb0ELc84ELc76EKPKS1_KPS1_EviT_T0_PT8_S7_lSA_S7_lS8_PT9_S7_li,@function
_ZL34rocblas_syrkx_herkx_general_kernelIi19rocblas_complex_numIdELi16ELi32ELi8ELb1ELb0ELc84ELc76EKPKS1_KPS1_EviT_T0_PT8_S7_lSA_S7_lS8_PT9_S7_li: ; @_ZL34rocblas_syrkx_herkx_general_kernelIi19rocblas_complex_numIdELi16ELi32ELi8ELb1ELb0ELc84ELc76EKPKS1_KPS1_EviT_T0_PT8_S7_lSA_S7_lS8_PT9_S7_li
; %bb.0:
	s_clause 0x2
	s_load_b64 s[4:5], s[0:1], 0x58
	s_load_b64 s[18:19], s[0:1], 0x18
	s_load_b64 s[10:11], s[0:1], 0x0
	s_mov_b32 s16, s15
	s_mov_b32 s17, 0
	v_mov_b32_e32 v20, 0
	s_lshl_b64 s[2:3], s[16:17], 3
	v_dual_mov_b32 v21, 0 :: v_dual_and_b32 v24, 0x3ff, v0
	v_bfe_u32 v25, v0, 10, 10
	s_delay_alu instid0(VALU_DEP_3) | instskip(NEXT) | instid1(VALU_DEP_3)
	v_mov_b32_e32 v16, v20
	v_dual_mov_b32 v18, v20 :: v_dual_mov_b32 v19, v21
	v_dual_mov_b32 v23, v21 :: v_dual_mov_b32 v22, v20
	;; [unrolled: 1-line block ×4, first 2 shown]
	v_mov_b32_e32 v15, v21
	s_waitcnt lgkmcnt(0)
	s_add_u32 s8, s4, s2
	s_addc_u32 s9, s5, s3
	s_load_b128 s[4:7], s[0:1], 0x8
	s_load_b64 s[8:9], s[8:9], 0x0
	v_dual_mov_b32 v10, v20 :: v_dual_mov_b32 v11, v21
	v_dual_mov_b32 v8, v20 :: v_dual_mov_b32 v9, v21
	s_lshl_b32 s12, s13, 5
	s_lshl_b32 s13, s14, 5
	s_cmp_lt_i32 s11, 1
	s_cbranch_scc1 .LBB755_11
; %bb.1:
	s_clause 0x1
	s_load_b64 s[14:15], s[0:1], 0x30
	s_load_b32 s16, s[0:1], 0x20
	v_lshl_add_u32 v0, v25, 4, v24
	v_dual_mov_b32 v8, 0 :: v_dual_lshlrev_b32 v27, 4, v24
	v_dual_mov_b32 v9, 0 :: v_dual_and_b32 v26, 7, v24
	s_delay_alu instid0(VALU_DEP_3)
	v_and_b32_e32 v1, 31, v0
	s_load_b32 s20, s[0:1], 0x38
	v_lshrrev_b32_e32 v2, 3, v0
	v_lshrrev_b32_e32 v29, 5, v0
	v_mov_b32_e32 v15, v9
	v_dual_mov_b32 v14, v8 :: v_dual_add_nc_u32 v3, s12, v1
	v_or_b32_e32 v6, s12, v1
	v_lshlrev_b32_e32 v7, 4, v1
	v_lshlrev_b32_e32 v4, 4, v26
	;; [unrolled: 1-line block ×3, first 2 shown]
	v_add_nc_u32_e32 v5, s13, v2
	v_mov_b32_e32 v19, v9
	s_waitcnt lgkmcnt(0)
	s_add_u32 s14, s14, s2
	v_mad_i64_i32 v[0:1], null, s16, v3, 0
	s_addc_u32 s15, s15, s3
	s_add_u32 s2, s18, s2
	v_lshl_or_b32 v10, v2, 7, v4
	s_addc_u32 s3, s19, s3
	v_mov_b32_e32 v18, v8
	s_load_b64 s[18:19], s[2:3], 0x0
	s_delay_alu instid0(VALU_DEP_3)
	v_lshlrev_b64 v[0:1], 4, v[0:1]
	v_add_nc_u32_e32 v31, 0x1000, v10
	s_load_b64 s[14:15], s[14:15], 0x0
	v_cmp_gt_i32_e32 vcc_lo, s10, v6
	v_mov_b32_e32 v13, v9
	v_mov_b32_e32 v17, v9
	v_add_co_u32 v0, s3, v0, v11
	v_dual_mov_b32 v11, v9 :: v_dual_mov_b32 v10, v8
	v_mad_i64_i32 v[2:3], null, s20, v5, 0
	v_add_co_ci_u32_e64 v1, s3, 0, v1, s3
	v_cmp_gt_i32_e64 s2, s10, v5
	v_mov_b32_e32 v23, v9
	v_dual_mov_b32 v21, v9 :: v_dual_mov_b32 v20, v8
	v_lshlrev_b64 v[2:3], 4, v[2:3]
	v_lshl_add_u32 v28, v25, 7, 0x1000
	v_mov_b32_e32 v12, v8
	v_lshl_or_b32 v30, v29, 9, v7
	v_mov_b32_e32 v16, v8
	v_mov_b32_e32 v22, v8
	v_add_co_u32 v2, s3, v2, v4
	s_delay_alu instid0(VALU_DEP_1) | instskip(SKIP_2) | instid1(VALU_DEP_1)
	v_add_co_ci_u32_e64 v3, s3, 0, v3, s3
	s_waitcnt lgkmcnt(0)
	v_add_co_u32 v4, s3, s18, v0
	v_add_co_ci_u32_e64 v5, s3, s19, v1, s3
	v_add_co_u32 v6, s3, s14, v2
	s_delay_alu instid0(VALU_DEP_1)
	v_add_co_ci_u32_e64 v7, s3, s15, v3, s3
	v_mov_b32_e32 v0, 0
	s_xor_b32 s3, vcc_lo, -1
	s_xor_b32 s2, s2, -1
	s_branch .LBB755_3
.LBB755_2:                              ;   in Loop: Header=BB755_3 Depth=1
	s_or_b32 exec_lo, exec_lo, s14
	s_waitcnt lgkmcnt(0)
	s_barrier
	buffer_gl0_inv
	ds_load_b128 v[32:35], v28
	ds_load_b128 v[36:39], v27
	ds_load_b128 v[40:43], v27 offset:256
	ds_load_b128 v[44:47], v28 offset:2048
	;; [unrolled: 1-line block ×9, first 2 shown]
	v_add_co_u32 v4, vcc_lo, 0x80, v4
	v_add_co_ci_u32_e32 v5, vcc_lo, 0, v5, vcc_lo
	v_add_co_u32 v6, vcc_lo, 0x80, v6
	v_add_co_ci_u32_e32 v7, vcc_lo, 0, v7, vcc_lo
	s_add_i32 s17, s17, 8
	s_delay_alu instid0(SALU_CYCLE_1)
	s_cmp_ge_i32 s17, s11
	s_waitcnt lgkmcnt(9)
	v_mul_f64 v[1:2], v[34:35], v[38:39]
	v_mul_f64 v[76:77], v[32:33], v[38:39]
	s_waitcnt lgkmcnt(8)
	v_mul_f64 v[78:79], v[34:35], v[42:43]
	v_mul_f64 v[80:81], v[32:33], v[42:43]
	;; [unrolled: 3-line block ×3, first 2 shown]
	v_mul_f64 v[84:85], v[46:47], v[42:43]
	v_mul_f64 v[42:43], v[44:45], v[42:43]
	s_waitcnt lgkmcnt(4)
	v_mul_f64 v[86:87], v[50:51], v[58:59]
	v_mul_f64 v[88:89], v[48:49], v[58:59]
	s_waitcnt lgkmcnt(3)
	v_mul_f64 v[90:91], v[50:51], v[62:63]
	v_mul_f64 v[92:93], v[48:49], v[62:63]
	;; [unrolled: 1-line block ×6, first 2 shown]
	s_waitcnt lgkmcnt(0)
	v_mul_f64 v[114:115], v[74:75], v[66:67]
	v_mul_f64 v[116:117], v[74:75], v[70:71]
	v_fma_f64 v[1:2], v[32:33], v[36:37], -v[1:2]
	v_fma_f64 v[98:99], v[34:35], v[36:37], v[76:77]
	v_fma_f64 v[100:101], v[32:33], v[40:41], -v[78:79]
	v_fma_f64 v[80:81], v[34:35], v[40:41], v[80:81]
	;; [unrolled: 2-line block ×4, first 2 shown]
	ds_load_b128 v[76:79], v28 offset:32
	v_fma_f64 v[86:87], v[48:49], v[56:57], -v[86:87]
	v_fma_f64 v[88:89], v[50:51], v[56:57], v[88:89]
	v_fma_f64 v[48:49], v[48:49], v[60:61], -v[90:91]
	v_fma_f64 v[50:51], v[50:51], v[60:61], v[92:93]
	;; [unrolled: 2-line block ×4, first 2 shown]
	ds_load_b128 v[32:35], v28 offset:48
	ds_load_b128 v[36:39], v28 offset:2096
	ds_load_b128 v[40:43], v27 offset:1536
	ds_load_b128 v[44:47], v27 offset:1792
	s_waitcnt lgkmcnt(4)
	v_mul_f64 v[106:107], v[78:79], v[66:67]
	v_mul_f64 v[108:109], v[76:77], v[66:67]
	;; [unrolled: 1-line block ×6, first 2 shown]
	s_waitcnt lgkmcnt(1)
	v_mul_f64 v[92:93], v[32:33], v[42:43]
	s_waitcnt lgkmcnt(0)
	v_mul_f64 v[94:95], v[34:35], v[46:47]
	v_add_f64 v[1:2], v[20:21], v[1:2]
	v_add_f64 v[20:21], v[22:23], v[98:99]
	;; [unrolled: 1-line block ×8, first 2 shown]
	v_mul_f64 v[84:85], v[34:35], v[42:43]
	v_mul_f64 v[96:97], v[32:33], v[46:47]
	;; [unrolled: 1-line block ×6, first 2 shown]
	ds_load_b128 v[8:11], v27 offset:2048
	ds_load_b128 v[12:15], v27 offset:2304
	;; [unrolled: 1-line block ×3, first 2 shown]
	v_fma_f64 v[104:105], v[76:77], v[64:65], -v[106:107]
	v_fma_f64 v[106:107], v[78:79], v[64:65], v[108:109]
	v_fma_f64 v[76:77], v[76:77], v[68:69], -v[110:111]
	v_fma_f64 v[78:79], v[78:79], v[68:69], v[112:113]
	;; [unrolled: 2-line block ×4, first 2 shown]
	s_waitcnt lgkmcnt(0)
	v_mul_f64 v[114:115], v[18:19], v[10:11]
	v_mul_f64 v[116:117], v[18:19], v[14:15]
	v_add_f64 v[1:2], v[1:2], v[86:87]
	v_add_f64 v[70:71], v[20:21], v[88:89]
	;; [unrolled: 1-line block ×8, first 2 shown]
	ds_load_b128 v[20:23], v28 offset:64
	v_fma_f64 v[84:85], v[32:33], v[40:41], -v[84:85]
	v_fma_f64 v[92:93], v[34:35], v[40:41], v[92:93]
	v_fma_f64 v[94:95], v[32:33], v[44:45], -v[94:95]
	v_fma_f64 v[96:97], v[34:35], v[44:45], v[96:97]
	;; [unrolled: 2-line block ×4, first 2 shown]
	ds_load_b128 v[46:49], v28 offset:80
	ds_load_b128 v[50:53], v28 offset:2128
	;; [unrolled: 1-line block ×7, first 2 shown]
	s_waitcnt lgkmcnt(7)
	v_mul_f64 v[88:89], v[22:23], v[10:11]
	v_mul_f64 v[90:91], v[20:21], v[10:11]
	;; [unrolled: 1-line block ×6, first 2 shown]
	s_waitcnt lgkmcnt(3)
	v_mul_f64 v[102:103], v[52:53], v[60:61]
	v_add_f64 v[1:2], v[1:2], v[104:105]
	v_add_f64 v[70:71], v[70:71], v[106:107]
	;; [unrolled: 1-line block ×8, first 2 shown]
	v_mul_f64 v[68:69], v[48:49], v[56:57]
	v_mul_f64 v[78:79], v[46:47], v[56:57]
	v_mul_f64 v[80:81], v[48:49], v[60:61]
	v_mul_f64 v[82:83], v[46:47], v[60:61]
	v_mul_f64 v[86:87], v[52:53], v[56:57]
	v_mul_f64 v[56:57], v[50:51], v[56:57]
	v_mul_f64 v[104:105], v[50:51], v[60:61]
	v_fma_f64 v[88:89], v[20:21], v[8:9], -v[88:89]
	v_fma_f64 v[90:91], v[22:23], v[8:9], v[90:91]
	v_fma_f64 v[106:107], v[20:21], v[12:13], -v[110:111]
	v_fma_f64 v[108:109], v[22:23], v[12:13], v[112:113]
	;; [unrolled: 2-line block ×4, first 2 shown]
	ds_load_b128 v[8:11], v28 offset:96
	v_add_f64 v[1:2], v[1:2], v[84:85]
	v_add_f64 v[70:71], v[70:71], v[92:93]
	;; [unrolled: 1-line block ×8, first 2 shown]
	s_waitcnt lgkmcnt(1)
	v_mul_f64 v[98:99], v[42:43], v[34:35]
	v_mul_f64 v[100:101], v[42:43], v[38:39]
	v_fma_f64 v[68:69], v[46:47], v[54:55], -v[68:69]
	v_fma_f64 v[78:79], v[48:49], v[54:55], v[78:79]
	v_fma_f64 v[46:47], v[46:47], v[58:59], -v[80:81]
	v_fma_f64 v[48:49], v[48:49], v[58:59], v[82:83]
	;; [unrolled: 2-line block ×4, first 2 shown]
	s_waitcnt lgkmcnt(0)
	v_mul_f64 v[66:67], v[10:11], v[34:35]
	v_mul_f64 v[92:93], v[8:9], v[34:35]
	v_mul_f64 v[94:95], v[10:11], v[38:39]
	v_mul_f64 v[96:97], v[8:9], v[38:39]
	v_mul_f64 v[34:35], v[40:41], v[34:35]
	v_mul_f64 v[38:39], v[40:41], v[38:39]
	ds_load_b128 v[12:15], v28 offset:112
	ds_load_b128 v[16:19], v28 offset:2160
	;; [unrolled: 1-line block ×4, first 2 shown]
	s_waitcnt lgkmcnt(0)
	s_barrier
	buffer_gl0_inv
	v_add_f64 v[1:2], v[1:2], v[88:89]
	v_add_f64 v[56:57], v[70:71], v[90:91]
	v_add_f64 v[58:59], v[72:73], v[106:107]
	v_add_f64 v[70:71], v[74:75], v[108:109]
	v_add_f64 v[72:73], v[76:77], v[110:111]
	v_add_f64 v[74:75], v[84:85], v[112:113]
	v_add_f64 v[64:65], v[64:65], v[114:115]
	v_add_f64 v[44:45], v[44:45], v[116:117]
	v_mul_f64 v[76:77], v[14:15], v[22:23]
	v_mul_f64 v[82:83], v[12:13], v[22:23]
	;; [unrolled: 1-line block ×8, first 2 shown]
	v_fma_f64 v[66:67], v[8:9], v[32:33], -v[66:67]
	v_fma_f64 v[92:93], v[10:11], v[32:33], v[92:93]
	v_fma_f64 v[8:9], v[8:9], v[36:37], -v[94:95]
	v_fma_f64 v[10:11], v[10:11], v[36:37], v[96:97]
	;; [unrolled: 2-line block ×4, first 2 shown]
	v_add_f64 v[1:2], v[1:2], v[68:69]
	v_add_f64 v[38:39], v[56:57], v[78:79]
	;; [unrolled: 1-line block ×8, first 2 shown]
	v_fma_f64 v[52:53], v[12:13], v[20:21], -v[76:77]
	v_fma_f64 v[54:55], v[14:15], v[20:21], v[82:83]
	v_fma_f64 v[12:13], v[12:13], v[60:61], -v[84:85]
	v_fma_f64 v[14:15], v[14:15], v[60:61], v[86:87]
	;; [unrolled: 2-line block ×4, first 2 shown]
	v_add_f64 v[1:2], v[1:2], v[66:67]
	v_add_f64 v[16:17], v[38:39], v[92:93]
	;; [unrolled: 1-line block ×16, first 2 shown]
	s_cbranch_scc1 .LBB755_11
.LBB755_3:                              ; =>This Inner Loop Header: Depth=1
	v_add_nc_u32_e32 v1, s17, v29
	s_delay_alu instid0(VALU_DEP_1) | instskip(SKIP_1) | instid1(SALU_CYCLE_1)
	v_cmp_le_i32_e32 vcc_lo, s11, v1
	s_or_b32 s14, s3, vcc_lo
	s_and_saveexec_b32 s15, s14
	s_delay_alu instid0(SALU_CYCLE_1)
	s_xor_b32 s14, exec_lo, s15
	s_cbranch_execz .LBB755_5
; %bb.4:                                ;   in Loop: Header=BB755_3 Depth=1
	v_mov_b32_e32 v1, v0
	v_mov_b32_e32 v2, v0
	;; [unrolled: 1-line block ×3, first 2 shown]
	ds_store_b128 v30, v[0:3]
.LBB755_5:                              ;   in Loop: Header=BB755_3 Depth=1
	s_and_not1_saveexec_b32 s14, s14
	s_cbranch_execz .LBB755_7
; %bb.6:                                ;   in Loop: Header=BB755_3 Depth=1
	global_load_b128 v[32:35], v[4:5], off
	s_waitcnt vmcnt(0)
	ds_store_2addr_b64 v30, v[32:33], v[34:35] offset1:1
.LBB755_7:                              ;   in Loop: Header=BB755_3 Depth=1
	s_or_b32 exec_lo, exec_lo, s14
	v_add_nc_u32_e32 v1, s17, v26
	s_delay_alu instid0(VALU_DEP_1) | instskip(SKIP_1) | instid1(SALU_CYCLE_1)
	v_cmp_le_i32_e32 vcc_lo, s11, v1
	s_or_b32 s14, vcc_lo, s2
	s_and_saveexec_b32 s15, s14
	s_delay_alu instid0(SALU_CYCLE_1)
	s_xor_b32 s14, exec_lo, s15
	s_cbranch_execz .LBB755_9
; %bb.8:                                ;   in Loop: Header=BB755_3 Depth=1
	v_mov_b32_e32 v1, v0
	v_mov_b32_e32 v2, v0
	;; [unrolled: 1-line block ×3, first 2 shown]
	ds_store_b128 v31, v[0:3]
.LBB755_9:                              ;   in Loop: Header=BB755_3 Depth=1
	s_and_not1_saveexec_b32 s14, s14
	s_cbranch_execz .LBB755_2
; %bb.10:                               ;   in Loop: Header=BB755_3 Depth=1
	global_load_b128 v[32:35], v[6:7], off
	s_waitcnt vmcnt(0)
	ds_store_2addr_b64 v31, v[32:33], v[34:35] offset1:1
	s_branch .LBB755_2
.LBB755_11:
	s_load_b32 s2, s[0:1], 0x60
	v_add_nc_u32_e32 v4, s13, v25
	v_add_nc_u32_e32 v0, s12, v24
	s_delay_alu instid0(VALU_DEP_1) | instskip(SKIP_1) | instid1(VALU_DEP_2)
	v_cmp_le_i32_e64 s0, v4, v0
	v_cmp_gt_i32_e32 vcc_lo, s10, v0
	s_and_b32 s0, s0, vcc_lo
	s_waitcnt lgkmcnt(0)
	v_mad_i64_i32 v[1:2], null, v4, s2, 0
	s_delay_alu instid0(VALU_DEP_1) | instskip(NEXT) | instid1(VALU_DEP_1)
	v_lshlrev_b64 v[1:2], 4, v[1:2]
	v_add_co_u32 v5, s1, s8, v1
	s_delay_alu instid0(VALU_DEP_1)
	v_add_co_ci_u32_e64 v6, s1, s9, v2, s1
	s_and_saveexec_b32 s1, s0
	s_cbranch_execz .LBB755_13
; %bb.12:
	v_mul_f64 v[1:2], s[6:7], v[22:23]
	v_mul_f64 v[24:25], s[4:5], v[22:23]
	s_delay_alu instid0(VALU_DEP_2) | instskip(NEXT) | instid1(VALU_DEP_2)
	v_fma_f64 v[22:23], s[4:5], v[20:21], -v[1:2]
	v_fma_f64 v[24:25], s[6:7], v[20:21], v[24:25]
	v_ashrrev_i32_e32 v1, 31, v0
	s_delay_alu instid0(VALU_DEP_1) | instskip(NEXT) | instid1(VALU_DEP_1)
	v_lshlrev_b64 v[1:2], 4, v[0:1]
	v_add_co_u32 v1, s0, v5, v1
	s_delay_alu instid0(VALU_DEP_1)
	v_add_co_ci_u32_e64 v2, s0, v6, v2, s0
	global_store_b128 v[1:2], v[22:25], off
.LBB755_13:
	s_or_b32 exec_lo, exec_lo, s1
	v_add_nc_u32_e32 v2, 16, v0
	s_delay_alu instid0(VALU_DEP_1) | instskip(SKIP_1) | instid1(VALU_DEP_1)
	v_cmp_le_i32_e64 s1, v4, v2
	v_cmp_gt_i32_e64 s0, s10, v2
	s_and_b32 s1, s1, s0
	s_delay_alu instid0(SALU_CYCLE_1)
	s_and_saveexec_b32 s3, s1
	s_cbranch_execz .LBB755_15
; %bb.14:
	v_mul_f64 v[20:21], s[6:7], v[18:19]
	v_mul_f64 v[22:23], s[4:5], v[18:19]
	v_ashrrev_i32_e32 v3, 31, v2
	s_delay_alu instid0(VALU_DEP_3) | instskip(NEXT) | instid1(VALU_DEP_3)
	v_fma_f64 v[18:19], s[4:5], v[16:17], -v[20:21]
	v_fma_f64 v[20:21], s[6:7], v[16:17], v[22:23]
	s_delay_alu instid0(VALU_DEP_3) | instskip(NEXT) | instid1(VALU_DEP_1)
	v_lshlrev_b64 v[16:17], 4, v[2:3]
	v_add_co_u32 v5, s1, v5, v16
	s_delay_alu instid0(VALU_DEP_1)
	v_add_co_ci_u32_e64 v6, s1, v6, v17, s1
	global_store_b128 v[5:6], v[18:21], off
.LBB755_15:
	s_or_b32 exec_lo, exec_lo, s3
	v_add_nc_u32_e32 v3, 16, v4
	s_delay_alu instid0(VALU_DEP_1) | instskip(SKIP_1) | instid1(VALU_DEP_2)
	v_mad_i64_i32 v[4:5], null, v3, s2, 0
	v_cmp_le_i32_e64 s1, v3, v0
	v_lshlrev_b64 v[4:5], 4, v[4:5]
	s_delay_alu instid0(VALU_DEP_1) | instskip(NEXT) | instid1(VALU_DEP_1)
	v_add_co_u32 v4, s2, s8, v4
	v_add_co_ci_u32_e64 v5, s2, s9, v5, s2
	s_delay_alu instid0(VALU_DEP_4) | instskip(NEXT) | instid1(SALU_CYCLE_1)
	s_and_b32 s2, s1, vcc_lo
	s_and_saveexec_b32 s1, s2
	s_cbranch_execz .LBB755_17
; %bb.16:
	v_mul_f64 v[6:7], s[6:7], v[14:15]
	v_mul_f64 v[16:17], s[4:5], v[14:15]
	v_ashrrev_i32_e32 v1, 31, v0
	s_delay_alu instid0(VALU_DEP_1) | instskip(NEXT) | instid1(VALU_DEP_1)
	v_lshlrev_b64 v[0:1], 4, v[0:1]
	v_add_co_u32 v0, vcc_lo, v4, v0
	s_delay_alu instid0(VALU_DEP_2)
	v_add_co_ci_u32_e32 v1, vcc_lo, v5, v1, vcc_lo
	v_fma_f64 v[14:15], s[4:5], v[12:13], -v[6:7]
	v_fma_f64 v[16:17], s[6:7], v[12:13], v[16:17]
	global_store_b128 v[0:1], v[14:17], off
.LBB755_17:
	s_or_b32 exec_lo, exec_lo, s1
	v_cmp_le_i32_e32 vcc_lo, v3, v2
	s_and_b32 s0, vcc_lo, s0
	s_delay_alu instid0(SALU_CYCLE_1)
	s_and_saveexec_b32 s1, s0
	s_cbranch_execz .LBB755_19
; %bb.18:
	v_mul_f64 v[0:1], s[6:7], v[8:9]
	v_mul_f64 v[8:9], s[4:5], v[8:9]
	v_ashrrev_i32_e32 v3, 31, v2
	s_delay_alu instid0(VALU_DEP_3) | instskip(NEXT) | instid1(VALU_DEP_3)
	v_fma_f64 v[6:7], s[4:5], v[10:11], -v[0:1]
	v_fma_f64 v[8:9], s[6:7], v[10:11], v[8:9]
	s_delay_alu instid0(VALU_DEP_3) | instskip(NEXT) | instid1(VALU_DEP_1)
	v_lshlrev_b64 v[0:1], 4, v[2:3]
	v_add_co_u32 v0, vcc_lo, v4, v0
	s_delay_alu instid0(VALU_DEP_2)
	v_add_co_ci_u32_e32 v1, vcc_lo, v5, v1, vcc_lo
	global_store_b128 v[0:1], v[6:9], off
.LBB755_19:
	s_nop 0
	s_sendmsg sendmsg(MSG_DEALLOC_VGPRS)
	s_endpgm
	.section	.rodata,"a",@progbits
	.p2align	6, 0x0
	.amdhsa_kernel _ZL34rocblas_syrkx_herkx_general_kernelIi19rocblas_complex_numIdELi16ELi32ELi8ELb1ELb0ELc84ELc76EKPKS1_KPS1_EviT_T0_PT8_S7_lSA_S7_lS8_PT9_S7_li
		.amdhsa_group_segment_fixed_size 8192
		.amdhsa_private_segment_fixed_size 0
		.amdhsa_kernarg_size 116
		.amdhsa_user_sgpr_count 13
		.amdhsa_user_sgpr_dispatch_ptr 0
		.amdhsa_user_sgpr_queue_ptr 0
		.amdhsa_user_sgpr_kernarg_segment_ptr 1
		.amdhsa_user_sgpr_dispatch_id 0
		.amdhsa_user_sgpr_private_segment_size 0
		.amdhsa_wavefront_size32 1
		.amdhsa_uses_dynamic_stack 0
		.amdhsa_enable_private_segment 0
		.amdhsa_system_sgpr_workgroup_id_x 1
		.amdhsa_system_sgpr_workgroup_id_y 1
		.amdhsa_system_sgpr_workgroup_id_z 1
		.amdhsa_system_sgpr_workgroup_info 0
		.amdhsa_system_vgpr_workitem_id 1
		.amdhsa_next_free_vgpr 120
		.amdhsa_next_free_sgpr 21
		.amdhsa_reserve_vcc 1
		.amdhsa_float_round_mode_32 0
		.amdhsa_float_round_mode_16_64 0
		.amdhsa_float_denorm_mode_32 3
		.amdhsa_float_denorm_mode_16_64 3
		.amdhsa_dx10_clamp 1
		.amdhsa_ieee_mode 1
		.amdhsa_fp16_overflow 0
		.amdhsa_workgroup_processor_mode 1
		.amdhsa_memory_ordered 1
		.amdhsa_forward_progress 0
		.amdhsa_shared_vgpr_count 0
		.amdhsa_exception_fp_ieee_invalid_op 0
		.amdhsa_exception_fp_denorm_src 0
		.amdhsa_exception_fp_ieee_div_zero 0
		.amdhsa_exception_fp_ieee_overflow 0
		.amdhsa_exception_fp_ieee_underflow 0
		.amdhsa_exception_fp_ieee_inexact 0
		.amdhsa_exception_int_div_zero 0
	.end_amdhsa_kernel
	.section	.text._ZL34rocblas_syrkx_herkx_general_kernelIi19rocblas_complex_numIdELi16ELi32ELi8ELb1ELb0ELc84ELc76EKPKS1_KPS1_EviT_T0_PT8_S7_lSA_S7_lS8_PT9_S7_li,"axG",@progbits,_ZL34rocblas_syrkx_herkx_general_kernelIi19rocblas_complex_numIdELi16ELi32ELi8ELb1ELb0ELc84ELc76EKPKS1_KPS1_EviT_T0_PT8_S7_lSA_S7_lS8_PT9_S7_li,comdat
.Lfunc_end755:
	.size	_ZL34rocblas_syrkx_herkx_general_kernelIi19rocblas_complex_numIdELi16ELi32ELi8ELb1ELb0ELc84ELc76EKPKS1_KPS1_EviT_T0_PT8_S7_lSA_S7_lS8_PT9_S7_li, .Lfunc_end755-_ZL34rocblas_syrkx_herkx_general_kernelIi19rocblas_complex_numIdELi16ELi32ELi8ELb1ELb0ELc84ELc76EKPKS1_KPS1_EviT_T0_PT8_S7_lSA_S7_lS8_PT9_S7_li
                                        ; -- End function
	.section	.AMDGPU.csdata,"",@progbits
; Kernel info:
; codeLenInByte = 3176
; NumSgprs: 23
; NumVgprs: 120
; ScratchSize: 0
; MemoryBound: 0
; FloatMode: 240
; IeeeMode: 1
; LDSByteSize: 8192 bytes/workgroup (compile time only)
; SGPRBlocks: 2
; VGPRBlocks: 14
; NumSGPRsForWavesPerEU: 23
; NumVGPRsForWavesPerEU: 120
; Occupancy: 12
; WaveLimiterHint : 1
; COMPUTE_PGM_RSRC2:SCRATCH_EN: 0
; COMPUTE_PGM_RSRC2:USER_SGPR: 13
; COMPUTE_PGM_RSRC2:TRAP_HANDLER: 0
; COMPUTE_PGM_RSRC2:TGID_X_EN: 1
; COMPUTE_PGM_RSRC2:TGID_Y_EN: 1
; COMPUTE_PGM_RSRC2:TGID_Z_EN: 1
; COMPUTE_PGM_RSRC2:TIDIG_COMP_CNT: 1
	.section	.text._ZL34rocblas_syrkx_herkx_general_kernelIi19rocblas_complex_numIdELi16ELi32ELi8ELb1ELb0ELc67ELc76EKPKS1_KPS1_EviT_T0_PT8_S7_lSA_S7_lS8_PT9_S7_li,"axG",@progbits,_ZL34rocblas_syrkx_herkx_general_kernelIi19rocblas_complex_numIdELi16ELi32ELi8ELb1ELb0ELc67ELc76EKPKS1_KPS1_EviT_T0_PT8_S7_lSA_S7_lS8_PT9_S7_li,comdat
	.globl	_ZL34rocblas_syrkx_herkx_general_kernelIi19rocblas_complex_numIdELi16ELi32ELi8ELb1ELb0ELc67ELc76EKPKS1_KPS1_EviT_T0_PT8_S7_lSA_S7_lS8_PT9_S7_li ; -- Begin function _ZL34rocblas_syrkx_herkx_general_kernelIi19rocblas_complex_numIdELi16ELi32ELi8ELb1ELb0ELc67ELc76EKPKS1_KPS1_EviT_T0_PT8_S7_lSA_S7_lS8_PT9_S7_li
	.p2align	8
	.type	_ZL34rocblas_syrkx_herkx_general_kernelIi19rocblas_complex_numIdELi16ELi32ELi8ELb1ELb0ELc67ELc76EKPKS1_KPS1_EviT_T0_PT8_S7_lSA_S7_lS8_PT9_S7_li,@function
_ZL34rocblas_syrkx_herkx_general_kernelIi19rocblas_complex_numIdELi16ELi32ELi8ELb1ELb0ELc67ELc76EKPKS1_KPS1_EviT_T0_PT8_S7_lSA_S7_lS8_PT9_S7_li: ; @_ZL34rocblas_syrkx_herkx_general_kernelIi19rocblas_complex_numIdELi16ELi32ELi8ELb1ELb0ELc67ELc76EKPKS1_KPS1_EviT_T0_PT8_S7_lSA_S7_lS8_PT9_S7_li
; %bb.0:
	s_clause 0x2
	s_load_b64 s[4:5], s[0:1], 0x58
	s_load_b64 s[18:19], s[0:1], 0x18
	;; [unrolled: 1-line block ×3, first 2 shown]
	s_mov_b32 s16, s15
	s_mov_b32 s17, 0
	v_mov_b32_e32 v23, 0
	s_lshl_b64 s[2:3], s[16:17], 3
	v_dual_mov_b32 v24, 0 :: v_dual_and_b32 v27, 0x3ff, v0
	v_bfe_u32 v28, v0, 10, 10
	s_delay_alu instid0(VALU_DEP_3) | instskip(NEXT) | instid1(VALU_DEP_3)
	v_mov_b32_e32 v19, v23
	v_dual_mov_b32 v21, v23 :: v_dual_mov_b32 v22, v24
	v_dual_mov_b32 v26, v24 :: v_dual_mov_b32 v25, v23
	;; [unrolled: 1-line block ×4, first 2 shown]
	v_mov_b32_e32 v18, v24
	s_waitcnt lgkmcnt(0)
	s_add_u32 s8, s4, s2
	s_addc_u32 s9, s5, s3
	s_load_b128 s[4:7], s[0:1], 0x8
	s_load_b64 s[8:9], s[8:9], 0x0
	v_dual_mov_b32 v11, v23 :: v_dual_mov_b32 v12, v24
	v_dual_mov_b32 v13, v23 :: v_dual_mov_b32 v14, v24
	s_lshl_b32 s12, s13, 5
	s_lshl_b32 s13, s14, 5
	s_cmp_lt_i32 s11, 1
	s_cbranch_scc1 .LBB756_9
; %bb.1:
	s_clause 0x1
	s_load_b64 s[14:15], s[0:1], 0x30
	s_load_b32 s16, s[0:1], 0x20
	v_lshl_add_u32 v0, v28, 4, v27
	s_load_b32 s20, s[0:1], 0x38
	v_dual_mov_b32 v5, 0 :: v_dual_lshlrev_b32 v30, 4, v27
	v_dual_mov_b32 v6, 0 :: v_dual_and_b32 v29, 7, v27
	s_delay_alu instid0(VALU_DEP_3) | instskip(SKIP_2) | instid1(VALU_DEP_4)
	v_and_b32_e32 v2, 31, v0
	v_lshrrev_b32_e32 v3, 3, v0
	v_lshrrev_b32_e32 v32, 5, v0
	v_lshlrev_b32_e32 v4, 4, v29
	v_dual_mov_b32 v14, v6 :: v_dual_mov_b32 v13, v5
	v_add_nc_u32_e32 v7, s12, v2
	v_add_nc_u32_e32 v8, s13, v3
	v_mov_b32_e32 v12, v6
	v_mov_b32_e32 v18, v6
	v_dual_mov_b32 v16, v6 :: v_dual_mov_b32 v11, v5
	s_waitcnt lgkmcnt(0)
	s_add_u32 s14, s14, s2
	s_addc_u32 s15, s15, s3
	s_add_u32 s2, s18, s2
	s_addc_u32 s3, s19, s3
	v_mad_i64_i32 v[0:1], null, s16, v7, 0
	s_load_b64 s[18:19], s[2:3], 0x0
	v_or_b32_e32 v7, s12, v2
	v_dual_mov_b32 v17, v5 :: v_dual_lshlrev_b32 v2, 4, v2
	v_lshl_or_b32 v9, v3, 7, v4
	s_load_b64 s[14:15], s[14:15], 0x0
	s_delay_alu instid0(VALU_DEP_4) | instskip(NEXT) | instid1(VALU_DEP_3)
	v_lshlrev_b64 v[0:1], 4, v[0:1]
	v_lshl_or_b32 v33, v32, 9, v2
	v_mov_b32_e32 v15, v5
	v_mad_i64_i32 v[2:3], null, s20, v8, 0
	v_lshlrev_b32_e32 v10, 4, v32
	v_dual_mov_b32 v22, v6 :: v_dual_mov_b32 v21, v5
	v_cmp_gt_i32_e32 vcc_lo, s10, v7
	v_cmp_gt_i32_e64 s2, s10, v8
	s_delay_alu instid0(VALU_DEP_4) | instskip(NEXT) | instid1(VALU_DEP_1)
	v_add_co_u32 v7, s3, v0, v10
	v_add_co_ci_u32_e64 v8, s3, 0, v1, s3
	v_lshlrev_b64 v[0:1], 4, v[2:3]
	s_waitcnt lgkmcnt(0)
	s_delay_alu instid0(VALU_DEP_3) | instskip(NEXT) | instid1(VALU_DEP_1)
	v_add_co_u32 v2, s3, v7, s18
	v_add_co_ci_u32_e64 v3, s3, s19, v8, s3
	v_add_nc_u32_e32 v34, 0x1000, v9
	s_delay_alu instid0(VALU_DEP_4) | instskip(NEXT) | instid1(VALU_DEP_1)
	v_add_co_u32 v0, s3, v0, v4
	v_add_co_ci_u32_e64 v1, s3, 0, v1, s3
	v_add_co_u32 v7, s3, v2, 8
	s_delay_alu instid0(VALU_DEP_1) | instskip(NEXT) | instid1(VALU_DEP_4)
	v_add_co_ci_u32_e64 v8, s3, 0, v3, s3
	v_add_co_u32 v9, s3, s14, v0
	v_dual_mov_b32 v20, v6 :: v_dual_mov_b32 v19, v5
	v_mov_b32_e32 v26, v6
	v_mov_b32_e32 v24, v6
	v_lshl_add_u32 v31, v28, 7, 0x1000
	v_add_co_ci_u32_e64 v10, s3, s15, v1, s3
	v_dual_mov_b32 v0, 0 :: v_dual_mov_b32 v25, v5
	v_mov_b32_e32 v23, v5
	s_xor_b32 s3, s2, -1
	s_branch .LBB756_3
.LBB756_2:                              ;   in Loop: Header=BB756_3 Depth=1
	s_or_b32 exec_lo, exec_lo, s2
	s_waitcnt lgkmcnt(0)
	s_barrier
	buffer_gl0_inv
	ds_load_b128 v[1:4], v31
	ds_load_b128 v[35:38], v30
	ds_load_b128 v[39:42], v30 offset:256
	ds_load_b128 v[43:46], v31 offset:2048
	;; [unrolled: 1-line block ×9, first 2 shown]
	v_add_co_u32 v7, s2, 0x80, v7
	s_delay_alu instid0(VALU_DEP_1) | instskip(SKIP_1) | instid1(VALU_DEP_1)
	v_add_co_ci_u32_e64 v8, s2, 0, v8, s2
	v_add_co_u32 v9, s2, 0x80, v9
	v_add_co_ci_u32_e64 v10, s2, 0, v10, s2
	s_add_i32 s17, s17, 8
	s_delay_alu instid0(SALU_CYCLE_1)
	s_cmp_ge_i32 s17, s11
	s_waitcnt lgkmcnt(9)
	v_mul_f64 v[75:76], v[3:4], v[37:38]
	v_mul_f64 v[77:78], v[1:2], v[37:38]
	s_waitcnt lgkmcnt(8)
	v_mul_f64 v[79:80], v[3:4], v[41:42]
	v_mul_f64 v[81:82], v[1:2], v[41:42]
	;; [unrolled: 3-line block ×3, first 2 shown]
	v_mul_f64 v[85:86], v[45:46], v[41:42]
	v_mul_f64 v[41:42], v[43:44], v[41:42]
	s_waitcnt lgkmcnt(4)
	v_mul_f64 v[87:88], v[49:50], v[57:58]
	v_mul_f64 v[89:90], v[47:48], v[57:58]
	s_waitcnt lgkmcnt(3)
	v_mul_f64 v[91:92], v[49:50], v[61:62]
	v_mul_f64 v[93:94], v[47:48], v[61:62]
	;; [unrolled: 1-line block ×6, first 2 shown]
	s_waitcnt lgkmcnt(0)
	v_mul_f64 v[115:116], v[73:74], v[65:66]
	v_mul_f64 v[117:118], v[73:74], v[69:70]
	v_fma_f64 v[99:100], v[1:2], v[35:36], -v[75:76]
	v_fma_f64 v[101:102], v[3:4], v[35:36], v[77:78]
	v_fma_f64 v[79:80], v[1:2], v[39:40], -v[79:80]
	v_fma_f64 v[81:82], v[3:4], v[39:40], v[81:82]
	;; [unrolled: 2-line block ×4, first 2 shown]
	ds_load_b128 v[75:78], v31 offset:32
	v_fma_f64 v[87:88], v[47:48], v[55:56], -v[87:88]
	v_fma_f64 v[89:90], v[49:50], v[55:56], v[89:90]
	v_fma_f64 v[47:48], v[47:48], v[59:60], -v[91:92]
	v_fma_f64 v[49:50], v[49:50], v[59:60], v[93:94]
	;; [unrolled: 2-line block ×4, first 2 shown]
	ds_load_b128 v[1:4], v31 offset:48
	ds_load_b128 v[35:38], v31 offset:2096
	;; [unrolled: 1-line block ×4, first 2 shown]
	s_waitcnt lgkmcnt(4)
	v_mul_f64 v[107:108], v[77:78], v[65:66]
	v_mul_f64 v[109:110], v[75:76], v[65:66]
	v_mul_f64 v[111:112], v[77:78], v[69:70]
	v_mul_f64 v[113:114], v[75:76], v[69:70]
	v_mul_f64 v[65:66], v[71:72], v[65:66]
	v_mul_f64 v[69:70], v[71:72], v[69:70]
	s_waitcnt lgkmcnt(1)
	v_mul_f64 v[93:94], v[1:2], v[41:42]
	s_waitcnt lgkmcnt(0)
	v_mul_f64 v[95:96], v[3:4], v[45:46]
	v_add_f64 v[23:24], v[23:24], v[99:100]
	v_add_f64 v[25:26], v[25:26], v[101:102]
	;; [unrolled: 1-line block ×8, first 2 shown]
	v_mul_f64 v[85:86], v[3:4], v[41:42]
	v_mul_f64 v[97:98], v[1:2], v[45:46]
	v_mul_f64 v[99:100], v[37:38], v[41:42]
	v_mul_f64 v[41:42], v[35:36], v[41:42]
	v_mul_f64 v[101:102], v[37:38], v[45:46]
	v_mul_f64 v[103:104], v[35:36], v[45:46]
	ds_load_b128 v[11:14], v30 offset:2048
	ds_load_b128 v[15:18], v30 offset:2304
	;; [unrolled: 1-line block ×3, first 2 shown]
	v_fma_f64 v[105:106], v[75:76], v[63:64], -v[107:108]
	v_fma_f64 v[107:108], v[77:78], v[63:64], v[109:110]
	v_fma_f64 v[75:76], v[75:76], v[67:68], -v[111:112]
	v_fma_f64 v[77:78], v[77:78], v[67:68], v[113:114]
	;; [unrolled: 2-line block ×4, first 2 shown]
	s_waitcnt lgkmcnt(0)
	v_mul_f64 v[115:116], v[21:22], v[13:14]
	v_mul_f64 v[117:118], v[21:22], v[17:18]
	v_add_f64 v[69:70], v[23:24], v[87:88]
	v_add_f64 v[71:72], v[25:26], v[89:90]
	;; [unrolled: 1-line block ×8, first 2 shown]
	ds_load_b128 v[23:26], v31 offset:64
	v_fma_f64 v[85:86], v[1:2], v[39:40], -v[85:86]
	v_fma_f64 v[93:94], v[3:4], v[39:40], v[93:94]
	v_fma_f64 v[95:96], v[1:2], v[43:44], -v[95:96]
	v_fma_f64 v[97:98], v[3:4], v[43:44], v[97:98]
	;; [unrolled: 2-line block ×4, first 2 shown]
	ds_load_b128 v[45:48], v31 offset:80
	ds_load_b128 v[49:52], v31 offset:2128
	;; [unrolled: 1-line block ×7, first 2 shown]
	s_waitcnt lgkmcnt(7)
	v_mul_f64 v[89:90], v[25:26], v[13:14]
	v_mul_f64 v[91:92], v[23:24], v[13:14]
	;; [unrolled: 1-line block ×6, first 2 shown]
	s_waitcnt lgkmcnt(3)
	v_mul_f64 v[103:104], v[51:52], v[59:60]
	v_add_f64 v[69:70], v[69:70], v[105:106]
	v_add_f64 v[71:72], v[71:72], v[107:108]
	;; [unrolled: 1-line block ×8, first 2 shown]
	v_mul_f64 v[77:78], v[47:48], v[55:56]
	v_mul_f64 v[79:80], v[45:46], v[55:56]
	;; [unrolled: 1-line block ×7, first 2 shown]
	v_fma_f64 v[89:90], v[23:24], v[11:12], -v[89:90]
	v_fma_f64 v[91:92], v[25:26], v[11:12], v[91:92]
	v_fma_f64 v[107:108], v[23:24], v[15:16], -v[111:112]
	v_fma_f64 v[109:110], v[25:26], v[15:16], v[113:114]
	v_fma_f64 v[111:112], v[19:20], v[11:12], -v[115:116]
	v_fma_f64 v[113:114], v[21:22], v[11:12], v[13:14]
	v_fma_f64 v[115:116], v[19:20], v[15:16], -v[117:118]
	v_fma_f64 v[117:118], v[21:22], v[15:16], v[17:18]
	ds_load_b128 v[11:14], v31 offset:96
	v_add_f64 v[69:70], v[69:70], v[85:86]
	v_add_f64 v[71:72], v[71:72], v[93:94]
	;; [unrolled: 1-line block ×8, first 2 shown]
	s_waitcnt lgkmcnt(1)
	v_mul_f64 v[99:100], v[41:42], v[3:4]
	v_mul_f64 v[101:102], v[41:42], v[37:38]
	v_fma_f64 v[77:78], v[45:46], v[53:54], -v[77:78]
	v_fma_f64 v[79:80], v[47:48], v[53:54], v[79:80]
	v_fma_f64 v[45:46], v[45:46], v[57:58], -v[81:82]
	v_fma_f64 v[47:48], v[47:48], v[57:58], v[83:84]
	;; [unrolled: 2-line block ×4, first 2 shown]
	s_waitcnt lgkmcnt(0)
	v_mul_f64 v[67:68], v[13:14], v[3:4]
	v_mul_f64 v[93:94], v[11:12], v[3:4]
	;; [unrolled: 1-line block ×6, first 2 shown]
	ds_load_b128 v[15:18], v31 offset:112
	ds_load_b128 v[19:22], v31 offset:2160
	;; [unrolled: 1-line block ×4, first 2 shown]
	s_waitcnt lgkmcnt(0)
	s_barrier
	buffer_gl0_inv
	v_add_f64 v[55:56], v[69:70], v[89:90]
	v_add_f64 v[57:58], v[71:72], v[91:92]
	;; [unrolled: 1-line block ×8, first 2 shown]
	v_mul_f64 v[75:76], v[17:18], v[25:26]
	v_mul_f64 v[83:84], v[15:16], v[25:26]
	;; [unrolled: 1-line block ×8, first 2 shown]
	v_fma_f64 v[67:68], v[11:12], v[1:2], -v[67:68]
	v_fma_f64 v[93:94], v[13:14], v[1:2], v[93:94]
	v_fma_f64 v[11:12], v[11:12], v[35:36], -v[95:96]
	v_fma_f64 v[13:14], v[13:14], v[35:36], v[97:98]
	;; [unrolled: 2-line block ×4, first 2 shown]
	v_add_f64 v[37:38], v[55:56], v[77:78]
	v_add_f64 v[39:40], v[57:58], v[79:80]
	;; [unrolled: 1-line block ×8, first 2 shown]
	v_fma_f64 v[51:52], v[15:16], v[23:24], -v[75:76]
	v_fma_f64 v[55:56], v[17:18], v[23:24], v[83:84]
	v_fma_f64 v[15:16], v[15:16], v[59:60], -v[85:86]
	v_fma_f64 v[17:18], v[17:18], v[59:60], v[87:88]
	;; [unrolled: 2-line block ×4, first 2 shown]
	v_add_f64 v[19:20], v[37:38], v[67:68]
	v_add_f64 v[21:22], v[39:40], v[93:94]
	;; [unrolled: 1-line block ×16, first 2 shown]
	s_cbranch_scc1 .LBB756_9
.LBB756_3:                              ; =>This Inner Loop Header: Depth=1
	v_add_nc_u32_e32 v1, s17, v32
	v_dual_mov_b32 v3, v5 :: v_dual_mov_b32 v4, v6
	s_delay_alu instid0(VALU_DEP_2) | instskip(SKIP_1) | instid1(VALU_DEP_2)
	v_cmp_gt_i32_e64 s2, s11, v1
	v_dual_mov_b32 v1, v5 :: v_dual_mov_b32 v2, v6
	s_and_b32 s14, vcc_lo, s2
	s_delay_alu instid0(SALU_CYCLE_1)
	s_and_saveexec_b32 s2, s14
	s_cbranch_execz .LBB756_5
; %bb.4:                                ;   in Loop: Header=BB756_3 Depth=1
	global_load_b128 v[1:4], v[7:8], off offset:-8
.LBB756_5:                              ;   in Loop: Header=BB756_3 Depth=1
	s_or_b32 exec_lo, exec_lo, s2
	v_add_nc_u32_e32 v35, s17, v29
	s_waitcnt vmcnt(0)
	ds_store_b128 v33, v[1:4]
	v_cmp_le_i32_e64 s2, s11, v35
	s_delay_alu instid0(VALU_DEP_1) | instskip(NEXT) | instid1(SALU_CYCLE_1)
	s_or_b32 s2, s2, s3
	s_and_saveexec_b32 s14, s2
	s_delay_alu instid0(SALU_CYCLE_1)
	s_xor_b32 s2, exec_lo, s14
	s_cbranch_execz .LBB756_7
; %bb.6:                                ;   in Loop: Header=BB756_3 Depth=1
	v_mov_b32_e32 v1, v0
	v_mov_b32_e32 v2, v0
	;; [unrolled: 1-line block ×3, first 2 shown]
	ds_store_b128 v34, v[0:3]
.LBB756_7:                              ;   in Loop: Header=BB756_3 Depth=1
	s_and_not1_saveexec_b32 s2, s2
	s_cbranch_execz .LBB756_2
; %bb.8:                                ;   in Loop: Header=BB756_3 Depth=1
	global_load_b128 v[1:4], v[9:10], off
	s_waitcnt vmcnt(0)
	ds_store_2addr_b64 v34, v[1:2], v[3:4] offset1:1
	s_branch .LBB756_2
.LBB756_9:
	s_load_b32 s2, s[0:1], 0x60
	v_add_nc_u32_e32 v4, s13, v28
	v_add_nc_u32_e32 v0, s12, v27
	s_delay_alu instid0(VALU_DEP_1) | instskip(SKIP_1) | instid1(VALU_DEP_2)
	v_cmp_le_i32_e64 s0, v4, v0
	v_cmp_gt_i32_e32 vcc_lo, s10, v0
	s_and_b32 s0, s0, vcc_lo
	s_waitcnt lgkmcnt(0)
	v_mad_i64_i32 v[1:2], null, v4, s2, 0
	s_delay_alu instid0(VALU_DEP_1) | instskip(NEXT) | instid1(VALU_DEP_1)
	v_lshlrev_b64 v[1:2], 4, v[1:2]
	v_add_co_u32 v5, s1, s8, v1
	s_delay_alu instid0(VALU_DEP_1)
	v_add_co_ci_u32_e64 v6, s1, s9, v2, s1
	s_and_saveexec_b32 s1, s0
	s_cbranch_execz .LBB756_11
; %bb.10:
	v_mul_f64 v[1:2], s[6:7], v[25:26]
	v_mul_f64 v[9:10], s[4:5], v[25:26]
	s_delay_alu instid0(VALU_DEP_2) | instskip(NEXT) | instid1(VALU_DEP_2)
	v_fma_f64 v[7:8], s[4:5], v[23:24], -v[1:2]
	v_fma_f64 v[9:10], s[6:7], v[23:24], v[9:10]
	v_ashrrev_i32_e32 v1, 31, v0
	s_delay_alu instid0(VALU_DEP_1) | instskip(NEXT) | instid1(VALU_DEP_1)
	v_lshlrev_b64 v[1:2], 4, v[0:1]
	v_add_co_u32 v1, s0, v5, v1
	s_delay_alu instid0(VALU_DEP_1)
	v_add_co_ci_u32_e64 v2, s0, v6, v2, s0
	global_store_b128 v[1:2], v[7:10], off
.LBB756_11:
	s_or_b32 exec_lo, exec_lo, s1
	v_add_nc_u32_e32 v2, 16, v0
	s_delay_alu instid0(VALU_DEP_1) | instskip(SKIP_1) | instid1(VALU_DEP_1)
	v_cmp_le_i32_e64 s1, v4, v2
	v_cmp_gt_i32_e64 s0, s10, v2
	s_and_b32 s1, s1, s0
	s_delay_alu instid0(SALU_CYCLE_1)
	s_and_saveexec_b32 s3, s1
	s_cbranch_execz .LBB756_13
; %bb.12:
	v_mul_f64 v[7:8], s[6:7], v[21:22]
	v_mul_f64 v[9:10], s[4:5], v[21:22]
	v_ashrrev_i32_e32 v3, 31, v2
	s_delay_alu instid0(VALU_DEP_3) | instskip(NEXT) | instid1(VALU_DEP_3)
	v_fma_f64 v[7:8], s[4:5], v[19:20], -v[7:8]
	v_fma_f64 v[9:10], s[6:7], v[19:20], v[9:10]
	s_delay_alu instid0(VALU_DEP_3) | instskip(NEXT) | instid1(VALU_DEP_1)
	v_lshlrev_b64 v[19:20], 4, v[2:3]
	v_add_co_u32 v5, s1, v5, v19
	s_delay_alu instid0(VALU_DEP_1)
	v_add_co_ci_u32_e64 v6, s1, v6, v20, s1
	global_store_b128 v[5:6], v[7:10], off
.LBB756_13:
	s_or_b32 exec_lo, exec_lo, s3
	v_add_nc_u32_e32 v3, 16, v4
	s_delay_alu instid0(VALU_DEP_1) | instskip(SKIP_1) | instid1(VALU_DEP_2)
	v_mad_i64_i32 v[4:5], null, v3, s2, 0
	v_cmp_le_i32_e64 s1, v3, v0
	v_lshlrev_b64 v[4:5], 4, v[4:5]
	s_delay_alu instid0(VALU_DEP_1) | instskip(NEXT) | instid1(VALU_DEP_1)
	v_add_co_u32 v4, s2, s8, v4
	v_add_co_ci_u32_e64 v5, s2, s9, v5, s2
	s_delay_alu instid0(VALU_DEP_4) | instskip(NEXT) | instid1(SALU_CYCLE_1)
	s_and_b32 s2, s1, vcc_lo
	s_and_saveexec_b32 s1, s2
	s_cbranch_execz .LBB756_15
; %bb.14:
	v_mul_f64 v[6:7], s[6:7], v[17:18]
	v_mul_f64 v[8:9], s[4:5], v[17:18]
	v_ashrrev_i32_e32 v1, 31, v0
	s_delay_alu instid0(VALU_DEP_1) | instskip(NEXT) | instid1(VALU_DEP_1)
	v_lshlrev_b64 v[0:1], 4, v[0:1]
	v_add_co_u32 v0, vcc_lo, v4, v0
	s_delay_alu instid0(VALU_DEP_2)
	v_add_co_ci_u32_e32 v1, vcc_lo, v5, v1, vcc_lo
	v_fma_f64 v[6:7], s[4:5], v[15:16], -v[6:7]
	v_fma_f64 v[8:9], s[6:7], v[15:16], v[8:9]
	global_store_b128 v[0:1], v[6:9], off
.LBB756_15:
	s_or_b32 exec_lo, exec_lo, s1
	v_cmp_le_i32_e32 vcc_lo, v3, v2
	s_and_b32 s0, vcc_lo, s0
	s_delay_alu instid0(SALU_CYCLE_1)
	s_and_saveexec_b32 s1, s0
	s_cbranch_execz .LBB756_17
; %bb.16:
	v_mul_f64 v[0:1], s[6:7], v[13:14]
	v_mul_f64 v[8:9], s[4:5], v[13:14]
	v_ashrrev_i32_e32 v3, 31, v2
	s_delay_alu instid0(VALU_DEP_3) | instskip(NEXT) | instid1(VALU_DEP_3)
	v_fma_f64 v[6:7], s[4:5], v[11:12], -v[0:1]
	v_fma_f64 v[8:9], s[6:7], v[11:12], v[8:9]
	s_delay_alu instid0(VALU_DEP_3) | instskip(NEXT) | instid1(VALU_DEP_1)
	v_lshlrev_b64 v[0:1], 4, v[2:3]
	v_add_co_u32 v0, vcc_lo, v4, v0
	s_delay_alu instid0(VALU_DEP_2)
	v_add_co_ci_u32_e32 v1, vcc_lo, v5, v1, vcc_lo
	global_store_b128 v[0:1], v[6:9], off
.LBB756_17:
	s_nop 0
	s_sendmsg sendmsg(MSG_DEALLOC_VGPRS)
	s_endpgm
	.section	.rodata,"a",@progbits
	.p2align	6, 0x0
	.amdhsa_kernel _ZL34rocblas_syrkx_herkx_general_kernelIi19rocblas_complex_numIdELi16ELi32ELi8ELb1ELb0ELc67ELc76EKPKS1_KPS1_EviT_T0_PT8_S7_lSA_S7_lS8_PT9_S7_li
		.amdhsa_group_segment_fixed_size 8192
		.amdhsa_private_segment_fixed_size 0
		.amdhsa_kernarg_size 116
		.amdhsa_user_sgpr_count 13
		.amdhsa_user_sgpr_dispatch_ptr 0
		.amdhsa_user_sgpr_queue_ptr 0
		.amdhsa_user_sgpr_kernarg_segment_ptr 1
		.amdhsa_user_sgpr_dispatch_id 0
		.amdhsa_user_sgpr_private_segment_size 0
		.amdhsa_wavefront_size32 1
		.amdhsa_uses_dynamic_stack 0
		.amdhsa_enable_private_segment 0
		.amdhsa_system_sgpr_workgroup_id_x 1
		.amdhsa_system_sgpr_workgroup_id_y 1
		.amdhsa_system_sgpr_workgroup_id_z 1
		.amdhsa_system_sgpr_workgroup_info 0
		.amdhsa_system_vgpr_workitem_id 1
		.amdhsa_next_free_vgpr 121
		.amdhsa_next_free_sgpr 21
		.amdhsa_reserve_vcc 1
		.amdhsa_float_round_mode_32 0
		.amdhsa_float_round_mode_16_64 0
		.amdhsa_float_denorm_mode_32 3
		.amdhsa_float_denorm_mode_16_64 3
		.amdhsa_dx10_clamp 1
		.amdhsa_ieee_mode 1
		.amdhsa_fp16_overflow 0
		.amdhsa_workgroup_processor_mode 1
		.amdhsa_memory_ordered 1
		.amdhsa_forward_progress 0
		.amdhsa_shared_vgpr_count 0
		.amdhsa_exception_fp_ieee_invalid_op 0
		.amdhsa_exception_fp_denorm_src 0
		.amdhsa_exception_fp_ieee_div_zero 0
		.amdhsa_exception_fp_ieee_overflow 0
		.amdhsa_exception_fp_ieee_underflow 0
		.amdhsa_exception_fp_ieee_inexact 0
		.amdhsa_exception_int_div_zero 0
	.end_amdhsa_kernel
	.section	.text._ZL34rocblas_syrkx_herkx_general_kernelIi19rocblas_complex_numIdELi16ELi32ELi8ELb1ELb0ELc67ELc76EKPKS1_KPS1_EviT_T0_PT8_S7_lSA_S7_lS8_PT9_S7_li,"axG",@progbits,_ZL34rocblas_syrkx_herkx_general_kernelIi19rocblas_complex_numIdELi16ELi32ELi8ELb1ELb0ELc67ELc76EKPKS1_KPS1_EviT_T0_PT8_S7_lSA_S7_lS8_PT9_S7_li,comdat
.Lfunc_end756:
	.size	_ZL34rocblas_syrkx_herkx_general_kernelIi19rocblas_complex_numIdELi16ELi32ELi8ELb1ELb0ELc67ELc76EKPKS1_KPS1_EviT_T0_PT8_S7_lSA_S7_lS8_PT9_S7_li, .Lfunc_end756-_ZL34rocblas_syrkx_herkx_general_kernelIi19rocblas_complex_numIdELi16ELi32ELi8ELb1ELb0ELc67ELc76EKPKS1_KPS1_EviT_T0_PT8_S7_lSA_S7_lS8_PT9_S7_li
                                        ; -- End function
	.section	.AMDGPU.csdata,"",@progbits
; Kernel info:
; codeLenInByte = 3208
; NumSgprs: 23
; NumVgprs: 121
; ScratchSize: 0
; MemoryBound: 1
; FloatMode: 240
; IeeeMode: 1
; LDSByteSize: 8192 bytes/workgroup (compile time only)
; SGPRBlocks: 2
; VGPRBlocks: 15
; NumSGPRsForWavesPerEU: 23
; NumVGPRsForWavesPerEU: 121
; Occupancy: 10
; WaveLimiterHint : 1
; COMPUTE_PGM_RSRC2:SCRATCH_EN: 0
; COMPUTE_PGM_RSRC2:USER_SGPR: 13
; COMPUTE_PGM_RSRC2:TRAP_HANDLER: 0
; COMPUTE_PGM_RSRC2:TGID_X_EN: 1
; COMPUTE_PGM_RSRC2:TGID_Y_EN: 1
; COMPUTE_PGM_RSRC2:TGID_Z_EN: 1
; COMPUTE_PGM_RSRC2:TIDIG_COMP_CNT: 1
	.section	.text._ZL34rocblas_syrkx_herkx_general_kernelIi19rocblas_complex_numIdELi16ELi32ELi8ELb1ELb0ELc78ELc76EKPKS1_KPS1_EviT_T0_PT8_S7_lSA_S7_lS8_PT9_S7_li,"axG",@progbits,_ZL34rocblas_syrkx_herkx_general_kernelIi19rocblas_complex_numIdELi16ELi32ELi8ELb1ELb0ELc78ELc76EKPKS1_KPS1_EviT_T0_PT8_S7_lSA_S7_lS8_PT9_S7_li,comdat
	.globl	_ZL34rocblas_syrkx_herkx_general_kernelIi19rocblas_complex_numIdELi16ELi32ELi8ELb1ELb0ELc78ELc76EKPKS1_KPS1_EviT_T0_PT8_S7_lSA_S7_lS8_PT9_S7_li ; -- Begin function _ZL34rocblas_syrkx_herkx_general_kernelIi19rocblas_complex_numIdELi16ELi32ELi8ELb1ELb0ELc78ELc76EKPKS1_KPS1_EviT_T0_PT8_S7_lSA_S7_lS8_PT9_S7_li
	.p2align	8
	.type	_ZL34rocblas_syrkx_herkx_general_kernelIi19rocblas_complex_numIdELi16ELi32ELi8ELb1ELb0ELc78ELc76EKPKS1_KPS1_EviT_T0_PT8_S7_lSA_S7_lS8_PT9_S7_li,@function
_ZL34rocblas_syrkx_herkx_general_kernelIi19rocblas_complex_numIdELi16ELi32ELi8ELb1ELb0ELc78ELc76EKPKS1_KPS1_EviT_T0_PT8_S7_lSA_S7_lS8_PT9_S7_li: ; @_ZL34rocblas_syrkx_herkx_general_kernelIi19rocblas_complex_numIdELi16ELi32ELi8ELb1ELb0ELc78ELc76EKPKS1_KPS1_EviT_T0_PT8_S7_lSA_S7_lS8_PT9_S7_li
; %bb.0:
	s_clause 0x2
	s_load_b64 s[2:3], s[0:1], 0x58
	s_load_b64 s[20:21], s[0:1], 0x18
	;; [unrolled: 1-line block ×3, first 2 shown]
	s_mov_b32 s16, s15
	s_mov_b32 s17, 0
	v_mov_b32_e32 v21, 0
	s_lshl_b64 s[18:19], s[16:17], 3
	v_dual_mov_b32 v22, 0 :: v_dual_and_b32 v25, 0x3ff, v0
	v_bfe_u32 v26, v0, 10, 10
	s_delay_alu instid0(VALU_DEP_3) | instskip(NEXT) | instid1(VALU_DEP_3)
	v_mov_b32_e32 v17, v21
	v_dual_mov_b32 v19, v21 :: v_dual_mov_b32 v20, v22
	v_dual_mov_b32 v24, v22 :: v_dual_mov_b32 v23, v21
	;; [unrolled: 1-line block ×4, first 2 shown]
	v_mov_b32_e32 v16, v22
	s_waitcnt lgkmcnt(0)
	s_add_u32 s2, s2, s18
	s_addc_u32 s3, s3, s19
	s_load_b128 s[4:7], s[0:1], 0x8
	s_load_b64 s[8:9], s[2:3], 0x0
	v_dual_mov_b32 v11, v21 :: v_dual_mov_b32 v12, v22
	v_dual_mov_b32 v9, v21 :: v_dual_mov_b32 v10, v22
	s_lshl_b32 s16, s13, 5
	s_lshl_b32 s22, s14, 5
	s_cmp_lt_i32 s11, 1
	s_cbranch_scc1 .LBB757_9
; %bb.1:
	s_clause 0x2
	s_load_b32 s12, s[0:1], 0x20
	s_load_b32 s14, s[0:1], 0x38
	s_load_b64 s[24:25], s[0:1], 0x30
	v_lshl_add_u32 v0, v26, 4, v25
	v_and_b32_e32 v27, 7, v25
	v_lshl_add_u32 v32, v26, 7, 0x1000
	v_mov_b32_e32 v9, 0
	s_delay_alu instid0(VALU_DEP_4) | instskip(SKIP_3) | instid1(VALU_DEP_4)
	v_dual_mov_b32 v10, 0 :: v_dual_and_b32 v1, 31, v0
	v_lshrrev_b32_e32 v28, 5, v0
	v_lshrrev_b32_e32 v3, 3, v0
	v_lshlrev_b32_e32 v4, 4, v27
	v_dual_mov_b32 v12, v10 :: v_dual_lshlrev_b32 v31, 4, v25
	v_lshlrev_b32_e32 v6, 4, v1
	v_or_b32_e32 v5, s16, v1
	v_add_nc_u32_e32 v0, s16, v1
	v_dual_mov_b32 v11, v9 :: v_dual_add_nc_u32 v2, s22, v3
	v_lshl_or_b32 v3, v3, 7, v4
	s_waitcnt lgkmcnt(0)
	s_ashr_i32 s13, s12, 31
	s_ashr_i32 s15, s14, 31
	s_add_u32 s24, s24, s18
	s_addc_u32 s25, s25, s19
	s_add_u32 s18, s20, s18
	s_addc_u32 s19, s21, s19
	v_cmp_gt_i32_e64 s2, s10, v5
	v_mad_i64_i32 v[4:5], null, v28, s12, 0
	s_load_b64 s[20:21], s[24:25], 0x0
	s_load_b64 s[18:19], s[18:19], 0x0
	v_mov_b32_e32 v16, v10
	v_lshl_or_b32 v29, v28, 9, v6
	v_mad_i64_i32 v[6:7], null, s14, v27, 0
	v_mov_b32_e32 v15, v9
	v_ashrrev_i32_e32 v1, 31, v0
	v_mov_b32_e32 v14, v10
	v_dual_mov_b32 v13, v9 :: v_dual_add_nc_u32 v30, 0x1000, v3
	v_ashrrev_i32_e32 v3, 31, v2
	v_lshlrev_b64 v[4:5], 4, v[4:5]
	v_lshlrev_b64 v[0:1], 4, v[0:1]
	v_cmp_gt_i32_e32 vcc_lo, s10, v2
	v_lshlrev_b64 v[6:7], 4, v[6:7]
	v_lshlrev_b64 v[2:3], 4, v[2:3]
	v_mov_b32_e32 v20, v10
	v_mov_b32_e32 v18, v10
	v_add_co_u32 v0, s3, v4, v0
	s_delay_alu instid0(VALU_DEP_1) | instskip(SKIP_1) | instid1(VALU_DEP_1)
	v_add_co_ci_u32_e64 v1, s3, v5, v1, s3
	v_add_co_u32 v2, s3, v6, v2
	v_add_co_ci_u32_e64 v3, s3, v7, v3, s3
	s_waitcnt lgkmcnt(0)
	v_add_co_u32 v5, s3, s18, v0
	s_delay_alu instid0(VALU_DEP_1) | instskip(SKIP_1) | instid1(VALU_DEP_1)
	v_add_co_ci_u32_e64 v6, s3, s19, v1, s3
	v_add_co_u32 v0, s3, v2, s20
	v_add_co_ci_u32_e64 v1, s3, s21, v3, s3
	v_mov_b32_e32 v24, v10
	s_delay_alu instid0(VALU_DEP_3) | instskip(SKIP_1) | instid1(VALU_DEP_4)
	v_add_co_u32 v7, s3, v0, 8
	v_dual_mov_b32 v22, v10 :: v_dual_mov_b32 v21, v9
	v_add_co_ci_u32_e64 v8, s3, 0, v1, s3
	v_dual_mov_b32 v0, 0 :: v_dual_mov_b32 v19, v9
	v_mov_b32_e32 v17, v9
	v_mov_b32_e32 v23, v9
	s_lshl_b64 s[12:13], s[12:13], 7
	s_lshl_b64 s[14:15], s[14:15], 7
	s_xor_b32 s3, s2, -1
	s_branch .LBB757_3
.LBB757_2:                              ;   in Loop: Header=BB757_3 Depth=1
	s_or_b32 exec_lo, exec_lo, s2
	s_waitcnt vmcnt(0)
	ds_store_b128 v30, v[1:4]
	s_waitcnt lgkmcnt(0)
	s_barrier
	buffer_gl0_inv
	ds_load_b128 v[1:4], v32
	ds_load_b128 v[33:36], v31
	ds_load_b128 v[37:40], v31 offset:256
	ds_load_b128 v[41:44], v32 offset:2048
	;; [unrolled: 1-line block ×9, first 2 shown]
	v_add_co_u32 v5, s2, v5, s12
	s_delay_alu instid0(VALU_DEP_1) | instskip(SKIP_1) | instid1(VALU_DEP_1)
	v_add_co_ci_u32_e64 v6, s2, s13, v6, s2
	v_add_co_u32 v7, s2, v7, s14
	v_add_co_ci_u32_e64 v8, s2, s15, v8, s2
	s_add_i32 s17, s17, 8
	s_delay_alu instid0(SALU_CYCLE_1)
	s_cmp_ge_i32 s17, s11
	s_waitcnt lgkmcnt(9)
	v_mul_f64 v[73:74], v[3:4], v[35:36]
	v_mul_f64 v[75:76], v[1:2], v[35:36]
	s_waitcnt lgkmcnt(8)
	v_mul_f64 v[77:78], v[3:4], v[39:40]
	v_mul_f64 v[79:80], v[1:2], v[39:40]
	;; [unrolled: 3-line block ×3, first 2 shown]
	v_mul_f64 v[83:84], v[43:44], v[39:40]
	v_mul_f64 v[39:40], v[41:42], v[39:40]
	s_waitcnt lgkmcnt(4)
	v_mul_f64 v[85:86], v[47:48], v[55:56]
	v_mul_f64 v[87:88], v[45:46], v[55:56]
	s_waitcnt lgkmcnt(3)
	v_mul_f64 v[89:90], v[47:48], v[59:60]
	v_mul_f64 v[91:92], v[45:46], v[59:60]
	v_mul_f64 v[93:94], v[51:52], v[55:56]
	v_mul_f64 v[55:56], v[49:50], v[55:56]
	v_mul_f64 v[95:96], v[51:52], v[59:60]
	v_mul_f64 v[59:60], v[49:50], v[59:60]
	v_fma_f64 v[97:98], v[1:2], v[33:34], -v[73:74]
	v_fma_f64 v[99:100], v[3:4], v[33:34], v[75:76]
	ds_load_b128 v[73:76], v32 offset:32
	v_fma_f64 v[77:78], v[1:2], v[37:38], -v[77:78]
	v_fma_f64 v[79:80], v[3:4], v[37:38], v[79:80]
	v_fma_f64 v[81:82], v[41:42], v[33:34], -v[81:82]
	v_fma_f64 v[101:102], v[43:44], v[33:34], v[35:36]
	;; [unrolled: 2-line block ×3, first 2 shown]
	s_waitcnt lgkmcnt(1)
	v_mul_f64 v[113:114], v[71:72], v[63:64]
	v_fma_f64 v[85:86], v[45:46], v[53:54], -v[85:86]
	v_fma_f64 v[87:88], v[47:48], v[53:54], v[87:88]
	v_fma_f64 v[45:46], v[45:46], v[57:58], -v[89:90]
	v_fma_f64 v[47:48], v[47:48], v[57:58], v[91:92]
	v_mul_f64 v[89:90], v[71:72], v[67:68]
	v_fma_f64 v[91:92], v[49:50], v[53:54], -v[93:94]
	v_fma_f64 v[53:54], v[51:52], v[53:54], v[55:56]
	v_fma_f64 v[49:50], v[49:50], v[57:58], -v[95:96]
	v_fma_f64 v[51:52], v[51:52], v[57:58], v[59:60]
	ds_load_b128 v[1:4], v32 offset:48
	ds_load_b128 v[33:36], v32 offset:2096
	;; [unrolled: 1-line block ×4, first 2 shown]
	s_waitcnt lgkmcnt(4)
	v_mul_f64 v[105:106], v[75:76], v[63:64]
	v_mul_f64 v[107:108], v[73:74], v[63:64]
	;; [unrolled: 1-line block ×6, first 2 shown]
	s_waitcnt lgkmcnt(1)
	v_mul_f64 v[93:94], v[1:2], v[39:40]
	v_add_f64 v[21:22], v[21:22], v[97:98]
	v_add_f64 v[23:24], v[23:24], v[99:100]
	;; [unrolled: 1-line block ×8, first 2 shown]
	v_mul_f64 v[83:84], v[3:4], v[39:40]
	s_waitcnt lgkmcnt(0)
	v_mul_f64 v[95:96], v[3:4], v[43:44]
	v_mul_f64 v[97:98], v[1:2], v[43:44]
	v_mul_f64 v[99:100], v[35:36], v[39:40]
	v_mul_f64 v[39:40], v[33:34], v[39:40]
	v_mul_f64 v[101:102], v[35:36], v[43:44]
	v_mul_f64 v[103:104], v[33:34], v[43:44]
	ds_load_b128 v[9:12], v31 offset:2048
	ds_load_b128 v[13:16], v31 offset:2304
	;; [unrolled: 1-line block ×3, first 2 shown]
	v_fma_f64 v[105:106], v[73:74], v[61:62], -v[105:106]
	v_fma_f64 v[107:108], v[75:76], v[61:62], v[107:108]
	v_fma_f64 v[73:74], v[73:74], v[65:66], -v[109:110]
	v_fma_f64 v[75:76], v[75:76], v[65:66], v[111:112]
	;; [unrolled: 2-line block ×4, first 2 shown]
	s_waitcnt lgkmcnt(0)
	v_mul_f64 v[113:114], v[19:20], v[11:12]
	v_mul_f64 v[115:116], v[19:20], v[15:16]
	v_fma_f64 v[93:94], v[3:4], v[37:38], v[93:94]
	v_add_f64 v[67:68], v[21:22], v[85:86]
	v_add_f64 v[69:70], v[23:24], v[87:88]
	;; [unrolled: 1-line block ×8, first 2 shown]
	ds_load_b128 v[21:24], v32 offset:64
	v_fma_f64 v[83:84], v[1:2], v[37:38], -v[83:84]
	v_fma_f64 v[95:96], v[1:2], v[41:42], -v[95:96]
	v_fma_f64 v[97:98], v[3:4], v[41:42], v[97:98]
	v_fma_f64 v[99:100], v[33:34], v[37:38], -v[99:100]
	v_fma_f64 v[117:118], v[35:36], v[37:38], v[39:40]
	;; [unrolled: 2-line block ×3, first 2 shown]
	ds_load_b128 v[43:46], v32 offset:80
	ds_load_b128 v[47:50], v32 offset:2128
	;; [unrolled: 1-line block ×7, first 2 shown]
	s_waitcnt lgkmcnt(7)
	v_mul_f64 v[87:88], v[23:24], v[11:12]
	v_mul_f64 v[89:90], v[21:22], v[11:12]
	;; [unrolled: 1-line block ×6, first 2 shown]
	s_waitcnt lgkmcnt(3)
	v_mul_f64 v[103:104], v[49:50], v[57:58]
	v_add_f64 v[67:68], v[67:68], v[105:106]
	v_add_f64 v[69:70], v[69:70], v[107:108]
	;; [unrolled: 1-line block ×8, first 2 shown]
	v_mul_f64 v[75:76], v[45:46], v[53:54]
	v_mul_f64 v[77:78], v[43:44], v[53:54]
	;; [unrolled: 1-line block ×7, first 2 shown]
	v_fma_f64 v[109:110], v[17:18], v[9:10], -v[113:114]
	v_fma_f64 v[113:114], v[17:18], v[13:14], -v[115:116]
	;; [unrolled: 1-line block ×3, first 2 shown]
	v_fma_f64 v[89:90], v[23:24], v[9:10], v[89:90]
	v_fma_f64 v[91:92], v[21:22], v[13:14], -v[91:92]
	v_fma_f64 v[107:108], v[23:24], v[13:14], v[111:112]
	v_fma_f64 v[111:112], v[19:20], v[9:10], v[11:12]
	;; [unrolled: 1-line block ×3, first 2 shown]
	ds_load_b128 v[9:12], v32 offset:96
	v_add_f64 v[67:68], v[67:68], v[83:84]
	v_add_f64 v[69:70], v[69:70], v[93:94]
	;; [unrolled: 1-line block ×8, first 2 shown]
	s_waitcnt lgkmcnt(1)
	v_mul_f64 v[99:100], v[39:40], v[3:4]
	v_fma_f64 v[75:76], v[43:44], v[51:52], -v[75:76]
	v_fma_f64 v[77:78], v[45:46], v[51:52], v[77:78]
	v_fma_f64 v[43:44], v[43:44], v[55:56], -v[79:80]
	v_fma_f64 v[45:46], v[45:46], v[55:56], v[81:82]
	v_mul_f64 v[79:80], v[39:40], v[35:36]
	v_fma_f64 v[81:82], v[47:48], v[51:52], -v[85:86]
	v_fma_f64 v[51:52], v[49:50], v[51:52], v[53:54]
	s_waitcnt lgkmcnt(0)
	v_mul_f64 v[65:66], v[11:12], v[3:4]
	v_mul_f64 v[93:94], v[9:10], v[3:4]
	;; [unrolled: 1-line block ×6, first 2 shown]
	v_fma_f64 v[47:48], v[47:48], v[55:56], -v[103:104]
	v_fma_f64 v[49:50], v[49:50], v[55:56], v[105:106]
	ds_load_b128 v[13:16], v32 offset:112
	ds_load_b128 v[17:20], v32 offset:2160
	ds_load_b128 v[21:24], v31 offset:3584
	ds_load_b128 v[57:60], v31 offset:3840
	s_waitcnt lgkmcnt(0)
	s_barrier
	buffer_gl0_inv
	v_add_f64 v[53:54], v[67:68], v[87:88]
	v_add_f64 v[55:56], v[69:70], v[89:90]
	;; [unrolled: 1-line block ×8, first 2 shown]
	v_mul_f64 v[73:74], v[15:16], v[23:24]
	v_mul_f64 v[83:84], v[13:14], v[23:24]
	;; [unrolled: 1-line block ×8, first 2 shown]
	v_fma_f64 v[65:66], v[9:10], v[1:2], -v[65:66]
	v_fma_f64 v[93:94], v[11:12], v[1:2], v[93:94]
	v_fma_f64 v[9:10], v[9:10], v[33:34], -v[95:96]
	v_fma_f64 v[11:12], v[11:12], v[33:34], v[97:98]
	v_fma_f64 v[95:96], v[37:38], v[1:2], -v[99:100]
	v_fma_f64 v[1:2], v[39:40], v[1:2], v[3:4]
	v_fma_f64 v[3:4], v[37:38], v[33:34], -v[79:80]
	v_fma_f64 v[33:34], v[39:40], v[33:34], v[35:36]
	v_add_f64 v[35:36], v[53:54], v[75:76]
	v_add_f64 v[37:38], v[55:56], v[77:78]
	;; [unrolled: 1-line block ×8, first 2 shown]
	v_fma_f64 v[49:50], v[13:14], v[21:22], -v[73:74]
	v_fma_f64 v[53:54], v[15:16], v[21:22], v[83:84]
	v_fma_f64 v[13:14], v[13:14], v[57:58], -v[85:86]
	v_fma_f64 v[15:16], v[15:16], v[57:58], v[87:88]
	;; [unrolled: 2-line block ×4, first 2 shown]
	v_add_f64 v[17:18], v[35:36], v[65:66]
	v_add_f64 v[19:20], v[37:38], v[93:94]
	;; [unrolled: 1-line block ×16, first 2 shown]
	s_cbranch_scc1 .LBB757_9
.LBB757_3:                              ; =>This Inner Loop Header: Depth=1
	v_add_nc_u32_e32 v1, s17, v28
	s_delay_alu instid0(VALU_DEP_1) | instskip(NEXT) | instid1(VALU_DEP_1)
	v_cmp_le_i32_e64 s2, s11, v1
	s_or_b32 s2, s3, s2
	s_delay_alu instid0(SALU_CYCLE_1) | instskip(NEXT) | instid1(SALU_CYCLE_1)
	s_and_saveexec_b32 s18, s2
	s_xor_b32 s2, exec_lo, s18
	s_cbranch_execz .LBB757_5
; %bb.4:                                ;   in Loop: Header=BB757_3 Depth=1
	v_mov_b32_e32 v1, v0
	v_mov_b32_e32 v2, v0
	;; [unrolled: 1-line block ×3, first 2 shown]
	ds_store_b128 v29, v[0:3]
.LBB757_5:                              ;   in Loop: Header=BB757_3 Depth=1
	s_and_not1_saveexec_b32 s2, s2
	s_cbranch_execz .LBB757_7
; %bb.6:                                ;   in Loop: Header=BB757_3 Depth=1
	global_load_b128 v[1:4], v[5:6], off
	s_waitcnt vmcnt(0)
	ds_store_2addr_b64 v29, v[1:2], v[3:4] offset1:1
.LBB757_7:                              ;   in Loop: Header=BB757_3 Depth=1
	s_or_b32 exec_lo, exec_lo, s2
	v_add_nc_u32_e32 v3, s17, v27
	v_mov_b32_e32 v1, 0
	v_mov_b32_e32 v2, 0
	s_delay_alu instid0(VALU_DEP_3) | instskip(NEXT) | instid1(VALU_DEP_2)
	v_cmp_gt_i32_e64 s2, s11, v3
	v_dual_mov_b32 v4, v2 :: v_dual_mov_b32 v3, v1
	s_delay_alu instid0(VALU_DEP_2) | instskip(NEXT) | instid1(SALU_CYCLE_1)
	s_and_b32 s18, s2, vcc_lo
	s_and_saveexec_b32 s2, s18
	s_cbranch_execz .LBB757_2
; %bb.8:                                ;   in Loop: Header=BB757_3 Depth=1
	global_load_b128 v[1:4], v[7:8], off offset:-8
	s_branch .LBB757_2
.LBB757_9:
	s_load_b32 s2, s[0:1], 0x60
	v_add_nc_u32_e32 v4, s22, v26
	v_add_nc_u32_e32 v0, s16, v25
	s_delay_alu instid0(VALU_DEP_1) | instskip(SKIP_1) | instid1(VALU_DEP_2)
	v_cmp_le_i32_e64 s0, v4, v0
	v_cmp_gt_i32_e32 vcc_lo, s10, v0
	s_and_b32 s0, s0, vcc_lo
	s_waitcnt lgkmcnt(0)
	v_mad_i64_i32 v[1:2], null, v4, s2, 0
	s_delay_alu instid0(VALU_DEP_1) | instskip(NEXT) | instid1(VALU_DEP_1)
	v_lshlrev_b64 v[1:2], 4, v[1:2]
	v_add_co_u32 v5, s1, s8, v1
	s_delay_alu instid0(VALU_DEP_1)
	v_add_co_ci_u32_e64 v6, s1, s9, v2, s1
	s_and_saveexec_b32 s1, s0
	s_cbranch_execz .LBB757_11
; %bb.10:
	v_mul_f64 v[1:2], s[6:7], v[23:24]
	v_mul_f64 v[7:8], s[4:5], v[23:24]
	s_delay_alu instid0(VALU_DEP_2) | instskip(NEXT) | instid1(VALU_DEP_2)
	v_fma_f64 v[23:24], s[4:5], v[21:22], -v[1:2]
	v_fma_f64 v[25:26], s[6:7], v[21:22], v[7:8]
	v_ashrrev_i32_e32 v1, 31, v0
	s_delay_alu instid0(VALU_DEP_1) | instskip(NEXT) | instid1(VALU_DEP_1)
	v_lshlrev_b64 v[1:2], 4, v[0:1]
	v_add_co_u32 v1, s0, v5, v1
	s_delay_alu instid0(VALU_DEP_1)
	v_add_co_ci_u32_e64 v2, s0, v6, v2, s0
	global_store_b128 v[1:2], v[23:26], off
.LBB757_11:
	s_or_b32 exec_lo, exec_lo, s1
	v_add_nc_u32_e32 v2, 16, v0
	s_delay_alu instid0(VALU_DEP_1) | instskip(SKIP_1) | instid1(VALU_DEP_1)
	v_cmp_le_i32_e64 s1, v4, v2
	v_cmp_gt_i32_e64 s0, s10, v2
	s_and_b32 s1, s1, s0
	s_delay_alu instid0(SALU_CYCLE_1)
	s_and_saveexec_b32 s3, s1
	s_cbranch_execz .LBB757_13
; %bb.12:
	v_mul_f64 v[7:8], s[6:7], v[19:20]
	v_mul_f64 v[21:22], s[4:5], v[19:20]
	v_ashrrev_i32_e32 v3, 31, v2
	s_delay_alu instid0(VALU_DEP_3) | instskip(NEXT) | instid1(VALU_DEP_3)
	v_fma_f64 v[19:20], s[4:5], v[17:18], -v[7:8]
	v_fma_f64 v[21:22], s[6:7], v[17:18], v[21:22]
	s_delay_alu instid0(VALU_DEP_3) | instskip(NEXT) | instid1(VALU_DEP_1)
	v_lshlrev_b64 v[7:8], 4, v[2:3]
	v_add_co_u32 v5, s1, v5, v7
	s_delay_alu instid0(VALU_DEP_1)
	v_add_co_ci_u32_e64 v6, s1, v6, v8, s1
	global_store_b128 v[5:6], v[19:22], off
.LBB757_13:
	s_or_b32 exec_lo, exec_lo, s3
	v_add_nc_u32_e32 v3, 16, v4
	s_delay_alu instid0(VALU_DEP_1) | instskip(SKIP_1) | instid1(VALU_DEP_2)
	v_mad_i64_i32 v[4:5], null, v3, s2, 0
	v_cmp_le_i32_e64 s1, v3, v0
	v_lshlrev_b64 v[4:5], 4, v[4:5]
	s_delay_alu instid0(VALU_DEP_1) | instskip(NEXT) | instid1(VALU_DEP_1)
	v_add_co_u32 v4, s2, s8, v4
	v_add_co_ci_u32_e64 v5, s2, s9, v5, s2
	s_delay_alu instid0(VALU_DEP_4) | instskip(NEXT) | instid1(SALU_CYCLE_1)
	s_and_b32 s2, s1, vcc_lo
	s_and_saveexec_b32 s1, s2
	s_cbranch_execz .LBB757_15
; %bb.14:
	v_mul_f64 v[6:7], s[6:7], v[15:16]
	v_mul_f64 v[17:18], s[4:5], v[15:16]
	v_ashrrev_i32_e32 v1, 31, v0
	s_delay_alu instid0(VALU_DEP_1) | instskip(NEXT) | instid1(VALU_DEP_1)
	v_lshlrev_b64 v[0:1], 4, v[0:1]
	v_add_co_u32 v0, vcc_lo, v4, v0
	s_delay_alu instid0(VALU_DEP_2)
	v_add_co_ci_u32_e32 v1, vcc_lo, v5, v1, vcc_lo
	v_fma_f64 v[15:16], s[4:5], v[13:14], -v[6:7]
	v_fma_f64 v[17:18], s[6:7], v[13:14], v[17:18]
	global_store_b128 v[0:1], v[15:18], off
.LBB757_15:
	s_or_b32 exec_lo, exec_lo, s1
	v_cmp_le_i32_e32 vcc_lo, v3, v2
	s_and_b32 s0, vcc_lo, s0
	s_delay_alu instid0(SALU_CYCLE_1)
	s_and_saveexec_b32 s1, s0
	s_cbranch_execz .LBB757_17
; %bb.16:
	v_mul_f64 v[0:1], s[6:7], v[9:10]
	v_mul_f64 v[8:9], s[4:5], v[9:10]
	v_ashrrev_i32_e32 v3, 31, v2
	s_delay_alu instid0(VALU_DEP_3) | instskip(NEXT) | instid1(VALU_DEP_3)
	v_fma_f64 v[6:7], s[4:5], v[11:12], -v[0:1]
	v_fma_f64 v[8:9], s[6:7], v[11:12], v[8:9]
	s_delay_alu instid0(VALU_DEP_3) | instskip(NEXT) | instid1(VALU_DEP_1)
	v_lshlrev_b64 v[0:1], 4, v[2:3]
	v_add_co_u32 v0, vcc_lo, v4, v0
	s_delay_alu instid0(VALU_DEP_2)
	v_add_co_ci_u32_e32 v1, vcc_lo, v5, v1, vcc_lo
	global_store_b128 v[0:1], v[6:9], off
.LBB757_17:
	s_nop 0
	s_sendmsg sendmsg(MSG_DEALLOC_VGPRS)
	s_endpgm
	.section	.rodata,"a",@progbits
	.p2align	6, 0x0
	.amdhsa_kernel _ZL34rocblas_syrkx_herkx_general_kernelIi19rocblas_complex_numIdELi16ELi32ELi8ELb1ELb0ELc78ELc76EKPKS1_KPS1_EviT_T0_PT8_S7_lSA_S7_lS8_PT9_S7_li
		.amdhsa_group_segment_fixed_size 8192
		.amdhsa_private_segment_fixed_size 0
		.amdhsa_kernarg_size 116
		.amdhsa_user_sgpr_count 13
		.amdhsa_user_sgpr_dispatch_ptr 0
		.amdhsa_user_sgpr_queue_ptr 0
		.amdhsa_user_sgpr_kernarg_segment_ptr 1
		.amdhsa_user_sgpr_dispatch_id 0
		.amdhsa_user_sgpr_private_segment_size 0
		.amdhsa_wavefront_size32 1
		.amdhsa_uses_dynamic_stack 0
		.amdhsa_enable_private_segment 0
		.amdhsa_system_sgpr_workgroup_id_x 1
		.amdhsa_system_sgpr_workgroup_id_y 1
		.amdhsa_system_sgpr_workgroup_id_z 1
		.amdhsa_system_sgpr_workgroup_info 0
		.amdhsa_system_vgpr_workitem_id 1
		.amdhsa_next_free_vgpr 119
		.amdhsa_next_free_sgpr 26
		.amdhsa_reserve_vcc 1
		.amdhsa_float_round_mode_32 0
		.amdhsa_float_round_mode_16_64 0
		.amdhsa_float_denorm_mode_32 3
		.amdhsa_float_denorm_mode_16_64 3
		.amdhsa_dx10_clamp 1
		.amdhsa_ieee_mode 1
		.amdhsa_fp16_overflow 0
		.amdhsa_workgroup_processor_mode 1
		.amdhsa_memory_ordered 1
		.amdhsa_forward_progress 0
		.amdhsa_shared_vgpr_count 0
		.amdhsa_exception_fp_ieee_invalid_op 0
		.amdhsa_exception_fp_denorm_src 0
		.amdhsa_exception_fp_ieee_div_zero 0
		.amdhsa_exception_fp_ieee_overflow 0
		.amdhsa_exception_fp_ieee_underflow 0
		.amdhsa_exception_fp_ieee_inexact 0
		.amdhsa_exception_int_div_zero 0
	.end_amdhsa_kernel
	.section	.text._ZL34rocblas_syrkx_herkx_general_kernelIi19rocblas_complex_numIdELi16ELi32ELi8ELb1ELb0ELc78ELc76EKPKS1_KPS1_EviT_T0_PT8_S7_lSA_S7_lS8_PT9_S7_li,"axG",@progbits,_ZL34rocblas_syrkx_herkx_general_kernelIi19rocblas_complex_numIdELi16ELi32ELi8ELb1ELb0ELc78ELc76EKPKS1_KPS1_EviT_T0_PT8_S7_lSA_S7_lS8_PT9_S7_li,comdat
.Lfunc_end757:
	.size	_ZL34rocblas_syrkx_herkx_general_kernelIi19rocblas_complex_numIdELi16ELi32ELi8ELb1ELb0ELc78ELc76EKPKS1_KPS1_EviT_T0_PT8_S7_lSA_S7_lS8_PT9_S7_li, .Lfunc_end757-_ZL34rocblas_syrkx_herkx_general_kernelIi19rocblas_complex_numIdELi16ELi32ELi8ELb1ELb0ELc78ELc76EKPKS1_KPS1_EviT_T0_PT8_S7_lSA_S7_lS8_PT9_S7_li
                                        ; -- End function
	.section	.AMDGPU.csdata,"",@progbits
; Kernel info:
; codeLenInByte = 3220
; NumSgprs: 28
; NumVgprs: 119
; ScratchSize: 0
; MemoryBound: 1
; FloatMode: 240
; IeeeMode: 1
; LDSByteSize: 8192 bytes/workgroup (compile time only)
; SGPRBlocks: 3
; VGPRBlocks: 14
; NumSGPRsForWavesPerEU: 28
; NumVGPRsForWavesPerEU: 119
; Occupancy: 12
; WaveLimiterHint : 1
; COMPUTE_PGM_RSRC2:SCRATCH_EN: 0
; COMPUTE_PGM_RSRC2:USER_SGPR: 13
; COMPUTE_PGM_RSRC2:TRAP_HANDLER: 0
; COMPUTE_PGM_RSRC2:TGID_X_EN: 1
; COMPUTE_PGM_RSRC2:TGID_Y_EN: 1
; COMPUTE_PGM_RSRC2:TGID_Z_EN: 1
; COMPUTE_PGM_RSRC2:TIDIG_COMP_CNT: 1
	.section	.text._ZL34rocblas_syrkx_herkx_general_kernelIi19rocblas_complex_numIdELi16ELi32ELi8ELb1ELb0ELc84ELc85EKPKS1_KPS1_EviT_T0_PT8_S7_lSA_S7_lS8_PT9_S7_li,"axG",@progbits,_ZL34rocblas_syrkx_herkx_general_kernelIi19rocblas_complex_numIdELi16ELi32ELi8ELb1ELb0ELc84ELc85EKPKS1_KPS1_EviT_T0_PT8_S7_lSA_S7_lS8_PT9_S7_li,comdat
	.globl	_ZL34rocblas_syrkx_herkx_general_kernelIi19rocblas_complex_numIdELi16ELi32ELi8ELb1ELb0ELc84ELc85EKPKS1_KPS1_EviT_T0_PT8_S7_lSA_S7_lS8_PT9_S7_li ; -- Begin function _ZL34rocblas_syrkx_herkx_general_kernelIi19rocblas_complex_numIdELi16ELi32ELi8ELb1ELb0ELc84ELc85EKPKS1_KPS1_EviT_T0_PT8_S7_lSA_S7_lS8_PT9_S7_li
	.p2align	8
	.type	_ZL34rocblas_syrkx_herkx_general_kernelIi19rocblas_complex_numIdELi16ELi32ELi8ELb1ELb0ELc84ELc85EKPKS1_KPS1_EviT_T0_PT8_S7_lSA_S7_lS8_PT9_S7_li,@function
_ZL34rocblas_syrkx_herkx_general_kernelIi19rocblas_complex_numIdELi16ELi32ELi8ELb1ELb0ELc84ELc85EKPKS1_KPS1_EviT_T0_PT8_S7_lSA_S7_lS8_PT9_S7_li: ; @_ZL34rocblas_syrkx_herkx_general_kernelIi19rocblas_complex_numIdELi16ELi32ELi8ELb1ELb0ELc84ELc85EKPKS1_KPS1_EviT_T0_PT8_S7_lSA_S7_lS8_PT9_S7_li
; %bb.0:
	s_clause 0x2
	s_load_b64 s[4:5], s[0:1], 0x58
	s_load_b64 s[18:19], s[0:1], 0x18
	;; [unrolled: 1-line block ×3, first 2 shown]
	s_mov_b32 s16, s15
	s_mov_b32 s17, 0
	v_mov_b32_e32 v20, 0
	s_lshl_b64 s[2:3], s[16:17], 3
	v_dual_mov_b32 v21, 0 :: v_dual_and_b32 v24, 0x3ff, v0
	v_bfe_u32 v25, v0, 10, 10
	s_delay_alu instid0(VALU_DEP_3) | instskip(NEXT) | instid1(VALU_DEP_3)
	v_mov_b32_e32 v16, v20
	v_dual_mov_b32 v18, v20 :: v_dual_mov_b32 v19, v21
	v_dual_mov_b32 v23, v21 :: v_dual_mov_b32 v22, v20
	;; [unrolled: 1-line block ×4, first 2 shown]
	v_mov_b32_e32 v15, v21
	s_waitcnt lgkmcnt(0)
	s_add_u32 s10, s4, s2
	s_addc_u32 s11, s5, s3
	s_load_b128 s[4:7], s[0:1], 0x8
	s_load_b64 s[10:11], s[10:11], 0x0
	v_dual_mov_b32 v10, v20 :: v_dual_mov_b32 v11, v21
	v_dual_mov_b32 v8, v20 :: v_dual_mov_b32 v9, v21
	s_lshl_b32 s12, s13, 5
	s_lshl_b32 s13, s14, 5
	s_cmp_lt_i32 s9, 1
	s_cbranch_scc1 .LBB758_11
; %bb.1:
	s_clause 0x1
	s_load_b64 s[14:15], s[0:1], 0x30
	s_load_b32 s16, s[0:1], 0x20
	v_lshl_add_u32 v0, v25, 4, v24
	v_dual_mov_b32 v8, 0 :: v_dual_lshlrev_b32 v27, 4, v24
	v_dual_mov_b32 v9, 0 :: v_dual_and_b32 v26, 7, v24
	s_delay_alu instid0(VALU_DEP_3)
	v_and_b32_e32 v1, 31, v0
	s_load_b32 s20, s[0:1], 0x38
	v_lshrrev_b32_e32 v2, 3, v0
	v_lshrrev_b32_e32 v29, 5, v0
	v_mov_b32_e32 v15, v9
	v_dual_mov_b32 v14, v8 :: v_dual_add_nc_u32 v3, s12, v1
	v_or_b32_e32 v6, s12, v1
	v_lshlrev_b32_e32 v7, 4, v1
	v_lshlrev_b32_e32 v4, 4, v26
	v_lshlrev_b32_e32 v11, 4, v29
	v_add_nc_u32_e32 v5, s13, v2
	v_mov_b32_e32 v19, v9
	s_waitcnt lgkmcnt(0)
	s_add_u32 s14, s14, s2
	v_mad_i64_i32 v[0:1], null, s16, v3, 0
	s_addc_u32 s15, s15, s3
	s_add_u32 s2, s18, s2
	v_lshl_or_b32 v10, v2, 7, v4
	s_addc_u32 s3, s19, s3
	v_mov_b32_e32 v18, v8
	s_load_b64 s[18:19], s[2:3], 0x0
	s_delay_alu instid0(VALU_DEP_3)
	v_lshlrev_b64 v[0:1], 4, v[0:1]
	v_add_nc_u32_e32 v31, 0x1000, v10
	s_load_b64 s[14:15], s[14:15], 0x0
	v_cmp_gt_i32_e32 vcc_lo, s8, v6
	v_mov_b32_e32 v13, v9
	v_mov_b32_e32 v17, v9
	v_add_co_u32 v0, s3, v0, v11
	v_dual_mov_b32 v11, v9 :: v_dual_mov_b32 v10, v8
	v_mad_i64_i32 v[2:3], null, s20, v5, 0
	v_add_co_ci_u32_e64 v1, s3, 0, v1, s3
	v_cmp_gt_i32_e64 s2, s8, v5
	v_mov_b32_e32 v23, v9
	v_dual_mov_b32 v21, v9 :: v_dual_mov_b32 v20, v8
	v_lshlrev_b64 v[2:3], 4, v[2:3]
	v_lshl_add_u32 v28, v25, 7, 0x1000
	v_mov_b32_e32 v12, v8
	v_lshl_or_b32 v30, v29, 9, v7
	v_mov_b32_e32 v16, v8
	v_mov_b32_e32 v22, v8
	v_add_co_u32 v2, s3, v2, v4
	s_delay_alu instid0(VALU_DEP_1) | instskip(SKIP_2) | instid1(VALU_DEP_1)
	v_add_co_ci_u32_e64 v3, s3, 0, v3, s3
	s_waitcnt lgkmcnt(0)
	v_add_co_u32 v4, s3, s18, v0
	v_add_co_ci_u32_e64 v5, s3, s19, v1, s3
	v_add_co_u32 v6, s3, s14, v2
	s_delay_alu instid0(VALU_DEP_1)
	v_add_co_ci_u32_e64 v7, s3, s15, v3, s3
	v_mov_b32_e32 v0, 0
	s_xor_b32 s3, vcc_lo, -1
	s_xor_b32 s2, s2, -1
	s_branch .LBB758_3
.LBB758_2:                              ;   in Loop: Header=BB758_3 Depth=1
	s_or_b32 exec_lo, exec_lo, s14
	s_waitcnt lgkmcnt(0)
	s_barrier
	buffer_gl0_inv
	ds_load_b128 v[32:35], v28
	ds_load_b128 v[36:39], v27
	ds_load_b128 v[40:43], v27 offset:256
	ds_load_b128 v[44:47], v28 offset:2048
	;; [unrolled: 1-line block ×9, first 2 shown]
	v_add_co_u32 v4, vcc_lo, 0x80, v4
	v_add_co_ci_u32_e32 v5, vcc_lo, 0, v5, vcc_lo
	v_add_co_u32 v6, vcc_lo, 0x80, v6
	v_add_co_ci_u32_e32 v7, vcc_lo, 0, v7, vcc_lo
	s_add_i32 s17, s17, 8
	s_delay_alu instid0(SALU_CYCLE_1)
	s_cmp_ge_i32 s17, s9
	s_waitcnt lgkmcnt(9)
	v_mul_f64 v[1:2], v[34:35], v[38:39]
	v_mul_f64 v[76:77], v[32:33], v[38:39]
	s_waitcnt lgkmcnt(8)
	v_mul_f64 v[78:79], v[34:35], v[42:43]
	v_mul_f64 v[80:81], v[32:33], v[42:43]
	;; [unrolled: 3-line block ×3, first 2 shown]
	v_mul_f64 v[84:85], v[46:47], v[42:43]
	v_mul_f64 v[42:43], v[44:45], v[42:43]
	s_waitcnt lgkmcnt(4)
	v_mul_f64 v[86:87], v[50:51], v[58:59]
	v_mul_f64 v[88:89], v[48:49], v[58:59]
	s_waitcnt lgkmcnt(3)
	v_mul_f64 v[90:91], v[50:51], v[62:63]
	v_mul_f64 v[92:93], v[48:49], v[62:63]
	;; [unrolled: 1-line block ×6, first 2 shown]
	s_waitcnt lgkmcnt(0)
	v_mul_f64 v[114:115], v[74:75], v[66:67]
	v_mul_f64 v[116:117], v[74:75], v[70:71]
	v_fma_f64 v[1:2], v[32:33], v[36:37], -v[1:2]
	v_fma_f64 v[98:99], v[34:35], v[36:37], v[76:77]
	v_fma_f64 v[100:101], v[32:33], v[40:41], -v[78:79]
	v_fma_f64 v[80:81], v[34:35], v[40:41], v[80:81]
	;; [unrolled: 2-line block ×4, first 2 shown]
	ds_load_b128 v[76:79], v28 offset:32
	v_fma_f64 v[86:87], v[48:49], v[56:57], -v[86:87]
	v_fma_f64 v[88:89], v[50:51], v[56:57], v[88:89]
	v_fma_f64 v[48:49], v[48:49], v[60:61], -v[90:91]
	v_fma_f64 v[50:51], v[50:51], v[60:61], v[92:93]
	;; [unrolled: 2-line block ×4, first 2 shown]
	ds_load_b128 v[32:35], v28 offset:48
	ds_load_b128 v[36:39], v28 offset:2096
	;; [unrolled: 1-line block ×4, first 2 shown]
	s_waitcnt lgkmcnt(4)
	v_mul_f64 v[106:107], v[78:79], v[66:67]
	v_mul_f64 v[108:109], v[76:77], v[66:67]
	;; [unrolled: 1-line block ×6, first 2 shown]
	s_waitcnt lgkmcnt(1)
	v_mul_f64 v[92:93], v[32:33], v[42:43]
	s_waitcnt lgkmcnt(0)
	v_mul_f64 v[94:95], v[34:35], v[46:47]
	v_add_f64 v[1:2], v[20:21], v[1:2]
	v_add_f64 v[20:21], v[22:23], v[98:99]
	;; [unrolled: 1-line block ×8, first 2 shown]
	v_mul_f64 v[84:85], v[34:35], v[42:43]
	v_mul_f64 v[96:97], v[32:33], v[46:47]
	;; [unrolled: 1-line block ×6, first 2 shown]
	ds_load_b128 v[8:11], v27 offset:2048
	ds_load_b128 v[12:15], v27 offset:2304
	;; [unrolled: 1-line block ×3, first 2 shown]
	v_fma_f64 v[104:105], v[76:77], v[64:65], -v[106:107]
	v_fma_f64 v[106:107], v[78:79], v[64:65], v[108:109]
	v_fma_f64 v[76:77], v[76:77], v[68:69], -v[110:111]
	v_fma_f64 v[78:79], v[78:79], v[68:69], v[112:113]
	;; [unrolled: 2-line block ×4, first 2 shown]
	s_waitcnt lgkmcnt(0)
	v_mul_f64 v[114:115], v[18:19], v[10:11]
	v_mul_f64 v[116:117], v[18:19], v[14:15]
	v_add_f64 v[1:2], v[1:2], v[86:87]
	v_add_f64 v[70:71], v[20:21], v[88:89]
	;; [unrolled: 1-line block ×8, first 2 shown]
	ds_load_b128 v[20:23], v28 offset:64
	v_fma_f64 v[84:85], v[32:33], v[40:41], -v[84:85]
	v_fma_f64 v[92:93], v[34:35], v[40:41], v[92:93]
	v_fma_f64 v[94:95], v[32:33], v[44:45], -v[94:95]
	v_fma_f64 v[96:97], v[34:35], v[44:45], v[96:97]
	;; [unrolled: 2-line block ×4, first 2 shown]
	ds_load_b128 v[46:49], v28 offset:80
	ds_load_b128 v[50:53], v28 offset:2128
	;; [unrolled: 1-line block ×7, first 2 shown]
	s_waitcnt lgkmcnt(7)
	v_mul_f64 v[88:89], v[22:23], v[10:11]
	v_mul_f64 v[90:91], v[20:21], v[10:11]
	;; [unrolled: 1-line block ×6, first 2 shown]
	s_waitcnt lgkmcnt(3)
	v_mul_f64 v[102:103], v[52:53], v[60:61]
	v_add_f64 v[1:2], v[1:2], v[104:105]
	v_add_f64 v[70:71], v[70:71], v[106:107]
	;; [unrolled: 1-line block ×8, first 2 shown]
	v_mul_f64 v[68:69], v[48:49], v[56:57]
	v_mul_f64 v[78:79], v[46:47], v[56:57]
	;; [unrolled: 1-line block ×7, first 2 shown]
	v_fma_f64 v[88:89], v[20:21], v[8:9], -v[88:89]
	v_fma_f64 v[90:91], v[22:23], v[8:9], v[90:91]
	v_fma_f64 v[106:107], v[20:21], v[12:13], -v[110:111]
	v_fma_f64 v[108:109], v[22:23], v[12:13], v[112:113]
	;; [unrolled: 2-line block ×4, first 2 shown]
	ds_load_b128 v[8:11], v28 offset:96
	v_add_f64 v[1:2], v[1:2], v[84:85]
	v_add_f64 v[70:71], v[70:71], v[92:93]
	;; [unrolled: 1-line block ×8, first 2 shown]
	s_waitcnt lgkmcnt(1)
	v_mul_f64 v[98:99], v[42:43], v[34:35]
	v_mul_f64 v[100:101], v[42:43], v[38:39]
	v_fma_f64 v[68:69], v[46:47], v[54:55], -v[68:69]
	v_fma_f64 v[78:79], v[48:49], v[54:55], v[78:79]
	v_fma_f64 v[46:47], v[46:47], v[58:59], -v[80:81]
	v_fma_f64 v[48:49], v[48:49], v[58:59], v[82:83]
	;; [unrolled: 2-line block ×4, first 2 shown]
	s_waitcnt lgkmcnt(0)
	v_mul_f64 v[66:67], v[10:11], v[34:35]
	v_mul_f64 v[92:93], v[8:9], v[34:35]
	;; [unrolled: 1-line block ×6, first 2 shown]
	ds_load_b128 v[12:15], v28 offset:112
	ds_load_b128 v[16:19], v28 offset:2160
	;; [unrolled: 1-line block ×4, first 2 shown]
	s_waitcnt lgkmcnt(0)
	s_barrier
	buffer_gl0_inv
	v_add_f64 v[1:2], v[1:2], v[88:89]
	v_add_f64 v[56:57], v[70:71], v[90:91]
	v_add_f64 v[58:59], v[72:73], v[106:107]
	v_add_f64 v[70:71], v[74:75], v[108:109]
	v_add_f64 v[72:73], v[76:77], v[110:111]
	v_add_f64 v[74:75], v[84:85], v[112:113]
	v_add_f64 v[64:65], v[64:65], v[114:115]
	v_add_f64 v[44:45], v[44:45], v[116:117]
	v_mul_f64 v[76:77], v[14:15], v[22:23]
	v_mul_f64 v[82:83], v[12:13], v[22:23]
	;; [unrolled: 1-line block ×8, first 2 shown]
	v_fma_f64 v[66:67], v[8:9], v[32:33], -v[66:67]
	v_fma_f64 v[92:93], v[10:11], v[32:33], v[92:93]
	v_fma_f64 v[8:9], v[8:9], v[36:37], -v[94:95]
	v_fma_f64 v[10:11], v[10:11], v[36:37], v[96:97]
	v_fma_f64 v[94:95], v[40:41], v[32:33], -v[98:99]
	v_fma_f64 v[32:33], v[42:43], v[32:33], v[34:35]
	v_fma_f64 v[34:35], v[40:41], v[36:37], -v[100:101]
	v_fma_f64 v[36:37], v[42:43], v[36:37], v[38:39]
	v_add_f64 v[1:2], v[1:2], v[68:69]
	v_add_f64 v[38:39], v[56:57], v[78:79]
	;; [unrolled: 1-line block ×8, first 2 shown]
	v_fma_f64 v[52:53], v[12:13], v[20:21], -v[76:77]
	v_fma_f64 v[54:55], v[14:15], v[20:21], v[82:83]
	v_fma_f64 v[12:13], v[12:13], v[60:61], -v[84:85]
	v_fma_f64 v[14:15], v[14:15], v[60:61], v[86:87]
	;; [unrolled: 2-line block ×4, first 2 shown]
	v_add_f64 v[1:2], v[1:2], v[66:67]
	v_add_f64 v[16:17], v[38:39], v[92:93]
	;; [unrolled: 1-line block ×16, first 2 shown]
	s_cbranch_scc1 .LBB758_11
.LBB758_3:                              ; =>This Inner Loop Header: Depth=1
	v_add_nc_u32_e32 v1, s17, v29
	s_delay_alu instid0(VALU_DEP_1) | instskip(SKIP_1) | instid1(SALU_CYCLE_1)
	v_cmp_le_i32_e32 vcc_lo, s9, v1
	s_or_b32 s14, s3, vcc_lo
	s_and_saveexec_b32 s15, s14
	s_delay_alu instid0(SALU_CYCLE_1)
	s_xor_b32 s14, exec_lo, s15
	s_cbranch_execz .LBB758_5
; %bb.4:                                ;   in Loop: Header=BB758_3 Depth=1
	v_mov_b32_e32 v1, v0
	v_mov_b32_e32 v2, v0
	;; [unrolled: 1-line block ×3, first 2 shown]
	ds_store_b128 v30, v[0:3]
.LBB758_5:                              ;   in Loop: Header=BB758_3 Depth=1
	s_and_not1_saveexec_b32 s14, s14
	s_cbranch_execz .LBB758_7
; %bb.6:                                ;   in Loop: Header=BB758_3 Depth=1
	global_load_b128 v[32:35], v[4:5], off
	s_waitcnt vmcnt(0)
	ds_store_2addr_b64 v30, v[32:33], v[34:35] offset1:1
.LBB758_7:                              ;   in Loop: Header=BB758_3 Depth=1
	s_or_b32 exec_lo, exec_lo, s14
	v_add_nc_u32_e32 v1, s17, v26
	s_delay_alu instid0(VALU_DEP_1) | instskip(SKIP_1) | instid1(SALU_CYCLE_1)
	v_cmp_le_i32_e32 vcc_lo, s9, v1
	s_or_b32 s14, vcc_lo, s2
	s_and_saveexec_b32 s15, s14
	s_delay_alu instid0(SALU_CYCLE_1)
	s_xor_b32 s14, exec_lo, s15
	s_cbranch_execz .LBB758_9
; %bb.8:                                ;   in Loop: Header=BB758_3 Depth=1
	v_mov_b32_e32 v1, v0
	v_mov_b32_e32 v2, v0
	;; [unrolled: 1-line block ×3, first 2 shown]
	ds_store_b128 v31, v[0:3]
.LBB758_9:                              ;   in Loop: Header=BB758_3 Depth=1
	s_and_not1_saveexec_b32 s14, s14
	s_cbranch_execz .LBB758_2
; %bb.10:                               ;   in Loop: Header=BB758_3 Depth=1
	global_load_b128 v[32:35], v[6:7], off
	s_waitcnt vmcnt(0)
	ds_store_2addr_b64 v31, v[32:33], v[34:35] offset1:1
	s_branch .LBB758_2
.LBB758_11:
	s_load_b32 s2, s[0:1], 0x60
	v_add_nc_u32_e32 v4, s13, v25
	v_add_nc_u32_e32 v0, s12, v24
	s_delay_alu instid0(VALU_DEP_2) | instskip(NEXT) | instid1(VALU_DEP_2)
	v_cmp_gt_i32_e32 vcc_lo, s8, v4
	v_cmp_le_i32_e64 s0, v0, v4
	s_delay_alu instid0(VALU_DEP_1) | instskip(SKIP_2) | instid1(VALU_DEP_1)
	s_and_b32 s0, vcc_lo, s0
	s_waitcnt lgkmcnt(0)
	v_mad_i64_i32 v[1:2], null, v4, s2, 0
	v_lshlrev_b64 v[1:2], 4, v[1:2]
	s_delay_alu instid0(VALU_DEP_1) | instskip(NEXT) | instid1(VALU_DEP_1)
	v_add_co_u32 v5, s1, s10, v1
	v_add_co_ci_u32_e64 v6, s1, s11, v2, s1
	s_and_saveexec_b32 s1, s0
	s_cbranch_execz .LBB758_13
; %bb.12:
	v_mul_f64 v[1:2], s[6:7], v[22:23]
	v_mul_f64 v[24:25], s[4:5], v[22:23]
	s_delay_alu instid0(VALU_DEP_2) | instskip(NEXT) | instid1(VALU_DEP_2)
	v_fma_f64 v[22:23], s[4:5], v[20:21], -v[1:2]
	v_fma_f64 v[24:25], s[6:7], v[20:21], v[24:25]
	v_ashrrev_i32_e32 v1, 31, v0
	s_delay_alu instid0(VALU_DEP_1) | instskip(NEXT) | instid1(VALU_DEP_1)
	v_lshlrev_b64 v[1:2], 4, v[0:1]
	v_add_co_u32 v1, s0, v5, v1
	s_delay_alu instid0(VALU_DEP_1)
	v_add_co_ci_u32_e64 v2, s0, v6, v2, s0
	global_store_b128 v[1:2], v[22:25], off
.LBB758_13:
	s_or_b32 exec_lo, exec_lo, s1
	v_add_nc_u32_e32 v2, 16, v0
	s_delay_alu instid0(VALU_DEP_1) | instskip(NEXT) | instid1(VALU_DEP_1)
	v_cmp_le_i32_e64 s0, v2, v4
	s_and_b32 s1, vcc_lo, s0
	s_delay_alu instid0(SALU_CYCLE_1)
	s_and_saveexec_b32 s0, s1
	s_cbranch_execz .LBB758_15
; %bb.14:
	v_mul_f64 v[20:21], s[6:7], v[18:19]
	v_mul_f64 v[22:23], s[4:5], v[18:19]
	v_ashrrev_i32_e32 v3, 31, v2
	s_delay_alu instid0(VALU_DEP_3) | instskip(NEXT) | instid1(VALU_DEP_3)
	v_fma_f64 v[18:19], s[4:5], v[16:17], -v[20:21]
	v_fma_f64 v[20:21], s[6:7], v[16:17], v[22:23]
	s_delay_alu instid0(VALU_DEP_3) | instskip(NEXT) | instid1(VALU_DEP_1)
	v_lshlrev_b64 v[16:17], 4, v[2:3]
	v_add_co_u32 v5, vcc_lo, v5, v16
	s_delay_alu instid0(VALU_DEP_2)
	v_add_co_ci_u32_e32 v6, vcc_lo, v6, v17, vcc_lo
	global_store_b128 v[5:6], v[18:21], off
.LBB758_15:
	s_or_b32 exec_lo, exec_lo, s0
	v_add_nc_u32_e32 v3, 16, v4
	s_delay_alu instid0(VALU_DEP_1) | instskip(SKIP_2) | instid1(VALU_DEP_1)
	v_mad_i64_i32 v[4:5], null, v3, s2, 0
	v_cmp_gt_i32_e32 vcc_lo, s8, v3
	v_cmp_le_i32_e64 s0, v0, v3
	s_and_b32 s0, vcc_lo, s0
	s_delay_alu instid0(VALU_DEP_3) | instskip(NEXT) | instid1(VALU_DEP_1)
	v_lshlrev_b64 v[4:5], 4, v[4:5]
	v_add_co_u32 v4, s1, s10, v4
	s_delay_alu instid0(VALU_DEP_1)
	v_add_co_ci_u32_e64 v5, s1, s11, v5, s1
	s_and_saveexec_b32 s1, s0
	s_cbranch_execz .LBB758_17
; %bb.16:
	v_mul_f64 v[6:7], s[6:7], v[14:15]
	v_mul_f64 v[16:17], s[4:5], v[14:15]
	v_ashrrev_i32_e32 v1, 31, v0
	s_delay_alu instid0(VALU_DEP_1) | instskip(NEXT) | instid1(VALU_DEP_1)
	v_lshlrev_b64 v[0:1], 4, v[0:1]
	v_add_co_u32 v0, s0, v4, v0
	s_delay_alu instid0(VALU_DEP_1)
	v_add_co_ci_u32_e64 v1, s0, v5, v1, s0
	v_fma_f64 v[14:15], s[4:5], v[12:13], -v[6:7]
	v_fma_f64 v[16:17], s[6:7], v[12:13], v[16:17]
	global_store_b128 v[0:1], v[14:17], off
.LBB758_17:
	s_or_b32 exec_lo, exec_lo, s1
	v_cmp_le_i32_e64 s0, v2, v3
	s_delay_alu instid0(VALU_DEP_1) | instskip(NEXT) | instid1(SALU_CYCLE_1)
	s_and_b32 s0, vcc_lo, s0
	s_and_saveexec_b32 s1, s0
	s_cbranch_execz .LBB758_19
; %bb.18:
	v_mul_f64 v[0:1], s[6:7], v[8:9]
	v_mul_f64 v[8:9], s[4:5], v[8:9]
	v_ashrrev_i32_e32 v3, 31, v2
	s_delay_alu instid0(VALU_DEP_3) | instskip(NEXT) | instid1(VALU_DEP_3)
	v_fma_f64 v[6:7], s[4:5], v[10:11], -v[0:1]
	v_fma_f64 v[8:9], s[6:7], v[10:11], v[8:9]
	s_delay_alu instid0(VALU_DEP_3) | instskip(NEXT) | instid1(VALU_DEP_1)
	v_lshlrev_b64 v[0:1], 4, v[2:3]
	v_add_co_u32 v0, vcc_lo, v4, v0
	s_delay_alu instid0(VALU_DEP_2)
	v_add_co_ci_u32_e32 v1, vcc_lo, v5, v1, vcc_lo
	global_store_b128 v[0:1], v[6:9], off
.LBB758_19:
	s_nop 0
	s_sendmsg sendmsg(MSG_DEALLOC_VGPRS)
	s_endpgm
	.section	.rodata,"a",@progbits
	.p2align	6, 0x0
	.amdhsa_kernel _ZL34rocblas_syrkx_herkx_general_kernelIi19rocblas_complex_numIdELi16ELi32ELi8ELb1ELb0ELc84ELc85EKPKS1_KPS1_EviT_T0_PT8_S7_lSA_S7_lS8_PT9_S7_li
		.amdhsa_group_segment_fixed_size 8192
		.amdhsa_private_segment_fixed_size 0
		.amdhsa_kernarg_size 116
		.amdhsa_user_sgpr_count 13
		.amdhsa_user_sgpr_dispatch_ptr 0
		.amdhsa_user_sgpr_queue_ptr 0
		.amdhsa_user_sgpr_kernarg_segment_ptr 1
		.amdhsa_user_sgpr_dispatch_id 0
		.amdhsa_user_sgpr_private_segment_size 0
		.amdhsa_wavefront_size32 1
		.amdhsa_uses_dynamic_stack 0
		.amdhsa_enable_private_segment 0
		.amdhsa_system_sgpr_workgroup_id_x 1
		.amdhsa_system_sgpr_workgroup_id_y 1
		.amdhsa_system_sgpr_workgroup_id_z 1
		.amdhsa_system_sgpr_workgroup_info 0
		.amdhsa_system_vgpr_workitem_id 1
		.amdhsa_next_free_vgpr 120
		.amdhsa_next_free_sgpr 21
		.amdhsa_reserve_vcc 1
		.amdhsa_float_round_mode_32 0
		.amdhsa_float_round_mode_16_64 0
		.amdhsa_float_denorm_mode_32 3
		.amdhsa_float_denorm_mode_16_64 3
		.amdhsa_dx10_clamp 1
		.amdhsa_ieee_mode 1
		.amdhsa_fp16_overflow 0
		.amdhsa_workgroup_processor_mode 1
		.amdhsa_memory_ordered 1
		.amdhsa_forward_progress 0
		.amdhsa_shared_vgpr_count 0
		.amdhsa_exception_fp_ieee_invalid_op 0
		.amdhsa_exception_fp_denorm_src 0
		.amdhsa_exception_fp_ieee_div_zero 0
		.amdhsa_exception_fp_ieee_overflow 0
		.amdhsa_exception_fp_ieee_underflow 0
		.amdhsa_exception_fp_ieee_inexact 0
		.amdhsa_exception_int_div_zero 0
	.end_amdhsa_kernel
	.section	.text._ZL34rocblas_syrkx_herkx_general_kernelIi19rocblas_complex_numIdELi16ELi32ELi8ELb1ELb0ELc84ELc85EKPKS1_KPS1_EviT_T0_PT8_S7_lSA_S7_lS8_PT9_S7_li,"axG",@progbits,_ZL34rocblas_syrkx_herkx_general_kernelIi19rocblas_complex_numIdELi16ELi32ELi8ELb1ELb0ELc84ELc85EKPKS1_KPS1_EviT_T0_PT8_S7_lSA_S7_lS8_PT9_S7_li,comdat
.Lfunc_end758:
	.size	_ZL34rocblas_syrkx_herkx_general_kernelIi19rocblas_complex_numIdELi16ELi32ELi8ELb1ELb0ELc84ELc85EKPKS1_KPS1_EviT_T0_PT8_S7_lSA_S7_lS8_PT9_S7_li, .Lfunc_end758-_ZL34rocblas_syrkx_herkx_general_kernelIi19rocblas_complex_numIdELi16ELi32ELi8ELb1ELb0ELc84ELc85EKPKS1_KPS1_EviT_T0_PT8_S7_lSA_S7_lS8_PT9_S7_li
                                        ; -- End function
	.section	.AMDGPU.csdata,"",@progbits
; Kernel info:
; codeLenInByte = 3176
; NumSgprs: 23
; NumVgprs: 120
; ScratchSize: 0
; MemoryBound: 0
; FloatMode: 240
; IeeeMode: 1
; LDSByteSize: 8192 bytes/workgroup (compile time only)
; SGPRBlocks: 2
; VGPRBlocks: 14
; NumSGPRsForWavesPerEU: 23
; NumVGPRsForWavesPerEU: 120
; Occupancy: 12
; WaveLimiterHint : 1
; COMPUTE_PGM_RSRC2:SCRATCH_EN: 0
; COMPUTE_PGM_RSRC2:USER_SGPR: 13
; COMPUTE_PGM_RSRC2:TRAP_HANDLER: 0
; COMPUTE_PGM_RSRC2:TGID_X_EN: 1
; COMPUTE_PGM_RSRC2:TGID_Y_EN: 1
; COMPUTE_PGM_RSRC2:TGID_Z_EN: 1
; COMPUTE_PGM_RSRC2:TIDIG_COMP_CNT: 1
	.section	.text._ZL34rocblas_syrkx_herkx_general_kernelIi19rocblas_complex_numIdELi16ELi32ELi8ELb1ELb0ELc67ELc85EKPKS1_KPS1_EviT_T0_PT8_S7_lSA_S7_lS8_PT9_S7_li,"axG",@progbits,_ZL34rocblas_syrkx_herkx_general_kernelIi19rocblas_complex_numIdELi16ELi32ELi8ELb1ELb0ELc67ELc85EKPKS1_KPS1_EviT_T0_PT8_S7_lSA_S7_lS8_PT9_S7_li,comdat
	.globl	_ZL34rocblas_syrkx_herkx_general_kernelIi19rocblas_complex_numIdELi16ELi32ELi8ELb1ELb0ELc67ELc85EKPKS1_KPS1_EviT_T0_PT8_S7_lSA_S7_lS8_PT9_S7_li ; -- Begin function _ZL34rocblas_syrkx_herkx_general_kernelIi19rocblas_complex_numIdELi16ELi32ELi8ELb1ELb0ELc67ELc85EKPKS1_KPS1_EviT_T0_PT8_S7_lSA_S7_lS8_PT9_S7_li
	.p2align	8
	.type	_ZL34rocblas_syrkx_herkx_general_kernelIi19rocblas_complex_numIdELi16ELi32ELi8ELb1ELb0ELc67ELc85EKPKS1_KPS1_EviT_T0_PT8_S7_lSA_S7_lS8_PT9_S7_li,@function
_ZL34rocblas_syrkx_herkx_general_kernelIi19rocblas_complex_numIdELi16ELi32ELi8ELb1ELb0ELc67ELc85EKPKS1_KPS1_EviT_T0_PT8_S7_lSA_S7_lS8_PT9_S7_li: ; @_ZL34rocblas_syrkx_herkx_general_kernelIi19rocblas_complex_numIdELi16ELi32ELi8ELb1ELb0ELc67ELc85EKPKS1_KPS1_EviT_T0_PT8_S7_lSA_S7_lS8_PT9_S7_li
; %bb.0:
	s_clause 0x2
	s_load_b64 s[4:5], s[0:1], 0x58
	s_load_b64 s[18:19], s[0:1], 0x18
	;; [unrolled: 1-line block ×3, first 2 shown]
	s_mov_b32 s16, s15
	s_mov_b32 s17, 0
	v_mov_b32_e32 v23, 0
	s_lshl_b64 s[2:3], s[16:17], 3
	v_dual_mov_b32 v24, 0 :: v_dual_and_b32 v27, 0x3ff, v0
	v_bfe_u32 v28, v0, 10, 10
	s_delay_alu instid0(VALU_DEP_3) | instskip(NEXT) | instid1(VALU_DEP_3)
	v_mov_b32_e32 v19, v23
	v_dual_mov_b32 v21, v23 :: v_dual_mov_b32 v22, v24
	v_dual_mov_b32 v26, v24 :: v_dual_mov_b32 v25, v23
	;; [unrolled: 1-line block ×4, first 2 shown]
	v_mov_b32_e32 v18, v24
	s_waitcnt lgkmcnt(0)
	s_add_u32 s10, s4, s2
	s_addc_u32 s11, s5, s3
	s_load_b128 s[4:7], s[0:1], 0x8
	s_load_b64 s[10:11], s[10:11], 0x0
	v_dual_mov_b32 v11, v23 :: v_dual_mov_b32 v12, v24
	v_dual_mov_b32 v13, v23 :: v_dual_mov_b32 v14, v24
	s_lshl_b32 s12, s13, 5
	s_lshl_b32 s13, s14, 5
	s_cmp_lt_i32 s9, 1
	s_cbranch_scc1 .LBB759_9
; %bb.1:
	s_clause 0x1
	s_load_b64 s[14:15], s[0:1], 0x30
	s_load_b32 s16, s[0:1], 0x20
	v_lshl_add_u32 v0, v28, 4, v27
	s_load_b32 s20, s[0:1], 0x38
	v_dual_mov_b32 v5, 0 :: v_dual_lshlrev_b32 v30, 4, v27
	v_dual_mov_b32 v6, 0 :: v_dual_and_b32 v29, 7, v27
	s_delay_alu instid0(VALU_DEP_3) | instskip(SKIP_2) | instid1(VALU_DEP_4)
	v_and_b32_e32 v2, 31, v0
	v_lshrrev_b32_e32 v3, 3, v0
	v_lshrrev_b32_e32 v32, 5, v0
	v_lshlrev_b32_e32 v4, 4, v29
	v_dual_mov_b32 v14, v6 :: v_dual_mov_b32 v13, v5
	v_add_nc_u32_e32 v7, s12, v2
	v_add_nc_u32_e32 v8, s13, v3
	v_mov_b32_e32 v12, v6
	v_mov_b32_e32 v18, v6
	v_dual_mov_b32 v16, v6 :: v_dual_mov_b32 v11, v5
	s_waitcnt lgkmcnt(0)
	s_add_u32 s14, s14, s2
	s_addc_u32 s15, s15, s3
	s_add_u32 s2, s18, s2
	s_addc_u32 s3, s19, s3
	v_mad_i64_i32 v[0:1], null, s16, v7, 0
	s_load_b64 s[18:19], s[2:3], 0x0
	v_or_b32_e32 v7, s12, v2
	v_dual_mov_b32 v17, v5 :: v_dual_lshlrev_b32 v2, 4, v2
	v_lshl_or_b32 v9, v3, 7, v4
	s_load_b64 s[14:15], s[14:15], 0x0
	s_delay_alu instid0(VALU_DEP_4) | instskip(NEXT) | instid1(VALU_DEP_3)
	v_lshlrev_b64 v[0:1], 4, v[0:1]
	v_lshl_or_b32 v33, v32, 9, v2
	v_mov_b32_e32 v15, v5
	v_mad_i64_i32 v[2:3], null, s20, v8, 0
	v_lshlrev_b32_e32 v10, 4, v32
	v_dual_mov_b32 v22, v6 :: v_dual_mov_b32 v21, v5
	v_cmp_gt_i32_e32 vcc_lo, s8, v7
	v_cmp_gt_i32_e64 s2, s8, v8
	s_delay_alu instid0(VALU_DEP_4) | instskip(NEXT) | instid1(VALU_DEP_1)
	v_add_co_u32 v7, s3, v0, v10
	v_add_co_ci_u32_e64 v8, s3, 0, v1, s3
	v_lshlrev_b64 v[0:1], 4, v[2:3]
	s_waitcnt lgkmcnt(0)
	s_delay_alu instid0(VALU_DEP_3) | instskip(NEXT) | instid1(VALU_DEP_1)
	v_add_co_u32 v2, s3, v7, s18
	v_add_co_ci_u32_e64 v3, s3, s19, v8, s3
	v_add_nc_u32_e32 v34, 0x1000, v9
	s_delay_alu instid0(VALU_DEP_4) | instskip(NEXT) | instid1(VALU_DEP_1)
	v_add_co_u32 v0, s3, v0, v4
	v_add_co_ci_u32_e64 v1, s3, 0, v1, s3
	v_add_co_u32 v7, s3, v2, 8
	s_delay_alu instid0(VALU_DEP_1) | instskip(NEXT) | instid1(VALU_DEP_4)
	v_add_co_ci_u32_e64 v8, s3, 0, v3, s3
	v_add_co_u32 v9, s3, s14, v0
	v_dual_mov_b32 v20, v6 :: v_dual_mov_b32 v19, v5
	v_mov_b32_e32 v26, v6
	v_mov_b32_e32 v24, v6
	v_lshl_add_u32 v31, v28, 7, 0x1000
	v_add_co_ci_u32_e64 v10, s3, s15, v1, s3
	v_dual_mov_b32 v0, 0 :: v_dual_mov_b32 v25, v5
	v_mov_b32_e32 v23, v5
	s_xor_b32 s3, s2, -1
	s_branch .LBB759_3
.LBB759_2:                              ;   in Loop: Header=BB759_3 Depth=1
	s_or_b32 exec_lo, exec_lo, s2
	s_waitcnt lgkmcnt(0)
	s_barrier
	buffer_gl0_inv
	ds_load_b128 v[1:4], v31
	ds_load_b128 v[35:38], v30
	ds_load_b128 v[39:42], v30 offset:256
	ds_load_b128 v[43:46], v31 offset:2048
	;; [unrolled: 1-line block ×9, first 2 shown]
	v_add_co_u32 v7, s2, 0x80, v7
	s_delay_alu instid0(VALU_DEP_1) | instskip(SKIP_1) | instid1(VALU_DEP_1)
	v_add_co_ci_u32_e64 v8, s2, 0, v8, s2
	v_add_co_u32 v9, s2, 0x80, v9
	v_add_co_ci_u32_e64 v10, s2, 0, v10, s2
	s_add_i32 s17, s17, 8
	s_delay_alu instid0(SALU_CYCLE_1)
	s_cmp_ge_i32 s17, s9
	s_waitcnt lgkmcnt(9)
	v_mul_f64 v[75:76], v[3:4], v[37:38]
	v_mul_f64 v[77:78], v[1:2], v[37:38]
	s_waitcnt lgkmcnt(8)
	v_mul_f64 v[79:80], v[3:4], v[41:42]
	v_mul_f64 v[81:82], v[1:2], v[41:42]
	;; [unrolled: 3-line block ×3, first 2 shown]
	v_mul_f64 v[85:86], v[45:46], v[41:42]
	v_mul_f64 v[41:42], v[43:44], v[41:42]
	s_waitcnt lgkmcnt(4)
	v_mul_f64 v[87:88], v[49:50], v[57:58]
	v_mul_f64 v[89:90], v[47:48], v[57:58]
	s_waitcnt lgkmcnt(3)
	v_mul_f64 v[91:92], v[49:50], v[61:62]
	v_mul_f64 v[93:94], v[47:48], v[61:62]
	;; [unrolled: 1-line block ×6, first 2 shown]
	s_waitcnt lgkmcnt(0)
	v_mul_f64 v[115:116], v[73:74], v[65:66]
	v_mul_f64 v[117:118], v[73:74], v[69:70]
	v_fma_f64 v[99:100], v[1:2], v[35:36], -v[75:76]
	v_fma_f64 v[101:102], v[3:4], v[35:36], v[77:78]
	v_fma_f64 v[79:80], v[1:2], v[39:40], -v[79:80]
	v_fma_f64 v[81:82], v[3:4], v[39:40], v[81:82]
	;; [unrolled: 2-line block ×4, first 2 shown]
	ds_load_b128 v[75:78], v31 offset:32
	v_fma_f64 v[87:88], v[47:48], v[55:56], -v[87:88]
	v_fma_f64 v[89:90], v[49:50], v[55:56], v[89:90]
	v_fma_f64 v[47:48], v[47:48], v[59:60], -v[91:92]
	v_fma_f64 v[49:50], v[49:50], v[59:60], v[93:94]
	;; [unrolled: 2-line block ×4, first 2 shown]
	ds_load_b128 v[1:4], v31 offset:48
	ds_load_b128 v[35:38], v31 offset:2096
	;; [unrolled: 1-line block ×4, first 2 shown]
	s_waitcnt lgkmcnt(4)
	v_mul_f64 v[107:108], v[77:78], v[65:66]
	v_mul_f64 v[109:110], v[75:76], v[65:66]
	;; [unrolled: 1-line block ×6, first 2 shown]
	s_waitcnt lgkmcnt(1)
	v_mul_f64 v[93:94], v[1:2], v[41:42]
	s_waitcnt lgkmcnt(0)
	v_mul_f64 v[95:96], v[3:4], v[45:46]
	v_add_f64 v[23:24], v[23:24], v[99:100]
	v_add_f64 v[25:26], v[25:26], v[101:102]
	;; [unrolled: 1-line block ×8, first 2 shown]
	v_mul_f64 v[85:86], v[3:4], v[41:42]
	v_mul_f64 v[97:98], v[1:2], v[45:46]
	v_mul_f64 v[99:100], v[37:38], v[41:42]
	v_mul_f64 v[41:42], v[35:36], v[41:42]
	v_mul_f64 v[101:102], v[37:38], v[45:46]
	v_mul_f64 v[103:104], v[35:36], v[45:46]
	ds_load_b128 v[11:14], v30 offset:2048
	ds_load_b128 v[15:18], v30 offset:2304
	;; [unrolled: 1-line block ×3, first 2 shown]
	v_fma_f64 v[105:106], v[75:76], v[63:64], -v[107:108]
	v_fma_f64 v[107:108], v[77:78], v[63:64], v[109:110]
	v_fma_f64 v[75:76], v[75:76], v[67:68], -v[111:112]
	v_fma_f64 v[77:78], v[77:78], v[67:68], v[113:114]
	;; [unrolled: 2-line block ×4, first 2 shown]
	s_waitcnt lgkmcnt(0)
	v_mul_f64 v[115:116], v[21:22], v[13:14]
	v_mul_f64 v[117:118], v[21:22], v[17:18]
	v_add_f64 v[69:70], v[23:24], v[87:88]
	v_add_f64 v[71:72], v[25:26], v[89:90]
	;; [unrolled: 1-line block ×8, first 2 shown]
	ds_load_b128 v[23:26], v31 offset:64
	v_fma_f64 v[85:86], v[1:2], v[39:40], -v[85:86]
	v_fma_f64 v[93:94], v[3:4], v[39:40], v[93:94]
	v_fma_f64 v[95:96], v[1:2], v[43:44], -v[95:96]
	v_fma_f64 v[97:98], v[3:4], v[43:44], v[97:98]
	v_fma_f64 v[99:100], v[35:36], v[39:40], -v[99:100]
	v_fma_f64 v[119:120], v[37:38], v[39:40], v[41:42]
	v_fma_f64 v[101:102], v[35:36], v[43:44], -v[101:102]
	v_fma_f64 v[43:44], v[37:38], v[43:44], v[103:104]
	ds_load_b128 v[45:48], v31 offset:80
	ds_load_b128 v[49:52], v31 offset:2128
	;; [unrolled: 1-line block ×7, first 2 shown]
	s_waitcnt lgkmcnt(7)
	v_mul_f64 v[89:90], v[25:26], v[13:14]
	v_mul_f64 v[91:92], v[23:24], v[13:14]
	;; [unrolled: 1-line block ×6, first 2 shown]
	s_waitcnt lgkmcnt(3)
	v_mul_f64 v[103:104], v[51:52], v[59:60]
	v_add_f64 v[69:70], v[69:70], v[105:106]
	v_add_f64 v[71:72], v[71:72], v[107:108]
	;; [unrolled: 1-line block ×8, first 2 shown]
	v_mul_f64 v[77:78], v[47:48], v[55:56]
	v_mul_f64 v[79:80], v[45:46], v[55:56]
	;; [unrolled: 1-line block ×7, first 2 shown]
	v_fma_f64 v[89:90], v[23:24], v[11:12], -v[89:90]
	v_fma_f64 v[91:92], v[25:26], v[11:12], v[91:92]
	v_fma_f64 v[107:108], v[23:24], v[15:16], -v[111:112]
	v_fma_f64 v[109:110], v[25:26], v[15:16], v[113:114]
	;; [unrolled: 2-line block ×4, first 2 shown]
	ds_load_b128 v[11:14], v31 offset:96
	v_add_f64 v[69:70], v[69:70], v[85:86]
	v_add_f64 v[71:72], v[71:72], v[93:94]
	;; [unrolled: 1-line block ×8, first 2 shown]
	s_waitcnt lgkmcnt(1)
	v_mul_f64 v[99:100], v[41:42], v[3:4]
	v_mul_f64 v[101:102], v[41:42], v[37:38]
	v_fma_f64 v[77:78], v[45:46], v[53:54], -v[77:78]
	v_fma_f64 v[79:80], v[47:48], v[53:54], v[79:80]
	v_fma_f64 v[45:46], v[45:46], v[57:58], -v[81:82]
	v_fma_f64 v[47:48], v[47:48], v[57:58], v[83:84]
	;; [unrolled: 2-line block ×4, first 2 shown]
	s_waitcnt lgkmcnt(0)
	v_mul_f64 v[67:68], v[13:14], v[3:4]
	v_mul_f64 v[93:94], v[11:12], v[3:4]
	;; [unrolled: 1-line block ×6, first 2 shown]
	ds_load_b128 v[15:18], v31 offset:112
	ds_load_b128 v[19:22], v31 offset:2160
	ds_load_b128 v[23:26], v30 offset:3584
	ds_load_b128 v[59:62], v30 offset:3840
	s_waitcnt lgkmcnt(0)
	s_barrier
	buffer_gl0_inv
	v_add_f64 v[55:56], v[69:70], v[89:90]
	v_add_f64 v[57:58], v[71:72], v[91:92]
	;; [unrolled: 1-line block ×8, first 2 shown]
	v_mul_f64 v[75:76], v[17:18], v[25:26]
	v_mul_f64 v[83:84], v[15:16], v[25:26]
	;; [unrolled: 1-line block ×8, first 2 shown]
	v_fma_f64 v[67:68], v[11:12], v[1:2], -v[67:68]
	v_fma_f64 v[93:94], v[13:14], v[1:2], v[93:94]
	v_fma_f64 v[11:12], v[11:12], v[35:36], -v[95:96]
	v_fma_f64 v[13:14], v[13:14], v[35:36], v[97:98]
	;; [unrolled: 2-line block ×4, first 2 shown]
	v_add_f64 v[37:38], v[55:56], v[77:78]
	v_add_f64 v[39:40], v[57:58], v[79:80]
	v_add_f64 v[41:42], v[69:70], v[45:46]
	v_add_f64 v[45:46], v[71:72], v[47:48]
	v_add_f64 v[47:48], v[73:74], v[81:82]
	v_add_f64 v[53:54], v[63:64], v[53:54]
	v_add_f64 v[49:50], v[65:66], v[49:50]
	v_add_f64 v[43:44], v[43:44], v[51:52]
	v_fma_f64 v[51:52], v[15:16], v[23:24], -v[75:76]
	v_fma_f64 v[55:56], v[17:18], v[23:24], v[83:84]
	v_fma_f64 v[15:16], v[15:16], v[59:60], -v[85:86]
	v_fma_f64 v[17:18], v[17:18], v[59:60], v[87:88]
	v_fma_f64 v[57:58], v[19:20], v[23:24], -v[89:90]
	v_fma_f64 v[63:64], v[21:22], v[23:24], v[25:26]
	v_fma_f64 v[65:66], v[19:20], v[59:60], -v[91:92]
	v_fma_f64 v[59:60], v[21:22], v[59:60], v[61:62]
	v_add_f64 v[19:20], v[37:38], v[67:68]
	v_add_f64 v[21:22], v[39:40], v[93:94]
	v_add_f64 v[11:12], v[41:42], v[11:12]
	v_add_f64 v[13:14], v[45:46], v[13:14]
	v_add_f64 v[37:38], v[47:48], v[95:96]
	v_add_f64 v[1:2], v[53:54], v[1:2]
	v_add_f64 v[3:4], v[49:50], v[3:4]
	v_add_f64 v[35:36], v[43:44], v[35:36]
	v_add_f64 v[23:24], v[19:20], v[51:52]
	v_add_f64 v[25:26], v[21:22], v[55:56]
	v_add_f64 v[19:20], v[11:12], v[15:16]
	v_add_f64 v[21:22], v[13:14], v[17:18]
	v_add_f64 v[15:16], v[37:38], v[57:58]
	v_add_f64 v[17:18], v[1:2], v[63:64]
	v_add_f64 v[11:12], v[3:4], v[65:66]
	v_add_f64 v[13:14], v[35:36], v[59:60]
	s_cbranch_scc1 .LBB759_9
.LBB759_3:                              ; =>This Inner Loop Header: Depth=1
	v_add_nc_u32_e32 v1, s17, v32
	v_dual_mov_b32 v3, v5 :: v_dual_mov_b32 v4, v6
	s_delay_alu instid0(VALU_DEP_2) | instskip(SKIP_1) | instid1(VALU_DEP_2)
	v_cmp_gt_i32_e64 s2, s9, v1
	v_dual_mov_b32 v1, v5 :: v_dual_mov_b32 v2, v6
	s_and_b32 s14, vcc_lo, s2
	s_delay_alu instid0(SALU_CYCLE_1)
	s_and_saveexec_b32 s2, s14
	s_cbranch_execz .LBB759_5
; %bb.4:                                ;   in Loop: Header=BB759_3 Depth=1
	global_load_b128 v[1:4], v[7:8], off offset:-8
.LBB759_5:                              ;   in Loop: Header=BB759_3 Depth=1
	s_or_b32 exec_lo, exec_lo, s2
	v_add_nc_u32_e32 v35, s17, v29
	s_waitcnt vmcnt(0)
	ds_store_b128 v33, v[1:4]
	v_cmp_le_i32_e64 s2, s9, v35
	s_delay_alu instid0(VALU_DEP_1) | instskip(NEXT) | instid1(SALU_CYCLE_1)
	s_or_b32 s2, s2, s3
	s_and_saveexec_b32 s14, s2
	s_delay_alu instid0(SALU_CYCLE_1)
	s_xor_b32 s2, exec_lo, s14
	s_cbranch_execz .LBB759_7
; %bb.6:                                ;   in Loop: Header=BB759_3 Depth=1
	v_mov_b32_e32 v1, v0
	v_mov_b32_e32 v2, v0
	v_mov_b32_e32 v3, v0
	ds_store_b128 v34, v[0:3]
.LBB759_7:                              ;   in Loop: Header=BB759_3 Depth=1
	s_and_not1_saveexec_b32 s2, s2
	s_cbranch_execz .LBB759_2
; %bb.8:                                ;   in Loop: Header=BB759_3 Depth=1
	global_load_b128 v[1:4], v[9:10], off
	s_waitcnt vmcnt(0)
	ds_store_2addr_b64 v34, v[1:2], v[3:4] offset1:1
	s_branch .LBB759_2
.LBB759_9:
	s_load_b32 s2, s[0:1], 0x60
	v_add_nc_u32_e32 v4, s13, v28
	v_add_nc_u32_e32 v0, s12, v27
	s_delay_alu instid0(VALU_DEP_2) | instskip(NEXT) | instid1(VALU_DEP_2)
	v_cmp_gt_i32_e32 vcc_lo, s8, v4
	v_cmp_le_i32_e64 s0, v0, v4
	s_delay_alu instid0(VALU_DEP_1) | instskip(SKIP_2) | instid1(VALU_DEP_1)
	s_and_b32 s0, vcc_lo, s0
	s_waitcnt lgkmcnt(0)
	v_mad_i64_i32 v[1:2], null, v4, s2, 0
	v_lshlrev_b64 v[1:2], 4, v[1:2]
	s_delay_alu instid0(VALU_DEP_1) | instskip(NEXT) | instid1(VALU_DEP_1)
	v_add_co_u32 v5, s1, s10, v1
	v_add_co_ci_u32_e64 v6, s1, s11, v2, s1
	s_and_saveexec_b32 s1, s0
	s_cbranch_execz .LBB759_11
; %bb.10:
	v_mul_f64 v[1:2], s[6:7], v[25:26]
	v_mul_f64 v[9:10], s[4:5], v[25:26]
	s_delay_alu instid0(VALU_DEP_2) | instskip(NEXT) | instid1(VALU_DEP_2)
	v_fma_f64 v[7:8], s[4:5], v[23:24], -v[1:2]
	v_fma_f64 v[9:10], s[6:7], v[23:24], v[9:10]
	v_ashrrev_i32_e32 v1, 31, v0
	s_delay_alu instid0(VALU_DEP_1) | instskip(NEXT) | instid1(VALU_DEP_1)
	v_lshlrev_b64 v[1:2], 4, v[0:1]
	v_add_co_u32 v1, s0, v5, v1
	s_delay_alu instid0(VALU_DEP_1)
	v_add_co_ci_u32_e64 v2, s0, v6, v2, s0
	global_store_b128 v[1:2], v[7:10], off
.LBB759_11:
	s_or_b32 exec_lo, exec_lo, s1
	v_add_nc_u32_e32 v2, 16, v0
	s_delay_alu instid0(VALU_DEP_1) | instskip(NEXT) | instid1(VALU_DEP_1)
	v_cmp_le_i32_e64 s0, v2, v4
	s_and_b32 s1, vcc_lo, s0
	s_delay_alu instid0(SALU_CYCLE_1)
	s_and_saveexec_b32 s0, s1
	s_cbranch_execz .LBB759_13
; %bb.12:
	v_mul_f64 v[7:8], s[6:7], v[21:22]
	v_mul_f64 v[9:10], s[4:5], v[21:22]
	v_ashrrev_i32_e32 v3, 31, v2
	s_delay_alu instid0(VALU_DEP_3) | instskip(NEXT) | instid1(VALU_DEP_3)
	v_fma_f64 v[7:8], s[4:5], v[19:20], -v[7:8]
	v_fma_f64 v[9:10], s[6:7], v[19:20], v[9:10]
	s_delay_alu instid0(VALU_DEP_3) | instskip(NEXT) | instid1(VALU_DEP_1)
	v_lshlrev_b64 v[19:20], 4, v[2:3]
	v_add_co_u32 v5, vcc_lo, v5, v19
	s_delay_alu instid0(VALU_DEP_2)
	v_add_co_ci_u32_e32 v6, vcc_lo, v6, v20, vcc_lo
	global_store_b128 v[5:6], v[7:10], off
.LBB759_13:
	s_or_b32 exec_lo, exec_lo, s0
	v_add_nc_u32_e32 v3, 16, v4
	s_delay_alu instid0(VALU_DEP_1) | instskip(SKIP_2) | instid1(VALU_DEP_1)
	v_mad_i64_i32 v[4:5], null, v3, s2, 0
	v_cmp_gt_i32_e32 vcc_lo, s8, v3
	v_cmp_le_i32_e64 s0, v0, v3
	s_and_b32 s0, vcc_lo, s0
	s_delay_alu instid0(VALU_DEP_3) | instskip(NEXT) | instid1(VALU_DEP_1)
	v_lshlrev_b64 v[4:5], 4, v[4:5]
	v_add_co_u32 v4, s1, s10, v4
	s_delay_alu instid0(VALU_DEP_1)
	v_add_co_ci_u32_e64 v5, s1, s11, v5, s1
	s_and_saveexec_b32 s1, s0
	s_cbranch_execz .LBB759_15
; %bb.14:
	v_mul_f64 v[6:7], s[6:7], v[17:18]
	v_mul_f64 v[8:9], s[4:5], v[17:18]
	v_ashrrev_i32_e32 v1, 31, v0
	s_delay_alu instid0(VALU_DEP_1) | instskip(NEXT) | instid1(VALU_DEP_1)
	v_lshlrev_b64 v[0:1], 4, v[0:1]
	v_add_co_u32 v0, s0, v4, v0
	s_delay_alu instid0(VALU_DEP_1)
	v_add_co_ci_u32_e64 v1, s0, v5, v1, s0
	v_fma_f64 v[6:7], s[4:5], v[15:16], -v[6:7]
	v_fma_f64 v[8:9], s[6:7], v[15:16], v[8:9]
	global_store_b128 v[0:1], v[6:9], off
.LBB759_15:
	s_or_b32 exec_lo, exec_lo, s1
	v_cmp_le_i32_e64 s0, v2, v3
	s_delay_alu instid0(VALU_DEP_1) | instskip(NEXT) | instid1(SALU_CYCLE_1)
	s_and_b32 s0, vcc_lo, s0
	s_and_saveexec_b32 s1, s0
	s_cbranch_execz .LBB759_17
; %bb.16:
	v_mul_f64 v[0:1], s[6:7], v[13:14]
	v_mul_f64 v[8:9], s[4:5], v[13:14]
	v_ashrrev_i32_e32 v3, 31, v2
	s_delay_alu instid0(VALU_DEP_3) | instskip(NEXT) | instid1(VALU_DEP_3)
	v_fma_f64 v[6:7], s[4:5], v[11:12], -v[0:1]
	v_fma_f64 v[8:9], s[6:7], v[11:12], v[8:9]
	s_delay_alu instid0(VALU_DEP_3) | instskip(NEXT) | instid1(VALU_DEP_1)
	v_lshlrev_b64 v[0:1], 4, v[2:3]
	v_add_co_u32 v0, vcc_lo, v4, v0
	s_delay_alu instid0(VALU_DEP_2)
	v_add_co_ci_u32_e32 v1, vcc_lo, v5, v1, vcc_lo
	global_store_b128 v[0:1], v[6:9], off
.LBB759_17:
	s_nop 0
	s_sendmsg sendmsg(MSG_DEALLOC_VGPRS)
	s_endpgm
	.section	.rodata,"a",@progbits
	.p2align	6, 0x0
	.amdhsa_kernel _ZL34rocblas_syrkx_herkx_general_kernelIi19rocblas_complex_numIdELi16ELi32ELi8ELb1ELb0ELc67ELc85EKPKS1_KPS1_EviT_T0_PT8_S7_lSA_S7_lS8_PT9_S7_li
		.amdhsa_group_segment_fixed_size 8192
		.amdhsa_private_segment_fixed_size 0
		.amdhsa_kernarg_size 116
		.amdhsa_user_sgpr_count 13
		.amdhsa_user_sgpr_dispatch_ptr 0
		.amdhsa_user_sgpr_queue_ptr 0
		.amdhsa_user_sgpr_kernarg_segment_ptr 1
		.amdhsa_user_sgpr_dispatch_id 0
		.amdhsa_user_sgpr_private_segment_size 0
		.amdhsa_wavefront_size32 1
		.amdhsa_uses_dynamic_stack 0
		.amdhsa_enable_private_segment 0
		.amdhsa_system_sgpr_workgroup_id_x 1
		.amdhsa_system_sgpr_workgroup_id_y 1
		.amdhsa_system_sgpr_workgroup_id_z 1
		.amdhsa_system_sgpr_workgroup_info 0
		.amdhsa_system_vgpr_workitem_id 1
		.amdhsa_next_free_vgpr 121
		.amdhsa_next_free_sgpr 21
		.amdhsa_reserve_vcc 1
		.amdhsa_float_round_mode_32 0
		.amdhsa_float_round_mode_16_64 0
		.amdhsa_float_denorm_mode_32 3
		.amdhsa_float_denorm_mode_16_64 3
		.amdhsa_dx10_clamp 1
		.amdhsa_ieee_mode 1
		.amdhsa_fp16_overflow 0
		.amdhsa_workgroup_processor_mode 1
		.amdhsa_memory_ordered 1
		.amdhsa_forward_progress 0
		.amdhsa_shared_vgpr_count 0
		.amdhsa_exception_fp_ieee_invalid_op 0
		.amdhsa_exception_fp_denorm_src 0
		.amdhsa_exception_fp_ieee_div_zero 0
		.amdhsa_exception_fp_ieee_overflow 0
		.amdhsa_exception_fp_ieee_underflow 0
		.amdhsa_exception_fp_ieee_inexact 0
		.amdhsa_exception_int_div_zero 0
	.end_amdhsa_kernel
	.section	.text._ZL34rocblas_syrkx_herkx_general_kernelIi19rocblas_complex_numIdELi16ELi32ELi8ELb1ELb0ELc67ELc85EKPKS1_KPS1_EviT_T0_PT8_S7_lSA_S7_lS8_PT9_S7_li,"axG",@progbits,_ZL34rocblas_syrkx_herkx_general_kernelIi19rocblas_complex_numIdELi16ELi32ELi8ELb1ELb0ELc67ELc85EKPKS1_KPS1_EviT_T0_PT8_S7_lSA_S7_lS8_PT9_S7_li,comdat
.Lfunc_end759:
	.size	_ZL34rocblas_syrkx_herkx_general_kernelIi19rocblas_complex_numIdELi16ELi32ELi8ELb1ELb0ELc67ELc85EKPKS1_KPS1_EviT_T0_PT8_S7_lSA_S7_lS8_PT9_S7_li, .Lfunc_end759-_ZL34rocblas_syrkx_herkx_general_kernelIi19rocblas_complex_numIdELi16ELi32ELi8ELb1ELb0ELc67ELc85EKPKS1_KPS1_EviT_T0_PT8_S7_lSA_S7_lS8_PT9_S7_li
                                        ; -- End function
	.section	.AMDGPU.csdata,"",@progbits
; Kernel info:
; codeLenInByte = 3208
; NumSgprs: 23
; NumVgprs: 121
; ScratchSize: 0
; MemoryBound: 1
; FloatMode: 240
; IeeeMode: 1
; LDSByteSize: 8192 bytes/workgroup (compile time only)
; SGPRBlocks: 2
; VGPRBlocks: 15
; NumSGPRsForWavesPerEU: 23
; NumVGPRsForWavesPerEU: 121
; Occupancy: 10
; WaveLimiterHint : 1
; COMPUTE_PGM_RSRC2:SCRATCH_EN: 0
; COMPUTE_PGM_RSRC2:USER_SGPR: 13
; COMPUTE_PGM_RSRC2:TRAP_HANDLER: 0
; COMPUTE_PGM_RSRC2:TGID_X_EN: 1
; COMPUTE_PGM_RSRC2:TGID_Y_EN: 1
; COMPUTE_PGM_RSRC2:TGID_Z_EN: 1
; COMPUTE_PGM_RSRC2:TIDIG_COMP_CNT: 1
	.section	.text._ZL34rocblas_syrkx_herkx_general_kernelIi19rocblas_complex_numIdELi16ELi32ELi8ELb1ELb0ELc78ELc85EKPKS1_KPS1_EviT_T0_PT8_S7_lSA_S7_lS8_PT9_S7_li,"axG",@progbits,_ZL34rocblas_syrkx_herkx_general_kernelIi19rocblas_complex_numIdELi16ELi32ELi8ELb1ELb0ELc78ELc85EKPKS1_KPS1_EviT_T0_PT8_S7_lSA_S7_lS8_PT9_S7_li,comdat
	.globl	_ZL34rocblas_syrkx_herkx_general_kernelIi19rocblas_complex_numIdELi16ELi32ELi8ELb1ELb0ELc78ELc85EKPKS1_KPS1_EviT_T0_PT8_S7_lSA_S7_lS8_PT9_S7_li ; -- Begin function _ZL34rocblas_syrkx_herkx_general_kernelIi19rocblas_complex_numIdELi16ELi32ELi8ELb1ELb0ELc78ELc85EKPKS1_KPS1_EviT_T0_PT8_S7_lSA_S7_lS8_PT9_S7_li
	.p2align	8
	.type	_ZL34rocblas_syrkx_herkx_general_kernelIi19rocblas_complex_numIdELi16ELi32ELi8ELb1ELb0ELc78ELc85EKPKS1_KPS1_EviT_T0_PT8_S7_lSA_S7_lS8_PT9_S7_li,@function
_ZL34rocblas_syrkx_herkx_general_kernelIi19rocblas_complex_numIdELi16ELi32ELi8ELb1ELb0ELc78ELc85EKPKS1_KPS1_EviT_T0_PT8_S7_lSA_S7_lS8_PT9_S7_li: ; @_ZL34rocblas_syrkx_herkx_general_kernelIi19rocblas_complex_numIdELi16ELi32ELi8ELb1ELb0ELc78ELc85EKPKS1_KPS1_EviT_T0_PT8_S7_lSA_S7_lS8_PT9_S7_li
; %bb.0:
	s_clause 0x2
	s_load_b64 s[2:3], s[0:1], 0x58
	s_load_b64 s[20:21], s[0:1], 0x18
	;; [unrolled: 1-line block ×3, first 2 shown]
	s_mov_b32 s16, s15
	s_mov_b32 s17, 0
	v_mov_b32_e32 v21, 0
	s_lshl_b64 s[18:19], s[16:17], 3
	v_dual_mov_b32 v22, 0 :: v_dual_and_b32 v25, 0x3ff, v0
	v_bfe_u32 v26, v0, 10, 10
	s_delay_alu instid0(VALU_DEP_3) | instskip(NEXT) | instid1(VALU_DEP_3)
	v_mov_b32_e32 v17, v21
	v_dual_mov_b32 v19, v21 :: v_dual_mov_b32 v20, v22
	v_dual_mov_b32 v24, v22 :: v_dual_mov_b32 v23, v21
	;; [unrolled: 1-line block ×4, first 2 shown]
	v_mov_b32_e32 v16, v22
	s_waitcnt lgkmcnt(0)
	s_add_u32 s2, s2, s18
	s_addc_u32 s3, s3, s19
	s_load_b128 s[4:7], s[0:1], 0x8
	s_load_b64 s[10:11], s[2:3], 0x0
	v_dual_mov_b32 v11, v21 :: v_dual_mov_b32 v12, v22
	v_dual_mov_b32 v9, v21 :: v_dual_mov_b32 v10, v22
	s_lshl_b32 s16, s13, 5
	s_lshl_b32 s22, s14, 5
	s_cmp_lt_i32 s9, 1
	s_cbranch_scc1 .LBB760_9
; %bb.1:
	s_clause 0x2
	s_load_b32 s12, s[0:1], 0x20
	s_load_b32 s14, s[0:1], 0x38
	s_load_b64 s[24:25], s[0:1], 0x30
	v_lshl_add_u32 v0, v26, 4, v25
	v_and_b32_e32 v27, 7, v25
	v_lshl_add_u32 v32, v26, 7, 0x1000
	v_mov_b32_e32 v9, 0
	s_delay_alu instid0(VALU_DEP_4) | instskip(SKIP_3) | instid1(VALU_DEP_4)
	v_dual_mov_b32 v10, 0 :: v_dual_and_b32 v1, 31, v0
	v_lshrrev_b32_e32 v28, 5, v0
	v_lshrrev_b32_e32 v3, 3, v0
	v_lshlrev_b32_e32 v4, 4, v27
	v_dual_mov_b32 v12, v10 :: v_dual_lshlrev_b32 v31, 4, v25
	v_lshlrev_b32_e32 v6, 4, v1
	v_or_b32_e32 v5, s16, v1
	v_add_nc_u32_e32 v0, s16, v1
	v_dual_mov_b32 v11, v9 :: v_dual_add_nc_u32 v2, s22, v3
	v_lshl_or_b32 v3, v3, 7, v4
	s_waitcnt lgkmcnt(0)
	s_ashr_i32 s13, s12, 31
	s_ashr_i32 s15, s14, 31
	s_add_u32 s24, s24, s18
	s_addc_u32 s25, s25, s19
	s_add_u32 s18, s20, s18
	s_addc_u32 s19, s21, s19
	v_cmp_gt_i32_e64 s2, s8, v5
	v_mad_i64_i32 v[4:5], null, v28, s12, 0
	s_load_b64 s[20:21], s[24:25], 0x0
	s_load_b64 s[18:19], s[18:19], 0x0
	v_mov_b32_e32 v16, v10
	v_lshl_or_b32 v29, v28, 9, v6
	v_mad_i64_i32 v[6:7], null, s14, v27, 0
	v_mov_b32_e32 v15, v9
	v_ashrrev_i32_e32 v1, 31, v0
	v_mov_b32_e32 v14, v10
	v_dual_mov_b32 v13, v9 :: v_dual_add_nc_u32 v30, 0x1000, v3
	v_ashrrev_i32_e32 v3, 31, v2
	v_lshlrev_b64 v[4:5], 4, v[4:5]
	v_lshlrev_b64 v[0:1], 4, v[0:1]
	v_cmp_gt_i32_e32 vcc_lo, s8, v2
	v_lshlrev_b64 v[6:7], 4, v[6:7]
	v_lshlrev_b64 v[2:3], 4, v[2:3]
	v_mov_b32_e32 v20, v10
	v_mov_b32_e32 v18, v10
	v_add_co_u32 v0, s3, v4, v0
	s_delay_alu instid0(VALU_DEP_1) | instskip(SKIP_1) | instid1(VALU_DEP_1)
	v_add_co_ci_u32_e64 v1, s3, v5, v1, s3
	v_add_co_u32 v2, s3, v6, v2
	v_add_co_ci_u32_e64 v3, s3, v7, v3, s3
	s_waitcnt lgkmcnt(0)
	v_add_co_u32 v5, s3, s18, v0
	s_delay_alu instid0(VALU_DEP_1) | instskip(SKIP_1) | instid1(VALU_DEP_1)
	v_add_co_ci_u32_e64 v6, s3, s19, v1, s3
	v_add_co_u32 v0, s3, v2, s20
	v_add_co_ci_u32_e64 v1, s3, s21, v3, s3
	v_mov_b32_e32 v24, v10
	s_delay_alu instid0(VALU_DEP_3) | instskip(SKIP_1) | instid1(VALU_DEP_4)
	v_add_co_u32 v7, s3, v0, 8
	v_dual_mov_b32 v22, v10 :: v_dual_mov_b32 v21, v9
	v_add_co_ci_u32_e64 v8, s3, 0, v1, s3
	v_dual_mov_b32 v0, 0 :: v_dual_mov_b32 v19, v9
	v_mov_b32_e32 v17, v9
	v_mov_b32_e32 v23, v9
	s_lshl_b64 s[12:13], s[12:13], 7
	s_lshl_b64 s[14:15], s[14:15], 7
	s_xor_b32 s3, s2, -1
	s_branch .LBB760_3
.LBB760_2:                              ;   in Loop: Header=BB760_3 Depth=1
	s_or_b32 exec_lo, exec_lo, s2
	s_waitcnt vmcnt(0)
	ds_store_b128 v30, v[1:4]
	s_waitcnt lgkmcnt(0)
	s_barrier
	buffer_gl0_inv
	ds_load_b128 v[1:4], v32
	ds_load_b128 v[33:36], v31
	ds_load_b128 v[37:40], v31 offset:256
	ds_load_b128 v[41:44], v32 offset:2048
	;; [unrolled: 1-line block ×9, first 2 shown]
	v_add_co_u32 v5, s2, v5, s12
	s_delay_alu instid0(VALU_DEP_1) | instskip(SKIP_1) | instid1(VALU_DEP_1)
	v_add_co_ci_u32_e64 v6, s2, s13, v6, s2
	v_add_co_u32 v7, s2, v7, s14
	v_add_co_ci_u32_e64 v8, s2, s15, v8, s2
	s_add_i32 s17, s17, 8
	s_delay_alu instid0(SALU_CYCLE_1)
	s_cmp_ge_i32 s17, s9
	s_waitcnt lgkmcnt(9)
	v_mul_f64 v[73:74], v[3:4], v[35:36]
	v_mul_f64 v[75:76], v[1:2], v[35:36]
	s_waitcnt lgkmcnt(8)
	v_mul_f64 v[77:78], v[3:4], v[39:40]
	v_mul_f64 v[79:80], v[1:2], v[39:40]
	s_waitcnt lgkmcnt(7)
	v_mul_f64 v[81:82], v[43:44], v[35:36]
	v_mul_f64 v[35:36], v[41:42], v[35:36]
	v_mul_f64 v[83:84], v[43:44], v[39:40]
	v_mul_f64 v[39:40], v[41:42], v[39:40]
	s_waitcnt lgkmcnt(4)
	v_mul_f64 v[85:86], v[47:48], v[55:56]
	v_mul_f64 v[87:88], v[45:46], v[55:56]
	s_waitcnt lgkmcnt(3)
	v_mul_f64 v[89:90], v[47:48], v[59:60]
	v_mul_f64 v[91:92], v[45:46], v[59:60]
	;; [unrolled: 1-line block ×6, first 2 shown]
	v_fma_f64 v[97:98], v[1:2], v[33:34], -v[73:74]
	v_fma_f64 v[99:100], v[3:4], v[33:34], v[75:76]
	ds_load_b128 v[73:76], v32 offset:32
	v_fma_f64 v[77:78], v[1:2], v[37:38], -v[77:78]
	v_fma_f64 v[79:80], v[3:4], v[37:38], v[79:80]
	v_fma_f64 v[81:82], v[41:42], v[33:34], -v[81:82]
	v_fma_f64 v[101:102], v[43:44], v[33:34], v[35:36]
	;; [unrolled: 2-line block ×3, first 2 shown]
	s_waitcnt lgkmcnt(1)
	v_mul_f64 v[113:114], v[71:72], v[63:64]
	v_fma_f64 v[85:86], v[45:46], v[53:54], -v[85:86]
	v_fma_f64 v[87:88], v[47:48], v[53:54], v[87:88]
	v_fma_f64 v[45:46], v[45:46], v[57:58], -v[89:90]
	v_fma_f64 v[47:48], v[47:48], v[57:58], v[91:92]
	v_mul_f64 v[89:90], v[71:72], v[67:68]
	v_fma_f64 v[91:92], v[49:50], v[53:54], -v[93:94]
	v_fma_f64 v[53:54], v[51:52], v[53:54], v[55:56]
	v_fma_f64 v[49:50], v[49:50], v[57:58], -v[95:96]
	v_fma_f64 v[51:52], v[51:52], v[57:58], v[59:60]
	ds_load_b128 v[1:4], v32 offset:48
	ds_load_b128 v[33:36], v32 offset:2096
	;; [unrolled: 1-line block ×4, first 2 shown]
	s_waitcnt lgkmcnt(4)
	v_mul_f64 v[105:106], v[75:76], v[63:64]
	v_mul_f64 v[107:108], v[73:74], v[63:64]
	;; [unrolled: 1-line block ×6, first 2 shown]
	s_waitcnt lgkmcnt(1)
	v_mul_f64 v[93:94], v[1:2], v[39:40]
	v_add_f64 v[21:22], v[21:22], v[97:98]
	v_add_f64 v[23:24], v[23:24], v[99:100]
	;; [unrolled: 1-line block ×8, first 2 shown]
	v_mul_f64 v[83:84], v[3:4], v[39:40]
	s_waitcnt lgkmcnt(0)
	v_mul_f64 v[95:96], v[3:4], v[43:44]
	v_mul_f64 v[97:98], v[1:2], v[43:44]
	;; [unrolled: 1-line block ×6, first 2 shown]
	ds_load_b128 v[9:12], v31 offset:2048
	ds_load_b128 v[13:16], v31 offset:2304
	;; [unrolled: 1-line block ×3, first 2 shown]
	v_fma_f64 v[105:106], v[73:74], v[61:62], -v[105:106]
	v_fma_f64 v[107:108], v[75:76], v[61:62], v[107:108]
	v_fma_f64 v[73:74], v[73:74], v[65:66], -v[109:110]
	v_fma_f64 v[75:76], v[75:76], v[65:66], v[111:112]
	;; [unrolled: 2-line block ×4, first 2 shown]
	s_waitcnt lgkmcnt(0)
	v_mul_f64 v[113:114], v[19:20], v[11:12]
	v_mul_f64 v[115:116], v[19:20], v[15:16]
	v_fma_f64 v[93:94], v[3:4], v[37:38], v[93:94]
	v_add_f64 v[67:68], v[21:22], v[85:86]
	v_add_f64 v[69:70], v[23:24], v[87:88]
	;; [unrolled: 1-line block ×8, first 2 shown]
	ds_load_b128 v[21:24], v32 offset:64
	v_fma_f64 v[83:84], v[1:2], v[37:38], -v[83:84]
	v_fma_f64 v[95:96], v[1:2], v[41:42], -v[95:96]
	v_fma_f64 v[97:98], v[3:4], v[41:42], v[97:98]
	v_fma_f64 v[99:100], v[33:34], v[37:38], -v[99:100]
	v_fma_f64 v[117:118], v[35:36], v[37:38], v[39:40]
	;; [unrolled: 2-line block ×3, first 2 shown]
	ds_load_b128 v[43:46], v32 offset:80
	ds_load_b128 v[47:50], v32 offset:2128
	;; [unrolled: 1-line block ×7, first 2 shown]
	s_waitcnt lgkmcnt(7)
	v_mul_f64 v[87:88], v[23:24], v[11:12]
	v_mul_f64 v[89:90], v[21:22], v[11:12]
	v_mul_f64 v[91:92], v[23:24], v[15:16]
	v_mul_f64 v[111:112], v[21:22], v[15:16]
	v_mul_f64 v[11:12], v[17:18], v[11:12]
	v_mul_f64 v[15:16], v[17:18], v[15:16]
	s_waitcnt lgkmcnt(3)
	v_mul_f64 v[103:104], v[49:50], v[57:58]
	v_add_f64 v[67:68], v[67:68], v[105:106]
	v_add_f64 v[69:70], v[69:70], v[107:108]
	;; [unrolled: 1-line block ×8, first 2 shown]
	v_mul_f64 v[75:76], v[45:46], v[53:54]
	v_mul_f64 v[77:78], v[43:44], v[53:54]
	;; [unrolled: 1-line block ×7, first 2 shown]
	v_fma_f64 v[109:110], v[17:18], v[9:10], -v[113:114]
	v_fma_f64 v[113:114], v[17:18], v[13:14], -v[115:116]
	;; [unrolled: 1-line block ×3, first 2 shown]
	v_fma_f64 v[89:90], v[23:24], v[9:10], v[89:90]
	v_fma_f64 v[91:92], v[21:22], v[13:14], -v[91:92]
	v_fma_f64 v[107:108], v[23:24], v[13:14], v[111:112]
	v_fma_f64 v[111:112], v[19:20], v[9:10], v[11:12]
	;; [unrolled: 1-line block ×3, first 2 shown]
	ds_load_b128 v[9:12], v32 offset:96
	v_add_f64 v[67:68], v[67:68], v[83:84]
	v_add_f64 v[69:70], v[69:70], v[93:94]
	;; [unrolled: 1-line block ×8, first 2 shown]
	s_waitcnt lgkmcnt(1)
	v_mul_f64 v[99:100], v[39:40], v[3:4]
	v_fma_f64 v[75:76], v[43:44], v[51:52], -v[75:76]
	v_fma_f64 v[77:78], v[45:46], v[51:52], v[77:78]
	v_fma_f64 v[43:44], v[43:44], v[55:56], -v[79:80]
	v_fma_f64 v[45:46], v[45:46], v[55:56], v[81:82]
	v_mul_f64 v[79:80], v[39:40], v[35:36]
	v_fma_f64 v[81:82], v[47:48], v[51:52], -v[85:86]
	v_fma_f64 v[51:52], v[49:50], v[51:52], v[53:54]
	s_waitcnt lgkmcnt(0)
	v_mul_f64 v[65:66], v[11:12], v[3:4]
	v_mul_f64 v[93:94], v[9:10], v[3:4]
	v_mul_f64 v[95:96], v[11:12], v[35:36]
	v_mul_f64 v[97:98], v[9:10], v[35:36]
	v_mul_f64 v[3:4], v[37:38], v[3:4]
	v_mul_f64 v[35:36], v[37:38], v[35:36]
	v_fma_f64 v[47:48], v[47:48], v[55:56], -v[103:104]
	v_fma_f64 v[49:50], v[49:50], v[55:56], v[105:106]
	ds_load_b128 v[13:16], v32 offset:112
	ds_load_b128 v[17:20], v32 offset:2160
	ds_load_b128 v[21:24], v31 offset:3584
	ds_load_b128 v[57:60], v31 offset:3840
	s_waitcnt lgkmcnt(0)
	s_barrier
	buffer_gl0_inv
	v_add_f64 v[53:54], v[67:68], v[87:88]
	v_add_f64 v[55:56], v[69:70], v[89:90]
	;; [unrolled: 1-line block ×8, first 2 shown]
	v_mul_f64 v[73:74], v[15:16], v[23:24]
	v_mul_f64 v[83:84], v[13:14], v[23:24]
	;; [unrolled: 1-line block ×8, first 2 shown]
	v_fma_f64 v[65:66], v[9:10], v[1:2], -v[65:66]
	v_fma_f64 v[93:94], v[11:12], v[1:2], v[93:94]
	v_fma_f64 v[9:10], v[9:10], v[33:34], -v[95:96]
	v_fma_f64 v[11:12], v[11:12], v[33:34], v[97:98]
	;; [unrolled: 2-line block ×4, first 2 shown]
	v_add_f64 v[35:36], v[53:54], v[75:76]
	v_add_f64 v[37:38], v[55:56], v[77:78]
	;; [unrolled: 1-line block ×8, first 2 shown]
	v_fma_f64 v[49:50], v[13:14], v[21:22], -v[73:74]
	v_fma_f64 v[53:54], v[15:16], v[21:22], v[83:84]
	v_fma_f64 v[13:14], v[13:14], v[57:58], -v[85:86]
	v_fma_f64 v[15:16], v[15:16], v[57:58], v[87:88]
	;; [unrolled: 2-line block ×4, first 2 shown]
	v_add_f64 v[17:18], v[35:36], v[65:66]
	v_add_f64 v[19:20], v[37:38], v[93:94]
	;; [unrolled: 1-line block ×16, first 2 shown]
	s_cbranch_scc1 .LBB760_9
.LBB760_3:                              ; =>This Inner Loop Header: Depth=1
	v_add_nc_u32_e32 v1, s17, v28
	s_delay_alu instid0(VALU_DEP_1) | instskip(NEXT) | instid1(VALU_DEP_1)
	v_cmp_le_i32_e64 s2, s9, v1
	s_or_b32 s2, s3, s2
	s_delay_alu instid0(SALU_CYCLE_1) | instskip(NEXT) | instid1(SALU_CYCLE_1)
	s_and_saveexec_b32 s18, s2
	s_xor_b32 s2, exec_lo, s18
	s_cbranch_execz .LBB760_5
; %bb.4:                                ;   in Loop: Header=BB760_3 Depth=1
	v_mov_b32_e32 v1, v0
	v_mov_b32_e32 v2, v0
	;; [unrolled: 1-line block ×3, first 2 shown]
	ds_store_b128 v29, v[0:3]
.LBB760_5:                              ;   in Loop: Header=BB760_3 Depth=1
	s_and_not1_saveexec_b32 s2, s2
	s_cbranch_execz .LBB760_7
; %bb.6:                                ;   in Loop: Header=BB760_3 Depth=1
	global_load_b128 v[1:4], v[5:6], off
	s_waitcnt vmcnt(0)
	ds_store_2addr_b64 v29, v[1:2], v[3:4] offset1:1
.LBB760_7:                              ;   in Loop: Header=BB760_3 Depth=1
	s_or_b32 exec_lo, exec_lo, s2
	v_add_nc_u32_e32 v3, s17, v27
	v_mov_b32_e32 v1, 0
	v_mov_b32_e32 v2, 0
	s_delay_alu instid0(VALU_DEP_3) | instskip(NEXT) | instid1(VALU_DEP_2)
	v_cmp_gt_i32_e64 s2, s9, v3
	v_dual_mov_b32 v4, v2 :: v_dual_mov_b32 v3, v1
	s_delay_alu instid0(VALU_DEP_2) | instskip(NEXT) | instid1(SALU_CYCLE_1)
	s_and_b32 s18, s2, vcc_lo
	s_and_saveexec_b32 s2, s18
	s_cbranch_execz .LBB760_2
; %bb.8:                                ;   in Loop: Header=BB760_3 Depth=1
	global_load_b128 v[1:4], v[7:8], off offset:-8
	s_branch .LBB760_2
.LBB760_9:
	s_load_b32 s2, s[0:1], 0x60
	v_add_nc_u32_e32 v4, s22, v26
	v_add_nc_u32_e32 v0, s16, v25
	s_delay_alu instid0(VALU_DEP_2) | instskip(NEXT) | instid1(VALU_DEP_2)
	v_cmp_gt_i32_e32 vcc_lo, s8, v4
	v_cmp_le_i32_e64 s0, v0, v4
	s_delay_alu instid0(VALU_DEP_1) | instskip(SKIP_2) | instid1(VALU_DEP_1)
	s_and_b32 s0, vcc_lo, s0
	s_waitcnt lgkmcnt(0)
	v_mad_i64_i32 v[1:2], null, v4, s2, 0
	v_lshlrev_b64 v[1:2], 4, v[1:2]
	s_delay_alu instid0(VALU_DEP_1) | instskip(NEXT) | instid1(VALU_DEP_1)
	v_add_co_u32 v5, s1, s10, v1
	v_add_co_ci_u32_e64 v6, s1, s11, v2, s1
	s_and_saveexec_b32 s1, s0
	s_cbranch_execz .LBB760_11
; %bb.10:
	v_mul_f64 v[1:2], s[6:7], v[23:24]
	v_mul_f64 v[7:8], s[4:5], v[23:24]
	s_delay_alu instid0(VALU_DEP_2) | instskip(NEXT) | instid1(VALU_DEP_2)
	v_fma_f64 v[23:24], s[4:5], v[21:22], -v[1:2]
	v_fma_f64 v[25:26], s[6:7], v[21:22], v[7:8]
	v_ashrrev_i32_e32 v1, 31, v0
	s_delay_alu instid0(VALU_DEP_1) | instskip(NEXT) | instid1(VALU_DEP_1)
	v_lshlrev_b64 v[1:2], 4, v[0:1]
	v_add_co_u32 v1, s0, v5, v1
	s_delay_alu instid0(VALU_DEP_1)
	v_add_co_ci_u32_e64 v2, s0, v6, v2, s0
	global_store_b128 v[1:2], v[23:26], off
.LBB760_11:
	s_or_b32 exec_lo, exec_lo, s1
	v_add_nc_u32_e32 v2, 16, v0
	s_delay_alu instid0(VALU_DEP_1) | instskip(NEXT) | instid1(VALU_DEP_1)
	v_cmp_le_i32_e64 s0, v2, v4
	s_and_b32 s1, vcc_lo, s0
	s_delay_alu instid0(SALU_CYCLE_1)
	s_and_saveexec_b32 s0, s1
	s_cbranch_execz .LBB760_13
; %bb.12:
	v_mul_f64 v[7:8], s[6:7], v[19:20]
	v_mul_f64 v[21:22], s[4:5], v[19:20]
	v_ashrrev_i32_e32 v3, 31, v2
	s_delay_alu instid0(VALU_DEP_3) | instskip(NEXT) | instid1(VALU_DEP_3)
	v_fma_f64 v[19:20], s[4:5], v[17:18], -v[7:8]
	v_fma_f64 v[21:22], s[6:7], v[17:18], v[21:22]
	s_delay_alu instid0(VALU_DEP_3) | instskip(NEXT) | instid1(VALU_DEP_1)
	v_lshlrev_b64 v[7:8], 4, v[2:3]
	v_add_co_u32 v5, vcc_lo, v5, v7
	s_delay_alu instid0(VALU_DEP_2)
	v_add_co_ci_u32_e32 v6, vcc_lo, v6, v8, vcc_lo
	global_store_b128 v[5:6], v[19:22], off
.LBB760_13:
	s_or_b32 exec_lo, exec_lo, s0
	v_add_nc_u32_e32 v3, 16, v4
	s_delay_alu instid0(VALU_DEP_1) | instskip(SKIP_2) | instid1(VALU_DEP_1)
	v_mad_i64_i32 v[4:5], null, v3, s2, 0
	v_cmp_gt_i32_e32 vcc_lo, s8, v3
	v_cmp_le_i32_e64 s0, v0, v3
	s_and_b32 s0, vcc_lo, s0
	s_delay_alu instid0(VALU_DEP_3) | instskip(NEXT) | instid1(VALU_DEP_1)
	v_lshlrev_b64 v[4:5], 4, v[4:5]
	v_add_co_u32 v4, s1, s10, v4
	s_delay_alu instid0(VALU_DEP_1)
	v_add_co_ci_u32_e64 v5, s1, s11, v5, s1
	s_and_saveexec_b32 s1, s0
	s_cbranch_execz .LBB760_15
; %bb.14:
	v_mul_f64 v[6:7], s[6:7], v[15:16]
	v_mul_f64 v[17:18], s[4:5], v[15:16]
	v_ashrrev_i32_e32 v1, 31, v0
	s_delay_alu instid0(VALU_DEP_1) | instskip(NEXT) | instid1(VALU_DEP_1)
	v_lshlrev_b64 v[0:1], 4, v[0:1]
	v_add_co_u32 v0, s0, v4, v0
	s_delay_alu instid0(VALU_DEP_1)
	v_add_co_ci_u32_e64 v1, s0, v5, v1, s0
	v_fma_f64 v[15:16], s[4:5], v[13:14], -v[6:7]
	v_fma_f64 v[17:18], s[6:7], v[13:14], v[17:18]
	global_store_b128 v[0:1], v[15:18], off
.LBB760_15:
	s_or_b32 exec_lo, exec_lo, s1
	v_cmp_le_i32_e64 s0, v2, v3
	s_delay_alu instid0(VALU_DEP_1) | instskip(NEXT) | instid1(SALU_CYCLE_1)
	s_and_b32 s0, vcc_lo, s0
	s_and_saveexec_b32 s1, s0
	s_cbranch_execz .LBB760_17
; %bb.16:
	v_mul_f64 v[0:1], s[6:7], v[9:10]
	v_mul_f64 v[8:9], s[4:5], v[9:10]
	v_ashrrev_i32_e32 v3, 31, v2
	s_delay_alu instid0(VALU_DEP_3) | instskip(NEXT) | instid1(VALU_DEP_3)
	v_fma_f64 v[6:7], s[4:5], v[11:12], -v[0:1]
	v_fma_f64 v[8:9], s[6:7], v[11:12], v[8:9]
	s_delay_alu instid0(VALU_DEP_3) | instskip(NEXT) | instid1(VALU_DEP_1)
	v_lshlrev_b64 v[0:1], 4, v[2:3]
	v_add_co_u32 v0, vcc_lo, v4, v0
	s_delay_alu instid0(VALU_DEP_2)
	v_add_co_ci_u32_e32 v1, vcc_lo, v5, v1, vcc_lo
	global_store_b128 v[0:1], v[6:9], off
.LBB760_17:
	s_nop 0
	s_sendmsg sendmsg(MSG_DEALLOC_VGPRS)
	s_endpgm
	.section	.rodata,"a",@progbits
	.p2align	6, 0x0
	.amdhsa_kernel _ZL34rocblas_syrkx_herkx_general_kernelIi19rocblas_complex_numIdELi16ELi32ELi8ELb1ELb0ELc78ELc85EKPKS1_KPS1_EviT_T0_PT8_S7_lSA_S7_lS8_PT9_S7_li
		.amdhsa_group_segment_fixed_size 8192
		.amdhsa_private_segment_fixed_size 0
		.amdhsa_kernarg_size 116
		.amdhsa_user_sgpr_count 13
		.amdhsa_user_sgpr_dispatch_ptr 0
		.amdhsa_user_sgpr_queue_ptr 0
		.amdhsa_user_sgpr_kernarg_segment_ptr 1
		.amdhsa_user_sgpr_dispatch_id 0
		.amdhsa_user_sgpr_private_segment_size 0
		.amdhsa_wavefront_size32 1
		.amdhsa_uses_dynamic_stack 0
		.amdhsa_enable_private_segment 0
		.amdhsa_system_sgpr_workgroup_id_x 1
		.amdhsa_system_sgpr_workgroup_id_y 1
		.amdhsa_system_sgpr_workgroup_id_z 1
		.amdhsa_system_sgpr_workgroup_info 0
		.amdhsa_system_vgpr_workitem_id 1
		.amdhsa_next_free_vgpr 119
		.amdhsa_next_free_sgpr 26
		.amdhsa_reserve_vcc 1
		.amdhsa_float_round_mode_32 0
		.amdhsa_float_round_mode_16_64 0
		.amdhsa_float_denorm_mode_32 3
		.amdhsa_float_denorm_mode_16_64 3
		.amdhsa_dx10_clamp 1
		.amdhsa_ieee_mode 1
		.amdhsa_fp16_overflow 0
		.amdhsa_workgroup_processor_mode 1
		.amdhsa_memory_ordered 1
		.amdhsa_forward_progress 0
		.amdhsa_shared_vgpr_count 0
		.amdhsa_exception_fp_ieee_invalid_op 0
		.amdhsa_exception_fp_denorm_src 0
		.amdhsa_exception_fp_ieee_div_zero 0
		.amdhsa_exception_fp_ieee_overflow 0
		.amdhsa_exception_fp_ieee_underflow 0
		.amdhsa_exception_fp_ieee_inexact 0
		.amdhsa_exception_int_div_zero 0
	.end_amdhsa_kernel
	.section	.text._ZL34rocblas_syrkx_herkx_general_kernelIi19rocblas_complex_numIdELi16ELi32ELi8ELb1ELb0ELc78ELc85EKPKS1_KPS1_EviT_T0_PT8_S7_lSA_S7_lS8_PT9_S7_li,"axG",@progbits,_ZL34rocblas_syrkx_herkx_general_kernelIi19rocblas_complex_numIdELi16ELi32ELi8ELb1ELb0ELc78ELc85EKPKS1_KPS1_EviT_T0_PT8_S7_lSA_S7_lS8_PT9_S7_li,comdat
.Lfunc_end760:
	.size	_ZL34rocblas_syrkx_herkx_general_kernelIi19rocblas_complex_numIdELi16ELi32ELi8ELb1ELb0ELc78ELc85EKPKS1_KPS1_EviT_T0_PT8_S7_lSA_S7_lS8_PT9_S7_li, .Lfunc_end760-_ZL34rocblas_syrkx_herkx_general_kernelIi19rocblas_complex_numIdELi16ELi32ELi8ELb1ELb0ELc78ELc85EKPKS1_KPS1_EviT_T0_PT8_S7_lSA_S7_lS8_PT9_S7_li
                                        ; -- End function
	.section	.AMDGPU.csdata,"",@progbits
; Kernel info:
; codeLenInByte = 3220
; NumSgprs: 28
; NumVgprs: 119
; ScratchSize: 0
; MemoryBound: 1
; FloatMode: 240
; IeeeMode: 1
; LDSByteSize: 8192 bytes/workgroup (compile time only)
; SGPRBlocks: 3
; VGPRBlocks: 14
; NumSGPRsForWavesPerEU: 28
; NumVGPRsForWavesPerEU: 119
; Occupancy: 12
; WaveLimiterHint : 1
; COMPUTE_PGM_RSRC2:SCRATCH_EN: 0
; COMPUTE_PGM_RSRC2:USER_SGPR: 13
; COMPUTE_PGM_RSRC2:TRAP_HANDLER: 0
; COMPUTE_PGM_RSRC2:TGID_X_EN: 1
; COMPUTE_PGM_RSRC2:TGID_Y_EN: 1
; COMPUTE_PGM_RSRC2:TGID_Z_EN: 1
; COMPUTE_PGM_RSRC2:TIDIG_COMP_CNT: 1
	.section	.text._ZL34rocblas_syrkx_herkx_general_kernelIi19rocblas_complex_numIdELi16ELi32ELi8ELb0ELb0ELc84ELc76EKPKS1_KPS1_EviT_T0_PT8_S7_lSA_S7_lS8_PT9_S7_li,"axG",@progbits,_ZL34rocblas_syrkx_herkx_general_kernelIi19rocblas_complex_numIdELi16ELi32ELi8ELb0ELb0ELc84ELc76EKPKS1_KPS1_EviT_T0_PT8_S7_lSA_S7_lS8_PT9_S7_li,comdat
	.globl	_ZL34rocblas_syrkx_herkx_general_kernelIi19rocblas_complex_numIdELi16ELi32ELi8ELb0ELb0ELc84ELc76EKPKS1_KPS1_EviT_T0_PT8_S7_lSA_S7_lS8_PT9_S7_li ; -- Begin function _ZL34rocblas_syrkx_herkx_general_kernelIi19rocblas_complex_numIdELi16ELi32ELi8ELb0ELb0ELc84ELc76EKPKS1_KPS1_EviT_T0_PT8_S7_lSA_S7_lS8_PT9_S7_li
	.p2align	8
	.type	_ZL34rocblas_syrkx_herkx_general_kernelIi19rocblas_complex_numIdELi16ELi32ELi8ELb0ELb0ELc84ELc76EKPKS1_KPS1_EviT_T0_PT8_S7_lSA_S7_lS8_PT9_S7_li,@function
_ZL34rocblas_syrkx_herkx_general_kernelIi19rocblas_complex_numIdELi16ELi32ELi8ELb0ELb0ELc84ELc76EKPKS1_KPS1_EviT_T0_PT8_S7_lSA_S7_lS8_PT9_S7_li: ; @_ZL34rocblas_syrkx_herkx_general_kernelIi19rocblas_complex_numIdELi16ELi32ELi8ELb0ELb0ELc84ELc76EKPKS1_KPS1_EviT_T0_PT8_S7_lSA_S7_lS8_PT9_S7_li
; %bb.0:
	s_load_b64 s[8:9], s[0:1], 0x58
	s_mov_b32 s20, s15
	s_mov_b32 s21, 0
	s_clause 0x1
	s_load_b64 s[18:19], s[0:1], 0x0
	s_load_b128 s[4:7], s[0:1], 0x8
	s_lshl_b64 s[2:3], s[20:21], 3
	v_mov_b32_e32 v20, 0
	v_dual_mov_b32 v21, 0 :: v_dual_and_b32 v24, 0x3ff, v0
	v_bfe_u32 v25, v0, 10, 10
	s_delay_alu instid0(VALU_DEP_3) | instskip(NEXT) | instid1(VALU_DEP_3)
	v_mov_b32_e32 v16, v20
	v_dual_mov_b32 v18, v20 :: v_dual_mov_b32 v19, v21
	v_dual_mov_b32 v23, v21 :: v_dual_mov_b32 v22, v20
	;; [unrolled: 1-line block ×5, first 2 shown]
	v_mov_b32_e32 v11, v21
	s_waitcnt lgkmcnt(0)
	s_add_u32 s16, s8, s2
	s_addc_u32 s17, s9, s3
	s_clause 0x1
	s_load_b64 s[22:23], s[0:1], 0x18
	s_load_b128 s[8:11], s[0:1], 0x48
	s_load_b64 s[16:17], s[16:17], 0x0
	v_dual_mov_b32 v8, v20 :: v_dual_mov_b32 v9, v21
	s_lshl_b32 s12, s13, 5
	s_lshl_b32 s13, s14, 5
	s_cmp_lt_i32 s19, 1
	s_cbranch_scc1 .LBB761_11
; %bb.1:
	s_clause 0x1
	s_load_b64 s[14:15], s[0:1], 0x30
	s_load_b32 s20, s[0:1], 0x20
	v_lshl_add_u32 v0, v25, 4, v24
	v_dual_mov_b32 v8, 0 :: v_dual_lshlrev_b32 v27, 4, v24
	v_dual_mov_b32 v9, 0 :: v_dual_and_b32 v26, 7, v24
	s_delay_alu instid0(VALU_DEP_3)
	v_and_b32_e32 v1, 31, v0
	s_load_b32 s24, s[0:1], 0x38
	v_lshrrev_b32_e32 v2, 3, v0
	v_lshrrev_b32_e32 v29, 5, v0
	v_mov_b32_e32 v15, v9
	v_dual_mov_b32 v14, v8 :: v_dual_add_nc_u32 v3, s12, v1
	v_or_b32_e32 v6, s12, v1
	v_lshlrev_b32_e32 v7, 4, v1
	v_lshlrev_b32_e32 v4, 4, v26
	;; [unrolled: 1-line block ×3, first 2 shown]
	v_add_nc_u32_e32 v5, s13, v2
	v_mov_b32_e32 v19, v9
	s_waitcnt lgkmcnt(0)
	s_add_u32 s14, s14, s2
	v_mad_i64_i32 v[0:1], null, s20, v3, 0
	s_addc_u32 s15, s15, s3
	s_add_u32 s2, s22, s2
	v_lshl_or_b32 v10, v2, 7, v4
	s_addc_u32 s3, s23, s3
	v_mov_b32_e32 v18, v8
	s_load_b64 s[22:23], s[2:3], 0x0
	s_delay_alu instid0(VALU_DEP_3)
	v_lshlrev_b64 v[0:1], 4, v[0:1]
	v_add_nc_u32_e32 v31, 0x1000, v10
	s_load_b64 s[14:15], s[14:15], 0x0
	v_cmp_gt_i32_e32 vcc_lo, s18, v6
	v_mov_b32_e32 v13, v9
	v_mov_b32_e32 v17, v9
	v_add_co_u32 v0, s3, v0, v11
	v_dual_mov_b32 v11, v9 :: v_dual_mov_b32 v10, v8
	v_mad_i64_i32 v[2:3], null, s24, v5, 0
	v_add_co_ci_u32_e64 v1, s3, 0, v1, s3
	v_cmp_gt_i32_e64 s2, s18, v5
	v_mov_b32_e32 v23, v9
	v_dual_mov_b32 v21, v9 :: v_dual_mov_b32 v20, v8
	v_lshlrev_b64 v[2:3], 4, v[2:3]
	v_lshl_add_u32 v28, v25, 7, 0x1000
	v_mov_b32_e32 v12, v8
	v_lshl_or_b32 v30, v29, 9, v7
	v_mov_b32_e32 v16, v8
	v_mov_b32_e32 v22, v8
	v_add_co_u32 v2, s3, v2, v4
	s_delay_alu instid0(VALU_DEP_1) | instskip(SKIP_2) | instid1(VALU_DEP_1)
	v_add_co_ci_u32_e64 v3, s3, 0, v3, s3
	s_waitcnt lgkmcnt(0)
	v_add_co_u32 v4, s3, s22, v0
	v_add_co_ci_u32_e64 v5, s3, s23, v1, s3
	v_add_co_u32 v6, s3, s14, v2
	s_delay_alu instid0(VALU_DEP_1)
	v_add_co_ci_u32_e64 v7, s3, s15, v3, s3
	v_mov_b32_e32 v0, 0
	s_xor_b32 s3, vcc_lo, -1
	s_xor_b32 s2, s2, -1
	s_branch .LBB761_3
.LBB761_2:                              ;   in Loop: Header=BB761_3 Depth=1
	s_or_b32 exec_lo, exec_lo, s14
	s_waitcnt lgkmcnt(0)
	s_barrier
	buffer_gl0_inv
	ds_load_b128 v[32:35], v28
	ds_load_b128 v[36:39], v27
	ds_load_b128 v[40:43], v27 offset:256
	ds_load_b128 v[44:47], v28 offset:2048
	ds_load_b128 v[48:51], v28 offset:16
	ds_load_b128 v[52:55], v28 offset:2064
	ds_load_b128 v[56:59], v27 offset:512
	ds_load_b128 v[60:63], v27 offset:768
	ds_load_b128 v[64:67], v27 offset:1024
	ds_load_b128 v[68:71], v27 offset:1280
	ds_load_b128 v[72:75], v28 offset:2080
	v_add_co_u32 v4, vcc_lo, 0x80, v4
	v_add_co_ci_u32_e32 v5, vcc_lo, 0, v5, vcc_lo
	v_add_co_u32 v6, vcc_lo, 0x80, v6
	v_add_co_ci_u32_e32 v7, vcc_lo, 0, v7, vcc_lo
	s_add_i32 s21, s21, 8
	s_delay_alu instid0(SALU_CYCLE_1)
	s_cmp_ge_i32 s21, s19
	s_waitcnt lgkmcnt(9)
	v_mul_f64 v[1:2], v[34:35], v[38:39]
	v_mul_f64 v[76:77], v[32:33], v[38:39]
	s_waitcnt lgkmcnt(8)
	v_mul_f64 v[78:79], v[34:35], v[42:43]
	v_mul_f64 v[80:81], v[32:33], v[42:43]
	;; [unrolled: 3-line block ×3, first 2 shown]
	v_mul_f64 v[84:85], v[46:47], v[42:43]
	v_mul_f64 v[42:43], v[44:45], v[42:43]
	s_waitcnt lgkmcnt(4)
	v_mul_f64 v[86:87], v[50:51], v[58:59]
	v_mul_f64 v[88:89], v[48:49], v[58:59]
	s_waitcnt lgkmcnt(3)
	v_mul_f64 v[90:91], v[50:51], v[62:63]
	v_mul_f64 v[92:93], v[48:49], v[62:63]
	;; [unrolled: 1-line block ×6, first 2 shown]
	s_waitcnt lgkmcnt(0)
	v_mul_f64 v[114:115], v[74:75], v[66:67]
	v_mul_f64 v[116:117], v[74:75], v[70:71]
	v_fma_f64 v[1:2], v[32:33], v[36:37], -v[1:2]
	v_fma_f64 v[98:99], v[34:35], v[36:37], v[76:77]
	v_fma_f64 v[100:101], v[32:33], v[40:41], -v[78:79]
	v_fma_f64 v[80:81], v[34:35], v[40:41], v[80:81]
	;; [unrolled: 2-line block ×4, first 2 shown]
	ds_load_b128 v[76:79], v28 offset:32
	v_fma_f64 v[86:87], v[48:49], v[56:57], -v[86:87]
	v_fma_f64 v[88:89], v[50:51], v[56:57], v[88:89]
	v_fma_f64 v[48:49], v[48:49], v[60:61], -v[90:91]
	v_fma_f64 v[50:51], v[50:51], v[60:61], v[92:93]
	;; [unrolled: 2-line block ×4, first 2 shown]
	ds_load_b128 v[32:35], v28 offset:48
	ds_load_b128 v[36:39], v28 offset:2096
	;; [unrolled: 1-line block ×4, first 2 shown]
	s_waitcnt lgkmcnt(4)
	v_mul_f64 v[106:107], v[78:79], v[66:67]
	v_mul_f64 v[108:109], v[76:77], v[66:67]
	v_mul_f64 v[110:111], v[78:79], v[70:71]
	v_mul_f64 v[112:113], v[76:77], v[70:71]
	v_mul_f64 v[66:67], v[72:73], v[66:67]
	v_mul_f64 v[70:71], v[72:73], v[70:71]
	s_waitcnt lgkmcnt(1)
	v_mul_f64 v[92:93], v[32:33], v[42:43]
	s_waitcnt lgkmcnt(0)
	v_mul_f64 v[94:95], v[34:35], v[46:47]
	v_add_f64 v[1:2], v[20:21], v[1:2]
	v_add_f64 v[20:21], v[22:23], v[98:99]
	;; [unrolled: 1-line block ×8, first 2 shown]
	v_mul_f64 v[84:85], v[34:35], v[42:43]
	v_mul_f64 v[96:97], v[32:33], v[46:47]
	;; [unrolled: 1-line block ×6, first 2 shown]
	ds_load_b128 v[8:11], v27 offset:2048
	ds_load_b128 v[12:15], v27 offset:2304
	ds_load_b128 v[16:19], v28 offset:2112
	v_fma_f64 v[104:105], v[76:77], v[64:65], -v[106:107]
	v_fma_f64 v[106:107], v[78:79], v[64:65], v[108:109]
	v_fma_f64 v[76:77], v[76:77], v[68:69], -v[110:111]
	v_fma_f64 v[78:79], v[78:79], v[68:69], v[112:113]
	;; [unrolled: 2-line block ×4, first 2 shown]
	s_waitcnt lgkmcnt(0)
	v_mul_f64 v[114:115], v[18:19], v[10:11]
	v_mul_f64 v[116:117], v[18:19], v[14:15]
	v_add_f64 v[1:2], v[1:2], v[86:87]
	v_add_f64 v[70:71], v[20:21], v[88:89]
	;; [unrolled: 1-line block ×8, first 2 shown]
	ds_load_b128 v[20:23], v28 offset:64
	v_fma_f64 v[84:85], v[32:33], v[40:41], -v[84:85]
	v_fma_f64 v[92:93], v[34:35], v[40:41], v[92:93]
	v_fma_f64 v[94:95], v[32:33], v[44:45], -v[94:95]
	v_fma_f64 v[96:97], v[34:35], v[44:45], v[96:97]
	;; [unrolled: 2-line block ×4, first 2 shown]
	ds_load_b128 v[46:49], v28 offset:80
	ds_load_b128 v[50:53], v28 offset:2128
	;; [unrolled: 1-line block ×7, first 2 shown]
	s_waitcnt lgkmcnt(7)
	v_mul_f64 v[88:89], v[22:23], v[10:11]
	v_mul_f64 v[90:91], v[20:21], v[10:11]
	;; [unrolled: 1-line block ×6, first 2 shown]
	s_waitcnt lgkmcnt(3)
	v_mul_f64 v[102:103], v[52:53], v[60:61]
	v_add_f64 v[1:2], v[1:2], v[104:105]
	v_add_f64 v[70:71], v[70:71], v[106:107]
	;; [unrolled: 1-line block ×8, first 2 shown]
	v_mul_f64 v[68:69], v[48:49], v[56:57]
	v_mul_f64 v[78:79], v[46:47], v[56:57]
	;; [unrolled: 1-line block ×7, first 2 shown]
	v_fma_f64 v[88:89], v[20:21], v[8:9], -v[88:89]
	v_fma_f64 v[90:91], v[22:23], v[8:9], v[90:91]
	v_fma_f64 v[106:107], v[20:21], v[12:13], -v[110:111]
	v_fma_f64 v[108:109], v[22:23], v[12:13], v[112:113]
	;; [unrolled: 2-line block ×4, first 2 shown]
	ds_load_b128 v[8:11], v28 offset:96
	v_add_f64 v[1:2], v[1:2], v[84:85]
	v_add_f64 v[70:71], v[70:71], v[92:93]
	;; [unrolled: 1-line block ×8, first 2 shown]
	s_waitcnt lgkmcnt(1)
	v_mul_f64 v[98:99], v[42:43], v[34:35]
	v_mul_f64 v[100:101], v[42:43], v[38:39]
	v_fma_f64 v[68:69], v[46:47], v[54:55], -v[68:69]
	v_fma_f64 v[78:79], v[48:49], v[54:55], v[78:79]
	v_fma_f64 v[46:47], v[46:47], v[58:59], -v[80:81]
	v_fma_f64 v[48:49], v[48:49], v[58:59], v[82:83]
	;; [unrolled: 2-line block ×4, first 2 shown]
	s_waitcnt lgkmcnt(0)
	v_mul_f64 v[66:67], v[10:11], v[34:35]
	v_mul_f64 v[92:93], v[8:9], v[34:35]
	;; [unrolled: 1-line block ×6, first 2 shown]
	ds_load_b128 v[12:15], v28 offset:112
	ds_load_b128 v[16:19], v28 offset:2160
	;; [unrolled: 1-line block ×4, first 2 shown]
	s_waitcnt lgkmcnt(0)
	s_barrier
	buffer_gl0_inv
	v_add_f64 v[1:2], v[1:2], v[88:89]
	v_add_f64 v[56:57], v[70:71], v[90:91]
	;; [unrolled: 1-line block ×8, first 2 shown]
	v_mul_f64 v[76:77], v[14:15], v[22:23]
	v_mul_f64 v[82:83], v[12:13], v[22:23]
	;; [unrolled: 1-line block ×8, first 2 shown]
	v_fma_f64 v[66:67], v[8:9], v[32:33], -v[66:67]
	v_fma_f64 v[92:93], v[10:11], v[32:33], v[92:93]
	v_fma_f64 v[8:9], v[8:9], v[36:37], -v[94:95]
	v_fma_f64 v[10:11], v[10:11], v[36:37], v[96:97]
	;; [unrolled: 2-line block ×4, first 2 shown]
	v_add_f64 v[1:2], v[1:2], v[68:69]
	v_add_f64 v[38:39], v[56:57], v[78:79]
	;; [unrolled: 1-line block ×8, first 2 shown]
	v_fma_f64 v[52:53], v[12:13], v[20:21], -v[76:77]
	v_fma_f64 v[54:55], v[14:15], v[20:21], v[82:83]
	v_fma_f64 v[12:13], v[12:13], v[60:61], -v[84:85]
	v_fma_f64 v[14:15], v[14:15], v[60:61], v[86:87]
	;; [unrolled: 2-line block ×4, first 2 shown]
	v_add_f64 v[1:2], v[1:2], v[66:67]
	v_add_f64 v[16:17], v[38:39], v[92:93]
	;; [unrolled: 1-line block ×16, first 2 shown]
	s_cbranch_scc1 .LBB761_11
.LBB761_3:                              ; =>This Inner Loop Header: Depth=1
	v_add_nc_u32_e32 v1, s21, v29
	s_delay_alu instid0(VALU_DEP_1) | instskip(SKIP_1) | instid1(SALU_CYCLE_1)
	v_cmp_le_i32_e32 vcc_lo, s19, v1
	s_or_b32 s14, s3, vcc_lo
	s_and_saveexec_b32 s15, s14
	s_delay_alu instid0(SALU_CYCLE_1)
	s_xor_b32 s14, exec_lo, s15
	s_cbranch_execz .LBB761_5
; %bb.4:                                ;   in Loop: Header=BB761_3 Depth=1
	v_mov_b32_e32 v1, v0
	v_mov_b32_e32 v2, v0
	;; [unrolled: 1-line block ×3, first 2 shown]
	ds_store_b128 v30, v[0:3]
.LBB761_5:                              ;   in Loop: Header=BB761_3 Depth=1
	s_and_not1_saveexec_b32 s14, s14
	s_cbranch_execz .LBB761_7
; %bb.6:                                ;   in Loop: Header=BB761_3 Depth=1
	global_load_b128 v[32:35], v[4:5], off
	s_waitcnt vmcnt(0)
	ds_store_2addr_b64 v30, v[32:33], v[34:35] offset1:1
.LBB761_7:                              ;   in Loop: Header=BB761_3 Depth=1
	s_or_b32 exec_lo, exec_lo, s14
	v_add_nc_u32_e32 v1, s21, v26
	s_delay_alu instid0(VALU_DEP_1) | instskip(SKIP_1) | instid1(SALU_CYCLE_1)
	v_cmp_le_i32_e32 vcc_lo, s19, v1
	s_or_b32 s14, vcc_lo, s2
	s_and_saveexec_b32 s15, s14
	s_delay_alu instid0(SALU_CYCLE_1)
	s_xor_b32 s14, exec_lo, s15
	s_cbranch_execz .LBB761_9
; %bb.8:                                ;   in Loop: Header=BB761_3 Depth=1
	v_mov_b32_e32 v1, v0
	v_mov_b32_e32 v2, v0
	;; [unrolled: 1-line block ×3, first 2 shown]
	ds_store_b128 v31, v[0:3]
.LBB761_9:                              ;   in Loop: Header=BB761_3 Depth=1
	s_and_not1_saveexec_b32 s14, s14
	s_cbranch_execz .LBB761_2
; %bb.10:                               ;   in Loop: Header=BB761_3 Depth=1
	global_load_b128 v[32:35], v[6:7], off
	s_waitcnt vmcnt(0)
	ds_store_2addr_b64 v31, v[32:33], v[34:35] offset1:1
	s_branch .LBB761_2
.LBB761_11:
	s_load_b32 s2, s[0:1], 0x60
	v_add_nc_u32_e32 v4, s13, v25
	v_add_nc_u32_e32 v0, s12, v24
	s_delay_alu instid0(VALU_DEP_1) | instskip(SKIP_1) | instid1(VALU_DEP_2)
	v_cmp_le_i32_e64 s0, v4, v0
	v_cmp_gt_i32_e32 vcc_lo, s18, v0
	s_and_b32 s0, s0, vcc_lo
	s_waitcnt lgkmcnt(0)
	v_mad_i64_i32 v[1:2], null, v4, s2, 0
	s_delay_alu instid0(VALU_DEP_1) | instskip(NEXT) | instid1(VALU_DEP_1)
	v_lshlrev_b64 v[1:2], 4, v[1:2]
	v_add_co_u32 v5, s1, s16, v1
	s_delay_alu instid0(VALU_DEP_1)
	v_add_co_ci_u32_e64 v6, s1, s17, v2, s1
	s_and_saveexec_b32 s1, s0
	s_cbranch_execz .LBB761_13
; %bb.12:
	v_ashrrev_i32_e32 v1, 31, v0
	v_mul_f64 v[28:29], s[6:7], v[22:23]
	v_mul_f64 v[22:23], s[4:5], v[22:23]
	s_delay_alu instid0(VALU_DEP_3) | instskip(NEXT) | instid1(VALU_DEP_1)
	v_lshlrev_b64 v[1:2], 4, v[0:1]
	v_add_co_u32 v1, s0, v5, v1
	s_delay_alu instid0(VALU_DEP_1)
	v_add_co_ci_u32_e64 v2, s0, v6, v2, s0
	global_load_b128 v[24:27], v[1:2], off
	v_fma_f64 v[28:29], s[4:5], v[20:21], -v[28:29]
	v_fma_f64 v[22:23], s[6:7], v[20:21], v[22:23]
	s_waitcnt vmcnt(0)
	v_mul_f64 v[30:31], s[10:11], v[26:27]
	v_mul_f64 v[26:27], s[8:9], v[26:27]
	s_delay_alu instid0(VALU_DEP_2) | instskip(NEXT) | instid1(VALU_DEP_2)
	v_fma_f64 v[20:21], s[8:9], v[24:25], -v[30:31]
	v_fma_f64 v[24:25], s[10:11], v[24:25], v[26:27]
	s_delay_alu instid0(VALU_DEP_2) | instskip(NEXT) | instid1(VALU_DEP_2)
	v_add_f64 v[20:21], v[28:29], v[20:21]
	v_add_f64 v[22:23], v[22:23], v[24:25]
	global_store_b128 v[1:2], v[20:23], off
.LBB761_13:
	s_or_b32 exec_lo, exec_lo, s1
	v_add_nc_u32_e32 v2, 16, v0
	s_delay_alu instid0(VALU_DEP_1) | instskip(SKIP_1) | instid1(VALU_DEP_1)
	v_cmp_le_i32_e64 s1, v4, v2
	v_cmp_gt_i32_e64 s0, s18, v2
	s_and_b32 s1, s1, s0
	s_delay_alu instid0(SALU_CYCLE_1)
	s_and_saveexec_b32 s3, s1
	s_cbranch_execz .LBB761_15
; %bb.14:
	v_ashrrev_i32_e32 v3, 31, v2
	v_mul_f64 v[24:25], s[6:7], v[18:19]
	v_mul_f64 v[18:19], s[4:5], v[18:19]
	s_delay_alu instid0(VALU_DEP_3) | instskip(NEXT) | instid1(VALU_DEP_1)
	v_lshlrev_b64 v[20:21], 4, v[2:3]
	v_add_co_u32 v5, s1, v5, v20
	s_delay_alu instid0(VALU_DEP_1)
	v_add_co_ci_u32_e64 v6, s1, v6, v21, s1
	global_load_b128 v[20:23], v[5:6], off
	v_fma_f64 v[24:25], s[4:5], v[16:17], -v[24:25]
	v_fma_f64 v[18:19], s[6:7], v[16:17], v[18:19]
	s_waitcnt vmcnt(0)
	v_mul_f64 v[26:27], s[10:11], v[22:23]
	v_mul_f64 v[22:23], s[8:9], v[22:23]
	s_delay_alu instid0(VALU_DEP_2) | instskip(NEXT) | instid1(VALU_DEP_2)
	v_fma_f64 v[16:17], s[8:9], v[20:21], -v[26:27]
	v_fma_f64 v[20:21], s[10:11], v[20:21], v[22:23]
	s_delay_alu instid0(VALU_DEP_2) | instskip(NEXT) | instid1(VALU_DEP_2)
	v_add_f64 v[16:17], v[24:25], v[16:17]
	v_add_f64 v[18:19], v[18:19], v[20:21]
	global_store_b128 v[5:6], v[16:19], off
.LBB761_15:
	s_or_b32 exec_lo, exec_lo, s3
	v_add_nc_u32_e32 v3, 16, v4
	s_delay_alu instid0(VALU_DEP_1) | instskip(SKIP_1) | instid1(VALU_DEP_2)
	v_mad_i64_i32 v[4:5], null, v3, s2, 0
	v_cmp_le_i32_e64 s1, v3, v0
	v_lshlrev_b64 v[4:5], 4, v[4:5]
	s_delay_alu instid0(VALU_DEP_1) | instskip(NEXT) | instid1(VALU_DEP_1)
	v_add_co_u32 v4, s2, s16, v4
	v_add_co_ci_u32_e64 v5, s2, s17, v5, s2
	s_delay_alu instid0(VALU_DEP_4) | instskip(NEXT) | instid1(SALU_CYCLE_1)
	s_and_b32 s2, s1, vcc_lo
	s_and_saveexec_b32 s1, s2
	s_cbranch_execz .LBB761_17
; %bb.16:
	v_ashrrev_i32_e32 v1, 31, v0
	v_mul_f64 v[6:7], s[6:7], v[14:15]
	v_mul_f64 v[14:15], s[4:5], v[14:15]
	s_delay_alu instid0(VALU_DEP_3) | instskip(NEXT) | instid1(VALU_DEP_1)
	v_lshlrev_b64 v[0:1], 4, v[0:1]
	v_add_co_u32 v0, vcc_lo, v4, v0
	s_delay_alu instid0(VALU_DEP_2)
	v_add_co_ci_u32_e32 v1, vcc_lo, v5, v1, vcc_lo
	global_load_b128 v[16:19], v[0:1], off
	v_fma_f64 v[6:7], s[4:5], v[12:13], -v[6:7]
	v_fma_f64 v[14:15], s[6:7], v[12:13], v[14:15]
	s_waitcnt vmcnt(0)
	v_mul_f64 v[20:21], s[10:11], v[18:19]
	v_mul_f64 v[18:19], s[8:9], v[18:19]
	s_delay_alu instid0(VALU_DEP_2) | instskip(NEXT) | instid1(VALU_DEP_2)
	v_fma_f64 v[12:13], s[8:9], v[16:17], -v[20:21]
	v_fma_f64 v[16:17], s[10:11], v[16:17], v[18:19]
	s_delay_alu instid0(VALU_DEP_2) | instskip(NEXT) | instid1(VALU_DEP_2)
	v_add_f64 v[12:13], v[6:7], v[12:13]
	v_add_f64 v[14:15], v[14:15], v[16:17]
	global_store_b128 v[0:1], v[12:15], off
.LBB761_17:
	s_or_b32 exec_lo, exec_lo, s1
	v_cmp_le_i32_e32 vcc_lo, v3, v2
	s_and_b32 s0, vcc_lo, s0
	s_delay_alu instid0(SALU_CYCLE_1)
	s_and_saveexec_b32 s1, s0
	s_cbranch_execz .LBB761_19
; %bb.18:
	v_ashrrev_i32_e32 v3, 31, v2
	v_mul_f64 v[6:7], s[6:7], v[8:9]
	v_mul_f64 v[8:9], s[4:5], v[8:9]
	s_delay_alu instid0(VALU_DEP_3) | instskip(NEXT) | instid1(VALU_DEP_1)
	v_lshlrev_b64 v[0:1], 4, v[2:3]
	v_add_co_u32 v4, vcc_lo, v4, v0
	s_delay_alu instid0(VALU_DEP_2)
	v_add_co_ci_u32_e32 v5, vcc_lo, v5, v1, vcc_lo
	global_load_b128 v[0:3], v[4:5], off
	v_fma_f64 v[6:7], s[4:5], v[10:11], -v[6:7]
	v_fma_f64 v[8:9], s[6:7], v[10:11], v[8:9]
	s_waitcnt vmcnt(0)
	v_mul_f64 v[12:13], s[10:11], v[2:3]
	v_mul_f64 v[2:3], s[8:9], v[2:3]
	s_delay_alu instid0(VALU_DEP_2) | instskip(NEXT) | instid1(VALU_DEP_2)
	v_fma_f64 v[10:11], s[8:9], v[0:1], -v[12:13]
	v_fma_f64 v[2:3], s[10:11], v[0:1], v[2:3]
	s_delay_alu instid0(VALU_DEP_2) | instskip(NEXT) | instid1(VALU_DEP_2)
	v_add_f64 v[0:1], v[6:7], v[10:11]
	v_add_f64 v[2:3], v[8:9], v[2:3]
	global_store_b128 v[4:5], v[0:3], off
.LBB761_19:
	s_nop 0
	s_sendmsg sendmsg(MSG_DEALLOC_VGPRS)
	s_endpgm
	.section	.rodata,"a",@progbits
	.p2align	6, 0x0
	.amdhsa_kernel _ZL34rocblas_syrkx_herkx_general_kernelIi19rocblas_complex_numIdELi16ELi32ELi8ELb0ELb0ELc84ELc76EKPKS1_KPS1_EviT_T0_PT8_S7_lSA_S7_lS8_PT9_S7_li
		.amdhsa_group_segment_fixed_size 8192
		.amdhsa_private_segment_fixed_size 0
		.amdhsa_kernarg_size 116
		.amdhsa_user_sgpr_count 13
		.amdhsa_user_sgpr_dispatch_ptr 0
		.amdhsa_user_sgpr_queue_ptr 0
		.amdhsa_user_sgpr_kernarg_segment_ptr 1
		.amdhsa_user_sgpr_dispatch_id 0
		.amdhsa_user_sgpr_private_segment_size 0
		.amdhsa_wavefront_size32 1
		.amdhsa_uses_dynamic_stack 0
		.amdhsa_enable_private_segment 0
		.amdhsa_system_sgpr_workgroup_id_x 1
		.amdhsa_system_sgpr_workgroup_id_y 1
		.amdhsa_system_sgpr_workgroup_id_z 1
		.amdhsa_system_sgpr_workgroup_info 0
		.amdhsa_system_vgpr_workitem_id 1
		.amdhsa_next_free_vgpr 120
		.amdhsa_next_free_sgpr 25
		.amdhsa_reserve_vcc 1
		.amdhsa_float_round_mode_32 0
		.amdhsa_float_round_mode_16_64 0
		.amdhsa_float_denorm_mode_32 3
		.amdhsa_float_denorm_mode_16_64 3
		.amdhsa_dx10_clamp 1
		.amdhsa_ieee_mode 1
		.amdhsa_fp16_overflow 0
		.amdhsa_workgroup_processor_mode 1
		.amdhsa_memory_ordered 1
		.amdhsa_forward_progress 0
		.amdhsa_shared_vgpr_count 0
		.amdhsa_exception_fp_ieee_invalid_op 0
		.amdhsa_exception_fp_denorm_src 0
		.amdhsa_exception_fp_ieee_div_zero 0
		.amdhsa_exception_fp_ieee_overflow 0
		.amdhsa_exception_fp_ieee_underflow 0
		.amdhsa_exception_fp_ieee_inexact 0
		.amdhsa_exception_int_div_zero 0
	.end_amdhsa_kernel
	.section	.text._ZL34rocblas_syrkx_herkx_general_kernelIi19rocblas_complex_numIdELi16ELi32ELi8ELb0ELb0ELc84ELc76EKPKS1_KPS1_EviT_T0_PT8_S7_lSA_S7_lS8_PT9_S7_li,"axG",@progbits,_ZL34rocblas_syrkx_herkx_general_kernelIi19rocblas_complex_numIdELi16ELi32ELi8ELb0ELb0ELc84ELc76EKPKS1_KPS1_EviT_T0_PT8_S7_lSA_S7_lS8_PT9_S7_li,comdat
.Lfunc_end761:
	.size	_ZL34rocblas_syrkx_herkx_general_kernelIi19rocblas_complex_numIdELi16ELi32ELi8ELb0ELb0ELc84ELc76EKPKS1_KPS1_EviT_T0_PT8_S7_lSA_S7_lS8_PT9_S7_li, .Lfunc_end761-_ZL34rocblas_syrkx_herkx_general_kernelIi19rocblas_complex_numIdELi16ELi32ELi8ELb0ELb0ELc84ELc76EKPKS1_KPS1_EviT_T0_PT8_S7_lSA_S7_lS8_PT9_S7_li
                                        ; -- End function
	.section	.AMDGPU.csdata,"",@progbits
; Kernel info:
; codeLenInByte = 3448
; NumSgprs: 27
; NumVgprs: 120
; ScratchSize: 0
; MemoryBound: 0
; FloatMode: 240
; IeeeMode: 1
; LDSByteSize: 8192 bytes/workgroup (compile time only)
; SGPRBlocks: 3
; VGPRBlocks: 14
; NumSGPRsForWavesPerEU: 27
; NumVGPRsForWavesPerEU: 120
; Occupancy: 12
; WaveLimiterHint : 1
; COMPUTE_PGM_RSRC2:SCRATCH_EN: 0
; COMPUTE_PGM_RSRC2:USER_SGPR: 13
; COMPUTE_PGM_RSRC2:TRAP_HANDLER: 0
; COMPUTE_PGM_RSRC2:TGID_X_EN: 1
; COMPUTE_PGM_RSRC2:TGID_Y_EN: 1
; COMPUTE_PGM_RSRC2:TGID_Z_EN: 1
; COMPUTE_PGM_RSRC2:TIDIG_COMP_CNT: 1
	.section	.text._ZL34rocblas_syrkx_herkx_general_kernelIi19rocblas_complex_numIdELi16ELi32ELi8ELb0ELb0ELc67ELc76EKPKS1_KPS1_EviT_T0_PT8_S7_lSA_S7_lS8_PT9_S7_li,"axG",@progbits,_ZL34rocblas_syrkx_herkx_general_kernelIi19rocblas_complex_numIdELi16ELi32ELi8ELb0ELb0ELc67ELc76EKPKS1_KPS1_EviT_T0_PT8_S7_lSA_S7_lS8_PT9_S7_li,comdat
	.globl	_ZL34rocblas_syrkx_herkx_general_kernelIi19rocblas_complex_numIdELi16ELi32ELi8ELb0ELb0ELc67ELc76EKPKS1_KPS1_EviT_T0_PT8_S7_lSA_S7_lS8_PT9_S7_li ; -- Begin function _ZL34rocblas_syrkx_herkx_general_kernelIi19rocblas_complex_numIdELi16ELi32ELi8ELb0ELb0ELc67ELc76EKPKS1_KPS1_EviT_T0_PT8_S7_lSA_S7_lS8_PT9_S7_li
	.p2align	8
	.type	_ZL34rocblas_syrkx_herkx_general_kernelIi19rocblas_complex_numIdELi16ELi32ELi8ELb0ELb0ELc67ELc76EKPKS1_KPS1_EviT_T0_PT8_S7_lSA_S7_lS8_PT9_S7_li,@function
_ZL34rocblas_syrkx_herkx_general_kernelIi19rocblas_complex_numIdELi16ELi32ELi8ELb0ELb0ELc67ELc76EKPKS1_KPS1_EviT_T0_PT8_S7_lSA_S7_lS8_PT9_S7_li: ; @_ZL34rocblas_syrkx_herkx_general_kernelIi19rocblas_complex_numIdELi16ELi32ELi8ELb0ELb0ELc67ELc76EKPKS1_KPS1_EviT_T0_PT8_S7_lSA_S7_lS8_PT9_S7_li
; %bb.0:
	s_load_b64 s[8:9], s[0:1], 0x58
	s_mov_b32 s20, s15
	s_mov_b32 s21, 0
	s_clause 0x1
	s_load_b64 s[18:19], s[0:1], 0x0
	s_load_b128 s[4:7], s[0:1], 0x8
	s_lshl_b64 s[2:3], s[20:21], 3
	v_mov_b32_e32 v23, 0
	v_dual_mov_b32 v24, 0 :: v_dual_and_b32 v27, 0x3ff, v0
	v_bfe_u32 v28, v0, 10, 10
	s_delay_alu instid0(VALU_DEP_3) | instskip(NEXT) | instid1(VALU_DEP_3)
	v_mov_b32_e32 v19, v23
	v_dual_mov_b32 v21, v23 :: v_dual_mov_b32 v22, v24
	v_dual_mov_b32 v26, v24 :: v_dual_mov_b32 v25, v23
	v_dual_mov_b32 v20, v24 :: v_dual_mov_b32 v15, v23
	v_dual_mov_b32 v16, v24 :: v_dual_mov_b32 v17, v23
	v_dual_mov_b32 v18, v24 :: v_dual_mov_b32 v11, v23
	v_mov_b32_e32 v12, v24
	s_waitcnt lgkmcnt(0)
	s_add_u32 s16, s8, s2
	s_addc_u32 s17, s9, s3
	s_clause 0x1
	s_load_b64 s[22:23], s[0:1], 0x18
	s_load_b128 s[8:11], s[0:1], 0x48
	s_load_b64 s[16:17], s[16:17], 0x0
	v_dual_mov_b32 v13, v23 :: v_dual_mov_b32 v14, v24
	s_lshl_b32 s12, s13, 5
	s_lshl_b32 s13, s14, 5
	s_cmp_lt_i32 s19, 1
	s_cbranch_scc1 .LBB762_9
; %bb.1:
	s_clause 0x1
	s_load_b64 s[14:15], s[0:1], 0x30
	s_load_b32 s20, s[0:1], 0x20
	v_lshl_add_u32 v0, v28, 4, v27
	s_load_b32 s24, s[0:1], 0x38
	v_dual_mov_b32 v5, 0 :: v_dual_lshlrev_b32 v30, 4, v27
	v_dual_mov_b32 v6, 0 :: v_dual_and_b32 v29, 7, v27
	s_delay_alu instid0(VALU_DEP_3) | instskip(SKIP_2) | instid1(VALU_DEP_4)
	v_and_b32_e32 v2, 31, v0
	v_lshrrev_b32_e32 v3, 3, v0
	v_lshrrev_b32_e32 v32, 5, v0
	v_lshlrev_b32_e32 v4, 4, v29
	v_dual_mov_b32 v14, v6 :: v_dual_mov_b32 v13, v5
	v_add_nc_u32_e32 v7, s12, v2
	v_add_nc_u32_e32 v8, s13, v3
	v_mov_b32_e32 v12, v6
	v_mov_b32_e32 v18, v6
	v_dual_mov_b32 v16, v6 :: v_dual_mov_b32 v11, v5
	s_waitcnt lgkmcnt(0)
	s_add_u32 s14, s14, s2
	s_addc_u32 s15, s15, s3
	s_add_u32 s2, s22, s2
	s_addc_u32 s3, s23, s3
	v_mad_i64_i32 v[0:1], null, s20, v7, 0
	s_load_b64 s[22:23], s[2:3], 0x0
	v_or_b32_e32 v7, s12, v2
	v_dual_mov_b32 v17, v5 :: v_dual_lshlrev_b32 v2, 4, v2
	v_lshl_or_b32 v9, v3, 7, v4
	s_load_b64 s[14:15], s[14:15], 0x0
	s_delay_alu instid0(VALU_DEP_4) | instskip(NEXT) | instid1(VALU_DEP_3)
	v_lshlrev_b64 v[0:1], 4, v[0:1]
	v_lshl_or_b32 v33, v32, 9, v2
	v_mov_b32_e32 v15, v5
	v_mad_i64_i32 v[2:3], null, s24, v8, 0
	v_lshlrev_b32_e32 v10, 4, v32
	v_dual_mov_b32 v22, v6 :: v_dual_mov_b32 v21, v5
	v_cmp_gt_i32_e32 vcc_lo, s18, v7
	v_cmp_gt_i32_e64 s2, s18, v8
	s_delay_alu instid0(VALU_DEP_4) | instskip(NEXT) | instid1(VALU_DEP_1)
	v_add_co_u32 v7, s3, v0, v10
	v_add_co_ci_u32_e64 v8, s3, 0, v1, s3
	v_lshlrev_b64 v[0:1], 4, v[2:3]
	s_waitcnt lgkmcnt(0)
	s_delay_alu instid0(VALU_DEP_3) | instskip(NEXT) | instid1(VALU_DEP_1)
	v_add_co_u32 v2, s3, v7, s22
	v_add_co_ci_u32_e64 v3, s3, s23, v8, s3
	v_add_nc_u32_e32 v34, 0x1000, v9
	s_delay_alu instid0(VALU_DEP_4) | instskip(NEXT) | instid1(VALU_DEP_1)
	v_add_co_u32 v0, s3, v0, v4
	v_add_co_ci_u32_e64 v1, s3, 0, v1, s3
	v_add_co_u32 v7, s3, v2, 8
	s_delay_alu instid0(VALU_DEP_1) | instskip(NEXT) | instid1(VALU_DEP_4)
	v_add_co_ci_u32_e64 v8, s3, 0, v3, s3
	v_add_co_u32 v9, s3, s14, v0
	v_dual_mov_b32 v20, v6 :: v_dual_mov_b32 v19, v5
	v_mov_b32_e32 v26, v6
	v_mov_b32_e32 v24, v6
	v_lshl_add_u32 v31, v28, 7, 0x1000
	v_add_co_ci_u32_e64 v10, s3, s15, v1, s3
	v_dual_mov_b32 v0, 0 :: v_dual_mov_b32 v25, v5
	v_mov_b32_e32 v23, v5
	s_xor_b32 s3, s2, -1
	s_branch .LBB762_3
.LBB762_2:                              ;   in Loop: Header=BB762_3 Depth=1
	s_or_b32 exec_lo, exec_lo, s2
	s_waitcnt lgkmcnt(0)
	s_barrier
	buffer_gl0_inv
	ds_load_b128 v[1:4], v31
	ds_load_b128 v[35:38], v30
	ds_load_b128 v[39:42], v30 offset:256
	ds_load_b128 v[43:46], v31 offset:2048
	ds_load_b128 v[47:50], v31 offset:16
	ds_load_b128 v[51:54], v31 offset:2064
	ds_load_b128 v[55:58], v30 offset:512
	ds_load_b128 v[59:62], v30 offset:768
	ds_load_b128 v[63:66], v30 offset:1024
	ds_load_b128 v[67:70], v30 offset:1280
	ds_load_b128 v[71:74], v31 offset:2080
	v_add_co_u32 v7, s2, 0x80, v7
	s_delay_alu instid0(VALU_DEP_1) | instskip(SKIP_1) | instid1(VALU_DEP_1)
	v_add_co_ci_u32_e64 v8, s2, 0, v8, s2
	v_add_co_u32 v9, s2, 0x80, v9
	v_add_co_ci_u32_e64 v10, s2, 0, v10, s2
	s_add_i32 s21, s21, 8
	s_delay_alu instid0(SALU_CYCLE_1)
	s_cmp_ge_i32 s21, s19
	s_waitcnt lgkmcnt(9)
	v_mul_f64 v[75:76], v[3:4], v[37:38]
	v_mul_f64 v[77:78], v[1:2], v[37:38]
	s_waitcnt lgkmcnt(8)
	v_mul_f64 v[79:80], v[3:4], v[41:42]
	v_mul_f64 v[81:82], v[1:2], v[41:42]
	s_waitcnt lgkmcnt(7)
	v_mul_f64 v[83:84], v[45:46], v[37:38]
	v_mul_f64 v[37:38], v[43:44], v[37:38]
	v_mul_f64 v[85:86], v[45:46], v[41:42]
	v_mul_f64 v[41:42], v[43:44], v[41:42]
	s_waitcnt lgkmcnt(4)
	v_mul_f64 v[87:88], v[49:50], v[57:58]
	v_mul_f64 v[89:90], v[47:48], v[57:58]
	s_waitcnt lgkmcnt(3)
	v_mul_f64 v[91:92], v[49:50], v[61:62]
	v_mul_f64 v[93:94], v[47:48], v[61:62]
	;; [unrolled: 1-line block ×6, first 2 shown]
	s_waitcnt lgkmcnt(0)
	v_mul_f64 v[115:116], v[73:74], v[65:66]
	v_mul_f64 v[117:118], v[73:74], v[69:70]
	v_fma_f64 v[99:100], v[1:2], v[35:36], -v[75:76]
	v_fma_f64 v[101:102], v[3:4], v[35:36], v[77:78]
	v_fma_f64 v[79:80], v[1:2], v[39:40], -v[79:80]
	v_fma_f64 v[81:82], v[3:4], v[39:40], v[81:82]
	;; [unrolled: 2-line block ×4, first 2 shown]
	ds_load_b128 v[75:78], v31 offset:32
	v_fma_f64 v[87:88], v[47:48], v[55:56], -v[87:88]
	v_fma_f64 v[89:90], v[49:50], v[55:56], v[89:90]
	v_fma_f64 v[47:48], v[47:48], v[59:60], -v[91:92]
	v_fma_f64 v[49:50], v[49:50], v[59:60], v[93:94]
	;; [unrolled: 2-line block ×4, first 2 shown]
	ds_load_b128 v[1:4], v31 offset:48
	ds_load_b128 v[35:38], v31 offset:2096
	;; [unrolled: 1-line block ×4, first 2 shown]
	s_waitcnt lgkmcnt(4)
	v_mul_f64 v[107:108], v[77:78], v[65:66]
	v_mul_f64 v[109:110], v[75:76], v[65:66]
	;; [unrolled: 1-line block ×6, first 2 shown]
	s_waitcnt lgkmcnt(1)
	v_mul_f64 v[93:94], v[1:2], v[41:42]
	s_waitcnt lgkmcnt(0)
	v_mul_f64 v[95:96], v[3:4], v[45:46]
	v_add_f64 v[23:24], v[23:24], v[99:100]
	v_add_f64 v[25:26], v[25:26], v[101:102]
	;; [unrolled: 1-line block ×8, first 2 shown]
	v_mul_f64 v[85:86], v[3:4], v[41:42]
	v_mul_f64 v[97:98], v[1:2], v[45:46]
	;; [unrolled: 1-line block ×6, first 2 shown]
	ds_load_b128 v[11:14], v30 offset:2048
	ds_load_b128 v[15:18], v30 offset:2304
	;; [unrolled: 1-line block ×3, first 2 shown]
	v_fma_f64 v[105:106], v[75:76], v[63:64], -v[107:108]
	v_fma_f64 v[107:108], v[77:78], v[63:64], v[109:110]
	v_fma_f64 v[75:76], v[75:76], v[67:68], -v[111:112]
	v_fma_f64 v[77:78], v[77:78], v[67:68], v[113:114]
	;; [unrolled: 2-line block ×4, first 2 shown]
	s_waitcnt lgkmcnt(0)
	v_mul_f64 v[115:116], v[21:22], v[13:14]
	v_mul_f64 v[117:118], v[21:22], v[17:18]
	v_add_f64 v[69:70], v[23:24], v[87:88]
	v_add_f64 v[71:72], v[25:26], v[89:90]
	;; [unrolled: 1-line block ×8, first 2 shown]
	ds_load_b128 v[23:26], v31 offset:64
	v_fma_f64 v[85:86], v[1:2], v[39:40], -v[85:86]
	v_fma_f64 v[93:94], v[3:4], v[39:40], v[93:94]
	v_fma_f64 v[95:96], v[1:2], v[43:44], -v[95:96]
	v_fma_f64 v[97:98], v[3:4], v[43:44], v[97:98]
	;; [unrolled: 2-line block ×4, first 2 shown]
	ds_load_b128 v[45:48], v31 offset:80
	ds_load_b128 v[49:52], v31 offset:2128
	;; [unrolled: 1-line block ×7, first 2 shown]
	s_waitcnt lgkmcnt(7)
	v_mul_f64 v[89:90], v[25:26], v[13:14]
	v_mul_f64 v[91:92], v[23:24], v[13:14]
	;; [unrolled: 1-line block ×6, first 2 shown]
	s_waitcnt lgkmcnt(3)
	v_mul_f64 v[103:104], v[51:52], v[59:60]
	v_add_f64 v[69:70], v[69:70], v[105:106]
	v_add_f64 v[71:72], v[71:72], v[107:108]
	;; [unrolled: 1-line block ×8, first 2 shown]
	v_mul_f64 v[77:78], v[47:48], v[55:56]
	v_mul_f64 v[79:80], v[45:46], v[55:56]
	;; [unrolled: 1-line block ×7, first 2 shown]
	v_fma_f64 v[89:90], v[23:24], v[11:12], -v[89:90]
	v_fma_f64 v[91:92], v[25:26], v[11:12], v[91:92]
	v_fma_f64 v[107:108], v[23:24], v[15:16], -v[111:112]
	v_fma_f64 v[109:110], v[25:26], v[15:16], v[113:114]
	;; [unrolled: 2-line block ×4, first 2 shown]
	ds_load_b128 v[11:14], v31 offset:96
	v_add_f64 v[69:70], v[69:70], v[85:86]
	v_add_f64 v[71:72], v[71:72], v[93:94]
	;; [unrolled: 1-line block ×8, first 2 shown]
	s_waitcnt lgkmcnt(1)
	v_mul_f64 v[99:100], v[41:42], v[3:4]
	v_mul_f64 v[101:102], v[41:42], v[37:38]
	v_fma_f64 v[77:78], v[45:46], v[53:54], -v[77:78]
	v_fma_f64 v[79:80], v[47:48], v[53:54], v[79:80]
	v_fma_f64 v[45:46], v[45:46], v[57:58], -v[81:82]
	v_fma_f64 v[47:48], v[47:48], v[57:58], v[83:84]
	;; [unrolled: 2-line block ×4, first 2 shown]
	s_waitcnt lgkmcnt(0)
	v_mul_f64 v[67:68], v[13:14], v[3:4]
	v_mul_f64 v[93:94], v[11:12], v[3:4]
	;; [unrolled: 1-line block ×6, first 2 shown]
	ds_load_b128 v[15:18], v31 offset:112
	ds_load_b128 v[19:22], v31 offset:2160
	;; [unrolled: 1-line block ×4, first 2 shown]
	s_waitcnt lgkmcnt(0)
	s_barrier
	buffer_gl0_inv
	v_add_f64 v[55:56], v[69:70], v[89:90]
	v_add_f64 v[57:58], v[71:72], v[91:92]
	;; [unrolled: 1-line block ×8, first 2 shown]
	v_mul_f64 v[75:76], v[17:18], v[25:26]
	v_mul_f64 v[83:84], v[15:16], v[25:26]
	;; [unrolled: 1-line block ×8, first 2 shown]
	v_fma_f64 v[67:68], v[11:12], v[1:2], -v[67:68]
	v_fma_f64 v[93:94], v[13:14], v[1:2], v[93:94]
	v_fma_f64 v[11:12], v[11:12], v[35:36], -v[95:96]
	v_fma_f64 v[13:14], v[13:14], v[35:36], v[97:98]
	;; [unrolled: 2-line block ×4, first 2 shown]
	v_add_f64 v[37:38], v[55:56], v[77:78]
	v_add_f64 v[39:40], v[57:58], v[79:80]
	;; [unrolled: 1-line block ×8, first 2 shown]
	v_fma_f64 v[51:52], v[15:16], v[23:24], -v[75:76]
	v_fma_f64 v[55:56], v[17:18], v[23:24], v[83:84]
	v_fma_f64 v[15:16], v[15:16], v[59:60], -v[85:86]
	v_fma_f64 v[17:18], v[17:18], v[59:60], v[87:88]
	;; [unrolled: 2-line block ×4, first 2 shown]
	v_add_f64 v[19:20], v[37:38], v[67:68]
	v_add_f64 v[21:22], v[39:40], v[93:94]
	;; [unrolled: 1-line block ×16, first 2 shown]
	s_cbranch_scc1 .LBB762_9
.LBB762_3:                              ; =>This Inner Loop Header: Depth=1
	v_add_nc_u32_e32 v1, s21, v32
	v_dual_mov_b32 v3, v5 :: v_dual_mov_b32 v4, v6
	s_delay_alu instid0(VALU_DEP_2) | instskip(SKIP_1) | instid1(VALU_DEP_2)
	v_cmp_gt_i32_e64 s2, s19, v1
	v_dual_mov_b32 v1, v5 :: v_dual_mov_b32 v2, v6
	s_and_b32 s14, vcc_lo, s2
	s_delay_alu instid0(SALU_CYCLE_1)
	s_and_saveexec_b32 s2, s14
	s_cbranch_execz .LBB762_5
; %bb.4:                                ;   in Loop: Header=BB762_3 Depth=1
	global_load_b128 v[1:4], v[7:8], off offset:-8
.LBB762_5:                              ;   in Loop: Header=BB762_3 Depth=1
	s_or_b32 exec_lo, exec_lo, s2
	v_add_nc_u32_e32 v35, s21, v29
	s_waitcnt vmcnt(0)
	ds_store_b128 v33, v[1:4]
	v_cmp_le_i32_e64 s2, s19, v35
	s_delay_alu instid0(VALU_DEP_1) | instskip(NEXT) | instid1(SALU_CYCLE_1)
	s_or_b32 s2, s2, s3
	s_and_saveexec_b32 s14, s2
	s_delay_alu instid0(SALU_CYCLE_1)
	s_xor_b32 s2, exec_lo, s14
	s_cbranch_execz .LBB762_7
; %bb.6:                                ;   in Loop: Header=BB762_3 Depth=1
	v_mov_b32_e32 v1, v0
	v_mov_b32_e32 v2, v0
	;; [unrolled: 1-line block ×3, first 2 shown]
	ds_store_b128 v34, v[0:3]
.LBB762_7:                              ;   in Loop: Header=BB762_3 Depth=1
	s_and_not1_saveexec_b32 s2, s2
	s_cbranch_execz .LBB762_2
; %bb.8:                                ;   in Loop: Header=BB762_3 Depth=1
	global_load_b128 v[1:4], v[9:10], off
	s_waitcnt vmcnt(0)
	ds_store_2addr_b64 v34, v[1:2], v[3:4] offset1:1
	s_branch .LBB762_2
.LBB762_9:
	s_load_b32 s2, s[0:1], 0x60
	v_add_nc_u32_e32 v4, s13, v28
	v_add_nc_u32_e32 v0, s12, v27
	s_delay_alu instid0(VALU_DEP_1) | instskip(SKIP_1) | instid1(VALU_DEP_2)
	v_cmp_le_i32_e64 s0, v4, v0
	v_cmp_gt_i32_e32 vcc_lo, s18, v0
	s_and_b32 s0, s0, vcc_lo
	s_waitcnt lgkmcnt(0)
	v_mad_i64_i32 v[1:2], null, v4, s2, 0
	s_delay_alu instid0(VALU_DEP_1) | instskip(NEXT) | instid1(VALU_DEP_1)
	v_lshlrev_b64 v[1:2], 4, v[1:2]
	v_add_co_u32 v5, s1, s16, v1
	s_delay_alu instid0(VALU_DEP_1)
	v_add_co_ci_u32_e64 v6, s1, s17, v2, s1
	s_and_saveexec_b32 s1, s0
	s_cbranch_execz .LBB762_11
; %bb.10:
	v_ashrrev_i32_e32 v1, 31, v0
	v_mul_f64 v[27:28], s[6:7], v[25:26]
	v_mul_f64 v[25:26], s[4:5], v[25:26]
	s_delay_alu instid0(VALU_DEP_3) | instskip(NEXT) | instid1(VALU_DEP_1)
	v_lshlrev_b64 v[1:2], 4, v[0:1]
	v_add_co_u32 v1, s0, v5, v1
	s_delay_alu instid0(VALU_DEP_1)
	v_add_co_ci_u32_e64 v2, s0, v6, v2, s0
	global_load_b128 v[7:10], v[1:2], off
	v_fma_f64 v[27:28], s[4:5], v[23:24], -v[27:28]
	v_fma_f64 v[23:24], s[6:7], v[23:24], v[25:26]
	s_waitcnt vmcnt(0)
	v_mul_f64 v[29:30], s[10:11], v[9:10]
	v_mul_f64 v[9:10], s[8:9], v[9:10]
	s_delay_alu instid0(VALU_DEP_2) | instskip(NEXT) | instid1(VALU_DEP_2)
	v_fma_f64 v[25:26], s[8:9], v[7:8], -v[29:30]
	v_fma_f64 v[9:10], s[10:11], v[7:8], v[9:10]
	s_delay_alu instid0(VALU_DEP_2) | instskip(NEXT) | instid1(VALU_DEP_2)
	v_add_f64 v[7:8], v[27:28], v[25:26]
	v_add_f64 v[9:10], v[23:24], v[9:10]
	global_store_b128 v[1:2], v[7:10], off
.LBB762_11:
	s_or_b32 exec_lo, exec_lo, s1
	v_add_nc_u32_e32 v2, 16, v0
	s_delay_alu instid0(VALU_DEP_1) | instskip(SKIP_1) | instid1(VALU_DEP_1)
	v_cmp_le_i32_e64 s1, v4, v2
	v_cmp_gt_i32_e64 s0, s18, v2
	s_and_b32 s1, s1, s0
	s_delay_alu instid0(SALU_CYCLE_1)
	s_and_saveexec_b32 s3, s1
	s_cbranch_execz .LBB762_13
; %bb.12:
	v_ashrrev_i32_e32 v3, 31, v2
	v_mul_f64 v[23:24], s[6:7], v[21:22]
	v_mul_f64 v[21:22], s[4:5], v[21:22]
	s_delay_alu instid0(VALU_DEP_3) | instskip(NEXT) | instid1(VALU_DEP_1)
	v_lshlrev_b64 v[7:8], 4, v[2:3]
	v_add_co_u32 v9, s1, v5, v7
	s_delay_alu instid0(VALU_DEP_1)
	v_add_co_ci_u32_e64 v10, s1, v6, v8, s1
	global_load_b128 v[5:8], v[9:10], off
	v_fma_f64 v[23:24], s[4:5], v[19:20], -v[23:24]
	v_fma_f64 v[19:20], s[6:7], v[19:20], v[21:22]
	s_waitcnt vmcnt(0)
	v_mul_f64 v[25:26], s[10:11], v[7:8]
	v_mul_f64 v[7:8], s[8:9], v[7:8]
	s_delay_alu instid0(VALU_DEP_2) | instskip(NEXT) | instid1(VALU_DEP_2)
	v_fma_f64 v[21:22], s[8:9], v[5:6], -v[25:26]
	v_fma_f64 v[7:8], s[10:11], v[5:6], v[7:8]
	s_delay_alu instid0(VALU_DEP_2) | instskip(NEXT) | instid1(VALU_DEP_2)
	v_add_f64 v[5:6], v[23:24], v[21:22]
	v_add_f64 v[7:8], v[19:20], v[7:8]
	global_store_b128 v[9:10], v[5:8], off
.LBB762_13:
	s_or_b32 exec_lo, exec_lo, s3
	v_add_nc_u32_e32 v3, 16, v4
	s_delay_alu instid0(VALU_DEP_1) | instskip(SKIP_1) | instid1(VALU_DEP_2)
	v_mad_i64_i32 v[4:5], null, v3, s2, 0
	v_cmp_le_i32_e64 s1, v3, v0
	v_lshlrev_b64 v[4:5], 4, v[4:5]
	s_delay_alu instid0(VALU_DEP_1) | instskip(NEXT) | instid1(VALU_DEP_1)
	v_add_co_u32 v4, s2, s16, v4
	v_add_co_ci_u32_e64 v5, s2, s17, v5, s2
	s_delay_alu instid0(VALU_DEP_4) | instskip(NEXT) | instid1(SALU_CYCLE_1)
	s_and_b32 s2, s1, vcc_lo
	s_and_saveexec_b32 s1, s2
	s_cbranch_execz .LBB762_15
; %bb.14:
	v_ashrrev_i32_e32 v1, 31, v0
	v_mul_f64 v[19:20], s[6:7], v[17:18]
	v_mul_f64 v[17:18], s[4:5], v[17:18]
	s_delay_alu instid0(VALU_DEP_3) | instskip(NEXT) | instid1(VALU_DEP_1)
	v_lshlrev_b64 v[0:1], 4, v[0:1]
	v_add_co_u32 v0, vcc_lo, v4, v0
	s_delay_alu instid0(VALU_DEP_2)
	v_add_co_ci_u32_e32 v1, vcc_lo, v5, v1, vcc_lo
	global_load_b128 v[6:9], v[0:1], off
	v_fma_f64 v[19:20], s[4:5], v[15:16], -v[19:20]
	v_fma_f64 v[15:16], s[6:7], v[15:16], v[17:18]
	s_waitcnt vmcnt(0)
	v_mul_f64 v[21:22], s[10:11], v[8:9]
	v_mul_f64 v[8:9], s[8:9], v[8:9]
	s_delay_alu instid0(VALU_DEP_2) | instskip(NEXT) | instid1(VALU_DEP_2)
	v_fma_f64 v[17:18], s[8:9], v[6:7], -v[21:22]
	v_fma_f64 v[8:9], s[10:11], v[6:7], v[8:9]
	s_delay_alu instid0(VALU_DEP_2) | instskip(NEXT) | instid1(VALU_DEP_2)
	v_add_f64 v[6:7], v[19:20], v[17:18]
	v_add_f64 v[8:9], v[15:16], v[8:9]
	global_store_b128 v[0:1], v[6:9], off
.LBB762_15:
	s_or_b32 exec_lo, exec_lo, s1
	v_cmp_le_i32_e32 vcc_lo, v3, v2
	s_and_b32 s0, vcc_lo, s0
	s_delay_alu instid0(SALU_CYCLE_1)
	s_and_saveexec_b32 s1, s0
	s_cbranch_execz .LBB762_17
; %bb.16:
	v_ashrrev_i32_e32 v3, 31, v2
	v_mul_f64 v[6:7], s[6:7], v[13:14]
	v_mul_f64 v[8:9], s[4:5], v[13:14]
	s_delay_alu instid0(VALU_DEP_3) | instskip(NEXT) | instid1(VALU_DEP_1)
	v_lshlrev_b64 v[0:1], 4, v[2:3]
	v_add_co_u32 v4, vcc_lo, v4, v0
	s_delay_alu instid0(VALU_DEP_2)
	v_add_co_ci_u32_e32 v5, vcc_lo, v5, v1, vcc_lo
	global_load_b128 v[0:3], v[4:5], off
	v_fma_f64 v[6:7], s[4:5], v[11:12], -v[6:7]
	v_fma_f64 v[8:9], s[6:7], v[11:12], v[8:9]
	s_waitcnt vmcnt(0)
	v_mul_f64 v[13:14], s[10:11], v[2:3]
	v_mul_f64 v[2:3], s[8:9], v[2:3]
	s_delay_alu instid0(VALU_DEP_2) | instskip(NEXT) | instid1(VALU_DEP_2)
	v_fma_f64 v[10:11], s[8:9], v[0:1], -v[13:14]
	v_fma_f64 v[2:3], s[10:11], v[0:1], v[2:3]
	s_delay_alu instid0(VALU_DEP_2) | instskip(NEXT) | instid1(VALU_DEP_2)
	v_add_f64 v[0:1], v[6:7], v[10:11]
	v_add_f64 v[2:3], v[8:9], v[2:3]
	global_store_b128 v[4:5], v[0:3], off
.LBB762_17:
	s_nop 0
	s_sendmsg sendmsg(MSG_DEALLOC_VGPRS)
	s_endpgm
	.section	.rodata,"a",@progbits
	.p2align	6, 0x0
	.amdhsa_kernel _ZL34rocblas_syrkx_herkx_general_kernelIi19rocblas_complex_numIdELi16ELi32ELi8ELb0ELb0ELc67ELc76EKPKS1_KPS1_EviT_T0_PT8_S7_lSA_S7_lS8_PT9_S7_li
		.amdhsa_group_segment_fixed_size 8192
		.amdhsa_private_segment_fixed_size 0
		.amdhsa_kernarg_size 116
		.amdhsa_user_sgpr_count 13
		.amdhsa_user_sgpr_dispatch_ptr 0
		.amdhsa_user_sgpr_queue_ptr 0
		.amdhsa_user_sgpr_kernarg_segment_ptr 1
		.amdhsa_user_sgpr_dispatch_id 0
		.amdhsa_user_sgpr_private_segment_size 0
		.amdhsa_wavefront_size32 1
		.amdhsa_uses_dynamic_stack 0
		.amdhsa_enable_private_segment 0
		.amdhsa_system_sgpr_workgroup_id_x 1
		.amdhsa_system_sgpr_workgroup_id_y 1
		.amdhsa_system_sgpr_workgroup_id_z 1
		.amdhsa_system_sgpr_workgroup_info 0
		.amdhsa_system_vgpr_workitem_id 1
		.amdhsa_next_free_vgpr 121
		.amdhsa_next_free_sgpr 25
		.amdhsa_reserve_vcc 1
		.amdhsa_float_round_mode_32 0
		.amdhsa_float_round_mode_16_64 0
		.amdhsa_float_denorm_mode_32 3
		.amdhsa_float_denorm_mode_16_64 3
		.amdhsa_dx10_clamp 1
		.amdhsa_ieee_mode 1
		.amdhsa_fp16_overflow 0
		.amdhsa_workgroup_processor_mode 1
		.amdhsa_memory_ordered 1
		.amdhsa_forward_progress 0
		.amdhsa_shared_vgpr_count 0
		.amdhsa_exception_fp_ieee_invalid_op 0
		.amdhsa_exception_fp_denorm_src 0
		.amdhsa_exception_fp_ieee_div_zero 0
		.amdhsa_exception_fp_ieee_overflow 0
		.amdhsa_exception_fp_ieee_underflow 0
		.amdhsa_exception_fp_ieee_inexact 0
		.amdhsa_exception_int_div_zero 0
	.end_amdhsa_kernel
	.section	.text._ZL34rocblas_syrkx_herkx_general_kernelIi19rocblas_complex_numIdELi16ELi32ELi8ELb0ELb0ELc67ELc76EKPKS1_KPS1_EviT_T0_PT8_S7_lSA_S7_lS8_PT9_S7_li,"axG",@progbits,_ZL34rocblas_syrkx_herkx_general_kernelIi19rocblas_complex_numIdELi16ELi32ELi8ELb0ELb0ELc67ELc76EKPKS1_KPS1_EviT_T0_PT8_S7_lSA_S7_lS8_PT9_S7_li,comdat
.Lfunc_end762:
	.size	_ZL34rocblas_syrkx_herkx_general_kernelIi19rocblas_complex_numIdELi16ELi32ELi8ELb0ELb0ELc67ELc76EKPKS1_KPS1_EviT_T0_PT8_S7_lSA_S7_lS8_PT9_S7_li, .Lfunc_end762-_ZL34rocblas_syrkx_herkx_general_kernelIi19rocblas_complex_numIdELi16ELi32ELi8ELb0ELb0ELc67ELc76EKPKS1_KPS1_EviT_T0_PT8_S7_lSA_S7_lS8_PT9_S7_li
                                        ; -- End function
	.section	.AMDGPU.csdata,"",@progbits
; Kernel info:
; codeLenInByte = 3480
; NumSgprs: 27
; NumVgprs: 121
; ScratchSize: 0
; MemoryBound: 1
; FloatMode: 240
; IeeeMode: 1
; LDSByteSize: 8192 bytes/workgroup (compile time only)
; SGPRBlocks: 3
; VGPRBlocks: 15
; NumSGPRsForWavesPerEU: 27
; NumVGPRsForWavesPerEU: 121
; Occupancy: 10
; WaveLimiterHint : 1
; COMPUTE_PGM_RSRC2:SCRATCH_EN: 0
; COMPUTE_PGM_RSRC2:USER_SGPR: 13
; COMPUTE_PGM_RSRC2:TRAP_HANDLER: 0
; COMPUTE_PGM_RSRC2:TGID_X_EN: 1
; COMPUTE_PGM_RSRC2:TGID_Y_EN: 1
; COMPUTE_PGM_RSRC2:TGID_Z_EN: 1
; COMPUTE_PGM_RSRC2:TIDIG_COMP_CNT: 1
	.section	.text._ZL34rocblas_syrkx_herkx_general_kernelIi19rocblas_complex_numIdELi16ELi32ELi8ELb0ELb0ELc78ELc76EKPKS1_KPS1_EviT_T0_PT8_S7_lSA_S7_lS8_PT9_S7_li,"axG",@progbits,_ZL34rocblas_syrkx_herkx_general_kernelIi19rocblas_complex_numIdELi16ELi32ELi8ELb0ELb0ELc78ELc76EKPKS1_KPS1_EviT_T0_PT8_S7_lSA_S7_lS8_PT9_S7_li,comdat
	.globl	_ZL34rocblas_syrkx_herkx_general_kernelIi19rocblas_complex_numIdELi16ELi32ELi8ELb0ELb0ELc78ELc76EKPKS1_KPS1_EviT_T0_PT8_S7_lSA_S7_lS8_PT9_S7_li ; -- Begin function _ZL34rocblas_syrkx_herkx_general_kernelIi19rocblas_complex_numIdELi16ELi32ELi8ELb0ELb0ELc78ELc76EKPKS1_KPS1_EviT_T0_PT8_S7_lSA_S7_lS8_PT9_S7_li
	.p2align	8
	.type	_ZL34rocblas_syrkx_herkx_general_kernelIi19rocblas_complex_numIdELi16ELi32ELi8ELb0ELb0ELc78ELc76EKPKS1_KPS1_EviT_T0_PT8_S7_lSA_S7_lS8_PT9_S7_li,@function
_ZL34rocblas_syrkx_herkx_general_kernelIi19rocblas_complex_numIdELi16ELi32ELi8ELb0ELb0ELc78ELc76EKPKS1_KPS1_EviT_T0_PT8_S7_lSA_S7_lS8_PT9_S7_li: ; @_ZL34rocblas_syrkx_herkx_general_kernelIi19rocblas_complex_numIdELi16ELi32ELi8ELb0ELb0ELc78ELc76EKPKS1_KPS1_EviT_T0_PT8_S7_lSA_S7_lS8_PT9_S7_li
; %bb.0:
	s_load_b64 s[2:3], s[0:1], 0x58
	s_mov_b32 s20, s15
	s_mov_b32 s21, 0
	s_clause 0x1
	s_load_b64 s[18:19], s[0:1], 0x0
	s_load_b128 s[4:7], s[0:1], 0x8
	s_lshl_b64 s[22:23], s[20:21], 3
	v_mov_b32_e32 v21, 0
	v_dual_mov_b32 v22, 0 :: v_dual_and_b32 v25, 0x3ff, v0
	v_bfe_u32 v26, v0, 10, 10
	s_delay_alu instid0(VALU_DEP_3) | instskip(NEXT) | instid1(VALU_DEP_3)
	v_mov_b32_e32 v17, v21
	v_dual_mov_b32 v19, v21 :: v_dual_mov_b32 v20, v22
	v_dual_mov_b32 v24, v22 :: v_dual_mov_b32 v23, v21
	;; [unrolled: 1-line block ×5, first 2 shown]
	v_mov_b32_e32 v10, v22
	s_waitcnt lgkmcnt(0)
	s_add_u32 s2, s2, s22
	s_addc_u32 s3, s3, s23
	s_clause 0x1
	s_load_b64 s[24:25], s[0:1], 0x18
	s_load_b128 s[8:11], s[0:1], 0x48
	s_load_b64 s[16:17], s[2:3], 0x0
	v_dual_mov_b32 v11, v21 :: v_dual_mov_b32 v12, v22
	s_lshl_b32 s20, s13, 5
	s_lshl_b32 s26, s14, 5
	s_cmp_lt_i32 s19, 1
	s_cbranch_scc1 .LBB763_9
; %bb.1:
	s_clause 0x2
	s_load_b32 s12, s[0:1], 0x20
	s_load_b32 s14, s[0:1], 0x38
	s_load_b64 s[28:29], s[0:1], 0x30
	v_lshl_add_u32 v0, v26, 4, v25
	v_and_b32_e32 v27, 7, v25
	v_lshl_add_u32 v32, v26, 7, 0x1000
	v_mov_b32_e32 v11, 0
	s_delay_alu instid0(VALU_DEP_4) | instskip(SKIP_2) | instid1(VALU_DEP_4)
	v_dual_mov_b32 v12, 0 :: v_dual_and_b32 v1, 31, v0
	v_lshrrev_b32_e32 v28, 5, v0
	v_lshrrev_b32_e32 v3, 3, v0
	v_dual_mov_b32 v9, v11 :: v_dual_lshlrev_b32 v4, 4, v27
	s_delay_alu instid0(VALU_DEP_4)
	v_lshlrev_b32_e32 v6, 4, v1
	v_or_b32_e32 v5, s20, v1
	v_add_nc_u32_e32 v0, s20, v1
	v_add_nc_u32_e32 v2, s26, v3
	v_lshl_or_b32 v3, v3, 7, v4
	v_mov_b32_e32 v16, v12
	v_cmp_gt_i32_e64 s2, s18, v5
	s_waitcnt lgkmcnt(0)
	s_ashr_i32 s13, s12, 31
	s_ashr_i32 s15, s14, 31
	s_add_u32 s28, s28, s22
	s_addc_u32 s29, s29, s23
	s_add_u32 s22, s24, s22
	s_addc_u32 s23, s25, s23
	v_mad_i64_i32 v[4:5], null, v28, s12, 0
	s_load_b64 s[24:25], s[28:29], 0x0
	s_load_b64 s[22:23], s[22:23], 0x0
	v_lshl_or_b32 v29, v28, 9, v6
	v_mad_i64_i32 v[6:7], null, s14, v27, 0
	v_mov_b32_e32 v15, v11
	v_ashrrev_i32_e32 v1, 31, v0
	v_mov_b32_e32 v14, v12
	v_dual_mov_b32 v13, v11 :: v_dual_add_nc_u32 v30, 0x1000, v3
	v_ashrrev_i32_e32 v3, 31, v2
	v_lshlrev_b64 v[4:5], 4, v[4:5]
	v_lshlrev_b64 v[0:1], 4, v[0:1]
	v_cmp_gt_i32_e32 vcc_lo, s18, v2
	v_lshlrev_b64 v[6:7], 4, v[6:7]
	v_lshlrev_b64 v[2:3], 4, v[2:3]
	v_mov_b32_e32 v20, v12
	v_mov_b32_e32 v18, v12
	v_add_co_u32 v0, s3, v4, v0
	s_delay_alu instid0(VALU_DEP_1) | instskip(SKIP_1) | instid1(VALU_DEP_1)
	v_add_co_ci_u32_e64 v1, s3, v5, v1, s3
	v_add_co_u32 v2, s3, v6, v2
	v_add_co_ci_u32_e64 v3, s3, v7, v3, s3
	s_waitcnt lgkmcnt(0)
	v_add_co_u32 v5, s3, s22, v0
	s_delay_alu instid0(VALU_DEP_1) | instskip(SKIP_1) | instid1(VALU_DEP_1)
	v_add_co_ci_u32_e64 v6, s3, s23, v1, s3
	v_add_co_u32 v0, s3, v2, s24
	v_add_co_ci_u32_e64 v1, s3, s25, v3, s3
	v_mov_b32_e32 v24, v12
	s_delay_alu instid0(VALU_DEP_3)
	v_add_co_u32 v7, s3, v0, 8
	v_dual_mov_b32 v22, v12 :: v_dual_mov_b32 v21, v11
	v_dual_mov_b32 v10, v12 :: v_dual_lshlrev_b32 v31, 4, v25
	v_add_co_ci_u32_e64 v8, s3, 0, v1, s3
	v_dual_mov_b32 v0, 0 :: v_dual_mov_b32 v19, v11
	v_mov_b32_e32 v17, v11
	v_mov_b32_e32 v23, v11
	s_lshl_b64 s[12:13], s[12:13], 7
	s_lshl_b64 s[14:15], s[14:15], 7
	s_xor_b32 s3, s2, -1
	s_branch .LBB763_3
.LBB763_2:                              ;   in Loop: Header=BB763_3 Depth=1
	s_or_b32 exec_lo, exec_lo, s2
	s_waitcnt vmcnt(0)
	ds_store_b128 v30, v[1:4]
	s_waitcnt lgkmcnt(0)
	s_barrier
	buffer_gl0_inv
	ds_load_b128 v[1:4], v32
	ds_load_b128 v[33:36], v31
	ds_load_b128 v[37:40], v31 offset:256
	ds_load_b128 v[41:44], v32 offset:2048
	;; [unrolled: 1-line block ×9, first 2 shown]
	v_add_co_u32 v5, s2, v5, s12
	s_delay_alu instid0(VALU_DEP_1) | instskip(SKIP_1) | instid1(VALU_DEP_1)
	v_add_co_ci_u32_e64 v6, s2, s13, v6, s2
	v_add_co_u32 v7, s2, v7, s14
	v_add_co_ci_u32_e64 v8, s2, s15, v8, s2
	s_add_i32 s21, s21, 8
	s_delay_alu instid0(SALU_CYCLE_1)
	s_cmp_ge_i32 s21, s19
	s_waitcnt lgkmcnt(9)
	v_mul_f64 v[73:74], v[3:4], v[35:36]
	v_mul_f64 v[75:76], v[1:2], v[35:36]
	s_waitcnt lgkmcnt(8)
	v_mul_f64 v[77:78], v[3:4], v[39:40]
	v_mul_f64 v[79:80], v[1:2], v[39:40]
	s_waitcnt lgkmcnt(7)
	v_mul_f64 v[81:82], v[43:44], v[35:36]
	v_mul_f64 v[35:36], v[41:42], v[35:36]
	v_mul_f64 v[83:84], v[43:44], v[39:40]
	v_mul_f64 v[39:40], v[41:42], v[39:40]
	s_waitcnt lgkmcnt(4)
	v_mul_f64 v[85:86], v[47:48], v[55:56]
	v_mul_f64 v[87:88], v[45:46], v[55:56]
	s_waitcnt lgkmcnt(3)
	v_mul_f64 v[89:90], v[47:48], v[59:60]
	v_mul_f64 v[91:92], v[45:46], v[59:60]
	;; [unrolled: 1-line block ×6, first 2 shown]
	v_fma_f64 v[97:98], v[1:2], v[33:34], -v[73:74]
	v_fma_f64 v[99:100], v[3:4], v[33:34], v[75:76]
	ds_load_b128 v[73:76], v32 offset:32
	v_fma_f64 v[77:78], v[1:2], v[37:38], -v[77:78]
	v_fma_f64 v[79:80], v[3:4], v[37:38], v[79:80]
	v_fma_f64 v[81:82], v[41:42], v[33:34], -v[81:82]
	v_fma_f64 v[101:102], v[43:44], v[33:34], v[35:36]
	;; [unrolled: 2-line block ×3, first 2 shown]
	s_waitcnt lgkmcnt(1)
	v_mul_f64 v[113:114], v[71:72], v[63:64]
	v_fma_f64 v[85:86], v[45:46], v[53:54], -v[85:86]
	v_fma_f64 v[87:88], v[47:48], v[53:54], v[87:88]
	v_fma_f64 v[45:46], v[45:46], v[57:58], -v[89:90]
	v_fma_f64 v[47:48], v[47:48], v[57:58], v[91:92]
	v_mul_f64 v[89:90], v[71:72], v[67:68]
	v_fma_f64 v[91:92], v[49:50], v[53:54], -v[93:94]
	v_fma_f64 v[53:54], v[51:52], v[53:54], v[55:56]
	v_fma_f64 v[49:50], v[49:50], v[57:58], -v[95:96]
	v_fma_f64 v[51:52], v[51:52], v[57:58], v[59:60]
	ds_load_b128 v[1:4], v32 offset:48
	ds_load_b128 v[33:36], v32 offset:2096
	ds_load_b128 v[37:40], v31 offset:1536
	ds_load_b128 v[41:44], v31 offset:1792
	s_waitcnt lgkmcnt(4)
	v_mul_f64 v[105:106], v[75:76], v[63:64]
	v_mul_f64 v[107:108], v[73:74], v[63:64]
	;; [unrolled: 1-line block ×6, first 2 shown]
	s_waitcnt lgkmcnt(1)
	v_mul_f64 v[93:94], v[1:2], v[39:40]
	v_add_f64 v[21:22], v[21:22], v[97:98]
	v_add_f64 v[23:24], v[23:24], v[99:100]
	;; [unrolled: 1-line block ×8, first 2 shown]
	v_mul_f64 v[83:84], v[3:4], v[39:40]
	s_waitcnt lgkmcnt(0)
	v_mul_f64 v[95:96], v[3:4], v[43:44]
	v_mul_f64 v[97:98], v[1:2], v[43:44]
	;; [unrolled: 1-line block ×6, first 2 shown]
	ds_load_b128 v[9:12], v31 offset:2048
	ds_load_b128 v[13:16], v31 offset:2304
	ds_load_b128 v[17:20], v32 offset:2112
	v_fma_f64 v[105:106], v[73:74], v[61:62], -v[105:106]
	v_fma_f64 v[107:108], v[75:76], v[61:62], v[107:108]
	v_fma_f64 v[73:74], v[73:74], v[65:66], -v[109:110]
	v_fma_f64 v[75:76], v[75:76], v[65:66], v[111:112]
	;; [unrolled: 2-line block ×4, first 2 shown]
	s_waitcnt lgkmcnt(0)
	v_mul_f64 v[113:114], v[19:20], v[11:12]
	v_mul_f64 v[115:116], v[19:20], v[15:16]
	v_fma_f64 v[93:94], v[3:4], v[37:38], v[93:94]
	v_add_f64 v[67:68], v[21:22], v[85:86]
	v_add_f64 v[69:70], v[23:24], v[87:88]
	v_add_f64 v[71:72], v[55:56], v[45:46]
	v_add_f64 v[85:86], v[57:58], v[47:48]
	v_add_f64 v[59:60], v[59:60], v[91:92]
	v_add_f64 v[77:78], v[77:78], v[53:54]
	v_add_f64 v[79:80], v[79:80], v[49:50]
	v_add_f64 v[81:82], v[81:82], v[51:52]
	ds_load_b128 v[21:24], v32 offset:64
	v_fma_f64 v[83:84], v[1:2], v[37:38], -v[83:84]
	v_fma_f64 v[95:96], v[1:2], v[41:42], -v[95:96]
	v_fma_f64 v[97:98], v[3:4], v[41:42], v[97:98]
	v_fma_f64 v[99:100], v[33:34], v[37:38], -v[99:100]
	v_fma_f64 v[117:118], v[35:36], v[37:38], v[39:40]
	;; [unrolled: 2-line block ×3, first 2 shown]
	ds_load_b128 v[43:46], v32 offset:80
	ds_load_b128 v[47:50], v32 offset:2128
	;; [unrolled: 1-line block ×7, first 2 shown]
	s_waitcnt lgkmcnt(7)
	v_mul_f64 v[87:88], v[23:24], v[11:12]
	v_mul_f64 v[89:90], v[21:22], v[11:12]
	;; [unrolled: 1-line block ×6, first 2 shown]
	s_waitcnt lgkmcnt(3)
	v_mul_f64 v[103:104], v[49:50], v[57:58]
	v_add_f64 v[67:68], v[67:68], v[105:106]
	v_add_f64 v[69:70], v[69:70], v[107:108]
	;; [unrolled: 1-line block ×8, first 2 shown]
	v_mul_f64 v[75:76], v[45:46], v[53:54]
	v_mul_f64 v[77:78], v[43:44], v[53:54]
	v_mul_f64 v[79:80], v[45:46], v[57:58]
	v_mul_f64 v[81:82], v[43:44], v[57:58]
	v_mul_f64 v[85:86], v[49:50], v[53:54]
	v_mul_f64 v[53:54], v[47:48], v[53:54]
	v_mul_f64 v[105:106], v[47:48], v[57:58]
	v_fma_f64 v[109:110], v[17:18], v[9:10], -v[113:114]
	v_fma_f64 v[113:114], v[17:18], v[13:14], -v[115:116]
	;; [unrolled: 1-line block ×3, first 2 shown]
	v_fma_f64 v[89:90], v[23:24], v[9:10], v[89:90]
	v_fma_f64 v[91:92], v[21:22], v[13:14], -v[91:92]
	v_fma_f64 v[107:108], v[23:24], v[13:14], v[111:112]
	v_fma_f64 v[111:112], v[19:20], v[9:10], v[11:12]
	v_fma_f64 v[115:116], v[19:20], v[13:14], v[15:16]
	ds_load_b128 v[9:12], v32 offset:96
	v_add_f64 v[67:68], v[67:68], v[83:84]
	v_add_f64 v[69:70], v[69:70], v[93:94]
	;; [unrolled: 1-line block ×8, first 2 shown]
	s_waitcnt lgkmcnt(1)
	v_mul_f64 v[99:100], v[39:40], v[3:4]
	v_fma_f64 v[75:76], v[43:44], v[51:52], -v[75:76]
	v_fma_f64 v[77:78], v[45:46], v[51:52], v[77:78]
	v_fma_f64 v[43:44], v[43:44], v[55:56], -v[79:80]
	v_fma_f64 v[45:46], v[45:46], v[55:56], v[81:82]
	v_mul_f64 v[79:80], v[39:40], v[35:36]
	v_fma_f64 v[81:82], v[47:48], v[51:52], -v[85:86]
	v_fma_f64 v[51:52], v[49:50], v[51:52], v[53:54]
	s_waitcnt lgkmcnt(0)
	v_mul_f64 v[65:66], v[11:12], v[3:4]
	v_mul_f64 v[93:94], v[9:10], v[3:4]
	;; [unrolled: 1-line block ×6, first 2 shown]
	v_fma_f64 v[47:48], v[47:48], v[55:56], -v[103:104]
	v_fma_f64 v[49:50], v[49:50], v[55:56], v[105:106]
	ds_load_b128 v[13:16], v32 offset:112
	ds_load_b128 v[17:20], v32 offset:2160
	;; [unrolled: 1-line block ×4, first 2 shown]
	s_waitcnt lgkmcnt(0)
	s_barrier
	buffer_gl0_inv
	v_add_f64 v[53:54], v[67:68], v[87:88]
	v_add_f64 v[55:56], v[69:70], v[89:90]
	;; [unrolled: 1-line block ×8, first 2 shown]
	v_mul_f64 v[73:74], v[15:16], v[23:24]
	v_mul_f64 v[83:84], v[13:14], v[23:24]
	v_mul_f64 v[85:86], v[15:16], v[59:60]
	v_mul_f64 v[87:88], v[13:14], v[59:60]
	v_mul_f64 v[89:90], v[19:20], v[23:24]
	v_mul_f64 v[23:24], v[17:18], v[23:24]
	v_mul_f64 v[91:92], v[19:20], v[59:60]
	v_mul_f64 v[59:60], v[17:18], v[59:60]
	v_fma_f64 v[65:66], v[9:10], v[1:2], -v[65:66]
	v_fma_f64 v[93:94], v[11:12], v[1:2], v[93:94]
	v_fma_f64 v[9:10], v[9:10], v[33:34], -v[95:96]
	v_fma_f64 v[11:12], v[11:12], v[33:34], v[97:98]
	;; [unrolled: 2-line block ×4, first 2 shown]
	v_add_f64 v[35:36], v[53:54], v[75:76]
	v_add_f64 v[37:38], v[55:56], v[77:78]
	;; [unrolled: 1-line block ×8, first 2 shown]
	v_fma_f64 v[49:50], v[13:14], v[21:22], -v[73:74]
	v_fma_f64 v[53:54], v[15:16], v[21:22], v[83:84]
	v_fma_f64 v[13:14], v[13:14], v[57:58], -v[85:86]
	v_fma_f64 v[15:16], v[15:16], v[57:58], v[87:88]
	v_fma_f64 v[55:56], v[17:18], v[21:22], -v[89:90]
	v_fma_f64 v[61:62], v[19:20], v[21:22], v[23:24]
	v_fma_f64 v[63:64], v[17:18], v[57:58], -v[91:92]
	v_fma_f64 v[57:58], v[19:20], v[57:58], v[59:60]
	v_add_f64 v[17:18], v[35:36], v[65:66]
	v_add_f64 v[19:20], v[37:38], v[93:94]
	;; [unrolled: 1-line block ×16, first 2 shown]
	s_cbranch_scc1 .LBB763_9
.LBB763_3:                              ; =>This Inner Loop Header: Depth=1
	v_add_nc_u32_e32 v1, s21, v28
	s_delay_alu instid0(VALU_DEP_1) | instskip(NEXT) | instid1(VALU_DEP_1)
	v_cmp_le_i32_e64 s2, s19, v1
	s_or_b32 s2, s3, s2
	s_delay_alu instid0(SALU_CYCLE_1) | instskip(NEXT) | instid1(SALU_CYCLE_1)
	s_and_saveexec_b32 s22, s2
	s_xor_b32 s2, exec_lo, s22
	s_cbranch_execz .LBB763_5
; %bb.4:                                ;   in Loop: Header=BB763_3 Depth=1
	v_mov_b32_e32 v1, v0
	v_mov_b32_e32 v2, v0
	;; [unrolled: 1-line block ×3, first 2 shown]
	ds_store_b128 v29, v[0:3]
.LBB763_5:                              ;   in Loop: Header=BB763_3 Depth=1
	s_and_not1_saveexec_b32 s2, s2
	s_cbranch_execz .LBB763_7
; %bb.6:                                ;   in Loop: Header=BB763_3 Depth=1
	global_load_b128 v[1:4], v[5:6], off
	s_waitcnt vmcnt(0)
	ds_store_2addr_b64 v29, v[1:2], v[3:4] offset1:1
.LBB763_7:                              ;   in Loop: Header=BB763_3 Depth=1
	s_or_b32 exec_lo, exec_lo, s2
	v_add_nc_u32_e32 v3, s21, v27
	v_mov_b32_e32 v1, 0
	v_mov_b32_e32 v2, 0
	s_delay_alu instid0(VALU_DEP_3) | instskip(NEXT) | instid1(VALU_DEP_2)
	v_cmp_gt_i32_e64 s2, s19, v3
	v_dual_mov_b32 v4, v2 :: v_dual_mov_b32 v3, v1
	s_delay_alu instid0(VALU_DEP_2) | instskip(NEXT) | instid1(SALU_CYCLE_1)
	s_and_b32 s22, s2, vcc_lo
	s_and_saveexec_b32 s2, s22
	s_cbranch_execz .LBB763_2
; %bb.8:                                ;   in Loop: Header=BB763_3 Depth=1
	global_load_b128 v[1:4], v[7:8], off offset:-8
	s_branch .LBB763_2
.LBB763_9:
	s_load_b32 s2, s[0:1], 0x60
	v_add_nc_u32_e32 v4, s26, v26
	v_add_nc_u32_e32 v0, s20, v25
	s_delay_alu instid0(VALU_DEP_1) | instskip(SKIP_1) | instid1(VALU_DEP_2)
	v_cmp_le_i32_e64 s0, v4, v0
	v_cmp_gt_i32_e32 vcc_lo, s18, v0
	s_and_b32 s0, s0, vcc_lo
	s_waitcnt lgkmcnt(0)
	v_mad_i64_i32 v[1:2], null, v4, s2, 0
	s_delay_alu instid0(VALU_DEP_1) | instskip(NEXT) | instid1(VALU_DEP_1)
	v_lshlrev_b64 v[1:2], 4, v[1:2]
	v_add_co_u32 v5, s1, s16, v1
	s_delay_alu instid0(VALU_DEP_1)
	v_add_co_ci_u32_e64 v6, s1, s17, v2, s1
	s_and_saveexec_b32 s1, s0
	s_cbranch_execz .LBB763_11
; %bb.10:
	v_ashrrev_i32_e32 v1, 31, v0
	v_mul_f64 v[7:8], s[6:7], v[23:24]
	v_mul_f64 v[23:24], s[4:5], v[23:24]
	s_delay_alu instid0(VALU_DEP_3) | instskip(NEXT) | instid1(VALU_DEP_1)
	v_lshlrev_b64 v[1:2], 4, v[0:1]
	v_add_co_u32 v1, s0, v5, v1
	s_delay_alu instid0(VALU_DEP_1)
	v_add_co_ci_u32_e64 v2, s0, v6, v2, s0
	global_load_b128 v[25:28], v[1:2], off
	v_fma_f64 v[7:8], s[4:5], v[21:22], -v[7:8]
	v_fma_f64 v[23:24], s[6:7], v[21:22], v[23:24]
	s_waitcnt vmcnt(0)
	v_mul_f64 v[29:30], s[10:11], v[27:28]
	v_mul_f64 v[27:28], s[8:9], v[27:28]
	s_delay_alu instid0(VALU_DEP_2) | instskip(NEXT) | instid1(VALU_DEP_2)
	v_fma_f64 v[21:22], s[8:9], v[25:26], -v[29:30]
	v_fma_f64 v[25:26], s[10:11], v[25:26], v[27:28]
	s_delay_alu instid0(VALU_DEP_2) | instskip(NEXT) | instid1(VALU_DEP_2)
	v_add_f64 v[21:22], v[7:8], v[21:22]
	v_add_f64 v[23:24], v[23:24], v[25:26]
	global_store_b128 v[1:2], v[21:24], off
.LBB763_11:
	s_or_b32 exec_lo, exec_lo, s1
	v_add_nc_u32_e32 v2, 16, v0
	s_delay_alu instid0(VALU_DEP_1) | instskip(SKIP_1) | instid1(VALU_DEP_1)
	v_cmp_le_i32_e64 s1, v4, v2
	v_cmp_gt_i32_e64 s0, s18, v2
	s_and_b32 s1, s1, s0
	s_delay_alu instid0(SALU_CYCLE_1)
	s_and_saveexec_b32 s3, s1
	s_cbranch_execz .LBB763_13
; %bb.12:
	v_ashrrev_i32_e32 v3, 31, v2
	v_mul_f64 v[23:24], s[6:7], v[19:20]
	v_mul_f64 v[19:20], s[4:5], v[19:20]
	s_delay_alu instid0(VALU_DEP_3) | instskip(NEXT) | instid1(VALU_DEP_1)
	v_lshlrev_b64 v[7:8], 4, v[2:3]
	v_add_co_u32 v21, s1, v5, v7
	s_delay_alu instid0(VALU_DEP_1)
	v_add_co_ci_u32_e64 v22, s1, v6, v8, s1
	global_load_b128 v[5:8], v[21:22], off
	v_fma_f64 v[23:24], s[4:5], v[17:18], -v[23:24]
	v_fma_f64 v[17:18], s[6:7], v[17:18], v[19:20]
	s_waitcnt vmcnt(0)
	v_mul_f64 v[25:26], s[10:11], v[7:8]
	v_mul_f64 v[7:8], s[8:9], v[7:8]
	s_delay_alu instid0(VALU_DEP_2) | instskip(NEXT) | instid1(VALU_DEP_2)
	v_fma_f64 v[19:20], s[8:9], v[5:6], -v[25:26]
	v_fma_f64 v[7:8], s[10:11], v[5:6], v[7:8]
	s_delay_alu instid0(VALU_DEP_2) | instskip(NEXT) | instid1(VALU_DEP_2)
	v_add_f64 v[5:6], v[23:24], v[19:20]
	v_add_f64 v[7:8], v[17:18], v[7:8]
	global_store_b128 v[21:22], v[5:8], off
.LBB763_13:
	s_or_b32 exec_lo, exec_lo, s3
	v_add_nc_u32_e32 v3, 16, v4
	s_delay_alu instid0(VALU_DEP_1) | instskip(SKIP_1) | instid1(VALU_DEP_2)
	v_mad_i64_i32 v[4:5], null, v3, s2, 0
	v_cmp_le_i32_e64 s1, v3, v0
	v_lshlrev_b64 v[4:5], 4, v[4:5]
	s_delay_alu instid0(VALU_DEP_1) | instskip(NEXT) | instid1(VALU_DEP_1)
	v_add_co_u32 v4, s2, s16, v4
	v_add_co_ci_u32_e64 v5, s2, s17, v5, s2
	s_delay_alu instid0(VALU_DEP_4) | instskip(NEXT) | instid1(SALU_CYCLE_1)
	s_and_b32 s2, s1, vcc_lo
	s_and_saveexec_b32 s1, s2
	s_cbranch_execz .LBB763_15
; %bb.14:
	v_ashrrev_i32_e32 v1, 31, v0
	v_mul_f64 v[6:7], s[6:7], v[15:16]
	v_mul_f64 v[15:16], s[4:5], v[15:16]
	s_delay_alu instid0(VALU_DEP_3) | instskip(NEXT) | instid1(VALU_DEP_1)
	v_lshlrev_b64 v[0:1], 4, v[0:1]
	v_add_co_u32 v0, vcc_lo, v4, v0
	s_delay_alu instid0(VALU_DEP_2)
	v_add_co_ci_u32_e32 v1, vcc_lo, v5, v1, vcc_lo
	global_load_b128 v[17:20], v[0:1], off
	v_fma_f64 v[6:7], s[4:5], v[13:14], -v[6:7]
	v_fma_f64 v[15:16], s[6:7], v[13:14], v[15:16]
	s_waitcnt vmcnt(0)
	v_mul_f64 v[21:22], s[10:11], v[19:20]
	v_mul_f64 v[19:20], s[8:9], v[19:20]
	s_delay_alu instid0(VALU_DEP_2) | instskip(NEXT) | instid1(VALU_DEP_2)
	v_fma_f64 v[13:14], s[8:9], v[17:18], -v[21:22]
	v_fma_f64 v[17:18], s[10:11], v[17:18], v[19:20]
	s_delay_alu instid0(VALU_DEP_2) | instskip(NEXT) | instid1(VALU_DEP_2)
	v_add_f64 v[13:14], v[6:7], v[13:14]
	v_add_f64 v[15:16], v[15:16], v[17:18]
	global_store_b128 v[0:1], v[13:16], off
.LBB763_15:
	s_or_b32 exec_lo, exec_lo, s1
	v_cmp_le_i32_e32 vcc_lo, v3, v2
	s_and_b32 s0, vcc_lo, s0
	s_delay_alu instid0(SALU_CYCLE_1)
	s_and_saveexec_b32 s1, s0
	s_cbranch_execz .LBB763_17
; %bb.16:
	v_ashrrev_i32_e32 v3, 31, v2
	v_mul_f64 v[6:7], s[6:7], v[11:12]
	v_mul_f64 v[11:12], s[4:5], v[11:12]
	s_delay_alu instid0(VALU_DEP_3) | instskip(NEXT) | instid1(VALU_DEP_1)
	v_lshlrev_b64 v[0:1], 4, v[2:3]
	v_add_co_u32 v4, vcc_lo, v4, v0
	s_delay_alu instid0(VALU_DEP_2)
	v_add_co_ci_u32_e32 v5, vcc_lo, v5, v1, vcc_lo
	global_load_b128 v[0:3], v[4:5], off
	v_fma_f64 v[6:7], s[4:5], v[9:10], -v[6:7]
	v_fma_f64 v[8:9], s[6:7], v[9:10], v[11:12]
	s_waitcnt vmcnt(0)
	v_mul_f64 v[13:14], s[10:11], v[2:3]
	v_mul_f64 v[2:3], s[8:9], v[2:3]
	s_delay_alu instid0(VALU_DEP_2) | instskip(NEXT) | instid1(VALU_DEP_2)
	v_fma_f64 v[10:11], s[8:9], v[0:1], -v[13:14]
	v_fma_f64 v[2:3], s[10:11], v[0:1], v[2:3]
	s_delay_alu instid0(VALU_DEP_2) | instskip(NEXT) | instid1(VALU_DEP_2)
	v_add_f64 v[0:1], v[6:7], v[10:11]
	v_add_f64 v[2:3], v[8:9], v[2:3]
	global_store_b128 v[4:5], v[0:3], off
.LBB763_17:
	s_nop 0
	s_sendmsg sendmsg(MSG_DEALLOC_VGPRS)
	s_endpgm
	.section	.rodata,"a",@progbits
	.p2align	6, 0x0
	.amdhsa_kernel _ZL34rocblas_syrkx_herkx_general_kernelIi19rocblas_complex_numIdELi16ELi32ELi8ELb0ELb0ELc78ELc76EKPKS1_KPS1_EviT_T0_PT8_S7_lSA_S7_lS8_PT9_S7_li
		.amdhsa_group_segment_fixed_size 8192
		.amdhsa_private_segment_fixed_size 0
		.amdhsa_kernarg_size 116
		.amdhsa_user_sgpr_count 13
		.amdhsa_user_sgpr_dispatch_ptr 0
		.amdhsa_user_sgpr_queue_ptr 0
		.amdhsa_user_sgpr_kernarg_segment_ptr 1
		.amdhsa_user_sgpr_dispatch_id 0
		.amdhsa_user_sgpr_private_segment_size 0
		.amdhsa_wavefront_size32 1
		.amdhsa_uses_dynamic_stack 0
		.amdhsa_enable_private_segment 0
		.amdhsa_system_sgpr_workgroup_id_x 1
		.amdhsa_system_sgpr_workgroup_id_y 1
		.amdhsa_system_sgpr_workgroup_id_z 1
		.amdhsa_system_sgpr_workgroup_info 0
		.amdhsa_system_vgpr_workitem_id 1
		.amdhsa_next_free_vgpr 119
		.amdhsa_next_free_sgpr 30
		.amdhsa_reserve_vcc 1
		.amdhsa_float_round_mode_32 0
		.amdhsa_float_round_mode_16_64 0
		.amdhsa_float_denorm_mode_32 3
		.amdhsa_float_denorm_mode_16_64 3
		.amdhsa_dx10_clamp 1
		.amdhsa_ieee_mode 1
		.amdhsa_fp16_overflow 0
		.amdhsa_workgroup_processor_mode 1
		.amdhsa_memory_ordered 1
		.amdhsa_forward_progress 0
		.amdhsa_shared_vgpr_count 0
		.amdhsa_exception_fp_ieee_invalid_op 0
		.amdhsa_exception_fp_denorm_src 0
		.amdhsa_exception_fp_ieee_div_zero 0
		.amdhsa_exception_fp_ieee_overflow 0
		.amdhsa_exception_fp_ieee_underflow 0
		.amdhsa_exception_fp_ieee_inexact 0
		.amdhsa_exception_int_div_zero 0
	.end_amdhsa_kernel
	.section	.text._ZL34rocblas_syrkx_herkx_general_kernelIi19rocblas_complex_numIdELi16ELi32ELi8ELb0ELb0ELc78ELc76EKPKS1_KPS1_EviT_T0_PT8_S7_lSA_S7_lS8_PT9_S7_li,"axG",@progbits,_ZL34rocblas_syrkx_herkx_general_kernelIi19rocblas_complex_numIdELi16ELi32ELi8ELb0ELb0ELc78ELc76EKPKS1_KPS1_EviT_T0_PT8_S7_lSA_S7_lS8_PT9_S7_li,comdat
.Lfunc_end763:
	.size	_ZL34rocblas_syrkx_herkx_general_kernelIi19rocblas_complex_numIdELi16ELi32ELi8ELb0ELb0ELc78ELc76EKPKS1_KPS1_EviT_T0_PT8_S7_lSA_S7_lS8_PT9_S7_li, .Lfunc_end763-_ZL34rocblas_syrkx_herkx_general_kernelIi19rocblas_complex_numIdELi16ELi32ELi8ELb0ELb0ELc78ELc76EKPKS1_KPS1_EviT_T0_PT8_S7_lSA_S7_lS8_PT9_S7_li
                                        ; -- End function
	.section	.AMDGPU.csdata,"",@progbits
; Kernel info:
; codeLenInByte = 3496
; NumSgprs: 32
; NumVgprs: 119
; ScratchSize: 0
; MemoryBound: 1
; FloatMode: 240
; IeeeMode: 1
; LDSByteSize: 8192 bytes/workgroup (compile time only)
; SGPRBlocks: 3
; VGPRBlocks: 14
; NumSGPRsForWavesPerEU: 32
; NumVGPRsForWavesPerEU: 119
; Occupancy: 12
; WaveLimiterHint : 1
; COMPUTE_PGM_RSRC2:SCRATCH_EN: 0
; COMPUTE_PGM_RSRC2:USER_SGPR: 13
; COMPUTE_PGM_RSRC2:TRAP_HANDLER: 0
; COMPUTE_PGM_RSRC2:TGID_X_EN: 1
; COMPUTE_PGM_RSRC2:TGID_Y_EN: 1
; COMPUTE_PGM_RSRC2:TGID_Z_EN: 1
; COMPUTE_PGM_RSRC2:TIDIG_COMP_CNT: 1
	.section	.text._ZL34rocblas_syrkx_herkx_general_kernelIi19rocblas_complex_numIdELi16ELi32ELi8ELb0ELb0ELc84ELc85EKPKS1_KPS1_EviT_T0_PT8_S7_lSA_S7_lS8_PT9_S7_li,"axG",@progbits,_ZL34rocblas_syrkx_herkx_general_kernelIi19rocblas_complex_numIdELi16ELi32ELi8ELb0ELb0ELc84ELc85EKPKS1_KPS1_EviT_T0_PT8_S7_lSA_S7_lS8_PT9_S7_li,comdat
	.globl	_ZL34rocblas_syrkx_herkx_general_kernelIi19rocblas_complex_numIdELi16ELi32ELi8ELb0ELb0ELc84ELc85EKPKS1_KPS1_EviT_T0_PT8_S7_lSA_S7_lS8_PT9_S7_li ; -- Begin function _ZL34rocblas_syrkx_herkx_general_kernelIi19rocblas_complex_numIdELi16ELi32ELi8ELb0ELb0ELc84ELc85EKPKS1_KPS1_EviT_T0_PT8_S7_lSA_S7_lS8_PT9_S7_li
	.p2align	8
	.type	_ZL34rocblas_syrkx_herkx_general_kernelIi19rocblas_complex_numIdELi16ELi32ELi8ELb0ELb0ELc84ELc85EKPKS1_KPS1_EviT_T0_PT8_S7_lSA_S7_lS8_PT9_S7_li,@function
_ZL34rocblas_syrkx_herkx_general_kernelIi19rocblas_complex_numIdELi16ELi32ELi8ELb0ELb0ELc84ELc85EKPKS1_KPS1_EviT_T0_PT8_S7_lSA_S7_lS8_PT9_S7_li: ; @_ZL34rocblas_syrkx_herkx_general_kernelIi19rocblas_complex_numIdELi16ELi32ELi8ELb0ELb0ELc84ELc85EKPKS1_KPS1_EviT_T0_PT8_S7_lSA_S7_lS8_PT9_S7_li
; %bb.0:
	s_load_b64 s[8:9], s[0:1], 0x58
	s_mov_b32 s20, s15
	s_mov_b32 s21, 0
	s_clause 0x1
	s_load_b64 s[16:17], s[0:1], 0x0
	s_load_b128 s[4:7], s[0:1], 0x8
	s_lshl_b64 s[2:3], s[20:21], 3
	v_mov_b32_e32 v20, 0
	v_dual_mov_b32 v21, 0 :: v_dual_and_b32 v24, 0x3ff, v0
	v_bfe_u32 v25, v0, 10, 10
	s_delay_alu instid0(VALU_DEP_3) | instskip(NEXT) | instid1(VALU_DEP_3)
	v_mov_b32_e32 v16, v20
	v_dual_mov_b32 v18, v20 :: v_dual_mov_b32 v19, v21
	v_dual_mov_b32 v23, v21 :: v_dual_mov_b32 v22, v20
	;; [unrolled: 1-line block ×5, first 2 shown]
	v_mov_b32_e32 v11, v21
	s_waitcnt lgkmcnt(0)
	s_add_u32 s18, s8, s2
	s_addc_u32 s19, s9, s3
	s_clause 0x1
	s_load_b64 s[22:23], s[0:1], 0x18
	s_load_b128 s[8:11], s[0:1], 0x48
	s_load_b64 s[18:19], s[18:19], 0x0
	v_dual_mov_b32 v8, v20 :: v_dual_mov_b32 v9, v21
	s_lshl_b32 s12, s13, 5
	s_lshl_b32 s13, s14, 5
	s_cmp_lt_i32 s17, 1
	s_cbranch_scc1 .LBB764_11
; %bb.1:
	s_clause 0x1
	s_load_b64 s[14:15], s[0:1], 0x30
	s_load_b32 s20, s[0:1], 0x20
	v_lshl_add_u32 v0, v25, 4, v24
	v_dual_mov_b32 v8, 0 :: v_dual_lshlrev_b32 v27, 4, v24
	v_dual_mov_b32 v9, 0 :: v_dual_and_b32 v26, 7, v24
	s_delay_alu instid0(VALU_DEP_3)
	v_and_b32_e32 v1, 31, v0
	s_load_b32 s24, s[0:1], 0x38
	v_lshrrev_b32_e32 v2, 3, v0
	v_lshrrev_b32_e32 v29, 5, v0
	v_mov_b32_e32 v15, v9
	v_dual_mov_b32 v14, v8 :: v_dual_add_nc_u32 v3, s12, v1
	v_or_b32_e32 v6, s12, v1
	v_lshlrev_b32_e32 v7, 4, v1
	v_lshlrev_b32_e32 v4, 4, v26
	;; [unrolled: 1-line block ×3, first 2 shown]
	v_add_nc_u32_e32 v5, s13, v2
	v_mov_b32_e32 v19, v9
	s_waitcnt lgkmcnt(0)
	s_add_u32 s14, s14, s2
	v_mad_i64_i32 v[0:1], null, s20, v3, 0
	s_addc_u32 s15, s15, s3
	s_add_u32 s2, s22, s2
	v_lshl_or_b32 v10, v2, 7, v4
	s_addc_u32 s3, s23, s3
	v_mov_b32_e32 v18, v8
	s_load_b64 s[22:23], s[2:3], 0x0
	s_delay_alu instid0(VALU_DEP_3)
	v_lshlrev_b64 v[0:1], 4, v[0:1]
	v_add_nc_u32_e32 v31, 0x1000, v10
	s_load_b64 s[14:15], s[14:15], 0x0
	v_cmp_gt_i32_e32 vcc_lo, s16, v6
	v_mov_b32_e32 v13, v9
	v_mov_b32_e32 v17, v9
	v_add_co_u32 v0, s3, v0, v11
	v_dual_mov_b32 v11, v9 :: v_dual_mov_b32 v10, v8
	v_mad_i64_i32 v[2:3], null, s24, v5, 0
	v_add_co_ci_u32_e64 v1, s3, 0, v1, s3
	v_cmp_gt_i32_e64 s2, s16, v5
	v_mov_b32_e32 v23, v9
	v_dual_mov_b32 v21, v9 :: v_dual_mov_b32 v20, v8
	v_lshlrev_b64 v[2:3], 4, v[2:3]
	v_lshl_add_u32 v28, v25, 7, 0x1000
	v_mov_b32_e32 v12, v8
	v_lshl_or_b32 v30, v29, 9, v7
	v_mov_b32_e32 v16, v8
	v_mov_b32_e32 v22, v8
	v_add_co_u32 v2, s3, v2, v4
	s_delay_alu instid0(VALU_DEP_1) | instskip(SKIP_2) | instid1(VALU_DEP_1)
	v_add_co_ci_u32_e64 v3, s3, 0, v3, s3
	s_waitcnt lgkmcnt(0)
	v_add_co_u32 v4, s3, s22, v0
	v_add_co_ci_u32_e64 v5, s3, s23, v1, s3
	v_add_co_u32 v6, s3, s14, v2
	s_delay_alu instid0(VALU_DEP_1)
	v_add_co_ci_u32_e64 v7, s3, s15, v3, s3
	v_mov_b32_e32 v0, 0
	s_xor_b32 s3, vcc_lo, -1
	s_xor_b32 s2, s2, -1
	s_branch .LBB764_3
.LBB764_2:                              ;   in Loop: Header=BB764_3 Depth=1
	s_or_b32 exec_lo, exec_lo, s14
	s_waitcnt lgkmcnt(0)
	s_barrier
	buffer_gl0_inv
	ds_load_b128 v[32:35], v28
	ds_load_b128 v[36:39], v27
	ds_load_b128 v[40:43], v27 offset:256
	ds_load_b128 v[44:47], v28 offset:2048
	;; [unrolled: 1-line block ×9, first 2 shown]
	v_add_co_u32 v4, vcc_lo, 0x80, v4
	v_add_co_ci_u32_e32 v5, vcc_lo, 0, v5, vcc_lo
	v_add_co_u32 v6, vcc_lo, 0x80, v6
	v_add_co_ci_u32_e32 v7, vcc_lo, 0, v7, vcc_lo
	s_add_i32 s21, s21, 8
	s_delay_alu instid0(SALU_CYCLE_1)
	s_cmp_ge_i32 s21, s17
	s_waitcnt lgkmcnt(9)
	v_mul_f64 v[1:2], v[34:35], v[38:39]
	v_mul_f64 v[76:77], v[32:33], v[38:39]
	s_waitcnt lgkmcnt(8)
	v_mul_f64 v[78:79], v[34:35], v[42:43]
	v_mul_f64 v[80:81], v[32:33], v[42:43]
	;; [unrolled: 3-line block ×3, first 2 shown]
	v_mul_f64 v[84:85], v[46:47], v[42:43]
	v_mul_f64 v[42:43], v[44:45], v[42:43]
	s_waitcnt lgkmcnt(4)
	v_mul_f64 v[86:87], v[50:51], v[58:59]
	v_mul_f64 v[88:89], v[48:49], v[58:59]
	s_waitcnt lgkmcnt(3)
	v_mul_f64 v[90:91], v[50:51], v[62:63]
	v_mul_f64 v[92:93], v[48:49], v[62:63]
	;; [unrolled: 1-line block ×6, first 2 shown]
	s_waitcnt lgkmcnt(0)
	v_mul_f64 v[114:115], v[74:75], v[66:67]
	v_mul_f64 v[116:117], v[74:75], v[70:71]
	v_fma_f64 v[1:2], v[32:33], v[36:37], -v[1:2]
	v_fma_f64 v[98:99], v[34:35], v[36:37], v[76:77]
	v_fma_f64 v[100:101], v[32:33], v[40:41], -v[78:79]
	v_fma_f64 v[80:81], v[34:35], v[40:41], v[80:81]
	;; [unrolled: 2-line block ×4, first 2 shown]
	ds_load_b128 v[76:79], v28 offset:32
	v_fma_f64 v[86:87], v[48:49], v[56:57], -v[86:87]
	v_fma_f64 v[88:89], v[50:51], v[56:57], v[88:89]
	v_fma_f64 v[48:49], v[48:49], v[60:61], -v[90:91]
	v_fma_f64 v[50:51], v[50:51], v[60:61], v[92:93]
	;; [unrolled: 2-line block ×4, first 2 shown]
	ds_load_b128 v[32:35], v28 offset:48
	ds_load_b128 v[36:39], v28 offset:2096
	;; [unrolled: 1-line block ×4, first 2 shown]
	s_waitcnt lgkmcnt(4)
	v_mul_f64 v[106:107], v[78:79], v[66:67]
	v_mul_f64 v[108:109], v[76:77], v[66:67]
	;; [unrolled: 1-line block ×6, first 2 shown]
	s_waitcnt lgkmcnt(1)
	v_mul_f64 v[92:93], v[32:33], v[42:43]
	s_waitcnt lgkmcnt(0)
	v_mul_f64 v[94:95], v[34:35], v[46:47]
	v_add_f64 v[1:2], v[20:21], v[1:2]
	v_add_f64 v[20:21], v[22:23], v[98:99]
	;; [unrolled: 1-line block ×8, first 2 shown]
	v_mul_f64 v[84:85], v[34:35], v[42:43]
	v_mul_f64 v[96:97], v[32:33], v[46:47]
	;; [unrolled: 1-line block ×6, first 2 shown]
	ds_load_b128 v[8:11], v27 offset:2048
	ds_load_b128 v[12:15], v27 offset:2304
	;; [unrolled: 1-line block ×3, first 2 shown]
	v_fma_f64 v[104:105], v[76:77], v[64:65], -v[106:107]
	v_fma_f64 v[106:107], v[78:79], v[64:65], v[108:109]
	v_fma_f64 v[76:77], v[76:77], v[68:69], -v[110:111]
	v_fma_f64 v[78:79], v[78:79], v[68:69], v[112:113]
	;; [unrolled: 2-line block ×4, first 2 shown]
	s_waitcnt lgkmcnt(0)
	v_mul_f64 v[114:115], v[18:19], v[10:11]
	v_mul_f64 v[116:117], v[18:19], v[14:15]
	v_add_f64 v[1:2], v[1:2], v[86:87]
	v_add_f64 v[70:71], v[20:21], v[88:89]
	;; [unrolled: 1-line block ×8, first 2 shown]
	ds_load_b128 v[20:23], v28 offset:64
	v_fma_f64 v[84:85], v[32:33], v[40:41], -v[84:85]
	v_fma_f64 v[92:93], v[34:35], v[40:41], v[92:93]
	v_fma_f64 v[94:95], v[32:33], v[44:45], -v[94:95]
	v_fma_f64 v[96:97], v[34:35], v[44:45], v[96:97]
	;; [unrolled: 2-line block ×4, first 2 shown]
	ds_load_b128 v[46:49], v28 offset:80
	ds_load_b128 v[50:53], v28 offset:2128
	;; [unrolled: 1-line block ×7, first 2 shown]
	s_waitcnt lgkmcnt(7)
	v_mul_f64 v[88:89], v[22:23], v[10:11]
	v_mul_f64 v[90:91], v[20:21], v[10:11]
	;; [unrolled: 1-line block ×6, first 2 shown]
	s_waitcnt lgkmcnt(3)
	v_mul_f64 v[102:103], v[52:53], v[60:61]
	v_add_f64 v[1:2], v[1:2], v[104:105]
	v_add_f64 v[70:71], v[70:71], v[106:107]
	;; [unrolled: 1-line block ×8, first 2 shown]
	v_mul_f64 v[68:69], v[48:49], v[56:57]
	v_mul_f64 v[78:79], v[46:47], v[56:57]
	;; [unrolled: 1-line block ×7, first 2 shown]
	v_fma_f64 v[88:89], v[20:21], v[8:9], -v[88:89]
	v_fma_f64 v[90:91], v[22:23], v[8:9], v[90:91]
	v_fma_f64 v[106:107], v[20:21], v[12:13], -v[110:111]
	v_fma_f64 v[108:109], v[22:23], v[12:13], v[112:113]
	;; [unrolled: 2-line block ×4, first 2 shown]
	ds_load_b128 v[8:11], v28 offset:96
	v_add_f64 v[1:2], v[1:2], v[84:85]
	v_add_f64 v[70:71], v[70:71], v[92:93]
	;; [unrolled: 1-line block ×8, first 2 shown]
	s_waitcnt lgkmcnt(1)
	v_mul_f64 v[98:99], v[42:43], v[34:35]
	v_mul_f64 v[100:101], v[42:43], v[38:39]
	v_fma_f64 v[68:69], v[46:47], v[54:55], -v[68:69]
	v_fma_f64 v[78:79], v[48:49], v[54:55], v[78:79]
	v_fma_f64 v[46:47], v[46:47], v[58:59], -v[80:81]
	v_fma_f64 v[48:49], v[48:49], v[58:59], v[82:83]
	;; [unrolled: 2-line block ×4, first 2 shown]
	s_waitcnt lgkmcnt(0)
	v_mul_f64 v[66:67], v[10:11], v[34:35]
	v_mul_f64 v[92:93], v[8:9], v[34:35]
	;; [unrolled: 1-line block ×6, first 2 shown]
	ds_load_b128 v[12:15], v28 offset:112
	ds_load_b128 v[16:19], v28 offset:2160
	;; [unrolled: 1-line block ×4, first 2 shown]
	s_waitcnt lgkmcnt(0)
	s_barrier
	buffer_gl0_inv
	v_add_f64 v[1:2], v[1:2], v[88:89]
	v_add_f64 v[56:57], v[70:71], v[90:91]
	;; [unrolled: 1-line block ×8, first 2 shown]
	v_mul_f64 v[76:77], v[14:15], v[22:23]
	v_mul_f64 v[82:83], v[12:13], v[22:23]
	;; [unrolled: 1-line block ×8, first 2 shown]
	v_fma_f64 v[66:67], v[8:9], v[32:33], -v[66:67]
	v_fma_f64 v[92:93], v[10:11], v[32:33], v[92:93]
	v_fma_f64 v[8:9], v[8:9], v[36:37], -v[94:95]
	v_fma_f64 v[10:11], v[10:11], v[36:37], v[96:97]
	;; [unrolled: 2-line block ×4, first 2 shown]
	v_add_f64 v[1:2], v[1:2], v[68:69]
	v_add_f64 v[38:39], v[56:57], v[78:79]
	;; [unrolled: 1-line block ×8, first 2 shown]
	v_fma_f64 v[52:53], v[12:13], v[20:21], -v[76:77]
	v_fma_f64 v[54:55], v[14:15], v[20:21], v[82:83]
	v_fma_f64 v[12:13], v[12:13], v[60:61], -v[84:85]
	v_fma_f64 v[14:15], v[14:15], v[60:61], v[86:87]
	;; [unrolled: 2-line block ×4, first 2 shown]
	v_add_f64 v[1:2], v[1:2], v[66:67]
	v_add_f64 v[16:17], v[38:39], v[92:93]
	;; [unrolled: 1-line block ×16, first 2 shown]
	s_cbranch_scc1 .LBB764_11
.LBB764_3:                              ; =>This Inner Loop Header: Depth=1
	v_add_nc_u32_e32 v1, s21, v29
	s_delay_alu instid0(VALU_DEP_1) | instskip(SKIP_1) | instid1(SALU_CYCLE_1)
	v_cmp_le_i32_e32 vcc_lo, s17, v1
	s_or_b32 s14, s3, vcc_lo
	s_and_saveexec_b32 s15, s14
	s_delay_alu instid0(SALU_CYCLE_1)
	s_xor_b32 s14, exec_lo, s15
	s_cbranch_execz .LBB764_5
; %bb.4:                                ;   in Loop: Header=BB764_3 Depth=1
	v_mov_b32_e32 v1, v0
	v_mov_b32_e32 v2, v0
	v_mov_b32_e32 v3, v0
	ds_store_b128 v30, v[0:3]
.LBB764_5:                              ;   in Loop: Header=BB764_3 Depth=1
	s_and_not1_saveexec_b32 s14, s14
	s_cbranch_execz .LBB764_7
; %bb.6:                                ;   in Loop: Header=BB764_3 Depth=1
	global_load_b128 v[32:35], v[4:5], off
	s_waitcnt vmcnt(0)
	ds_store_2addr_b64 v30, v[32:33], v[34:35] offset1:1
.LBB764_7:                              ;   in Loop: Header=BB764_3 Depth=1
	s_or_b32 exec_lo, exec_lo, s14
	v_add_nc_u32_e32 v1, s21, v26
	s_delay_alu instid0(VALU_DEP_1) | instskip(SKIP_1) | instid1(SALU_CYCLE_1)
	v_cmp_le_i32_e32 vcc_lo, s17, v1
	s_or_b32 s14, vcc_lo, s2
	s_and_saveexec_b32 s15, s14
	s_delay_alu instid0(SALU_CYCLE_1)
	s_xor_b32 s14, exec_lo, s15
	s_cbranch_execz .LBB764_9
; %bb.8:                                ;   in Loop: Header=BB764_3 Depth=1
	v_mov_b32_e32 v1, v0
	v_mov_b32_e32 v2, v0
	;; [unrolled: 1-line block ×3, first 2 shown]
	ds_store_b128 v31, v[0:3]
.LBB764_9:                              ;   in Loop: Header=BB764_3 Depth=1
	s_and_not1_saveexec_b32 s14, s14
	s_cbranch_execz .LBB764_2
; %bb.10:                               ;   in Loop: Header=BB764_3 Depth=1
	global_load_b128 v[32:35], v[6:7], off
	s_waitcnt vmcnt(0)
	ds_store_2addr_b64 v31, v[32:33], v[34:35] offset1:1
	s_branch .LBB764_2
.LBB764_11:
	s_load_b32 s2, s[0:1], 0x60
	v_add_nc_u32_e32 v4, s13, v25
	v_add_nc_u32_e32 v0, s12, v24
	s_delay_alu instid0(VALU_DEP_2) | instskip(NEXT) | instid1(VALU_DEP_2)
	v_cmp_gt_i32_e32 vcc_lo, s16, v4
	v_cmp_le_i32_e64 s0, v0, v4
	s_delay_alu instid0(VALU_DEP_1) | instskip(SKIP_2) | instid1(VALU_DEP_1)
	s_and_b32 s0, vcc_lo, s0
	s_waitcnt lgkmcnt(0)
	v_mad_i64_i32 v[1:2], null, v4, s2, 0
	v_lshlrev_b64 v[1:2], 4, v[1:2]
	s_delay_alu instid0(VALU_DEP_1) | instskip(NEXT) | instid1(VALU_DEP_1)
	v_add_co_u32 v5, s1, s18, v1
	v_add_co_ci_u32_e64 v6, s1, s19, v2, s1
	s_and_saveexec_b32 s1, s0
	s_cbranch_execz .LBB764_13
; %bb.12:
	v_ashrrev_i32_e32 v1, 31, v0
	v_mul_f64 v[28:29], s[6:7], v[22:23]
	v_mul_f64 v[22:23], s[4:5], v[22:23]
	s_delay_alu instid0(VALU_DEP_3) | instskip(NEXT) | instid1(VALU_DEP_1)
	v_lshlrev_b64 v[1:2], 4, v[0:1]
	v_add_co_u32 v1, s0, v5, v1
	s_delay_alu instid0(VALU_DEP_1)
	v_add_co_ci_u32_e64 v2, s0, v6, v2, s0
	global_load_b128 v[24:27], v[1:2], off
	v_fma_f64 v[28:29], s[4:5], v[20:21], -v[28:29]
	v_fma_f64 v[22:23], s[6:7], v[20:21], v[22:23]
	s_waitcnt vmcnt(0)
	v_mul_f64 v[30:31], s[10:11], v[26:27]
	v_mul_f64 v[26:27], s[8:9], v[26:27]
	s_delay_alu instid0(VALU_DEP_2) | instskip(NEXT) | instid1(VALU_DEP_2)
	v_fma_f64 v[20:21], s[8:9], v[24:25], -v[30:31]
	v_fma_f64 v[24:25], s[10:11], v[24:25], v[26:27]
	s_delay_alu instid0(VALU_DEP_2) | instskip(NEXT) | instid1(VALU_DEP_2)
	v_add_f64 v[20:21], v[28:29], v[20:21]
	v_add_f64 v[22:23], v[22:23], v[24:25]
	global_store_b128 v[1:2], v[20:23], off
.LBB764_13:
	s_or_b32 exec_lo, exec_lo, s1
	v_add_nc_u32_e32 v2, 16, v0
	s_delay_alu instid0(VALU_DEP_1) | instskip(NEXT) | instid1(VALU_DEP_1)
	v_cmp_le_i32_e64 s0, v2, v4
	s_and_b32 s1, vcc_lo, s0
	s_delay_alu instid0(SALU_CYCLE_1)
	s_and_saveexec_b32 s0, s1
	s_cbranch_execz .LBB764_15
; %bb.14:
	v_ashrrev_i32_e32 v3, 31, v2
	v_mul_f64 v[24:25], s[6:7], v[18:19]
	v_mul_f64 v[18:19], s[4:5], v[18:19]
	s_delay_alu instid0(VALU_DEP_3) | instskip(NEXT) | instid1(VALU_DEP_1)
	v_lshlrev_b64 v[20:21], 4, v[2:3]
	v_add_co_u32 v5, vcc_lo, v5, v20
	s_delay_alu instid0(VALU_DEP_2)
	v_add_co_ci_u32_e32 v6, vcc_lo, v6, v21, vcc_lo
	global_load_b128 v[20:23], v[5:6], off
	v_fma_f64 v[24:25], s[4:5], v[16:17], -v[24:25]
	v_fma_f64 v[18:19], s[6:7], v[16:17], v[18:19]
	s_waitcnt vmcnt(0)
	v_mul_f64 v[26:27], s[10:11], v[22:23]
	v_mul_f64 v[22:23], s[8:9], v[22:23]
	s_delay_alu instid0(VALU_DEP_2) | instskip(NEXT) | instid1(VALU_DEP_2)
	v_fma_f64 v[16:17], s[8:9], v[20:21], -v[26:27]
	v_fma_f64 v[20:21], s[10:11], v[20:21], v[22:23]
	s_delay_alu instid0(VALU_DEP_2) | instskip(NEXT) | instid1(VALU_DEP_2)
	v_add_f64 v[16:17], v[24:25], v[16:17]
	v_add_f64 v[18:19], v[18:19], v[20:21]
	global_store_b128 v[5:6], v[16:19], off
.LBB764_15:
	s_or_b32 exec_lo, exec_lo, s0
	v_add_nc_u32_e32 v3, 16, v4
	s_delay_alu instid0(VALU_DEP_1) | instskip(SKIP_2) | instid1(VALU_DEP_1)
	v_mad_i64_i32 v[4:5], null, v3, s2, 0
	v_cmp_gt_i32_e32 vcc_lo, s16, v3
	v_cmp_le_i32_e64 s0, v0, v3
	s_and_b32 s0, vcc_lo, s0
	s_delay_alu instid0(VALU_DEP_3) | instskip(NEXT) | instid1(VALU_DEP_1)
	v_lshlrev_b64 v[4:5], 4, v[4:5]
	v_add_co_u32 v4, s1, s18, v4
	s_delay_alu instid0(VALU_DEP_1)
	v_add_co_ci_u32_e64 v5, s1, s19, v5, s1
	s_and_saveexec_b32 s1, s0
	s_cbranch_execz .LBB764_17
; %bb.16:
	v_ashrrev_i32_e32 v1, 31, v0
	v_mul_f64 v[6:7], s[6:7], v[14:15]
	v_mul_f64 v[14:15], s[4:5], v[14:15]
	s_delay_alu instid0(VALU_DEP_3) | instskip(NEXT) | instid1(VALU_DEP_1)
	v_lshlrev_b64 v[0:1], 4, v[0:1]
	v_add_co_u32 v0, s0, v4, v0
	s_delay_alu instid0(VALU_DEP_1)
	v_add_co_ci_u32_e64 v1, s0, v5, v1, s0
	global_load_b128 v[16:19], v[0:1], off
	v_fma_f64 v[6:7], s[4:5], v[12:13], -v[6:7]
	v_fma_f64 v[14:15], s[6:7], v[12:13], v[14:15]
	s_waitcnt vmcnt(0)
	v_mul_f64 v[20:21], s[10:11], v[18:19]
	v_mul_f64 v[18:19], s[8:9], v[18:19]
	s_delay_alu instid0(VALU_DEP_2) | instskip(NEXT) | instid1(VALU_DEP_2)
	v_fma_f64 v[12:13], s[8:9], v[16:17], -v[20:21]
	v_fma_f64 v[16:17], s[10:11], v[16:17], v[18:19]
	s_delay_alu instid0(VALU_DEP_2) | instskip(NEXT) | instid1(VALU_DEP_2)
	v_add_f64 v[12:13], v[6:7], v[12:13]
	v_add_f64 v[14:15], v[14:15], v[16:17]
	global_store_b128 v[0:1], v[12:15], off
.LBB764_17:
	s_or_b32 exec_lo, exec_lo, s1
	v_cmp_le_i32_e64 s0, v2, v3
	s_delay_alu instid0(VALU_DEP_1) | instskip(NEXT) | instid1(SALU_CYCLE_1)
	s_and_b32 s0, vcc_lo, s0
	s_and_saveexec_b32 s1, s0
	s_cbranch_execz .LBB764_19
; %bb.18:
	v_ashrrev_i32_e32 v3, 31, v2
	v_mul_f64 v[6:7], s[6:7], v[8:9]
	v_mul_f64 v[8:9], s[4:5], v[8:9]
	s_delay_alu instid0(VALU_DEP_3) | instskip(NEXT) | instid1(VALU_DEP_1)
	v_lshlrev_b64 v[0:1], 4, v[2:3]
	v_add_co_u32 v4, vcc_lo, v4, v0
	s_delay_alu instid0(VALU_DEP_2)
	v_add_co_ci_u32_e32 v5, vcc_lo, v5, v1, vcc_lo
	global_load_b128 v[0:3], v[4:5], off
	v_fma_f64 v[6:7], s[4:5], v[10:11], -v[6:7]
	v_fma_f64 v[8:9], s[6:7], v[10:11], v[8:9]
	s_waitcnt vmcnt(0)
	v_mul_f64 v[12:13], s[10:11], v[2:3]
	v_mul_f64 v[2:3], s[8:9], v[2:3]
	s_delay_alu instid0(VALU_DEP_2) | instskip(NEXT) | instid1(VALU_DEP_2)
	v_fma_f64 v[10:11], s[8:9], v[0:1], -v[12:13]
	v_fma_f64 v[2:3], s[10:11], v[0:1], v[2:3]
	s_delay_alu instid0(VALU_DEP_2) | instskip(NEXT) | instid1(VALU_DEP_2)
	v_add_f64 v[0:1], v[6:7], v[10:11]
	v_add_f64 v[2:3], v[8:9], v[2:3]
	global_store_b128 v[4:5], v[0:3], off
.LBB764_19:
	s_nop 0
	s_sendmsg sendmsg(MSG_DEALLOC_VGPRS)
	s_endpgm
	.section	.rodata,"a",@progbits
	.p2align	6, 0x0
	.amdhsa_kernel _ZL34rocblas_syrkx_herkx_general_kernelIi19rocblas_complex_numIdELi16ELi32ELi8ELb0ELb0ELc84ELc85EKPKS1_KPS1_EviT_T0_PT8_S7_lSA_S7_lS8_PT9_S7_li
		.amdhsa_group_segment_fixed_size 8192
		.amdhsa_private_segment_fixed_size 0
		.amdhsa_kernarg_size 116
		.amdhsa_user_sgpr_count 13
		.amdhsa_user_sgpr_dispatch_ptr 0
		.amdhsa_user_sgpr_queue_ptr 0
		.amdhsa_user_sgpr_kernarg_segment_ptr 1
		.amdhsa_user_sgpr_dispatch_id 0
		.amdhsa_user_sgpr_private_segment_size 0
		.amdhsa_wavefront_size32 1
		.amdhsa_uses_dynamic_stack 0
		.amdhsa_enable_private_segment 0
		.amdhsa_system_sgpr_workgroup_id_x 1
		.amdhsa_system_sgpr_workgroup_id_y 1
		.amdhsa_system_sgpr_workgroup_id_z 1
		.amdhsa_system_sgpr_workgroup_info 0
		.amdhsa_system_vgpr_workitem_id 1
		.amdhsa_next_free_vgpr 120
		.amdhsa_next_free_sgpr 25
		.amdhsa_reserve_vcc 1
		.amdhsa_float_round_mode_32 0
		.amdhsa_float_round_mode_16_64 0
		.amdhsa_float_denorm_mode_32 3
		.amdhsa_float_denorm_mode_16_64 3
		.amdhsa_dx10_clamp 1
		.amdhsa_ieee_mode 1
		.amdhsa_fp16_overflow 0
		.amdhsa_workgroup_processor_mode 1
		.amdhsa_memory_ordered 1
		.amdhsa_forward_progress 0
		.amdhsa_shared_vgpr_count 0
		.amdhsa_exception_fp_ieee_invalid_op 0
		.amdhsa_exception_fp_denorm_src 0
		.amdhsa_exception_fp_ieee_div_zero 0
		.amdhsa_exception_fp_ieee_overflow 0
		.amdhsa_exception_fp_ieee_underflow 0
		.amdhsa_exception_fp_ieee_inexact 0
		.amdhsa_exception_int_div_zero 0
	.end_amdhsa_kernel
	.section	.text._ZL34rocblas_syrkx_herkx_general_kernelIi19rocblas_complex_numIdELi16ELi32ELi8ELb0ELb0ELc84ELc85EKPKS1_KPS1_EviT_T0_PT8_S7_lSA_S7_lS8_PT9_S7_li,"axG",@progbits,_ZL34rocblas_syrkx_herkx_general_kernelIi19rocblas_complex_numIdELi16ELi32ELi8ELb0ELb0ELc84ELc85EKPKS1_KPS1_EviT_T0_PT8_S7_lSA_S7_lS8_PT9_S7_li,comdat
.Lfunc_end764:
	.size	_ZL34rocblas_syrkx_herkx_general_kernelIi19rocblas_complex_numIdELi16ELi32ELi8ELb0ELb0ELc84ELc85EKPKS1_KPS1_EviT_T0_PT8_S7_lSA_S7_lS8_PT9_S7_li, .Lfunc_end764-_ZL34rocblas_syrkx_herkx_general_kernelIi19rocblas_complex_numIdELi16ELi32ELi8ELb0ELb0ELc84ELc85EKPKS1_KPS1_EviT_T0_PT8_S7_lSA_S7_lS8_PT9_S7_li
                                        ; -- End function
	.section	.AMDGPU.csdata,"",@progbits
; Kernel info:
; codeLenInByte = 3448
; NumSgprs: 27
; NumVgprs: 120
; ScratchSize: 0
; MemoryBound: 0
; FloatMode: 240
; IeeeMode: 1
; LDSByteSize: 8192 bytes/workgroup (compile time only)
; SGPRBlocks: 3
; VGPRBlocks: 14
; NumSGPRsForWavesPerEU: 27
; NumVGPRsForWavesPerEU: 120
; Occupancy: 12
; WaveLimiterHint : 1
; COMPUTE_PGM_RSRC2:SCRATCH_EN: 0
; COMPUTE_PGM_RSRC2:USER_SGPR: 13
; COMPUTE_PGM_RSRC2:TRAP_HANDLER: 0
; COMPUTE_PGM_RSRC2:TGID_X_EN: 1
; COMPUTE_PGM_RSRC2:TGID_Y_EN: 1
; COMPUTE_PGM_RSRC2:TGID_Z_EN: 1
; COMPUTE_PGM_RSRC2:TIDIG_COMP_CNT: 1
	.section	.text._ZL34rocblas_syrkx_herkx_general_kernelIi19rocblas_complex_numIdELi16ELi32ELi8ELb0ELb0ELc67ELc85EKPKS1_KPS1_EviT_T0_PT8_S7_lSA_S7_lS8_PT9_S7_li,"axG",@progbits,_ZL34rocblas_syrkx_herkx_general_kernelIi19rocblas_complex_numIdELi16ELi32ELi8ELb0ELb0ELc67ELc85EKPKS1_KPS1_EviT_T0_PT8_S7_lSA_S7_lS8_PT9_S7_li,comdat
	.globl	_ZL34rocblas_syrkx_herkx_general_kernelIi19rocblas_complex_numIdELi16ELi32ELi8ELb0ELb0ELc67ELc85EKPKS1_KPS1_EviT_T0_PT8_S7_lSA_S7_lS8_PT9_S7_li ; -- Begin function _ZL34rocblas_syrkx_herkx_general_kernelIi19rocblas_complex_numIdELi16ELi32ELi8ELb0ELb0ELc67ELc85EKPKS1_KPS1_EviT_T0_PT8_S7_lSA_S7_lS8_PT9_S7_li
	.p2align	8
	.type	_ZL34rocblas_syrkx_herkx_general_kernelIi19rocblas_complex_numIdELi16ELi32ELi8ELb0ELb0ELc67ELc85EKPKS1_KPS1_EviT_T0_PT8_S7_lSA_S7_lS8_PT9_S7_li,@function
_ZL34rocblas_syrkx_herkx_general_kernelIi19rocblas_complex_numIdELi16ELi32ELi8ELb0ELb0ELc67ELc85EKPKS1_KPS1_EviT_T0_PT8_S7_lSA_S7_lS8_PT9_S7_li: ; @_ZL34rocblas_syrkx_herkx_general_kernelIi19rocblas_complex_numIdELi16ELi32ELi8ELb0ELb0ELc67ELc85EKPKS1_KPS1_EviT_T0_PT8_S7_lSA_S7_lS8_PT9_S7_li
; %bb.0:
	s_load_b64 s[8:9], s[0:1], 0x58
	s_mov_b32 s20, s15
	s_mov_b32 s21, 0
	s_clause 0x1
	s_load_b64 s[16:17], s[0:1], 0x0
	s_load_b128 s[4:7], s[0:1], 0x8
	s_lshl_b64 s[2:3], s[20:21], 3
	v_mov_b32_e32 v23, 0
	v_dual_mov_b32 v24, 0 :: v_dual_and_b32 v27, 0x3ff, v0
	v_bfe_u32 v28, v0, 10, 10
	s_delay_alu instid0(VALU_DEP_3) | instskip(NEXT) | instid1(VALU_DEP_3)
	v_mov_b32_e32 v19, v23
	v_dual_mov_b32 v21, v23 :: v_dual_mov_b32 v22, v24
	v_dual_mov_b32 v26, v24 :: v_dual_mov_b32 v25, v23
	;; [unrolled: 1-line block ×5, first 2 shown]
	v_mov_b32_e32 v12, v24
	s_waitcnt lgkmcnt(0)
	s_add_u32 s18, s8, s2
	s_addc_u32 s19, s9, s3
	s_clause 0x1
	s_load_b64 s[22:23], s[0:1], 0x18
	s_load_b128 s[8:11], s[0:1], 0x48
	s_load_b64 s[18:19], s[18:19], 0x0
	v_dual_mov_b32 v13, v23 :: v_dual_mov_b32 v14, v24
	s_lshl_b32 s12, s13, 5
	s_lshl_b32 s13, s14, 5
	s_cmp_lt_i32 s17, 1
	s_cbranch_scc1 .LBB765_9
; %bb.1:
	s_clause 0x1
	s_load_b64 s[14:15], s[0:1], 0x30
	s_load_b32 s20, s[0:1], 0x20
	v_lshl_add_u32 v0, v28, 4, v27
	s_load_b32 s24, s[0:1], 0x38
	v_dual_mov_b32 v5, 0 :: v_dual_lshlrev_b32 v30, 4, v27
	v_dual_mov_b32 v6, 0 :: v_dual_and_b32 v29, 7, v27
	s_delay_alu instid0(VALU_DEP_3) | instskip(SKIP_2) | instid1(VALU_DEP_4)
	v_and_b32_e32 v2, 31, v0
	v_lshrrev_b32_e32 v3, 3, v0
	v_lshrrev_b32_e32 v32, 5, v0
	v_lshlrev_b32_e32 v4, 4, v29
	v_dual_mov_b32 v14, v6 :: v_dual_mov_b32 v13, v5
	v_add_nc_u32_e32 v7, s12, v2
	v_add_nc_u32_e32 v8, s13, v3
	v_mov_b32_e32 v12, v6
	v_mov_b32_e32 v18, v6
	v_dual_mov_b32 v16, v6 :: v_dual_mov_b32 v11, v5
	s_waitcnt lgkmcnt(0)
	s_add_u32 s14, s14, s2
	s_addc_u32 s15, s15, s3
	s_add_u32 s2, s22, s2
	s_addc_u32 s3, s23, s3
	v_mad_i64_i32 v[0:1], null, s20, v7, 0
	s_load_b64 s[22:23], s[2:3], 0x0
	v_or_b32_e32 v7, s12, v2
	v_dual_mov_b32 v17, v5 :: v_dual_lshlrev_b32 v2, 4, v2
	v_lshl_or_b32 v9, v3, 7, v4
	s_load_b64 s[14:15], s[14:15], 0x0
	s_delay_alu instid0(VALU_DEP_4) | instskip(NEXT) | instid1(VALU_DEP_3)
	v_lshlrev_b64 v[0:1], 4, v[0:1]
	v_lshl_or_b32 v33, v32, 9, v2
	v_mov_b32_e32 v15, v5
	v_mad_i64_i32 v[2:3], null, s24, v8, 0
	v_lshlrev_b32_e32 v10, 4, v32
	v_dual_mov_b32 v22, v6 :: v_dual_mov_b32 v21, v5
	v_cmp_gt_i32_e32 vcc_lo, s16, v7
	v_cmp_gt_i32_e64 s2, s16, v8
	s_delay_alu instid0(VALU_DEP_4) | instskip(NEXT) | instid1(VALU_DEP_1)
	v_add_co_u32 v7, s3, v0, v10
	v_add_co_ci_u32_e64 v8, s3, 0, v1, s3
	v_lshlrev_b64 v[0:1], 4, v[2:3]
	s_waitcnt lgkmcnt(0)
	s_delay_alu instid0(VALU_DEP_3) | instskip(NEXT) | instid1(VALU_DEP_1)
	v_add_co_u32 v2, s3, v7, s22
	v_add_co_ci_u32_e64 v3, s3, s23, v8, s3
	v_add_nc_u32_e32 v34, 0x1000, v9
	s_delay_alu instid0(VALU_DEP_4) | instskip(NEXT) | instid1(VALU_DEP_1)
	v_add_co_u32 v0, s3, v0, v4
	v_add_co_ci_u32_e64 v1, s3, 0, v1, s3
	v_add_co_u32 v7, s3, v2, 8
	s_delay_alu instid0(VALU_DEP_1) | instskip(NEXT) | instid1(VALU_DEP_4)
	v_add_co_ci_u32_e64 v8, s3, 0, v3, s3
	v_add_co_u32 v9, s3, s14, v0
	v_dual_mov_b32 v20, v6 :: v_dual_mov_b32 v19, v5
	v_mov_b32_e32 v26, v6
	v_mov_b32_e32 v24, v6
	v_lshl_add_u32 v31, v28, 7, 0x1000
	v_add_co_ci_u32_e64 v10, s3, s15, v1, s3
	v_dual_mov_b32 v0, 0 :: v_dual_mov_b32 v25, v5
	v_mov_b32_e32 v23, v5
	s_xor_b32 s3, s2, -1
	s_branch .LBB765_3
.LBB765_2:                              ;   in Loop: Header=BB765_3 Depth=1
	s_or_b32 exec_lo, exec_lo, s2
	s_waitcnt lgkmcnt(0)
	s_barrier
	buffer_gl0_inv
	ds_load_b128 v[1:4], v31
	ds_load_b128 v[35:38], v30
	ds_load_b128 v[39:42], v30 offset:256
	ds_load_b128 v[43:46], v31 offset:2048
	;; [unrolled: 1-line block ×9, first 2 shown]
	v_add_co_u32 v7, s2, 0x80, v7
	s_delay_alu instid0(VALU_DEP_1) | instskip(SKIP_1) | instid1(VALU_DEP_1)
	v_add_co_ci_u32_e64 v8, s2, 0, v8, s2
	v_add_co_u32 v9, s2, 0x80, v9
	v_add_co_ci_u32_e64 v10, s2, 0, v10, s2
	s_add_i32 s21, s21, 8
	s_delay_alu instid0(SALU_CYCLE_1)
	s_cmp_ge_i32 s21, s17
	s_waitcnt lgkmcnt(9)
	v_mul_f64 v[75:76], v[3:4], v[37:38]
	v_mul_f64 v[77:78], v[1:2], v[37:38]
	s_waitcnt lgkmcnt(8)
	v_mul_f64 v[79:80], v[3:4], v[41:42]
	v_mul_f64 v[81:82], v[1:2], v[41:42]
	;; [unrolled: 3-line block ×3, first 2 shown]
	v_mul_f64 v[85:86], v[45:46], v[41:42]
	v_mul_f64 v[41:42], v[43:44], v[41:42]
	s_waitcnt lgkmcnt(4)
	v_mul_f64 v[87:88], v[49:50], v[57:58]
	v_mul_f64 v[89:90], v[47:48], v[57:58]
	s_waitcnt lgkmcnt(3)
	v_mul_f64 v[91:92], v[49:50], v[61:62]
	v_mul_f64 v[93:94], v[47:48], v[61:62]
	v_mul_f64 v[95:96], v[53:54], v[57:58]
	v_mul_f64 v[57:58], v[51:52], v[57:58]
	v_mul_f64 v[97:98], v[53:54], v[61:62]
	v_mul_f64 v[61:62], v[51:52], v[61:62]
	s_waitcnt lgkmcnt(0)
	v_mul_f64 v[115:116], v[73:74], v[65:66]
	v_mul_f64 v[117:118], v[73:74], v[69:70]
	v_fma_f64 v[99:100], v[1:2], v[35:36], -v[75:76]
	v_fma_f64 v[101:102], v[3:4], v[35:36], v[77:78]
	v_fma_f64 v[79:80], v[1:2], v[39:40], -v[79:80]
	v_fma_f64 v[81:82], v[3:4], v[39:40], v[81:82]
	v_fma_f64 v[83:84], v[43:44], v[35:36], -v[83:84]
	v_fma_f64 v[103:104], v[45:46], v[35:36], v[37:38]
	v_fma_f64 v[85:86], v[43:44], v[39:40], -v[85:86]
	v_fma_f64 v[105:106], v[45:46], v[39:40], v[41:42]
	ds_load_b128 v[75:78], v31 offset:32
	v_fma_f64 v[87:88], v[47:48], v[55:56], -v[87:88]
	v_fma_f64 v[89:90], v[49:50], v[55:56], v[89:90]
	v_fma_f64 v[47:48], v[47:48], v[59:60], -v[91:92]
	v_fma_f64 v[49:50], v[49:50], v[59:60], v[93:94]
	;; [unrolled: 2-line block ×4, first 2 shown]
	ds_load_b128 v[1:4], v31 offset:48
	ds_load_b128 v[35:38], v31 offset:2096
	;; [unrolled: 1-line block ×4, first 2 shown]
	s_waitcnt lgkmcnt(4)
	v_mul_f64 v[107:108], v[77:78], v[65:66]
	v_mul_f64 v[109:110], v[75:76], v[65:66]
	;; [unrolled: 1-line block ×6, first 2 shown]
	s_waitcnt lgkmcnt(1)
	v_mul_f64 v[93:94], v[1:2], v[41:42]
	s_waitcnt lgkmcnt(0)
	v_mul_f64 v[95:96], v[3:4], v[45:46]
	v_add_f64 v[23:24], v[23:24], v[99:100]
	v_add_f64 v[25:26], v[25:26], v[101:102]
	;; [unrolled: 1-line block ×8, first 2 shown]
	v_mul_f64 v[85:86], v[3:4], v[41:42]
	v_mul_f64 v[97:98], v[1:2], v[45:46]
	;; [unrolled: 1-line block ×6, first 2 shown]
	ds_load_b128 v[11:14], v30 offset:2048
	ds_load_b128 v[15:18], v30 offset:2304
	ds_load_b128 v[19:22], v31 offset:2112
	v_fma_f64 v[105:106], v[75:76], v[63:64], -v[107:108]
	v_fma_f64 v[107:108], v[77:78], v[63:64], v[109:110]
	v_fma_f64 v[75:76], v[75:76], v[67:68], -v[111:112]
	v_fma_f64 v[77:78], v[77:78], v[67:68], v[113:114]
	;; [unrolled: 2-line block ×4, first 2 shown]
	s_waitcnt lgkmcnt(0)
	v_mul_f64 v[115:116], v[21:22], v[13:14]
	v_mul_f64 v[117:118], v[21:22], v[17:18]
	v_add_f64 v[69:70], v[23:24], v[87:88]
	v_add_f64 v[71:72], v[25:26], v[89:90]
	;; [unrolled: 1-line block ×8, first 2 shown]
	ds_load_b128 v[23:26], v31 offset:64
	v_fma_f64 v[85:86], v[1:2], v[39:40], -v[85:86]
	v_fma_f64 v[93:94], v[3:4], v[39:40], v[93:94]
	v_fma_f64 v[95:96], v[1:2], v[43:44], -v[95:96]
	v_fma_f64 v[97:98], v[3:4], v[43:44], v[97:98]
	;; [unrolled: 2-line block ×4, first 2 shown]
	ds_load_b128 v[45:48], v31 offset:80
	ds_load_b128 v[49:52], v31 offset:2128
	ds_load_b128 v[53:56], v30 offset:2560
	ds_load_b128 v[57:60], v30 offset:2816
	ds_load_b128 v[1:4], v30 offset:3072
	ds_load_b128 v[35:38], v30 offset:3328
	ds_load_b128 v[39:42], v31 offset:2144
	s_waitcnt lgkmcnt(7)
	v_mul_f64 v[89:90], v[25:26], v[13:14]
	v_mul_f64 v[91:92], v[23:24], v[13:14]
	;; [unrolled: 1-line block ×6, first 2 shown]
	s_waitcnt lgkmcnt(3)
	v_mul_f64 v[103:104], v[51:52], v[59:60]
	v_add_f64 v[69:70], v[69:70], v[105:106]
	v_add_f64 v[71:72], v[71:72], v[107:108]
	;; [unrolled: 1-line block ×8, first 2 shown]
	v_mul_f64 v[77:78], v[47:48], v[55:56]
	v_mul_f64 v[79:80], v[45:46], v[55:56]
	;; [unrolled: 1-line block ×7, first 2 shown]
	v_fma_f64 v[89:90], v[23:24], v[11:12], -v[89:90]
	v_fma_f64 v[91:92], v[25:26], v[11:12], v[91:92]
	v_fma_f64 v[107:108], v[23:24], v[15:16], -v[111:112]
	v_fma_f64 v[109:110], v[25:26], v[15:16], v[113:114]
	;; [unrolled: 2-line block ×4, first 2 shown]
	ds_load_b128 v[11:14], v31 offset:96
	v_add_f64 v[69:70], v[69:70], v[85:86]
	v_add_f64 v[71:72], v[71:72], v[93:94]
	;; [unrolled: 1-line block ×8, first 2 shown]
	s_waitcnt lgkmcnt(1)
	v_mul_f64 v[99:100], v[41:42], v[3:4]
	v_mul_f64 v[101:102], v[41:42], v[37:38]
	v_fma_f64 v[77:78], v[45:46], v[53:54], -v[77:78]
	v_fma_f64 v[79:80], v[47:48], v[53:54], v[79:80]
	v_fma_f64 v[45:46], v[45:46], v[57:58], -v[81:82]
	v_fma_f64 v[47:48], v[47:48], v[57:58], v[83:84]
	;; [unrolled: 2-line block ×4, first 2 shown]
	s_waitcnt lgkmcnt(0)
	v_mul_f64 v[67:68], v[13:14], v[3:4]
	v_mul_f64 v[93:94], v[11:12], v[3:4]
	;; [unrolled: 1-line block ×6, first 2 shown]
	ds_load_b128 v[15:18], v31 offset:112
	ds_load_b128 v[19:22], v31 offset:2160
	;; [unrolled: 1-line block ×4, first 2 shown]
	s_waitcnt lgkmcnt(0)
	s_barrier
	buffer_gl0_inv
	v_add_f64 v[55:56], v[69:70], v[89:90]
	v_add_f64 v[57:58], v[71:72], v[91:92]
	;; [unrolled: 1-line block ×8, first 2 shown]
	v_mul_f64 v[75:76], v[17:18], v[25:26]
	v_mul_f64 v[83:84], v[15:16], v[25:26]
	;; [unrolled: 1-line block ×8, first 2 shown]
	v_fma_f64 v[67:68], v[11:12], v[1:2], -v[67:68]
	v_fma_f64 v[93:94], v[13:14], v[1:2], v[93:94]
	v_fma_f64 v[11:12], v[11:12], v[35:36], -v[95:96]
	v_fma_f64 v[13:14], v[13:14], v[35:36], v[97:98]
	;; [unrolled: 2-line block ×4, first 2 shown]
	v_add_f64 v[37:38], v[55:56], v[77:78]
	v_add_f64 v[39:40], v[57:58], v[79:80]
	;; [unrolled: 1-line block ×8, first 2 shown]
	v_fma_f64 v[51:52], v[15:16], v[23:24], -v[75:76]
	v_fma_f64 v[55:56], v[17:18], v[23:24], v[83:84]
	v_fma_f64 v[15:16], v[15:16], v[59:60], -v[85:86]
	v_fma_f64 v[17:18], v[17:18], v[59:60], v[87:88]
	;; [unrolled: 2-line block ×4, first 2 shown]
	v_add_f64 v[19:20], v[37:38], v[67:68]
	v_add_f64 v[21:22], v[39:40], v[93:94]
	;; [unrolled: 1-line block ×16, first 2 shown]
	s_cbranch_scc1 .LBB765_9
.LBB765_3:                              ; =>This Inner Loop Header: Depth=1
	v_add_nc_u32_e32 v1, s21, v32
	v_dual_mov_b32 v3, v5 :: v_dual_mov_b32 v4, v6
	s_delay_alu instid0(VALU_DEP_2) | instskip(SKIP_1) | instid1(VALU_DEP_2)
	v_cmp_gt_i32_e64 s2, s17, v1
	v_dual_mov_b32 v1, v5 :: v_dual_mov_b32 v2, v6
	s_and_b32 s14, vcc_lo, s2
	s_delay_alu instid0(SALU_CYCLE_1)
	s_and_saveexec_b32 s2, s14
	s_cbranch_execz .LBB765_5
; %bb.4:                                ;   in Loop: Header=BB765_3 Depth=1
	global_load_b128 v[1:4], v[7:8], off offset:-8
.LBB765_5:                              ;   in Loop: Header=BB765_3 Depth=1
	s_or_b32 exec_lo, exec_lo, s2
	v_add_nc_u32_e32 v35, s21, v29
	s_waitcnt vmcnt(0)
	ds_store_b128 v33, v[1:4]
	v_cmp_le_i32_e64 s2, s17, v35
	s_delay_alu instid0(VALU_DEP_1) | instskip(NEXT) | instid1(SALU_CYCLE_1)
	s_or_b32 s2, s2, s3
	s_and_saveexec_b32 s14, s2
	s_delay_alu instid0(SALU_CYCLE_1)
	s_xor_b32 s2, exec_lo, s14
	s_cbranch_execz .LBB765_7
; %bb.6:                                ;   in Loop: Header=BB765_3 Depth=1
	v_mov_b32_e32 v1, v0
	v_mov_b32_e32 v2, v0
	;; [unrolled: 1-line block ×3, first 2 shown]
	ds_store_b128 v34, v[0:3]
.LBB765_7:                              ;   in Loop: Header=BB765_3 Depth=1
	s_and_not1_saveexec_b32 s2, s2
	s_cbranch_execz .LBB765_2
; %bb.8:                                ;   in Loop: Header=BB765_3 Depth=1
	global_load_b128 v[1:4], v[9:10], off
	s_waitcnt vmcnt(0)
	ds_store_2addr_b64 v34, v[1:2], v[3:4] offset1:1
	s_branch .LBB765_2
.LBB765_9:
	s_load_b32 s2, s[0:1], 0x60
	v_add_nc_u32_e32 v4, s13, v28
	v_add_nc_u32_e32 v0, s12, v27
	s_delay_alu instid0(VALU_DEP_2) | instskip(NEXT) | instid1(VALU_DEP_2)
	v_cmp_gt_i32_e32 vcc_lo, s16, v4
	v_cmp_le_i32_e64 s0, v0, v4
	s_delay_alu instid0(VALU_DEP_1) | instskip(SKIP_2) | instid1(VALU_DEP_1)
	s_and_b32 s0, vcc_lo, s0
	s_waitcnt lgkmcnt(0)
	v_mad_i64_i32 v[1:2], null, v4, s2, 0
	v_lshlrev_b64 v[1:2], 4, v[1:2]
	s_delay_alu instid0(VALU_DEP_1) | instskip(NEXT) | instid1(VALU_DEP_1)
	v_add_co_u32 v5, s1, s18, v1
	v_add_co_ci_u32_e64 v6, s1, s19, v2, s1
	s_and_saveexec_b32 s1, s0
	s_cbranch_execz .LBB765_11
; %bb.10:
	v_ashrrev_i32_e32 v1, 31, v0
	v_mul_f64 v[27:28], s[6:7], v[25:26]
	v_mul_f64 v[25:26], s[4:5], v[25:26]
	s_delay_alu instid0(VALU_DEP_3) | instskip(NEXT) | instid1(VALU_DEP_1)
	v_lshlrev_b64 v[1:2], 4, v[0:1]
	v_add_co_u32 v1, s0, v5, v1
	s_delay_alu instid0(VALU_DEP_1)
	v_add_co_ci_u32_e64 v2, s0, v6, v2, s0
	global_load_b128 v[7:10], v[1:2], off
	v_fma_f64 v[27:28], s[4:5], v[23:24], -v[27:28]
	v_fma_f64 v[23:24], s[6:7], v[23:24], v[25:26]
	s_waitcnt vmcnt(0)
	v_mul_f64 v[29:30], s[10:11], v[9:10]
	v_mul_f64 v[9:10], s[8:9], v[9:10]
	s_delay_alu instid0(VALU_DEP_2) | instskip(NEXT) | instid1(VALU_DEP_2)
	v_fma_f64 v[25:26], s[8:9], v[7:8], -v[29:30]
	v_fma_f64 v[9:10], s[10:11], v[7:8], v[9:10]
	s_delay_alu instid0(VALU_DEP_2) | instskip(NEXT) | instid1(VALU_DEP_2)
	v_add_f64 v[7:8], v[27:28], v[25:26]
	v_add_f64 v[9:10], v[23:24], v[9:10]
	global_store_b128 v[1:2], v[7:10], off
.LBB765_11:
	s_or_b32 exec_lo, exec_lo, s1
	v_add_nc_u32_e32 v2, 16, v0
	s_delay_alu instid0(VALU_DEP_1) | instskip(NEXT) | instid1(VALU_DEP_1)
	v_cmp_le_i32_e64 s0, v2, v4
	s_and_b32 s1, vcc_lo, s0
	s_delay_alu instid0(SALU_CYCLE_1)
	s_and_saveexec_b32 s0, s1
	s_cbranch_execz .LBB765_13
; %bb.12:
	v_ashrrev_i32_e32 v3, 31, v2
	v_mul_f64 v[23:24], s[6:7], v[21:22]
	v_mul_f64 v[21:22], s[4:5], v[21:22]
	s_delay_alu instid0(VALU_DEP_3) | instskip(NEXT) | instid1(VALU_DEP_1)
	v_lshlrev_b64 v[7:8], 4, v[2:3]
	v_add_co_u32 v9, vcc_lo, v5, v7
	s_delay_alu instid0(VALU_DEP_2)
	v_add_co_ci_u32_e32 v10, vcc_lo, v6, v8, vcc_lo
	global_load_b128 v[5:8], v[9:10], off
	v_fma_f64 v[23:24], s[4:5], v[19:20], -v[23:24]
	v_fma_f64 v[19:20], s[6:7], v[19:20], v[21:22]
	s_waitcnt vmcnt(0)
	v_mul_f64 v[25:26], s[10:11], v[7:8]
	v_mul_f64 v[7:8], s[8:9], v[7:8]
	s_delay_alu instid0(VALU_DEP_2) | instskip(NEXT) | instid1(VALU_DEP_2)
	v_fma_f64 v[21:22], s[8:9], v[5:6], -v[25:26]
	v_fma_f64 v[7:8], s[10:11], v[5:6], v[7:8]
	s_delay_alu instid0(VALU_DEP_2) | instskip(NEXT) | instid1(VALU_DEP_2)
	v_add_f64 v[5:6], v[23:24], v[21:22]
	v_add_f64 v[7:8], v[19:20], v[7:8]
	global_store_b128 v[9:10], v[5:8], off
.LBB765_13:
	s_or_b32 exec_lo, exec_lo, s0
	v_add_nc_u32_e32 v3, 16, v4
	s_delay_alu instid0(VALU_DEP_1) | instskip(SKIP_2) | instid1(VALU_DEP_1)
	v_mad_i64_i32 v[4:5], null, v3, s2, 0
	v_cmp_gt_i32_e32 vcc_lo, s16, v3
	v_cmp_le_i32_e64 s0, v0, v3
	s_and_b32 s0, vcc_lo, s0
	s_delay_alu instid0(VALU_DEP_3) | instskip(NEXT) | instid1(VALU_DEP_1)
	v_lshlrev_b64 v[4:5], 4, v[4:5]
	v_add_co_u32 v4, s1, s18, v4
	s_delay_alu instid0(VALU_DEP_1)
	v_add_co_ci_u32_e64 v5, s1, s19, v5, s1
	s_and_saveexec_b32 s1, s0
	s_cbranch_execz .LBB765_15
; %bb.14:
	v_ashrrev_i32_e32 v1, 31, v0
	v_mul_f64 v[19:20], s[6:7], v[17:18]
	v_mul_f64 v[17:18], s[4:5], v[17:18]
	s_delay_alu instid0(VALU_DEP_3) | instskip(NEXT) | instid1(VALU_DEP_1)
	v_lshlrev_b64 v[0:1], 4, v[0:1]
	v_add_co_u32 v0, s0, v4, v0
	s_delay_alu instid0(VALU_DEP_1)
	v_add_co_ci_u32_e64 v1, s0, v5, v1, s0
	global_load_b128 v[6:9], v[0:1], off
	v_fma_f64 v[19:20], s[4:5], v[15:16], -v[19:20]
	v_fma_f64 v[15:16], s[6:7], v[15:16], v[17:18]
	s_waitcnt vmcnt(0)
	v_mul_f64 v[21:22], s[10:11], v[8:9]
	v_mul_f64 v[8:9], s[8:9], v[8:9]
	s_delay_alu instid0(VALU_DEP_2) | instskip(NEXT) | instid1(VALU_DEP_2)
	v_fma_f64 v[17:18], s[8:9], v[6:7], -v[21:22]
	v_fma_f64 v[8:9], s[10:11], v[6:7], v[8:9]
	s_delay_alu instid0(VALU_DEP_2) | instskip(NEXT) | instid1(VALU_DEP_2)
	v_add_f64 v[6:7], v[19:20], v[17:18]
	v_add_f64 v[8:9], v[15:16], v[8:9]
	global_store_b128 v[0:1], v[6:9], off
.LBB765_15:
	s_or_b32 exec_lo, exec_lo, s1
	v_cmp_le_i32_e64 s0, v2, v3
	s_delay_alu instid0(VALU_DEP_1) | instskip(NEXT) | instid1(SALU_CYCLE_1)
	s_and_b32 s0, vcc_lo, s0
	s_and_saveexec_b32 s1, s0
	s_cbranch_execz .LBB765_17
; %bb.16:
	v_ashrrev_i32_e32 v3, 31, v2
	v_mul_f64 v[6:7], s[6:7], v[13:14]
	v_mul_f64 v[8:9], s[4:5], v[13:14]
	s_delay_alu instid0(VALU_DEP_3) | instskip(NEXT) | instid1(VALU_DEP_1)
	v_lshlrev_b64 v[0:1], 4, v[2:3]
	v_add_co_u32 v4, vcc_lo, v4, v0
	s_delay_alu instid0(VALU_DEP_2)
	v_add_co_ci_u32_e32 v5, vcc_lo, v5, v1, vcc_lo
	global_load_b128 v[0:3], v[4:5], off
	v_fma_f64 v[6:7], s[4:5], v[11:12], -v[6:7]
	v_fma_f64 v[8:9], s[6:7], v[11:12], v[8:9]
	s_waitcnt vmcnt(0)
	v_mul_f64 v[13:14], s[10:11], v[2:3]
	v_mul_f64 v[2:3], s[8:9], v[2:3]
	s_delay_alu instid0(VALU_DEP_2) | instskip(NEXT) | instid1(VALU_DEP_2)
	v_fma_f64 v[10:11], s[8:9], v[0:1], -v[13:14]
	v_fma_f64 v[2:3], s[10:11], v[0:1], v[2:3]
	s_delay_alu instid0(VALU_DEP_2) | instskip(NEXT) | instid1(VALU_DEP_2)
	v_add_f64 v[0:1], v[6:7], v[10:11]
	v_add_f64 v[2:3], v[8:9], v[2:3]
	global_store_b128 v[4:5], v[0:3], off
.LBB765_17:
	s_nop 0
	s_sendmsg sendmsg(MSG_DEALLOC_VGPRS)
	s_endpgm
	.section	.rodata,"a",@progbits
	.p2align	6, 0x0
	.amdhsa_kernel _ZL34rocblas_syrkx_herkx_general_kernelIi19rocblas_complex_numIdELi16ELi32ELi8ELb0ELb0ELc67ELc85EKPKS1_KPS1_EviT_T0_PT8_S7_lSA_S7_lS8_PT9_S7_li
		.amdhsa_group_segment_fixed_size 8192
		.amdhsa_private_segment_fixed_size 0
		.amdhsa_kernarg_size 116
		.amdhsa_user_sgpr_count 13
		.amdhsa_user_sgpr_dispatch_ptr 0
		.amdhsa_user_sgpr_queue_ptr 0
		.amdhsa_user_sgpr_kernarg_segment_ptr 1
		.amdhsa_user_sgpr_dispatch_id 0
		.amdhsa_user_sgpr_private_segment_size 0
		.amdhsa_wavefront_size32 1
		.amdhsa_uses_dynamic_stack 0
		.amdhsa_enable_private_segment 0
		.amdhsa_system_sgpr_workgroup_id_x 1
		.amdhsa_system_sgpr_workgroup_id_y 1
		.amdhsa_system_sgpr_workgroup_id_z 1
		.amdhsa_system_sgpr_workgroup_info 0
		.amdhsa_system_vgpr_workitem_id 1
		.amdhsa_next_free_vgpr 121
		.amdhsa_next_free_sgpr 25
		.amdhsa_reserve_vcc 1
		.amdhsa_float_round_mode_32 0
		.amdhsa_float_round_mode_16_64 0
		.amdhsa_float_denorm_mode_32 3
		.amdhsa_float_denorm_mode_16_64 3
		.amdhsa_dx10_clamp 1
		.amdhsa_ieee_mode 1
		.amdhsa_fp16_overflow 0
		.amdhsa_workgroup_processor_mode 1
		.amdhsa_memory_ordered 1
		.amdhsa_forward_progress 0
		.amdhsa_shared_vgpr_count 0
		.amdhsa_exception_fp_ieee_invalid_op 0
		.amdhsa_exception_fp_denorm_src 0
		.amdhsa_exception_fp_ieee_div_zero 0
		.amdhsa_exception_fp_ieee_overflow 0
		.amdhsa_exception_fp_ieee_underflow 0
		.amdhsa_exception_fp_ieee_inexact 0
		.amdhsa_exception_int_div_zero 0
	.end_amdhsa_kernel
	.section	.text._ZL34rocblas_syrkx_herkx_general_kernelIi19rocblas_complex_numIdELi16ELi32ELi8ELb0ELb0ELc67ELc85EKPKS1_KPS1_EviT_T0_PT8_S7_lSA_S7_lS8_PT9_S7_li,"axG",@progbits,_ZL34rocblas_syrkx_herkx_general_kernelIi19rocblas_complex_numIdELi16ELi32ELi8ELb0ELb0ELc67ELc85EKPKS1_KPS1_EviT_T0_PT8_S7_lSA_S7_lS8_PT9_S7_li,comdat
.Lfunc_end765:
	.size	_ZL34rocblas_syrkx_herkx_general_kernelIi19rocblas_complex_numIdELi16ELi32ELi8ELb0ELb0ELc67ELc85EKPKS1_KPS1_EviT_T0_PT8_S7_lSA_S7_lS8_PT9_S7_li, .Lfunc_end765-_ZL34rocblas_syrkx_herkx_general_kernelIi19rocblas_complex_numIdELi16ELi32ELi8ELb0ELb0ELc67ELc85EKPKS1_KPS1_EviT_T0_PT8_S7_lSA_S7_lS8_PT9_S7_li
                                        ; -- End function
	.section	.AMDGPU.csdata,"",@progbits
; Kernel info:
; codeLenInByte = 3480
; NumSgprs: 27
; NumVgprs: 121
; ScratchSize: 0
; MemoryBound: 1
; FloatMode: 240
; IeeeMode: 1
; LDSByteSize: 8192 bytes/workgroup (compile time only)
; SGPRBlocks: 3
; VGPRBlocks: 15
; NumSGPRsForWavesPerEU: 27
; NumVGPRsForWavesPerEU: 121
; Occupancy: 10
; WaveLimiterHint : 1
; COMPUTE_PGM_RSRC2:SCRATCH_EN: 0
; COMPUTE_PGM_RSRC2:USER_SGPR: 13
; COMPUTE_PGM_RSRC2:TRAP_HANDLER: 0
; COMPUTE_PGM_RSRC2:TGID_X_EN: 1
; COMPUTE_PGM_RSRC2:TGID_Y_EN: 1
; COMPUTE_PGM_RSRC2:TGID_Z_EN: 1
; COMPUTE_PGM_RSRC2:TIDIG_COMP_CNT: 1
	.section	.text._ZL34rocblas_syrkx_herkx_general_kernelIi19rocblas_complex_numIdELi16ELi32ELi8ELb0ELb0ELc78ELc85EKPKS1_KPS1_EviT_T0_PT8_S7_lSA_S7_lS8_PT9_S7_li,"axG",@progbits,_ZL34rocblas_syrkx_herkx_general_kernelIi19rocblas_complex_numIdELi16ELi32ELi8ELb0ELb0ELc78ELc85EKPKS1_KPS1_EviT_T0_PT8_S7_lSA_S7_lS8_PT9_S7_li,comdat
	.globl	_ZL34rocblas_syrkx_herkx_general_kernelIi19rocblas_complex_numIdELi16ELi32ELi8ELb0ELb0ELc78ELc85EKPKS1_KPS1_EviT_T0_PT8_S7_lSA_S7_lS8_PT9_S7_li ; -- Begin function _ZL34rocblas_syrkx_herkx_general_kernelIi19rocblas_complex_numIdELi16ELi32ELi8ELb0ELb0ELc78ELc85EKPKS1_KPS1_EviT_T0_PT8_S7_lSA_S7_lS8_PT9_S7_li
	.p2align	8
	.type	_ZL34rocblas_syrkx_herkx_general_kernelIi19rocblas_complex_numIdELi16ELi32ELi8ELb0ELb0ELc78ELc85EKPKS1_KPS1_EviT_T0_PT8_S7_lSA_S7_lS8_PT9_S7_li,@function
_ZL34rocblas_syrkx_herkx_general_kernelIi19rocblas_complex_numIdELi16ELi32ELi8ELb0ELb0ELc78ELc85EKPKS1_KPS1_EviT_T0_PT8_S7_lSA_S7_lS8_PT9_S7_li: ; @_ZL34rocblas_syrkx_herkx_general_kernelIi19rocblas_complex_numIdELi16ELi32ELi8ELb0ELb0ELc78ELc85EKPKS1_KPS1_EviT_T0_PT8_S7_lSA_S7_lS8_PT9_S7_li
; %bb.0:
	s_load_b64 s[2:3], s[0:1], 0x58
	s_mov_b32 s20, s15
	s_mov_b32 s21, 0
	s_clause 0x1
	s_load_b64 s[16:17], s[0:1], 0x0
	s_load_b128 s[4:7], s[0:1], 0x8
	s_lshl_b64 s[22:23], s[20:21], 3
	v_mov_b32_e32 v21, 0
	v_dual_mov_b32 v22, 0 :: v_dual_and_b32 v25, 0x3ff, v0
	v_bfe_u32 v26, v0, 10, 10
	s_delay_alu instid0(VALU_DEP_3) | instskip(NEXT) | instid1(VALU_DEP_3)
	v_mov_b32_e32 v17, v21
	v_dual_mov_b32 v19, v21 :: v_dual_mov_b32 v20, v22
	v_dual_mov_b32 v24, v22 :: v_dual_mov_b32 v23, v21
	v_dual_mov_b32 v18, v22 :: v_dual_mov_b32 v13, v21
	v_dual_mov_b32 v14, v22 :: v_dual_mov_b32 v15, v21
	v_dual_mov_b32 v16, v22 :: v_dual_mov_b32 v9, v21
	v_mov_b32_e32 v10, v22
	s_waitcnt lgkmcnt(0)
	s_add_u32 s2, s2, s22
	s_addc_u32 s3, s3, s23
	s_clause 0x1
	s_load_b64 s[24:25], s[0:1], 0x18
	s_load_b128 s[8:11], s[0:1], 0x48
	s_load_b64 s[18:19], s[2:3], 0x0
	v_dual_mov_b32 v11, v21 :: v_dual_mov_b32 v12, v22
	s_lshl_b32 s20, s13, 5
	s_lshl_b32 s26, s14, 5
	s_cmp_lt_i32 s17, 1
	s_cbranch_scc1 .LBB766_9
; %bb.1:
	s_clause 0x2
	s_load_b32 s12, s[0:1], 0x20
	s_load_b32 s14, s[0:1], 0x38
	s_load_b64 s[28:29], s[0:1], 0x30
	v_lshl_add_u32 v0, v26, 4, v25
	v_and_b32_e32 v27, 7, v25
	v_lshl_add_u32 v32, v26, 7, 0x1000
	v_mov_b32_e32 v11, 0
	s_delay_alu instid0(VALU_DEP_4) | instskip(SKIP_2) | instid1(VALU_DEP_4)
	v_dual_mov_b32 v12, 0 :: v_dual_and_b32 v1, 31, v0
	v_lshrrev_b32_e32 v28, 5, v0
	v_lshrrev_b32_e32 v3, 3, v0
	v_dual_mov_b32 v9, v11 :: v_dual_lshlrev_b32 v4, 4, v27
	s_delay_alu instid0(VALU_DEP_4)
	v_lshlrev_b32_e32 v6, 4, v1
	v_or_b32_e32 v5, s20, v1
	v_add_nc_u32_e32 v0, s20, v1
	v_add_nc_u32_e32 v2, s26, v3
	v_lshl_or_b32 v3, v3, 7, v4
	v_mov_b32_e32 v16, v12
	v_cmp_gt_i32_e64 s2, s16, v5
	s_waitcnt lgkmcnt(0)
	s_ashr_i32 s13, s12, 31
	s_ashr_i32 s15, s14, 31
	s_add_u32 s28, s28, s22
	s_addc_u32 s29, s29, s23
	s_add_u32 s22, s24, s22
	s_addc_u32 s23, s25, s23
	v_mad_i64_i32 v[4:5], null, v28, s12, 0
	s_load_b64 s[24:25], s[28:29], 0x0
	s_load_b64 s[22:23], s[22:23], 0x0
	v_lshl_or_b32 v29, v28, 9, v6
	v_mad_i64_i32 v[6:7], null, s14, v27, 0
	v_mov_b32_e32 v15, v11
	v_ashrrev_i32_e32 v1, 31, v0
	v_mov_b32_e32 v14, v12
	v_dual_mov_b32 v13, v11 :: v_dual_add_nc_u32 v30, 0x1000, v3
	v_ashrrev_i32_e32 v3, 31, v2
	v_lshlrev_b64 v[4:5], 4, v[4:5]
	v_lshlrev_b64 v[0:1], 4, v[0:1]
	v_cmp_gt_i32_e32 vcc_lo, s16, v2
	v_lshlrev_b64 v[6:7], 4, v[6:7]
	v_lshlrev_b64 v[2:3], 4, v[2:3]
	v_mov_b32_e32 v20, v12
	v_mov_b32_e32 v18, v12
	v_add_co_u32 v0, s3, v4, v0
	s_delay_alu instid0(VALU_DEP_1) | instskip(SKIP_1) | instid1(VALU_DEP_1)
	v_add_co_ci_u32_e64 v1, s3, v5, v1, s3
	v_add_co_u32 v2, s3, v6, v2
	v_add_co_ci_u32_e64 v3, s3, v7, v3, s3
	s_waitcnt lgkmcnt(0)
	v_add_co_u32 v5, s3, s22, v0
	s_delay_alu instid0(VALU_DEP_1) | instskip(SKIP_1) | instid1(VALU_DEP_1)
	v_add_co_ci_u32_e64 v6, s3, s23, v1, s3
	v_add_co_u32 v0, s3, v2, s24
	v_add_co_ci_u32_e64 v1, s3, s25, v3, s3
	v_mov_b32_e32 v24, v12
	s_delay_alu instid0(VALU_DEP_3)
	v_add_co_u32 v7, s3, v0, 8
	v_dual_mov_b32 v22, v12 :: v_dual_mov_b32 v21, v11
	v_dual_mov_b32 v10, v12 :: v_dual_lshlrev_b32 v31, 4, v25
	v_add_co_ci_u32_e64 v8, s3, 0, v1, s3
	v_dual_mov_b32 v0, 0 :: v_dual_mov_b32 v19, v11
	v_mov_b32_e32 v17, v11
	v_mov_b32_e32 v23, v11
	s_lshl_b64 s[12:13], s[12:13], 7
	s_lshl_b64 s[14:15], s[14:15], 7
	s_xor_b32 s3, s2, -1
	s_branch .LBB766_3
.LBB766_2:                              ;   in Loop: Header=BB766_3 Depth=1
	s_or_b32 exec_lo, exec_lo, s2
	s_waitcnt vmcnt(0)
	ds_store_b128 v30, v[1:4]
	s_waitcnt lgkmcnt(0)
	s_barrier
	buffer_gl0_inv
	ds_load_b128 v[1:4], v32
	ds_load_b128 v[33:36], v31
	ds_load_b128 v[37:40], v31 offset:256
	ds_load_b128 v[41:44], v32 offset:2048
	;; [unrolled: 1-line block ×9, first 2 shown]
	v_add_co_u32 v5, s2, v5, s12
	s_delay_alu instid0(VALU_DEP_1) | instskip(SKIP_1) | instid1(VALU_DEP_1)
	v_add_co_ci_u32_e64 v6, s2, s13, v6, s2
	v_add_co_u32 v7, s2, v7, s14
	v_add_co_ci_u32_e64 v8, s2, s15, v8, s2
	s_add_i32 s21, s21, 8
	s_delay_alu instid0(SALU_CYCLE_1)
	s_cmp_ge_i32 s21, s17
	s_waitcnt lgkmcnt(9)
	v_mul_f64 v[73:74], v[3:4], v[35:36]
	v_mul_f64 v[75:76], v[1:2], v[35:36]
	s_waitcnt lgkmcnt(8)
	v_mul_f64 v[77:78], v[3:4], v[39:40]
	v_mul_f64 v[79:80], v[1:2], v[39:40]
	;; [unrolled: 3-line block ×3, first 2 shown]
	v_mul_f64 v[83:84], v[43:44], v[39:40]
	v_mul_f64 v[39:40], v[41:42], v[39:40]
	s_waitcnt lgkmcnt(4)
	v_mul_f64 v[85:86], v[47:48], v[55:56]
	v_mul_f64 v[87:88], v[45:46], v[55:56]
	s_waitcnt lgkmcnt(3)
	v_mul_f64 v[89:90], v[47:48], v[59:60]
	v_mul_f64 v[91:92], v[45:46], v[59:60]
	;; [unrolled: 1-line block ×6, first 2 shown]
	v_fma_f64 v[97:98], v[1:2], v[33:34], -v[73:74]
	v_fma_f64 v[99:100], v[3:4], v[33:34], v[75:76]
	ds_load_b128 v[73:76], v32 offset:32
	v_fma_f64 v[77:78], v[1:2], v[37:38], -v[77:78]
	v_fma_f64 v[79:80], v[3:4], v[37:38], v[79:80]
	v_fma_f64 v[81:82], v[41:42], v[33:34], -v[81:82]
	v_fma_f64 v[101:102], v[43:44], v[33:34], v[35:36]
	;; [unrolled: 2-line block ×3, first 2 shown]
	s_waitcnt lgkmcnt(1)
	v_mul_f64 v[113:114], v[71:72], v[63:64]
	v_fma_f64 v[85:86], v[45:46], v[53:54], -v[85:86]
	v_fma_f64 v[87:88], v[47:48], v[53:54], v[87:88]
	v_fma_f64 v[45:46], v[45:46], v[57:58], -v[89:90]
	v_fma_f64 v[47:48], v[47:48], v[57:58], v[91:92]
	v_mul_f64 v[89:90], v[71:72], v[67:68]
	v_fma_f64 v[91:92], v[49:50], v[53:54], -v[93:94]
	v_fma_f64 v[53:54], v[51:52], v[53:54], v[55:56]
	v_fma_f64 v[49:50], v[49:50], v[57:58], -v[95:96]
	v_fma_f64 v[51:52], v[51:52], v[57:58], v[59:60]
	ds_load_b128 v[1:4], v32 offset:48
	ds_load_b128 v[33:36], v32 offset:2096
	;; [unrolled: 1-line block ×4, first 2 shown]
	s_waitcnt lgkmcnt(4)
	v_mul_f64 v[105:106], v[75:76], v[63:64]
	v_mul_f64 v[107:108], v[73:74], v[63:64]
	;; [unrolled: 1-line block ×6, first 2 shown]
	s_waitcnt lgkmcnt(1)
	v_mul_f64 v[93:94], v[1:2], v[39:40]
	v_add_f64 v[21:22], v[21:22], v[97:98]
	v_add_f64 v[23:24], v[23:24], v[99:100]
	;; [unrolled: 1-line block ×8, first 2 shown]
	v_mul_f64 v[83:84], v[3:4], v[39:40]
	s_waitcnt lgkmcnt(0)
	v_mul_f64 v[95:96], v[3:4], v[43:44]
	v_mul_f64 v[97:98], v[1:2], v[43:44]
	;; [unrolled: 1-line block ×6, first 2 shown]
	ds_load_b128 v[9:12], v31 offset:2048
	ds_load_b128 v[13:16], v31 offset:2304
	ds_load_b128 v[17:20], v32 offset:2112
	v_fma_f64 v[105:106], v[73:74], v[61:62], -v[105:106]
	v_fma_f64 v[107:108], v[75:76], v[61:62], v[107:108]
	v_fma_f64 v[73:74], v[73:74], v[65:66], -v[109:110]
	v_fma_f64 v[75:76], v[75:76], v[65:66], v[111:112]
	;; [unrolled: 2-line block ×4, first 2 shown]
	s_waitcnt lgkmcnt(0)
	v_mul_f64 v[113:114], v[19:20], v[11:12]
	v_mul_f64 v[115:116], v[19:20], v[15:16]
	v_fma_f64 v[93:94], v[3:4], v[37:38], v[93:94]
	v_add_f64 v[67:68], v[21:22], v[85:86]
	v_add_f64 v[69:70], v[23:24], v[87:88]
	;; [unrolled: 1-line block ×8, first 2 shown]
	ds_load_b128 v[21:24], v32 offset:64
	v_fma_f64 v[83:84], v[1:2], v[37:38], -v[83:84]
	v_fma_f64 v[95:96], v[1:2], v[41:42], -v[95:96]
	v_fma_f64 v[97:98], v[3:4], v[41:42], v[97:98]
	v_fma_f64 v[99:100], v[33:34], v[37:38], -v[99:100]
	v_fma_f64 v[117:118], v[35:36], v[37:38], v[39:40]
	;; [unrolled: 2-line block ×3, first 2 shown]
	ds_load_b128 v[43:46], v32 offset:80
	ds_load_b128 v[47:50], v32 offset:2128
	;; [unrolled: 1-line block ×7, first 2 shown]
	s_waitcnt lgkmcnt(7)
	v_mul_f64 v[87:88], v[23:24], v[11:12]
	v_mul_f64 v[89:90], v[21:22], v[11:12]
	;; [unrolled: 1-line block ×6, first 2 shown]
	s_waitcnt lgkmcnt(3)
	v_mul_f64 v[103:104], v[49:50], v[57:58]
	v_add_f64 v[67:68], v[67:68], v[105:106]
	v_add_f64 v[69:70], v[69:70], v[107:108]
	;; [unrolled: 1-line block ×8, first 2 shown]
	v_mul_f64 v[75:76], v[45:46], v[53:54]
	v_mul_f64 v[77:78], v[43:44], v[53:54]
	v_mul_f64 v[79:80], v[45:46], v[57:58]
	v_mul_f64 v[81:82], v[43:44], v[57:58]
	v_mul_f64 v[85:86], v[49:50], v[53:54]
	v_mul_f64 v[53:54], v[47:48], v[53:54]
	v_mul_f64 v[105:106], v[47:48], v[57:58]
	v_fma_f64 v[109:110], v[17:18], v[9:10], -v[113:114]
	v_fma_f64 v[113:114], v[17:18], v[13:14], -v[115:116]
	;; [unrolled: 1-line block ×3, first 2 shown]
	v_fma_f64 v[89:90], v[23:24], v[9:10], v[89:90]
	v_fma_f64 v[91:92], v[21:22], v[13:14], -v[91:92]
	v_fma_f64 v[107:108], v[23:24], v[13:14], v[111:112]
	v_fma_f64 v[111:112], v[19:20], v[9:10], v[11:12]
	;; [unrolled: 1-line block ×3, first 2 shown]
	ds_load_b128 v[9:12], v32 offset:96
	v_add_f64 v[67:68], v[67:68], v[83:84]
	v_add_f64 v[69:70], v[69:70], v[93:94]
	;; [unrolled: 1-line block ×8, first 2 shown]
	s_waitcnt lgkmcnt(1)
	v_mul_f64 v[99:100], v[39:40], v[3:4]
	v_fma_f64 v[75:76], v[43:44], v[51:52], -v[75:76]
	v_fma_f64 v[77:78], v[45:46], v[51:52], v[77:78]
	v_fma_f64 v[43:44], v[43:44], v[55:56], -v[79:80]
	v_fma_f64 v[45:46], v[45:46], v[55:56], v[81:82]
	v_mul_f64 v[79:80], v[39:40], v[35:36]
	v_fma_f64 v[81:82], v[47:48], v[51:52], -v[85:86]
	v_fma_f64 v[51:52], v[49:50], v[51:52], v[53:54]
	s_waitcnt lgkmcnt(0)
	v_mul_f64 v[65:66], v[11:12], v[3:4]
	v_mul_f64 v[93:94], v[9:10], v[3:4]
	v_mul_f64 v[95:96], v[11:12], v[35:36]
	v_mul_f64 v[97:98], v[9:10], v[35:36]
	v_mul_f64 v[3:4], v[37:38], v[3:4]
	v_mul_f64 v[35:36], v[37:38], v[35:36]
	v_fma_f64 v[47:48], v[47:48], v[55:56], -v[103:104]
	v_fma_f64 v[49:50], v[49:50], v[55:56], v[105:106]
	ds_load_b128 v[13:16], v32 offset:112
	ds_load_b128 v[17:20], v32 offset:2160
	;; [unrolled: 1-line block ×4, first 2 shown]
	s_waitcnt lgkmcnt(0)
	s_barrier
	buffer_gl0_inv
	v_add_f64 v[53:54], v[67:68], v[87:88]
	v_add_f64 v[55:56], v[69:70], v[89:90]
	;; [unrolled: 1-line block ×8, first 2 shown]
	v_mul_f64 v[73:74], v[15:16], v[23:24]
	v_mul_f64 v[83:84], v[13:14], v[23:24]
	;; [unrolled: 1-line block ×8, first 2 shown]
	v_fma_f64 v[65:66], v[9:10], v[1:2], -v[65:66]
	v_fma_f64 v[93:94], v[11:12], v[1:2], v[93:94]
	v_fma_f64 v[9:10], v[9:10], v[33:34], -v[95:96]
	v_fma_f64 v[11:12], v[11:12], v[33:34], v[97:98]
	;; [unrolled: 2-line block ×4, first 2 shown]
	v_add_f64 v[35:36], v[53:54], v[75:76]
	v_add_f64 v[37:38], v[55:56], v[77:78]
	;; [unrolled: 1-line block ×8, first 2 shown]
	v_fma_f64 v[49:50], v[13:14], v[21:22], -v[73:74]
	v_fma_f64 v[53:54], v[15:16], v[21:22], v[83:84]
	v_fma_f64 v[13:14], v[13:14], v[57:58], -v[85:86]
	v_fma_f64 v[15:16], v[15:16], v[57:58], v[87:88]
	;; [unrolled: 2-line block ×4, first 2 shown]
	v_add_f64 v[17:18], v[35:36], v[65:66]
	v_add_f64 v[19:20], v[37:38], v[93:94]
	;; [unrolled: 1-line block ×16, first 2 shown]
	s_cbranch_scc1 .LBB766_9
.LBB766_3:                              ; =>This Inner Loop Header: Depth=1
	v_add_nc_u32_e32 v1, s21, v28
	s_delay_alu instid0(VALU_DEP_1) | instskip(NEXT) | instid1(VALU_DEP_1)
	v_cmp_le_i32_e64 s2, s17, v1
	s_or_b32 s2, s3, s2
	s_delay_alu instid0(SALU_CYCLE_1) | instskip(NEXT) | instid1(SALU_CYCLE_1)
	s_and_saveexec_b32 s22, s2
	s_xor_b32 s2, exec_lo, s22
	s_cbranch_execz .LBB766_5
; %bb.4:                                ;   in Loop: Header=BB766_3 Depth=1
	v_mov_b32_e32 v1, v0
	v_mov_b32_e32 v2, v0
	;; [unrolled: 1-line block ×3, first 2 shown]
	ds_store_b128 v29, v[0:3]
.LBB766_5:                              ;   in Loop: Header=BB766_3 Depth=1
	s_and_not1_saveexec_b32 s2, s2
	s_cbranch_execz .LBB766_7
; %bb.6:                                ;   in Loop: Header=BB766_3 Depth=1
	global_load_b128 v[1:4], v[5:6], off
	s_waitcnt vmcnt(0)
	ds_store_2addr_b64 v29, v[1:2], v[3:4] offset1:1
.LBB766_7:                              ;   in Loop: Header=BB766_3 Depth=1
	s_or_b32 exec_lo, exec_lo, s2
	v_add_nc_u32_e32 v3, s21, v27
	v_mov_b32_e32 v1, 0
	v_mov_b32_e32 v2, 0
	s_delay_alu instid0(VALU_DEP_3) | instskip(NEXT) | instid1(VALU_DEP_2)
	v_cmp_gt_i32_e64 s2, s17, v3
	v_dual_mov_b32 v4, v2 :: v_dual_mov_b32 v3, v1
	s_delay_alu instid0(VALU_DEP_2) | instskip(NEXT) | instid1(SALU_CYCLE_1)
	s_and_b32 s22, s2, vcc_lo
	s_and_saveexec_b32 s2, s22
	s_cbranch_execz .LBB766_2
; %bb.8:                                ;   in Loop: Header=BB766_3 Depth=1
	global_load_b128 v[1:4], v[7:8], off offset:-8
	s_branch .LBB766_2
.LBB766_9:
	s_load_b32 s2, s[0:1], 0x60
	v_add_nc_u32_e32 v4, s26, v26
	v_add_nc_u32_e32 v0, s20, v25
	s_delay_alu instid0(VALU_DEP_2) | instskip(NEXT) | instid1(VALU_DEP_2)
	v_cmp_gt_i32_e32 vcc_lo, s16, v4
	v_cmp_le_i32_e64 s0, v0, v4
	s_delay_alu instid0(VALU_DEP_1) | instskip(SKIP_2) | instid1(VALU_DEP_1)
	s_and_b32 s0, vcc_lo, s0
	s_waitcnt lgkmcnt(0)
	v_mad_i64_i32 v[1:2], null, v4, s2, 0
	v_lshlrev_b64 v[1:2], 4, v[1:2]
	s_delay_alu instid0(VALU_DEP_1) | instskip(NEXT) | instid1(VALU_DEP_1)
	v_add_co_u32 v5, s1, s18, v1
	v_add_co_ci_u32_e64 v6, s1, s19, v2, s1
	s_and_saveexec_b32 s1, s0
	s_cbranch_execz .LBB766_11
; %bb.10:
	v_ashrrev_i32_e32 v1, 31, v0
	v_mul_f64 v[7:8], s[6:7], v[23:24]
	v_mul_f64 v[23:24], s[4:5], v[23:24]
	s_delay_alu instid0(VALU_DEP_3) | instskip(NEXT) | instid1(VALU_DEP_1)
	v_lshlrev_b64 v[1:2], 4, v[0:1]
	v_add_co_u32 v1, s0, v5, v1
	s_delay_alu instid0(VALU_DEP_1)
	v_add_co_ci_u32_e64 v2, s0, v6, v2, s0
	global_load_b128 v[25:28], v[1:2], off
	v_fma_f64 v[7:8], s[4:5], v[21:22], -v[7:8]
	v_fma_f64 v[23:24], s[6:7], v[21:22], v[23:24]
	s_waitcnt vmcnt(0)
	v_mul_f64 v[29:30], s[10:11], v[27:28]
	v_mul_f64 v[27:28], s[8:9], v[27:28]
	s_delay_alu instid0(VALU_DEP_2) | instskip(NEXT) | instid1(VALU_DEP_2)
	v_fma_f64 v[21:22], s[8:9], v[25:26], -v[29:30]
	v_fma_f64 v[25:26], s[10:11], v[25:26], v[27:28]
	s_delay_alu instid0(VALU_DEP_2) | instskip(NEXT) | instid1(VALU_DEP_2)
	v_add_f64 v[21:22], v[7:8], v[21:22]
	v_add_f64 v[23:24], v[23:24], v[25:26]
	global_store_b128 v[1:2], v[21:24], off
.LBB766_11:
	s_or_b32 exec_lo, exec_lo, s1
	v_add_nc_u32_e32 v2, 16, v0
	s_delay_alu instid0(VALU_DEP_1) | instskip(NEXT) | instid1(VALU_DEP_1)
	v_cmp_le_i32_e64 s0, v2, v4
	s_and_b32 s1, vcc_lo, s0
	s_delay_alu instid0(SALU_CYCLE_1)
	s_and_saveexec_b32 s0, s1
	s_cbranch_execz .LBB766_13
; %bb.12:
	v_ashrrev_i32_e32 v3, 31, v2
	v_mul_f64 v[23:24], s[6:7], v[19:20]
	v_mul_f64 v[19:20], s[4:5], v[19:20]
	s_delay_alu instid0(VALU_DEP_3) | instskip(NEXT) | instid1(VALU_DEP_1)
	v_lshlrev_b64 v[7:8], 4, v[2:3]
	v_add_co_u32 v21, vcc_lo, v5, v7
	s_delay_alu instid0(VALU_DEP_2)
	v_add_co_ci_u32_e32 v22, vcc_lo, v6, v8, vcc_lo
	global_load_b128 v[5:8], v[21:22], off
	v_fma_f64 v[23:24], s[4:5], v[17:18], -v[23:24]
	v_fma_f64 v[17:18], s[6:7], v[17:18], v[19:20]
	s_waitcnt vmcnt(0)
	v_mul_f64 v[25:26], s[10:11], v[7:8]
	v_mul_f64 v[7:8], s[8:9], v[7:8]
	s_delay_alu instid0(VALU_DEP_2) | instskip(NEXT) | instid1(VALU_DEP_2)
	v_fma_f64 v[19:20], s[8:9], v[5:6], -v[25:26]
	v_fma_f64 v[7:8], s[10:11], v[5:6], v[7:8]
	s_delay_alu instid0(VALU_DEP_2) | instskip(NEXT) | instid1(VALU_DEP_2)
	v_add_f64 v[5:6], v[23:24], v[19:20]
	v_add_f64 v[7:8], v[17:18], v[7:8]
	global_store_b128 v[21:22], v[5:8], off
.LBB766_13:
	s_or_b32 exec_lo, exec_lo, s0
	v_add_nc_u32_e32 v3, 16, v4
	s_delay_alu instid0(VALU_DEP_1) | instskip(SKIP_2) | instid1(VALU_DEP_1)
	v_mad_i64_i32 v[4:5], null, v3, s2, 0
	v_cmp_gt_i32_e32 vcc_lo, s16, v3
	v_cmp_le_i32_e64 s0, v0, v3
	s_and_b32 s0, vcc_lo, s0
	s_delay_alu instid0(VALU_DEP_3) | instskip(NEXT) | instid1(VALU_DEP_1)
	v_lshlrev_b64 v[4:5], 4, v[4:5]
	v_add_co_u32 v4, s1, s18, v4
	s_delay_alu instid0(VALU_DEP_1)
	v_add_co_ci_u32_e64 v5, s1, s19, v5, s1
	s_and_saveexec_b32 s1, s0
	s_cbranch_execz .LBB766_15
; %bb.14:
	v_ashrrev_i32_e32 v1, 31, v0
	v_mul_f64 v[6:7], s[6:7], v[15:16]
	v_mul_f64 v[15:16], s[4:5], v[15:16]
	s_delay_alu instid0(VALU_DEP_3) | instskip(NEXT) | instid1(VALU_DEP_1)
	v_lshlrev_b64 v[0:1], 4, v[0:1]
	v_add_co_u32 v0, s0, v4, v0
	s_delay_alu instid0(VALU_DEP_1)
	v_add_co_ci_u32_e64 v1, s0, v5, v1, s0
	global_load_b128 v[17:20], v[0:1], off
	v_fma_f64 v[6:7], s[4:5], v[13:14], -v[6:7]
	v_fma_f64 v[15:16], s[6:7], v[13:14], v[15:16]
	s_waitcnt vmcnt(0)
	v_mul_f64 v[21:22], s[10:11], v[19:20]
	v_mul_f64 v[19:20], s[8:9], v[19:20]
	s_delay_alu instid0(VALU_DEP_2) | instskip(NEXT) | instid1(VALU_DEP_2)
	v_fma_f64 v[13:14], s[8:9], v[17:18], -v[21:22]
	v_fma_f64 v[17:18], s[10:11], v[17:18], v[19:20]
	s_delay_alu instid0(VALU_DEP_2) | instskip(NEXT) | instid1(VALU_DEP_2)
	v_add_f64 v[13:14], v[6:7], v[13:14]
	v_add_f64 v[15:16], v[15:16], v[17:18]
	global_store_b128 v[0:1], v[13:16], off
.LBB766_15:
	s_or_b32 exec_lo, exec_lo, s1
	v_cmp_le_i32_e64 s0, v2, v3
	s_delay_alu instid0(VALU_DEP_1) | instskip(NEXT) | instid1(SALU_CYCLE_1)
	s_and_b32 s0, vcc_lo, s0
	s_and_saveexec_b32 s1, s0
	s_cbranch_execz .LBB766_17
; %bb.16:
	v_ashrrev_i32_e32 v3, 31, v2
	v_mul_f64 v[6:7], s[6:7], v[11:12]
	v_mul_f64 v[11:12], s[4:5], v[11:12]
	s_delay_alu instid0(VALU_DEP_3) | instskip(NEXT) | instid1(VALU_DEP_1)
	v_lshlrev_b64 v[0:1], 4, v[2:3]
	v_add_co_u32 v4, vcc_lo, v4, v0
	s_delay_alu instid0(VALU_DEP_2)
	v_add_co_ci_u32_e32 v5, vcc_lo, v5, v1, vcc_lo
	global_load_b128 v[0:3], v[4:5], off
	v_fma_f64 v[6:7], s[4:5], v[9:10], -v[6:7]
	v_fma_f64 v[8:9], s[6:7], v[9:10], v[11:12]
	s_waitcnt vmcnt(0)
	v_mul_f64 v[13:14], s[10:11], v[2:3]
	v_mul_f64 v[2:3], s[8:9], v[2:3]
	s_delay_alu instid0(VALU_DEP_2) | instskip(NEXT) | instid1(VALU_DEP_2)
	v_fma_f64 v[10:11], s[8:9], v[0:1], -v[13:14]
	v_fma_f64 v[2:3], s[10:11], v[0:1], v[2:3]
	s_delay_alu instid0(VALU_DEP_2) | instskip(NEXT) | instid1(VALU_DEP_2)
	v_add_f64 v[0:1], v[6:7], v[10:11]
	v_add_f64 v[2:3], v[8:9], v[2:3]
	global_store_b128 v[4:5], v[0:3], off
.LBB766_17:
	s_nop 0
	s_sendmsg sendmsg(MSG_DEALLOC_VGPRS)
	s_endpgm
	.section	.rodata,"a",@progbits
	.p2align	6, 0x0
	.amdhsa_kernel _ZL34rocblas_syrkx_herkx_general_kernelIi19rocblas_complex_numIdELi16ELi32ELi8ELb0ELb0ELc78ELc85EKPKS1_KPS1_EviT_T0_PT8_S7_lSA_S7_lS8_PT9_S7_li
		.amdhsa_group_segment_fixed_size 8192
		.amdhsa_private_segment_fixed_size 0
		.amdhsa_kernarg_size 116
		.amdhsa_user_sgpr_count 13
		.amdhsa_user_sgpr_dispatch_ptr 0
		.amdhsa_user_sgpr_queue_ptr 0
		.amdhsa_user_sgpr_kernarg_segment_ptr 1
		.amdhsa_user_sgpr_dispatch_id 0
		.amdhsa_user_sgpr_private_segment_size 0
		.amdhsa_wavefront_size32 1
		.amdhsa_uses_dynamic_stack 0
		.amdhsa_enable_private_segment 0
		.amdhsa_system_sgpr_workgroup_id_x 1
		.amdhsa_system_sgpr_workgroup_id_y 1
		.amdhsa_system_sgpr_workgroup_id_z 1
		.amdhsa_system_sgpr_workgroup_info 0
		.amdhsa_system_vgpr_workitem_id 1
		.amdhsa_next_free_vgpr 119
		.amdhsa_next_free_sgpr 30
		.amdhsa_reserve_vcc 1
		.amdhsa_float_round_mode_32 0
		.amdhsa_float_round_mode_16_64 0
		.amdhsa_float_denorm_mode_32 3
		.amdhsa_float_denorm_mode_16_64 3
		.amdhsa_dx10_clamp 1
		.amdhsa_ieee_mode 1
		.amdhsa_fp16_overflow 0
		.amdhsa_workgroup_processor_mode 1
		.amdhsa_memory_ordered 1
		.amdhsa_forward_progress 0
		.amdhsa_shared_vgpr_count 0
		.amdhsa_exception_fp_ieee_invalid_op 0
		.amdhsa_exception_fp_denorm_src 0
		.amdhsa_exception_fp_ieee_div_zero 0
		.amdhsa_exception_fp_ieee_overflow 0
		.amdhsa_exception_fp_ieee_underflow 0
		.amdhsa_exception_fp_ieee_inexact 0
		.amdhsa_exception_int_div_zero 0
	.end_amdhsa_kernel
	.section	.text._ZL34rocblas_syrkx_herkx_general_kernelIi19rocblas_complex_numIdELi16ELi32ELi8ELb0ELb0ELc78ELc85EKPKS1_KPS1_EviT_T0_PT8_S7_lSA_S7_lS8_PT9_S7_li,"axG",@progbits,_ZL34rocblas_syrkx_herkx_general_kernelIi19rocblas_complex_numIdELi16ELi32ELi8ELb0ELb0ELc78ELc85EKPKS1_KPS1_EviT_T0_PT8_S7_lSA_S7_lS8_PT9_S7_li,comdat
.Lfunc_end766:
	.size	_ZL34rocblas_syrkx_herkx_general_kernelIi19rocblas_complex_numIdELi16ELi32ELi8ELb0ELb0ELc78ELc85EKPKS1_KPS1_EviT_T0_PT8_S7_lSA_S7_lS8_PT9_S7_li, .Lfunc_end766-_ZL34rocblas_syrkx_herkx_general_kernelIi19rocblas_complex_numIdELi16ELi32ELi8ELb0ELb0ELc78ELc85EKPKS1_KPS1_EviT_T0_PT8_S7_lSA_S7_lS8_PT9_S7_li
                                        ; -- End function
	.section	.AMDGPU.csdata,"",@progbits
; Kernel info:
; codeLenInByte = 3496
; NumSgprs: 32
; NumVgprs: 119
; ScratchSize: 0
; MemoryBound: 1
; FloatMode: 240
; IeeeMode: 1
; LDSByteSize: 8192 bytes/workgroup (compile time only)
; SGPRBlocks: 3
; VGPRBlocks: 14
; NumSGPRsForWavesPerEU: 32
; NumVGPRsForWavesPerEU: 119
; Occupancy: 12
; WaveLimiterHint : 1
; COMPUTE_PGM_RSRC2:SCRATCH_EN: 0
; COMPUTE_PGM_RSRC2:USER_SGPR: 13
; COMPUTE_PGM_RSRC2:TRAP_HANDLER: 0
; COMPUTE_PGM_RSRC2:TGID_X_EN: 1
; COMPUTE_PGM_RSRC2:TGID_Y_EN: 1
; COMPUTE_PGM_RSRC2:TGID_Z_EN: 1
; COMPUTE_PGM_RSRC2:TIDIG_COMP_CNT: 1
	.section	.text._ZL26rocblas_syr2k_scale_kernelIiLi128ELi8ELb0E19rocblas_complex_numIdES1_PKPS1_EvbiT_T3_T4_T5_S5_li,"axG",@progbits,_ZL26rocblas_syr2k_scale_kernelIiLi128ELi8ELb0E19rocblas_complex_numIdES1_PKPS1_EvbiT_T3_T4_T5_S5_li,comdat
	.globl	_ZL26rocblas_syr2k_scale_kernelIiLi128ELi8ELb0E19rocblas_complex_numIdES1_PKPS1_EvbiT_T3_T4_T5_S5_li ; -- Begin function _ZL26rocblas_syr2k_scale_kernelIiLi128ELi8ELb0E19rocblas_complex_numIdES1_PKPS1_EvbiT_T3_T4_T5_S5_li
	.p2align	8
	.type	_ZL26rocblas_syr2k_scale_kernelIiLi128ELi8ELb0E19rocblas_complex_numIdES1_PKPS1_EvbiT_T3_T4_T5_S5_li,@function
_ZL26rocblas_syr2k_scale_kernelIiLi128ELi8ELb0E19rocblas_complex_numIdES1_PKPS1_EvbiT_T3_T4_T5_S5_li: ; @_ZL26rocblas_syr2k_scale_kernelIiLi128ELi8ELb0E19rocblas_complex_numIdES1_PKPS1_EvbiT_T3_T4_T5_S5_li
; %bb.0:
	s_load_b128 s[4:7], s[0:1], 0x20
	s_waitcnt lgkmcnt(0)
	v_cmp_eq_f64_e64 s2, s[4:5], 1.0
	v_cmp_eq_f64_e64 s3, s[6:7], 0
	s_delay_alu instid0(VALU_DEP_1) | instskip(NEXT) | instid1(SALU_CYCLE_1)
	s_and_b32 s2, s2, s3
	s_and_b32 vcc_lo, exec_lo, s2
	s_cbranch_vccnz .LBB767_5
; %bb.1:
	s_clause 0x1
	s_load_b64 s[2:3], s[0:1], 0x0
	s_load_b32 s9, s[0:1], 0x5c
	v_and_b32_e32 v2, 0x3ff, v0
	v_bfe_u32 v3, v0, 10, 10
	s_waitcnt lgkmcnt(0)
	s_bitcmp1_b32 s2, 0
	s_cselect_b32 vcc_lo, -1, 0
	s_lshr_b32 s2, s9, 16
	s_and_b32 s9, s9, 0xffff
	s_delay_alu instid0(SALU_CYCLE_1) | instskip(SKIP_1) | instid1(VALU_DEP_1)
	v_mad_u64_u32 v[0:1], null, s13, s9, v[2:3]
	v_mad_u64_u32 v[1:2], null, s14, s2, v[3:4]
	v_cndmask_b32_e32 v2, v1, v0, vcc_lo
	v_max_u32_e32 v3, v0, v1
	v_cndmask_b32_e32 v4, v0, v1, vcc_lo
	s_delay_alu instid0(VALU_DEP_2) | instskip(NEXT) | instid1(VALU_DEP_2)
	v_cmp_gt_u32_e32 vcc_lo, s3, v3
	v_cmp_le_i32_e64 s2, v2, v4
	s_delay_alu instid0(VALU_DEP_1) | instskip(NEXT) | instid1(SALU_CYCLE_1)
	s_and_b32 s2, vcc_lo, s2
	s_and_saveexec_b32 s3, s2
	s_cbranch_execz .LBB767_5
; %bb.2:
	s_clause 0x1
	s_load_b32 s10, s[0:1], 0x38
	s_load_b64 s[2:3], s[0:1], 0x30
	v_cmp_neq_f64_e64 s11, s[4:5], 0
	v_cmp_neq_f64_e64 s12, s[6:7], 0
	s_mov_b32 s8, s15
	s_mov_b32 s9, 0
	s_load_b64 s[0:1], s[0:1], 0x40
	s_lshl_b64 s[8:9], s[8:9], 3
	s_waitcnt lgkmcnt(0)
	v_mad_u64_u32 v[4:5], null, v1, s10, 0
	s_ashr_i32 s10, s10, 31
	s_add_u32 s2, s2, s8
	s_addc_u32 s3, s3, s9
	s_load_b64 s[2:3], s[2:3], 0x0
	s_lshl_b64 s[0:1], s[0:1], 4
	s_delay_alu instid0(VALU_DEP_1) | instskip(NEXT) | instid1(VALU_DEP_1)
	v_mov_b32_e32 v2, v5
	v_mad_u64_u32 v[5:6], null, v1, s10, v[2:3]
	v_dual_mov_b32 v1, 0 :: v_dual_mov_b32 v2, 0
	v_mov_b32_e32 v3, 0
	s_delay_alu instid0(VALU_DEP_2) | instskip(NEXT) | instid1(VALU_DEP_4)
	v_lshlrev_b64 v[0:1], 4, v[0:1]
	v_lshlrev_b64 v[4:5], 4, v[4:5]
	s_waitcnt lgkmcnt(0)
	s_add_u32 s0, s2, s0
	s_addc_u32 s1, s3, s1
	s_delay_alu instid0(VALU_DEP_1) | instskip(NEXT) | instid1(VALU_DEP_2)
	v_add_co_u32 v4, vcc_lo, s0, v4
	v_add_co_ci_u32_e32 v5, vcc_lo, s1, v5, vcc_lo
	s_or_b32 s2, s11, s12
	s_delay_alu instid0(VALU_DEP_2) | instskip(NEXT) | instid1(VALU_DEP_2)
	v_add_co_u32 v4, vcc_lo, v4, v0
	v_add_co_ci_u32_e32 v5, vcc_lo, v5, v1, vcc_lo
	v_dual_mov_b32 v0, v2 :: v_dual_mov_b32 v1, v3
	s_and_not1_b32 vcc_lo, exec_lo, s2
	s_cbranch_vccnz .LBB767_4
; %bb.3:
	global_load_b128 v[6:9], v[4:5], off
	s_waitcnt vmcnt(0)
	v_mul_f64 v[0:1], s[6:7], v[8:9]
	v_mul_f64 v[2:3], s[4:5], v[8:9]
	s_delay_alu instid0(VALU_DEP_2) | instskip(NEXT) | instid1(VALU_DEP_2)
	v_fma_f64 v[0:1], s[4:5], v[6:7], -v[0:1]
	v_fma_f64 v[2:3], s[6:7], v[6:7], v[2:3]
.LBB767_4:
	global_store_b128 v[4:5], v[0:3], off
.LBB767_5:
	s_nop 0
	s_sendmsg sendmsg(MSG_DEALLOC_VGPRS)
	s_endpgm
	.section	.rodata,"a",@progbits
	.p2align	6, 0x0
	.amdhsa_kernel _ZL26rocblas_syr2k_scale_kernelIiLi128ELi8ELb0E19rocblas_complex_numIdES1_PKPS1_EvbiT_T3_T4_T5_S5_li
		.amdhsa_group_segment_fixed_size 0
		.amdhsa_private_segment_fixed_size 0
		.amdhsa_kernarg_size 336
		.amdhsa_user_sgpr_count 13
		.amdhsa_user_sgpr_dispatch_ptr 0
		.amdhsa_user_sgpr_queue_ptr 0
		.amdhsa_user_sgpr_kernarg_segment_ptr 1
		.amdhsa_user_sgpr_dispatch_id 0
		.amdhsa_user_sgpr_private_segment_size 0
		.amdhsa_wavefront_size32 1
		.amdhsa_uses_dynamic_stack 0
		.amdhsa_enable_private_segment 0
		.amdhsa_system_sgpr_workgroup_id_x 1
		.amdhsa_system_sgpr_workgroup_id_y 1
		.amdhsa_system_sgpr_workgroup_id_z 1
		.amdhsa_system_sgpr_workgroup_info 0
		.amdhsa_system_vgpr_workitem_id 1
		.amdhsa_next_free_vgpr 10
		.amdhsa_next_free_sgpr 16
		.amdhsa_reserve_vcc 1
		.amdhsa_float_round_mode_32 0
		.amdhsa_float_round_mode_16_64 0
		.amdhsa_float_denorm_mode_32 3
		.amdhsa_float_denorm_mode_16_64 3
		.amdhsa_dx10_clamp 1
		.amdhsa_ieee_mode 1
		.amdhsa_fp16_overflow 0
		.amdhsa_workgroup_processor_mode 1
		.amdhsa_memory_ordered 1
		.amdhsa_forward_progress 0
		.amdhsa_shared_vgpr_count 0
		.amdhsa_exception_fp_ieee_invalid_op 0
		.amdhsa_exception_fp_denorm_src 0
		.amdhsa_exception_fp_ieee_div_zero 0
		.amdhsa_exception_fp_ieee_overflow 0
		.amdhsa_exception_fp_ieee_underflow 0
		.amdhsa_exception_fp_ieee_inexact 0
		.amdhsa_exception_int_div_zero 0
	.end_amdhsa_kernel
	.section	.text._ZL26rocblas_syr2k_scale_kernelIiLi128ELi8ELb0E19rocblas_complex_numIdES1_PKPS1_EvbiT_T3_T4_T5_S5_li,"axG",@progbits,_ZL26rocblas_syr2k_scale_kernelIiLi128ELi8ELb0E19rocblas_complex_numIdES1_PKPS1_EvbiT_T3_T4_T5_S5_li,comdat
.Lfunc_end767:
	.size	_ZL26rocblas_syr2k_scale_kernelIiLi128ELi8ELb0E19rocblas_complex_numIdES1_PKPS1_EvbiT_T3_T4_T5_S5_li, .Lfunc_end767-_ZL26rocblas_syr2k_scale_kernelIiLi128ELi8ELb0E19rocblas_complex_numIdES1_PKPS1_EvbiT_T3_T4_T5_S5_li
                                        ; -- End function
	.section	.AMDGPU.csdata,"",@progbits
; Kernel info:
; codeLenInByte = 440
; NumSgprs: 18
; NumVgprs: 10
; ScratchSize: 0
; MemoryBound: 0
; FloatMode: 240
; IeeeMode: 1
; LDSByteSize: 0 bytes/workgroup (compile time only)
; SGPRBlocks: 2
; VGPRBlocks: 1
; NumSGPRsForWavesPerEU: 18
; NumVGPRsForWavesPerEU: 10
; Occupancy: 16
; WaveLimiterHint : 1
; COMPUTE_PGM_RSRC2:SCRATCH_EN: 0
; COMPUTE_PGM_RSRC2:USER_SGPR: 13
; COMPUTE_PGM_RSRC2:TRAP_HANDLER: 0
; COMPUTE_PGM_RSRC2:TGID_X_EN: 1
; COMPUTE_PGM_RSRC2:TGID_Y_EN: 1
; COMPUTE_PGM_RSRC2:TGID_Z_EN: 1
; COMPUTE_PGM_RSRC2:TIDIG_COMP_CNT: 1
	.section	.text._ZL26rocblas_syr2k_her2k_kernelIiLb0ELb0ELb0ELi32EPK19rocblas_complex_numIdEPKS3_PKPS1_EvbiT_T4_T5_S9_lSB_S9_lT6_S9_li,"axG",@progbits,_ZL26rocblas_syr2k_her2k_kernelIiLb0ELb0ELb0ELi32EPK19rocblas_complex_numIdEPKS3_PKPS1_EvbiT_T4_T5_S9_lSB_S9_lT6_S9_li,comdat
	.globl	_ZL26rocblas_syr2k_her2k_kernelIiLb0ELb0ELb0ELi32EPK19rocblas_complex_numIdEPKS3_PKPS1_EvbiT_T4_T5_S9_lSB_S9_lT6_S9_li ; -- Begin function _ZL26rocblas_syr2k_her2k_kernelIiLb0ELb0ELb0ELi32EPK19rocblas_complex_numIdEPKS3_PKPS1_EvbiT_T4_T5_S9_lSB_S9_lT6_S9_li
	.p2align	8
	.type	_ZL26rocblas_syr2k_her2k_kernelIiLb0ELb0ELb0ELi32EPK19rocblas_complex_numIdEPKS3_PKPS1_EvbiT_T4_T5_S9_lSB_S9_lT6_S9_li,@function
_ZL26rocblas_syr2k_her2k_kernelIiLb0ELb0ELb0ELi32EPK19rocblas_complex_numIdEPKS3_PKPS1_EvbiT_T4_T5_S9_lSB_S9_lT6_S9_li: ; @_ZL26rocblas_syr2k_her2k_kernelIiLb0ELb0ELb0ELi32EPK19rocblas_complex_numIdEPKS3_PKPS1_EvbiT_T4_T5_S9_lSB_S9_lT6_S9_li
; %bb.0:
	s_load_b128 s[20:23], s[0:1], 0x10
	s_waitcnt lgkmcnt(0)
	s_load_b128 s[4:7], s[20:21], 0x0
	s_waitcnt lgkmcnt(0)
	v_cmp_eq_f64_e64 s3, s[4:5], 0
	v_cmp_eq_f64_e64 s8, s[6:7], 0
	s_delay_alu instid0(VALU_DEP_1) | instskip(NEXT) | instid1(SALU_CYCLE_1)
	s_and_b32 s3, s3, s8
	s_and_b32 vcc_lo, exec_lo, s3
	s_cbranch_vccnz .LBB768_11
; %bb.1:
	s_load_b128 s[8:11], s[0:1], 0x0
	s_lshl_b32 s20, s14, 5
	s_lshl_b32 s21, s13, 5
	s_waitcnt lgkmcnt(0)
	s_and_b32 s3, 1, s8
	s_delay_alu instid0(SALU_CYCLE_1) | instskip(SKIP_1) | instid1(SALU_CYCLE_1)
	s_cmp_eq_u32 s3, 1
	s_cselect_b32 vcc_lo, -1, 0
	s_and_b32 s3, vcc_lo, exec_lo
	s_cselect_b32 s3, s21, s20
	s_cselect_b32 s8, s20, s21
	s_delay_alu instid0(SALU_CYCLE_1)
	s_cmp_gt_i32 s3, s8
	s_cbranch_scc1 .LBB768_11
; %bb.2:
	s_cmp_lt_i32 s10, 1
	s_cbranch_scc1 .LBB768_11
; %bb.3:
	s_mov_b32 s2, s15
	s_clause 0x4
	s_load_b128 s[16:19], s[0:1], 0x28
	s_load_b32 s8, s[0:1], 0x20
	s_load_b32 s11, s[0:1], 0x38
	s_load_b128 s[12:15], s[0:1], 0x40
	s_load_b32 s28, s[0:1], 0x50
	s_mov_b32 s3, 0
	v_and_b32_e32 v10, 0x3ff, v0
	v_bfe_u32 v11, v0, 10, 10
	s_lshl_b64 s[24:25], s[2:3], 3
	s_load_b64 s[26:27], s[0:1], 0x58
	s_add_u32 s0, s22, s24
	s_addc_u32 s1, s23, s25
	v_add_nc_u32_e32 v0, s20, v11
	v_add_nc_u32_e32 v2, s21, v10
	s_load_b64 s[20:21], s[0:1], 0x0
	v_lshlrev_b32_e32 v4, 4, v11
	s_delay_alu instid0(VALU_DEP_3) | instskip(NEXT) | instid1(VALU_DEP_3)
	v_ashrrev_i32_e32 v1, 31, v0
	v_cndmask_b32_e32 v9, v0, v2, vcc_lo
	v_ashrrev_i32_e32 v3, 31, v2
	s_waitcnt lgkmcnt(0)
	s_add_u32 s0, s18, s24
	s_addc_u32 s1, s19, s25
	v_lshlrev_b32_e32 v12, 9, v10
	s_load_b64 s[18:19], s[0:1], 0x0
	s_add_u32 s0, s14, s24
	s_addc_u32 s1, s15, s25
	v_mad_i64_i32 v[6:7], null, s28, v0, 0
	s_load_b64 s[14:15], s[0:1], 0x0
	v_cndmask_b32_e32 v8, v2, v0, vcc_lo
	v_cmp_gt_i32_e32 vcc_lo, s9, v2
	v_lshlrev_b64 v[2:3], 4, v[2:3]
	s_lshl_b64 s[16:17], s[16:17], 4
	v_add_nc_u32_e32 v13, v12, v4
	v_or_b32_e32 v14, 0x4000, v4
	v_lshlrev_b64 v[4:5], 4, v[0:1]
	s_add_u32 s1, s20, s16
	s_addc_u32 s2, s21, s17
	s_lshl_b64 s[12:13], s[12:13], 4
	v_cmp_gt_i32_e64 s0, s9, v0
	v_add_co_u32 v15, s1, s1, v2
	v_lshlrev_b64 v[0:1], 4, v[6:7]
	s_waitcnt lgkmcnt(0)
	s_add_u32 s9, s18, s12
	s_addc_u32 s16, s19, s13
	s_lshl_b64 s[12:13], s[26:27], 4
	v_add_co_ci_u32_e64 v16, s1, s2, v3, s1
	v_add_co_u32 v17, s1, s9, v4
	s_add_u32 s2, s14, s12
	v_add_co_ci_u32_e64 v18, s1, s16, v5, s1
	s_addc_u32 s12, s15, s13
	v_add_co_u32 v0, s1, s2, v0
	s_delay_alu instid0(VALU_DEP_1) | instskip(SKIP_1) | instid1(VALU_DEP_3)
	v_add_co_ci_u32_e64 v1, s1, s12, v1, s1
	v_cmp_le_i32_e64 s1, v9, v8
	v_add_co_u32 v8, s2, v0, v2
	v_add_nc_u32_e32 v19, v14, v12
	s_delay_alu instid0(VALU_DEP_4) | instskip(SKIP_1) | instid1(SALU_CYCLE_1)
	v_add_co_ci_u32_e64 v9, s2, v1, v3, s2
	s_and_b32 s2, s0, vcc_lo
	s_and_b32 s2, s2, s1
	s_branch .LBB768_5
.LBB768_4:                              ;   in Loop: Header=BB768_5 Depth=1
	s_or_b32 exec_lo, exec_lo, s1
	s_add_i32 s3, s3, 32
	s_waitcnt_vscnt null, 0x0
	s_cmp_lt_i32 s3, s10
	s_barrier
	buffer_gl0_inv
	s_cbranch_scc0 .LBB768_11
.LBB768_5:                              ; =>This Inner Loop Header: Depth=1
	v_add_nc_u32_e32 v2, s3, v11
	v_mov_b32_e32 v0, 0
	v_mov_b32_e32 v1, 0
	s_delay_alu instid0(VALU_DEP_3) | instskip(NEXT) | instid1(VALU_DEP_2)
	v_cmp_gt_i32_e64 s1, s10, v2
	v_dual_mov_b32 v5, v1 :: v_dual_mov_b32 v4, v0
	v_dual_mov_b32 v7, v1 :: v_dual_mov_b32 v6, v0
	s_delay_alu instid0(VALU_DEP_3) | instskip(NEXT) | instid1(SALU_CYCLE_1)
	s_and_b32 s1, vcc_lo, s1
	s_and_saveexec_b32 s9, s1
	s_cbranch_execz .LBB768_7
; %bb.6:                                ;   in Loop: Header=BB768_5 Depth=1
	v_mad_i64_i32 v[3:4], null, v2, s8, 0
	s_delay_alu instid0(VALU_DEP_1) | instskip(NEXT) | instid1(VALU_DEP_1)
	v_lshlrev_b64 v[2:3], 4, v[3:4]
	v_add_co_u32 v2, s1, v15, v2
	s_delay_alu instid0(VALU_DEP_1)
	v_add_co_ci_u32_e64 v3, s1, v16, v3, s1
	global_load_b128 v[4:7], v[2:3], off
.LBB768_7:                              ;   in Loop: Header=BB768_5 Depth=1
	s_or_b32 exec_lo, exec_lo, s9
	v_dual_mov_b32 v3, v1 :: v_dual_add_nc_u32 v20, s3, v10
	v_mov_b32_e32 v2, v0
	s_waitcnt vmcnt(0)
	ds_store_b128 v13, v[4:7]
	v_cmp_gt_i32_e64 s1, s10, v20
	s_delay_alu instid0(VALU_DEP_1) | instskip(NEXT) | instid1(SALU_CYCLE_1)
	s_and_b32 s1, s0, s1
	s_and_saveexec_b32 s9, s1
	s_cbranch_execz .LBB768_9
; %bb.8:                                ;   in Loop: Header=BB768_5 Depth=1
	v_mad_i64_i32 v[0:1], null, v20, s11, 0
	s_delay_alu instid0(VALU_DEP_1) | instskip(NEXT) | instid1(VALU_DEP_1)
	v_lshlrev_b64 v[0:1], 4, v[0:1]
	v_add_co_u32 v0, s1, v17, v0
	s_delay_alu instid0(VALU_DEP_1)
	v_add_co_ci_u32_e64 v1, s1, v18, v1, s1
	global_load_b128 v[0:3], v[0:1], off
.LBB768_9:                              ;   in Loop: Header=BB768_5 Depth=1
	s_or_b32 exec_lo, exec_lo, s9
	s_waitcnt vmcnt(0)
	ds_store_b128 v19, v[0:3]
	s_waitcnt lgkmcnt(0)
	s_barrier
	buffer_gl0_inv
	s_and_saveexec_b32 s1, s2
	s_cbranch_execz .LBB768_4
; %bb.10:                               ;   in Loop: Header=BB768_5 Depth=1
	ds_load_b128 v[0:3], v14
	ds_load_b128 v[4:7], v12
	ds_load_b128 v[20:23], v12 offset:16
	ds_load_b128 v[24:27], v14 offset:512
	s_waitcnt lgkmcnt(2)
	v_mul_f64 v[28:29], v[0:1], v[6:7]
	v_mul_f64 v[6:7], v[2:3], v[6:7]
	s_waitcnt lgkmcnt(0)
	v_mul_f64 v[36:37], v[26:27], v[22:23]
	v_mul_f64 v[22:23], v[24:25], v[22:23]
	s_delay_alu instid0(VALU_DEP_4) | instskip(NEXT) | instid1(VALU_DEP_4)
	v_fma_f64 v[38:39], v[2:3], v[4:5], v[28:29]
	v_fma_f64 v[40:41], v[0:1], v[4:5], -v[6:7]
	ds_load_b128 v[0:3], v14 offset:1024
	ds_load_b128 v[4:7], v12 offset:32
	;; [unrolled: 1-line block ×4, first 2 shown]
	v_fma_f64 v[24:25], v[24:25], v[20:21], -v[36:37]
	v_fma_f64 v[20:21], v[26:27], v[20:21], v[22:23]
	s_waitcnt lgkmcnt(2)
	v_mul_f64 v[42:43], v[2:3], v[6:7]
	v_mul_f64 v[6:7], v[0:1], v[6:7]
	s_waitcnt lgkmcnt(0)
	v_mul_f64 v[36:37], v[34:35], v[30:31]
	v_mul_f64 v[30:31], v[32:33], v[30:31]
	v_add_f64 v[22:23], v[38:39], 0
	v_add_f64 v[26:27], v[40:41], 0
	v_fma_f64 v[38:39], v[0:1], v[4:5], -v[42:43]
	v_fma_f64 v[40:41], v[2:3], v[4:5], v[6:7]
	v_fma_f64 v[32:33], v[32:33], v[28:29], -v[36:37]
	v_fma_f64 v[28:29], v[34:35], v[28:29], v[30:31]
	v_add_f64 v[42:43], v[22:23], v[20:21]
	v_add_f64 v[44:45], v[26:27], v[24:25]
	ds_load_b128 v[0:3], v12 offset:64
	ds_load_b128 v[4:7], v14 offset:2048
	ds_load_b128 v[20:23], v14 offset:2560
	ds_load_b128 v[24:27], v12 offset:80
	s_waitcnt lgkmcnt(2)
	v_mul_f64 v[46:47], v[6:7], v[2:3]
	v_mul_f64 v[2:3], v[4:5], v[2:3]
	s_waitcnt lgkmcnt(0)
	v_mul_f64 v[36:37], v[22:23], v[26:27]
	v_add_f64 v[30:31], v[42:43], v[40:41]
	v_add_f64 v[34:35], v[44:45], v[38:39]
	v_mul_f64 v[38:39], v[20:21], v[26:27]
	v_fma_f64 v[40:41], v[4:5], v[0:1], -v[46:47]
	v_fma_f64 v[42:43], v[6:7], v[0:1], v[2:3]
	v_fma_f64 v[20:21], v[20:21], v[24:25], -v[36:37]
	v_add_f64 v[44:45], v[30:31], v[28:29]
	v_add_f64 v[34:35], v[34:35], v[32:33]
	ds_load_b128 v[0:3], v12 offset:96
	ds_load_b128 v[4:7], v14 offset:3072
	ds_load_b128 v[26:29], v14 offset:3584
	ds_load_b128 v[30:33], v12 offset:112
	v_fma_f64 v[22:23], v[22:23], v[24:25], v[38:39]
	s_waitcnt lgkmcnt(2)
	v_mul_f64 v[46:47], v[6:7], v[2:3]
	v_mul_f64 v[2:3], v[4:5], v[2:3]
	s_waitcnt lgkmcnt(0)
	v_mul_f64 v[36:37], v[28:29], v[32:33]
	v_mul_f64 v[38:39], v[26:27], v[32:33]
	v_add_f64 v[24:25], v[44:45], v[42:43]
	v_add_f64 v[34:35], v[34:35], v[40:41]
	v_fma_f64 v[40:41], v[4:5], v[0:1], -v[46:47]
	v_fma_f64 v[42:43], v[6:7], v[0:1], v[2:3]
	v_fma_f64 v[26:27], v[26:27], v[30:31], -v[36:37]
	v_fma_f64 v[28:29], v[28:29], v[30:31], v[38:39]
	v_add_f64 v[24:25], v[24:25], v[22:23]
	v_add_f64 v[44:45], v[34:35], v[20:21]
	ds_load_b128 v[0:3], v12 offset:128
	ds_load_b128 v[4:7], v14 offset:4096
	ds_load_b128 v[20:23], v14 offset:4608
	ds_load_b128 v[32:35], v12 offset:144
	s_waitcnt lgkmcnt(2)
	v_mul_f64 v[46:47], v[6:7], v[2:3]
	v_mul_f64 v[2:3], v[4:5], v[2:3]
	s_waitcnt lgkmcnt(0)
	v_mul_f64 v[36:37], v[22:23], v[34:35]
	v_mul_f64 v[34:35], v[20:21], v[34:35]
	v_add_f64 v[24:25], v[24:25], v[42:43]
	v_add_f64 v[30:31], v[44:45], v[40:41]
	v_fma_f64 v[38:39], v[4:5], v[0:1], -v[46:47]
	v_fma_f64 v[40:41], v[6:7], v[0:1], v[2:3]
	v_fma_f64 v[20:21], v[20:21], v[32:33], -v[36:37]
	v_fma_f64 v[22:23], v[22:23], v[32:33], v[34:35]
	v_add_f64 v[42:43], v[24:25], v[28:29]
	v_add_f64 v[44:45], v[30:31], v[26:27]
	ds_load_b128 v[0:3], v12 offset:160
	ds_load_b128 v[4:7], v14 offset:5120
	ds_load_b128 v[24:27], v14 offset:5632
	ds_load_b128 v[28:31], v12 offset:176
	s_waitcnt lgkmcnt(2)
	v_mul_f64 v[46:47], v[6:7], v[2:3]
	v_mul_f64 v[2:3], v[4:5], v[2:3]
	s_waitcnt lgkmcnt(0)
	v_mul_f64 v[36:37], v[26:27], v[30:31]
	v_add_f64 v[32:33], v[42:43], v[40:41]
	v_add_f64 v[34:35], v[44:45], v[38:39]
	v_mul_f64 v[38:39], v[24:25], v[30:31]
	v_fma_f64 v[40:41], v[4:5], v[0:1], -v[46:47]
	v_fma_f64 v[42:43], v[6:7], v[0:1], v[2:3]
	v_fma_f64 v[24:25], v[24:25], v[28:29], -v[36:37]
	v_add_f64 v[44:45], v[32:33], v[22:23]
	v_add_f64 v[34:35], v[34:35], v[20:21]
	ds_load_b128 v[0:3], v12 offset:192
	ds_load_b128 v[4:7], v14 offset:6144
	ds_load_b128 v[20:23], v14 offset:6656
	ds_load_b128 v[30:33], v12 offset:208
	v_fma_f64 v[26:27], v[26:27], v[28:29], v[38:39]
	s_waitcnt lgkmcnt(2)
	v_mul_f64 v[46:47], v[6:7], v[2:3]
	v_mul_f64 v[2:3], v[4:5], v[2:3]
	s_waitcnt lgkmcnt(0)
	v_mul_f64 v[36:37], v[22:23], v[32:33]
	v_mul_f64 v[38:39], v[20:21], v[32:33]
	v_add_f64 v[28:29], v[44:45], v[42:43]
	v_add_f64 v[34:35], v[34:35], v[40:41]
	v_fma_f64 v[40:41], v[4:5], v[0:1], -v[46:47]
	v_fma_f64 v[42:43], v[6:7], v[0:1], v[2:3]
	v_fma_f64 v[20:21], v[20:21], v[30:31], -v[36:37]
	v_fma_f64 v[22:23], v[22:23], v[30:31], v[38:39]
	v_add_f64 v[28:29], v[28:29], v[26:27]
	v_add_f64 v[44:45], v[34:35], v[24:25]
	ds_load_b128 v[0:3], v12 offset:224
	ds_load_b128 v[4:7], v14 offset:7168
	ds_load_b128 v[24:27], v14 offset:7680
	ds_load_b128 v[32:35], v12 offset:240
	;; [unrolled: 54-line block ×4, first 2 shown]
	s_waitcnt lgkmcnt(2)
	v_mul_f64 v[46:47], v[6:7], v[2:3]
	v_mul_f64 v[2:3], v[4:5], v[2:3]
	s_waitcnt lgkmcnt(0)
	v_mul_f64 v[38:39], v[26:27], v[34:35]
	v_add_f64 v[28:29], v[28:29], v[42:43]
	v_add_f64 v[30:31], v[44:45], v[40:41]
	v_mul_f64 v[40:41], v[24:25], v[34:35]
	v_fma_f64 v[42:43], v[4:5], v[0:1], -v[46:47]
	v_fma_f64 v[44:45], v[6:7], v[0:1], v[2:3]
	ds_load_b128 v[0:3], v12 offset:448
	ds_load_b128 v[4:7], v14 offset:14336
	v_fma_f64 v[24:25], v[24:25], v[32:33], -v[38:39]
	v_add_f64 v[46:47], v[28:29], v[22:23]
	v_add_f64 v[48:49], v[30:31], v[20:21]
	global_load_b128 v[20:23], v[8:9], off
	v_fma_f64 v[26:27], v[26:27], v[32:33], v[40:41]
	s_waitcnt lgkmcnt(0)
	v_mul_f64 v[50:51], v[6:7], v[2:3]
	v_mul_f64 v[2:3], v[4:5], v[2:3]
	ds_load_b128 v[28:31], v14 offset:14848
	ds_load_b128 v[34:37], v12 offset:464
	s_waitcnt lgkmcnt(0)
	v_mul_f64 v[40:41], v[30:31], v[36:37]
	v_add_f64 v[32:33], v[46:47], v[44:45]
	v_add_f64 v[38:39], v[48:49], v[42:43]
	v_mul_f64 v[42:43], v[28:29], v[36:37]
	v_fma_f64 v[44:45], v[4:5], v[0:1], -v[50:51]
	v_fma_f64 v[46:47], v[6:7], v[0:1], v[2:3]
	v_fma_f64 v[28:29], v[28:29], v[34:35], -v[40:41]
	v_add_f64 v[32:33], v[32:33], v[26:27]
	v_add_f64 v[48:49], v[38:39], v[24:25]
	ds_load_b128 v[0:3], v12 offset:480
	ds_load_b128 v[4:7], v14 offset:15360
	;; [unrolled: 1-line block ×4, first 2 shown]
	v_fma_f64 v[30:31], v[30:31], v[34:35], v[42:43]
	s_waitcnt lgkmcnt(2)
	v_mul_f64 v[50:51], v[6:7], v[2:3]
	v_mul_f64 v[2:3], v[4:5], v[2:3]
	s_waitcnt lgkmcnt(0)
	v_mul_f64 v[40:41], v[26:27], v[38:39]
	v_mul_f64 v[38:39], v[24:25], v[38:39]
	v_add_f64 v[32:33], v[32:33], v[46:47]
	v_add_f64 v[34:35], v[48:49], v[44:45]
	v_fma_f64 v[4:5], v[4:5], v[0:1], -v[50:51]
	v_fma_f64 v[0:1], v[6:7], v[0:1], v[2:3]
	v_fma_f64 v[24:25], v[24:25], v[36:37], -v[40:41]
	v_fma_f64 v[26:27], v[26:27], v[36:37], v[38:39]
	v_add_f64 v[2:3], v[32:33], v[30:31]
	v_add_f64 v[6:7], v[34:35], v[28:29]
	s_delay_alu instid0(VALU_DEP_2) | instskip(NEXT) | instid1(VALU_DEP_2)
	v_add_f64 v[0:1], v[2:3], v[0:1]
	v_add_f64 v[2:3], v[6:7], v[4:5]
	s_delay_alu instid0(VALU_DEP_2) | instskip(NEXT) | instid1(VALU_DEP_2)
	;; [unrolled: 3-line block ×3, first 2 shown]
	v_mul_f64 v[4:5], s[6:7], v[0:1]
	v_mul_f64 v[6:7], s[6:7], v[2:3]
	s_delay_alu instid0(VALU_DEP_2) | instskip(NEXT) | instid1(VALU_DEP_2)
	v_fma_f64 v[2:3], s[4:5], v[2:3], -v[4:5]
	v_fma_f64 v[4:5], s[4:5], v[0:1], v[6:7]
	s_waitcnt vmcnt(0)
	s_delay_alu instid0(VALU_DEP_2) | instskip(NEXT) | instid1(VALU_DEP_2)
	v_add_f64 v[0:1], v[20:21], v[2:3]
	v_add_f64 v[2:3], v[22:23], v[4:5]
	global_store_b128 v[8:9], v[0:3], off
	s_branch .LBB768_4
.LBB768_11:
	s_endpgm
	.section	.rodata,"a",@progbits
	.p2align	6, 0x0
	.amdhsa_kernel _ZL26rocblas_syr2k_her2k_kernelIiLb0ELb0ELb0ELi32EPK19rocblas_complex_numIdEPKS3_PKPS1_EvbiT_T4_T5_S9_lSB_S9_lT6_S9_li
		.amdhsa_group_segment_fixed_size 32768
		.amdhsa_private_segment_fixed_size 0
		.amdhsa_kernarg_size 100
		.amdhsa_user_sgpr_count 13
		.amdhsa_user_sgpr_dispatch_ptr 0
		.amdhsa_user_sgpr_queue_ptr 0
		.amdhsa_user_sgpr_kernarg_segment_ptr 1
		.amdhsa_user_sgpr_dispatch_id 0
		.amdhsa_user_sgpr_private_segment_size 0
		.amdhsa_wavefront_size32 1
		.amdhsa_uses_dynamic_stack 0
		.amdhsa_enable_private_segment 0
		.amdhsa_system_sgpr_workgroup_id_x 1
		.amdhsa_system_sgpr_workgroup_id_y 1
		.amdhsa_system_sgpr_workgroup_id_z 1
		.amdhsa_system_sgpr_workgroup_info 0
		.amdhsa_system_vgpr_workitem_id 1
		.amdhsa_next_free_vgpr 52
		.amdhsa_next_free_sgpr 29
		.amdhsa_reserve_vcc 1
		.amdhsa_float_round_mode_32 0
		.amdhsa_float_round_mode_16_64 0
		.amdhsa_float_denorm_mode_32 3
		.amdhsa_float_denorm_mode_16_64 3
		.amdhsa_dx10_clamp 1
		.amdhsa_ieee_mode 1
		.amdhsa_fp16_overflow 0
		.amdhsa_workgroup_processor_mode 1
		.amdhsa_memory_ordered 1
		.amdhsa_forward_progress 0
		.amdhsa_shared_vgpr_count 0
		.amdhsa_exception_fp_ieee_invalid_op 0
		.amdhsa_exception_fp_denorm_src 0
		.amdhsa_exception_fp_ieee_div_zero 0
		.amdhsa_exception_fp_ieee_overflow 0
		.amdhsa_exception_fp_ieee_underflow 0
		.amdhsa_exception_fp_ieee_inexact 0
		.amdhsa_exception_int_div_zero 0
	.end_amdhsa_kernel
	.section	.text._ZL26rocblas_syr2k_her2k_kernelIiLb0ELb0ELb0ELi32EPK19rocblas_complex_numIdEPKS3_PKPS1_EvbiT_T4_T5_S9_lSB_S9_lT6_S9_li,"axG",@progbits,_ZL26rocblas_syr2k_her2k_kernelIiLb0ELb0ELb0ELi32EPK19rocblas_complex_numIdEPKS3_PKPS1_EvbiT_T4_T5_S9_lSB_S9_lT6_S9_li,comdat
.Lfunc_end768:
	.size	_ZL26rocblas_syr2k_her2k_kernelIiLb0ELb0ELb0ELi32EPK19rocblas_complex_numIdEPKS3_PKPS1_EvbiT_T4_T5_S9_lSB_S9_lT6_S9_li, .Lfunc_end768-_ZL26rocblas_syr2k_her2k_kernelIiLb0ELb0ELb0ELi32EPK19rocblas_complex_numIdEPKS3_PKPS1_EvbiT_T4_T5_S9_lSB_S9_lT6_S9_li
                                        ; -- End function
	.section	.AMDGPU.csdata,"",@progbits
; Kernel info:
; codeLenInByte = 3036
; NumSgprs: 31
; NumVgprs: 52
; ScratchSize: 0
; MemoryBound: 1
; FloatMode: 240
; IeeeMode: 1
; LDSByteSize: 32768 bytes/workgroup (compile time only)
; SGPRBlocks: 3
; VGPRBlocks: 6
; NumSGPRsForWavesPerEU: 31
; NumVGPRsForWavesPerEU: 52
; Occupancy: 16
; WaveLimiterHint : 1
; COMPUTE_PGM_RSRC2:SCRATCH_EN: 0
; COMPUTE_PGM_RSRC2:USER_SGPR: 13
; COMPUTE_PGM_RSRC2:TRAP_HANDLER: 0
; COMPUTE_PGM_RSRC2:TGID_X_EN: 1
; COMPUTE_PGM_RSRC2:TGID_Y_EN: 1
; COMPUTE_PGM_RSRC2:TGID_Z_EN: 1
; COMPUTE_PGM_RSRC2:TIDIG_COMP_CNT: 1
	.section	.text._ZL26rocblas_syr2k_her2k_kernelIiLb0ELb0ELb1ELi32EPK19rocblas_complex_numIdEPKS3_PKPS1_EvbiT_T4_T5_S9_lSB_S9_lT6_S9_li,"axG",@progbits,_ZL26rocblas_syr2k_her2k_kernelIiLb0ELb0ELb1ELi32EPK19rocblas_complex_numIdEPKS3_PKPS1_EvbiT_T4_T5_S9_lSB_S9_lT6_S9_li,comdat
	.globl	_ZL26rocblas_syr2k_her2k_kernelIiLb0ELb0ELb1ELi32EPK19rocblas_complex_numIdEPKS3_PKPS1_EvbiT_T4_T5_S9_lSB_S9_lT6_S9_li ; -- Begin function _ZL26rocblas_syr2k_her2k_kernelIiLb0ELb0ELb1ELi32EPK19rocblas_complex_numIdEPKS3_PKPS1_EvbiT_T4_T5_S9_lSB_S9_lT6_S9_li
	.p2align	8
	.type	_ZL26rocblas_syr2k_her2k_kernelIiLb0ELb0ELb1ELi32EPK19rocblas_complex_numIdEPKS3_PKPS1_EvbiT_T4_T5_S9_lSB_S9_lT6_S9_li,@function
_ZL26rocblas_syr2k_her2k_kernelIiLb0ELb0ELb1ELi32EPK19rocblas_complex_numIdEPKS3_PKPS1_EvbiT_T4_T5_S9_lSB_S9_lT6_S9_li: ; @_ZL26rocblas_syr2k_her2k_kernelIiLb0ELb0ELb1ELi32EPK19rocblas_complex_numIdEPKS3_PKPS1_EvbiT_T4_T5_S9_lSB_S9_lT6_S9_li
; %bb.0:
	s_load_b128 s[20:23], s[0:1], 0x10
	s_waitcnt lgkmcnt(0)
	s_load_b128 s[4:7], s[20:21], 0x0
	s_waitcnt lgkmcnt(0)
	v_cmp_eq_f64_e64 s3, s[4:5], 0
	v_cmp_eq_f64_e64 s8, s[6:7], 0
	s_delay_alu instid0(VALU_DEP_1) | instskip(NEXT) | instid1(SALU_CYCLE_1)
	s_and_b32 s3, s3, s8
	s_and_b32 vcc_lo, exec_lo, s3
	s_cbranch_vccnz .LBB769_11
; %bb.1:
	s_load_b128 s[8:11], s[0:1], 0x0
	s_waitcnt lgkmcnt(0)
	s_lshl_b32 s11, s14, 5
	s_and_b32 s3, 1, s8
	s_lshl_b32 s8, s13, 5
	s_cmp_eq_u32 s3, 1
	s_cselect_b32 vcc_lo, -1, 0
	s_delay_alu instid0(SALU_CYCLE_1) | instskip(SKIP_2) | instid1(SALU_CYCLE_1)
	s_and_b32 s3, vcc_lo, exec_lo
	s_cselect_b32 s3, s8, s11
	s_cselect_b32 s12, s11, s8
	s_cmp_gt_i32 s3, s12
	s_cbranch_scc1 .LBB769_11
; %bb.2:
	s_cmp_lt_i32 s10, 1
	s_cbranch_scc1 .LBB769_11
; %bb.3:
	s_mov_b32 s2, s15
	s_clause 0x4
	s_load_b128 s[16:19], s[0:1], 0x28
	s_load_b32 s24, s[0:1], 0x20
	s_load_b32 s25, s[0:1], 0x38
	s_load_b128 s[12:15], s[0:1], 0x40
	s_load_b32 s26, s[0:1], 0x50
	s_mov_b32 s3, 0
	v_and_b32_e32 v12, 0x3ff, v0
	s_lshl_b64 s[20:21], s[2:3], 3
	s_load_b64 s[0:1], s[0:1], 0x58
	s_add_u32 s22, s22, s20
	s_addc_u32 s23, s23, s21
	v_bfe_u32 v13, v0, 10, 10
	s_load_b64 s[22:23], s[22:23], 0x0
	v_add_nc_u32_e32 v0, s8, v12
	v_lshlrev_b32_e32 v14, 9, v12
	s_delay_alu instid0(VALU_DEP_3) | instskip(SKIP_1) | instid1(VALU_DEP_4)
	v_add_nc_u32_e32 v8, s11, v13
	v_lshlrev_b32_e32 v9, 4, v13
	v_ashrrev_i32_e32 v1, 31, v0
	s_waitcnt lgkmcnt(0)
	s_add_u32 s18, s18, s20
	v_cndmask_b32_e32 v10, v0, v8, vcc_lo
	s_addc_u32 s19, s19, s21
	s_add_u32 s14, s14, s20
	s_load_b64 s[18:19], s[18:19], 0x0
	s_addc_u32 s15, s15, s21
	v_mad_i64_i32 v[2:3], null, s24, v0, 0
	s_load_b64 s[14:15], s[14:15], 0x0
	v_mad_i64_i32 v[4:5], null, s25, v8, 0
	s_lshl_b64 s[16:17], s[16:17], 4
	v_mad_i64_i32 v[6:7], null, s26, v8, 0
	s_delay_alu instid0(VALU_DEP_3) | instskip(SKIP_3) | instid1(VALU_DEP_3)
	v_lshlrev_b64 v[2:3], 4, v[2:3]
	s_add_u32 s2, s22, s16
	s_addc_u32 s8, s23, s17
	s_lshl_b64 s[12:13], s[12:13], 4
	v_lshlrev_b64 v[4:5], 4, v[4:5]
	v_cndmask_b32_e32 v11, v8, v0, vcc_lo
	v_cmp_gt_i32_e32 vcc_lo, s9, v0
	v_lshlrev_b64 v[0:1], 4, v[0:1]
	v_or_b32_e32 v18, 0x4000, v9
	v_add_nc_u32_e32 v17, v14, v9
	s_waitcnt lgkmcnt(0)
	s_add_u32 s11, s18, s12
	s_addc_u32 s16, s19, s13
	s_lshl_b64 s[12:13], s[0:1], 4
	v_add_co_u32 v15, s0, s2, v2
	s_delay_alu instid0(VALU_DEP_1)
	v_add_co_ci_u32_e64 v16, s0, s8, v3, s0
	v_lshlrev_b64 v[2:3], 4, v[6:7]
	v_add_co_u32 v19, s1, s11, v4
	s_add_u32 s2, s14, s12
	v_add_co_ci_u32_e64 v20, s1, s16, v5, s1
	s_addc_u32 s8, s15, s13
	s_delay_alu instid0(VALU_DEP_3) | instskip(NEXT) | instid1(VALU_DEP_1)
	v_add_co_u32 v2, s1, s2, v2
	v_add_co_ci_u32_e64 v3, s1, s8, v3, s1
	v_cmp_gt_i32_e64 s0, s9, v8
	v_cmp_le_i32_e64 s1, v11, v10
	s_delay_alu instid0(VALU_DEP_4) | instskip(SKIP_3) | instid1(SALU_CYCLE_1)
	v_add_co_u32 v8, s2, v2, v0
	v_add_nc_u32_e32 v21, v18, v14
	v_add_co_ci_u32_e64 v9, s2, v3, v1, s2
	s_and_b32 s2, s0, vcc_lo
	s_and_b32 s2, s2, s1
	s_branch .LBB769_5
.LBB769_4:                              ;   in Loop: Header=BB769_5 Depth=1
	s_or_b32 exec_lo, exec_lo, s1
	s_add_i32 s3, s3, 32
	s_waitcnt_vscnt null, 0x0
	s_cmp_lt_i32 s3, s10
	s_barrier
	buffer_gl0_inv
	s_cbranch_scc0 .LBB769_11
.LBB769_5:                              ; =>This Inner Loop Header: Depth=1
	v_add_nc_u32_e32 v2, s3, v13
	v_mov_b32_e32 v0, 0
	v_mov_b32_e32 v1, 0
	s_delay_alu instid0(VALU_DEP_3) | instskip(NEXT) | instid1(VALU_DEP_2)
	v_cmp_gt_i32_e64 s1, s10, v2
	v_dual_mov_b32 v5, v1 :: v_dual_mov_b32 v4, v0
	v_dual_mov_b32 v7, v1 :: v_dual_mov_b32 v6, v0
	s_delay_alu instid0(VALU_DEP_3) | instskip(NEXT) | instid1(SALU_CYCLE_1)
	s_and_b32 s1, vcc_lo, s1
	s_and_saveexec_b32 s8, s1
	s_cbranch_execz .LBB769_7
; %bb.6:                                ;   in Loop: Header=BB769_5 Depth=1
	v_ashrrev_i32_e32 v3, 31, v2
	s_delay_alu instid0(VALU_DEP_1) | instskip(NEXT) | instid1(VALU_DEP_1)
	v_lshlrev_b64 v[2:3], 4, v[2:3]
	v_add_co_u32 v2, s1, v15, v2
	s_delay_alu instid0(VALU_DEP_1)
	v_add_co_ci_u32_e64 v3, s1, v16, v3, s1
	global_load_b128 v[4:7], v[2:3], off
.LBB769_7:                              ;   in Loop: Header=BB769_5 Depth=1
	s_or_b32 exec_lo, exec_lo, s8
	v_dual_mov_b32 v3, v1 :: v_dual_add_nc_u32 v10, s3, v12
	v_mov_b32_e32 v2, v0
	s_waitcnt vmcnt(0)
	ds_store_b128 v17, v[4:7]
	v_cmp_gt_i32_e64 s1, s10, v10
	s_delay_alu instid0(VALU_DEP_1) | instskip(NEXT) | instid1(SALU_CYCLE_1)
	s_and_b32 s1, s0, s1
	s_and_saveexec_b32 s8, s1
	s_cbranch_execz .LBB769_9
; %bb.8:                                ;   in Loop: Header=BB769_5 Depth=1
	v_ashrrev_i32_e32 v11, 31, v10
	s_delay_alu instid0(VALU_DEP_1) | instskip(NEXT) | instid1(VALU_DEP_1)
	v_lshlrev_b64 v[0:1], 4, v[10:11]
	v_add_co_u32 v0, s1, v19, v0
	s_delay_alu instid0(VALU_DEP_1)
	v_add_co_ci_u32_e64 v1, s1, v20, v1, s1
	global_load_b128 v[0:3], v[0:1], off
.LBB769_9:                              ;   in Loop: Header=BB769_5 Depth=1
	s_or_b32 exec_lo, exec_lo, s8
	s_waitcnt vmcnt(0)
	ds_store_b128 v21, v[0:3]
	s_waitcnt lgkmcnt(0)
	s_barrier
	buffer_gl0_inv
	s_and_saveexec_b32 s1, s2
	s_cbranch_execz .LBB769_4
; %bb.10:                               ;   in Loop: Header=BB769_5 Depth=1
	ds_load_b128 v[0:3], v18
	ds_load_b128 v[4:7], v14
	ds_load_b128 v[22:25], v14 offset:16
	ds_load_b128 v[26:29], v18 offset:512
	s_waitcnt lgkmcnt(2)
	v_mul_f64 v[10:11], v[0:1], v[6:7]
	v_mul_f64 v[6:7], v[2:3], v[6:7]
	s_waitcnt lgkmcnt(0)
	v_mul_f64 v[38:39], v[28:29], v[24:25]
	v_mul_f64 v[24:25], v[26:27], v[24:25]
	s_delay_alu instid0(VALU_DEP_4) | instskip(NEXT) | instid1(VALU_DEP_4)
	v_fma_f64 v[10:11], v[2:3], v[4:5], v[10:11]
	v_fma_f64 v[40:41], v[0:1], v[4:5], -v[6:7]
	ds_load_b128 v[0:3], v18 offset:1024
	ds_load_b128 v[4:7], v14 offset:32
	;; [unrolled: 1-line block ×4, first 2 shown]
	v_fma_f64 v[26:27], v[26:27], v[22:23], -v[38:39]
	v_fma_f64 v[22:23], v[28:29], v[22:23], v[24:25]
	s_waitcnt lgkmcnt(2)
	v_mul_f64 v[42:43], v[2:3], v[6:7]
	v_mul_f64 v[6:7], v[0:1], v[6:7]
	s_waitcnt lgkmcnt(0)
	v_mul_f64 v[38:39], v[36:37], v[32:33]
	v_mul_f64 v[32:33], v[34:35], v[32:33]
	v_add_f64 v[10:11], v[10:11], 0
	v_add_f64 v[24:25], v[40:41], 0
	v_fma_f64 v[40:41], v[0:1], v[4:5], -v[42:43]
	v_fma_f64 v[42:43], v[2:3], v[4:5], v[6:7]
	v_fma_f64 v[34:35], v[34:35], v[30:31], -v[38:39]
	v_fma_f64 v[30:31], v[36:37], v[30:31], v[32:33]
	v_add_f64 v[10:11], v[10:11], v[22:23]
	v_add_f64 v[44:45], v[24:25], v[26:27]
	ds_load_b128 v[0:3], v14 offset:64
	ds_load_b128 v[4:7], v18 offset:2048
	ds_load_b128 v[22:25], v18 offset:2560
	ds_load_b128 v[26:29], v14 offset:80
	s_waitcnt lgkmcnt(2)
	v_mul_f64 v[46:47], v[6:7], v[2:3]
	v_mul_f64 v[2:3], v[4:5], v[2:3]
	s_waitcnt lgkmcnt(0)
	v_mul_f64 v[36:37], v[24:25], v[28:29]
	v_mul_f64 v[38:39], v[22:23], v[28:29]
	v_add_f64 v[10:11], v[10:11], v[42:43]
	v_add_f64 v[32:33], v[44:45], v[40:41]
	v_fma_f64 v[40:41], v[4:5], v[0:1], -v[46:47]
	v_fma_f64 v[42:43], v[6:7], v[0:1], v[2:3]
	v_fma_f64 v[22:23], v[22:23], v[26:27], -v[36:37]
	v_fma_f64 v[24:25], v[24:25], v[26:27], v[38:39]
	v_add_f64 v[10:11], v[10:11], v[30:31]
	v_add_f64 v[44:45], v[32:33], v[34:35]
	ds_load_b128 v[0:3], v14 offset:96
	ds_load_b128 v[4:7], v18 offset:3072
	ds_load_b128 v[28:31], v18 offset:3584
	ds_load_b128 v[32:35], v14 offset:112
	s_waitcnt lgkmcnt(2)
	v_mul_f64 v[46:47], v[6:7], v[2:3]
	v_mul_f64 v[2:3], v[4:5], v[2:3]
	s_waitcnt lgkmcnt(0)
	v_mul_f64 v[38:39], v[30:31], v[34:35]
	v_add_f64 v[10:11], v[10:11], v[42:43]
	v_add_f64 v[26:27], v[44:45], v[40:41]
	v_mul_f64 v[40:41], v[28:29], v[34:35]
	v_fma_f64 v[42:43], v[4:5], v[0:1], -v[46:47]
	v_fma_f64 v[44:45], v[6:7], v[0:1], v[2:3]
	v_fma_f64 v[28:29], v[28:29], v[32:33], -v[38:39]
	v_add_f64 v[10:11], v[10:11], v[24:25]
	v_add_f64 v[26:27], v[26:27], v[22:23]
	ds_load_b128 v[0:3], v14 offset:128
	ds_load_b128 v[4:7], v18 offset:4096
	ds_load_b128 v[22:25], v18 offset:4608
	ds_load_b128 v[34:37], v14 offset:144
	v_fma_f64 v[30:31], v[30:31], v[32:33], v[40:41]
	s_waitcnt lgkmcnt(2)
	v_mul_f64 v[46:47], v[6:7], v[2:3]
	v_mul_f64 v[2:3], v[4:5], v[2:3]
	s_waitcnt lgkmcnt(0)
	v_mul_f64 v[38:39], v[24:25], v[36:37]
	v_mul_f64 v[36:37], v[22:23], v[36:37]
	v_add_f64 v[10:11], v[10:11], v[44:45]
	v_add_f64 v[26:27], v[26:27], v[42:43]
	v_fma_f64 v[40:41], v[4:5], v[0:1], -v[46:47]
	v_fma_f64 v[42:43], v[6:7], v[0:1], v[2:3]
	v_fma_f64 v[22:23], v[22:23], v[34:35], -v[38:39]
	v_fma_f64 v[24:25], v[24:25], v[34:35], v[36:37]
	v_add_f64 v[10:11], v[10:11], v[30:31]
	v_add_f64 v[44:45], v[26:27], v[28:29]
	ds_load_b128 v[0:3], v14 offset:160
	ds_load_b128 v[4:7], v18 offset:5120
	ds_load_b128 v[26:29], v18 offset:5632
	ds_load_b128 v[30:33], v14 offset:176
	s_waitcnt lgkmcnt(2)
	v_mul_f64 v[46:47], v[6:7], v[2:3]
	v_mul_f64 v[2:3], v[4:5], v[2:3]
	s_waitcnt lgkmcnt(0)
	v_mul_f64 v[36:37], v[28:29], v[32:33]
	v_mul_f64 v[38:39], v[26:27], v[32:33]
	v_add_f64 v[10:11], v[10:11], v[42:43]
	v_add_f64 v[34:35], v[44:45], v[40:41]
	v_fma_f64 v[40:41], v[4:5], v[0:1], -v[46:47]
	v_fma_f64 v[42:43], v[6:7], v[0:1], v[2:3]
	v_fma_f64 v[26:27], v[26:27], v[30:31], -v[36:37]
	v_fma_f64 v[28:29], v[28:29], v[30:31], v[38:39]
	v_add_f64 v[10:11], v[10:11], v[24:25]
	v_add_f64 v[44:45], v[34:35], v[22:23]
	ds_load_b128 v[0:3], v14 offset:192
	ds_load_b128 v[4:7], v18 offset:6144
	ds_load_b128 v[22:25], v18 offset:6656
	ds_load_b128 v[32:35], v14 offset:208
	s_waitcnt lgkmcnt(2)
	v_mul_f64 v[46:47], v[6:7], v[2:3]
	v_mul_f64 v[2:3], v[4:5], v[2:3]
	s_waitcnt lgkmcnt(0)
	v_mul_f64 v[38:39], v[24:25], v[34:35]
	v_add_f64 v[10:11], v[10:11], v[42:43]
	v_add_f64 v[30:31], v[44:45], v[40:41]
	v_mul_f64 v[40:41], v[22:23], v[34:35]
	v_fma_f64 v[42:43], v[4:5], v[0:1], -v[46:47]
	v_fma_f64 v[44:45], v[6:7], v[0:1], v[2:3]
	v_fma_f64 v[22:23], v[22:23], v[32:33], -v[38:39]
	v_add_f64 v[10:11], v[10:11], v[28:29]
	v_add_f64 v[30:31], v[30:31], v[26:27]
	ds_load_b128 v[0:3], v14 offset:224
	ds_load_b128 v[4:7], v18 offset:7168
	ds_load_b128 v[26:29], v18 offset:7680
	ds_load_b128 v[34:37], v14 offset:240
	;; [unrolled: 54-line block ×4, first 2 shown]
	v_fma_f64 v[24:25], v[24:25], v[32:33], v[40:41]
	s_waitcnt lgkmcnt(2)
	v_mul_f64 v[46:47], v[6:7], v[2:3]
	v_mul_f64 v[2:3], v[4:5], v[2:3]
	s_waitcnt lgkmcnt(0)
	v_mul_f64 v[40:41], v[28:29], v[36:37]
	v_add_f64 v[10:11], v[10:11], v[44:45]
	v_add_f64 v[30:31], v[30:31], v[42:43]
	v_mul_f64 v[42:43], v[26:27], v[36:37]
	v_fma_f64 v[44:45], v[4:5], v[0:1], -v[46:47]
	v_fma_f64 v[46:47], v[6:7], v[0:1], v[2:3]
	ds_load_b128 v[0:3], v14 offset:448
	ds_load_b128 v[4:7], v18 offset:14336
	v_fma_f64 v[26:27], v[26:27], v[34:35], -v[40:41]
	v_add_f64 v[10:11], v[10:11], v[24:25]
	v_add_f64 v[48:49], v[30:31], v[22:23]
	global_load_b128 v[22:25], v[8:9], off
	v_fma_f64 v[28:29], v[28:29], v[34:35], v[42:43]
	s_waitcnt lgkmcnt(0)
	v_mul_f64 v[50:51], v[6:7], v[2:3]
	v_mul_f64 v[2:3], v[4:5], v[2:3]
	ds_load_b128 v[30:33], v18 offset:14848
	ds_load_b128 v[36:39], v14 offset:464
	s_waitcnt lgkmcnt(0)
	v_mul_f64 v[42:43], v[32:33], v[38:39]
	v_add_f64 v[10:11], v[10:11], v[46:47]
	v_add_f64 v[34:35], v[48:49], v[44:45]
	v_mul_f64 v[44:45], v[30:31], v[38:39]
	v_fma_f64 v[46:47], v[4:5], v[0:1], -v[50:51]
	v_fma_f64 v[48:49], v[6:7], v[0:1], v[2:3]
	v_fma_f64 v[30:31], v[30:31], v[36:37], -v[42:43]
	v_add_f64 v[10:11], v[10:11], v[28:29]
	v_add_f64 v[34:35], v[34:35], v[26:27]
	ds_load_b128 v[0:3], v14 offset:480
	ds_load_b128 v[4:7], v18 offset:15360
	;; [unrolled: 1-line block ×4, first 2 shown]
	v_fma_f64 v[32:33], v[32:33], v[36:37], v[44:45]
	s_waitcnt lgkmcnt(2)
	v_mul_f64 v[50:51], v[6:7], v[2:3]
	v_mul_f64 v[2:3], v[4:5], v[2:3]
	s_waitcnt lgkmcnt(0)
	v_mul_f64 v[36:37], v[28:29], v[40:41]
	v_mul_f64 v[40:41], v[26:27], v[40:41]
	v_add_f64 v[10:11], v[10:11], v[48:49]
	v_add_f64 v[34:35], v[34:35], v[46:47]
	v_fma_f64 v[4:5], v[4:5], v[0:1], -v[50:51]
	v_fma_f64 v[0:1], v[6:7], v[0:1], v[2:3]
	s_delay_alu instid0(VALU_DEP_4) | instskip(NEXT) | instid1(VALU_DEP_4)
	v_add_f64 v[2:3], v[10:11], v[32:33]
	v_add_f64 v[6:7], v[34:35], v[30:31]
	v_fma_f64 v[10:11], v[26:27], v[38:39], -v[36:37]
	v_fma_f64 v[26:27], v[28:29], v[38:39], v[40:41]
	s_delay_alu instid0(VALU_DEP_4) | instskip(NEXT) | instid1(VALU_DEP_4)
	v_add_f64 v[0:1], v[2:3], v[0:1]
	v_add_f64 v[2:3], v[6:7], v[4:5]
	s_delay_alu instid0(VALU_DEP_2) | instskip(NEXT) | instid1(VALU_DEP_2)
	v_add_f64 v[0:1], v[0:1], v[26:27]
	v_add_f64 v[2:3], v[2:3], v[10:11]
	s_delay_alu instid0(VALU_DEP_2) | instskip(NEXT) | instid1(VALU_DEP_2)
	v_mul_f64 v[4:5], s[6:7], v[0:1]
	v_mul_f64 v[6:7], s[6:7], v[2:3]
	s_delay_alu instid0(VALU_DEP_2) | instskip(NEXT) | instid1(VALU_DEP_2)
	v_fma_f64 v[2:3], s[4:5], v[2:3], -v[4:5]
	v_fma_f64 v[4:5], s[4:5], v[0:1], v[6:7]
	s_waitcnt vmcnt(0)
	s_delay_alu instid0(VALU_DEP_2) | instskip(NEXT) | instid1(VALU_DEP_2)
	v_add_f64 v[0:1], v[22:23], v[2:3]
	v_add_f64 v[2:3], v[24:25], v[4:5]
	global_store_b128 v[8:9], v[0:3], off
	s_branch .LBB769_4
.LBB769_11:
	s_endpgm
	.section	.rodata,"a",@progbits
	.p2align	6, 0x0
	.amdhsa_kernel _ZL26rocblas_syr2k_her2k_kernelIiLb0ELb0ELb1ELi32EPK19rocblas_complex_numIdEPKS3_PKPS1_EvbiT_T4_T5_S9_lSB_S9_lT6_S9_li
		.amdhsa_group_segment_fixed_size 32768
		.amdhsa_private_segment_fixed_size 0
		.amdhsa_kernarg_size 100
		.amdhsa_user_sgpr_count 13
		.amdhsa_user_sgpr_dispatch_ptr 0
		.amdhsa_user_sgpr_queue_ptr 0
		.amdhsa_user_sgpr_kernarg_segment_ptr 1
		.amdhsa_user_sgpr_dispatch_id 0
		.amdhsa_user_sgpr_private_segment_size 0
		.amdhsa_wavefront_size32 1
		.amdhsa_uses_dynamic_stack 0
		.amdhsa_enable_private_segment 0
		.amdhsa_system_sgpr_workgroup_id_x 1
		.amdhsa_system_sgpr_workgroup_id_y 1
		.amdhsa_system_sgpr_workgroup_id_z 1
		.amdhsa_system_sgpr_workgroup_info 0
		.amdhsa_system_vgpr_workitem_id 1
		.amdhsa_next_free_vgpr 52
		.amdhsa_next_free_sgpr 27
		.amdhsa_reserve_vcc 1
		.amdhsa_float_round_mode_32 0
		.amdhsa_float_round_mode_16_64 0
		.amdhsa_float_denorm_mode_32 3
		.amdhsa_float_denorm_mode_16_64 3
		.amdhsa_dx10_clamp 1
		.amdhsa_ieee_mode 1
		.amdhsa_fp16_overflow 0
		.amdhsa_workgroup_processor_mode 1
		.amdhsa_memory_ordered 1
		.amdhsa_forward_progress 0
		.amdhsa_shared_vgpr_count 0
		.amdhsa_exception_fp_ieee_invalid_op 0
		.amdhsa_exception_fp_denorm_src 0
		.amdhsa_exception_fp_ieee_div_zero 0
		.amdhsa_exception_fp_ieee_overflow 0
		.amdhsa_exception_fp_ieee_underflow 0
		.amdhsa_exception_fp_ieee_inexact 0
		.amdhsa_exception_int_div_zero 0
	.end_amdhsa_kernel
	.section	.text._ZL26rocblas_syr2k_her2k_kernelIiLb0ELb0ELb1ELi32EPK19rocblas_complex_numIdEPKS3_PKPS1_EvbiT_T4_T5_S9_lSB_S9_lT6_S9_li,"axG",@progbits,_ZL26rocblas_syr2k_her2k_kernelIiLb0ELb0ELb1ELi32EPK19rocblas_complex_numIdEPKS3_PKPS1_EvbiT_T4_T5_S9_lSB_S9_lT6_S9_li,comdat
.Lfunc_end769:
	.size	_ZL26rocblas_syr2k_her2k_kernelIiLb0ELb0ELb1ELi32EPK19rocblas_complex_numIdEPKS3_PKPS1_EvbiT_T4_T5_S9_lSB_S9_lT6_S9_li, .Lfunc_end769-_ZL26rocblas_syr2k_her2k_kernelIiLb0ELb0ELb1ELi32EPK19rocblas_complex_numIdEPKS3_PKPS1_EvbiT_T4_T5_S9_lSB_S9_lT6_S9_li
                                        ; -- End function
	.section	.AMDGPU.csdata,"",@progbits
; Kernel info:
; codeLenInByte = 3056
; NumSgprs: 29
; NumVgprs: 52
; ScratchSize: 0
; MemoryBound: 1
; FloatMode: 240
; IeeeMode: 1
; LDSByteSize: 32768 bytes/workgroup (compile time only)
; SGPRBlocks: 3
; VGPRBlocks: 6
; NumSGPRsForWavesPerEU: 29
; NumVGPRsForWavesPerEU: 52
; Occupancy: 16
; WaveLimiterHint : 1
; COMPUTE_PGM_RSRC2:SCRATCH_EN: 0
; COMPUTE_PGM_RSRC2:USER_SGPR: 13
; COMPUTE_PGM_RSRC2:TRAP_HANDLER: 0
; COMPUTE_PGM_RSRC2:TGID_X_EN: 1
; COMPUTE_PGM_RSRC2:TGID_Y_EN: 1
; COMPUTE_PGM_RSRC2:TGID_Z_EN: 1
; COMPUTE_PGM_RSRC2:TIDIG_COMP_CNT: 1
	.section	.text._ZL26rocblas_syr2k_her2k_kernelIiLb0ELb1ELb0ELi32E19rocblas_complex_numIfEPKPKS1_PKPS1_EvbiT_T4_T5_S9_lSB_S9_lT6_S9_li,"axG",@progbits,_ZL26rocblas_syr2k_her2k_kernelIiLb0ELb1ELb0ELi32E19rocblas_complex_numIfEPKPKS1_PKPS1_EvbiT_T4_T5_S9_lSB_S9_lT6_S9_li,comdat
	.globl	_ZL26rocblas_syr2k_her2k_kernelIiLb0ELb1ELb0ELi32E19rocblas_complex_numIfEPKPKS1_PKPS1_EvbiT_T4_T5_S9_lSB_S9_lT6_S9_li ; -- Begin function _ZL26rocblas_syr2k_her2k_kernelIiLb0ELb1ELb0ELi32E19rocblas_complex_numIfEPKPKS1_PKPS1_EvbiT_T4_T5_S9_lSB_S9_lT6_S9_li
	.p2align	8
	.type	_ZL26rocblas_syr2k_her2k_kernelIiLb0ELb1ELb0ELi32E19rocblas_complex_numIfEPKPKS1_PKPS1_EvbiT_T4_T5_S9_lSB_S9_lT6_S9_li,@function
_ZL26rocblas_syr2k_her2k_kernelIiLb0ELb1ELb0ELi32E19rocblas_complex_numIfEPKPKS1_PKPS1_EvbiT_T4_T5_S9_lSB_S9_lT6_S9_li: ; @_ZL26rocblas_syr2k_her2k_kernelIiLb0ELb1ELb0ELi32E19rocblas_complex_numIfEPKPKS1_PKPS1_EvbiT_T4_T5_S9_lSB_S9_lT6_S9_li
; %bb.0:
	s_clause 0x1
	s_load_b128 s[4:7], s[0:1], 0x0
	s_load_b32 s3, s[0:1], 0x10
	s_waitcnt lgkmcnt(0)
	v_cmp_eq_f32_e64 s2, s7, 0
	v_cmp_eq_f32_e64 s8, s3, 0
	s_delay_alu instid0(VALU_DEP_1) | instskip(NEXT) | instid1(SALU_CYCLE_1)
	s_and_b32 s2, s2, s8
	s_and_b32 vcc_lo, exec_lo, s2
	s_cbranch_vccnz .LBB770_13
; %bb.1:
	s_and_b32 s2, 1, s4
	s_lshl_b32 s12, s14, 5
	s_lshl_b32 s13, s13, 5
	s_cmp_eq_u32 s2, 1
	s_cselect_b32 s2, -1, 0
	s_delay_alu instid0(SALU_CYCLE_1) | instskip(SKIP_2) | instid1(SALU_CYCLE_1)
	s_and_b32 s4, s2, exec_lo
	s_cselect_b32 s4, s13, s12
	s_cselect_b32 s8, s12, s13
	s_cmp_gt_i32 s4, s8
	s_cbranch_scc1 .LBB770_13
; %bb.2:
	s_clause 0x1
	s_load_b128 s[8:11], s[0:1], 0x40
	s_load_b32 s4, s[0:1], 0x50
	s_mov_b32 s16, s15
	s_mov_b32 s17, 0
	s_load_b64 s[14:15], s[0:1], 0x58
	s_lshl_b64 s[18:19], s[16:17], 3
	v_and_b32_e32 v9, 0x3ff, v0
	v_bfe_u32 v10, v0, 10, 10
	s_delay_alu instid0(VALU_DEP_2) | instskip(NEXT) | instid1(VALU_DEP_2)
	v_add_nc_u32_e32 v0, s13, v9
	v_add_nc_u32_e32 v2, s12, v10
	s_delay_alu instid0(VALU_DEP_2)
	v_cmp_gt_i32_e32 vcc_lo, s5, v0
	v_ashrrev_i32_e32 v1, 31, v0
	s_waitcnt lgkmcnt(0)
	s_add_u32 s10, s10, s18
	s_addc_u32 s11, s11, s19
	s_load_b64 s[10:11], s[10:11], 0x0
	s_lshl_b64 s[12:13], s[14:15], 3
	s_waitcnt lgkmcnt(0)
	s_add_u32 s10, s10, s12
	s_addc_u32 s11, s11, s13
	s_cmp_lt_i32 s6, 1
	s_cbranch_scc1 .LBB770_11
; %bb.3:
	s_clause 0x3
	s_load_b64 s[22:23], s[0:1], 0x18
	s_load_b128 s[12:15], s[0:1], 0x28
	s_load_b32 s16, s[0:1], 0x20
	s_load_b32 s20, s[0:1], 0x38
	v_mad_i64_i32 v[7:8], null, s4, v2, 0
	v_cndmask_b32_e64 v4, v0, v2, s2
	v_cndmask_b32_e64 v14, v2, v0, s2
	v_ashrrev_i32_e32 v3, 31, v2
	v_lshlrev_b64 v[5:6], 3, v[0:1]
	v_lshlrev_b32_e32 v13, 3, v10
	v_lshlrev_b32_e32 v11, 8, v9
	v_cmp_le_i32_e64 s1, v14, v4
	v_lshlrev_b64 v[19:20], 3, v[2:3]
	v_lshlrev_b64 v[3:4], 3, v[7:8]
	v_or_b32_e32 v12, 0x2000, v13
	v_cmp_gt_i32_e64 s0, s5, v2
	v_add_nc_u32_e32 v13, v11, v13
	s_delay_alu instid0(VALU_DEP_4)
	v_add_co_u32 v3, s2, s10, v3
	s_waitcnt lgkmcnt(0)
	s_add_u32 s22, s22, s18
	s_addc_u32 s23, s23, s19
	s_add_u32 s14, s14, s18
	s_load_b64 s[22:23], s[22:23], 0x0
	s_addc_u32 s15, s15, s19
	v_add_co_ci_u32_e64 v4, s2, s11, v4, s2
	s_load_b64 s[14:15], s[14:15], 0x0
	s_lshl_b64 s[12:13], s[12:13], 3
	v_add_co_u32 v3, s2, v3, v5
	s_delay_alu instid0(VALU_DEP_1)
	v_add_co_ci_u32_e64 v4, s2, v4, v6, s2
	v_add_nc_u32_e32 v14, v12, v11
	v_add_nc_u32_e32 v15, 0x800, v12
	v_add_nc_u32_e32 v16, 0x1000, v12
	v_add_nc_u32_e32 v21, 0x1800, v12
	s_waitcnt lgkmcnt(0)
	s_add_u32 s12, s22, s12
	s_addc_u32 s13, s23, s13
	s_lshl_b64 s[8:9], s[8:9], 3
	v_add_co_u32 v17, s2, s12, v5
	s_add_u32 s8, s14, s8
	v_add_co_ci_u32_e64 v18, s2, s13, v6, s2
	s_addc_u32 s9, s15, s9
	v_add_co_u32 v19, s2, s8, v19
	s_delay_alu instid0(VALU_DEP_1) | instskip(SKIP_1) | instid1(SALU_CYCLE_1)
	v_add_co_ci_u32_e64 v20, s2, s9, v20, s2
	s_and_b32 s2, s0, vcc_lo
	s_and_b32 s2, s2, s1
	s_branch .LBB770_5
.LBB770_4:                              ;   in Loop: Header=BB770_5 Depth=1
	s_or_b32 exec_lo, exec_lo, s1
	s_add_i32 s17, s17, 32
	s_waitcnt_vscnt null, 0x0
	s_cmp_ge_i32 s17, s6
	s_barrier
	buffer_gl0_inv
	s_cbranch_scc1 .LBB770_11
.LBB770_5:                              ; =>This Inner Loop Header: Depth=1
	v_dual_mov_b32 v5, 0 :: v_dual_add_nc_u32 v6, s17, v10
	v_dual_mov_b32 v7, 0 :: v_dual_mov_b32 v8, 0
	s_delay_alu instid0(VALU_DEP_2) | instskip(NEXT) | instid1(VALU_DEP_1)
	v_cmp_gt_i32_e64 s1, s6, v6
	s_and_b32 s1, vcc_lo, s1
	s_delay_alu instid0(SALU_CYCLE_1)
	s_and_saveexec_b32 s8, s1
	s_cbranch_execz .LBB770_7
; %bb.6:                                ;   in Loop: Header=BB770_5 Depth=1
	v_mad_i64_i32 v[7:8], null, v6, s16, 0
	s_delay_alu instid0(VALU_DEP_1) | instskip(NEXT) | instid1(VALU_DEP_1)
	v_lshlrev_b64 v[6:7], 3, v[7:8]
	v_add_co_u32 v6, s1, v17, v6
	s_delay_alu instid0(VALU_DEP_1)
	v_add_co_ci_u32_e64 v7, s1, v18, v7, s1
	global_load_b64 v[7:8], v[6:7], off
.LBB770_7:                              ;   in Loop: Header=BB770_5 Depth=1
	s_or_b32 exec_lo, exec_lo, s8
	v_add_nc_u32_e32 v22, s17, v9
	v_mov_b32_e32 v6, 0
	s_waitcnt vmcnt(0)
	ds_store_b64 v13, v[7:8]
	v_cmp_gt_i32_e64 s1, s6, v22
	s_delay_alu instid0(VALU_DEP_1) | instskip(NEXT) | instid1(SALU_CYCLE_1)
	s_and_b32 s1, s0, s1
	s_and_saveexec_b32 s8, s1
	s_cbranch_execz .LBB770_9
; %bb.8:                                ;   in Loop: Header=BB770_5 Depth=1
	v_mad_i64_i32 v[5:6], null, v22, s20, 0
	s_delay_alu instid0(VALU_DEP_1) | instskip(NEXT) | instid1(VALU_DEP_1)
	v_lshlrev_b64 v[5:6], 3, v[5:6]
	v_add_co_u32 v5, s1, v19, v5
	s_delay_alu instid0(VALU_DEP_1)
	v_add_co_ci_u32_e64 v6, s1, v20, v6, s1
	global_load_b64 v[5:6], v[5:6], off
	s_waitcnt vmcnt(0)
	v_xor_b32_e32 v6, 0x80000000, v6
.LBB770_9:                              ;   in Loop: Header=BB770_5 Depth=1
	s_or_b32 exec_lo, exec_lo, s8
	ds_store_b64 v14, v[5:6]
	s_waitcnt lgkmcnt(0)
	s_barrier
	buffer_gl0_inv
	s_and_saveexec_b32 s1, s2
	s_cbranch_execz .LBB770_4
; %bb.10:                               ;   in Loop: Header=BB770_5 Depth=1
	global_load_b64 v[5:6], v[3:4], off
	ds_load_2addr_b64 v[22:25], v12 offset1:32
	ds_load_b128 v[26:29], v11
	ds_load_b128 v[30:33], v11 offset:16
	ds_load_b128 v[34:37], v11 offset:32
	;; [unrolled: 1-line block ×3, first 2 shown]
	ds_load_2addr_b64 v[42:45], v12 offset0:64 offset1:96
	ds_load_2addr_b64 v[46:49], v12 offset0:128 offset1:160
	;; [unrolled: 1-line block ×3, first 2 shown]
	ds_load_2addr_b64 v[54:57], v15 offset1:32
	ds_load_b128 v[58:61], v11 offset:64
	ds_load_b128 v[62:65], v11 offset:80
	ds_load_2addr_b64 v[66:69], v15 offset0:64 offset1:96
	ds_load_2addr_b64 v[70:73], v15 offset0:128 offset1:160
	ds_load_b128 v[74:77], v11 offset:96
	ds_load_b128 v[78:81], v11 offset:112
	ds_load_2addr_b64 v[82:85], v15 offset0:192 offset1:224
	ds_load_2addr_b64 v[86:89], v16 offset1:32
	ds_load_b128 v[90:93], v11 offset:128
	ds_load_b128 v[94:97], v11 offset:144
	s_waitcnt lgkmcnt(17)
	v_mul_f32_e32 v8, v22, v27
	v_dual_mul_f32 v7, v23, v27 :: v_dual_mul_f32 v98, v24, v29
	v_mul_f32_e32 v27, v25, v29
	s_waitcnt lgkmcnt(13)
	s_delay_alu instid0(VALU_DEP_3) | instskip(NEXT) | instid1(VALU_DEP_3)
	v_dual_mul_f32 v101, v44, v33 :: v_dual_fmac_f32 v8, v23, v26
	v_fma_f32 v7, v22, v26, -v7
	v_fmac_f32_e32 v98, v25, v28
	v_fma_f32 v99, v24, v28, -v27
	v_mul_f32_e32 v26, v43, v31
	v_dual_mul_f32 v100, v42, v31 :: v_dual_fmac_f32 v101, v45, v32
	v_mul_f32_e32 v27, v45, v33
	s_waitcnt lgkmcnt(12)
	v_dual_mul_f32 v31, v47, v35 :: v_dual_add_f32 v8, 0, v8
	v_dual_mul_f32 v102, v46, v35 :: v_dual_mul_f32 v105, v48, v37
	s_waitcnt lgkmcnt(11)
	v_dual_fmac_f32 v100, v43, v30 :: v_dual_mul_f32 v107, v50, v39
	s_delay_alu instid0(VALU_DEP_3) | instskip(NEXT) | instid1(VALU_DEP_3)
	v_dual_add_f32 v8, v8, v98 :: v_dual_add_f32 v7, 0, v7
	v_fmac_f32_e32 v102, v47, v34
	s_delay_alu instid0(VALU_DEP_3) | instskip(SKIP_3) | instid1(VALU_DEP_4)
	v_dual_mul_f32 v98, v52, v41 :: v_dual_fmac_f32 v107, v51, v38
	v_mul_f32_e32 v33, v49, v37
	v_fma_f32 v103, v42, v30, -v26
	v_fmac_f32_e32 v105, v49, v36
	v_dual_fmac_f32 v98, v53, v40 :: v_dual_add_f32 v7, v7, v99
	s_waitcnt lgkmcnt(9)
	v_dual_add_f32 v8, v8, v100 :: v_dual_mul_f32 v47, v55, v59
	v_fma_f32 v104, v44, v32, -v27
	v_fma_f32 v46, v46, v34, -v31
	s_delay_alu instid0(VALU_DEP_3) | instskip(SKIP_3) | instid1(VALU_DEP_3)
	v_dual_add_f32 v7, v7, v103 :: v_dual_add_f32 v8, v8, v101
	v_dual_mul_f32 v99, v54, v59 :: v_dual_mul_f32 v100, v56, v61
	s_waitcnt lgkmcnt(7)
	v_mul_f32_e32 v59, v67, v63
	v_dual_add_f32 v7, v7, v104 :: v_dual_add_f32 v8, v8, v102
	s_delay_alu instid0(VALU_DEP_3) | instskip(SKIP_1) | instid1(VALU_DEP_3)
	v_dual_mul_f32 v101, v66, v63 :: v_dual_fmac_f32 v100, v57, v60
	v_fma_f32 v106, v48, v36, -v33
	v_dual_add_f32 v7, v7, v46 :: v_dual_add_f32 v8, v8, v105
	v_dual_mul_f32 v42, v51, v39 :: v_dual_mul_f32 v39, v53, v41
	v_mul_f32_e32 v103, v68, v65
	s_delay_alu instid0(VALU_DEP_3) | instskip(NEXT) | instid1(VALU_DEP_3)
	v_dual_fmac_f32 v101, v67, v62 :: v_dual_add_f32 v8, v8, v107
	v_fma_f32 v108, v50, v38, -v42
	v_mul_f32_e32 v48, v57, v61
	v_fma_f32 v63, v54, v58, -v47
	v_dual_fmac_f32 v99, v55, v58 :: v_dual_mul_f32 v54, v69, v65
	v_fma_f32 v104, v66, v62, -v59
	v_add_f32_e32 v7, v7, v106
	s_waitcnt lgkmcnt(5)
	v_dual_mul_f32 v62, v71, v75 :: v_dual_fmac_f32 v103, v69, v64
	v_add_f32_e32 v8, v8, v98
	v_fma_f32 v109, v52, v40, -v39
	v_fma_f32 v105, v68, v64, -v54
	v_dual_mul_f32 v64, v73, v77 :: v_dual_add_f32 v7, v7, v108
	s_delay_alu instid0(VALU_DEP_4)
	v_add_f32_e32 v8, v8, v99
	ds_load_2addr_b64 v[22:25], v16 offset0:64 offset1:96
	s_waitcnt lgkmcnt(4)
	v_dual_mul_f32 v77, v72, v77 :: v_dual_mul_f32 v98, v83, v79
	v_dual_add_f32 v7, v7, v109 :: v_dual_add_f32 v8, v8, v100
	v_fma_f32 v102, v56, v60, -v48
	v_mul_f32_e32 v75, v70, v75
	v_mul_f32_e32 v79, v82, v79
	v_fma_f32 v99, v70, v74, -v62
	v_dual_fmac_f32 v77, v73, v76 :: v_dual_add_f32 v8, v8, v101
	v_dual_mul_f32 v70, v85, v81 :: v_dual_add_f32 v7, v7, v63
	v_fmac_f32_e32 v75, v71, v74
	v_fma_f32 v74, v72, v76, -v64
	v_mul_f32_e32 v76, v84, v81
	v_fma_f32 v81, v82, v78, -v98
	s_waitcnt lgkmcnt(2)
	v_dual_fmac_f32 v79, v83, v78 :: v_dual_mul_f32 v82, v86, v91
	v_fma_f32 v78, v84, v80, -v70
	v_add_f32_e32 v8, v8, v103
	v_dual_mul_f32 v84, v89, v93 :: v_dual_add_f32 v7, v7, v102
	ds_load_2addr_b64 v[26:29], v16 offset0:128 offset1:160
	v_fmac_f32_e32 v76, v85, v80
	v_add_f32_e32 v8, v8, v75
	ds_load_b128 v[30:33], v11 offset:160
	ds_load_b128 v[34:37], v11 offset:176
	v_add_f32_e32 v7, v7, v104
	s_waitcnt lgkmcnt(3)
	v_mul_f32_e32 v85, v23, v95
	v_dual_mul_f32 v80, v87, v91 :: v_dual_mul_f32 v83, v88, v93
	v_add_f32_e32 v8, v8, v77
	v_add_f32_e32 v7, v7, v105
	v_dual_mul_f32 v91, v22, v95 :: v_dual_fmac_f32 v82, v87, v90
	ds_load_2addr_b64 v[38:41], v16 offset0:192 offset1:224
	v_add_f32_e32 v8, v8, v79
	v_add_f32_e32 v7, v7, v99
	ds_load_2addr_b64 v[42:45], v21 offset1:32
	ds_load_b128 v[46:49], v11 offset:192
	ds_load_b128 v[50:53], v11 offset:208
	ds_load_2addr_b64 v[54:57], v21 offset0:64 offset1:96
	v_add_f32_e32 v8, v8, v76
	v_fmac_f32_e32 v83, v89, v92
	v_fmac_f32_e32 v91, v23, v94
	v_fma_f32 v79, v86, v90, -v80
	s_waitcnt lgkmcnt(6)
	v_mul_f32_e32 v95, v27, v31
	v_dual_mul_f32 v31, v26, v31 :: v_dual_add_f32 v8, v8, v82
	v_mul_f32_e32 v77, v29, v33
	v_fma_f32 v80, v88, v92, -v84
	v_mul_f32_e32 v75, v25, v97
	s_delay_alu instid0(VALU_DEP_4)
	v_dual_fmac_f32 v31, v27, v30 :: v_dual_add_f32 v8, v8, v83
	v_add_f32_e32 v7, v7, v74
	v_mul_f32_e32 v93, v24, v97
	v_fma_f32 v22, v22, v94, -v85
	ds_load_2addr_b64 v[58:61], v21 offset0:128 offset1:160
	v_dual_add_f32 v8, v8, v91 :: v_dual_add_f32 v7, v7, v81
	ds_load_b128 v[62:65], v11 offset:224
	ds_load_b128 v[66:69], v11 offset:240
	ds_load_2addr_b64 v[70:73], v21 offset0:192 offset1:224
	s_waitcnt lgkmcnt(8)
	v_mul_f32_e32 v74, v39, v35
	v_fma_f32 v24, v24, v96, -v75
	v_add_f32_e32 v7, v7, v78
	s_waitcnt lgkmcnt(6)
	v_dual_mul_f32 v78, v43, v47 :: v_dual_fmac_f32 v93, v25, v96
	v_mul_f32_e32 v33, v28, v33
	v_mul_f32_e32 v35, v38, v35
	v_dual_add_f32 v7, v7, v79 :: v_dual_mul_f32 v76, v41, v37
	s_delay_alu instid0(VALU_DEP_4) | instskip(SKIP_2) | instid1(VALU_DEP_4)
	v_add_f32_e32 v8, v8, v93
	v_fma_f32 v26, v26, v30, -v95
	v_fma_f32 v27, v28, v32, -v77
	v_add_f32_e32 v7, v7, v80
	v_mul_f32_e32 v37, v40, v37
	v_dual_add_f32 v8, v8, v31 :: v_dual_fmac_f32 v35, v39, v34
	v_fma_f32 v28, v38, v34, -v74
	s_waitcnt lgkmcnt(4)
	v_dual_add_f32 v7, v7, v22 :: v_dual_mul_f32 v22, v54, v51
	v_fmac_f32_e32 v33, v29, v32
	v_mul_f32_e32 v47, v42, v47
	v_mul_f32_e32 v23, v44, v49
	s_delay_alu instid0(VALU_DEP_4)
	v_add_f32_e32 v7, v7, v24
	v_fma_f32 v29, v40, v36, -v76
	v_add_f32_e32 v8, v8, v33
	v_mul_f32_e32 v81, v45, v49
	v_fmac_f32_e32 v47, v43, v46
	v_add_f32_e32 v7, v7, v26
	v_fmac_f32_e32 v22, v55, v50
	v_dual_add_f32 v8, v8, v35 :: v_dual_fmac_f32 v23, v45, v48
	s_delay_alu instid0(VALU_DEP_3) | instskip(SKIP_3) | instid1(VALU_DEP_4)
	v_dual_mul_f32 v26, v56, v53 :: v_dual_add_f32 v7, v7, v27
	v_fma_f32 v30, v42, v46, -v78
	v_fma_f32 v31, v44, v48, -v81
	v_mul_f32_e32 v24, v57, v53
	v_fmac_f32_e32 v26, v57, v52
	s_waitcnt lgkmcnt(2)
	v_dual_add_f32 v7, v7, v28 :: v_dual_mul_f32 v28, v58, v63
	v_fmac_f32_e32 v37, v41, v36
	v_fma_f32 v24, v56, v52, -v24
	s_delay_alu instid0(VALU_DEP_3) | instskip(NEXT) | instid1(VALU_DEP_4)
	v_add_f32_e32 v7, v7, v29
	v_fmac_f32_e32 v28, v59, v62
	s_delay_alu instid0(VALU_DEP_4) | instskip(SKIP_1) | instid1(VALU_DEP_2)
	v_add_f32_e32 v8, v8, v37
	v_mul_f32_e32 v29, v61, v65
	v_dual_add_f32 v7, v7, v30 :: v_dual_add_f32 v8, v8, v47
	s_delay_alu instid0(VALU_DEP_1) | instskip(NEXT) | instid1(VALU_DEP_2)
	v_add_f32_e32 v7, v7, v31
	v_add_f32_e32 v8, v8, v23
	v_mul_f32_e32 v25, v55, v51
	v_mul_f32_e32 v23, v60, v65
	s_delay_alu instid0(VALU_DEP_3) | instskip(NEXT) | instid1(VALU_DEP_3)
	v_add_f32_e32 v8, v8, v22
	v_fma_f32 v25, v54, v50, -v25
	s_waitcnt lgkmcnt(0)
	s_delay_alu instid0(VALU_DEP_3) | instskip(NEXT) | instid1(VALU_DEP_2)
	v_dual_fmac_f32 v23, v61, v64 :: v_dual_mul_f32 v22, v71, v67
	v_dual_add_f32 v8, v8, v26 :: v_dual_add_f32 v7, v7, v25
	v_mul_f32_e32 v25, v70, v67
	s_delay_alu instid0(VALU_DEP_3) | instskip(NEXT) | instid1(VALU_DEP_3)
	v_fma_f32 v22, v70, v66, -v22
	v_add_f32_e32 v8, v8, v28
	s_delay_alu instid0(VALU_DEP_4) | instskip(NEXT) | instid1(VALU_DEP_2)
	v_dual_add_f32 v7, v7, v24 :: v_dual_mul_f32 v24, v72, v69
	v_dual_fmac_f32 v25, v71, v66 :: v_dual_add_f32 v8, v8, v23
	v_mul_f32_e32 v23, v73, v69
	s_delay_alu instid0(VALU_DEP_3) | instskip(NEXT) | instid1(VALU_DEP_3)
	v_fmac_f32_e32 v24, v73, v68
	v_dual_add_f32 v8, v8, v25 :: v_dual_mul_f32 v27, v59, v63
	s_delay_alu instid0(VALU_DEP_3) | instskip(NEXT) | instid1(VALU_DEP_2)
	v_fma_f32 v23, v72, v68, -v23
	v_add_f32_e32 v8, v8, v24
	s_delay_alu instid0(VALU_DEP_3) | instskip(SKIP_1) | instid1(VALU_DEP_2)
	v_fma_f32 v26, v58, v62, -v27
	v_fma_f32 v27, v60, v64, -v29
	v_add_f32_e32 v7, v7, v26
	s_delay_alu instid0(VALU_DEP_1) | instskip(NEXT) | instid1(VALU_DEP_1)
	v_add_f32_e32 v7, v7, v27
	v_dual_add_f32 v7, v7, v22 :: v_dual_mul_f32 v22, s3, v8
	s_delay_alu instid0(VALU_DEP_1) | instskip(NEXT) | instid1(VALU_DEP_1)
	v_dual_mul_f32 v8, s7, v8 :: v_dual_add_f32 v7, v7, v23
	v_fma_f32 v22, s7, v7, -v22
	s_waitcnt vmcnt(0)
	s_delay_alu instid0(VALU_DEP_1) | instskip(NEXT) | instid1(VALU_DEP_1)
	v_dual_fmac_f32 v8, s3, v7 :: v_dual_add_f32 v5, v5, v22
	v_add_f32_e32 v6, v6, v8
	global_store_b64 v[3:4], v[5:6], off
	s_branch .LBB770_4
.LBB770_11:
	v_cmp_eq_u32_e32 vcc_lo, v0, v2
	v_cmp_gt_i32_e64 s0, s5, v0
	s_delay_alu instid0(VALU_DEP_1) | instskip(NEXT) | instid1(SALU_CYCLE_1)
	s_and_b32 s0, vcc_lo, s0
	s_and_saveexec_b32 s1, s0
	s_cbranch_execz .LBB770_13
; %bb.12:
	v_mad_i64_i32 v[2:3], null, s4, v0, 0
	v_lshlrev_b64 v[0:1], 3, v[0:1]
	s_delay_alu instid0(VALU_DEP_2) | instskip(NEXT) | instid1(VALU_DEP_1)
	v_lshlrev_b64 v[2:3], 3, v[2:3]
	v_add_co_u32 v2, vcc_lo, s10, v2
	s_delay_alu instid0(VALU_DEP_2) | instskip(NEXT) | instid1(VALU_DEP_2)
	v_add_co_ci_u32_e32 v3, vcc_lo, s11, v3, vcc_lo
	v_add_co_u32 v0, vcc_lo, v2, v0
	s_delay_alu instid0(VALU_DEP_2)
	v_add_co_ci_u32_e32 v1, vcc_lo, v3, v1, vcc_lo
	v_mov_b32_e32 v2, 0
	global_store_b32 v[0:1], v2, off offset:4
.LBB770_13:
	s_nop 0
	s_sendmsg sendmsg(MSG_DEALLOC_VGPRS)
	s_endpgm
	.section	.rodata,"a",@progbits
	.p2align	6, 0x0
	.amdhsa_kernel _ZL26rocblas_syr2k_her2k_kernelIiLb0ELb1ELb0ELi32E19rocblas_complex_numIfEPKPKS1_PKPS1_EvbiT_T4_T5_S9_lSB_S9_lT6_S9_li
		.amdhsa_group_segment_fixed_size 16384
		.amdhsa_private_segment_fixed_size 0
		.amdhsa_kernarg_size 100
		.amdhsa_user_sgpr_count 13
		.amdhsa_user_sgpr_dispatch_ptr 0
		.amdhsa_user_sgpr_queue_ptr 0
		.amdhsa_user_sgpr_kernarg_segment_ptr 1
		.amdhsa_user_sgpr_dispatch_id 0
		.amdhsa_user_sgpr_private_segment_size 0
		.amdhsa_wavefront_size32 1
		.amdhsa_uses_dynamic_stack 0
		.amdhsa_enable_private_segment 0
		.amdhsa_system_sgpr_workgroup_id_x 1
		.amdhsa_system_sgpr_workgroup_id_y 1
		.amdhsa_system_sgpr_workgroup_id_z 1
		.amdhsa_system_sgpr_workgroup_info 0
		.amdhsa_system_vgpr_workitem_id 1
		.amdhsa_next_free_vgpr 110
		.amdhsa_next_free_sgpr 24
		.amdhsa_reserve_vcc 1
		.amdhsa_float_round_mode_32 0
		.amdhsa_float_round_mode_16_64 0
		.amdhsa_float_denorm_mode_32 3
		.amdhsa_float_denorm_mode_16_64 3
		.amdhsa_dx10_clamp 1
		.amdhsa_ieee_mode 1
		.amdhsa_fp16_overflow 0
		.amdhsa_workgroup_processor_mode 1
		.amdhsa_memory_ordered 1
		.amdhsa_forward_progress 0
		.amdhsa_shared_vgpr_count 0
		.amdhsa_exception_fp_ieee_invalid_op 0
		.amdhsa_exception_fp_denorm_src 0
		.amdhsa_exception_fp_ieee_div_zero 0
		.amdhsa_exception_fp_ieee_overflow 0
		.amdhsa_exception_fp_ieee_underflow 0
		.amdhsa_exception_fp_ieee_inexact 0
		.amdhsa_exception_int_div_zero 0
	.end_amdhsa_kernel
	.section	.text._ZL26rocblas_syr2k_her2k_kernelIiLb0ELb1ELb0ELi32E19rocblas_complex_numIfEPKPKS1_PKPS1_EvbiT_T4_T5_S9_lSB_S9_lT6_S9_li,"axG",@progbits,_ZL26rocblas_syr2k_her2k_kernelIiLb0ELb1ELb0ELi32E19rocblas_complex_numIfEPKPKS1_PKPS1_EvbiT_T4_T5_S9_lSB_S9_lT6_S9_li,comdat
.Lfunc_end770:
	.size	_ZL26rocblas_syr2k_her2k_kernelIiLb0ELb1ELb0ELi32E19rocblas_complex_numIfEPKPKS1_PKPS1_EvbiT_T4_T5_S9_lSB_S9_lT6_S9_li, .Lfunc_end770-_ZL26rocblas_syr2k_her2k_kernelIiLb0ELb1ELb0ELi32E19rocblas_complex_numIfEPKPKS1_PKPS1_EvbiT_T4_T5_S9_lSB_S9_lT6_S9_li
                                        ; -- End function
	.section	.AMDGPU.csdata,"",@progbits
; Kernel info:
; codeLenInByte = 2272
; NumSgprs: 26
; NumVgprs: 110
; ScratchSize: 0
; MemoryBound: 0
; FloatMode: 240
; IeeeMode: 1
; LDSByteSize: 16384 bytes/workgroup (compile time only)
; SGPRBlocks: 3
; VGPRBlocks: 13
; NumSGPRsForWavesPerEU: 26
; NumVGPRsForWavesPerEU: 110
; Occupancy: 12
; WaveLimiterHint : 1
; COMPUTE_PGM_RSRC2:SCRATCH_EN: 0
; COMPUTE_PGM_RSRC2:USER_SGPR: 13
; COMPUTE_PGM_RSRC2:TRAP_HANDLER: 0
; COMPUTE_PGM_RSRC2:TGID_X_EN: 1
; COMPUTE_PGM_RSRC2:TGID_Y_EN: 1
; COMPUTE_PGM_RSRC2:TGID_Z_EN: 1
; COMPUTE_PGM_RSRC2:TIDIG_COMP_CNT: 1
	.section	.text._ZL26rocblas_syr2k_her2k_kernelIiLb0ELb1ELb1ELi32E19rocblas_complex_numIfEPKPKS1_PKPS1_EvbiT_T4_T5_S9_lSB_S9_lT6_S9_li,"axG",@progbits,_ZL26rocblas_syr2k_her2k_kernelIiLb0ELb1ELb1ELi32E19rocblas_complex_numIfEPKPKS1_PKPS1_EvbiT_T4_T5_S9_lSB_S9_lT6_S9_li,comdat
	.globl	_ZL26rocblas_syr2k_her2k_kernelIiLb0ELb1ELb1ELi32E19rocblas_complex_numIfEPKPKS1_PKPS1_EvbiT_T4_T5_S9_lSB_S9_lT6_S9_li ; -- Begin function _ZL26rocblas_syr2k_her2k_kernelIiLb0ELb1ELb1ELi32E19rocblas_complex_numIfEPKPKS1_PKPS1_EvbiT_T4_T5_S9_lSB_S9_lT6_S9_li
	.p2align	8
	.type	_ZL26rocblas_syr2k_her2k_kernelIiLb0ELb1ELb1ELi32E19rocblas_complex_numIfEPKPKS1_PKPS1_EvbiT_T4_T5_S9_lSB_S9_lT6_S9_li,@function
_ZL26rocblas_syr2k_her2k_kernelIiLb0ELb1ELb1ELi32E19rocblas_complex_numIfEPKPKS1_PKPS1_EvbiT_T4_T5_S9_lSB_S9_lT6_S9_li: ; @_ZL26rocblas_syr2k_her2k_kernelIiLb0ELb1ELb1ELi32E19rocblas_complex_numIfEPKPKS1_PKPS1_EvbiT_T4_T5_S9_lSB_S9_lT6_S9_li
; %bb.0:
	s_clause 0x1
	s_load_b128 s[4:7], s[0:1], 0x0
	s_load_b32 s3, s[0:1], 0x10
	s_waitcnt lgkmcnt(0)
	v_cmp_eq_f32_e64 s2, s7, 0
	v_cmp_eq_f32_e64 s8, s3, 0
	s_delay_alu instid0(VALU_DEP_1) | instskip(NEXT) | instid1(SALU_CYCLE_1)
	s_and_b32 s2, s2, s8
	s_and_b32 vcc_lo, exec_lo, s2
	s_cbranch_vccnz .LBB771_13
; %bb.1:
	s_and_b32 s2, 1, s4
	s_lshl_b32 s12, s14, 5
	s_lshl_b32 s13, s13, 5
	s_cmp_eq_u32 s2, 1
	s_cselect_b32 s2, -1, 0
	s_delay_alu instid0(SALU_CYCLE_1) | instskip(SKIP_2) | instid1(SALU_CYCLE_1)
	s_and_b32 s4, s2, exec_lo
	s_cselect_b32 s4, s13, s12
	s_cselect_b32 s8, s12, s13
	s_cmp_gt_i32 s4, s8
	s_cbranch_scc1 .LBB771_13
; %bb.2:
	s_clause 0x1
	s_load_b128 s[8:11], s[0:1], 0x40
	s_load_b32 s4, s[0:1], 0x50
	s_mov_b32 s16, s15
	s_mov_b32 s17, 0
	s_load_b64 s[14:15], s[0:1], 0x58
	s_lshl_b64 s[18:19], s[16:17], 3
	v_and_b32_e32 v10, 0x3ff, v0
	v_bfe_u32 v11, v0, 10, 10
	s_delay_alu instid0(VALU_DEP_2) | instskip(NEXT) | instid1(VALU_DEP_2)
	v_add_nc_u32_e32 v0, s13, v10
	v_add_nc_u32_e32 v12, s12, v11
	s_delay_alu instid0(VALU_DEP_2)
	v_cmp_gt_i32_e32 vcc_lo, s5, v0
	v_ashrrev_i32_e32 v1, 31, v0
	s_waitcnt lgkmcnt(0)
	s_add_u32 s10, s10, s18
	s_addc_u32 s11, s11, s19
	s_load_b64 s[10:11], s[10:11], 0x0
	s_lshl_b64 s[12:13], s[14:15], 3
	s_waitcnt lgkmcnt(0)
	s_add_u32 s10, s10, s12
	s_addc_u32 s11, s11, s13
	s_cmp_lt_i32 s6, 1
	s_cbranch_scc1 .LBB771_11
; %bb.3:
	s_clause 0x3
	s_load_b64 s[20:21], s[0:1], 0x18
	s_load_b128 s[12:15], s[0:1], 0x28
	s_load_b32 s16, s[0:1], 0x20
	s_load_b32 s22, s[0:1], 0x38
	v_mad_i64_i32 v[2:3], null, s4, v12, 0
	v_cndmask_b32_e64 v6, v0, v12, s2
	v_cndmask_b32_e64 v7, v12, v0, s2
	v_lshlrev_b32_e32 v8, 3, v11
	v_lshlrev_b32_e32 v13, 8, v10
	v_lshlrev_b64 v[4:5], 3, v[0:1]
	v_cmp_gt_i32_e64 s0, s5, v12
	v_cmp_le_i32_e64 s1, v7, v6
	v_lshlrev_b64 v[2:3], 3, v[2:3]
	v_or_b32_e32 v14, 0x2000, v8
	v_add_nc_u32_e32 v15, v13, v8
	s_delay_alu instid0(VALU_DEP_2)
	v_add_nc_u32_e32 v16, v14, v13
	s_waitcnt lgkmcnt(0)
	s_add_u32 s20, s20, s18
	s_addc_u32 s21, s21, s19
	s_add_u32 s14, s14, s18
	s_load_b64 s[20:21], s[20:21], 0x0
	s_addc_u32 s15, s15, s19
	v_mad_i64_i32 v[6:7], null, s16, v0, 0
	s_load_b64 s[14:15], s[14:15], 0x0
	v_mad_i64_i32 v[8:9], null, s22, v12, 0
	v_add_co_u32 v21, s2, s10, v2
	s_delay_alu instid0(VALU_DEP_1) | instskip(NEXT) | instid1(VALU_DEP_4)
	v_add_co_ci_u32_e64 v22, s2, s11, v3, s2
	v_lshlrev_b64 v[2:3], 3, v[6:7]
	s_lshl_b64 s[12:13], s[12:13], 3
	s_delay_alu instid0(VALU_DEP_4)
	v_lshlrev_b64 v[6:7], 3, v[8:9]
	v_add_nc_u32_e32 v23, 0x1800, v14
	s_waitcnt lgkmcnt(0)
	s_add_u32 s2, s20, s12
	s_addc_u32 s12, s21, s13
	s_lshl_b64 s[8:9], s[8:9], 3
	v_add_co_u32 v17, s2, s2, v2
	s_add_u32 s8, s14, s8
	v_add_co_ci_u32_e64 v18, s2, s12, v3, s2
	s_addc_u32 s9, s15, s9
	v_add_co_u32 v19, s2, s8, v6
	s_delay_alu instid0(VALU_DEP_1) | instskip(SKIP_1) | instid1(VALU_DEP_1)
	v_add_co_ci_u32_e64 v20, s2, s9, v7, s2
	v_add_co_u32 v2, s2, v21, v4
	v_add_co_ci_u32_e64 v3, s2, v22, v5, s2
	v_add_nc_u32_e32 v21, 0x800, v14
	v_add_nc_u32_e32 v22, 0x1000, v14
	s_and_b32 s2, s0, vcc_lo
	s_delay_alu instid0(SALU_CYCLE_1)
	s_and_b32 s2, s2, s1
	s_branch .LBB771_5
.LBB771_4:                              ;   in Loop: Header=BB771_5 Depth=1
	s_or_b32 exec_lo, exec_lo, s1
	s_add_i32 s17, s17, 32
	s_waitcnt_vscnt null, 0x0
	s_cmp_ge_i32 s17, s6
	s_barrier
	buffer_gl0_inv
	s_cbranch_scc1 .LBB771_11
.LBB771_5:                              ; =>This Inner Loop Header: Depth=1
	v_dual_mov_b32 v4, 0 :: v_dual_add_nc_u32 v5, s17, v11
	v_dual_mov_b32 v6, 0 :: v_dual_mov_b32 v7, 0
	s_delay_alu instid0(VALU_DEP_2) | instskip(NEXT) | instid1(VALU_DEP_1)
	v_cmp_gt_i32_e64 s1, s6, v5
	s_and_b32 s1, vcc_lo, s1
	s_delay_alu instid0(SALU_CYCLE_1)
	s_and_saveexec_b32 s8, s1
	s_cbranch_execz .LBB771_7
; %bb.6:                                ;   in Loop: Header=BB771_5 Depth=1
	v_ashrrev_i32_e32 v6, 31, v5
	s_delay_alu instid0(VALU_DEP_1) | instskip(NEXT) | instid1(VALU_DEP_1)
	v_lshlrev_b64 v[5:6], 3, v[5:6]
	v_add_co_u32 v5, s1, v17, v5
	s_delay_alu instid0(VALU_DEP_1)
	v_add_co_ci_u32_e64 v6, s1, v18, v6, s1
	global_load_b64 v[6:7], v[5:6], off
	s_waitcnt vmcnt(0)
	v_xor_b32_e32 v7, 0x80000000, v7
.LBB771_7:                              ;   in Loop: Header=BB771_5 Depth=1
	s_or_b32 exec_lo, exec_lo, s8
	v_dual_mov_b32 v5, 0 :: v_dual_add_nc_u32 v8, s17, v10
	ds_store_b64 v15, v[6:7]
	v_cmp_gt_i32_e64 s1, s6, v8
	s_delay_alu instid0(VALU_DEP_1) | instskip(NEXT) | instid1(SALU_CYCLE_1)
	s_and_b32 s1, s0, s1
	s_and_saveexec_b32 s8, s1
	s_cbranch_execz .LBB771_9
; %bb.8:                                ;   in Loop: Header=BB771_5 Depth=1
	v_ashrrev_i32_e32 v9, 31, v8
	s_delay_alu instid0(VALU_DEP_1) | instskip(NEXT) | instid1(VALU_DEP_1)
	v_lshlrev_b64 v[4:5], 3, v[8:9]
	v_add_co_u32 v4, s1, v19, v4
	s_delay_alu instid0(VALU_DEP_1)
	v_add_co_ci_u32_e64 v5, s1, v20, v5, s1
	global_load_b64 v[4:5], v[4:5], off
.LBB771_9:                              ;   in Loop: Header=BB771_5 Depth=1
	s_or_b32 exec_lo, exec_lo, s8
	s_waitcnt vmcnt(0)
	ds_store_b64 v16, v[4:5]
	s_waitcnt lgkmcnt(0)
	s_barrier
	buffer_gl0_inv
	s_and_saveexec_b32 s1, s2
	s_cbranch_execz .LBB771_4
; %bb.10:                               ;   in Loop: Header=BB771_5 Depth=1
	global_load_b64 v[4:5], v[2:3], off
	ds_load_2addr_b64 v[6:9], v14 offset1:32
	ds_load_b128 v[24:27], v13
	ds_load_b128 v[28:31], v13 offset:16
	ds_load_b128 v[32:35], v13 offset:32
	;; [unrolled: 1-line block ×3, first 2 shown]
	ds_load_2addr_b64 v[40:43], v14 offset0:64 offset1:96
	ds_load_2addr_b64 v[44:47], v14 offset0:128 offset1:160
	;; [unrolled: 1-line block ×3, first 2 shown]
	ds_load_2addr_b64 v[52:55], v21 offset1:32
	ds_load_b128 v[56:59], v13 offset:64
	ds_load_b128 v[60:63], v13 offset:80
	ds_load_2addr_b64 v[64:67], v21 offset0:64 offset1:96
	ds_load_2addr_b64 v[68:71], v21 offset0:128 offset1:160
	ds_load_b128 v[72:75], v13 offset:96
	ds_load_b128 v[76:79], v13 offset:112
	ds_load_2addr_b64 v[80:83], v21 offset0:192 offset1:224
	ds_load_2addr_b64 v[84:87], v22 offset1:32
	ds_load_b128 v[88:91], v13 offset:128
	ds_load_b128 v[92:95], v13 offset:144
	s_waitcnt lgkmcnt(17)
	v_mul_f32_e32 v96, v7, v25
	v_dual_mul_f32 v97, v6, v25 :: v_dual_mul_f32 v98, v8, v27
	s_waitcnt lgkmcnt(13)
	v_dual_mul_f32 v25, v9, v27 :: v_dual_mul_f32 v100, v40, v29
	v_mul_f32_e32 v101, v42, v31
	v_fma_f32 v96, v6, v24, -v96
	v_dual_fmac_f32 v97, v7, v24 :: v_dual_fmac_f32 v98, v9, v26
	s_delay_alu instid0(VALU_DEP_4) | instskip(SKIP_4) | instid1(VALU_DEP_3)
	v_fma_f32 v99, v8, v26, -v25
	v_dual_mul_f32 v24, v41, v29 :: v_dual_mul_f32 v25, v43, v31
	s_waitcnt lgkmcnt(12)
	v_dual_mul_f32 v102, v44, v33 :: v_dual_mul_f32 v31, v47, v35
	v_mul_f32_e32 v105, v46, v35
	v_fma_f32 v103, v40, v28, -v24
	v_add_f32_e32 v40, 0, v97
	s_delay_alu instid0(VALU_DEP_4)
	v_fmac_f32_e32 v102, v45, v32
	v_mul_f32_e32 v29, v45, v33
	v_dual_fmac_f32 v105, v47, v34 :: v_dual_fmac_f32 v100, v41, v28
	v_fmac_f32_e32 v101, v43, v30
	v_add_f32_e32 v40, v40, v98
	v_fma_f32 v106, v46, v34, -v31
	s_waitcnt lgkmcnt(11)
	v_dual_mul_f32 v41, v49, v37 :: v_dual_mul_f32 v98, v50, v39
	v_mul_f32_e32 v97, v48, v37
	v_dual_mul_f32 v37, v51, v39 :: v_dual_add_f32 v46, v40, v100
	v_add_f32_e32 v39, 0, v96
	v_fma_f32 v104, v42, v30, -v25
	s_waitcnt lgkmcnt(9)
	v_dual_mul_f32 v47, v53, v57 :: v_dual_mul_f32 v100, v54, v59
	s_delay_alu instid0(VALU_DEP_3) | instskip(SKIP_1) | instid1(VALU_DEP_3)
	v_dual_add_f32 v46, v46, v101 :: v_dual_add_f32 v45, v39, v99
	v_fma_f32 v44, v44, v32, -v29
	v_dual_mul_f32 v99, v52, v57 :: v_dual_fmac_f32 v100, v55, v58
	s_delay_alu instid0(VALU_DEP_3) | instskip(SKIP_2) | instid1(VALU_DEP_3)
	v_dual_add_f32 v46, v46, v102 :: v_dual_add_f32 v45, v45, v103
	v_fma_f32 v96, v48, v36, -v41
	v_dual_fmac_f32 v98, v51, v38 :: v_dual_fmac_f32 v97, v49, v36
	v_dual_mul_f32 v48, v55, v59 :: v_dual_add_f32 v45, v45, v104
	s_waitcnt lgkmcnt(7)
	v_mul_f32_e32 v57, v65, v61
	v_mul_f32_e32 v101, v64, v61
	v_fma_f32 v61, v52, v56, -v47
	v_dual_mul_f32 v52, v67, v63 :: v_dual_fmac_f32 v99, v53, v56
	v_dual_add_f32 v56, v46, v105 :: v_dual_add_f32 v53, v45, v44
	v_mul_f32_e32 v103, v66, v63
	v_fma_f32 v104, v64, v60, -v57
	s_waitcnt lgkmcnt(5)
	v_dual_fmac_f32 v101, v65, v60 :: v_dual_mul_f32 v64, v71, v75
	v_add_f32_e32 v60, v53, v106
	v_fma_f32 v107, v50, v38, -v37
	v_fma_f32 v105, v66, v62, -v52
	v_mul_f32_e32 v75, v70, v75
	v_fma_f32 v102, v54, v58, -v48
	v_add_f32_e32 v60, v60, v96
	s_waitcnt lgkmcnt(3)
	v_dual_mul_f32 v96, v81, v77 :: v_dual_fmac_f32 v103, v67, v62
	v_add_f32_e32 v62, v56, v97
	v_mul_f32_e32 v77, v80, v77
	v_dual_add_f32 v60, v60, v107 :: v_dual_fmac_f32 v75, v71, v74
	s_delay_alu instid0(VALU_DEP_4) | instskip(NEXT) | instid1(VALU_DEP_4)
	v_fma_f32 v80, v80, v76, -v96
	v_dual_add_f32 v62, v62, v98 :: v_dual_mul_f32 v63, v69, v73
	v_mul_f32_e32 v73, v68, v73
	ds_load_2addr_b64 v[24:27], v22 offset0:128 offset1:160
	ds_load_2addr_b64 v[6:9], v22 offset0:64 offset1:96
	v_add_f32_e32 v62, v62, v99
	v_fma_f32 v97, v68, v72, -v63
	v_dual_mul_f32 v68, v83, v79 :: v_dual_fmac_f32 v73, v69, v72
	v_fma_f32 v72, v70, v74, -v64
	v_dual_mul_f32 v74, v82, v79 :: v_dual_add_f32 v69, v60, v61
	v_add_f32_e32 v79, v62, v100
	v_fmac_f32_e32 v77, v81, v76
	v_fma_f32 v76, v82, v78, -v68
	s_delay_alu instid0(VALU_DEP_4)
	v_fmac_f32_e32 v74, v83, v78
	v_add_f32_e32 v78, v69, v102
	ds_load_b128 v[28:31], v13 offset:160
	ds_load_b128 v[32:35], v13 offset:176
	ds_load_2addr_b64 v[36:39], v22 offset0:192 offset1:224
	s_waitcnt lgkmcnt(6)
	v_mul_f32_e32 v81, v85, v89
	v_mul_f32_e32 v82, v84, v89
	v_add_f32_e32 v78, v78, v104
	v_mul_f32_e32 v83, v86, v91
	ds_load_2addr_b64 v[40:43], v23 offset1:32
	ds_load_b128 v[44:47], v13 offset:192
	ds_load_b128 v[48:51], v13 offset:208
	v_fmac_f32_e32 v82, v85, v88
	v_dual_add_f32 v78, v78, v105 :: v_dual_mul_f32 v89, v87, v91
	ds_load_2addr_b64 v[52:55], v23 offset0:64 offset1:96
	ds_load_2addr_b64 v[56:59], v23 offset0:128 offset1:160
	ds_load_b128 v[60:63], v13 offset:224
	ds_load_b128 v[64:67], v13 offset:240
	v_add_f32_e32 v78, v78, v97
	ds_load_2addr_b64 v[68:71], v23 offset0:192 offset1:224
	v_dual_add_f32 v72, v78, v72 :: v_dual_add_f32 v79, v79, v101
	s_waitcnt lgkmcnt(10)
	v_mul_f32_e32 v96, v25, v29
	v_mul_f32_e32 v29, v24, v29
	s_delay_alu instid0(VALU_DEP_3) | instskip(SKIP_1) | instid1(VALU_DEP_4)
	v_dual_fmac_f32 v83, v87, v90 :: v_dual_add_f32 v72, v72, v80
	v_add_f32_e32 v79, v79, v103
	v_fma_f32 v24, v24, v28, -v96
	v_mul_f32_e32 v91, v7, v93
	v_fma_f32 v80, v86, v90, -v89
	s_delay_alu instid0(VALU_DEP_4) | instskip(SKIP_3) | instid1(VALU_DEP_3)
	v_dual_add_f32 v72, v72, v76 :: v_dual_add_f32 v73, v79, v73
	s_waitcnt lgkmcnt(6)
	v_mul_f32_e32 v76, v41, v45
	v_mul_f32_e32 v45, v40, v45
	v_add_f32_e32 v73, v73, v75
	v_mul_f32_e32 v75, v27, v31
	v_mul_f32_e32 v31, v26, v31
	s_delay_alu instid0(VALU_DEP_3) | instskip(NEXT) | instid1(VALU_DEP_1)
	v_add_f32_e32 v73, v73, v77
	v_dual_add_f32 v73, v73, v74 :: v_dual_mul_f32 v74, v39, v35
	v_fma_f32 v78, v84, v88, -v81
	s_delay_alu instid0(VALU_DEP_2) | instskip(SKIP_2) | instid1(VALU_DEP_2)
	v_add_f32_e32 v73, v73, v82
	v_mul_f32_e32 v93, v6, v93
	v_fma_f32 v6, v6, v92, -v91
	v_fmac_f32_e32 v93, v7, v92
	s_delay_alu instid0(VALU_DEP_4) | instskip(NEXT) | instid1(VALU_DEP_1)
	v_dual_add_f32 v7, v72, v78 :: v_dual_add_f32 v72, v73, v83
	v_add_f32_e32 v7, v7, v80
	v_mul_f32_e32 v79, v9, v95
	s_delay_alu instid0(VALU_DEP_2) | instskip(NEXT) | instid1(VALU_DEP_2)
	v_dual_mul_f32 v95, v8, v95 :: v_dual_add_f32 v6, v7, v6
	v_fma_f32 v8, v8, v94, -v79
	s_delay_alu instid0(VALU_DEP_2)
	v_fmac_f32_e32 v95, v9, v94
	v_add_f32_e32 v9, v72, v93
	s_waitcnt lgkmcnt(4)
	v_mul_f32_e32 v72, v53, v49
	v_add_f32_e32 v6, v6, v8
	v_dual_mul_f32 v8, v55, v51 :: v_dual_fmac_f32 v29, v25, v28
	v_fma_f32 v25, v26, v30, -v75
	v_fma_f32 v28, v40, v44, -v76
	s_delay_alu instid0(VALU_DEP_4) | instskip(SKIP_3) | instid1(VALU_DEP_4)
	v_add_f32_e32 v6, v6, v24
	v_mul_f32_e32 v24, v54, v51
	v_mul_f32_e32 v35, v38, v35
	v_fma_f32 v8, v54, v50, -v8
	v_add_f32_e32 v6, v6, v25
	s_delay_alu instid0(VALU_DEP_4) | instskip(NEXT) | instid1(VALU_DEP_4)
	v_dual_fmac_f32 v24, v55, v50 :: v_dual_mul_f32 v77, v37, v33
	v_fmac_f32_e32 v35, v39, v34
	s_waitcnt lgkmcnt(2)
	v_mul_f32_e32 v25, v57, v61
	s_delay_alu instid0(VALU_DEP_3) | instskip(NEXT) | instid1(VALU_DEP_2)
	v_fma_f32 v26, v36, v32, -v77
	v_fma_f32 v25, v56, v60, -v25
	s_delay_alu instid0(VALU_DEP_2) | instskip(SKIP_3) | instid1(VALU_DEP_3)
	v_add_f32_e32 v6, v6, v26
	v_dual_mul_f32 v26, v56, v61 :: v_dual_fmac_f32 v31, v27, v30
	v_fma_f32 v27, v38, v34, -v74
	v_mul_f32_e32 v33, v36, v33
	v_dual_mul_f32 v81, v43, v47 :: v_dual_fmac_f32 v26, v57, v60
	v_mul_f32_e32 v47, v42, v47
	s_delay_alu instid0(VALU_DEP_3) | instskip(SKIP_2) | instid1(VALU_DEP_3)
	v_dual_add_f32 v6, v6, v27 :: v_dual_fmac_f32 v33, v37, v32
	v_fma_f32 v30, v52, v48, -v72
	v_mul_f32_e32 v27, v59, v63
	v_dual_fmac_f32 v47, v43, v46 :: v_dual_add_f32 v6, v6, v28
	v_dual_mul_f32 v28, v58, v63 :: v_dual_fmac_f32 v45, v41, v44
	s_delay_alu instid0(VALU_DEP_1) | instskip(SKIP_1) | instid1(VALU_DEP_2)
	v_dual_fmac_f32 v28, v59, v62 :: v_dual_add_f32 v7, v9, v95
	v_mul_f32_e32 v9, v52, v49
	v_add_f32_e32 v7, v7, v29
	v_fma_f32 v29, v42, v46, -v81
	s_delay_alu instid0(VALU_DEP_3) | instskip(NEXT) | instid1(VALU_DEP_2)
	v_fmac_f32_e32 v9, v53, v48
	v_dual_add_f32 v7, v7, v31 :: v_dual_add_f32 v6, v6, v29
	s_delay_alu instid0(VALU_DEP_1) | instskip(NEXT) | instid1(VALU_DEP_1)
	v_dual_add_f32 v7, v7, v33 :: v_dual_add_f32 v6, v6, v30
	v_dual_add_f32 v7, v7, v35 :: v_dual_add_f32 v6, v6, v8
	s_waitcnt lgkmcnt(0)
	s_delay_alu instid0(VALU_DEP_1) | instskip(NEXT) | instid1(VALU_DEP_2)
	v_dual_mul_f32 v8, v70, v67 :: v_dual_add_f32 v7, v7, v45
	v_dual_add_f32 v6, v6, v25 :: v_dual_mul_f32 v25, v71, v67
	s_delay_alu instid0(VALU_DEP_2) | instskip(NEXT) | instid1(VALU_DEP_3)
	v_fmac_f32_e32 v8, v71, v66
	v_add_f32_e32 v7, v7, v47
	s_delay_alu instid0(VALU_DEP_1) | instskip(SKIP_1) | instid1(VALU_DEP_2)
	v_add_f32_e32 v7, v7, v9
	v_mul_f32_e32 v9, v69, v65
	v_dual_add_f32 v7, v7, v24 :: v_dual_mul_f32 v24, v68, v65
	s_delay_alu instid0(VALU_DEP_2) | instskip(NEXT) | instid1(VALU_DEP_2)
	v_fma_f32 v9, v68, v64, -v9
	v_add_f32_e32 v7, v7, v26
	v_fma_f32 v26, v58, v62, -v27
	s_delay_alu instid0(VALU_DEP_4) | instskip(NEXT) | instid1(VALU_DEP_2)
	v_fmac_f32_e32 v24, v69, v64
	v_dual_add_f32 v7, v7, v28 :: v_dual_add_f32 v6, v6, v26
	s_delay_alu instid0(VALU_DEP_1) | instskip(SKIP_1) | instid1(VALU_DEP_2)
	v_add_f32_e32 v7, v7, v24
	v_fma_f32 v24, v70, v66, -v25
	v_dual_add_f32 v6, v6, v9 :: v_dual_add_f32 v7, v7, v8
	s_delay_alu instid0(VALU_DEP_1) | instskip(NEXT) | instid1(VALU_DEP_2)
	v_add_f32_e32 v6, v6, v24
	v_mul_f32_e32 v8, s3, v7
	v_mul_f32_e32 v7, s7, v7
	s_delay_alu instid0(VALU_DEP_2) | instskip(SKIP_1) | instid1(VALU_DEP_1)
	v_fma_f32 v8, s7, v6, -v8
	s_waitcnt vmcnt(0)
	v_dual_fmac_f32 v7, s3, v6 :: v_dual_add_f32 v4, v4, v8
	s_delay_alu instid0(VALU_DEP_1)
	v_add_f32_e32 v5, v5, v7
	global_store_b64 v[2:3], v[4:5], off
	s_branch .LBB771_4
.LBB771_11:
	v_cmp_eq_u32_e32 vcc_lo, v0, v12
	v_cmp_gt_i32_e64 s0, s5, v0
	s_delay_alu instid0(VALU_DEP_1) | instskip(NEXT) | instid1(SALU_CYCLE_1)
	s_and_b32 s0, vcc_lo, s0
	s_and_saveexec_b32 s1, s0
	s_cbranch_execz .LBB771_13
; %bb.12:
	v_mad_i64_i32 v[2:3], null, s4, v0, 0
	v_lshlrev_b64 v[0:1], 3, v[0:1]
	s_delay_alu instid0(VALU_DEP_2) | instskip(NEXT) | instid1(VALU_DEP_1)
	v_lshlrev_b64 v[2:3], 3, v[2:3]
	v_add_co_u32 v2, vcc_lo, s10, v2
	s_delay_alu instid0(VALU_DEP_2) | instskip(NEXT) | instid1(VALU_DEP_2)
	v_add_co_ci_u32_e32 v3, vcc_lo, s11, v3, vcc_lo
	v_add_co_u32 v0, vcc_lo, v2, v0
	s_delay_alu instid0(VALU_DEP_2)
	v_add_co_ci_u32_e32 v1, vcc_lo, v3, v1, vcc_lo
	v_mov_b32_e32 v2, 0
	global_store_b32 v[0:1], v2, off offset:4
.LBB771_13:
	s_nop 0
	s_sendmsg sendmsg(MSG_DEALLOC_VGPRS)
	s_endpgm
	.section	.rodata,"a",@progbits
	.p2align	6, 0x0
	.amdhsa_kernel _ZL26rocblas_syr2k_her2k_kernelIiLb0ELb1ELb1ELi32E19rocblas_complex_numIfEPKPKS1_PKPS1_EvbiT_T4_T5_S9_lSB_S9_lT6_S9_li
		.amdhsa_group_segment_fixed_size 16384
		.amdhsa_private_segment_fixed_size 0
		.amdhsa_kernarg_size 100
		.amdhsa_user_sgpr_count 13
		.amdhsa_user_sgpr_dispatch_ptr 0
		.amdhsa_user_sgpr_queue_ptr 0
		.amdhsa_user_sgpr_kernarg_segment_ptr 1
		.amdhsa_user_sgpr_dispatch_id 0
		.amdhsa_user_sgpr_private_segment_size 0
		.amdhsa_wavefront_size32 1
		.amdhsa_uses_dynamic_stack 0
		.amdhsa_enable_private_segment 0
		.amdhsa_system_sgpr_workgroup_id_x 1
		.amdhsa_system_sgpr_workgroup_id_y 1
		.amdhsa_system_sgpr_workgroup_id_z 1
		.amdhsa_system_sgpr_workgroup_info 0
		.amdhsa_system_vgpr_workitem_id 1
		.amdhsa_next_free_vgpr 108
		.amdhsa_next_free_sgpr 23
		.amdhsa_reserve_vcc 1
		.amdhsa_float_round_mode_32 0
		.amdhsa_float_round_mode_16_64 0
		.amdhsa_float_denorm_mode_32 3
		.amdhsa_float_denorm_mode_16_64 3
		.amdhsa_dx10_clamp 1
		.amdhsa_ieee_mode 1
		.amdhsa_fp16_overflow 0
		.amdhsa_workgroup_processor_mode 1
		.amdhsa_memory_ordered 1
		.amdhsa_forward_progress 0
		.amdhsa_shared_vgpr_count 0
		.amdhsa_exception_fp_ieee_invalid_op 0
		.amdhsa_exception_fp_denorm_src 0
		.amdhsa_exception_fp_ieee_div_zero 0
		.amdhsa_exception_fp_ieee_overflow 0
		.amdhsa_exception_fp_ieee_underflow 0
		.amdhsa_exception_fp_ieee_inexact 0
		.amdhsa_exception_int_div_zero 0
	.end_amdhsa_kernel
	.section	.text._ZL26rocblas_syr2k_her2k_kernelIiLb0ELb1ELb1ELi32E19rocblas_complex_numIfEPKPKS1_PKPS1_EvbiT_T4_T5_S9_lSB_S9_lT6_S9_li,"axG",@progbits,_ZL26rocblas_syr2k_her2k_kernelIiLb0ELb1ELb1ELi32E19rocblas_complex_numIfEPKPKS1_PKPS1_EvbiT_T4_T5_S9_lSB_S9_lT6_S9_li,comdat
.Lfunc_end771:
	.size	_ZL26rocblas_syr2k_her2k_kernelIiLb0ELb1ELb1ELi32E19rocblas_complex_numIfEPKPKS1_PKPS1_EvbiT_T4_T5_S9_lSB_S9_lT6_S9_li, .Lfunc_end771-_ZL26rocblas_syr2k_her2k_kernelIiLb0ELb1ELb1ELi32E19rocblas_complex_numIfEPKPKS1_PKPS1_EvbiT_T4_T5_S9_lSB_S9_lT6_S9_li
                                        ; -- End function
	.section	.AMDGPU.csdata,"",@progbits
; Kernel info:
; codeLenInByte = 2308
; NumSgprs: 25
; NumVgprs: 108
; ScratchSize: 0
; MemoryBound: 0
; FloatMode: 240
; IeeeMode: 1
; LDSByteSize: 16384 bytes/workgroup (compile time only)
; SGPRBlocks: 3
; VGPRBlocks: 13
; NumSGPRsForWavesPerEU: 25
; NumVGPRsForWavesPerEU: 108
; Occupancy: 12
; WaveLimiterHint : 1
; COMPUTE_PGM_RSRC2:SCRATCH_EN: 0
; COMPUTE_PGM_RSRC2:USER_SGPR: 13
; COMPUTE_PGM_RSRC2:TRAP_HANDLER: 0
; COMPUTE_PGM_RSRC2:TGID_X_EN: 1
; COMPUTE_PGM_RSRC2:TGID_Y_EN: 1
; COMPUTE_PGM_RSRC2:TGID_Z_EN: 1
; COMPUTE_PGM_RSRC2:TIDIG_COMP_CNT: 1
	.section	.text._ZL37rocblas_syrkx_herkx_restricted_kernelIi19rocblas_complex_numIfELi16ELi32ELi8ELi1ELi1ELb1ELc84ELc76EKPKS1_KPS1_EviT_PT9_S7_lS9_S7_lPT10_S7_li,"axG",@progbits,_ZL37rocblas_syrkx_herkx_restricted_kernelIi19rocblas_complex_numIfELi16ELi32ELi8ELi1ELi1ELb1ELc84ELc76EKPKS1_KPS1_EviT_PT9_S7_lS9_S7_lPT10_S7_li,comdat
	.globl	_ZL37rocblas_syrkx_herkx_restricted_kernelIi19rocblas_complex_numIfELi16ELi32ELi8ELi1ELi1ELb1ELc84ELc76EKPKS1_KPS1_EviT_PT9_S7_lS9_S7_lPT10_S7_li ; -- Begin function _ZL37rocblas_syrkx_herkx_restricted_kernelIi19rocblas_complex_numIfELi16ELi32ELi8ELi1ELi1ELb1ELc84ELc76EKPKS1_KPS1_EviT_PT9_S7_lS9_S7_lPT10_S7_li
	.p2align	8
	.type	_ZL37rocblas_syrkx_herkx_restricted_kernelIi19rocblas_complex_numIfELi16ELi32ELi8ELi1ELi1ELb1ELc84ELc76EKPKS1_KPS1_EviT_PT9_S7_lS9_S7_lPT10_S7_li,@function
_ZL37rocblas_syrkx_herkx_restricted_kernelIi19rocblas_complex_numIfELi16ELi32ELi8ELi1ELi1ELb1ELc84ELc76EKPKS1_KPS1_EviT_PT9_S7_lS9_S7_lPT10_S7_li: ; @_ZL37rocblas_syrkx_herkx_restricted_kernelIi19rocblas_complex_numIfELi16ELi32ELi8ELi1ELi1ELb1ELc84ELc76EKPKS1_KPS1_EviT_PT9_S7_lS9_S7_lPT10_S7_li
; %bb.0:
	s_clause 0x1
	s_load_b64 s[2:3], s[0:1], 0x38
	s_load_b64 s[4:5], s[0:1], 0x0
	s_mov_b32 s6, s15
	s_mov_b32 s7, 0
	v_dual_mov_b32 v17, 0 :: v_dual_and_b32 v6, 0x3ff, v0
	s_lshl_b64 s[8:9], s[6:7], 3
	v_bfe_u32 v8, v0, 10, 10
	v_dual_mov_b32 v16, 0 :: v_dual_mov_b32 v13, 0
	v_dual_mov_b32 v12, 0 :: v_dual_mov_b32 v9, 0
	;; [unrolled: 1-line block ×3, first 2 shown]
	v_mov_b32_e32 v1, 0
	s_waitcnt lgkmcnt(0)
	s_add_u32 s2, s2, s8
	s_addc_u32 s3, s3, s9
	s_lshl_b32 s6, s13, 5
	s_load_b64 s[2:3], s[2:3], 0x0
	s_lshl_b32 s10, s14, 5
	s_cmp_lt_i32 s5, 1
	s_cbranch_scc1 .LBB772_3
; %bb.1:
	s_clause 0x3
	s_load_b64 s[12:13], s[0:1], 0x8
	s_load_b64 s[14:15], s[0:1], 0x20
	s_load_b32 s11, s[0:1], 0x10
	s_load_b32 s16, s[0:1], 0x28
	v_lshl_add_u32 v2, v8, 4, v6
	v_dual_mov_b32 v1, 0 :: v_dual_and_b32 v0, 7, v6
	v_lshlrev_b32_e32 v10, 3, v6
	v_lshl_add_u32 v11, v8, 6, 0x800
	s_delay_alu instid0(VALU_DEP_4)
	v_and_b32_e32 v14, 31, v2
	v_lshrrev_b32_e32 v9, 3, v2
	v_lshrrev_b32_e32 v2, 5, v2
	v_mov_b32_e32 v3, v1
	v_mov_b32_e32 v17, v1
	v_add_nc_u32_e32 v7, s6, v14
	v_dual_mov_b32 v16, v1 :: v_dual_add_nc_u32 v15, s10, v9
	s_waitcnt lgkmcnt(0)
	s_add_u32 s12, s12, s8
	s_addc_u32 s13, s13, s9
	s_add_u32 s8, s14, s8
	s_load_b64 s[12:13], s[12:13], 0x0
	s_addc_u32 s9, s15, s9
	v_mad_i64_i32 v[4:5], null, s11, v7, v[2:3]
	s_load_b64 s[8:9], s[8:9], 0x0
	v_lshlrev_b32_e32 v3, 3, v0
	v_mad_i64_i32 v[12:13], null, s16, v15, v[0:1]
	v_dual_mov_b32 v7, v1 :: v_dual_lshlrev_b32 v14, 3, v14
	s_delay_alu instid0(VALU_DEP_3)
	v_lshl_or_b32 v15, v9, 6, v3
	v_mov_b32_e32 v9, v1
	v_lshlrev_b64 v[3:4], 3, v[4:5]
	v_mov_b32_e32 v0, v1
	v_lshlrev_b64 v[12:13], 3, v[12:13]
	v_lshl_or_b32 v14, v2, 8, v14
	v_add_nc_u32_e32 v15, 0x800, v15
	s_waitcnt lgkmcnt(0)
	v_add_co_u32 v2, vcc_lo, v3, s12
	v_add_co_ci_u32_e32 v3, vcc_lo, s13, v4, vcc_lo
	v_add_co_u32 v4, vcc_lo, v12, s8
	v_add_co_ci_u32_e32 v5, vcc_lo, s9, v13, vcc_lo
	s_delay_alu instid0(VALU_DEP_4) | instskip(NEXT) | instid1(VALU_DEP_4)
	v_add_co_u32 v2, vcc_lo, v2, 4
	v_add_co_ci_u32_e32 v3, vcc_lo, 0, v3, vcc_lo
	s_delay_alu instid0(VALU_DEP_4) | instskip(NEXT) | instid1(VALU_DEP_4)
	v_add_co_u32 v4, vcc_lo, v4, 4
	v_add_co_ci_u32_e32 v5, vcc_lo, 0, v5, vcc_lo
	v_mov_b32_e32 v12, v1
	v_mov_b32_e32 v13, v1
.LBB772_2:                              ; =>This Inner Loop Header: Depth=1
	global_load_b64 v[18:19], v[2:3], off offset:-4
	global_load_b64 v[20:21], v[4:5], off offset:-4
	v_add_co_u32 v2, vcc_lo, v2, 64
	v_add_co_ci_u32_e32 v3, vcc_lo, 0, v3, vcc_lo
	v_add_co_u32 v4, vcc_lo, v4, 64
	v_add_co_ci_u32_e32 v5, vcc_lo, 0, v5, vcc_lo
	s_add_i32 s7, s7, 8
	s_waitcnt vmcnt(1)
	ds_store_b64 v14, v[18:19]
	s_waitcnt vmcnt(0)
	ds_store_b64 v15, v[20:21]
	s_waitcnt lgkmcnt(0)
	s_barrier
	buffer_gl0_inv
	ds_load_2addr_b64 v[18:21], v10 offset1:16
	ds_load_b128 v[22:25], v11
	ds_load_b128 v[26:29], v11 offset:1024
	ds_load_b128 v[30:33], v11 offset:16
	ds_load_2addr_b64 v[34:37], v10 offset0:32 offset1:48
	ds_load_b128 v[38:41], v11 offset:32
	ds_load_b128 v[42:45], v11 offset:48
	ds_load_2addr_b64 v[46:49], v10 offset0:64 offset1:80
	ds_load_b128 v[50:53], v11 offset:1040
	ds_load_2addr_b64 v[54:57], v10 offset0:96 offset1:112
	ds_load_2addr_b64 v[58:61], v10 offset0:128 offset1:144
	;; [unrolled: 1-line block ×4, first 2 shown]
	ds_load_b128 v[70:73], v11 offset:1056
	ds_load_b128 v[74:77], v11 offset:1072
	ds_load_2addr_b64 v[78:81], v10 offset0:224 offset1:240
	s_cmp_ge_i32 s7, s5
	s_waitcnt lgkmcnt(0)
	s_barrier
	buffer_gl0_inv
	v_dual_mul_f32 v82, v23, v19 :: v_dual_mul_f32 v85, v22, v21
	v_dual_mul_f32 v83, v22, v19 :: v_dual_mul_f32 v84, v23, v21
	v_mul_f32_e32 v86, v27, v19
	v_dual_mul_f32 v19, v26, v19 :: v_dual_mul_f32 v90, v25, v37
	v_dual_mul_f32 v87, v27, v21 :: v_dual_mul_f32 v88, v25, v35
	v_mul_f32_e32 v21, v26, v21
	v_fma_f32 v82, v22, v18, -v82
	v_fmac_f32_e32 v83, v23, v18
	v_fma_f32 v22, v22, v20, -v84
	v_fmac_f32_e32 v85, v23, v20
	v_fma_f32 v23, v26, v18, -v86
	v_dual_fmac_f32 v19, v27, v18 :: v_dual_mul_f32 v86, v30, v47
	v_fma_f32 v18, v26, v20, -v87
	v_dual_fmac_f32 v21, v27, v20 :: v_dual_mul_f32 v20, v24, v37
	v_mul_f32_e32 v89, v24, v35
	v_mul_f32_e32 v26, v29, v35
	;; [unrolled: 1-line block ×4, first 2 shown]
	v_fmac_f32_e32 v20, v25, v36
	v_fmac_f32_e32 v89, v25, v34
	v_dual_mul_f32 v25, v28, v37 :: v_dual_fmac_f32 v86, v31, v46
	v_fma_f32 v84, v24, v34, -v88
	v_fma_f32 v24, v24, v36, -v90
	v_dual_mul_f32 v37, v31, v47 :: v_dual_mul_f32 v90, v33, v57
	v_fma_f32 v26, v28, v34, -v26
	v_fma_f32 v28, v28, v36, -v35
	v_fmac_f32_e32 v25, v29, v36
	v_dual_mul_f32 v35, v50, v47 :: v_dual_mul_f32 v36, v51, v49
	v_dual_fmac_f32 v27, v29, v34 :: v_dual_mul_f32 v34, v51, v47
	v_dual_mul_f32 v88, v32, v55 :: v_dual_mul_f32 v29, v30, v49
	v_mul_f32_e32 v87, v31, v49
	v_fma_f32 v37, v30, v46, -v37
	v_add_f32_e32 v16, v16, v82
	s_delay_alu instid0(VALU_DEP_4)
	v_dual_fmac_f32 v88, v33, v54 :: v_dual_fmac_f32 v29, v31, v48
	v_fma_f32 v31, v50, v46, -v34
	v_fma_f32 v34, v50, v48, -v36
	v_mul_f32_e32 v36, v32, v57
	v_mul_f32_e32 v47, v50, v49
	v_dual_mul_f32 v50, v53, v57 :: v_dual_fmac_f32 v35, v51, v46
	v_mul_f32_e32 v46, v53, v55
	v_mul_f32_e32 v49, v33, v55
	v_fma_f32 v30, v30, v48, -v87
	v_fmac_f32_e32 v36, v33, v56
	v_dual_fmac_f32 v47, v51, v48 :: v_dual_mul_f32 v48, v52, v55
	v_mul_f32_e32 v33, v52, v57
	v_fma_f32 v46, v52, v54, -v46
	v_fma_f32 v50, v52, v56, -v50
	v_mul_f32_e32 v52, v38, v61
	v_fma_f32 v49, v32, v54, -v49
	v_fma_f32 v32, v32, v56, -v90
	v_dual_mul_f32 v51, v39, v59 :: v_dual_fmac_f32 v48, v53, v54
	v_mul_f32_e32 v54, v70, v59
	v_dual_mul_f32 v55, v38, v59 :: v_dual_fmac_f32 v52, v39, v60
	v_fmac_f32_e32 v33, v53, v56
	v_mul_f32_e32 v53, v71, v59
	v_mul_f32_e32 v56, v71, v61
	;; [unrolled: 1-line block ×3, first 2 shown]
	v_fmac_f32_e32 v54, v71, v58
	v_fmac_f32_e32 v55, v39, v58
	v_fma_f32 v39, v70, v58, -v53
	v_fma_f32 v53, v70, v60, -v56
	v_mul_f32_e32 v56, v40, v65
	v_mul_f32_e32 v59, v70, v61
	v_fma_f32 v51, v38, v58, -v51
	v_mul_f32_e32 v58, v72, v63
	v_mul_f32_e32 v87, v40, v63
	;; [unrolled: 1-line block ×4, first 2 shown]
	v_fma_f32 v38, v38, v60, -v57
	v_mul_f32_e32 v57, v73, v63
	v_fmac_f32_e32 v56, v41, v64
	v_dual_fmac_f32 v59, v71, v60 :: v_dual_mul_f32 v60, v73, v65
	v_mul_f32_e32 v63, v43, v67
	v_mul_f32_e32 v70, v43, v69
	v_fmac_f32_e32 v58, v73, v62
	v_fmac_f32_e32 v87, v41, v62
	v_mul_f32_e32 v41, v72, v65
	v_fma_f32 v61, v40, v62, -v61
	v_fma_f32 v40, v40, v64, -v90
	v_mul_f32_e32 v65, v42, v67
	v_fma_f32 v57, v72, v62, -v57
	v_fma_f32 v60, v72, v64, -v60
	v_dual_fmac_f32 v41, v73, v64 :: v_dual_mul_f32 v62, v42, v69
	v_mul_f32_e32 v64, v75, v67
	v_fma_f32 v63, v42, v66, -v63
	v_fma_f32 v42, v42, v68, -v70
	v_mul_f32_e32 v70, v76, v79
	v_mul_f32_e32 v67, v74, v67
	;; [unrolled: 1-line block ×4, first 2 shown]
	v_dual_fmac_f32 v65, v43, v66 :: v_dual_add_f32 v12, v12, v85
	v_fmac_f32_e32 v62, v43, v68
	v_fma_f32 v43, v74, v66, -v64
	v_fmac_f32_e32 v70, v77, v78
	v_dual_fmac_f32 v67, v75, v66 :: v_dual_add_f32 v16, v16, v84
	v_mul_f32_e32 v66, v44, v81
	v_dual_mul_f32 v69, v74, v69 :: v_dual_add_f32 v0, v0, v19
	v_mul_f32_e32 v72, v45, v79
	v_mul_f32_e32 v90, v45, v81
	v_fma_f32 v64, v74, v68, -v71
	v_dual_mul_f32 v71, v77, v81 :: v_dual_add_f32 v12, v12, v20
	v_dual_fmac_f32 v73, v45, v78 :: v_dual_add_f32 v16, v16, v37
	v_dual_fmac_f32 v66, v45, v80 :: v_dual_mul_f32 v45, v76, v81
	v_dual_fmac_f32 v69, v75, v68 :: v_dual_add_f32 v0, v0, v27
	s_delay_alu instid0(VALU_DEP_4) | instskip(NEXT) | instid1(VALU_DEP_3)
	v_dual_add_f32 v12, v12, v29 :: v_dual_add_f32 v17, v17, v83
	v_dual_add_f32 v16, v16, v49 :: v_dual_fmac_f32 v45, v77, v80
	s_delay_alu instid0(VALU_DEP_3) | instskip(NEXT) | instid1(VALU_DEP_3)
	v_dual_add_f32 v13, v13, v22 :: v_dual_add_f32 v0, v0, v35
	v_dual_add_f32 v9, v9, v23 :: v_dual_add_f32 v12, v12, v36
	v_add_f32_e32 v7, v7, v18
	s_delay_alu instid0(VALU_DEP_4) | instskip(NEXT) | instid1(VALU_DEP_3)
	v_dual_add_f32 v1, v1, v21 :: v_dual_add_f32 v16, v16, v51
	v_dual_add_f32 v17, v17, v89 :: v_dual_add_f32 v12, v12, v52
	v_add_f32_e32 v0, v0, v48
	v_add_f32_e32 v13, v13, v24
	s_delay_alu instid0(VALU_DEP_4) | instskip(NEXT) | instid1(VALU_DEP_4)
	v_dual_add_f32 v9, v9, v26 :: v_dual_add_f32 v16, v16, v61
	v_dual_add_f32 v1, v1, v25 :: v_dual_add_f32 v12, v12, v56
	s_delay_alu instid0(VALU_DEP_4) | instskip(SKIP_1) | instid1(VALU_DEP_4)
	v_dual_add_f32 v0, v0, v54 :: v_dual_add_f32 v7, v7, v28
	v_fma_f32 v72, v44, v78, -v72
	v_dual_add_f32 v17, v17, v86 :: v_dual_add_f32 v16, v16, v63
	s_delay_alu instid0(VALU_DEP_4) | instskip(NEXT) | instid1(VALU_DEP_4)
	v_dual_add_f32 v9, v9, v31 :: v_dual_add_f32 v12, v12, v62
	v_dual_add_f32 v1, v1, v47 :: v_dual_add_f32 v0, v0, v58
	v_add_f32_e32 v13, v13, v30
	s_delay_alu instid0(VALU_DEP_4) | instskip(NEXT) | instid1(VALU_DEP_3)
	v_dual_add_f32 v7, v7, v34 :: v_dual_add_f32 v16, v16, v72
	v_dual_add_f32 v9, v9, v46 :: v_dual_add_f32 v0, v0, v67
	v_add_f32_e32 v17, v17, v88
	s_delay_alu instid0(VALU_DEP_4) | instskip(NEXT) | instid1(VALU_DEP_4)
	v_add_f32_e32 v13, v13, v32
	v_add_f32_e32 v7, v7, v50
	;; [unrolled: 1-line block ×3, first 2 shown]
	v_dual_add_f32 v0, v0, v70 :: v_dual_add_f32 v1, v1, v33
	v_add_f32_e32 v17, v17, v55
	v_add_f32_e32 v13, v13, v38
	v_add_f32_e32 v9, v9, v39
	v_add_f32_e32 v7, v7, v53
	v_add_f32_e32 v1, v1, v59
	v_mul_f32_e32 v68, v77, v79
	v_add_f32_e32 v17, v17, v87
	v_add_f32_e32 v13, v13, v40
	;; [unrolled: 1-line block ×5, first 2 shown]
	v_fma_f32 v44, v44, v80, -v90
	v_fma_f32 v68, v76, v78, -v68
	;; [unrolled: 1-line block ×3, first 2 shown]
	v_add_f32_e32 v17, v17, v65
	v_add_f32_e32 v13, v13, v42
	;; [unrolled: 1-line block ×10, first 2 shown]
	s_cbranch_scc0 .LBB772_2
.LBB772_3:
	s_load_b32 s5, s[0:1], 0x40
	v_add_nc_u32_e32 v8, s10, v8
	v_add_nc_u32_e32 v2, s6, v6
	s_delay_alu instid0(VALU_DEP_1) | instskip(SKIP_1) | instid1(VALU_DEP_2)
	v_cmp_le_i32_e64 s0, v8, v2
	v_cmp_gt_i32_e32 vcc_lo, s4, v2
	s_and_b32 s0, s0, vcc_lo
	s_waitcnt lgkmcnt(0)
	v_mad_i64_i32 v[3:4], null, v8, s5, 0
	s_delay_alu instid0(VALU_DEP_1) | instskip(NEXT) | instid1(VALU_DEP_1)
	v_lshlrev_b64 v[3:4], 3, v[3:4]
	v_add_co_u32 v6, s1, s2, v3
	s_delay_alu instid0(VALU_DEP_1)
	v_add_co_ci_u32_e64 v10, s1, s3, v4, s1
	s_and_saveexec_b32 s1, s0
	s_cbranch_execz .LBB772_6
; %bb.4:
	v_ashrrev_i32_e32 v3, 31, v2
	s_delay_alu instid0(VALU_DEP_1) | instskip(NEXT) | instid1(VALU_DEP_1)
	v_lshlrev_b64 v[3:4], 3, v[2:3]
	v_add_co_u32 v3, s0, v6, v3
	s_delay_alu instid0(VALU_DEP_1)
	v_add_co_ci_u32_e64 v4, s0, v10, v4, s0
	v_cmp_eq_u32_e64 s0, v8, v2
	global_load_b64 v[14:15], v[3:4], off
	s_waitcnt vmcnt(0)
	v_dual_add_f32 v14, v16, v14 :: v_dual_add_f32 v15, v17, v15
	global_store_b64 v[3:4], v[14:15], off
	s_and_b32 exec_lo, exec_lo, s0
	s_cbranch_execz .LBB772_6
; %bb.5:
	v_mov_b32_e32 v5, 0
	global_store_b32 v[3:4], v5, off offset:4
.LBB772_6:
	s_or_b32 exec_lo, exec_lo, s1
	v_add_nc_u32_e32 v4, 16, v2
	s_delay_alu instid0(VALU_DEP_1) | instskip(SKIP_1) | instid1(VALU_DEP_1)
	v_cmp_le_i32_e64 s1, v8, v4
	v_cmp_gt_i32_e64 s0, s4, v4
	s_and_b32 s1, s1, s0
	s_delay_alu instid0(SALU_CYCLE_1)
	s_and_saveexec_b32 s4, s1
	s_cbranch_execz .LBB772_9
; %bb.7:
	v_ashrrev_i32_e32 v5, 31, v4
	s_delay_alu instid0(VALU_DEP_1) | instskip(NEXT) | instid1(VALU_DEP_1)
	v_lshlrev_b64 v[14:15], 3, v[4:5]
	v_add_co_u32 v5, s1, v6, v14
	s_delay_alu instid0(VALU_DEP_1)
	v_add_co_ci_u32_e64 v6, s1, v10, v15, s1
	v_cmp_eq_u32_e64 s1, v8, v4
	global_load_b64 v[10:11], v[5:6], off
	s_waitcnt vmcnt(0)
	v_dual_add_f32 v10, v13, v10 :: v_dual_add_f32 v11, v12, v11
	global_store_b64 v[5:6], v[10:11], off
	s_and_b32 exec_lo, exec_lo, s1
	s_cbranch_execz .LBB772_9
; %bb.8:
	v_mov_b32_e32 v3, 0
	global_store_b32 v[5:6], v3, off offset:4
.LBB772_9:
	s_or_b32 exec_lo, exec_lo, s4
	v_add_nc_u32_e32 v12, 16, v8
	s_delay_alu instid0(VALU_DEP_1) | instskip(SKIP_1) | instid1(VALU_DEP_2)
	v_mad_i64_i32 v[5:6], null, v12, s5, 0
	v_cmp_le_i32_e64 s1, v12, v2
	v_lshlrev_b64 v[5:6], 3, v[5:6]
	s_delay_alu instid0(VALU_DEP_1) | instskip(NEXT) | instid1(VALU_DEP_1)
	v_add_co_u32 v10, s2, s2, v5
	v_add_co_ci_u32_e64 v11, s2, s3, v6, s2
	s_delay_alu instid0(VALU_DEP_4) | instskip(NEXT) | instid1(SALU_CYCLE_1)
	s_and_b32 s2, s1, vcc_lo
	s_and_saveexec_b32 s1, s2
	s_cbranch_execz .LBB772_12
; %bb.10:
	v_ashrrev_i32_e32 v3, 31, v2
	s_delay_alu instid0(VALU_DEP_1) | instskip(NEXT) | instid1(VALU_DEP_1)
	v_lshlrev_b64 v[5:6], 3, v[2:3]
	v_add_co_u32 v5, vcc_lo, v10, v5
	s_delay_alu instid0(VALU_DEP_2)
	v_add_co_ci_u32_e32 v6, vcc_lo, v11, v6, vcc_lo
	v_cmp_eq_u32_e32 vcc_lo, v12, v2
	global_load_b64 v[13:14], v[5:6], off
	s_waitcnt vmcnt(0)
	v_dual_add_f32 v13, v9, v13 :: v_dual_add_f32 v14, v0, v14
	global_store_b64 v[5:6], v[13:14], off
	s_and_b32 exec_lo, exec_lo, vcc_lo
	s_cbranch_execz .LBB772_12
; %bb.11:
	v_mov_b32_e32 v0, 0
	global_store_b32 v[5:6], v0, off offset:4
.LBB772_12:
	s_or_b32 exec_lo, exec_lo, s1
	v_cmp_le_i32_e32 vcc_lo, v12, v4
	s_and_b32 s0, vcc_lo, s0
	s_delay_alu instid0(SALU_CYCLE_1)
	s_and_saveexec_b32 s1, s0
	s_cbranch_execz .LBB772_15
; %bb.13:
	v_ashrrev_i32_e32 v5, 31, v4
	s_delay_alu instid0(VALU_DEP_1) | instskip(NEXT) | instid1(VALU_DEP_1)
	v_lshlrev_b64 v[3:4], 3, v[4:5]
	v_add_co_u32 v3, vcc_lo, v10, v3
	s_delay_alu instid0(VALU_DEP_2)
	v_add_co_ci_u32_e32 v4, vcc_lo, v11, v4, vcc_lo
	v_cmp_eq_u32_e32 vcc_lo, v8, v2
	global_load_b64 v[5:6], v[3:4], off
	s_waitcnt vmcnt(0)
	v_dual_add_f32 v0, v7, v5 :: v_dual_add_f32 v1, v1, v6
	global_store_b64 v[3:4], v[0:1], off
	s_and_b32 exec_lo, exec_lo, vcc_lo
	s_cbranch_execz .LBB772_15
; %bb.14:
	v_mov_b32_e32 v0, 0
	global_store_b32 v[3:4], v0, off offset:4
.LBB772_15:
	s_nop 0
	s_sendmsg sendmsg(MSG_DEALLOC_VGPRS)
	s_endpgm
	.section	.rodata,"a",@progbits
	.p2align	6, 0x0
	.amdhsa_kernel _ZL37rocblas_syrkx_herkx_restricted_kernelIi19rocblas_complex_numIfELi16ELi32ELi8ELi1ELi1ELb1ELc84ELc76EKPKS1_KPS1_EviT_PT9_S7_lS9_S7_lPT10_S7_li
		.amdhsa_group_segment_fixed_size 4096
		.amdhsa_private_segment_fixed_size 0
		.amdhsa_kernarg_size 84
		.amdhsa_user_sgpr_count 13
		.amdhsa_user_sgpr_dispatch_ptr 0
		.amdhsa_user_sgpr_queue_ptr 0
		.amdhsa_user_sgpr_kernarg_segment_ptr 1
		.amdhsa_user_sgpr_dispatch_id 0
		.amdhsa_user_sgpr_private_segment_size 0
		.amdhsa_wavefront_size32 1
		.amdhsa_uses_dynamic_stack 0
		.amdhsa_enable_private_segment 0
		.amdhsa_system_sgpr_workgroup_id_x 1
		.amdhsa_system_sgpr_workgroup_id_y 1
		.amdhsa_system_sgpr_workgroup_id_z 1
		.amdhsa_system_sgpr_workgroup_info 0
		.amdhsa_system_vgpr_workitem_id 1
		.amdhsa_next_free_vgpr 91
		.amdhsa_next_free_sgpr 17
		.amdhsa_reserve_vcc 1
		.amdhsa_float_round_mode_32 0
		.amdhsa_float_round_mode_16_64 0
		.amdhsa_float_denorm_mode_32 3
		.amdhsa_float_denorm_mode_16_64 3
		.amdhsa_dx10_clamp 1
		.amdhsa_ieee_mode 1
		.amdhsa_fp16_overflow 0
		.amdhsa_workgroup_processor_mode 1
		.amdhsa_memory_ordered 1
		.amdhsa_forward_progress 0
		.amdhsa_shared_vgpr_count 0
		.amdhsa_exception_fp_ieee_invalid_op 0
		.amdhsa_exception_fp_denorm_src 0
		.amdhsa_exception_fp_ieee_div_zero 0
		.amdhsa_exception_fp_ieee_overflow 0
		.amdhsa_exception_fp_ieee_underflow 0
		.amdhsa_exception_fp_ieee_inexact 0
		.amdhsa_exception_int_div_zero 0
	.end_amdhsa_kernel
	.section	.text._ZL37rocblas_syrkx_herkx_restricted_kernelIi19rocblas_complex_numIfELi16ELi32ELi8ELi1ELi1ELb1ELc84ELc76EKPKS1_KPS1_EviT_PT9_S7_lS9_S7_lPT10_S7_li,"axG",@progbits,_ZL37rocblas_syrkx_herkx_restricted_kernelIi19rocblas_complex_numIfELi16ELi32ELi8ELi1ELi1ELb1ELc84ELc76EKPKS1_KPS1_EviT_PT9_S7_lS9_S7_lPT10_S7_li,comdat
.Lfunc_end772:
	.size	_ZL37rocblas_syrkx_herkx_restricted_kernelIi19rocblas_complex_numIfELi16ELi32ELi8ELi1ELi1ELb1ELc84ELc76EKPKS1_KPS1_EviT_PT9_S7_lS9_S7_lPT10_S7_li, .Lfunc_end772-_ZL37rocblas_syrkx_herkx_restricted_kernelIi19rocblas_complex_numIfELi16ELi32ELi8ELi1ELi1ELb1ELc84ELc76EKPKS1_KPS1_EviT_PT9_S7_lS9_S7_lPT10_S7_li
                                        ; -- End function
	.section	.AMDGPU.csdata,"",@progbits
; Kernel info:
; codeLenInByte = 2164
; NumSgprs: 19
; NumVgprs: 91
; ScratchSize: 0
; MemoryBound: 0
; FloatMode: 240
; IeeeMode: 1
; LDSByteSize: 4096 bytes/workgroup (compile time only)
; SGPRBlocks: 2
; VGPRBlocks: 11
; NumSGPRsForWavesPerEU: 19
; NumVGPRsForWavesPerEU: 91
; Occupancy: 16
; WaveLimiterHint : 1
; COMPUTE_PGM_RSRC2:SCRATCH_EN: 0
; COMPUTE_PGM_RSRC2:USER_SGPR: 13
; COMPUTE_PGM_RSRC2:TRAP_HANDLER: 0
; COMPUTE_PGM_RSRC2:TGID_X_EN: 1
; COMPUTE_PGM_RSRC2:TGID_Y_EN: 1
; COMPUTE_PGM_RSRC2:TGID_Z_EN: 1
; COMPUTE_PGM_RSRC2:TIDIG_COMP_CNT: 1
	.section	.text._ZL37rocblas_syrkx_herkx_restricted_kernelIi19rocblas_complex_numIfELi16ELi32ELi8ELi1ELi1ELb1ELc67ELc76EKPKS1_KPS1_EviT_PT9_S7_lS9_S7_lPT10_S7_li,"axG",@progbits,_ZL37rocblas_syrkx_herkx_restricted_kernelIi19rocblas_complex_numIfELi16ELi32ELi8ELi1ELi1ELb1ELc67ELc76EKPKS1_KPS1_EviT_PT9_S7_lS9_S7_lPT10_S7_li,comdat
	.globl	_ZL37rocblas_syrkx_herkx_restricted_kernelIi19rocblas_complex_numIfELi16ELi32ELi8ELi1ELi1ELb1ELc67ELc76EKPKS1_KPS1_EviT_PT9_S7_lS9_S7_lPT10_S7_li ; -- Begin function _ZL37rocblas_syrkx_herkx_restricted_kernelIi19rocblas_complex_numIfELi16ELi32ELi8ELi1ELi1ELb1ELc67ELc76EKPKS1_KPS1_EviT_PT9_S7_lS9_S7_lPT10_S7_li
	.p2align	8
	.type	_ZL37rocblas_syrkx_herkx_restricted_kernelIi19rocblas_complex_numIfELi16ELi32ELi8ELi1ELi1ELb1ELc67ELc76EKPKS1_KPS1_EviT_PT9_S7_lS9_S7_lPT10_S7_li,@function
_ZL37rocblas_syrkx_herkx_restricted_kernelIi19rocblas_complex_numIfELi16ELi32ELi8ELi1ELi1ELb1ELc67ELc76EKPKS1_KPS1_EviT_PT9_S7_lS9_S7_lPT10_S7_li: ; @_ZL37rocblas_syrkx_herkx_restricted_kernelIi19rocblas_complex_numIfELi16ELi32ELi8ELi1ELi1ELb1ELc67ELc76EKPKS1_KPS1_EviT_PT9_S7_lS9_S7_lPT10_S7_li
; %bb.0:
	s_clause 0x1
	s_load_b64 s[2:3], s[0:1], 0x38
	s_load_b64 s[4:5], s[0:1], 0x0
	s_mov_b32 s6, s15
	s_mov_b32 s7, 0
	v_dual_mov_b32 v17, 0 :: v_dual_and_b32 v6, 0x3ff, v0
	s_lshl_b64 s[8:9], s[6:7], 3
	v_bfe_u32 v8, v0, 10, 10
	v_dual_mov_b32 v16, 0 :: v_dual_mov_b32 v13, 0
	v_dual_mov_b32 v12, 0 :: v_dual_mov_b32 v9, 0
	;; [unrolled: 1-line block ×3, first 2 shown]
	v_mov_b32_e32 v1, 0
	s_waitcnt lgkmcnt(0)
	s_add_u32 s2, s2, s8
	s_addc_u32 s3, s3, s9
	s_lshl_b32 s6, s13, 5
	s_load_b64 s[2:3], s[2:3], 0x0
	s_lshl_b32 s10, s14, 5
	s_cmp_lt_i32 s5, 1
	s_cbranch_scc1 .LBB773_3
; %bb.1:
	s_clause 0x3
	s_load_b64 s[12:13], s[0:1], 0x8
	s_load_b64 s[14:15], s[0:1], 0x20
	s_load_b32 s11, s[0:1], 0x10
	s_load_b32 s16, s[0:1], 0x28
	v_lshl_add_u32 v2, v8, 4, v6
	v_dual_mov_b32 v1, 0 :: v_dual_and_b32 v0, 7, v6
	v_lshlrev_b32_e32 v10, 3, v6
	v_lshl_add_u32 v11, v8, 6, 0x800
	s_delay_alu instid0(VALU_DEP_4)
	v_and_b32_e32 v14, 31, v2
	v_lshrrev_b32_e32 v9, 3, v2
	v_lshrrev_b32_e32 v2, 5, v2
	v_mov_b32_e32 v3, v1
	v_mov_b32_e32 v17, v1
	v_add_nc_u32_e32 v7, s6, v14
	v_dual_mov_b32 v16, v1 :: v_dual_add_nc_u32 v15, s10, v9
	s_waitcnt lgkmcnt(0)
	s_add_u32 s12, s12, s8
	s_addc_u32 s13, s13, s9
	s_add_u32 s8, s14, s8
	s_load_b64 s[12:13], s[12:13], 0x0
	s_addc_u32 s9, s15, s9
	v_mad_i64_i32 v[4:5], null, s11, v7, v[2:3]
	s_load_b64 s[8:9], s[8:9], 0x0
	v_lshlrev_b32_e32 v3, 3, v0
	v_mad_i64_i32 v[12:13], null, s16, v15, v[0:1]
	v_dual_mov_b32 v7, v1 :: v_dual_lshlrev_b32 v14, 3, v14
	s_delay_alu instid0(VALU_DEP_3)
	v_lshl_or_b32 v15, v9, 6, v3
	v_mov_b32_e32 v9, v1
	v_lshlrev_b64 v[3:4], 3, v[4:5]
	v_mov_b32_e32 v0, v1
	v_lshlrev_b64 v[12:13], 3, v[12:13]
	v_lshl_or_b32 v14, v2, 8, v14
	v_add_nc_u32_e32 v15, 0x800, v15
	s_waitcnt lgkmcnt(0)
	v_add_co_u32 v2, vcc_lo, v3, s12
	v_add_co_ci_u32_e32 v3, vcc_lo, s13, v4, vcc_lo
	v_add_co_u32 v4, vcc_lo, v12, s8
	v_add_co_ci_u32_e32 v5, vcc_lo, s9, v13, vcc_lo
	s_delay_alu instid0(VALU_DEP_4) | instskip(NEXT) | instid1(VALU_DEP_4)
	v_add_co_u32 v2, vcc_lo, v2, 4
	v_add_co_ci_u32_e32 v3, vcc_lo, 0, v3, vcc_lo
	s_delay_alu instid0(VALU_DEP_4) | instskip(NEXT) | instid1(VALU_DEP_4)
	v_add_co_u32 v4, vcc_lo, v4, 4
	v_add_co_ci_u32_e32 v5, vcc_lo, 0, v5, vcc_lo
	v_mov_b32_e32 v12, v1
	v_mov_b32_e32 v13, v1
.LBB773_2:                              ; =>This Inner Loop Header: Depth=1
	global_load_b64 v[18:19], v[2:3], off offset:-4
	global_load_b64 v[20:21], v[4:5], off offset:-4
	v_add_co_u32 v2, vcc_lo, v2, 64
	v_add_co_ci_u32_e32 v3, vcc_lo, 0, v3, vcc_lo
	v_add_co_u32 v4, vcc_lo, v4, 64
	v_add_co_ci_u32_e32 v5, vcc_lo, 0, v5, vcc_lo
	s_add_i32 s7, s7, 8
	s_delay_alu instid0(SALU_CYCLE_1)
	s_cmp_ge_i32 s7, s5
	s_waitcnt vmcnt(1)
	v_xor_b32_e32 v19, 0x80000000, v19
	ds_store_b64 v14, v[18:19]
	s_waitcnt vmcnt(0)
	ds_store_b64 v15, v[20:21]
	s_waitcnt lgkmcnt(0)
	s_barrier
	buffer_gl0_inv
	ds_load_2addr_b64 v[18:21], v10 offset1:16
	ds_load_b128 v[22:25], v11
	ds_load_b128 v[26:29], v11 offset:1024
	ds_load_b128 v[30:33], v11 offset:16
	ds_load_2addr_b64 v[34:37], v10 offset0:32 offset1:48
	ds_load_b128 v[38:41], v11 offset:32
	ds_load_b128 v[42:45], v11 offset:48
	ds_load_2addr_b64 v[46:49], v10 offset0:64 offset1:80
	ds_load_b128 v[50:53], v11 offset:1040
	ds_load_2addr_b64 v[54:57], v10 offset0:96 offset1:112
	ds_load_2addr_b64 v[58:61], v10 offset0:128 offset1:144
	;; [unrolled: 1-line block ×4, first 2 shown]
	ds_load_b128 v[70:73], v11 offset:1056
	ds_load_b128 v[74:77], v11 offset:1072
	ds_load_2addr_b64 v[78:81], v10 offset0:224 offset1:240
	s_waitcnt lgkmcnt(0)
	s_barrier
	buffer_gl0_inv
	v_dual_mul_f32 v82, v23, v19 :: v_dual_mul_f32 v85, v22, v21
	v_dual_mul_f32 v83, v22, v19 :: v_dual_mul_f32 v84, v23, v21
	v_mul_f32_e32 v86, v27, v19
	v_dual_mul_f32 v19, v26, v19 :: v_dual_mul_f32 v90, v25, v37
	v_dual_mul_f32 v87, v27, v21 :: v_dual_mul_f32 v88, v25, v35
	v_mul_f32_e32 v21, v26, v21
	v_fma_f32 v82, v22, v18, -v82
	v_fmac_f32_e32 v83, v23, v18
	v_fma_f32 v22, v22, v20, -v84
	v_fmac_f32_e32 v85, v23, v20
	v_fma_f32 v23, v26, v18, -v86
	v_dual_fmac_f32 v19, v27, v18 :: v_dual_mul_f32 v86, v30, v47
	v_fma_f32 v18, v26, v20, -v87
	v_dual_fmac_f32 v21, v27, v20 :: v_dual_mul_f32 v20, v24, v37
	v_mul_f32_e32 v89, v24, v35
	v_mul_f32_e32 v26, v29, v35
	;; [unrolled: 1-line block ×4, first 2 shown]
	v_fmac_f32_e32 v20, v25, v36
	v_fmac_f32_e32 v89, v25, v34
	v_dual_mul_f32 v25, v28, v37 :: v_dual_fmac_f32 v86, v31, v46
	v_fma_f32 v84, v24, v34, -v88
	v_fma_f32 v24, v24, v36, -v90
	v_dual_mul_f32 v37, v31, v47 :: v_dual_mul_f32 v90, v33, v57
	v_fma_f32 v26, v28, v34, -v26
	v_fma_f32 v28, v28, v36, -v35
	v_fmac_f32_e32 v25, v29, v36
	v_dual_mul_f32 v35, v50, v47 :: v_dual_mul_f32 v36, v51, v49
	v_dual_fmac_f32 v27, v29, v34 :: v_dual_mul_f32 v34, v51, v47
	v_dual_mul_f32 v88, v32, v55 :: v_dual_mul_f32 v29, v30, v49
	v_mul_f32_e32 v87, v31, v49
	v_fma_f32 v37, v30, v46, -v37
	v_add_f32_e32 v16, v16, v82
	s_delay_alu instid0(VALU_DEP_4)
	v_dual_fmac_f32 v88, v33, v54 :: v_dual_fmac_f32 v29, v31, v48
	v_fma_f32 v31, v50, v46, -v34
	v_fma_f32 v34, v50, v48, -v36
	v_mul_f32_e32 v36, v32, v57
	v_mul_f32_e32 v47, v50, v49
	v_dual_mul_f32 v50, v53, v57 :: v_dual_fmac_f32 v35, v51, v46
	v_mul_f32_e32 v46, v53, v55
	v_mul_f32_e32 v49, v33, v55
	v_fma_f32 v30, v30, v48, -v87
	v_fmac_f32_e32 v36, v33, v56
	v_dual_fmac_f32 v47, v51, v48 :: v_dual_mul_f32 v48, v52, v55
	v_mul_f32_e32 v33, v52, v57
	v_fma_f32 v46, v52, v54, -v46
	v_fma_f32 v50, v52, v56, -v50
	v_mul_f32_e32 v52, v38, v61
	v_fma_f32 v49, v32, v54, -v49
	v_fma_f32 v32, v32, v56, -v90
	v_dual_mul_f32 v51, v39, v59 :: v_dual_fmac_f32 v48, v53, v54
	v_mul_f32_e32 v54, v70, v59
	v_dual_mul_f32 v55, v38, v59 :: v_dual_fmac_f32 v52, v39, v60
	v_fmac_f32_e32 v33, v53, v56
	v_mul_f32_e32 v53, v71, v59
	v_mul_f32_e32 v56, v71, v61
	;; [unrolled: 1-line block ×3, first 2 shown]
	v_fmac_f32_e32 v54, v71, v58
	v_fmac_f32_e32 v55, v39, v58
	v_fma_f32 v39, v70, v58, -v53
	v_fma_f32 v53, v70, v60, -v56
	v_mul_f32_e32 v56, v40, v65
	v_mul_f32_e32 v59, v70, v61
	v_fma_f32 v51, v38, v58, -v51
	v_mul_f32_e32 v58, v72, v63
	v_mul_f32_e32 v87, v40, v63
	;; [unrolled: 1-line block ×4, first 2 shown]
	v_fma_f32 v38, v38, v60, -v57
	v_mul_f32_e32 v57, v73, v63
	v_fmac_f32_e32 v56, v41, v64
	v_dual_fmac_f32 v59, v71, v60 :: v_dual_mul_f32 v60, v73, v65
	v_mul_f32_e32 v63, v43, v67
	v_mul_f32_e32 v70, v43, v69
	v_fmac_f32_e32 v58, v73, v62
	v_fmac_f32_e32 v87, v41, v62
	v_mul_f32_e32 v41, v72, v65
	v_fma_f32 v61, v40, v62, -v61
	v_fma_f32 v40, v40, v64, -v90
	v_mul_f32_e32 v65, v42, v67
	v_fma_f32 v57, v72, v62, -v57
	v_fma_f32 v60, v72, v64, -v60
	v_dual_fmac_f32 v41, v73, v64 :: v_dual_mul_f32 v62, v42, v69
	v_mul_f32_e32 v64, v75, v67
	v_fma_f32 v63, v42, v66, -v63
	v_fma_f32 v42, v42, v68, -v70
	v_mul_f32_e32 v70, v76, v79
	v_mul_f32_e32 v67, v74, v67
	;; [unrolled: 1-line block ×4, first 2 shown]
	v_dual_fmac_f32 v65, v43, v66 :: v_dual_add_f32 v12, v12, v85
	v_fmac_f32_e32 v62, v43, v68
	v_fma_f32 v43, v74, v66, -v64
	v_fmac_f32_e32 v70, v77, v78
	v_dual_fmac_f32 v67, v75, v66 :: v_dual_add_f32 v16, v16, v84
	v_mul_f32_e32 v66, v44, v81
	v_dual_mul_f32 v69, v74, v69 :: v_dual_add_f32 v0, v0, v19
	v_mul_f32_e32 v72, v45, v79
	v_mul_f32_e32 v90, v45, v81
	v_fma_f32 v64, v74, v68, -v71
	v_dual_mul_f32 v71, v77, v81 :: v_dual_add_f32 v12, v12, v20
	v_dual_fmac_f32 v73, v45, v78 :: v_dual_add_f32 v16, v16, v37
	v_dual_fmac_f32 v66, v45, v80 :: v_dual_mul_f32 v45, v76, v81
	v_dual_fmac_f32 v69, v75, v68 :: v_dual_add_f32 v0, v0, v27
	s_delay_alu instid0(VALU_DEP_4) | instskip(NEXT) | instid1(VALU_DEP_3)
	v_dual_add_f32 v12, v12, v29 :: v_dual_add_f32 v17, v17, v83
	v_dual_add_f32 v16, v16, v49 :: v_dual_fmac_f32 v45, v77, v80
	s_delay_alu instid0(VALU_DEP_3) | instskip(NEXT) | instid1(VALU_DEP_3)
	v_dual_add_f32 v13, v13, v22 :: v_dual_add_f32 v0, v0, v35
	v_dual_add_f32 v9, v9, v23 :: v_dual_add_f32 v12, v12, v36
	v_add_f32_e32 v7, v7, v18
	s_delay_alu instid0(VALU_DEP_4) | instskip(NEXT) | instid1(VALU_DEP_3)
	v_dual_add_f32 v1, v1, v21 :: v_dual_add_f32 v16, v16, v51
	v_dual_add_f32 v17, v17, v89 :: v_dual_add_f32 v12, v12, v52
	v_add_f32_e32 v0, v0, v48
	v_add_f32_e32 v13, v13, v24
	s_delay_alu instid0(VALU_DEP_4) | instskip(NEXT) | instid1(VALU_DEP_4)
	v_dual_add_f32 v9, v9, v26 :: v_dual_add_f32 v16, v16, v61
	v_dual_add_f32 v1, v1, v25 :: v_dual_add_f32 v12, v12, v56
	s_delay_alu instid0(VALU_DEP_4) | instskip(SKIP_1) | instid1(VALU_DEP_4)
	v_dual_add_f32 v0, v0, v54 :: v_dual_add_f32 v7, v7, v28
	v_fma_f32 v72, v44, v78, -v72
	v_dual_add_f32 v17, v17, v86 :: v_dual_add_f32 v16, v16, v63
	s_delay_alu instid0(VALU_DEP_4) | instskip(NEXT) | instid1(VALU_DEP_4)
	v_dual_add_f32 v9, v9, v31 :: v_dual_add_f32 v12, v12, v62
	v_dual_add_f32 v1, v1, v47 :: v_dual_add_f32 v0, v0, v58
	v_add_f32_e32 v13, v13, v30
	s_delay_alu instid0(VALU_DEP_4) | instskip(NEXT) | instid1(VALU_DEP_3)
	v_dual_add_f32 v7, v7, v34 :: v_dual_add_f32 v16, v16, v72
	v_dual_add_f32 v9, v9, v46 :: v_dual_add_f32 v0, v0, v67
	v_add_f32_e32 v17, v17, v88
	s_delay_alu instid0(VALU_DEP_4) | instskip(NEXT) | instid1(VALU_DEP_4)
	v_add_f32_e32 v13, v13, v32
	v_add_f32_e32 v7, v7, v50
	;; [unrolled: 1-line block ×3, first 2 shown]
	v_dual_add_f32 v0, v0, v70 :: v_dual_add_f32 v1, v1, v33
	v_add_f32_e32 v17, v17, v55
	v_add_f32_e32 v13, v13, v38
	;; [unrolled: 1-line block ×5, first 2 shown]
	v_mul_f32_e32 v68, v77, v79
	v_add_f32_e32 v17, v17, v87
	v_add_f32_e32 v13, v13, v40
	v_add_f32_e32 v9, v9, v57
	v_add_f32_e32 v7, v7, v60
	v_add_f32_e32 v1, v1, v41
	v_fma_f32 v44, v44, v80, -v90
	v_fma_f32 v68, v76, v78, -v68
	v_fma_f32 v71, v76, v80, -v71
	v_add_f32_e32 v17, v17, v65
	v_add_f32_e32 v13, v13, v42
	;; [unrolled: 1-line block ×10, first 2 shown]
	s_cbranch_scc0 .LBB773_2
.LBB773_3:
	s_load_b32 s5, s[0:1], 0x40
	v_add_nc_u32_e32 v8, s10, v8
	v_add_nc_u32_e32 v2, s6, v6
	s_delay_alu instid0(VALU_DEP_1) | instskip(SKIP_1) | instid1(VALU_DEP_2)
	v_cmp_le_i32_e64 s0, v8, v2
	v_cmp_gt_i32_e32 vcc_lo, s4, v2
	s_and_b32 s0, s0, vcc_lo
	s_waitcnt lgkmcnt(0)
	v_mad_i64_i32 v[3:4], null, v8, s5, 0
	s_delay_alu instid0(VALU_DEP_1) | instskip(NEXT) | instid1(VALU_DEP_1)
	v_lshlrev_b64 v[3:4], 3, v[3:4]
	v_add_co_u32 v6, s1, s2, v3
	s_delay_alu instid0(VALU_DEP_1)
	v_add_co_ci_u32_e64 v10, s1, s3, v4, s1
	s_and_saveexec_b32 s1, s0
	s_cbranch_execz .LBB773_6
; %bb.4:
	v_ashrrev_i32_e32 v3, 31, v2
	s_delay_alu instid0(VALU_DEP_1) | instskip(NEXT) | instid1(VALU_DEP_1)
	v_lshlrev_b64 v[3:4], 3, v[2:3]
	v_add_co_u32 v3, s0, v6, v3
	s_delay_alu instid0(VALU_DEP_1)
	v_add_co_ci_u32_e64 v4, s0, v10, v4, s0
	v_cmp_eq_u32_e64 s0, v8, v2
	global_load_b64 v[14:15], v[3:4], off
	s_waitcnt vmcnt(0)
	v_dual_add_f32 v14, v16, v14 :: v_dual_add_f32 v15, v17, v15
	global_store_b64 v[3:4], v[14:15], off
	s_and_b32 exec_lo, exec_lo, s0
	s_cbranch_execz .LBB773_6
; %bb.5:
	v_mov_b32_e32 v5, 0
	global_store_b32 v[3:4], v5, off offset:4
.LBB773_6:
	s_or_b32 exec_lo, exec_lo, s1
	v_add_nc_u32_e32 v4, 16, v2
	s_delay_alu instid0(VALU_DEP_1) | instskip(SKIP_1) | instid1(VALU_DEP_1)
	v_cmp_le_i32_e64 s1, v8, v4
	v_cmp_gt_i32_e64 s0, s4, v4
	s_and_b32 s1, s1, s0
	s_delay_alu instid0(SALU_CYCLE_1)
	s_and_saveexec_b32 s4, s1
	s_cbranch_execz .LBB773_9
; %bb.7:
	v_ashrrev_i32_e32 v5, 31, v4
	s_delay_alu instid0(VALU_DEP_1) | instskip(NEXT) | instid1(VALU_DEP_1)
	v_lshlrev_b64 v[14:15], 3, v[4:5]
	v_add_co_u32 v5, s1, v6, v14
	s_delay_alu instid0(VALU_DEP_1)
	v_add_co_ci_u32_e64 v6, s1, v10, v15, s1
	v_cmp_eq_u32_e64 s1, v8, v4
	global_load_b64 v[10:11], v[5:6], off
	s_waitcnt vmcnt(0)
	v_dual_add_f32 v10, v13, v10 :: v_dual_add_f32 v11, v12, v11
	global_store_b64 v[5:6], v[10:11], off
	s_and_b32 exec_lo, exec_lo, s1
	s_cbranch_execz .LBB773_9
; %bb.8:
	v_mov_b32_e32 v3, 0
	global_store_b32 v[5:6], v3, off offset:4
.LBB773_9:
	s_or_b32 exec_lo, exec_lo, s4
	v_add_nc_u32_e32 v12, 16, v8
	s_delay_alu instid0(VALU_DEP_1) | instskip(SKIP_1) | instid1(VALU_DEP_2)
	v_mad_i64_i32 v[5:6], null, v12, s5, 0
	v_cmp_le_i32_e64 s1, v12, v2
	v_lshlrev_b64 v[5:6], 3, v[5:6]
	s_delay_alu instid0(VALU_DEP_1) | instskip(NEXT) | instid1(VALU_DEP_1)
	v_add_co_u32 v10, s2, s2, v5
	v_add_co_ci_u32_e64 v11, s2, s3, v6, s2
	s_delay_alu instid0(VALU_DEP_4) | instskip(NEXT) | instid1(SALU_CYCLE_1)
	s_and_b32 s2, s1, vcc_lo
	s_and_saveexec_b32 s1, s2
	s_cbranch_execz .LBB773_12
; %bb.10:
	v_ashrrev_i32_e32 v3, 31, v2
	s_delay_alu instid0(VALU_DEP_1) | instskip(NEXT) | instid1(VALU_DEP_1)
	v_lshlrev_b64 v[5:6], 3, v[2:3]
	v_add_co_u32 v5, vcc_lo, v10, v5
	s_delay_alu instid0(VALU_DEP_2)
	v_add_co_ci_u32_e32 v6, vcc_lo, v11, v6, vcc_lo
	v_cmp_eq_u32_e32 vcc_lo, v12, v2
	global_load_b64 v[13:14], v[5:6], off
	s_waitcnt vmcnt(0)
	v_dual_add_f32 v13, v9, v13 :: v_dual_add_f32 v14, v0, v14
	global_store_b64 v[5:6], v[13:14], off
	s_and_b32 exec_lo, exec_lo, vcc_lo
	s_cbranch_execz .LBB773_12
; %bb.11:
	v_mov_b32_e32 v0, 0
	global_store_b32 v[5:6], v0, off offset:4
.LBB773_12:
	s_or_b32 exec_lo, exec_lo, s1
	v_cmp_le_i32_e32 vcc_lo, v12, v4
	s_and_b32 s0, vcc_lo, s0
	s_delay_alu instid0(SALU_CYCLE_1)
	s_and_saveexec_b32 s1, s0
	s_cbranch_execz .LBB773_15
; %bb.13:
	v_ashrrev_i32_e32 v5, 31, v4
	s_delay_alu instid0(VALU_DEP_1) | instskip(NEXT) | instid1(VALU_DEP_1)
	v_lshlrev_b64 v[3:4], 3, v[4:5]
	v_add_co_u32 v3, vcc_lo, v10, v3
	s_delay_alu instid0(VALU_DEP_2)
	v_add_co_ci_u32_e32 v4, vcc_lo, v11, v4, vcc_lo
	v_cmp_eq_u32_e32 vcc_lo, v8, v2
	global_load_b64 v[5:6], v[3:4], off
	s_waitcnt vmcnt(0)
	v_dual_add_f32 v0, v7, v5 :: v_dual_add_f32 v1, v1, v6
	global_store_b64 v[3:4], v[0:1], off
	s_and_b32 exec_lo, exec_lo, vcc_lo
	s_cbranch_execz .LBB773_15
; %bb.14:
	v_mov_b32_e32 v0, 0
	global_store_b32 v[3:4], v0, off offset:4
.LBB773_15:
	s_nop 0
	s_sendmsg sendmsg(MSG_DEALLOC_VGPRS)
	s_endpgm
	.section	.rodata,"a",@progbits
	.p2align	6, 0x0
	.amdhsa_kernel _ZL37rocblas_syrkx_herkx_restricted_kernelIi19rocblas_complex_numIfELi16ELi32ELi8ELi1ELi1ELb1ELc67ELc76EKPKS1_KPS1_EviT_PT9_S7_lS9_S7_lPT10_S7_li
		.amdhsa_group_segment_fixed_size 4096
		.amdhsa_private_segment_fixed_size 0
		.amdhsa_kernarg_size 84
		.amdhsa_user_sgpr_count 13
		.amdhsa_user_sgpr_dispatch_ptr 0
		.amdhsa_user_sgpr_queue_ptr 0
		.amdhsa_user_sgpr_kernarg_segment_ptr 1
		.amdhsa_user_sgpr_dispatch_id 0
		.amdhsa_user_sgpr_private_segment_size 0
		.amdhsa_wavefront_size32 1
		.amdhsa_uses_dynamic_stack 0
		.amdhsa_enable_private_segment 0
		.amdhsa_system_sgpr_workgroup_id_x 1
		.amdhsa_system_sgpr_workgroup_id_y 1
		.amdhsa_system_sgpr_workgroup_id_z 1
		.amdhsa_system_sgpr_workgroup_info 0
		.amdhsa_system_vgpr_workitem_id 1
		.amdhsa_next_free_vgpr 91
		.amdhsa_next_free_sgpr 17
		.amdhsa_reserve_vcc 1
		.amdhsa_float_round_mode_32 0
		.amdhsa_float_round_mode_16_64 0
		.amdhsa_float_denorm_mode_32 3
		.amdhsa_float_denorm_mode_16_64 3
		.amdhsa_dx10_clamp 1
		.amdhsa_ieee_mode 1
		.amdhsa_fp16_overflow 0
		.amdhsa_workgroup_processor_mode 1
		.amdhsa_memory_ordered 1
		.amdhsa_forward_progress 0
		.amdhsa_shared_vgpr_count 0
		.amdhsa_exception_fp_ieee_invalid_op 0
		.amdhsa_exception_fp_denorm_src 0
		.amdhsa_exception_fp_ieee_div_zero 0
		.amdhsa_exception_fp_ieee_overflow 0
		.amdhsa_exception_fp_ieee_underflow 0
		.amdhsa_exception_fp_ieee_inexact 0
		.amdhsa_exception_int_div_zero 0
	.end_amdhsa_kernel
	.section	.text._ZL37rocblas_syrkx_herkx_restricted_kernelIi19rocblas_complex_numIfELi16ELi32ELi8ELi1ELi1ELb1ELc67ELc76EKPKS1_KPS1_EviT_PT9_S7_lS9_S7_lPT10_S7_li,"axG",@progbits,_ZL37rocblas_syrkx_herkx_restricted_kernelIi19rocblas_complex_numIfELi16ELi32ELi8ELi1ELi1ELb1ELc67ELc76EKPKS1_KPS1_EviT_PT9_S7_lS9_S7_lPT10_S7_li,comdat
.Lfunc_end773:
	.size	_ZL37rocblas_syrkx_herkx_restricted_kernelIi19rocblas_complex_numIfELi16ELi32ELi8ELi1ELi1ELb1ELc67ELc76EKPKS1_KPS1_EviT_PT9_S7_lS9_S7_lPT10_S7_li, .Lfunc_end773-_ZL37rocblas_syrkx_herkx_restricted_kernelIi19rocblas_complex_numIfELi16ELi32ELi8ELi1ELi1ELb1ELc67ELc76EKPKS1_KPS1_EviT_PT9_S7_lS9_S7_lPT10_S7_li
                                        ; -- End function
	.section	.AMDGPU.csdata,"",@progbits
; Kernel info:
; codeLenInByte = 2176
; NumSgprs: 19
; NumVgprs: 91
; ScratchSize: 0
; MemoryBound: 0
; FloatMode: 240
; IeeeMode: 1
; LDSByteSize: 4096 bytes/workgroup (compile time only)
; SGPRBlocks: 2
; VGPRBlocks: 11
; NumSGPRsForWavesPerEU: 19
; NumVGPRsForWavesPerEU: 91
; Occupancy: 16
; WaveLimiterHint : 1
; COMPUTE_PGM_RSRC2:SCRATCH_EN: 0
; COMPUTE_PGM_RSRC2:USER_SGPR: 13
; COMPUTE_PGM_RSRC2:TRAP_HANDLER: 0
; COMPUTE_PGM_RSRC2:TGID_X_EN: 1
; COMPUTE_PGM_RSRC2:TGID_Y_EN: 1
; COMPUTE_PGM_RSRC2:TGID_Z_EN: 1
; COMPUTE_PGM_RSRC2:TIDIG_COMP_CNT: 1
	.section	.text._ZL37rocblas_syrkx_herkx_restricted_kernelIi19rocblas_complex_numIfELi16ELi32ELi8ELi1ELi1ELb1ELc78ELc76EKPKS1_KPS1_EviT_PT9_S7_lS9_S7_lPT10_S7_li,"axG",@progbits,_ZL37rocblas_syrkx_herkx_restricted_kernelIi19rocblas_complex_numIfELi16ELi32ELi8ELi1ELi1ELb1ELc78ELc76EKPKS1_KPS1_EviT_PT9_S7_lS9_S7_lPT10_S7_li,comdat
	.globl	_ZL37rocblas_syrkx_herkx_restricted_kernelIi19rocblas_complex_numIfELi16ELi32ELi8ELi1ELi1ELb1ELc78ELc76EKPKS1_KPS1_EviT_PT9_S7_lS9_S7_lPT10_S7_li ; -- Begin function _ZL37rocblas_syrkx_herkx_restricted_kernelIi19rocblas_complex_numIfELi16ELi32ELi8ELi1ELi1ELb1ELc78ELc76EKPKS1_KPS1_EviT_PT9_S7_lS9_S7_lPT10_S7_li
	.p2align	8
	.type	_ZL37rocblas_syrkx_herkx_restricted_kernelIi19rocblas_complex_numIfELi16ELi32ELi8ELi1ELi1ELb1ELc78ELc76EKPKS1_KPS1_EviT_PT9_S7_lS9_S7_lPT10_S7_li,@function
_ZL37rocblas_syrkx_herkx_restricted_kernelIi19rocblas_complex_numIfELi16ELi32ELi8ELi1ELi1ELb1ELc78ELc76EKPKS1_KPS1_EviT_PT9_S7_lS9_S7_lPT10_S7_li: ; @_ZL37rocblas_syrkx_herkx_restricted_kernelIi19rocblas_complex_numIfELi16ELi32ELi8ELi1ELi1ELb1ELc78ELc76EKPKS1_KPS1_EviT_PT9_S7_lS9_S7_lPT10_S7_li
; %bb.0:
	s_clause 0x1
	s_load_b64 s[2:3], s[0:1], 0x38
	s_load_b64 s[4:5], s[0:1], 0x0
	s_mov_b32 s6, s15
	s_mov_b32 s7, 0
	v_dual_mov_b32 v17, 0 :: v_dual_and_b32 v4, 0x3ff, v0
	s_lshl_b64 s[8:9], s[6:7], 3
	v_bfe_u32 v5, v0, 10, 10
	v_dual_mov_b32 v16, 0 :: v_dual_mov_b32 v11, 0
	v_dual_mov_b32 v12, 0 :: v_dual_mov_b32 v9, 0
	;; [unrolled: 1-line block ×3, first 2 shown]
	v_mov_b32_e32 v6, 0
	s_waitcnt lgkmcnt(0)
	s_add_u32 s2, s2, s8
	s_addc_u32 s3, s3, s9
	s_lshl_b32 s6, s13, 5
	s_load_b64 s[2:3], s[2:3], 0x0
	s_lshl_b32 s12, s14, 5
	s_cmp_lt_i32 s5, 1
	s_cbranch_scc1 .LBB774_3
; %bb.1:
	s_clause 0x3
	s_load_b32 s10, s[0:1], 0x10
	s_load_b32 s14, s[0:1], 0x28
	s_load_b64 s[16:17], s[0:1], 0x8
	s_load_b64 s[18:19], s[0:1], 0x20
	v_lshl_add_u32 v0, v5, 4, v4
	v_and_b32_e32 v11, 7, v4
	v_lshlrev_b32_e32 v10, 3, v4
	v_lshl_add_u32 v13, v5, 6, 0x800
	v_mov_b32_e32 v17, 0
	v_and_b32_e32 v9, 31, v0
	v_lshrrev_b32_e32 v6, 3, v0
	v_lshrrev_b32_e32 v12, 5, v0
	v_mov_b32_e32 v16, 0
	s_delay_alu instid0(VALU_DEP_4) | instskip(NEXT) | instid1(VALU_DEP_4)
	v_add_nc_u32_e32 v2, s6, v9
	v_add_nc_u32_e32 v0, s12, v6
	s_delay_alu instid0(VALU_DEP_2)
	v_ashrrev_i32_e32 v3, 31, v2
	s_waitcnt lgkmcnt(0)
	s_ashr_i32 s11, s10, 31
	s_ashr_i32 s15, s14, 31
	s_add_u32 s16, s16, s8
	s_addc_u32 s17, s17, s9
	s_add_u32 s8, s18, s8
	s_load_b64 s[16:17], s[16:17], 0x0
	s_addc_u32 s9, s19, s9
	v_ashrrev_i32_e32 v1, 31, v0
	s_load_b64 s[8:9], s[8:9], 0x0
	v_mad_i64_i32 v[7:8], null, s10, v12, v[2:3]
	s_delay_alu instid0(VALU_DEP_2) | instskip(NEXT) | instid1(VALU_DEP_2)
	v_mad_i64_i32 v[2:3], null, s14, v11, v[0:1]
	v_lshlrev_b64 v[0:1], 3, v[7:8]
	v_mov_b32_e32 v8, 0
	v_lshlrev_b32_e32 v14, 3, v11
	s_delay_alu instid0(VALU_DEP_4) | instskip(SKIP_1) | instid1(VALU_DEP_3)
	v_lshlrev_b64 v[2:3], 3, v[2:3]
	v_mov_b32_e32 v7, 0
	v_lshl_or_b32 v11, v6, 6, v14
	s_waitcnt lgkmcnt(0)
	v_add_co_u32 v0, vcc_lo, v0, s16
	v_add_co_ci_u32_e32 v1, vcc_lo, s17, v1, vcc_lo
	v_add_co_u32 v2, vcc_lo, v2, s8
	v_add_co_ci_u32_e32 v3, vcc_lo, s9, v3, vcc_lo
	v_dual_mov_b32 v6, 0 :: v_dual_lshlrev_b32 v9, 3, v9
	v_add_co_u32 v0, vcc_lo, v0, 4
	v_add_co_ci_u32_e32 v1, vcc_lo, 0, v1, vcc_lo
	v_add_co_u32 v2, vcc_lo, v2, 4
	s_delay_alu instid0(VALU_DEP_4)
	v_lshl_or_b32 v14, v12, 8, v9
	v_dual_mov_b32 v12, 0 :: v_dual_add_nc_u32 v15, 0x800, v11
	v_add_co_ci_u32_e32 v3, vcc_lo, 0, v3, vcc_lo
	v_mov_b32_e32 v9, 0
	v_mov_b32_e32 v11, 0
	s_lshl_b64 s[8:9], s[10:11], 6
	s_lshl_b64 s[10:11], s[14:15], 6
.LBB774_2:                              ; =>This Inner Loop Header: Depth=1
	global_load_b64 v[18:19], v[2:3], off offset:-4
	global_load_b64 v[20:21], v[0:1], off offset:-4
	v_add_co_u32 v0, vcc_lo, v0, s8
	v_add_co_ci_u32_e32 v1, vcc_lo, s9, v1, vcc_lo
	v_add_co_u32 v2, vcc_lo, v2, s10
	v_add_co_ci_u32_e32 v3, vcc_lo, s11, v3, vcc_lo
	s_add_i32 s7, s7, 8
	s_delay_alu instid0(SALU_CYCLE_1)
	s_cmp_ge_i32 s7, s5
	s_waitcnt vmcnt(1)
	v_xor_b32_e32 v19, 0x80000000, v19
	s_waitcnt vmcnt(0)
	ds_store_b64 v14, v[20:21]
	ds_store_b64 v15, v[18:19]
	s_waitcnt lgkmcnt(0)
	s_barrier
	buffer_gl0_inv
	ds_load_2addr_b64 v[18:21], v10 offset1:16
	ds_load_b128 v[22:25], v13
	ds_load_b128 v[26:29], v13 offset:1024
	ds_load_b128 v[30:33], v13 offset:16
	ds_load_2addr_b64 v[34:37], v10 offset0:32 offset1:48
	ds_load_b128 v[38:41], v13 offset:32
	ds_load_b128 v[42:45], v13 offset:48
	ds_load_2addr_b64 v[46:49], v10 offset0:64 offset1:80
	ds_load_b128 v[50:53], v13 offset:1040
	ds_load_2addr_b64 v[54:57], v10 offset0:96 offset1:112
	ds_load_2addr_b64 v[58:61], v10 offset0:128 offset1:144
	;; [unrolled: 1-line block ×4, first 2 shown]
	ds_load_b128 v[70:73], v13 offset:1056
	ds_load_b128 v[74:77], v13 offset:1072
	ds_load_2addr_b64 v[78:81], v10 offset0:224 offset1:240
	s_waitcnt lgkmcnt(0)
	s_barrier
	buffer_gl0_inv
	v_dual_mul_f32 v82, v23, v19 :: v_dual_mul_f32 v85, v22, v21
	v_dual_mul_f32 v83, v22, v19 :: v_dual_mul_f32 v84, v23, v21
	v_mul_f32_e32 v86, v27, v19
	v_dual_mul_f32 v19, v26, v19 :: v_dual_mul_f32 v90, v25, v37
	v_dual_mul_f32 v87, v27, v21 :: v_dual_mul_f32 v88, v25, v35
	v_mul_f32_e32 v21, v26, v21
	v_mul_f32_e32 v89, v24, v35
	;; [unrolled: 1-line block ×3, first 2 shown]
	v_fma_f32 v82, v22, v18, -v82
	v_fmac_f32_e32 v83, v23, v18
	v_fma_f32 v22, v22, v20, -v84
	v_dual_fmac_f32 v85, v23, v20 :: v_dual_mul_f32 v84, v30, v47
	v_fma_f32 v23, v26, v18, -v86
	v_fmac_f32_e32 v19, v27, v18
	v_fma_f32 v18, v26, v20, -v87
	v_dual_mul_f32 v26, v28, v35 :: v_dual_fmac_f32 v21, v27, v20
	v_mul_f32_e32 v20, v29, v35
	v_mul_f32_e32 v27, v29, v37
	v_dual_mul_f32 v35, v28, v37 :: v_dual_fmac_f32 v84, v31, v46
	v_fma_f32 v37, v24, v34, -v88
	v_fma_f32 v24, v24, v36, -v90
	v_dual_fmac_f32 v91, v25, v36 :: v_dual_mul_f32 v90, v32, v57
	v_dual_mul_f32 v86, v31, v49 :: v_dual_fmac_f32 v89, v25, v34
	v_dual_mul_f32 v25, v31, v47 :: v_dual_mul_f32 v88, v33, v57
	v_fma_f32 v20, v28, v34, -v20
	v_fmac_f32_e32 v26, v29, v34
	v_fma_f32 v27, v28, v36, -v27
	v_dual_fmac_f32 v35, v29, v36 :: v_dual_mul_f32 v28, v51, v47
	v_dual_mul_f32 v29, v50, v47 :: v_dual_mul_f32 v34, v51, v49
	v_mul_f32_e32 v36, v50, v49
	v_mul_f32_e32 v87, v30, v49
	;; [unrolled: 1-line block ×3, first 2 shown]
	v_dual_mul_f32 v49, v32, v55 :: v_dual_fmac_f32 v90, v33, v56
	v_fma_f32 v25, v30, v46, -v25
	v_fma_f32 v30, v30, v48, -v86
	;; [unrolled: 1-line block ×3, first 2 shown]
	v_fmac_f32_e32 v36, v51, v48
	v_fmac_f32_e32 v87, v31, v48
	v_fma_f32 v31, v50, v48, -v34
	v_mul_f32_e32 v34, v53, v55
	v_mul_f32_e32 v48, v53, v57
	v_dual_mul_f32 v50, v52, v57 :: v_dual_fmac_f32 v29, v51, v46
	v_mul_f32_e32 v46, v52, v55
	v_fma_f32 v47, v32, v54, -v47
	v_fmac_f32_e32 v49, v33, v54
	v_fma_f32 v32, v32, v56, -v88
	s_delay_alu instid0(VALU_DEP_4)
	v_dual_mul_f32 v33, v39, v59 :: v_dual_fmac_f32 v46, v53, v54
	v_mul_f32_e32 v51, v38, v59
	v_mul_f32_e32 v55, v39, v61
	v_fma_f32 v34, v52, v54, -v34
	v_fma_f32 v48, v52, v56, -v48
	v_fmac_f32_e32 v50, v53, v56
	v_mul_f32_e32 v52, v71, v59
	v_dual_mul_f32 v53, v70, v59 :: v_dual_mul_f32 v86, v41, v65
	v_mul_f32_e32 v54, v71, v61
	v_dual_mul_f32 v56, v70, v61 :: v_dual_mul_f32 v59, v41, v63
	v_mul_f32_e32 v57, v38, v61
	v_mul_f32_e32 v61, v40, v63
	v_dual_mul_f32 v88, v40, v65 :: v_dual_fmac_f32 v51, v39, v58
	v_fma_f32 v33, v38, v58, -v33
	v_fmac_f32_e32 v53, v71, v58
	v_fmac_f32_e32 v56, v71, v60
	s_delay_alu instid0(VALU_DEP_4)
	v_fmac_f32_e32 v88, v41, v64
	v_fmac_f32_e32 v57, v39, v60
	v_fma_f32 v39, v70, v58, -v52
	v_fma_f32 v52, v70, v60, -v54
	v_mul_f32_e32 v54, v73, v63
	v_fma_f32 v38, v38, v60, -v55
	v_mul_f32_e32 v60, v72, v65
	v_dual_mul_f32 v55, v72, v63 :: v_dual_mul_f32 v70, v42, v69
	v_mul_f32_e32 v58, v73, v65
	v_fma_f32 v59, v40, v62, -v59
	v_fmac_f32_e32 v61, v41, v62
	v_fma_f32 v40, v40, v64, -v86
	v_dual_mul_f32 v41, v43, v67 :: v_dual_fmac_f32 v60, v73, v64
	v_dual_mul_f32 v63, v42, v67 :: v_dual_mul_f32 v86, v44, v81
	v_mul_f32_e32 v65, v43, v69
	v_fma_f32 v54, v72, v62, -v54
	v_fmac_f32_e32 v55, v73, v62
	v_fma_f32 v58, v72, v64, -v58
	v_mul_f32_e32 v72, v44, v79
	v_mul_f32_e32 v62, v75, v67
	v_dual_mul_f32 v64, v74, v67 :: v_dual_mul_f32 v67, v75, v69
	v_dual_mul_f32 v69, v74, v69 :: v_dual_fmac_f32 v70, v43, v68
	s_delay_alu instid0(VALU_DEP_2)
	v_dual_mul_f32 v71, v45, v79 :: v_dual_fmac_f32 v64, v75, v66
	v_fma_f32 v41, v42, v66, -v41
	v_fmac_f32_e32 v63, v43, v66
	v_fma_f32 v42, v42, v68, -v65
	v_fma_f32 v43, v74, v66, -v62
	v_dual_fmac_f32 v69, v75, v68 :: v_dual_fmac_f32 v72, v45, v78
	v_mul_f32_e32 v66, v76, v79
	v_fma_f32 v62, v74, v68, -v67
	v_mul_f32_e32 v68, v76, v81
	v_dual_mul_f32 v73, v45, v81 :: v_dual_add_f32 v16, v16, v82
	v_dual_mul_f32 v65, v77, v79 :: v_dual_add_f32 v12, v12, v22
	;; [unrolled: 1-line block ×3, first 2 shown]
	v_dual_fmac_f32 v86, v45, v80 :: v_dual_add_f32 v11, v11, v85
	v_dual_fmac_f32 v68, v77, v80 :: v_dual_add_f32 v7, v7, v18
	v_dual_add_f32 v17, v17, v83 :: v_dual_add_f32 v6, v6, v21
	v_dual_add_f32 v9, v9, v23 :: v_dual_add_f32 v16, v16, v37
	s_delay_alu instid0(VALU_DEP_4) | instskip(NEXT) | instid1(VALU_DEP_3)
	v_dual_fmac_f32 v66, v77, v78 :: v_dual_add_f32 v11, v11, v91
	v_dual_add_f32 v17, v17, v89 :: v_dual_add_f32 v12, v12, v24
	s_delay_alu instid0(VALU_DEP_3) | instskip(NEXT) | instid1(VALU_DEP_4)
	v_dual_add_f32 v9, v9, v20 :: v_dual_add_f32 v8, v8, v26
	v_dual_add_f32 v7, v7, v27 :: v_dual_add_f32 v16, v16, v25
	s_delay_alu instid0(VALU_DEP_3) | instskip(NEXT) | instid1(VALU_DEP_4)
	v_dual_add_f32 v6, v6, v35 :: v_dual_add_f32 v17, v17, v84
	v_dual_add_f32 v12, v12, v30 :: v_dual_add_f32 v11, v11, v87
	s_delay_alu instid0(VALU_DEP_4) | instskip(NEXT) | instid1(VALU_DEP_3)
	v_dual_add_f32 v9, v9, v28 :: v_dual_add_f32 v8, v8, v29
	v_dual_add_f32 v7, v7, v31 :: v_dual_add_f32 v6, v6, v36
	s_delay_alu instid0(VALU_DEP_4) | instskip(NEXT) | instid1(VALU_DEP_4)
	v_dual_add_f32 v16, v16, v47 :: v_dual_add_f32 v17, v17, v49
	v_dual_add_f32 v12, v12, v32 :: v_dual_add_f32 v11, v11, v90
	s_delay_alu instid0(VALU_DEP_2) | instskip(NEXT) | instid1(VALU_DEP_4)
	v_dual_add_f32 v9, v9, v34 :: v_dual_add_f32 v16, v16, v33
	v_dual_add_f32 v8, v8, v46 :: v_dual_add_f32 v7, v7, v48
	s_delay_alu instid0(VALU_DEP_4) | instskip(NEXT) | instid1(VALU_DEP_4)
	v_dual_add_f32 v6, v6, v50 :: v_dual_add_f32 v17, v17, v51
	v_dual_add_f32 v12, v12, v38 :: v_dual_add_f32 v11, v11, v57
	s_delay_alu instid0(VALU_DEP_3) | instskip(NEXT) | instid1(VALU_DEP_4)
	v_dual_add_f32 v9, v9, v39 :: v_dual_add_f32 v8, v8, v53
	v_dual_add_f32 v7, v7, v52 :: v_dual_add_f32 v16, v16, v59
	s_delay_alu instid0(VALU_DEP_4) | instskip(NEXT) | instid1(VALU_DEP_3)
	v_dual_add_f32 v6, v6, v56 :: v_dual_add_f32 v17, v17, v61
	v_dual_add_f32 v12, v12, v40 :: v_dual_add_f32 v9, v9, v54
	s_delay_alu instid0(VALU_DEP_4) | instskip(NEXT) | instid1(VALU_DEP_3)
	v_dual_add_f32 v11, v11, v88 :: v_dual_add_f32 v8, v8, v55
	v_dual_add_f32 v7, v7, v58 :: v_dual_add_f32 v6, v6, v60
	v_fma_f32 v71, v44, v78, -v71
	v_fma_f32 v44, v44, v80, -v73
	;; [unrolled: 1-line block ×4, first 2 shown]
	v_dual_add_f32 v16, v16, v41 :: v_dual_add_f32 v17, v17, v63
	v_dual_add_f32 v12, v12, v42 :: v_dual_add_f32 v9, v9, v43
	;; [unrolled: 1-line block ×4, first 2 shown]
	s_delay_alu instid0(VALU_DEP_4) | instskip(NEXT) | instid1(VALU_DEP_3)
	v_dual_add_f32 v16, v16, v71 :: v_dual_add_f32 v17, v17, v72
	v_dual_add_f32 v12, v12, v44 :: v_dual_add_f32 v11, v11, v86
	s_delay_alu instid0(VALU_DEP_4) | instskip(NEXT) | instid1(VALU_DEP_4)
	v_dual_add_f32 v9, v9, v45 :: v_dual_add_f32 v8, v8, v66
	v_dual_add_f32 v7, v7, v65 :: v_dual_add_f32 v6, v6, v68
	s_cbranch_scc0 .LBB774_2
.LBB774_3:
	s_load_b32 s5, s[0:1], 0x40
	v_add_nc_u32_e32 v5, s12, v5
	v_add_nc_u32_e32 v0, s6, v4
	s_delay_alu instid0(VALU_DEP_1) | instskip(SKIP_1) | instid1(VALU_DEP_2)
	v_cmp_le_i32_e64 s0, v5, v0
	v_cmp_gt_i32_e32 vcc_lo, s4, v0
	s_and_b32 s0, s0, vcc_lo
	s_waitcnt lgkmcnt(0)
	v_mad_i64_i32 v[1:2], null, v5, s5, 0
	s_delay_alu instid0(VALU_DEP_1) | instskip(NEXT) | instid1(VALU_DEP_1)
	v_lshlrev_b64 v[1:2], 3, v[1:2]
	v_add_co_u32 v4, s1, s2, v1
	s_delay_alu instid0(VALU_DEP_1)
	v_add_co_ci_u32_e64 v10, s1, s3, v2, s1
	s_and_saveexec_b32 s1, s0
	s_cbranch_execz .LBB774_6
; %bb.4:
	v_ashrrev_i32_e32 v1, 31, v0
	s_delay_alu instid0(VALU_DEP_1) | instskip(NEXT) | instid1(VALU_DEP_1)
	v_lshlrev_b64 v[1:2], 3, v[0:1]
	v_add_co_u32 v1, s0, v4, v1
	s_delay_alu instid0(VALU_DEP_1)
	v_add_co_ci_u32_e64 v2, s0, v10, v2, s0
	v_cmp_eq_u32_e64 s0, v5, v0
	global_load_b64 v[13:14], v[1:2], off
	s_waitcnt vmcnt(0)
	v_dual_add_f32 v13, v16, v13 :: v_dual_add_f32 v14, v17, v14
	global_store_b64 v[1:2], v[13:14], off
	s_and_b32 exec_lo, exec_lo, s0
	s_cbranch_execz .LBB774_6
; %bb.5:
	v_mov_b32_e32 v3, 0
	global_store_b32 v[1:2], v3, off offset:4
.LBB774_6:
	s_or_b32 exec_lo, exec_lo, s1
	v_add_nc_u32_e32 v2, 16, v0
	s_delay_alu instid0(VALU_DEP_1) | instskip(SKIP_1) | instid1(VALU_DEP_1)
	v_cmp_le_i32_e64 s1, v5, v2
	v_cmp_gt_i32_e64 s0, s4, v2
	s_and_b32 s1, s1, s0
	s_delay_alu instid0(SALU_CYCLE_1)
	s_and_saveexec_b32 s4, s1
	s_cbranch_execz .LBB774_9
; %bb.7:
	v_ashrrev_i32_e32 v3, 31, v2
	s_delay_alu instid0(VALU_DEP_1) | instskip(NEXT) | instid1(VALU_DEP_1)
	v_lshlrev_b64 v[13:14], 3, v[2:3]
	v_add_co_u32 v3, s1, v4, v13
	s_delay_alu instid0(VALU_DEP_1)
	v_add_co_ci_u32_e64 v4, s1, v10, v14, s1
	v_cmp_eq_u32_e64 s1, v5, v2
	global_load_b64 v[13:14], v[3:4], off
	s_waitcnt vmcnt(0)
	v_dual_add_f32 v10, v12, v13 :: v_dual_add_f32 v11, v11, v14
	global_store_b64 v[3:4], v[10:11], off
	s_and_b32 exec_lo, exec_lo, s1
	s_cbranch_execz .LBB774_9
; %bb.8:
	v_mov_b32_e32 v1, 0
	global_store_b32 v[3:4], v1, off offset:4
.LBB774_9:
	s_or_b32 exec_lo, exec_lo, s4
	v_add_nc_u32_e32 v12, 16, v5
	s_delay_alu instid0(VALU_DEP_1) | instskip(SKIP_1) | instid1(VALU_DEP_2)
	v_mad_i64_i32 v[3:4], null, v12, s5, 0
	v_cmp_le_i32_e64 s1, v12, v0
	v_lshlrev_b64 v[3:4], 3, v[3:4]
	s_delay_alu instid0(VALU_DEP_1) | instskip(NEXT) | instid1(VALU_DEP_1)
	v_add_co_u32 v10, s2, s2, v3
	v_add_co_ci_u32_e64 v11, s2, s3, v4, s2
	s_delay_alu instid0(VALU_DEP_4) | instskip(NEXT) | instid1(SALU_CYCLE_1)
	s_and_b32 s2, s1, vcc_lo
	s_and_saveexec_b32 s1, s2
	s_cbranch_execz .LBB774_12
; %bb.10:
	v_ashrrev_i32_e32 v1, 31, v0
	s_delay_alu instid0(VALU_DEP_1) | instskip(NEXT) | instid1(VALU_DEP_1)
	v_lshlrev_b64 v[3:4], 3, v[0:1]
	v_add_co_u32 v3, vcc_lo, v10, v3
	s_delay_alu instid0(VALU_DEP_2)
	v_add_co_ci_u32_e32 v4, vcc_lo, v11, v4, vcc_lo
	v_cmp_eq_u32_e32 vcc_lo, v12, v0
	global_load_b64 v[13:14], v[3:4], off
	s_waitcnt vmcnt(0)
	v_dual_add_f32 v13, v9, v13 :: v_dual_add_f32 v14, v8, v14
	global_store_b64 v[3:4], v[13:14], off
	s_and_b32 exec_lo, exec_lo, vcc_lo
	s_cbranch_execz .LBB774_12
; %bb.11:
	v_mov_b32_e32 v1, 0
	global_store_b32 v[3:4], v1, off offset:4
.LBB774_12:
	s_or_b32 exec_lo, exec_lo, s1
	v_cmp_le_i32_e32 vcc_lo, v12, v2
	s_and_b32 s0, vcc_lo, s0
	s_delay_alu instid0(SALU_CYCLE_1)
	s_and_saveexec_b32 s1, s0
	s_cbranch_execz .LBB774_15
; %bb.13:
	v_ashrrev_i32_e32 v3, 31, v2
	s_delay_alu instid0(VALU_DEP_1) | instskip(NEXT) | instid1(VALU_DEP_1)
	v_lshlrev_b64 v[1:2], 3, v[2:3]
	v_add_co_u32 v1, vcc_lo, v10, v1
	s_delay_alu instid0(VALU_DEP_2)
	v_add_co_ci_u32_e32 v2, vcc_lo, v11, v2, vcc_lo
	v_cmp_eq_u32_e32 vcc_lo, v5, v0
	global_load_b64 v[3:4], v[1:2], off
	s_waitcnt vmcnt(0)
	v_dual_add_f32 v3, v7, v3 :: v_dual_add_f32 v4, v6, v4
	global_store_b64 v[1:2], v[3:4], off
	s_and_b32 exec_lo, exec_lo, vcc_lo
	s_cbranch_execz .LBB774_15
; %bb.14:
	v_mov_b32_e32 v0, 0
	global_store_b32 v[1:2], v0, off offset:4
.LBB774_15:
	s_nop 0
	s_sendmsg sendmsg(MSG_DEALLOC_VGPRS)
	s_endpgm
	.section	.rodata,"a",@progbits
	.p2align	6, 0x0
	.amdhsa_kernel _ZL37rocblas_syrkx_herkx_restricted_kernelIi19rocblas_complex_numIfELi16ELi32ELi8ELi1ELi1ELb1ELc78ELc76EKPKS1_KPS1_EviT_PT9_S7_lS9_S7_lPT10_S7_li
		.amdhsa_group_segment_fixed_size 4096
		.amdhsa_private_segment_fixed_size 0
		.amdhsa_kernarg_size 84
		.amdhsa_user_sgpr_count 13
		.amdhsa_user_sgpr_dispatch_ptr 0
		.amdhsa_user_sgpr_queue_ptr 0
		.amdhsa_user_sgpr_kernarg_segment_ptr 1
		.amdhsa_user_sgpr_dispatch_id 0
		.amdhsa_user_sgpr_private_segment_size 0
		.amdhsa_wavefront_size32 1
		.amdhsa_uses_dynamic_stack 0
		.amdhsa_enable_private_segment 0
		.amdhsa_system_sgpr_workgroup_id_x 1
		.amdhsa_system_sgpr_workgroup_id_y 1
		.amdhsa_system_sgpr_workgroup_id_z 1
		.amdhsa_system_sgpr_workgroup_info 0
		.amdhsa_system_vgpr_workitem_id 1
		.amdhsa_next_free_vgpr 92
		.amdhsa_next_free_sgpr 20
		.amdhsa_reserve_vcc 1
		.amdhsa_float_round_mode_32 0
		.amdhsa_float_round_mode_16_64 0
		.amdhsa_float_denorm_mode_32 3
		.amdhsa_float_denorm_mode_16_64 3
		.amdhsa_dx10_clamp 1
		.amdhsa_ieee_mode 1
		.amdhsa_fp16_overflow 0
		.amdhsa_workgroup_processor_mode 1
		.amdhsa_memory_ordered 1
		.amdhsa_forward_progress 0
		.amdhsa_shared_vgpr_count 0
		.amdhsa_exception_fp_ieee_invalid_op 0
		.amdhsa_exception_fp_denorm_src 0
		.amdhsa_exception_fp_ieee_div_zero 0
		.amdhsa_exception_fp_ieee_overflow 0
		.amdhsa_exception_fp_ieee_underflow 0
		.amdhsa_exception_fp_ieee_inexact 0
		.amdhsa_exception_int_div_zero 0
	.end_amdhsa_kernel
	.section	.text._ZL37rocblas_syrkx_herkx_restricted_kernelIi19rocblas_complex_numIfELi16ELi32ELi8ELi1ELi1ELb1ELc78ELc76EKPKS1_KPS1_EviT_PT9_S7_lS9_S7_lPT10_S7_li,"axG",@progbits,_ZL37rocblas_syrkx_herkx_restricted_kernelIi19rocblas_complex_numIfELi16ELi32ELi8ELi1ELi1ELb1ELc78ELc76EKPKS1_KPS1_EviT_PT9_S7_lS9_S7_lPT10_S7_li,comdat
.Lfunc_end774:
	.size	_ZL37rocblas_syrkx_herkx_restricted_kernelIi19rocblas_complex_numIfELi16ELi32ELi8ELi1ELi1ELb1ELc78ELc76EKPKS1_KPS1_EviT_PT9_S7_lS9_S7_lPT10_S7_li, .Lfunc_end774-_ZL37rocblas_syrkx_herkx_restricted_kernelIi19rocblas_complex_numIfELi16ELi32ELi8ELi1ELi1ELb1ELc78ELc76EKPKS1_KPS1_EviT_PT9_S7_lS9_S7_lPT10_S7_li
                                        ; -- End function
	.section	.AMDGPU.csdata,"",@progbits
; Kernel info:
; codeLenInByte = 2224
; NumSgprs: 22
; NumVgprs: 92
; ScratchSize: 0
; MemoryBound: 0
; FloatMode: 240
; IeeeMode: 1
; LDSByteSize: 4096 bytes/workgroup (compile time only)
; SGPRBlocks: 2
; VGPRBlocks: 11
; NumSGPRsForWavesPerEU: 22
; NumVGPRsForWavesPerEU: 92
; Occupancy: 16
; WaveLimiterHint : 1
; COMPUTE_PGM_RSRC2:SCRATCH_EN: 0
; COMPUTE_PGM_RSRC2:USER_SGPR: 13
; COMPUTE_PGM_RSRC2:TRAP_HANDLER: 0
; COMPUTE_PGM_RSRC2:TGID_X_EN: 1
; COMPUTE_PGM_RSRC2:TGID_Y_EN: 1
; COMPUTE_PGM_RSRC2:TGID_Z_EN: 1
; COMPUTE_PGM_RSRC2:TIDIG_COMP_CNT: 1
	.section	.text._ZL37rocblas_syrkx_herkx_restricted_kernelIi19rocblas_complex_numIfELi16ELi32ELi8ELi1ELi1ELb1ELc84ELc85EKPKS1_KPS1_EviT_PT9_S7_lS9_S7_lPT10_S7_li,"axG",@progbits,_ZL37rocblas_syrkx_herkx_restricted_kernelIi19rocblas_complex_numIfELi16ELi32ELi8ELi1ELi1ELb1ELc84ELc85EKPKS1_KPS1_EviT_PT9_S7_lS9_S7_lPT10_S7_li,comdat
	.globl	_ZL37rocblas_syrkx_herkx_restricted_kernelIi19rocblas_complex_numIfELi16ELi32ELi8ELi1ELi1ELb1ELc84ELc85EKPKS1_KPS1_EviT_PT9_S7_lS9_S7_lPT10_S7_li ; -- Begin function _ZL37rocblas_syrkx_herkx_restricted_kernelIi19rocblas_complex_numIfELi16ELi32ELi8ELi1ELi1ELb1ELc84ELc85EKPKS1_KPS1_EviT_PT9_S7_lS9_S7_lPT10_S7_li
	.p2align	8
	.type	_ZL37rocblas_syrkx_herkx_restricted_kernelIi19rocblas_complex_numIfELi16ELi32ELi8ELi1ELi1ELb1ELc84ELc85EKPKS1_KPS1_EviT_PT9_S7_lS9_S7_lPT10_S7_li,@function
_ZL37rocblas_syrkx_herkx_restricted_kernelIi19rocblas_complex_numIfELi16ELi32ELi8ELi1ELi1ELb1ELc84ELc85EKPKS1_KPS1_EviT_PT9_S7_lS9_S7_lPT10_S7_li: ; @_ZL37rocblas_syrkx_herkx_restricted_kernelIi19rocblas_complex_numIfELi16ELi32ELi8ELi1ELi1ELb1ELc84ELc85EKPKS1_KPS1_EviT_PT9_S7_lS9_S7_lPT10_S7_li
; %bb.0:
	s_clause 0x1
	s_load_b64 s[4:5], s[0:1], 0x38
	s_load_b64 s[2:3], s[0:1], 0x0
	s_mov_b32 s6, s15
	s_mov_b32 s7, 0
	v_dual_mov_b32 v17, 0 :: v_dual_and_b32 v6, 0x3ff, v0
	s_lshl_b64 s[8:9], s[6:7], 3
	v_bfe_u32 v8, v0, 10, 10
	v_dual_mov_b32 v16, 0 :: v_dual_mov_b32 v13, 0
	v_dual_mov_b32 v12, 0 :: v_dual_mov_b32 v9, 0
	;; [unrolled: 1-line block ×3, first 2 shown]
	v_mov_b32_e32 v1, 0
	s_waitcnt lgkmcnt(0)
	s_add_u32 s4, s4, s8
	s_addc_u32 s5, s5, s9
	s_lshl_b32 s6, s13, 5
	s_load_b64 s[4:5], s[4:5], 0x0
	s_lshl_b32 s10, s14, 5
	s_cmp_lt_i32 s3, 1
	s_cbranch_scc1 .LBB775_3
; %bb.1:
	s_clause 0x3
	s_load_b64 s[12:13], s[0:1], 0x8
	s_load_b64 s[14:15], s[0:1], 0x20
	s_load_b32 s11, s[0:1], 0x10
	s_load_b32 s16, s[0:1], 0x28
	v_lshl_add_u32 v2, v8, 4, v6
	v_dual_mov_b32 v1, 0 :: v_dual_and_b32 v0, 7, v6
	v_lshlrev_b32_e32 v10, 3, v6
	v_lshl_add_u32 v11, v8, 6, 0x800
	s_delay_alu instid0(VALU_DEP_4)
	v_and_b32_e32 v14, 31, v2
	v_lshrrev_b32_e32 v9, 3, v2
	v_lshrrev_b32_e32 v2, 5, v2
	v_mov_b32_e32 v3, v1
	v_mov_b32_e32 v17, v1
	v_add_nc_u32_e32 v7, s6, v14
	v_dual_mov_b32 v16, v1 :: v_dual_add_nc_u32 v15, s10, v9
	s_waitcnt lgkmcnt(0)
	s_add_u32 s12, s12, s8
	s_addc_u32 s13, s13, s9
	s_add_u32 s8, s14, s8
	s_load_b64 s[12:13], s[12:13], 0x0
	s_addc_u32 s9, s15, s9
	v_mad_i64_i32 v[4:5], null, s11, v7, v[2:3]
	s_load_b64 s[8:9], s[8:9], 0x0
	v_lshlrev_b32_e32 v3, 3, v0
	v_mad_i64_i32 v[12:13], null, s16, v15, v[0:1]
	v_dual_mov_b32 v7, v1 :: v_dual_lshlrev_b32 v14, 3, v14
	s_delay_alu instid0(VALU_DEP_3)
	v_lshl_or_b32 v15, v9, 6, v3
	v_mov_b32_e32 v9, v1
	v_lshlrev_b64 v[3:4], 3, v[4:5]
	v_mov_b32_e32 v0, v1
	v_lshlrev_b64 v[12:13], 3, v[12:13]
	v_lshl_or_b32 v14, v2, 8, v14
	v_add_nc_u32_e32 v15, 0x800, v15
	s_waitcnt lgkmcnt(0)
	v_add_co_u32 v2, vcc_lo, v3, s12
	v_add_co_ci_u32_e32 v3, vcc_lo, s13, v4, vcc_lo
	v_add_co_u32 v4, vcc_lo, v12, s8
	v_add_co_ci_u32_e32 v5, vcc_lo, s9, v13, vcc_lo
	s_delay_alu instid0(VALU_DEP_4) | instskip(NEXT) | instid1(VALU_DEP_4)
	v_add_co_u32 v2, vcc_lo, v2, 4
	v_add_co_ci_u32_e32 v3, vcc_lo, 0, v3, vcc_lo
	s_delay_alu instid0(VALU_DEP_4) | instskip(NEXT) | instid1(VALU_DEP_4)
	v_add_co_u32 v4, vcc_lo, v4, 4
	v_add_co_ci_u32_e32 v5, vcc_lo, 0, v5, vcc_lo
	v_mov_b32_e32 v12, v1
	v_mov_b32_e32 v13, v1
.LBB775_2:                              ; =>This Inner Loop Header: Depth=1
	global_load_b64 v[18:19], v[2:3], off offset:-4
	global_load_b64 v[20:21], v[4:5], off offset:-4
	v_add_co_u32 v2, vcc_lo, v2, 64
	v_add_co_ci_u32_e32 v3, vcc_lo, 0, v3, vcc_lo
	v_add_co_u32 v4, vcc_lo, v4, 64
	v_add_co_ci_u32_e32 v5, vcc_lo, 0, v5, vcc_lo
	s_add_i32 s7, s7, 8
	s_waitcnt vmcnt(1)
	ds_store_b64 v14, v[18:19]
	s_waitcnt vmcnt(0)
	ds_store_b64 v15, v[20:21]
	s_waitcnt lgkmcnt(0)
	s_barrier
	buffer_gl0_inv
	ds_load_2addr_b64 v[18:21], v10 offset1:16
	ds_load_b128 v[22:25], v11
	ds_load_b128 v[26:29], v11 offset:1024
	ds_load_b128 v[30:33], v11 offset:16
	ds_load_2addr_b64 v[34:37], v10 offset0:32 offset1:48
	ds_load_b128 v[38:41], v11 offset:32
	ds_load_b128 v[42:45], v11 offset:48
	ds_load_2addr_b64 v[46:49], v10 offset0:64 offset1:80
	ds_load_b128 v[50:53], v11 offset:1040
	ds_load_2addr_b64 v[54:57], v10 offset0:96 offset1:112
	ds_load_2addr_b64 v[58:61], v10 offset0:128 offset1:144
	;; [unrolled: 1-line block ×4, first 2 shown]
	ds_load_b128 v[70:73], v11 offset:1056
	ds_load_b128 v[74:77], v11 offset:1072
	ds_load_2addr_b64 v[78:81], v10 offset0:224 offset1:240
	s_cmp_ge_i32 s7, s3
	s_waitcnt lgkmcnt(0)
	s_barrier
	buffer_gl0_inv
	v_dual_mul_f32 v82, v23, v19 :: v_dual_mul_f32 v85, v22, v21
	v_dual_mul_f32 v83, v22, v19 :: v_dual_mul_f32 v84, v23, v21
	v_mul_f32_e32 v86, v27, v19
	v_dual_mul_f32 v19, v26, v19 :: v_dual_mul_f32 v90, v25, v37
	v_dual_mul_f32 v87, v27, v21 :: v_dual_mul_f32 v88, v25, v35
	v_mul_f32_e32 v21, v26, v21
	v_fma_f32 v82, v22, v18, -v82
	v_fmac_f32_e32 v83, v23, v18
	v_fma_f32 v22, v22, v20, -v84
	v_fmac_f32_e32 v85, v23, v20
	v_fma_f32 v23, v26, v18, -v86
	v_dual_fmac_f32 v19, v27, v18 :: v_dual_mul_f32 v86, v30, v47
	v_fma_f32 v18, v26, v20, -v87
	v_dual_fmac_f32 v21, v27, v20 :: v_dual_mul_f32 v20, v24, v37
	v_mul_f32_e32 v89, v24, v35
	v_mul_f32_e32 v26, v29, v35
	v_mul_f32_e32 v27, v28, v35
	v_mul_f32_e32 v35, v29, v37
	v_fmac_f32_e32 v20, v25, v36
	v_fmac_f32_e32 v89, v25, v34
	v_dual_mul_f32 v25, v28, v37 :: v_dual_fmac_f32 v86, v31, v46
	v_fma_f32 v84, v24, v34, -v88
	v_fma_f32 v24, v24, v36, -v90
	v_dual_mul_f32 v37, v31, v47 :: v_dual_mul_f32 v90, v33, v57
	v_fma_f32 v26, v28, v34, -v26
	v_fma_f32 v28, v28, v36, -v35
	v_fmac_f32_e32 v25, v29, v36
	v_dual_mul_f32 v35, v50, v47 :: v_dual_mul_f32 v36, v51, v49
	v_dual_fmac_f32 v27, v29, v34 :: v_dual_mul_f32 v34, v51, v47
	v_dual_mul_f32 v88, v32, v55 :: v_dual_mul_f32 v29, v30, v49
	v_mul_f32_e32 v87, v31, v49
	v_fma_f32 v37, v30, v46, -v37
	v_add_f32_e32 v16, v16, v82
	s_delay_alu instid0(VALU_DEP_4)
	v_dual_fmac_f32 v88, v33, v54 :: v_dual_fmac_f32 v29, v31, v48
	v_fma_f32 v31, v50, v46, -v34
	v_fma_f32 v34, v50, v48, -v36
	v_mul_f32_e32 v36, v32, v57
	v_mul_f32_e32 v47, v50, v49
	v_dual_mul_f32 v50, v53, v57 :: v_dual_fmac_f32 v35, v51, v46
	v_mul_f32_e32 v46, v53, v55
	v_mul_f32_e32 v49, v33, v55
	v_fma_f32 v30, v30, v48, -v87
	v_fmac_f32_e32 v36, v33, v56
	v_dual_fmac_f32 v47, v51, v48 :: v_dual_mul_f32 v48, v52, v55
	v_mul_f32_e32 v33, v52, v57
	v_fma_f32 v46, v52, v54, -v46
	v_fma_f32 v50, v52, v56, -v50
	v_mul_f32_e32 v52, v38, v61
	v_fma_f32 v49, v32, v54, -v49
	v_fma_f32 v32, v32, v56, -v90
	v_dual_mul_f32 v51, v39, v59 :: v_dual_fmac_f32 v48, v53, v54
	v_mul_f32_e32 v54, v70, v59
	v_dual_mul_f32 v55, v38, v59 :: v_dual_fmac_f32 v52, v39, v60
	v_fmac_f32_e32 v33, v53, v56
	v_mul_f32_e32 v53, v71, v59
	v_mul_f32_e32 v56, v71, v61
	;; [unrolled: 1-line block ×3, first 2 shown]
	v_fmac_f32_e32 v54, v71, v58
	v_fmac_f32_e32 v55, v39, v58
	v_fma_f32 v39, v70, v58, -v53
	v_fma_f32 v53, v70, v60, -v56
	v_mul_f32_e32 v56, v40, v65
	v_mul_f32_e32 v59, v70, v61
	v_fma_f32 v51, v38, v58, -v51
	v_mul_f32_e32 v58, v72, v63
	v_mul_f32_e32 v87, v40, v63
	;; [unrolled: 1-line block ×4, first 2 shown]
	v_fma_f32 v38, v38, v60, -v57
	v_mul_f32_e32 v57, v73, v63
	v_fmac_f32_e32 v56, v41, v64
	v_dual_fmac_f32 v59, v71, v60 :: v_dual_mul_f32 v60, v73, v65
	v_mul_f32_e32 v63, v43, v67
	v_mul_f32_e32 v70, v43, v69
	v_fmac_f32_e32 v58, v73, v62
	v_fmac_f32_e32 v87, v41, v62
	v_mul_f32_e32 v41, v72, v65
	v_fma_f32 v61, v40, v62, -v61
	v_fma_f32 v40, v40, v64, -v90
	v_mul_f32_e32 v65, v42, v67
	v_fma_f32 v57, v72, v62, -v57
	v_fma_f32 v60, v72, v64, -v60
	v_dual_fmac_f32 v41, v73, v64 :: v_dual_mul_f32 v62, v42, v69
	v_mul_f32_e32 v64, v75, v67
	v_fma_f32 v63, v42, v66, -v63
	v_fma_f32 v42, v42, v68, -v70
	v_mul_f32_e32 v70, v76, v79
	v_mul_f32_e32 v67, v74, v67
	v_mul_f32_e32 v71, v75, v69
	v_mul_f32_e32 v73, v44, v79
	v_dual_fmac_f32 v65, v43, v66 :: v_dual_add_f32 v12, v12, v85
	v_fmac_f32_e32 v62, v43, v68
	v_fma_f32 v43, v74, v66, -v64
	v_fmac_f32_e32 v70, v77, v78
	v_dual_fmac_f32 v67, v75, v66 :: v_dual_add_f32 v16, v16, v84
	v_mul_f32_e32 v66, v44, v81
	v_dual_mul_f32 v69, v74, v69 :: v_dual_add_f32 v0, v0, v19
	v_mul_f32_e32 v72, v45, v79
	v_mul_f32_e32 v90, v45, v81
	v_fma_f32 v64, v74, v68, -v71
	v_dual_mul_f32 v71, v77, v81 :: v_dual_add_f32 v12, v12, v20
	v_dual_fmac_f32 v73, v45, v78 :: v_dual_add_f32 v16, v16, v37
	v_dual_fmac_f32 v66, v45, v80 :: v_dual_mul_f32 v45, v76, v81
	v_dual_fmac_f32 v69, v75, v68 :: v_dual_add_f32 v0, v0, v27
	s_delay_alu instid0(VALU_DEP_4) | instskip(NEXT) | instid1(VALU_DEP_3)
	v_dual_add_f32 v12, v12, v29 :: v_dual_add_f32 v17, v17, v83
	v_dual_add_f32 v16, v16, v49 :: v_dual_fmac_f32 v45, v77, v80
	s_delay_alu instid0(VALU_DEP_3) | instskip(NEXT) | instid1(VALU_DEP_3)
	v_dual_add_f32 v13, v13, v22 :: v_dual_add_f32 v0, v0, v35
	v_dual_add_f32 v9, v9, v23 :: v_dual_add_f32 v12, v12, v36
	v_add_f32_e32 v7, v7, v18
	s_delay_alu instid0(VALU_DEP_4) | instskip(NEXT) | instid1(VALU_DEP_3)
	v_dual_add_f32 v1, v1, v21 :: v_dual_add_f32 v16, v16, v51
	v_dual_add_f32 v17, v17, v89 :: v_dual_add_f32 v12, v12, v52
	v_add_f32_e32 v0, v0, v48
	v_add_f32_e32 v13, v13, v24
	s_delay_alu instid0(VALU_DEP_4) | instskip(NEXT) | instid1(VALU_DEP_4)
	v_dual_add_f32 v9, v9, v26 :: v_dual_add_f32 v16, v16, v61
	v_dual_add_f32 v1, v1, v25 :: v_dual_add_f32 v12, v12, v56
	s_delay_alu instid0(VALU_DEP_4) | instskip(SKIP_1) | instid1(VALU_DEP_4)
	v_dual_add_f32 v0, v0, v54 :: v_dual_add_f32 v7, v7, v28
	v_fma_f32 v72, v44, v78, -v72
	v_dual_add_f32 v17, v17, v86 :: v_dual_add_f32 v16, v16, v63
	s_delay_alu instid0(VALU_DEP_4) | instskip(NEXT) | instid1(VALU_DEP_4)
	v_dual_add_f32 v9, v9, v31 :: v_dual_add_f32 v12, v12, v62
	v_dual_add_f32 v1, v1, v47 :: v_dual_add_f32 v0, v0, v58
	v_add_f32_e32 v13, v13, v30
	s_delay_alu instid0(VALU_DEP_4) | instskip(NEXT) | instid1(VALU_DEP_3)
	v_dual_add_f32 v7, v7, v34 :: v_dual_add_f32 v16, v16, v72
	v_dual_add_f32 v9, v9, v46 :: v_dual_add_f32 v0, v0, v67
	v_add_f32_e32 v17, v17, v88
	s_delay_alu instid0(VALU_DEP_4) | instskip(NEXT) | instid1(VALU_DEP_4)
	v_add_f32_e32 v13, v13, v32
	v_add_f32_e32 v7, v7, v50
	;; [unrolled: 1-line block ×3, first 2 shown]
	v_dual_add_f32 v0, v0, v70 :: v_dual_add_f32 v1, v1, v33
	v_add_f32_e32 v17, v17, v55
	v_add_f32_e32 v13, v13, v38
	;; [unrolled: 1-line block ×5, first 2 shown]
	v_mul_f32_e32 v68, v77, v79
	v_add_f32_e32 v17, v17, v87
	v_add_f32_e32 v13, v13, v40
	;; [unrolled: 1-line block ×5, first 2 shown]
	v_fma_f32 v44, v44, v80, -v90
	v_fma_f32 v68, v76, v78, -v68
	;; [unrolled: 1-line block ×3, first 2 shown]
	v_add_f32_e32 v17, v17, v65
	v_add_f32_e32 v13, v13, v42
	;; [unrolled: 1-line block ×10, first 2 shown]
	s_cbranch_scc0 .LBB775_2
.LBB775_3:
	s_load_b32 s3, s[0:1], 0x40
	v_add_nc_u32_e32 v8, s10, v8
	v_add_nc_u32_e32 v2, s6, v6
	s_delay_alu instid0(VALU_DEP_2) | instskip(NEXT) | instid1(VALU_DEP_2)
	v_cmp_gt_i32_e32 vcc_lo, s2, v8
	v_cmp_le_i32_e64 s0, v2, v8
	s_delay_alu instid0(VALU_DEP_1) | instskip(SKIP_2) | instid1(VALU_DEP_1)
	s_and_b32 s0, vcc_lo, s0
	s_waitcnt lgkmcnt(0)
	v_mad_i64_i32 v[3:4], null, v8, s3, 0
	v_lshlrev_b64 v[3:4], 3, v[3:4]
	s_delay_alu instid0(VALU_DEP_1) | instskip(NEXT) | instid1(VALU_DEP_1)
	v_add_co_u32 v6, s1, s4, v3
	v_add_co_ci_u32_e64 v10, s1, s5, v4, s1
	s_and_saveexec_b32 s1, s0
	s_cbranch_execz .LBB775_6
; %bb.4:
	v_ashrrev_i32_e32 v3, 31, v2
	s_delay_alu instid0(VALU_DEP_1) | instskip(NEXT) | instid1(VALU_DEP_1)
	v_lshlrev_b64 v[3:4], 3, v[2:3]
	v_add_co_u32 v3, s0, v6, v3
	s_delay_alu instid0(VALU_DEP_1)
	v_add_co_ci_u32_e64 v4, s0, v10, v4, s0
	v_cmp_eq_u32_e64 s0, v8, v2
	global_load_b64 v[14:15], v[3:4], off
	s_waitcnt vmcnt(0)
	v_dual_add_f32 v14, v16, v14 :: v_dual_add_f32 v15, v17, v15
	global_store_b64 v[3:4], v[14:15], off
	s_and_b32 exec_lo, exec_lo, s0
	s_cbranch_execz .LBB775_6
; %bb.5:
	v_mov_b32_e32 v5, 0
	global_store_b32 v[3:4], v5, off offset:4
.LBB775_6:
	s_or_b32 exec_lo, exec_lo, s1
	v_add_nc_u32_e32 v4, 16, v2
	s_delay_alu instid0(VALU_DEP_1) | instskip(NEXT) | instid1(VALU_DEP_1)
	v_cmp_le_i32_e64 s0, v4, v8
	s_and_b32 s1, vcc_lo, s0
	s_delay_alu instid0(SALU_CYCLE_1)
	s_and_saveexec_b32 s0, s1
	s_cbranch_execz .LBB775_9
; %bb.7:
	v_ashrrev_i32_e32 v5, 31, v4
	s_delay_alu instid0(VALU_DEP_1) | instskip(NEXT) | instid1(VALU_DEP_1)
	v_lshlrev_b64 v[14:15], 3, v[4:5]
	v_add_co_u32 v5, vcc_lo, v6, v14
	s_delay_alu instid0(VALU_DEP_2)
	v_add_co_ci_u32_e32 v6, vcc_lo, v10, v15, vcc_lo
	v_cmp_eq_u32_e32 vcc_lo, v8, v4
	global_load_b64 v[10:11], v[5:6], off
	s_waitcnt vmcnt(0)
	v_dual_add_f32 v10, v13, v10 :: v_dual_add_f32 v11, v12, v11
	global_store_b64 v[5:6], v[10:11], off
	s_and_b32 exec_lo, exec_lo, vcc_lo
	s_cbranch_execz .LBB775_9
; %bb.8:
	v_mov_b32_e32 v3, 0
	global_store_b32 v[5:6], v3, off offset:4
.LBB775_9:
	s_or_b32 exec_lo, exec_lo, s0
	v_add_nc_u32_e32 v12, 16, v8
	s_delay_alu instid0(VALU_DEP_1) | instskip(SKIP_2) | instid1(VALU_DEP_1)
	v_mad_i64_i32 v[5:6], null, v12, s3, 0
	v_cmp_gt_i32_e32 vcc_lo, s2, v12
	v_cmp_le_i32_e64 s0, v2, v12
	s_and_b32 s0, vcc_lo, s0
	s_delay_alu instid0(VALU_DEP_3) | instskip(NEXT) | instid1(VALU_DEP_1)
	v_lshlrev_b64 v[5:6], 3, v[5:6]
	v_add_co_u32 v10, s1, s4, v5
	s_delay_alu instid0(VALU_DEP_1)
	v_add_co_ci_u32_e64 v11, s1, s5, v6, s1
	s_and_saveexec_b32 s1, s0
	s_cbranch_execz .LBB775_12
; %bb.10:
	v_ashrrev_i32_e32 v3, 31, v2
	s_delay_alu instid0(VALU_DEP_1) | instskip(NEXT) | instid1(VALU_DEP_1)
	v_lshlrev_b64 v[5:6], 3, v[2:3]
	v_add_co_u32 v5, s0, v10, v5
	s_delay_alu instid0(VALU_DEP_1)
	v_add_co_ci_u32_e64 v6, s0, v11, v6, s0
	v_cmp_eq_u32_e64 s0, v12, v2
	global_load_b64 v[13:14], v[5:6], off
	s_waitcnt vmcnt(0)
	v_dual_add_f32 v13, v9, v13 :: v_dual_add_f32 v14, v0, v14
	global_store_b64 v[5:6], v[13:14], off
	s_and_b32 exec_lo, exec_lo, s0
	s_cbranch_execz .LBB775_12
; %bb.11:
	v_mov_b32_e32 v0, 0
	global_store_b32 v[5:6], v0, off offset:4
.LBB775_12:
	s_or_b32 exec_lo, exec_lo, s1
	v_cmp_le_i32_e64 s0, v4, v12
	s_delay_alu instid0(VALU_DEP_1) | instskip(NEXT) | instid1(SALU_CYCLE_1)
	s_and_b32 s0, vcc_lo, s0
	s_and_saveexec_b32 s1, s0
	s_cbranch_execz .LBB775_15
; %bb.13:
	v_ashrrev_i32_e32 v5, 31, v4
	s_delay_alu instid0(VALU_DEP_1) | instskip(NEXT) | instid1(VALU_DEP_1)
	v_lshlrev_b64 v[3:4], 3, v[4:5]
	v_add_co_u32 v3, vcc_lo, v10, v3
	s_delay_alu instid0(VALU_DEP_2)
	v_add_co_ci_u32_e32 v4, vcc_lo, v11, v4, vcc_lo
	v_cmp_eq_u32_e32 vcc_lo, v8, v2
	global_load_b64 v[5:6], v[3:4], off
	s_waitcnt vmcnt(0)
	v_dual_add_f32 v0, v7, v5 :: v_dual_add_f32 v1, v1, v6
	global_store_b64 v[3:4], v[0:1], off
	s_and_b32 exec_lo, exec_lo, vcc_lo
	s_cbranch_execz .LBB775_15
; %bb.14:
	v_mov_b32_e32 v0, 0
	global_store_b32 v[3:4], v0, off offset:4
.LBB775_15:
	s_nop 0
	s_sendmsg sendmsg(MSG_DEALLOC_VGPRS)
	s_endpgm
	.section	.rodata,"a",@progbits
	.p2align	6, 0x0
	.amdhsa_kernel _ZL37rocblas_syrkx_herkx_restricted_kernelIi19rocblas_complex_numIfELi16ELi32ELi8ELi1ELi1ELb1ELc84ELc85EKPKS1_KPS1_EviT_PT9_S7_lS9_S7_lPT10_S7_li
		.amdhsa_group_segment_fixed_size 4096
		.amdhsa_private_segment_fixed_size 0
		.amdhsa_kernarg_size 84
		.amdhsa_user_sgpr_count 13
		.amdhsa_user_sgpr_dispatch_ptr 0
		.amdhsa_user_sgpr_queue_ptr 0
		.amdhsa_user_sgpr_kernarg_segment_ptr 1
		.amdhsa_user_sgpr_dispatch_id 0
		.amdhsa_user_sgpr_private_segment_size 0
		.amdhsa_wavefront_size32 1
		.amdhsa_uses_dynamic_stack 0
		.amdhsa_enable_private_segment 0
		.amdhsa_system_sgpr_workgroup_id_x 1
		.amdhsa_system_sgpr_workgroup_id_y 1
		.amdhsa_system_sgpr_workgroup_id_z 1
		.amdhsa_system_sgpr_workgroup_info 0
		.amdhsa_system_vgpr_workitem_id 1
		.amdhsa_next_free_vgpr 91
		.amdhsa_next_free_sgpr 17
		.amdhsa_reserve_vcc 1
		.amdhsa_float_round_mode_32 0
		.amdhsa_float_round_mode_16_64 0
		.amdhsa_float_denorm_mode_32 3
		.amdhsa_float_denorm_mode_16_64 3
		.amdhsa_dx10_clamp 1
		.amdhsa_ieee_mode 1
		.amdhsa_fp16_overflow 0
		.amdhsa_workgroup_processor_mode 1
		.amdhsa_memory_ordered 1
		.amdhsa_forward_progress 0
		.amdhsa_shared_vgpr_count 0
		.amdhsa_exception_fp_ieee_invalid_op 0
		.amdhsa_exception_fp_denorm_src 0
		.amdhsa_exception_fp_ieee_div_zero 0
		.amdhsa_exception_fp_ieee_overflow 0
		.amdhsa_exception_fp_ieee_underflow 0
		.amdhsa_exception_fp_ieee_inexact 0
		.amdhsa_exception_int_div_zero 0
	.end_amdhsa_kernel
	.section	.text._ZL37rocblas_syrkx_herkx_restricted_kernelIi19rocblas_complex_numIfELi16ELi32ELi8ELi1ELi1ELb1ELc84ELc85EKPKS1_KPS1_EviT_PT9_S7_lS9_S7_lPT10_S7_li,"axG",@progbits,_ZL37rocblas_syrkx_herkx_restricted_kernelIi19rocblas_complex_numIfELi16ELi32ELi8ELi1ELi1ELb1ELc84ELc85EKPKS1_KPS1_EviT_PT9_S7_lS9_S7_lPT10_S7_li,comdat
.Lfunc_end775:
	.size	_ZL37rocblas_syrkx_herkx_restricted_kernelIi19rocblas_complex_numIfELi16ELi32ELi8ELi1ELi1ELb1ELc84ELc85EKPKS1_KPS1_EviT_PT9_S7_lS9_S7_lPT10_S7_li, .Lfunc_end775-_ZL37rocblas_syrkx_herkx_restricted_kernelIi19rocblas_complex_numIfELi16ELi32ELi8ELi1ELi1ELb1ELc84ELc85EKPKS1_KPS1_EviT_PT9_S7_lS9_S7_lPT10_S7_li
                                        ; -- End function
	.section	.AMDGPU.csdata,"",@progbits
; Kernel info:
; codeLenInByte = 2164
; NumSgprs: 19
; NumVgprs: 91
; ScratchSize: 0
; MemoryBound: 0
; FloatMode: 240
; IeeeMode: 1
; LDSByteSize: 4096 bytes/workgroup (compile time only)
; SGPRBlocks: 2
; VGPRBlocks: 11
; NumSGPRsForWavesPerEU: 19
; NumVGPRsForWavesPerEU: 91
; Occupancy: 16
; WaveLimiterHint : 1
; COMPUTE_PGM_RSRC2:SCRATCH_EN: 0
; COMPUTE_PGM_RSRC2:USER_SGPR: 13
; COMPUTE_PGM_RSRC2:TRAP_HANDLER: 0
; COMPUTE_PGM_RSRC2:TGID_X_EN: 1
; COMPUTE_PGM_RSRC2:TGID_Y_EN: 1
; COMPUTE_PGM_RSRC2:TGID_Z_EN: 1
; COMPUTE_PGM_RSRC2:TIDIG_COMP_CNT: 1
	.section	.text._ZL37rocblas_syrkx_herkx_restricted_kernelIi19rocblas_complex_numIfELi16ELi32ELi8ELi1ELi1ELb1ELc67ELc85EKPKS1_KPS1_EviT_PT9_S7_lS9_S7_lPT10_S7_li,"axG",@progbits,_ZL37rocblas_syrkx_herkx_restricted_kernelIi19rocblas_complex_numIfELi16ELi32ELi8ELi1ELi1ELb1ELc67ELc85EKPKS1_KPS1_EviT_PT9_S7_lS9_S7_lPT10_S7_li,comdat
	.globl	_ZL37rocblas_syrkx_herkx_restricted_kernelIi19rocblas_complex_numIfELi16ELi32ELi8ELi1ELi1ELb1ELc67ELc85EKPKS1_KPS1_EviT_PT9_S7_lS9_S7_lPT10_S7_li ; -- Begin function _ZL37rocblas_syrkx_herkx_restricted_kernelIi19rocblas_complex_numIfELi16ELi32ELi8ELi1ELi1ELb1ELc67ELc85EKPKS1_KPS1_EviT_PT9_S7_lS9_S7_lPT10_S7_li
	.p2align	8
	.type	_ZL37rocblas_syrkx_herkx_restricted_kernelIi19rocblas_complex_numIfELi16ELi32ELi8ELi1ELi1ELb1ELc67ELc85EKPKS1_KPS1_EviT_PT9_S7_lS9_S7_lPT10_S7_li,@function
_ZL37rocblas_syrkx_herkx_restricted_kernelIi19rocblas_complex_numIfELi16ELi32ELi8ELi1ELi1ELb1ELc67ELc85EKPKS1_KPS1_EviT_PT9_S7_lS9_S7_lPT10_S7_li: ; @_ZL37rocblas_syrkx_herkx_restricted_kernelIi19rocblas_complex_numIfELi16ELi32ELi8ELi1ELi1ELb1ELc67ELc85EKPKS1_KPS1_EviT_PT9_S7_lS9_S7_lPT10_S7_li
; %bb.0:
	s_clause 0x1
	s_load_b64 s[4:5], s[0:1], 0x38
	s_load_b64 s[2:3], s[0:1], 0x0
	s_mov_b32 s6, s15
	s_mov_b32 s7, 0
	v_dual_mov_b32 v17, 0 :: v_dual_and_b32 v6, 0x3ff, v0
	s_lshl_b64 s[8:9], s[6:7], 3
	v_bfe_u32 v8, v0, 10, 10
	v_dual_mov_b32 v16, 0 :: v_dual_mov_b32 v13, 0
	v_dual_mov_b32 v12, 0 :: v_dual_mov_b32 v9, 0
	;; [unrolled: 1-line block ×3, first 2 shown]
	v_mov_b32_e32 v1, 0
	s_waitcnt lgkmcnt(0)
	s_add_u32 s4, s4, s8
	s_addc_u32 s5, s5, s9
	s_lshl_b32 s6, s13, 5
	s_load_b64 s[4:5], s[4:5], 0x0
	s_lshl_b32 s10, s14, 5
	s_cmp_lt_i32 s3, 1
	s_cbranch_scc1 .LBB776_3
; %bb.1:
	s_clause 0x3
	s_load_b64 s[12:13], s[0:1], 0x8
	s_load_b64 s[14:15], s[0:1], 0x20
	s_load_b32 s11, s[0:1], 0x10
	s_load_b32 s16, s[0:1], 0x28
	v_lshl_add_u32 v2, v8, 4, v6
	v_dual_mov_b32 v1, 0 :: v_dual_and_b32 v0, 7, v6
	v_lshlrev_b32_e32 v10, 3, v6
	v_lshl_add_u32 v11, v8, 6, 0x800
	s_delay_alu instid0(VALU_DEP_4)
	v_and_b32_e32 v14, 31, v2
	v_lshrrev_b32_e32 v9, 3, v2
	v_lshrrev_b32_e32 v2, 5, v2
	v_mov_b32_e32 v3, v1
	v_mov_b32_e32 v17, v1
	v_add_nc_u32_e32 v7, s6, v14
	v_dual_mov_b32 v16, v1 :: v_dual_add_nc_u32 v15, s10, v9
	s_waitcnt lgkmcnt(0)
	s_add_u32 s12, s12, s8
	s_addc_u32 s13, s13, s9
	s_add_u32 s8, s14, s8
	s_load_b64 s[12:13], s[12:13], 0x0
	s_addc_u32 s9, s15, s9
	v_mad_i64_i32 v[4:5], null, s11, v7, v[2:3]
	s_load_b64 s[8:9], s[8:9], 0x0
	v_lshlrev_b32_e32 v3, 3, v0
	v_mad_i64_i32 v[12:13], null, s16, v15, v[0:1]
	v_dual_mov_b32 v7, v1 :: v_dual_lshlrev_b32 v14, 3, v14
	s_delay_alu instid0(VALU_DEP_3)
	v_lshl_or_b32 v15, v9, 6, v3
	v_mov_b32_e32 v9, v1
	v_lshlrev_b64 v[3:4], 3, v[4:5]
	v_mov_b32_e32 v0, v1
	v_lshlrev_b64 v[12:13], 3, v[12:13]
	v_lshl_or_b32 v14, v2, 8, v14
	v_add_nc_u32_e32 v15, 0x800, v15
	s_waitcnt lgkmcnt(0)
	v_add_co_u32 v2, vcc_lo, v3, s12
	v_add_co_ci_u32_e32 v3, vcc_lo, s13, v4, vcc_lo
	v_add_co_u32 v4, vcc_lo, v12, s8
	v_add_co_ci_u32_e32 v5, vcc_lo, s9, v13, vcc_lo
	s_delay_alu instid0(VALU_DEP_4) | instskip(NEXT) | instid1(VALU_DEP_4)
	v_add_co_u32 v2, vcc_lo, v2, 4
	v_add_co_ci_u32_e32 v3, vcc_lo, 0, v3, vcc_lo
	s_delay_alu instid0(VALU_DEP_4) | instskip(NEXT) | instid1(VALU_DEP_4)
	v_add_co_u32 v4, vcc_lo, v4, 4
	v_add_co_ci_u32_e32 v5, vcc_lo, 0, v5, vcc_lo
	v_mov_b32_e32 v12, v1
	v_mov_b32_e32 v13, v1
.LBB776_2:                              ; =>This Inner Loop Header: Depth=1
	global_load_b64 v[18:19], v[2:3], off offset:-4
	global_load_b64 v[20:21], v[4:5], off offset:-4
	v_add_co_u32 v2, vcc_lo, v2, 64
	v_add_co_ci_u32_e32 v3, vcc_lo, 0, v3, vcc_lo
	v_add_co_u32 v4, vcc_lo, v4, 64
	v_add_co_ci_u32_e32 v5, vcc_lo, 0, v5, vcc_lo
	s_add_i32 s7, s7, 8
	s_delay_alu instid0(SALU_CYCLE_1)
	s_cmp_ge_i32 s7, s3
	s_waitcnt vmcnt(1)
	v_xor_b32_e32 v19, 0x80000000, v19
	ds_store_b64 v14, v[18:19]
	s_waitcnt vmcnt(0)
	ds_store_b64 v15, v[20:21]
	s_waitcnt lgkmcnt(0)
	s_barrier
	buffer_gl0_inv
	ds_load_2addr_b64 v[18:21], v10 offset1:16
	ds_load_b128 v[22:25], v11
	ds_load_b128 v[26:29], v11 offset:1024
	ds_load_b128 v[30:33], v11 offset:16
	ds_load_2addr_b64 v[34:37], v10 offset0:32 offset1:48
	ds_load_b128 v[38:41], v11 offset:32
	ds_load_b128 v[42:45], v11 offset:48
	ds_load_2addr_b64 v[46:49], v10 offset0:64 offset1:80
	ds_load_b128 v[50:53], v11 offset:1040
	ds_load_2addr_b64 v[54:57], v10 offset0:96 offset1:112
	ds_load_2addr_b64 v[58:61], v10 offset0:128 offset1:144
	;; [unrolled: 1-line block ×4, first 2 shown]
	ds_load_b128 v[70:73], v11 offset:1056
	ds_load_b128 v[74:77], v11 offset:1072
	ds_load_2addr_b64 v[78:81], v10 offset0:224 offset1:240
	s_waitcnt lgkmcnt(0)
	s_barrier
	buffer_gl0_inv
	v_dual_mul_f32 v82, v23, v19 :: v_dual_mul_f32 v85, v22, v21
	v_dual_mul_f32 v83, v22, v19 :: v_dual_mul_f32 v84, v23, v21
	v_mul_f32_e32 v86, v27, v19
	v_dual_mul_f32 v19, v26, v19 :: v_dual_mul_f32 v90, v25, v37
	v_dual_mul_f32 v87, v27, v21 :: v_dual_mul_f32 v88, v25, v35
	v_mul_f32_e32 v21, v26, v21
	v_fma_f32 v82, v22, v18, -v82
	v_fmac_f32_e32 v83, v23, v18
	v_fma_f32 v22, v22, v20, -v84
	v_fmac_f32_e32 v85, v23, v20
	v_fma_f32 v23, v26, v18, -v86
	v_dual_fmac_f32 v19, v27, v18 :: v_dual_mul_f32 v86, v30, v47
	v_fma_f32 v18, v26, v20, -v87
	v_dual_fmac_f32 v21, v27, v20 :: v_dual_mul_f32 v20, v24, v37
	v_mul_f32_e32 v89, v24, v35
	v_mul_f32_e32 v26, v29, v35
	;; [unrolled: 1-line block ×4, first 2 shown]
	v_fmac_f32_e32 v20, v25, v36
	v_fmac_f32_e32 v89, v25, v34
	v_dual_mul_f32 v25, v28, v37 :: v_dual_fmac_f32 v86, v31, v46
	v_fma_f32 v84, v24, v34, -v88
	v_fma_f32 v24, v24, v36, -v90
	v_dual_mul_f32 v37, v31, v47 :: v_dual_mul_f32 v90, v33, v57
	v_fma_f32 v26, v28, v34, -v26
	v_fma_f32 v28, v28, v36, -v35
	v_fmac_f32_e32 v25, v29, v36
	v_dual_mul_f32 v35, v50, v47 :: v_dual_mul_f32 v36, v51, v49
	v_dual_fmac_f32 v27, v29, v34 :: v_dual_mul_f32 v34, v51, v47
	v_dual_mul_f32 v88, v32, v55 :: v_dual_mul_f32 v29, v30, v49
	v_mul_f32_e32 v87, v31, v49
	v_fma_f32 v37, v30, v46, -v37
	v_add_f32_e32 v16, v16, v82
	s_delay_alu instid0(VALU_DEP_4)
	v_dual_fmac_f32 v88, v33, v54 :: v_dual_fmac_f32 v29, v31, v48
	v_fma_f32 v31, v50, v46, -v34
	v_fma_f32 v34, v50, v48, -v36
	v_mul_f32_e32 v36, v32, v57
	v_mul_f32_e32 v47, v50, v49
	v_dual_mul_f32 v50, v53, v57 :: v_dual_fmac_f32 v35, v51, v46
	v_mul_f32_e32 v46, v53, v55
	v_mul_f32_e32 v49, v33, v55
	v_fma_f32 v30, v30, v48, -v87
	v_fmac_f32_e32 v36, v33, v56
	v_dual_fmac_f32 v47, v51, v48 :: v_dual_mul_f32 v48, v52, v55
	v_mul_f32_e32 v33, v52, v57
	v_fma_f32 v46, v52, v54, -v46
	v_fma_f32 v50, v52, v56, -v50
	v_mul_f32_e32 v52, v38, v61
	v_fma_f32 v49, v32, v54, -v49
	v_fma_f32 v32, v32, v56, -v90
	v_dual_mul_f32 v51, v39, v59 :: v_dual_fmac_f32 v48, v53, v54
	v_mul_f32_e32 v54, v70, v59
	v_dual_mul_f32 v55, v38, v59 :: v_dual_fmac_f32 v52, v39, v60
	v_fmac_f32_e32 v33, v53, v56
	v_mul_f32_e32 v53, v71, v59
	v_mul_f32_e32 v56, v71, v61
	;; [unrolled: 1-line block ×3, first 2 shown]
	v_fmac_f32_e32 v54, v71, v58
	v_fmac_f32_e32 v55, v39, v58
	v_fma_f32 v39, v70, v58, -v53
	v_fma_f32 v53, v70, v60, -v56
	v_mul_f32_e32 v56, v40, v65
	v_mul_f32_e32 v59, v70, v61
	v_fma_f32 v51, v38, v58, -v51
	v_mul_f32_e32 v58, v72, v63
	v_mul_f32_e32 v87, v40, v63
	;; [unrolled: 1-line block ×4, first 2 shown]
	v_fma_f32 v38, v38, v60, -v57
	v_mul_f32_e32 v57, v73, v63
	v_fmac_f32_e32 v56, v41, v64
	v_dual_fmac_f32 v59, v71, v60 :: v_dual_mul_f32 v60, v73, v65
	v_mul_f32_e32 v63, v43, v67
	v_mul_f32_e32 v70, v43, v69
	v_fmac_f32_e32 v58, v73, v62
	v_fmac_f32_e32 v87, v41, v62
	v_mul_f32_e32 v41, v72, v65
	v_fma_f32 v61, v40, v62, -v61
	v_fma_f32 v40, v40, v64, -v90
	v_mul_f32_e32 v65, v42, v67
	v_fma_f32 v57, v72, v62, -v57
	v_fma_f32 v60, v72, v64, -v60
	v_dual_fmac_f32 v41, v73, v64 :: v_dual_mul_f32 v62, v42, v69
	v_mul_f32_e32 v64, v75, v67
	v_fma_f32 v63, v42, v66, -v63
	v_fma_f32 v42, v42, v68, -v70
	v_mul_f32_e32 v70, v76, v79
	v_mul_f32_e32 v67, v74, v67
	;; [unrolled: 1-line block ×4, first 2 shown]
	v_dual_fmac_f32 v65, v43, v66 :: v_dual_add_f32 v12, v12, v85
	v_fmac_f32_e32 v62, v43, v68
	v_fma_f32 v43, v74, v66, -v64
	v_fmac_f32_e32 v70, v77, v78
	v_dual_fmac_f32 v67, v75, v66 :: v_dual_add_f32 v16, v16, v84
	v_mul_f32_e32 v66, v44, v81
	v_dual_mul_f32 v69, v74, v69 :: v_dual_add_f32 v0, v0, v19
	v_mul_f32_e32 v72, v45, v79
	v_mul_f32_e32 v90, v45, v81
	v_fma_f32 v64, v74, v68, -v71
	v_dual_mul_f32 v71, v77, v81 :: v_dual_add_f32 v12, v12, v20
	v_dual_fmac_f32 v73, v45, v78 :: v_dual_add_f32 v16, v16, v37
	v_dual_fmac_f32 v66, v45, v80 :: v_dual_mul_f32 v45, v76, v81
	v_dual_fmac_f32 v69, v75, v68 :: v_dual_add_f32 v0, v0, v27
	s_delay_alu instid0(VALU_DEP_4) | instskip(NEXT) | instid1(VALU_DEP_3)
	v_dual_add_f32 v12, v12, v29 :: v_dual_add_f32 v17, v17, v83
	v_dual_add_f32 v16, v16, v49 :: v_dual_fmac_f32 v45, v77, v80
	s_delay_alu instid0(VALU_DEP_3) | instskip(NEXT) | instid1(VALU_DEP_3)
	v_dual_add_f32 v13, v13, v22 :: v_dual_add_f32 v0, v0, v35
	v_dual_add_f32 v9, v9, v23 :: v_dual_add_f32 v12, v12, v36
	v_add_f32_e32 v7, v7, v18
	s_delay_alu instid0(VALU_DEP_4) | instskip(NEXT) | instid1(VALU_DEP_3)
	v_dual_add_f32 v1, v1, v21 :: v_dual_add_f32 v16, v16, v51
	v_dual_add_f32 v17, v17, v89 :: v_dual_add_f32 v12, v12, v52
	v_add_f32_e32 v0, v0, v48
	v_add_f32_e32 v13, v13, v24
	s_delay_alu instid0(VALU_DEP_4) | instskip(NEXT) | instid1(VALU_DEP_4)
	v_dual_add_f32 v9, v9, v26 :: v_dual_add_f32 v16, v16, v61
	v_dual_add_f32 v1, v1, v25 :: v_dual_add_f32 v12, v12, v56
	s_delay_alu instid0(VALU_DEP_4) | instskip(SKIP_1) | instid1(VALU_DEP_4)
	v_dual_add_f32 v0, v0, v54 :: v_dual_add_f32 v7, v7, v28
	v_fma_f32 v72, v44, v78, -v72
	v_dual_add_f32 v17, v17, v86 :: v_dual_add_f32 v16, v16, v63
	s_delay_alu instid0(VALU_DEP_4) | instskip(NEXT) | instid1(VALU_DEP_4)
	v_dual_add_f32 v9, v9, v31 :: v_dual_add_f32 v12, v12, v62
	v_dual_add_f32 v1, v1, v47 :: v_dual_add_f32 v0, v0, v58
	v_add_f32_e32 v13, v13, v30
	s_delay_alu instid0(VALU_DEP_4) | instskip(NEXT) | instid1(VALU_DEP_3)
	v_dual_add_f32 v7, v7, v34 :: v_dual_add_f32 v16, v16, v72
	v_dual_add_f32 v9, v9, v46 :: v_dual_add_f32 v0, v0, v67
	v_add_f32_e32 v17, v17, v88
	s_delay_alu instid0(VALU_DEP_4) | instskip(NEXT) | instid1(VALU_DEP_4)
	v_add_f32_e32 v13, v13, v32
	v_add_f32_e32 v7, v7, v50
	;; [unrolled: 1-line block ×3, first 2 shown]
	v_dual_add_f32 v0, v0, v70 :: v_dual_add_f32 v1, v1, v33
	v_add_f32_e32 v17, v17, v55
	v_add_f32_e32 v13, v13, v38
	;; [unrolled: 1-line block ×5, first 2 shown]
	v_mul_f32_e32 v68, v77, v79
	v_add_f32_e32 v17, v17, v87
	v_add_f32_e32 v13, v13, v40
	;; [unrolled: 1-line block ×5, first 2 shown]
	v_fma_f32 v44, v44, v80, -v90
	v_fma_f32 v68, v76, v78, -v68
	;; [unrolled: 1-line block ×3, first 2 shown]
	v_add_f32_e32 v17, v17, v65
	v_add_f32_e32 v13, v13, v42
	;; [unrolled: 1-line block ×10, first 2 shown]
	s_cbranch_scc0 .LBB776_2
.LBB776_3:
	s_load_b32 s3, s[0:1], 0x40
	v_add_nc_u32_e32 v8, s10, v8
	v_add_nc_u32_e32 v2, s6, v6
	s_delay_alu instid0(VALU_DEP_2) | instskip(NEXT) | instid1(VALU_DEP_2)
	v_cmp_gt_i32_e32 vcc_lo, s2, v8
	v_cmp_le_i32_e64 s0, v2, v8
	s_delay_alu instid0(VALU_DEP_1) | instskip(SKIP_2) | instid1(VALU_DEP_1)
	s_and_b32 s0, vcc_lo, s0
	s_waitcnt lgkmcnt(0)
	v_mad_i64_i32 v[3:4], null, v8, s3, 0
	v_lshlrev_b64 v[3:4], 3, v[3:4]
	s_delay_alu instid0(VALU_DEP_1) | instskip(NEXT) | instid1(VALU_DEP_1)
	v_add_co_u32 v6, s1, s4, v3
	v_add_co_ci_u32_e64 v10, s1, s5, v4, s1
	s_and_saveexec_b32 s1, s0
	s_cbranch_execz .LBB776_6
; %bb.4:
	v_ashrrev_i32_e32 v3, 31, v2
	s_delay_alu instid0(VALU_DEP_1) | instskip(NEXT) | instid1(VALU_DEP_1)
	v_lshlrev_b64 v[3:4], 3, v[2:3]
	v_add_co_u32 v3, s0, v6, v3
	s_delay_alu instid0(VALU_DEP_1)
	v_add_co_ci_u32_e64 v4, s0, v10, v4, s0
	v_cmp_eq_u32_e64 s0, v8, v2
	global_load_b64 v[14:15], v[3:4], off
	s_waitcnt vmcnt(0)
	v_dual_add_f32 v14, v16, v14 :: v_dual_add_f32 v15, v17, v15
	global_store_b64 v[3:4], v[14:15], off
	s_and_b32 exec_lo, exec_lo, s0
	s_cbranch_execz .LBB776_6
; %bb.5:
	v_mov_b32_e32 v5, 0
	global_store_b32 v[3:4], v5, off offset:4
.LBB776_6:
	s_or_b32 exec_lo, exec_lo, s1
	v_add_nc_u32_e32 v4, 16, v2
	s_delay_alu instid0(VALU_DEP_1) | instskip(NEXT) | instid1(VALU_DEP_1)
	v_cmp_le_i32_e64 s0, v4, v8
	s_and_b32 s1, vcc_lo, s0
	s_delay_alu instid0(SALU_CYCLE_1)
	s_and_saveexec_b32 s0, s1
	s_cbranch_execz .LBB776_9
; %bb.7:
	v_ashrrev_i32_e32 v5, 31, v4
	s_delay_alu instid0(VALU_DEP_1) | instskip(NEXT) | instid1(VALU_DEP_1)
	v_lshlrev_b64 v[14:15], 3, v[4:5]
	v_add_co_u32 v5, vcc_lo, v6, v14
	s_delay_alu instid0(VALU_DEP_2)
	v_add_co_ci_u32_e32 v6, vcc_lo, v10, v15, vcc_lo
	v_cmp_eq_u32_e32 vcc_lo, v8, v4
	global_load_b64 v[10:11], v[5:6], off
	s_waitcnt vmcnt(0)
	v_dual_add_f32 v10, v13, v10 :: v_dual_add_f32 v11, v12, v11
	global_store_b64 v[5:6], v[10:11], off
	s_and_b32 exec_lo, exec_lo, vcc_lo
	s_cbranch_execz .LBB776_9
; %bb.8:
	v_mov_b32_e32 v3, 0
	global_store_b32 v[5:6], v3, off offset:4
.LBB776_9:
	s_or_b32 exec_lo, exec_lo, s0
	v_add_nc_u32_e32 v12, 16, v8
	s_delay_alu instid0(VALU_DEP_1) | instskip(SKIP_2) | instid1(VALU_DEP_1)
	v_mad_i64_i32 v[5:6], null, v12, s3, 0
	v_cmp_gt_i32_e32 vcc_lo, s2, v12
	v_cmp_le_i32_e64 s0, v2, v12
	s_and_b32 s0, vcc_lo, s0
	s_delay_alu instid0(VALU_DEP_3) | instskip(NEXT) | instid1(VALU_DEP_1)
	v_lshlrev_b64 v[5:6], 3, v[5:6]
	v_add_co_u32 v10, s1, s4, v5
	s_delay_alu instid0(VALU_DEP_1)
	v_add_co_ci_u32_e64 v11, s1, s5, v6, s1
	s_and_saveexec_b32 s1, s0
	s_cbranch_execz .LBB776_12
; %bb.10:
	v_ashrrev_i32_e32 v3, 31, v2
	s_delay_alu instid0(VALU_DEP_1) | instskip(NEXT) | instid1(VALU_DEP_1)
	v_lshlrev_b64 v[5:6], 3, v[2:3]
	v_add_co_u32 v5, s0, v10, v5
	s_delay_alu instid0(VALU_DEP_1)
	v_add_co_ci_u32_e64 v6, s0, v11, v6, s0
	v_cmp_eq_u32_e64 s0, v12, v2
	global_load_b64 v[13:14], v[5:6], off
	s_waitcnt vmcnt(0)
	v_dual_add_f32 v13, v9, v13 :: v_dual_add_f32 v14, v0, v14
	global_store_b64 v[5:6], v[13:14], off
	s_and_b32 exec_lo, exec_lo, s0
	s_cbranch_execz .LBB776_12
; %bb.11:
	v_mov_b32_e32 v0, 0
	global_store_b32 v[5:6], v0, off offset:4
.LBB776_12:
	s_or_b32 exec_lo, exec_lo, s1
	v_cmp_le_i32_e64 s0, v4, v12
	s_delay_alu instid0(VALU_DEP_1) | instskip(NEXT) | instid1(SALU_CYCLE_1)
	s_and_b32 s0, vcc_lo, s0
	s_and_saveexec_b32 s1, s0
	s_cbranch_execz .LBB776_15
; %bb.13:
	v_ashrrev_i32_e32 v5, 31, v4
	s_delay_alu instid0(VALU_DEP_1) | instskip(NEXT) | instid1(VALU_DEP_1)
	v_lshlrev_b64 v[3:4], 3, v[4:5]
	v_add_co_u32 v3, vcc_lo, v10, v3
	s_delay_alu instid0(VALU_DEP_2)
	v_add_co_ci_u32_e32 v4, vcc_lo, v11, v4, vcc_lo
	v_cmp_eq_u32_e32 vcc_lo, v8, v2
	global_load_b64 v[5:6], v[3:4], off
	s_waitcnt vmcnt(0)
	v_dual_add_f32 v0, v7, v5 :: v_dual_add_f32 v1, v1, v6
	global_store_b64 v[3:4], v[0:1], off
	s_and_b32 exec_lo, exec_lo, vcc_lo
	s_cbranch_execz .LBB776_15
; %bb.14:
	v_mov_b32_e32 v0, 0
	global_store_b32 v[3:4], v0, off offset:4
.LBB776_15:
	s_nop 0
	s_sendmsg sendmsg(MSG_DEALLOC_VGPRS)
	s_endpgm
	.section	.rodata,"a",@progbits
	.p2align	6, 0x0
	.amdhsa_kernel _ZL37rocblas_syrkx_herkx_restricted_kernelIi19rocblas_complex_numIfELi16ELi32ELi8ELi1ELi1ELb1ELc67ELc85EKPKS1_KPS1_EviT_PT9_S7_lS9_S7_lPT10_S7_li
		.amdhsa_group_segment_fixed_size 4096
		.amdhsa_private_segment_fixed_size 0
		.amdhsa_kernarg_size 84
		.amdhsa_user_sgpr_count 13
		.amdhsa_user_sgpr_dispatch_ptr 0
		.amdhsa_user_sgpr_queue_ptr 0
		.amdhsa_user_sgpr_kernarg_segment_ptr 1
		.amdhsa_user_sgpr_dispatch_id 0
		.amdhsa_user_sgpr_private_segment_size 0
		.amdhsa_wavefront_size32 1
		.amdhsa_uses_dynamic_stack 0
		.amdhsa_enable_private_segment 0
		.amdhsa_system_sgpr_workgroup_id_x 1
		.amdhsa_system_sgpr_workgroup_id_y 1
		.amdhsa_system_sgpr_workgroup_id_z 1
		.amdhsa_system_sgpr_workgroup_info 0
		.amdhsa_system_vgpr_workitem_id 1
		.amdhsa_next_free_vgpr 91
		.amdhsa_next_free_sgpr 17
		.amdhsa_reserve_vcc 1
		.amdhsa_float_round_mode_32 0
		.amdhsa_float_round_mode_16_64 0
		.amdhsa_float_denorm_mode_32 3
		.amdhsa_float_denorm_mode_16_64 3
		.amdhsa_dx10_clamp 1
		.amdhsa_ieee_mode 1
		.amdhsa_fp16_overflow 0
		.amdhsa_workgroup_processor_mode 1
		.amdhsa_memory_ordered 1
		.amdhsa_forward_progress 0
		.amdhsa_shared_vgpr_count 0
		.amdhsa_exception_fp_ieee_invalid_op 0
		.amdhsa_exception_fp_denorm_src 0
		.amdhsa_exception_fp_ieee_div_zero 0
		.amdhsa_exception_fp_ieee_overflow 0
		.amdhsa_exception_fp_ieee_underflow 0
		.amdhsa_exception_fp_ieee_inexact 0
		.amdhsa_exception_int_div_zero 0
	.end_amdhsa_kernel
	.section	.text._ZL37rocblas_syrkx_herkx_restricted_kernelIi19rocblas_complex_numIfELi16ELi32ELi8ELi1ELi1ELb1ELc67ELc85EKPKS1_KPS1_EviT_PT9_S7_lS9_S7_lPT10_S7_li,"axG",@progbits,_ZL37rocblas_syrkx_herkx_restricted_kernelIi19rocblas_complex_numIfELi16ELi32ELi8ELi1ELi1ELb1ELc67ELc85EKPKS1_KPS1_EviT_PT9_S7_lS9_S7_lPT10_S7_li,comdat
.Lfunc_end776:
	.size	_ZL37rocblas_syrkx_herkx_restricted_kernelIi19rocblas_complex_numIfELi16ELi32ELi8ELi1ELi1ELb1ELc67ELc85EKPKS1_KPS1_EviT_PT9_S7_lS9_S7_lPT10_S7_li, .Lfunc_end776-_ZL37rocblas_syrkx_herkx_restricted_kernelIi19rocblas_complex_numIfELi16ELi32ELi8ELi1ELi1ELb1ELc67ELc85EKPKS1_KPS1_EviT_PT9_S7_lS9_S7_lPT10_S7_li
                                        ; -- End function
	.section	.AMDGPU.csdata,"",@progbits
; Kernel info:
; codeLenInByte = 2176
; NumSgprs: 19
; NumVgprs: 91
; ScratchSize: 0
; MemoryBound: 0
; FloatMode: 240
; IeeeMode: 1
; LDSByteSize: 4096 bytes/workgroup (compile time only)
; SGPRBlocks: 2
; VGPRBlocks: 11
; NumSGPRsForWavesPerEU: 19
; NumVGPRsForWavesPerEU: 91
; Occupancy: 16
; WaveLimiterHint : 1
; COMPUTE_PGM_RSRC2:SCRATCH_EN: 0
; COMPUTE_PGM_RSRC2:USER_SGPR: 13
; COMPUTE_PGM_RSRC2:TRAP_HANDLER: 0
; COMPUTE_PGM_RSRC2:TGID_X_EN: 1
; COMPUTE_PGM_RSRC2:TGID_Y_EN: 1
; COMPUTE_PGM_RSRC2:TGID_Z_EN: 1
; COMPUTE_PGM_RSRC2:TIDIG_COMP_CNT: 1
	.section	.text._ZL37rocblas_syrkx_herkx_restricted_kernelIi19rocblas_complex_numIfELi16ELi32ELi8ELi1ELi1ELb1ELc78ELc85EKPKS1_KPS1_EviT_PT9_S7_lS9_S7_lPT10_S7_li,"axG",@progbits,_ZL37rocblas_syrkx_herkx_restricted_kernelIi19rocblas_complex_numIfELi16ELi32ELi8ELi1ELi1ELb1ELc78ELc85EKPKS1_KPS1_EviT_PT9_S7_lS9_S7_lPT10_S7_li,comdat
	.globl	_ZL37rocblas_syrkx_herkx_restricted_kernelIi19rocblas_complex_numIfELi16ELi32ELi8ELi1ELi1ELb1ELc78ELc85EKPKS1_KPS1_EviT_PT9_S7_lS9_S7_lPT10_S7_li ; -- Begin function _ZL37rocblas_syrkx_herkx_restricted_kernelIi19rocblas_complex_numIfELi16ELi32ELi8ELi1ELi1ELb1ELc78ELc85EKPKS1_KPS1_EviT_PT9_S7_lS9_S7_lPT10_S7_li
	.p2align	8
	.type	_ZL37rocblas_syrkx_herkx_restricted_kernelIi19rocblas_complex_numIfELi16ELi32ELi8ELi1ELi1ELb1ELc78ELc85EKPKS1_KPS1_EviT_PT9_S7_lS9_S7_lPT10_S7_li,@function
_ZL37rocblas_syrkx_herkx_restricted_kernelIi19rocblas_complex_numIfELi16ELi32ELi8ELi1ELi1ELb1ELc78ELc85EKPKS1_KPS1_EviT_PT9_S7_lS9_S7_lPT10_S7_li: ; @_ZL37rocblas_syrkx_herkx_restricted_kernelIi19rocblas_complex_numIfELi16ELi32ELi8ELi1ELi1ELb1ELc78ELc85EKPKS1_KPS1_EviT_PT9_S7_lS9_S7_lPT10_S7_li
; %bb.0:
	s_clause 0x1
	s_load_b64 s[4:5], s[0:1], 0x38
	s_load_b64 s[2:3], s[0:1], 0x0
	s_mov_b32 s6, s15
	s_mov_b32 s7, 0
	v_dual_mov_b32 v17, 0 :: v_dual_and_b32 v4, 0x3ff, v0
	s_lshl_b64 s[8:9], s[6:7], 3
	v_bfe_u32 v5, v0, 10, 10
	v_dual_mov_b32 v16, 0 :: v_dual_mov_b32 v11, 0
	v_dual_mov_b32 v12, 0 :: v_dual_mov_b32 v9, 0
	v_dual_mov_b32 v8, 0 :: v_dual_mov_b32 v7, 0
	v_mov_b32_e32 v6, 0
	s_waitcnt lgkmcnt(0)
	s_add_u32 s4, s4, s8
	s_addc_u32 s5, s5, s9
	s_lshl_b32 s6, s13, 5
	s_load_b64 s[4:5], s[4:5], 0x0
	s_lshl_b32 s12, s14, 5
	s_cmp_lt_i32 s3, 1
	s_cbranch_scc1 .LBB777_3
; %bb.1:
	s_clause 0x3
	s_load_b32 s10, s[0:1], 0x10
	s_load_b32 s14, s[0:1], 0x28
	s_load_b64 s[16:17], s[0:1], 0x8
	s_load_b64 s[18:19], s[0:1], 0x20
	v_lshl_add_u32 v0, v5, 4, v4
	v_and_b32_e32 v11, 7, v4
	v_lshlrev_b32_e32 v10, 3, v4
	v_lshl_add_u32 v13, v5, 6, 0x800
	v_mov_b32_e32 v17, 0
	v_and_b32_e32 v9, 31, v0
	v_lshrrev_b32_e32 v6, 3, v0
	v_lshrrev_b32_e32 v12, 5, v0
	v_mov_b32_e32 v16, 0
	s_delay_alu instid0(VALU_DEP_4) | instskip(NEXT) | instid1(VALU_DEP_4)
	v_add_nc_u32_e32 v2, s6, v9
	v_add_nc_u32_e32 v0, s12, v6
	s_delay_alu instid0(VALU_DEP_2)
	v_ashrrev_i32_e32 v3, 31, v2
	s_waitcnt lgkmcnt(0)
	s_ashr_i32 s11, s10, 31
	s_ashr_i32 s15, s14, 31
	s_add_u32 s16, s16, s8
	s_addc_u32 s17, s17, s9
	s_add_u32 s8, s18, s8
	s_load_b64 s[16:17], s[16:17], 0x0
	s_addc_u32 s9, s19, s9
	v_ashrrev_i32_e32 v1, 31, v0
	s_load_b64 s[8:9], s[8:9], 0x0
	v_mad_i64_i32 v[7:8], null, s10, v12, v[2:3]
	s_delay_alu instid0(VALU_DEP_2) | instskip(NEXT) | instid1(VALU_DEP_2)
	v_mad_i64_i32 v[2:3], null, s14, v11, v[0:1]
	v_lshlrev_b64 v[0:1], 3, v[7:8]
	v_mov_b32_e32 v8, 0
	v_lshlrev_b32_e32 v14, 3, v11
	s_delay_alu instid0(VALU_DEP_4) | instskip(SKIP_1) | instid1(VALU_DEP_3)
	v_lshlrev_b64 v[2:3], 3, v[2:3]
	v_mov_b32_e32 v7, 0
	v_lshl_or_b32 v11, v6, 6, v14
	s_waitcnt lgkmcnt(0)
	v_add_co_u32 v0, vcc_lo, v0, s16
	v_add_co_ci_u32_e32 v1, vcc_lo, s17, v1, vcc_lo
	v_add_co_u32 v2, vcc_lo, v2, s8
	v_add_co_ci_u32_e32 v3, vcc_lo, s9, v3, vcc_lo
	v_dual_mov_b32 v6, 0 :: v_dual_lshlrev_b32 v9, 3, v9
	v_add_co_u32 v0, vcc_lo, v0, 4
	v_add_co_ci_u32_e32 v1, vcc_lo, 0, v1, vcc_lo
	v_add_co_u32 v2, vcc_lo, v2, 4
	s_delay_alu instid0(VALU_DEP_4)
	v_lshl_or_b32 v14, v12, 8, v9
	v_dual_mov_b32 v12, 0 :: v_dual_add_nc_u32 v15, 0x800, v11
	v_add_co_ci_u32_e32 v3, vcc_lo, 0, v3, vcc_lo
	v_mov_b32_e32 v9, 0
	v_mov_b32_e32 v11, 0
	s_lshl_b64 s[8:9], s[10:11], 6
	s_lshl_b64 s[10:11], s[14:15], 6
.LBB777_2:                              ; =>This Inner Loop Header: Depth=1
	global_load_b64 v[18:19], v[2:3], off offset:-4
	global_load_b64 v[20:21], v[0:1], off offset:-4
	v_add_co_u32 v0, vcc_lo, v0, s8
	v_add_co_ci_u32_e32 v1, vcc_lo, s9, v1, vcc_lo
	v_add_co_u32 v2, vcc_lo, v2, s10
	v_add_co_ci_u32_e32 v3, vcc_lo, s11, v3, vcc_lo
	s_add_i32 s7, s7, 8
	s_delay_alu instid0(SALU_CYCLE_1)
	s_cmp_ge_i32 s7, s3
	s_waitcnt vmcnt(1)
	v_xor_b32_e32 v19, 0x80000000, v19
	s_waitcnt vmcnt(0)
	ds_store_b64 v14, v[20:21]
	ds_store_b64 v15, v[18:19]
	s_waitcnt lgkmcnt(0)
	s_barrier
	buffer_gl0_inv
	ds_load_2addr_b64 v[18:21], v10 offset1:16
	ds_load_b128 v[22:25], v13
	ds_load_b128 v[26:29], v13 offset:1024
	ds_load_b128 v[30:33], v13 offset:16
	ds_load_2addr_b64 v[34:37], v10 offset0:32 offset1:48
	ds_load_b128 v[38:41], v13 offset:32
	ds_load_b128 v[42:45], v13 offset:48
	ds_load_2addr_b64 v[46:49], v10 offset0:64 offset1:80
	ds_load_b128 v[50:53], v13 offset:1040
	ds_load_2addr_b64 v[54:57], v10 offset0:96 offset1:112
	ds_load_2addr_b64 v[58:61], v10 offset0:128 offset1:144
	;; [unrolled: 1-line block ×4, first 2 shown]
	ds_load_b128 v[70:73], v13 offset:1056
	ds_load_b128 v[74:77], v13 offset:1072
	ds_load_2addr_b64 v[78:81], v10 offset0:224 offset1:240
	s_waitcnt lgkmcnt(0)
	s_barrier
	buffer_gl0_inv
	v_dual_mul_f32 v82, v23, v19 :: v_dual_mul_f32 v85, v22, v21
	v_dual_mul_f32 v83, v22, v19 :: v_dual_mul_f32 v84, v23, v21
	v_mul_f32_e32 v86, v27, v19
	v_dual_mul_f32 v19, v26, v19 :: v_dual_mul_f32 v90, v25, v37
	v_dual_mul_f32 v87, v27, v21 :: v_dual_mul_f32 v88, v25, v35
	v_mul_f32_e32 v21, v26, v21
	v_mul_f32_e32 v89, v24, v35
	;; [unrolled: 1-line block ×3, first 2 shown]
	v_fma_f32 v82, v22, v18, -v82
	v_fmac_f32_e32 v83, v23, v18
	v_fma_f32 v22, v22, v20, -v84
	v_dual_fmac_f32 v85, v23, v20 :: v_dual_mul_f32 v84, v30, v47
	v_fma_f32 v23, v26, v18, -v86
	v_fmac_f32_e32 v19, v27, v18
	v_fma_f32 v18, v26, v20, -v87
	v_dual_mul_f32 v26, v28, v35 :: v_dual_fmac_f32 v21, v27, v20
	v_mul_f32_e32 v20, v29, v35
	v_mul_f32_e32 v27, v29, v37
	v_dual_mul_f32 v35, v28, v37 :: v_dual_fmac_f32 v84, v31, v46
	v_fma_f32 v37, v24, v34, -v88
	v_fma_f32 v24, v24, v36, -v90
	v_dual_fmac_f32 v91, v25, v36 :: v_dual_mul_f32 v90, v32, v57
	v_dual_mul_f32 v86, v31, v49 :: v_dual_fmac_f32 v89, v25, v34
	v_dual_mul_f32 v25, v31, v47 :: v_dual_mul_f32 v88, v33, v57
	v_fma_f32 v20, v28, v34, -v20
	v_fmac_f32_e32 v26, v29, v34
	v_fma_f32 v27, v28, v36, -v27
	v_dual_fmac_f32 v35, v29, v36 :: v_dual_mul_f32 v28, v51, v47
	v_dual_mul_f32 v29, v50, v47 :: v_dual_mul_f32 v34, v51, v49
	v_mul_f32_e32 v36, v50, v49
	v_mul_f32_e32 v87, v30, v49
	;; [unrolled: 1-line block ×3, first 2 shown]
	v_dual_mul_f32 v49, v32, v55 :: v_dual_fmac_f32 v90, v33, v56
	v_fma_f32 v25, v30, v46, -v25
	v_fma_f32 v30, v30, v48, -v86
	;; [unrolled: 1-line block ×3, first 2 shown]
	v_fmac_f32_e32 v36, v51, v48
	v_fmac_f32_e32 v87, v31, v48
	v_fma_f32 v31, v50, v48, -v34
	v_mul_f32_e32 v34, v53, v55
	v_mul_f32_e32 v48, v53, v57
	v_dual_mul_f32 v50, v52, v57 :: v_dual_fmac_f32 v29, v51, v46
	v_mul_f32_e32 v46, v52, v55
	v_fma_f32 v47, v32, v54, -v47
	v_fmac_f32_e32 v49, v33, v54
	v_fma_f32 v32, v32, v56, -v88
	s_delay_alu instid0(VALU_DEP_4)
	v_dual_mul_f32 v33, v39, v59 :: v_dual_fmac_f32 v46, v53, v54
	v_mul_f32_e32 v51, v38, v59
	v_mul_f32_e32 v55, v39, v61
	v_fma_f32 v34, v52, v54, -v34
	v_fma_f32 v48, v52, v56, -v48
	v_fmac_f32_e32 v50, v53, v56
	v_mul_f32_e32 v52, v71, v59
	v_dual_mul_f32 v53, v70, v59 :: v_dual_mul_f32 v86, v41, v65
	v_mul_f32_e32 v54, v71, v61
	v_dual_mul_f32 v56, v70, v61 :: v_dual_mul_f32 v59, v41, v63
	v_mul_f32_e32 v57, v38, v61
	v_mul_f32_e32 v61, v40, v63
	v_dual_mul_f32 v88, v40, v65 :: v_dual_fmac_f32 v51, v39, v58
	v_fma_f32 v33, v38, v58, -v33
	v_fmac_f32_e32 v53, v71, v58
	v_fmac_f32_e32 v56, v71, v60
	s_delay_alu instid0(VALU_DEP_4)
	v_fmac_f32_e32 v88, v41, v64
	v_fmac_f32_e32 v57, v39, v60
	v_fma_f32 v39, v70, v58, -v52
	v_fma_f32 v52, v70, v60, -v54
	v_mul_f32_e32 v54, v73, v63
	v_fma_f32 v38, v38, v60, -v55
	v_mul_f32_e32 v60, v72, v65
	v_dual_mul_f32 v55, v72, v63 :: v_dual_mul_f32 v70, v42, v69
	v_mul_f32_e32 v58, v73, v65
	v_fma_f32 v59, v40, v62, -v59
	v_fmac_f32_e32 v61, v41, v62
	v_fma_f32 v40, v40, v64, -v86
	v_dual_mul_f32 v41, v43, v67 :: v_dual_fmac_f32 v60, v73, v64
	v_dual_mul_f32 v63, v42, v67 :: v_dual_mul_f32 v86, v44, v81
	v_mul_f32_e32 v65, v43, v69
	v_fma_f32 v54, v72, v62, -v54
	v_fmac_f32_e32 v55, v73, v62
	v_fma_f32 v58, v72, v64, -v58
	v_mul_f32_e32 v72, v44, v79
	v_mul_f32_e32 v62, v75, v67
	v_dual_mul_f32 v64, v74, v67 :: v_dual_mul_f32 v67, v75, v69
	v_dual_mul_f32 v69, v74, v69 :: v_dual_fmac_f32 v70, v43, v68
	s_delay_alu instid0(VALU_DEP_2)
	v_dual_mul_f32 v71, v45, v79 :: v_dual_fmac_f32 v64, v75, v66
	v_fma_f32 v41, v42, v66, -v41
	v_fmac_f32_e32 v63, v43, v66
	v_fma_f32 v42, v42, v68, -v65
	v_fma_f32 v43, v74, v66, -v62
	v_dual_fmac_f32 v69, v75, v68 :: v_dual_fmac_f32 v72, v45, v78
	v_mul_f32_e32 v66, v76, v79
	v_fma_f32 v62, v74, v68, -v67
	v_mul_f32_e32 v68, v76, v81
	v_dual_mul_f32 v73, v45, v81 :: v_dual_add_f32 v16, v16, v82
	v_dual_mul_f32 v65, v77, v79 :: v_dual_add_f32 v12, v12, v22
	;; [unrolled: 1-line block ×3, first 2 shown]
	v_dual_fmac_f32 v86, v45, v80 :: v_dual_add_f32 v11, v11, v85
	v_dual_fmac_f32 v68, v77, v80 :: v_dual_add_f32 v7, v7, v18
	v_dual_add_f32 v17, v17, v83 :: v_dual_add_f32 v6, v6, v21
	v_dual_add_f32 v9, v9, v23 :: v_dual_add_f32 v16, v16, v37
	s_delay_alu instid0(VALU_DEP_4) | instskip(NEXT) | instid1(VALU_DEP_3)
	v_dual_fmac_f32 v66, v77, v78 :: v_dual_add_f32 v11, v11, v91
	v_dual_add_f32 v17, v17, v89 :: v_dual_add_f32 v12, v12, v24
	s_delay_alu instid0(VALU_DEP_3) | instskip(NEXT) | instid1(VALU_DEP_4)
	v_dual_add_f32 v9, v9, v20 :: v_dual_add_f32 v8, v8, v26
	v_dual_add_f32 v7, v7, v27 :: v_dual_add_f32 v16, v16, v25
	s_delay_alu instid0(VALU_DEP_3) | instskip(NEXT) | instid1(VALU_DEP_4)
	v_dual_add_f32 v6, v6, v35 :: v_dual_add_f32 v17, v17, v84
	v_dual_add_f32 v12, v12, v30 :: v_dual_add_f32 v11, v11, v87
	s_delay_alu instid0(VALU_DEP_4) | instskip(NEXT) | instid1(VALU_DEP_3)
	v_dual_add_f32 v9, v9, v28 :: v_dual_add_f32 v8, v8, v29
	v_dual_add_f32 v7, v7, v31 :: v_dual_add_f32 v6, v6, v36
	s_delay_alu instid0(VALU_DEP_4) | instskip(NEXT) | instid1(VALU_DEP_4)
	v_dual_add_f32 v16, v16, v47 :: v_dual_add_f32 v17, v17, v49
	v_dual_add_f32 v12, v12, v32 :: v_dual_add_f32 v11, v11, v90
	s_delay_alu instid0(VALU_DEP_2) | instskip(NEXT) | instid1(VALU_DEP_4)
	v_dual_add_f32 v9, v9, v34 :: v_dual_add_f32 v16, v16, v33
	v_dual_add_f32 v8, v8, v46 :: v_dual_add_f32 v7, v7, v48
	s_delay_alu instid0(VALU_DEP_4) | instskip(NEXT) | instid1(VALU_DEP_4)
	v_dual_add_f32 v6, v6, v50 :: v_dual_add_f32 v17, v17, v51
	v_dual_add_f32 v12, v12, v38 :: v_dual_add_f32 v11, v11, v57
	s_delay_alu instid0(VALU_DEP_3) | instskip(NEXT) | instid1(VALU_DEP_4)
	v_dual_add_f32 v9, v9, v39 :: v_dual_add_f32 v8, v8, v53
	v_dual_add_f32 v7, v7, v52 :: v_dual_add_f32 v16, v16, v59
	s_delay_alu instid0(VALU_DEP_4) | instskip(NEXT) | instid1(VALU_DEP_3)
	v_dual_add_f32 v6, v6, v56 :: v_dual_add_f32 v17, v17, v61
	v_dual_add_f32 v12, v12, v40 :: v_dual_add_f32 v9, v9, v54
	s_delay_alu instid0(VALU_DEP_4) | instskip(NEXT) | instid1(VALU_DEP_3)
	v_dual_add_f32 v11, v11, v88 :: v_dual_add_f32 v8, v8, v55
	v_dual_add_f32 v7, v7, v58 :: v_dual_add_f32 v6, v6, v60
	v_fma_f32 v71, v44, v78, -v71
	v_fma_f32 v44, v44, v80, -v73
	;; [unrolled: 1-line block ×4, first 2 shown]
	v_dual_add_f32 v16, v16, v41 :: v_dual_add_f32 v17, v17, v63
	v_dual_add_f32 v12, v12, v42 :: v_dual_add_f32 v9, v9, v43
	;; [unrolled: 1-line block ×4, first 2 shown]
	s_delay_alu instid0(VALU_DEP_4) | instskip(NEXT) | instid1(VALU_DEP_3)
	v_dual_add_f32 v16, v16, v71 :: v_dual_add_f32 v17, v17, v72
	v_dual_add_f32 v12, v12, v44 :: v_dual_add_f32 v11, v11, v86
	s_delay_alu instid0(VALU_DEP_4) | instskip(NEXT) | instid1(VALU_DEP_4)
	v_dual_add_f32 v9, v9, v45 :: v_dual_add_f32 v8, v8, v66
	v_dual_add_f32 v7, v7, v65 :: v_dual_add_f32 v6, v6, v68
	s_cbranch_scc0 .LBB777_2
.LBB777_3:
	s_load_b32 s3, s[0:1], 0x40
	v_add_nc_u32_e32 v5, s12, v5
	v_add_nc_u32_e32 v0, s6, v4
	s_delay_alu instid0(VALU_DEP_2) | instskip(NEXT) | instid1(VALU_DEP_2)
	v_cmp_gt_i32_e32 vcc_lo, s2, v5
	v_cmp_le_i32_e64 s0, v0, v5
	s_delay_alu instid0(VALU_DEP_1) | instskip(SKIP_2) | instid1(VALU_DEP_1)
	s_and_b32 s0, vcc_lo, s0
	s_waitcnt lgkmcnt(0)
	v_mad_i64_i32 v[1:2], null, v5, s3, 0
	v_lshlrev_b64 v[1:2], 3, v[1:2]
	s_delay_alu instid0(VALU_DEP_1) | instskip(NEXT) | instid1(VALU_DEP_1)
	v_add_co_u32 v4, s1, s4, v1
	v_add_co_ci_u32_e64 v10, s1, s5, v2, s1
	s_and_saveexec_b32 s1, s0
	s_cbranch_execz .LBB777_6
; %bb.4:
	v_ashrrev_i32_e32 v1, 31, v0
	s_delay_alu instid0(VALU_DEP_1) | instskip(NEXT) | instid1(VALU_DEP_1)
	v_lshlrev_b64 v[1:2], 3, v[0:1]
	v_add_co_u32 v1, s0, v4, v1
	s_delay_alu instid0(VALU_DEP_1)
	v_add_co_ci_u32_e64 v2, s0, v10, v2, s0
	v_cmp_eq_u32_e64 s0, v5, v0
	global_load_b64 v[13:14], v[1:2], off
	s_waitcnt vmcnt(0)
	v_dual_add_f32 v13, v16, v13 :: v_dual_add_f32 v14, v17, v14
	global_store_b64 v[1:2], v[13:14], off
	s_and_b32 exec_lo, exec_lo, s0
	s_cbranch_execz .LBB777_6
; %bb.5:
	v_mov_b32_e32 v3, 0
	global_store_b32 v[1:2], v3, off offset:4
.LBB777_6:
	s_or_b32 exec_lo, exec_lo, s1
	v_add_nc_u32_e32 v2, 16, v0
	s_delay_alu instid0(VALU_DEP_1) | instskip(NEXT) | instid1(VALU_DEP_1)
	v_cmp_le_i32_e64 s0, v2, v5
	s_and_b32 s1, vcc_lo, s0
	s_delay_alu instid0(SALU_CYCLE_1)
	s_and_saveexec_b32 s0, s1
	s_cbranch_execz .LBB777_9
; %bb.7:
	v_ashrrev_i32_e32 v3, 31, v2
	s_delay_alu instid0(VALU_DEP_1) | instskip(NEXT) | instid1(VALU_DEP_1)
	v_lshlrev_b64 v[13:14], 3, v[2:3]
	v_add_co_u32 v3, vcc_lo, v4, v13
	s_delay_alu instid0(VALU_DEP_2)
	v_add_co_ci_u32_e32 v4, vcc_lo, v10, v14, vcc_lo
	v_cmp_eq_u32_e32 vcc_lo, v5, v2
	global_load_b64 v[13:14], v[3:4], off
	s_waitcnt vmcnt(0)
	v_dual_add_f32 v10, v12, v13 :: v_dual_add_f32 v11, v11, v14
	global_store_b64 v[3:4], v[10:11], off
	s_and_b32 exec_lo, exec_lo, vcc_lo
	s_cbranch_execz .LBB777_9
; %bb.8:
	v_mov_b32_e32 v1, 0
	global_store_b32 v[3:4], v1, off offset:4
.LBB777_9:
	s_or_b32 exec_lo, exec_lo, s0
	v_add_nc_u32_e32 v12, 16, v5
	s_delay_alu instid0(VALU_DEP_1) | instskip(SKIP_2) | instid1(VALU_DEP_1)
	v_mad_i64_i32 v[3:4], null, v12, s3, 0
	v_cmp_gt_i32_e32 vcc_lo, s2, v12
	v_cmp_le_i32_e64 s0, v0, v12
	s_and_b32 s0, vcc_lo, s0
	s_delay_alu instid0(VALU_DEP_3) | instskip(NEXT) | instid1(VALU_DEP_1)
	v_lshlrev_b64 v[3:4], 3, v[3:4]
	v_add_co_u32 v10, s1, s4, v3
	s_delay_alu instid0(VALU_DEP_1)
	v_add_co_ci_u32_e64 v11, s1, s5, v4, s1
	s_and_saveexec_b32 s1, s0
	s_cbranch_execz .LBB777_12
; %bb.10:
	v_ashrrev_i32_e32 v1, 31, v0
	s_delay_alu instid0(VALU_DEP_1) | instskip(NEXT) | instid1(VALU_DEP_1)
	v_lshlrev_b64 v[3:4], 3, v[0:1]
	v_add_co_u32 v3, s0, v10, v3
	s_delay_alu instid0(VALU_DEP_1)
	v_add_co_ci_u32_e64 v4, s0, v11, v4, s0
	v_cmp_eq_u32_e64 s0, v12, v0
	global_load_b64 v[13:14], v[3:4], off
	s_waitcnt vmcnt(0)
	v_dual_add_f32 v13, v9, v13 :: v_dual_add_f32 v14, v8, v14
	global_store_b64 v[3:4], v[13:14], off
	s_and_b32 exec_lo, exec_lo, s0
	s_cbranch_execz .LBB777_12
; %bb.11:
	v_mov_b32_e32 v1, 0
	global_store_b32 v[3:4], v1, off offset:4
.LBB777_12:
	s_or_b32 exec_lo, exec_lo, s1
	v_cmp_le_i32_e64 s0, v2, v12
	s_delay_alu instid0(VALU_DEP_1) | instskip(NEXT) | instid1(SALU_CYCLE_1)
	s_and_b32 s0, vcc_lo, s0
	s_and_saveexec_b32 s1, s0
	s_cbranch_execz .LBB777_15
; %bb.13:
	v_ashrrev_i32_e32 v3, 31, v2
	s_delay_alu instid0(VALU_DEP_1) | instskip(NEXT) | instid1(VALU_DEP_1)
	v_lshlrev_b64 v[1:2], 3, v[2:3]
	v_add_co_u32 v1, vcc_lo, v10, v1
	s_delay_alu instid0(VALU_DEP_2)
	v_add_co_ci_u32_e32 v2, vcc_lo, v11, v2, vcc_lo
	v_cmp_eq_u32_e32 vcc_lo, v5, v0
	global_load_b64 v[3:4], v[1:2], off
	s_waitcnt vmcnt(0)
	v_dual_add_f32 v3, v7, v3 :: v_dual_add_f32 v4, v6, v4
	global_store_b64 v[1:2], v[3:4], off
	s_and_b32 exec_lo, exec_lo, vcc_lo
	s_cbranch_execz .LBB777_15
; %bb.14:
	v_mov_b32_e32 v0, 0
	global_store_b32 v[1:2], v0, off offset:4
.LBB777_15:
	s_nop 0
	s_sendmsg sendmsg(MSG_DEALLOC_VGPRS)
	s_endpgm
	.section	.rodata,"a",@progbits
	.p2align	6, 0x0
	.amdhsa_kernel _ZL37rocblas_syrkx_herkx_restricted_kernelIi19rocblas_complex_numIfELi16ELi32ELi8ELi1ELi1ELb1ELc78ELc85EKPKS1_KPS1_EviT_PT9_S7_lS9_S7_lPT10_S7_li
		.amdhsa_group_segment_fixed_size 4096
		.amdhsa_private_segment_fixed_size 0
		.amdhsa_kernarg_size 84
		.amdhsa_user_sgpr_count 13
		.amdhsa_user_sgpr_dispatch_ptr 0
		.amdhsa_user_sgpr_queue_ptr 0
		.amdhsa_user_sgpr_kernarg_segment_ptr 1
		.amdhsa_user_sgpr_dispatch_id 0
		.amdhsa_user_sgpr_private_segment_size 0
		.amdhsa_wavefront_size32 1
		.amdhsa_uses_dynamic_stack 0
		.amdhsa_enable_private_segment 0
		.amdhsa_system_sgpr_workgroup_id_x 1
		.amdhsa_system_sgpr_workgroup_id_y 1
		.amdhsa_system_sgpr_workgroup_id_z 1
		.amdhsa_system_sgpr_workgroup_info 0
		.amdhsa_system_vgpr_workitem_id 1
		.amdhsa_next_free_vgpr 92
		.amdhsa_next_free_sgpr 20
		.amdhsa_reserve_vcc 1
		.amdhsa_float_round_mode_32 0
		.amdhsa_float_round_mode_16_64 0
		.amdhsa_float_denorm_mode_32 3
		.amdhsa_float_denorm_mode_16_64 3
		.amdhsa_dx10_clamp 1
		.amdhsa_ieee_mode 1
		.amdhsa_fp16_overflow 0
		.amdhsa_workgroup_processor_mode 1
		.amdhsa_memory_ordered 1
		.amdhsa_forward_progress 0
		.amdhsa_shared_vgpr_count 0
		.amdhsa_exception_fp_ieee_invalid_op 0
		.amdhsa_exception_fp_denorm_src 0
		.amdhsa_exception_fp_ieee_div_zero 0
		.amdhsa_exception_fp_ieee_overflow 0
		.amdhsa_exception_fp_ieee_underflow 0
		.amdhsa_exception_fp_ieee_inexact 0
		.amdhsa_exception_int_div_zero 0
	.end_amdhsa_kernel
	.section	.text._ZL37rocblas_syrkx_herkx_restricted_kernelIi19rocblas_complex_numIfELi16ELi32ELi8ELi1ELi1ELb1ELc78ELc85EKPKS1_KPS1_EviT_PT9_S7_lS9_S7_lPT10_S7_li,"axG",@progbits,_ZL37rocblas_syrkx_herkx_restricted_kernelIi19rocblas_complex_numIfELi16ELi32ELi8ELi1ELi1ELb1ELc78ELc85EKPKS1_KPS1_EviT_PT9_S7_lS9_S7_lPT10_S7_li,comdat
.Lfunc_end777:
	.size	_ZL37rocblas_syrkx_herkx_restricted_kernelIi19rocblas_complex_numIfELi16ELi32ELi8ELi1ELi1ELb1ELc78ELc85EKPKS1_KPS1_EviT_PT9_S7_lS9_S7_lPT10_S7_li, .Lfunc_end777-_ZL37rocblas_syrkx_herkx_restricted_kernelIi19rocblas_complex_numIfELi16ELi32ELi8ELi1ELi1ELb1ELc78ELc85EKPKS1_KPS1_EviT_PT9_S7_lS9_S7_lPT10_S7_li
                                        ; -- End function
	.section	.AMDGPU.csdata,"",@progbits
; Kernel info:
; codeLenInByte = 2224
; NumSgprs: 22
; NumVgprs: 92
; ScratchSize: 0
; MemoryBound: 0
; FloatMode: 240
; IeeeMode: 1
; LDSByteSize: 4096 bytes/workgroup (compile time only)
; SGPRBlocks: 2
; VGPRBlocks: 11
; NumSGPRsForWavesPerEU: 22
; NumVGPRsForWavesPerEU: 92
; Occupancy: 16
; WaveLimiterHint : 1
; COMPUTE_PGM_RSRC2:SCRATCH_EN: 0
; COMPUTE_PGM_RSRC2:USER_SGPR: 13
; COMPUTE_PGM_RSRC2:TRAP_HANDLER: 0
; COMPUTE_PGM_RSRC2:TGID_X_EN: 1
; COMPUTE_PGM_RSRC2:TGID_Y_EN: 1
; COMPUTE_PGM_RSRC2:TGID_Z_EN: 1
; COMPUTE_PGM_RSRC2:TIDIG_COMP_CNT: 1
	.section	.text._ZL37rocblas_syrkx_herkx_restricted_kernelIi19rocblas_complex_numIfELi16ELi32ELi8ELi1ELin1ELb1ELc84ELc76EKPKS1_KPS1_EviT_PT9_S7_lS9_S7_lPT10_S7_li,"axG",@progbits,_ZL37rocblas_syrkx_herkx_restricted_kernelIi19rocblas_complex_numIfELi16ELi32ELi8ELi1ELin1ELb1ELc84ELc76EKPKS1_KPS1_EviT_PT9_S7_lS9_S7_lPT10_S7_li,comdat
	.globl	_ZL37rocblas_syrkx_herkx_restricted_kernelIi19rocblas_complex_numIfELi16ELi32ELi8ELi1ELin1ELb1ELc84ELc76EKPKS1_KPS1_EviT_PT9_S7_lS9_S7_lPT10_S7_li ; -- Begin function _ZL37rocblas_syrkx_herkx_restricted_kernelIi19rocblas_complex_numIfELi16ELi32ELi8ELi1ELin1ELb1ELc84ELc76EKPKS1_KPS1_EviT_PT9_S7_lS9_S7_lPT10_S7_li
	.p2align	8
	.type	_ZL37rocblas_syrkx_herkx_restricted_kernelIi19rocblas_complex_numIfELi16ELi32ELi8ELi1ELin1ELb1ELc84ELc76EKPKS1_KPS1_EviT_PT9_S7_lS9_S7_lPT10_S7_li,@function
_ZL37rocblas_syrkx_herkx_restricted_kernelIi19rocblas_complex_numIfELi16ELi32ELi8ELi1ELin1ELb1ELc84ELc76EKPKS1_KPS1_EviT_PT9_S7_lS9_S7_lPT10_S7_li: ; @_ZL37rocblas_syrkx_herkx_restricted_kernelIi19rocblas_complex_numIfELi16ELi32ELi8ELi1ELin1ELb1ELc84ELc76EKPKS1_KPS1_EviT_PT9_S7_lS9_S7_lPT10_S7_li
; %bb.0:
	s_clause 0x1
	s_load_b64 s[2:3], s[0:1], 0x38
	s_load_b64 s[4:5], s[0:1], 0x0
	s_mov_b32 s6, s15
	s_mov_b32 s7, 0
	v_dual_mov_b32 v17, 0 :: v_dual_and_b32 v6, 0x3ff, v0
	s_lshl_b64 s[8:9], s[6:7], 3
	v_bfe_u32 v8, v0, 10, 10
	v_dual_mov_b32 v16, 0 :: v_dual_mov_b32 v13, 0
	v_dual_mov_b32 v12, 0 :: v_dual_mov_b32 v9, 0
	;; [unrolled: 1-line block ×3, first 2 shown]
	v_mov_b32_e32 v1, 0
	s_waitcnt lgkmcnt(0)
	s_add_u32 s2, s2, s8
	s_addc_u32 s3, s3, s9
	s_lshl_b32 s6, s13, 5
	s_load_b64 s[2:3], s[2:3], 0x0
	s_lshl_b32 s10, s14, 5
	s_cmp_lt_i32 s5, 1
	s_cbranch_scc1 .LBB778_3
; %bb.1:
	s_clause 0x3
	s_load_b64 s[12:13], s[0:1], 0x8
	s_load_b64 s[14:15], s[0:1], 0x20
	s_load_b32 s11, s[0:1], 0x10
	s_load_b32 s16, s[0:1], 0x28
	v_lshl_add_u32 v2, v8, 4, v6
	v_dual_mov_b32 v1, 0 :: v_dual_and_b32 v0, 7, v6
	v_lshlrev_b32_e32 v10, 3, v6
	v_lshl_add_u32 v11, v8, 6, 0x800
	s_delay_alu instid0(VALU_DEP_4)
	v_and_b32_e32 v14, 31, v2
	v_lshrrev_b32_e32 v9, 3, v2
	v_lshrrev_b32_e32 v2, 5, v2
	v_mov_b32_e32 v3, v1
	v_mov_b32_e32 v17, v1
	v_add_nc_u32_e32 v7, s6, v14
	v_dual_mov_b32 v16, v1 :: v_dual_add_nc_u32 v15, s10, v9
	s_waitcnt lgkmcnt(0)
	s_add_u32 s12, s12, s8
	s_addc_u32 s13, s13, s9
	s_add_u32 s8, s14, s8
	s_load_b64 s[12:13], s[12:13], 0x0
	s_addc_u32 s9, s15, s9
	v_mad_i64_i32 v[4:5], null, s11, v7, v[2:3]
	s_load_b64 s[8:9], s[8:9], 0x0
	v_lshlrev_b32_e32 v3, 3, v0
	v_mad_i64_i32 v[12:13], null, s16, v15, v[0:1]
	v_dual_mov_b32 v7, v1 :: v_dual_lshlrev_b32 v14, 3, v14
	s_delay_alu instid0(VALU_DEP_3)
	v_lshl_or_b32 v15, v9, 6, v3
	v_mov_b32_e32 v9, v1
	v_lshlrev_b64 v[3:4], 3, v[4:5]
	v_mov_b32_e32 v0, v1
	v_lshlrev_b64 v[12:13], 3, v[12:13]
	v_lshl_or_b32 v14, v2, 8, v14
	v_add_nc_u32_e32 v15, 0x800, v15
	s_waitcnt lgkmcnt(0)
	v_add_co_u32 v2, vcc_lo, v3, s12
	v_add_co_ci_u32_e32 v3, vcc_lo, s13, v4, vcc_lo
	v_add_co_u32 v4, vcc_lo, v12, s8
	v_add_co_ci_u32_e32 v5, vcc_lo, s9, v13, vcc_lo
	s_delay_alu instid0(VALU_DEP_4) | instskip(NEXT) | instid1(VALU_DEP_4)
	v_add_co_u32 v2, vcc_lo, v2, 4
	v_add_co_ci_u32_e32 v3, vcc_lo, 0, v3, vcc_lo
	s_delay_alu instid0(VALU_DEP_4) | instskip(NEXT) | instid1(VALU_DEP_4)
	v_add_co_u32 v4, vcc_lo, v4, 4
	v_add_co_ci_u32_e32 v5, vcc_lo, 0, v5, vcc_lo
	v_mov_b32_e32 v12, v1
	v_mov_b32_e32 v13, v1
.LBB778_2:                              ; =>This Inner Loop Header: Depth=1
	global_load_b64 v[18:19], v[2:3], off offset:-4
	global_load_b64 v[20:21], v[4:5], off offset:-4
	v_add_co_u32 v2, vcc_lo, v2, 64
	v_add_co_ci_u32_e32 v3, vcc_lo, 0, v3, vcc_lo
	v_add_co_u32 v4, vcc_lo, v4, 64
	v_add_co_ci_u32_e32 v5, vcc_lo, 0, v5, vcc_lo
	s_add_i32 s7, s7, 8
	s_waitcnt vmcnt(1)
	ds_store_b64 v14, v[18:19]
	s_waitcnt vmcnt(0)
	ds_store_b64 v15, v[20:21]
	s_waitcnt lgkmcnt(0)
	s_barrier
	buffer_gl0_inv
	ds_load_2addr_b64 v[18:21], v10 offset1:16
	ds_load_b128 v[22:25], v11
	ds_load_b128 v[26:29], v11 offset:1024
	ds_load_b128 v[30:33], v11 offset:16
	ds_load_2addr_b64 v[34:37], v10 offset0:32 offset1:48
	ds_load_b128 v[38:41], v11 offset:32
	ds_load_b128 v[42:45], v11 offset:48
	ds_load_2addr_b64 v[46:49], v10 offset0:64 offset1:80
	ds_load_b128 v[50:53], v11 offset:1040
	ds_load_2addr_b64 v[54:57], v10 offset0:96 offset1:112
	ds_load_2addr_b64 v[58:61], v10 offset0:128 offset1:144
	ds_load_2addr_b64 v[62:65], v10 offset0:160 offset1:176
	ds_load_2addr_b64 v[66:69], v10 offset0:192 offset1:208
	ds_load_b128 v[70:73], v11 offset:1056
	ds_load_b128 v[74:77], v11 offset:1072
	ds_load_2addr_b64 v[78:81], v10 offset0:224 offset1:240
	s_cmp_ge_i32 s7, s5
	s_waitcnt lgkmcnt(0)
	s_barrier
	buffer_gl0_inv
	v_dual_mul_f32 v82, v23, v19 :: v_dual_mul_f32 v85, v22, v21
	v_dual_mul_f32 v83, v22, v19 :: v_dual_mul_f32 v84, v23, v21
	v_mul_f32_e32 v86, v27, v19
	v_dual_mul_f32 v19, v26, v19 :: v_dual_mul_f32 v90, v25, v37
	v_dual_mul_f32 v87, v27, v21 :: v_dual_mul_f32 v88, v25, v35
	v_mul_f32_e32 v21, v26, v21
	v_fma_f32 v82, v22, v18, -v82
	v_fmac_f32_e32 v83, v23, v18
	v_fma_f32 v22, v22, v20, -v84
	v_fmac_f32_e32 v85, v23, v20
	v_fma_f32 v23, v26, v18, -v86
	v_dual_fmac_f32 v19, v27, v18 :: v_dual_mul_f32 v86, v30, v47
	v_fma_f32 v18, v26, v20, -v87
	v_dual_fmac_f32 v21, v27, v20 :: v_dual_mul_f32 v20, v24, v37
	v_mul_f32_e32 v89, v24, v35
	v_mul_f32_e32 v26, v29, v35
	v_mul_f32_e32 v27, v28, v35
	v_mul_f32_e32 v35, v29, v37
	v_fmac_f32_e32 v20, v25, v36
	v_fmac_f32_e32 v89, v25, v34
	v_dual_mul_f32 v25, v28, v37 :: v_dual_fmac_f32 v86, v31, v46
	v_fma_f32 v84, v24, v34, -v88
	v_fma_f32 v24, v24, v36, -v90
	v_dual_mul_f32 v37, v31, v47 :: v_dual_mul_f32 v90, v33, v57
	v_fma_f32 v26, v28, v34, -v26
	v_fma_f32 v28, v28, v36, -v35
	v_fmac_f32_e32 v25, v29, v36
	v_dual_mul_f32 v35, v50, v47 :: v_dual_mul_f32 v36, v51, v49
	v_dual_fmac_f32 v27, v29, v34 :: v_dual_mul_f32 v34, v51, v47
	v_dual_mul_f32 v88, v32, v55 :: v_dual_mul_f32 v29, v30, v49
	v_mul_f32_e32 v87, v31, v49
	v_fma_f32 v37, v30, v46, -v37
	v_add_f32_e32 v16, v16, v82
	s_delay_alu instid0(VALU_DEP_4)
	v_dual_fmac_f32 v88, v33, v54 :: v_dual_fmac_f32 v29, v31, v48
	v_fma_f32 v31, v50, v46, -v34
	v_fma_f32 v34, v50, v48, -v36
	v_mul_f32_e32 v36, v32, v57
	v_mul_f32_e32 v47, v50, v49
	v_dual_mul_f32 v50, v53, v57 :: v_dual_fmac_f32 v35, v51, v46
	v_mul_f32_e32 v46, v53, v55
	v_mul_f32_e32 v49, v33, v55
	v_fma_f32 v30, v30, v48, -v87
	v_fmac_f32_e32 v36, v33, v56
	v_dual_fmac_f32 v47, v51, v48 :: v_dual_mul_f32 v48, v52, v55
	v_mul_f32_e32 v33, v52, v57
	v_fma_f32 v46, v52, v54, -v46
	v_fma_f32 v50, v52, v56, -v50
	v_mul_f32_e32 v52, v38, v61
	v_fma_f32 v49, v32, v54, -v49
	v_fma_f32 v32, v32, v56, -v90
	v_dual_mul_f32 v51, v39, v59 :: v_dual_fmac_f32 v48, v53, v54
	v_mul_f32_e32 v54, v70, v59
	v_dual_mul_f32 v55, v38, v59 :: v_dual_fmac_f32 v52, v39, v60
	v_fmac_f32_e32 v33, v53, v56
	v_mul_f32_e32 v53, v71, v59
	v_mul_f32_e32 v56, v71, v61
	;; [unrolled: 1-line block ×3, first 2 shown]
	v_fmac_f32_e32 v54, v71, v58
	v_fmac_f32_e32 v55, v39, v58
	v_fma_f32 v39, v70, v58, -v53
	v_fma_f32 v53, v70, v60, -v56
	v_mul_f32_e32 v56, v40, v65
	v_mul_f32_e32 v59, v70, v61
	v_fma_f32 v51, v38, v58, -v51
	v_mul_f32_e32 v58, v72, v63
	v_mul_f32_e32 v87, v40, v63
	;; [unrolled: 1-line block ×4, first 2 shown]
	v_fma_f32 v38, v38, v60, -v57
	v_mul_f32_e32 v57, v73, v63
	v_fmac_f32_e32 v56, v41, v64
	v_dual_fmac_f32 v59, v71, v60 :: v_dual_mul_f32 v60, v73, v65
	v_mul_f32_e32 v63, v43, v67
	v_mul_f32_e32 v70, v43, v69
	v_fmac_f32_e32 v58, v73, v62
	v_fmac_f32_e32 v87, v41, v62
	v_mul_f32_e32 v41, v72, v65
	v_fma_f32 v61, v40, v62, -v61
	v_fma_f32 v40, v40, v64, -v90
	v_mul_f32_e32 v65, v42, v67
	v_fma_f32 v57, v72, v62, -v57
	v_fma_f32 v60, v72, v64, -v60
	v_dual_fmac_f32 v41, v73, v64 :: v_dual_mul_f32 v62, v42, v69
	v_mul_f32_e32 v64, v75, v67
	v_fma_f32 v63, v42, v66, -v63
	v_fma_f32 v42, v42, v68, -v70
	v_mul_f32_e32 v70, v76, v79
	v_mul_f32_e32 v67, v74, v67
	;; [unrolled: 1-line block ×4, first 2 shown]
	v_dual_fmac_f32 v65, v43, v66 :: v_dual_add_f32 v12, v12, v85
	v_fmac_f32_e32 v62, v43, v68
	v_fma_f32 v43, v74, v66, -v64
	v_fmac_f32_e32 v70, v77, v78
	v_dual_fmac_f32 v67, v75, v66 :: v_dual_add_f32 v16, v16, v84
	v_mul_f32_e32 v66, v44, v81
	v_dual_mul_f32 v69, v74, v69 :: v_dual_add_f32 v0, v0, v19
	v_mul_f32_e32 v72, v45, v79
	v_mul_f32_e32 v90, v45, v81
	v_fma_f32 v64, v74, v68, -v71
	v_dual_mul_f32 v71, v77, v81 :: v_dual_add_f32 v12, v12, v20
	v_dual_fmac_f32 v73, v45, v78 :: v_dual_add_f32 v16, v16, v37
	v_dual_fmac_f32 v66, v45, v80 :: v_dual_mul_f32 v45, v76, v81
	v_dual_fmac_f32 v69, v75, v68 :: v_dual_add_f32 v0, v0, v27
	s_delay_alu instid0(VALU_DEP_4) | instskip(NEXT) | instid1(VALU_DEP_3)
	v_dual_add_f32 v12, v12, v29 :: v_dual_add_f32 v17, v17, v83
	v_dual_add_f32 v16, v16, v49 :: v_dual_fmac_f32 v45, v77, v80
	s_delay_alu instid0(VALU_DEP_3) | instskip(NEXT) | instid1(VALU_DEP_3)
	v_dual_add_f32 v13, v13, v22 :: v_dual_add_f32 v0, v0, v35
	v_dual_add_f32 v9, v9, v23 :: v_dual_add_f32 v12, v12, v36
	v_add_f32_e32 v7, v7, v18
	s_delay_alu instid0(VALU_DEP_4) | instskip(NEXT) | instid1(VALU_DEP_3)
	v_dual_add_f32 v1, v1, v21 :: v_dual_add_f32 v16, v16, v51
	v_dual_add_f32 v17, v17, v89 :: v_dual_add_f32 v12, v12, v52
	v_add_f32_e32 v0, v0, v48
	v_add_f32_e32 v13, v13, v24
	s_delay_alu instid0(VALU_DEP_4) | instskip(NEXT) | instid1(VALU_DEP_4)
	v_dual_add_f32 v9, v9, v26 :: v_dual_add_f32 v16, v16, v61
	v_dual_add_f32 v1, v1, v25 :: v_dual_add_f32 v12, v12, v56
	s_delay_alu instid0(VALU_DEP_4) | instskip(SKIP_1) | instid1(VALU_DEP_4)
	v_dual_add_f32 v0, v0, v54 :: v_dual_add_f32 v7, v7, v28
	v_fma_f32 v72, v44, v78, -v72
	v_dual_add_f32 v17, v17, v86 :: v_dual_add_f32 v16, v16, v63
	s_delay_alu instid0(VALU_DEP_4) | instskip(NEXT) | instid1(VALU_DEP_4)
	v_dual_add_f32 v9, v9, v31 :: v_dual_add_f32 v12, v12, v62
	v_dual_add_f32 v1, v1, v47 :: v_dual_add_f32 v0, v0, v58
	v_add_f32_e32 v13, v13, v30
	s_delay_alu instid0(VALU_DEP_4) | instskip(NEXT) | instid1(VALU_DEP_3)
	v_dual_add_f32 v7, v7, v34 :: v_dual_add_f32 v16, v16, v72
	v_dual_add_f32 v9, v9, v46 :: v_dual_add_f32 v0, v0, v67
	v_add_f32_e32 v17, v17, v88
	s_delay_alu instid0(VALU_DEP_4) | instskip(NEXT) | instid1(VALU_DEP_4)
	v_add_f32_e32 v13, v13, v32
	v_add_f32_e32 v7, v7, v50
	;; [unrolled: 1-line block ×3, first 2 shown]
	v_dual_add_f32 v0, v0, v70 :: v_dual_add_f32 v1, v1, v33
	v_add_f32_e32 v17, v17, v55
	v_add_f32_e32 v13, v13, v38
	;; [unrolled: 1-line block ×5, first 2 shown]
	v_mul_f32_e32 v68, v77, v79
	v_add_f32_e32 v17, v17, v87
	v_add_f32_e32 v13, v13, v40
	;; [unrolled: 1-line block ×5, first 2 shown]
	v_fma_f32 v44, v44, v80, -v90
	v_fma_f32 v68, v76, v78, -v68
	;; [unrolled: 1-line block ×3, first 2 shown]
	v_add_f32_e32 v17, v17, v65
	v_add_f32_e32 v13, v13, v42
	v_add_f32_e32 v9, v9, v43
	v_add_f32_e32 v7, v7, v64
	v_add_f32_e32 v1, v1, v69
	v_add_f32_e32 v17, v17, v73
	v_add_f32_e32 v13, v13, v44
	v_add_f32_e32 v9, v9, v68
	v_add_f32_e32 v7, v7, v71
	v_add_f32_e32 v1, v1, v45
	s_cbranch_scc0 .LBB778_2
.LBB778_3:
	s_load_b32 s5, s[0:1], 0x40
	v_add_nc_u32_e32 v8, s10, v8
	v_add_nc_u32_e32 v2, s6, v6
	s_delay_alu instid0(VALU_DEP_1) | instskip(SKIP_1) | instid1(VALU_DEP_2)
	v_cmp_le_i32_e64 s0, v8, v2
	v_cmp_gt_i32_e32 vcc_lo, s4, v2
	s_and_b32 s0, s0, vcc_lo
	s_waitcnt lgkmcnt(0)
	v_mad_i64_i32 v[3:4], null, v8, s5, 0
	s_delay_alu instid0(VALU_DEP_1) | instskip(NEXT) | instid1(VALU_DEP_1)
	v_lshlrev_b64 v[3:4], 3, v[3:4]
	v_add_co_u32 v6, s1, s2, v3
	s_delay_alu instid0(VALU_DEP_1)
	v_add_co_ci_u32_e64 v10, s1, s3, v4, s1
	s_and_saveexec_b32 s1, s0
	s_cbranch_execz .LBB778_6
; %bb.4:
	v_ashrrev_i32_e32 v3, 31, v2
	s_delay_alu instid0(VALU_DEP_1) | instskip(NEXT) | instid1(VALU_DEP_1)
	v_lshlrev_b64 v[3:4], 3, v[2:3]
	v_add_co_u32 v3, s0, v6, v3
	s_delay_alu instid0(VALU_DEP_1)
	v_add_co_ci_u32_e64 v4, s0, v10, v4, s0
	v_cmp_eq_u32_e64 s0, v8, v2
	global_load_b64 v[14:15], v[3:4], off
	s_waitcnt vmcnt(0)
	v_dual_sub_f32 v14, v16, v14 :: v_dual_sub_f32 v15, v17, v15
	global_store_b64 v[3:4], v[14:15], off
	s_and_b32 exec_lo, exec_lo, s0
	s_cbranch_execz .LBB778_6
; %bb.5:
	v_mov_b32_e32 v5, 0
	global_store_b32 v[3:4], v5, off offset:4
.LBB778_6:
	s_or_b32 exec_lo, exec_lo, s1
	v_add_nc_u32_e32 v4, 16, v2
	s_delay_alu instid0(VALU_DEP_1) | instskip(SKIP_1) | instid1(VALU_DEP_1)
	v_cmp_le_i32_e64 s1, v8, v4
	v_cmp_gt_i32_e64 s0, s4, v4
	s_and_b32 s1, s1, s0
	s_delay_alu instid0(SALU_CYCLE_1)
	s_and_saveexec_b32 s4, s1
	s_cbranch_execz .LBB778_9
; %bb.7:
	v_ashrrev_i32_e32 v5, 31, v4
	s_delay_alu instid0(VALU_DEP_1) | instskip(NEXT) | instid1(VALU_DEP_1)
	v_lshlrev_b64 v[14:15], 3, v[4:5]
	v_add_co_u32 v5, s1, v6, v14
	s_delay_alu instid0(VALU_DEP_1)
	v_add_co_ci_u32_e64 v6, s1, v10, v15, s1
	v_cmp_eq_u32_e64 s1, v8, v4
	global_load_b64 v[10:11], v[5:6], off
	s_waitcnt vmcnt(0)
	v_dual_sub_f32 v10, v13, v10 :: v_dual_sub_f32 v11, v12, v11
	global_store_b64 v[5:6], v[10:11], off
	s_and_b32 exec_lo, exec_lo, s1
	s_cbranch_execz .LBB778_9
; %bb.8:
	v_mov_b32_e32 v3, 0
	global_store_b32 v[5:6], v3, off offset:4
.LBB778_9:
	s_or_b32 exec_lo, exec_lo, s4
	v_add_nc_u32_e32 v12, 16, v8
	s_delay_alu instid0(VALU_DEP_1) | instskip(SKIP_1) | instid1(VALU_DEP_2)
	v_mad_i64_i32 v[5:6], null, v12, s5, 0
	v_cmp_le_i32_e64 s1, v12, v2
	v_lshlrev_b64 v[5:6], 3, v[5:6]
	s_delay_alu instid0(VALU_DEP_1) | instskip(NEXT) | instid1(VALU_DEP_1)
	v_add_co_u32 v10, s2, s2, v5
	v_add_co_ci_u32_e64 v11, s2, s3, v6, s2
	s_delay_alu instid0(VALU_DEP_4) | instskip(NEXT) | instid1(SALU_CYCLE_1)
	s_and_b32 s2, s1, vcc_lo
	s_and_saveexec_b32 s1, s2
	s_cbranch_execz .LBB778_12
; %bb.10:
	v_ashrrev_i32_e32 v3, 31, v2
	s_delay_alu instid0(VALU_DEP_1) | instskip(NEXT) | instid1(VALU_DEP_1)
	v_lshlrev_b64 v[5:6], 3, v[2:3]
	v_add_co_u32 v5, vcc_lo, v10, v5
	s_delay_alu instid0(VALU_DEP_2)
	v_add_co_ci_u32_e32 v6, vcc_lo, v11, v6, vcc_lo
	v_cmp_eq_u32_e32 vcc_lo, v12, v2
	global_load_b64 v[13:14], v[5:6], off
	s_waitcnt vmcnt(0)
	v_dual_sub_f32 v13, v9, v13 :: v_dual_sub_f32 v14, v0, v14
	global_store_b64 v[5:6], v[13:14], off
	s_and_b32 exec_lo, exec_lo, vcc_lo
	s_cbranch_execz .LBB778_12
; %bb.11:
	v_mov_b32_e32 v0, 0
	global_store_b32 v[5:6], v0, off offset:4
.LBB778_12:
	s_or_b32 exec_lo, exec_lo, s1
	v_cmp_le_i32_e32 vcc_lo, v12, v4
	s_and_b32 s0, vcc_lo, s0
	s_delay_alu instid0(SALU_CYCLE_1)
	s_and_saveexec_b32 s1, s0
	s_cbranch_execz .LBB778_15
; %bb.13:
	v_ashrrev_i32_e32 v5, 31, v4
	s_delay_alu instid0(VALU_DEP_1) | instskip(NEXT) | instid1(VALU_DEP_1)
	v_lshlrev_b64 v[3:4], 3, v[4:5]
	v_add_co_u32 v3, vcc_lo, v10, v3
	s_delay_alu instid0(VALU_DEP_2)
	v_add_co_ci_u32_e32 v4, vcc_lo, v11, v4, vcc_lo
	v_cmp_eq_u32_e32 vcc_lo, v8, v2
	global_load_b64 v[5:6], v[3:4], off
	s_waitcnt vmcnt(0)
	v_dual_sub_f32 v0, v7, v5 :: v_dual_sub_f32 v1, v1, v6
	global_store_b64 v[3:4], v[0:1], off
	s_and_b32 exec_lo, exec_lo, vcc_lo
	s_cbranch_execz .LBB778_15
; %bb.14:
	v_mov_b32_e32 v0, 0
	global_store_b32 v[3:4], v0, off offset:4
.LBB778_15:
	s_nop 0
	s_sendmsg sendmsg(MSG_DEALLOC_VGPRS)
	s_endpgm
	.section	.rodata,"a",@progbits
	.p2align	6, 0x0
	.amdhsa_kernel _ZL37rocblas_syrkx_herkx_restricted_kernelIi19rocblas_complex_numIfELi16ELi32ELi8ELi1ELin1ELb1ELc84ELc76EKPKS1_KPS1_EviT_PT9_S7_lS9_S7_lPT10_S7_li
		.amdhsa_group_segment_fixed_size 4096
		.amdhsa_private_segment_fixed_size 0
		.amdhsa_kernarg_size 84
		.amdhsa_user_sgpr_count 13
		.amdhsa_user_sgpr_dispatch_ptr 0
		.amdhsa_user_sgpr_queue_ptr 0
		.amdhsa_user_sgpr_kernarg_segment_ptr 1
		.amdhsa_user_sgpr_dispatch_id 0
		.amdhsa_user_sgpr_private_segment_size 0
		.amdhsa_wavefront_size32 1
		.amdhsa_uses_dynamic_stack 0
		.amdhsa_enable_private_segment 0
		.amdhsa_system_sgpr_workgroup_id_x 1
		.amdhsa_system_sgpr_workgroup_id_y 1
		.amdhsa_system_sgpr_workgroup_id_z 1
		.amdhsa_system_sgpr_workgroup_info 0
		.amdhsa_system_vgpr_workitem_id 1
		.amdhsa_next_free_vgpr 91
		.amdhsa_next_free_sgpr 17
		.amdhsa_reserve_vcc 1
		.amdhsa_float_round_mode_32 0
		.amdhsa_float_round_mode_16_64 0
		.amdhsa_float_denorm_mode_32 3
		.amdhsa_float_denorm_mode_16_64 3
		.amdhsa_dx10_clamp 1
		.amdhsa_ieee_mode 1
		.amdhsa_fp16_overflow 0
		.amdhsa_workgroup_processor_mode 1
		.amdhsa_memory_ordered 1
		.amdhsa_forward_progress 0
		.amdhsa_shared_vgpr_count 0
		.amdhsa_exception_fp_ieee_invalid_op 0
		.amdhsa_exception_fp_denorm_src 0
		.amdhsa_exception_fp_ieee_div_zero 0
		.amdhsa_exception_fp_ieee_overflow 0
		.amdhsa_exception_fp_ieee_underflow 0
		.amdhsa_exception_fp_ieee_inexact 0
		.amdhsa_exception_int_div_zero 0
	.end_amdhsa_kernel
	.section	.text._ZL37rocblas_syrkx_herkx_restricted_kernelIi19rocblas_complex_numIfELi16ELi32ELi8ELi1ELin1ELb1ELc84ELc76EKPKS1_KPS1_EviT_PT9_S7_lS9_S7_lPT10_S7_li,"axG",@progbits,_ZL37rocblas_syrkx_herkx_restricted_kernelIi19rocblas_complex_numIfELi16ELi32ELi8ELi1ELin1ELb1ELc84ELc76EKPKS1_KPS1_EviT_PT9_S7_lS9_S7_lPT10_S7_li,comdat
.Lfunc_end778:
	.size	_ZL37rocblas_syrkx_herkx_restricted_kernelIi19rocblas_complex_numIfELi16ELi32ELi8ELi1ELin1ELb1ELc84ELc76EKPKS1_KPS1_EviT_PT9_S7_lS9_S7_lPT10_S7_li, .Lfunc_end778-_ZL37rocblas_syrkx_herkx_restricted_kernelIi19rocblas_complex_numIfELi16ELi32ELi8ELi1ELin1ELb1ELc84ELc76EKPKS1_KPS1_EviT_PT9_S7_lS9_S7_lPT10_S7_li
                                        ; -- End function
	.section	.AMDGPU.csdata,"",@progbits
; Kernel info:
; codeLenInByte = 2164
; NumSgprs: 19
; NumVgprs: 91
; ScratchSize: 0
; MemoryBound: 0
; FloatMode: 240
; IeeeMode: 1
; LDSByteSize: 4096 bytes/workgroup (compile time only)
; SGPRBlocks: 2
; VGPRBlocks: 11
; NumSGPRsForWavesPerEU: 19
; NumVGPRsForWavesPerEU: 91
; Occupancy: 16
; WaveLimiterHint : 1
; COMPUTE_PGM_RSRC2:SCRATCH_EN: 0
; COMPUTE_PGM_RSRC2:USER_SGPR: 13
; COMPUTE_PGM_RSRC2:TRAP_HANDLER: 0
; COMPUTE_PGM_RSRC2:TGID_X_EN: 1
; COMPUTE_PGM_RSRC2:TGID_Y_EN: 1
; COMPUTE_PGM_RSRC2:TGID_Z_EN: 1
; COMPUTE_PGM_RSRC2:TIDIG_COMP_CNT: 1
	.section	.text._ZL37rocblas_syrkx_herkx_restricted_kernelIi19rocblas_complex_numIfELi16ELi32ELi8ELi1ELin1ELb1ELc67ELc76EKPKS1_KPS1_EviT_PT9_S7_lS9_S7_lPT10_S7_li,"axG",@progbits,_ZL37rocblas_syrkx_herkx_restricted_kernelIi19rocblas_complex_numIfELi16ELi32ELi8ELi1ELin1ELb1ELc67ELc76EKPKS1_KPS1_EviT_PT9_S7_lS9_S7_lPT10_S7_li,comdat
	.globl	_ZL37rocblas_syrkx_herkx_restricted_kernelIi19rocblas_complex_numIfELi16ELi32ELi8ELi1ELin1ELb1ELc67ELc76EKPKS1_KPS1_EviT_PT9_S7_lS9_S7_lPT10_S7_li ; -- Begin function _ZL37rocblas_syrkx_herkx_restricted_kernelIi19rocblas_complex_numIfELi16ELi32ELi8ELi1ELin1ELb1ELc67ELc76EKPKS1_KPS1_EviT_PT9_S7_lS9_S7_lPT10_S7_li
	.p2align	8
	.type	_ZL37rocblas_syrkx_herkx_restricted_kernelIi19rocblas_complex_numIfELi16ELi32ELi8ELi1ELin1ELb1ELc67ELc76EKPKS1_KPS1_EviT_PT9_S7_lS9_S7_lPT10_S7_li,@function
_ZL37rocblas_syrkx_herkx_restricted_kernelIi19rocblas_complex_numIfELi16ELi32ELi8ELi1ELin1ELb1ELc67ELc76EKPKS1_KPS1_EviT_PT9_S7_lS9_S7_lPT10_S7_li: ; @_ZL37rocblas_syrkx_herkx_restricted_kernelIi19rocblas_complex_numIfELi16ELi32ELi8ELi1ELin1ELb1ELc67ELc76EKPKS1_KPS1_EviT_PT9_S7_lS9_S7_lPT10_S7_li
; %bb.0:
	s_clause 0x1
	s_load_b64 s[2:3], s[0:1], 0x38
	s_load_b64 s[4:5], s[0:1], 0x0
	s_mov_b32 s6, s15
	s_mov_b32 s7, 0
	v_dual_mov_b32 v17, 0 :: v_dual_and_b32 v6, 0x3ff, v0
	s_lshl_b64 s[8:9], s[6:7], 3
	v_bfe_u32 v8, v0, 10, 10
	v_dual_mov_b32 v16, 0 :: v_dual_mov_b32 v13, 0
	v_dual_mov_b32 v12, 0 :: v_dual_mov_b32 v9, 0
	v_dual_mov_b32 v0, 0 :: v_dual_mov_b32 v7, 0
	v_mov_b32_e32 v1, 0
	s_waitcnt lgkmcnt(0)
	s_add_u32 s2, s2, s8
	s_addc_u32 s3, s3, s9
	s_lshl_b32 s6, s13, 5
	s_load_b64 s[2:3], s[2:3], 0x0
	s_lshl_b32 s10, s14, 5
	s_cmp_lt_i32 s5, 1
	s_cbranch_scc1 .LBB779_3
; %bb.1:
	s_clause 0x3
	s_load_b64 s[12:13], s[0:1], 0x8
	s_load_b64 s[14:15], s[0:1], 0x20
	s_load_b32 s11, s[0:1], 0x10
	s_load_b32 s16, s[0:1], 0x28
	v_lshl_add_u32 v2, v8, 4, v6
	v_dual_mov_b32 v1, 0 :: v_dual_and_b32 v0, 7, v6
	v_lshlrev_b32_e32 v10, 3, v6
	v_lshl_add_u32 v11, v8, 6, 0x800
	s_delay_alu instid0(VALU_DEP_4)
	v_and_b32_e32 v14, 31, v2
	v_lshrrev_b32_e32 v9, 3, v2
	v_lshrrev_b32_e32 v2, 5, v2
	v_mov_b32_e32 v3, v1
	v_mov_b32_e32 v17, v1
	v_add_nc_u32_e32 v7, s6, v14
	v_dual_mov_b32 v16, v1 :: v_dual_add_nc_u32 v15, s10, v9
	s_waitcnt lgkmcnt(0)
	s_add_u32 s12, s12, s8
	s_addc_u32 s13, s13, s9
	s_add_u32 s8, s14, s8
	s_load_b64 s[12:13], s[12:13], 0x0
	s_addc_u32 s9, s15, s9
	v_mad_i64_i32 v[4:5], null, s11, v7, v[2:3]
	s_load_b64 s[8:9], s[8:9], 0x0
	v_lshlrev_b32_e32 v3, 3, v0
	v_mad_i64_i32 v[12:13], null, s16, v15, v[0:1]
	v_dual_mov_b32 v7, v1 :: v_dual_lshlrev_b32 v14, 3, v14
	s_delay_alu instid0(VALU_DEP_3)
	v_lshl_or_b32 v15, v9, 6, v3
	v_mov_b32_e32 v9, v1
	v_lshlrev_b64 v[3:4], 3, v[4:5]
	v_mov_b32_e32 v0, v1
	v_lshlrev_b64 v[12:13], 3, v[12:13]
	v_lshl_or_b32 v14, v2, 8, v14
	v_add_nc_u32_e32 v15, 0x800, v15
	s_waitcnt lgkmcnt(0)
	v_add_co_u32 v2, vcc_lo, v3, s12
	v_add_co_ci_u32_e32 v3, vcc_lo, s13, v4, vcc_lo
	v_add_co_u32 v4, vcc_lo, v12, s8
	v_add_co_ci_u32_e32 v5, vcc_lo, s9, v13, vcc_lo
	s_delay_alu instid0(VALU_DEP_4) | instskip(NEXT) | instid1(VALU_DEP_4)
	v_add_co_u32 v2, vcc_lo, v2, 4
	v_add_co_ci_u32_e32 v3, vcc_lo, 0, v3, vcc_lo
	s_delay_alu instid0(VALU_DEP_4) | instskip(NEXT) | instid1(VALU_DEP_4)
	v_add_co_u32 v4, vcc_lo, v4, 4
	v_add_co_ci_u32_e32 v5, vcc_lo, 0, v5, vcc_lo
	v_mov_b32_e32 v12, v1
	v_mov_b32_e32 v13, v1
.LBB779_2:                              ; =>This Inner Loop Header: Depth=1
	global_load_b64 v[18:19], v[2:3], off offset:-4
	global_load_b64 v[20:21], v[4:5], off offset:-4
	v_add_co_u32 v2, vcc_lo, v2, 64
	v_add_co_ci_u32_e32 v3, vcc_lo, 0, v3, vcc_lo
	v_add_co_u32 v4, vcc_lo, v4, 64
	v_add_co_ci_u32_e32 v5, vcc_lo, 0, v5, vcc_lo
	s_add_i32 s7, s7, 8
	s_delay_alu instid0(SALU_CYCLE_1)
	s_cmp_ge_i32 s7, s5
	s_waitcnt vmcnt(1)
	v_xor_b32_e32 v19, 0x80000000, v19
	ds_store_b64 v14, v[18:19]
	s_waitcnt vmcnt(0)
	ds_store_b64 v15, v[20:21]
	s_waitcnt lgkmcnt(0)
	s_barrier
	buffer_gl0_inv
	ds_load_2addr_b64 v[18:21], v10 offset1:16
	ds_load_b128 v[22:25], v11
	ds_load_b128 v[26:29], v11 offset:1024
	ds_load_b128 v[30:33], v11 offset:16
	ds_load_2addr_b64 v[34:37], v10 offset0:32 offset1:48
	ds_load_b128 v[38:41], v11 offset:32
	ds_load_b128 v[42:45], v11 offset:48
	ds_load_2addr_b64 v[46:49], v10 offset0:64 offset1:80
	ds_load_b128 v[50:53], v11 offset:1040
	ds_load_2addr_b64 v[54:57], v10 offset0:96 offset1:112
	ds_load_2addr_b64 v[58:61], v10 offset0:128 offset1:144
	;; [unrolled: 1-line block ×4, first 2 shown]
	ds_load_b128 v[70:73], v11 offset:1056
	ds_load_b128 v[74:77], v11 offset:1072
	ds_load_2addr_b64 v[78:81], v10 offset0:224 offset1:240
	s_waitcnt lgkmcnt(0)
	s_barrier
	buffer_gl0_inv
	v_dual_mul_f32 v82, v23, v19 :: v_dual_mul_f32 v85, v22, v21
	v_dual_mul_f32 v83, v22, v19 :: v_dual_mul_f32 v84, v23, v21
	v_mul_f32_e32 v86, v27, v19
	v_dual_mul_f32 v19, v26, v19 :: v_dual_mul_f32 v90, v25, v37
	v_dual_mul_f32 v87, v27, v21 :: v_dual_mul_f32 v88, v25, v35
	v_mul_f32_e32 v21, v26, v21
	v_fma_f32 v82, v22, v18, -v82
	v_fmac_f32_e32 v83, v23, v18
	v_fma_f32 v22, v22, v20, -v84
	v_fmac_f32_e32 v85, v23, v20
	v_fma_f32 v23, v26, v18, -v86
	v_dual_fmac_f32 v19, v27, v18 :: v_dual_mul_f32 v86, v30, v47
	v_fma_f32 v18, v26, v20, -v87
	v_dual_fmac_f32 v21, v27, v20 :: v_dual_mul_f32 v20, v24, v37
	v_mul_f32_e32 v89, v24, v35
	v_mul_f32_e32 v26, v29, v35
	;; [unrolled: 1-line block ×4, first 2 shown]
	v_fmac_f32_e32 v20, v25, v36
	v_fmac_f32_e32 v89, v25, v34
	v_dual_mul_f32 v25, v28, v37 :: v_dual_fmac_f32 v86, v31, v46
	v_fma_f32 v84, v24, v34, -v88
	v_fma_f32 v24, v24, v36, -v90
	v_dual_mul_f32 v37, v31, v47 :: v_dual_mul_f32 v90, v33, v57
	v_fma_f32 v26, v28, v34, -v26
	v_fma_f32 v28, v28, v36, -v35
	v_fmac_f32_e32 v25, v29, v36
	v_dual_mul_f32 v35, v50, v47 :: v_dual_mul_f32 v36, v51, v49
	v_dual_fmac_f32 v27, v29, v34 :: v_dual_mul_f32 v34, v51, v47
	v_dual_mul_f32 v88, v32, v55 :: v_dual_mul_f32 v29, v30, v49
	v_mul_f32_e32 v87, v31, v49
	v_fma_f32 v37, v30, v46, -v37
	v_add_f32_e32 v16, v16, v82
	s_delay_alu instid0(VALU_DEP_4)
	v_dual_fmac_f32 v88, v33, v54 :: v_dual_fmac_f32 v29, v31, v48
	v_fma_f32 v31, v50, v46, -v34
	v_fma_f32 v34, v50, v48, -v36
	v_mul_f32_e32 v36, v32, v57
	v_mul_f32_e32 v47, v50, v49
	v_dual_mul_f32 v50, v53, v57 :: v_dual_fmac_f32 v35, v51, v46
	v_mul_f32_e32 v46, v53, v55
	v_mul_f32_e32 v49, v33, v55
	v_fma_f32 v30, v30, v48, -v87
	v_fmac_f32_e32 v36, v33, v56
	v_dual_fmac_f32 v47, v51, v48 :: v_dual_mul_f32 v48, v52, v55
	v_mul_f32_e32 v33, v52, v57
	v_fma_f32 v46, v52, v54, -v46
	v_fma_f32 v50, v52, v56, -v50
	v_mul_f32_e32 v52, v38, v61
	v_fma_f32 v49, v32, v54, -v49
	v_fma_f32 v32, v32, v56, -v90
	v_dual_mul_f32 v51, v39, v59 :: v_dual_fmac_f32 v48, v53, v54
	v_mul_f32_e32 v54, v70, v59
	v_dual_mul_f32 v55, v38, v59 :: v_dual_fmac_f32 v52, v39, v60
	v_fmac_f32_e32 v33, v53, v56
	v_mul_f32_e32 v53, v71, v59
	v_mul_f32_e32 v56, v71, v61
	;; [unrolled: 1-line block ×3, first 2 shown]
	v_fmac_f32_e32 v54, v71, v58
	v_fmac_f32_e32 v55, v39, v58
	v_fma_f32 v39, v70, v58, -v53
	v_fma_f32 v53, v70, v60, -v56
	v_mul_f32_e32 v56, v40, v65
	v_mul_f32_e32 v59, v70, v61
	v_fma_f32 v51, v38, v58, -v51
	v_mul_f32_e32 v58, v72, v63
	v_mul_f32_e32 v87, v40, v63
	;; [unrolled: 1-line block ×4, first 2 shown]
	v_fma_f32 v38, v38, v60, -v57
	v_mul_f32_e32 v57, v73, v63
	v_fmac_f32_e32 v56, v41, v64
	v_dual_fmac_f32 v59, v71, v60 :: v_dual_mul_f32 v60, v73, v65
	v_mul_f32_e32 v63, v43, v67
	v_mul_f32_e32 v70, v43, v69
	v_fmac_f32_e32 v58, v73, v62
	v_fmac_f32_e32 v87, v41, v62
	v_mul_f32_e32 v41, v72, v65
	v_fma_f32 v61, v40, v62, -v61
	v_fma_f32 v40, v40, v64, -v90
	v_mul_f32_e32 v65, v42, v67
	v_fma_f32 v57, v72, v62, -v57
	v_fma_f32 v60, v72, v64, -v60
	v_dual_fmac_f32 v41, v73, v64 :: v_dual_mul_f32 v62, v42, v69
	v_mul_f32_e32 v64, v75, v67
	v_fma_f32 v63, v42, v66, -v63
	v_fma_f32 v42, v42, v68, -v70
	v_mul_f32_e32 v70, v76, v79
	v_mul_f32_e32 v67, v74, v67
	;; [unrolled: 1-line block ×4, first 2 shown]
	v_dual_fmac_f32 v65, v43, v66 :: v_dual_add_f32 v12, v12, v85
	v_fmac_f32_e32 v62, v43, v68
	v_fma_f32 v43, v74, v66, -v64
	v_fmac_f32_e32 v70, v77, v78
	v_dual_fmac_f32 v67, v75, v66 :: v_dual_add_f32 v16, v16, v84
	v_mul_f32_e32 v66, v44, v81
	v_dual_mul_f32 v69, v74, v69 :: v_dual_add_f32 v0, v0, v19
	v_mul_f32_e32 v72, v45, v79
	v_mul_f32_e32 v90, v45, v81
	v_fma_f32 v64, v74, v68, -v71
	v_dual_mul_f32 v71, v77, v81 :: v_dual_add_f32 v12, v12, v20
	v_dual_fmac_f32 v73, v45, v78 :: v_dual_add_f32 v16, v16, v37
	v_dual_fmac_f32 v66, v45, v80 :: v_dual_mul_f32 v45, v76, v81
	v_dual_fmac_f32 v69, v75, v68 :: v_dual_add_f32 v0, v0, v27
	s_delay_alu instid0(VALU_DEP_4) | instskip(NEXT) | instid1(VALU_DEP_3)
	v_dual_add_f32 v12, v12, v29 :: v_dual_add_f32 v17, v17, v83
	v_dual_add_f32 v16, v16, v49 :: v_dual_fmac_f32 v45, v77, v80
	s_delay_alu instid0(VALU_DEP_3) | instskip(NEXT) | instid1(VALU_DEP_3)
	v_dual_add_f32 v13, v13, v22 :: v_dual_add_f32 v0, v0, v35
	v_dual_add_f32 v9, v9, v23 :: v_dual_add_f32 v12, v12, v36
	v_add_f32_e32 v7, v7, v18
	s_delay_alu instid0(VALU_DEP_4) | instskip(NEXT) | instid1(VALU_DEP_3)
	v_dual_add_f32 v1, v1, v21 :: v_dual_add_f32 v16, v16, v51
	v_dual_add_f32 v17, v17, v89 :: v_dual_add_f32 v12, v12, v52
	v_add_f32_e32 v0, v0, v48
	v_add_f32_e32 v13, v13, v24
	s_delay_alu instid0(VALU_DEP_4) | instskip(NEXT) | instid1(VALU_DEP_4)
	v_dual_add_f32 v9, v9, v26 :: v_dual_add_f32 v16, v16, v61
	v_dual_add_f32 v1, v1, v25 :: v_dual_add_f32 v12, v12, v56
	s_delay_alu instid0(VALU_DEP_4) | instskip(SKIP_1) | instid1(VALU_DEP_4)
	v_dual_add_f32 v0, v0, v54 :: v_dual_add_f32 v7, v7, v28
	v_fma_f32 v72, v44, v78, -v72
	v_dual_add_f32 v17, v17, v86 :: v_dual_add_f32 v16, v16, v63
	s_delay_alu instid0(VALU_DEP_4) | instskip(NEXT) | instid1(VALU_DEP_4)
	v_dual_add_f32 v9, v9, v31 :: v_dual_add_f32 v12, v12, v62
	v_dual_add_f32 v1, v1, v47 :: v_dual_add_f32 v0, v0, v58
	v_add_f32_e32 v13, v13, v30
	s_delay_alu instid0(VALU_DEP_4) | instskip(NEXT) | instid1(VALU_DEP_3)
	v_dual_add_f32 v7, v7, v34 :: v_dual_add_f32 v16, v16, v72
	v_dual_add_f32 v9, v9, v46 :: v_dual_add_f32 v0, v0, v67
	v_add_f32_e32 v17, v17, v88
	s_delay_alu instid0(VALU_DEP_4) | instskip(NEXT) | instid1(VALU_DEP_4)
	v_add_f32_e32 v13, v13, v32
	v_add_f32_e32 v7, v7, v50
	;; [unrolled: 1-line block ×3, first 2 shown]
	v_dual_add_f32 v0, v0, v70 :: v_dual_add_f32 v1, v1, v33
	v_add_f32_e32 v17, v17, v55
	v_add_f32_e32 v13, v13, v38
	;; [unrolled: 1-line block ×5, first 2 shown]
	v_mul_f32_e32 v68, v77, v79
	v_add_f32_e32 v17, v17, v87
	v_add_f32_e32 v13, v13, v40
	;; [unrolled: 1-line block ×5, first 2 shown]
	v_fma_f32 v44, v44, v80, -v90
	v_fma_f32 v68, v76, v78, -v68
	;; [unrolled: 1-line block ×3, first 2 shown]
	v_add_f32_e32 v17, v17, v65
	v_add_f32_e32 v13, v13, v42
	v_add_f32_e32 v9, v9, v43
	v_add_f32_e32 v7, v7, v64
	v_add_f32_e32 v1, v1, v69
	v_add_f32_e32 v17, v17, v73
	v_add_f32_e32 v13, v13, v44
	v_add_f32_e32 v9, v9, v68
	v_add_f32_e32 v7, v7, v71
	v_add_f32_e32 v1, v1, v45
	s_cbranch_scc0 .LBB779_2
.LBB779_3:
	s_load_b32 s5, s[0:1], 0x40
	v_add_nc_u32_e32 v8, s10, v8
	v_add_nc_u32_e32 v2, s6, v6
	s_delay_alu instid0(VALU_DEP_1) | instskip(SKIP_1) | instid1(VALU_DEP_2)
	v_cmp_le_i32_e64 s0, v8, v2
	v_cmp_gt_i32_e32 vcc_lo, s4, v2
	s_and_b32 s0, s0, vcc_lo
	s_waitcnt lgkmcnt(0)
	v_mad_i64_i32 v[3:4], null, v8, s5, 0
	s_delay_alu instid0(VALU_DEP_1) | instskip(NEXT) | instid1(VALU_DEP_1)
	v_lshlrev_b64 v[3:4], 3, v[3:4]
	v_add_co_u32 v6, s1, s2, v3
	s_delay_alu instid0(VALU_DEP_1)
	v_add_co_ci_u32_e64 v10, s1, s3, v4, s1
	s_and_saveexec_b32 s1, s0
	s_cbranch_execz .LBB779_6
; %bb.4:
	v_ashrrev_i32_e32 v3, 31, v2
	s_delay_alu instid0(VALU_DEP_1) | instskip(NEXT) | instid1(VALU_DEP_1)
	v_lshlrev_b64 v[3:4], 3, v[2:3]
	v_add_co_u32 v3, s0, v6, v3
	s_delay_alu instid0(VALU_DEP_1)
	v_add_co_ci_u32_e64 v4, s0, v10, v4, s0
	v_cmp_eq_u32_e64 s0, v8, v2
	global_load_b64 v[14:15], v[3:4], off
	s_waitcnt vmcnt(0)
	v_dual_sub_f32 v14, v16, v14 :: v_dual_sub_f32 v15, v17, v15
	global_store_b64 v[3:4], v[14:15], off
	s_and_b32 exec_lo, exec_lo, s0
	s_cbranch_execz .LBB779_6
; %bb.5:
	v_mov_b32_e32 v5, 0
	global_store_b32 v[3:4], v5, off offset:4
.LBB779_6:
	s_or_b32 exec_lo, exec_lo, s1
	v_add_nc_u32_e32 v4, 16, v2
	s_delay_alu instid0(VALU_DEP_1) | instskip(SKIP_1) | instid1(VALU_DEP_1)
	v_cmp_le_i32_e64 s1, v8, v4
	v_cmp_gt_i32_e64 s0, s4, v4
	s_and_b32 s1, s1, s0
	s_delay_alu instid0(SALU_CYCLE_1)
	s_and_saveexec_b32 s4, s1
	s_cbranch_execz .LBB779_9
; %bb.7:
	v_ashrrev_i32_e32 v5, 31, v4
	s_delay_alu instid0(VALU_DEP_1) | instskip(NEXT) | instid1(VALU_DEP_1)
	v_lshlrev_b64 v[14:15], 3, v[4:5]
	v_add_co_u32 v5, s1, v6, v14
	s_delay_alu instid0(VALU_DEP_1)
	v_add_co_ci_u32_e64 v6, s1, v10, v15, s1
	v_cmp_eq_u32_e64 s1, v8, v4
	global_load_b64 v[10:11], v[5:6], off
	s_waitcnt vmcnt(0)
	v_dual_sub_f32 v10, v13, v10 :: v_dual_sub_f32 v11, v12, v11
	global_store_b64 v[5:6], v[10:11], off
	s_and_b32 exec_lo, exec_lo, s1
	s_cbranch_execz .LBB779_9
; %bb.8:
	v_mov_b32_e32 v3, 0
	global_store_b32 v[5:6], v3, off offset:4
.LBB779_9:
	s_or_b32 exec_lo, exec_lo, s4
	v_add_nc_u32_e32 v12, 16, v8
	s_delay_alu instid0(VALU_DEP_1) | instskip(SKIP_1) | instid1(VALU_DEP_2)
	v_mad_i64_i32 v[5:6], null, v12, s5, 0
	v_cmp_le_i32_e64 s1, v12, v2
	v_lshlrev_b64 v[5:6], 3, v[5:6]
	s_delay_alu instid0(VALU_DEP_1) | instskip(NEXT) | instid1(VALU_DEP_1)
	v_add_co_u32 v10, s2, s2, v5
	v_add_co_ci_u32_e64 v11, s2, s3, v6, s2
	s_delay_alu instid0(VALU_DEP_4) | instskip(NEXT) | instid1(SALU_CYCLE_1)
	s_and_b32 s2, s1, vcc_lo
	s_and_saveexec_b32 s1, s2
	s_cbranch_execz .LBB779_12
; %bb.10:
	v_ashrrev_i32_e32 v3, 31, v2
	s_delay_alu instid0(VALU_DEP_1) | instskip(NEXT) | instid1(VALU_DEP_1)
	v_lshlrev_b64 v[5:6], 3, v[2:3]
	v_add_co_u32 v5, vcc_lo, v10, v5
	s_delay_alu instid0(VALU_DEP_2)
	v_add_co_ci_u32_e32 v6, vcc_lo, v11, v6, vcc_lo
	v_cmp_eq_u32_e32 vcc_lo, v12, v2
	global_load_b64 v[13:14], v[5:6], off
	s_waitcnt vmcnt(0)
	v_dual_sub_f32 v13, v9, v13 :: v_dual_sub_f32 v14, v0, v14
	global_store_b64 v[5:6], v[13:14], off
	s_and_b32 exec_lo, exec_lo, vcc_lo
	s_cbranch_execz .LBB779_12
; %bb.11:
	v_mov_b32_e32 v0, 0
	global_store_b32 v[5:6], v0, off offset:4
.LBB779_12:
	s_or_b32 exec_lo, exec_lo, s1
	v_cmp_le_i32_e32 vcc_lo, v12, v4
	s_and_b32 s0, vcc_lo, s0
	s_delay_alu instid0(SALU_CYCLE_1)
	s_and_saveexec_b32 s1, s0
	s_cbranch_execz .LBB779_15
; %bb.13:
	v_ashrrev_i32_e32 v5, 31, v4
	s_delay_alu instid0(VALU_DEP_1) | instskip(NEXT) | instid1(VALU_DEP_1)
	v_lshlrev_b64 v[3:4], 3, v[4:5]
	v_add_co_u32 v3, vcc_lo, v10, v3
	s_delay_alu instid0(VALU_DEP_2)
	v_add_co_ci_u32_e32 v4, vcc_lo, v11, v4, vcc_lo
	v_cmp_eq_u32_e32 vcc_lo, v8, v2
	global_load_b64 v[5:6], v[3:4], off
	s_waitcnt vmcnt(0)
	v_dual_sub_f32 v0, v7, v5 :: v_dual_sub_f32 v1, v1, v6
	global_store_b64 v[3:4], v[0:1], off
	s_and_b32 exec_lo, exec_lo, vcc_lo
	s_cbranch_execz .LBB779_15
; %bb.14:
	v_mov_b32_e32 v0, 0
	global_store_b32 v[3:4], v0, off offset:4
.LBB779_15:
	s_nop 0
	s_sendmsg sendmsg(MSG_DEALLOC_VGPRS)
	s_endpgm
	.section	.rodata,"a",@progbits
	.p2align	6, 0x0
	.amdhsa_kernel _ZL37rocblas_syrkx_herkx_restricted_kernelIi19rocblas_complex_numIfELi16ELi32ELi8ELi1ELin1ELb1ELc67ELc76EKPKS1_KPS1_EviT_PT9_S7_lS9_S7_lPT10_S7_li
		.amdhsa_group_segment_fixed_size 4096
		.amdhsa_private_segment_fixed_size 0
		.amdhsa_kernarg_size 84
		.amdhsa_user_sgpr_count 13
		.amdhsa_user_sgpr_dispatch_ptr 0
		.amdhsa_user_sgpr_queue_ptr 0
		.amdhsa_user_sgpr_kernarg_segment_ptr 1
		.amdhsa_user_sgpr_dispatch_id 0
		.amdhsa_user_sgpr_private_segment_size 0
		.amdhsa_wavefront_size32 1
		.amdhsa_uses_dynamic_stack 0
		.amdhsa_enable_private_segment 0
		.amdhsa_system_sgpr_workgroup_id_x 1
		.amdhsa_system_sgpr_workgroup_id_y 1
		.amdhsa_system_sgpr_workgroup_id_z 1
		.amdhsa_system_sgpr_workgroup_info 0
		.amdhsa_system_vgpr_workitem_id 1
		.amdhsa_next_free_vgpr 91
		.amdhsa_next_free_sgpr 17
		.amdhsa_reserve_vcc 1
		.amdhsa_float_round_mode_32 0
		.amdhsa_float_round_mode_16_64 0
		.amdhsa_float_denorm_mode_32 3
		.amdhsa_float_denorm_mode_16_64 3
		.amdhsa_dx10_clamp 1
		.amdhsa_ieee_mode 1
		.amdhsa_fp16_overflow 0
		.amdhsa_workgroup_processor_mode 1
		.amdhsa_memory_ordered 1
		.amdhsa_forward_progress 0
		.amdhsa_shared_vgpr_count 0
		.amdhsa_exception_fp_ieee_invalid_op 0
		.amdhsa_exception_fp_denorm_src 0
		.amdhsa_exception_fp_ieee_div_zero 0
		.amdhsa_exception_fp_ieee_overflow 0
		.amdhsa_exception_fp_ieee_underflow 0
		.amdhsa_exception_fp_ieee_inexact 0
		.amdhsa_exception_int_div_zero 0
	.end_amdhsa_kernel
	.section	.text._ZL37rocblas_syrkx_herkx_restricted_kernelIi19rocblas_complex_numIfELi16ELi32ELi8ELi1ELin1ELb1ELc67ELc76EKPKS1_KPS1_EviT_PT9_S7_lS9_S7_lPT10_S7_li,"axG",@progbits,_ZL37rocblas_syrkx_herkx_restricted_kernelIi19rocblas_complex_numIfELi16ELi32ELi8ELi1ELin1ELb1ELc67ELc76EKPKS1_KPS1_EviT_PT9_S7_lS9_S7_lPT10_S7_li,comdat
.Lfunc_end779:
	.size	_ZL37rocblas_syrkx_herkx_restricted_kernelIi19rocblas_complex_numIfELi16ELi32ELi8ELi1ELin1ELb1ELc67ELc76EKPKS1_KPS1_EviT_PT9_S7_lS9_S7_lPT10_S7_li, .Lfunc_end779-_ZL37rocblas_syrkx_herkx_restricted_kernelIi19rocblas_complex_numIfELi16ELi32ELi8ELi1ELin1ELb1ELc67ELc76EKPKS1_KPS1_EviT_PT9_S7_lS9_S7_lPT10_S7_li
                                        ; -- End function
	.section	.AMDGPU.csdata,"",@progbits
; Kernel info:
; codeLenInByte = 2176
; NumSgprs: 19
; NumVgprs: 91
; ScratchSize: 0
; MemoryBound: 0
; FloatMode: 240
; IeeeMode: 1
; LDSByteSize: 4096 bytes/workgroup (compile time only)
; SGPRBlocks: 2
; VGPRBlocks: 11
; NumSGPRsForWavesPerEU: 19
; NumVGPRsForWavesPerEU: 91
; Occupancy: 16
; WaveLimiterHint : 1
; COMPUTE_PGM_RSRC2:SCRATCH_EN: 0
; COMPUTE_PGM_RSRC2:USER_SGPR: 13
; COMPUTE_PGM_RSRC2:TRAP_HANDLER: 0
; COMPUTE_PGM_RSRC2:TGID_X_EN: 1
; COMPUTE_PGM_RSRC2:TGID_Y_EN: 1
; COMPUTE_PGM_RSRC2:TGID_Z_EN: 1
; COMPUTE_PGM_RSRC2:TIDIG_COMP_CNT: 1
	.section	.text._ZL37rocblas_syrkx_herkx_restricted_kernelIi19rocblas_complex_numIfELi16ELi32ELi8ELi1ELin1ELb1ELc78ELc76EKPKS1_KPS1_EviT_PT9_S7_lS9_S7_lPT10_S7_li,"axG",@progbits,_ZL37rocblas_syrkx_herkx_restricted_kernelIi19rocblas_complex_numIfELi16ELi32ELi8ELi1ELin1ELb1ELc78ELc76EKPKS1_KPS1_EviT_PT9_S7_lS9_S7_lPT10_S7_li,comdat
	.globl	_ZL37rocblas_syrkx_herkx_restricted_kernelIi19rocblas_complex_numIfELi16ELi32ELi8ELi1ELin1ELb1ELc78ELc76EKPKS1_KPS1_EviT_PT9_S7_lS9_S7_lPT10_S7_li ; -- Begin function _ZL37rocblas_syrkx_herkx_restricted_kernelIi19rocblas_complex_numIfELi16ELi32ELi8ELi1ELin1ELb1ELc78ELc76EKPKS1_KPS1_EviT_PT9_S7_lS9_S7_lPT10_S7_li
	.p2align	8
	.type	_ZL37rocblas_syrkx_herkx_restricted_kernelIi19rocblas_complex_numIfELi16ELi32ELi8ELi1ELin1ELb1ELc78ELc76EKPKS1_KPS1_EviT_PT9_S7_lS9_S7_lPT10_S7_li,@function
_ZL37rocblas_syrkx_herkx_restricted_kernelIi19rocblas_complex_numIfELi16ELi32ELi8ELi1ELin1ELb1ELc78ELc76EKPKS1_KPS1_EviT_PT9_S7_lS9_S7_lPT10_S7_li: ; @_ZL37rocblas_syrkx_herkx_restricted_kernelIi19rocblas_complex_numIfELi16ELi32ELi8ELi1ELin1ELb1ELc78ELc76EKPKS1_KPS1_EviT_PT9_S7_lS9_S7_lPT10_S7_li
; %bb.0:
	s_clause 0x1
	s_load_b64 s[2:3], s[0:1], 0x38
	s_load_b64 s[4:5], s[0:1], 0x0
	s_mov_b32 s6, s15
	s_mov_b32 s7, 0
	v_dual_mov_b32 v17, 0 :: v_dual_and_b32 v4, 0x3ff, v0
	s_lshl_b64 s[8:9], s[6:7], 3
	v_bfe_u32 v5, v0, 10, 10
	v_dual_mov_b32 v16, 0 :: v_dual_mov_b32 v11, 0
	v_dual_mov_b32 v12, 0 :: v_dual_mov_b32 v9, 0
	;; [unrolled: 1-line block ×3, first 2 shown]
	v_mov_b32_e32 v6, 0
	s_waitcnt lgkmcnt(0)
	s_add_u32 s2, s2, s8
	s_addc_u32 s3, s3, s9
	s_lshl_b32 s6, s13, 5
	s_load_b64 s[2:3], s[2:3], 0x0
	s_lshl_b32 s12, s14, 5
	s_cmp_lt_i32 s5, 1
	s_cbranch_scc1 .LBB780_3
; %bb.1:
	s_clause 0x3
	s_load_b32 s10, s[0:1], 0x10
	s_load_b32 s14, s[0:1], 0x28
	s_load_b64 s[16:17], s[0:1], 0x8
	s_load_b64 s[18:19], s[0:1], 0x20
	v_lshl_add_u32 v0, v5, 4, v4
	v_and_b32_e32 v11, 7, v4
	v_lshlrev_b32_e32 v10, 3, v4
	v_lshl_add_u32 v13, v5, 6, 0x800
	v_mov_b32_e32 v17, 0
	v_and_b32_e32 v9, 31, v0
	v_lshrrev_b32_e32 v6, 3, v0
	v_lshrrev_b32_e32 v12, 5, v0
	v_mov_b32_e32 v16, 0
	s_delay_alu instid0(VALU_DEP_4) | instskip(NEXT) | instid1(VALU_DEP_4)
	v_add_nc_u32_e32 v2, s6, v9
	v_add_nc_u32_e32 v0, s12, v6
	s_delay_alu instid0(VALU_DEP_2)
	v_ashrrev_i32_e32 v3, 31, v2
	s_waitcnt lgkmcnt(0)
	s_ashr_i32 s11, s10, 31
	s_ashr_i32 s15, s14, 31
	s_add_u32 s16, s16, s8
	s_addc_u32 s17, s17, s9
	s_add_u32 s8, s18, s8
	s_load_b64 s[16:17], s[16:17], 0x0
	s_addc_u32 s9, s19, s9
	v_ashrrev_i32_e32 v1, 31, v0
	s_load_b64 s[8:9], s[8:9], 0x0
	v_mad_i64_i32 v[7:8], null, s10, v12, v[2:3]
	s_delay_alu instid0(VALU_DEP_2) | instskip(NEXT) | instid1(VALU_DEP_2)
	v_mad_i64_i32 v[2:3], null, s14, v11, v[0:1]
	v_lshlrev_b64 v[0:1], 3, v[7:8]
	v_mov_b32_e32 v8, 0
	v_lshlrev_b32_e32 v14, 3, v11
	s_delay_alu instid0(VALU_DEP_4) | instskip(SKIP_1) | instid1(VALU_DEP_3)
	v_lshlrev_b64 v[2:3], 3, v[2:3]
	v_mov_b32_e32 v7, 0
	v_lshl_or_b32 v11, v6, 6, v14
	s_waitcnt lgkmcnt(0)
	v_add_co_u32 v0, vcc_lo, v0, s16
	v_add_co_ci_u32_e32 v1, vcc_lo, s17, v1, vcc_lo
	v_add_co_u32 v2, vcc_lo, v2, s8
	v_add_co_ci_u32_e32 v3, vcc_lo, s9, v3, vcc_lo
	v_dual_mov_b32 v6, 0 :: v_dual_lshlrev_b32 v9, 3, v9
	v_add_co_u32 v0, vcc_lo, v0, 4
	v_add_co_ci_u32_e32 v1, vcc_lo, 0, v1, vcc_lo
	v_add_co_u32 v2, vcc_lo, v2, 4
	s_delay_alu instid0(VALU_DEP_4)
	v_lshl_or_b32 v14, v12, 8, v9
	v_dual_mov_b32 v12, 0 :: v_dual_add_nc_u32 v15, 0x800, v11
	v_add_co_ci_u32_e32 v3, vcc_lo, 0, v3, vcc_lo
	v_mov_b32_e32 v9, 0
	v_mov_b32_e32 v11, 0
	s_lshl_b64 s[8:9], s[10:11], 6
	s_lshl_b64 s[10:11], s[14:15], 6
.LBB780_2:                              ; =>This Inner Loop Header: Depth=1
	global_load_b64 v[18:19], v[2:3], off offset:-4
	global_load_b64 v[20:21], v[0:1], off offset:-4
	v_add_co_u32 v0, vcc_lo, v0, s8
	v_add_co_ci_u32_e32 v1, vcc_lo, s9, v1, vcc_lo
	v_add_co_u32 v2, vcc_lo, v2, s10
	v_add_co_ci_u32_e32 v3, vcc_lo, s11, v3, vcc_lo
	s_add_i32 s7, s7, 8
	s_delay_alu instid0(SALU_CYCLE_1)
	s_cmp_ge_i32 s7, s5
	s_waitcnt vmcnt(1)
	v_xor_b32_e32 v19, 0x80000000, v19
	s_waitcnt vmcnt(0)
	ds_store_b64 v14, v[20:21]
	ds_store_b64 v15, v[18:19]
	s_waitcnt lgkmcnt(0)
	s_barrier
	buffer_gl0_inv
	ds_load_2addr_b64 v[18:21], v10 offset1:16
	ds_load_b128 v[22:25], v13
	ds_load_b128 v[26:29], v13 offset:1024
	ds_load_b128 v[30:33], v13 offset:16
	ds_load_2addr_b64 v[34:37], v10 offset0:32 offset1:48
	ds_load_b128 v[38:41], v13 offset:32
	ds_load_b128 v[42:45], v13 offset:48
	ds_load_2addr_b64 v[46:49], v10 offset0:64 offset1:80
	ds_load_b128 v[50:53], v13 offset:1040
	ds_load_2addr_b64 v[54:57], v10 offset0:96 offset1:112
	ds_load_2addr_b64 v[58:61], v10 offset0:128 offset1:144
	;; [unrolled: 1-line block ×4, first 2 shown]
	ds_load_b128 v[70:73], v13 offset:1056
	ds_load_b128 v[74:77], v13 offset:1072
	ds_load_2addr_b64 v[78:81], v10 offset0:224 offset1:240
	s_waitcnt lgkmcnt(0)
	s_barrier
	buffer_gl0_inv
	v_dual_mul_f32 v82, v23, v19 :: v_dual_mul_f32 v85, v22, v21
	v_dual_mul_f32 v83, v22, v19 :: v_dual_mul_f32 v84, v23, v21
	v_mul_f32_e32 v86, v27, v19
	v_dual_mul_f32 v19, v26, v19 :: v_dual_mul_f32 v90, v25, v37
	v_dual_mul_f32 v87, v27, v21 :: v_dual_mul_f32 v88, v25, v35
	v_mul_f32_e32 v21, v26, v21
	v_mul_f32_e32 v89, v24, v35
	;; [unrolled: 1-line block ×3, first 2 shown]
	v_fma_f32 v82, v22, v18, -v82
	v_fmac_f32_e32 v83, v23, v18
	v_fma_f32 v22, v22, v20, -v84
	v_dual_fmac_f32 v85, v23, v20 :: v_dual_mul_f32 v84, v30, v47
	v_fma_f32 v23, v26, v18, -v86
	v_fmac_f32_e32 v19, v27, v18
	v_fma_f32 v18, v26, v20, -v87
	v_dual_mul_f32 v26, v28, v35 :: v_dual_fmac_f32 v21, v27, v20
	v_mul_f32_e32 v20, v29, v35
	v_mul_f32_e32 v27, v29, v37
	v_dual_mul_f32 v35, v28, v37 :: v_dual_fmac_f32 v84, v31, v46
	v_fma_f32 v37, v24, v34, -v88
	v_fma_f32 v24, v24, v36, -v90
	v_dual_fmac_f32 v91, v25, v36 :: v_dual_mul_f32 v90, v32, v57
	v_dual_mul_f32 v86, v31, v49 :: v_dual_fmac_f32 v89, v25, v34
	v_dual_mul_f32 v25, v31, v47 :: v_dual_mul_f32 v88, v33, v57
	v_fma_f32 v20, v28, v34, -v20
	v_fmac_f32_e32 v26, v29, v34
	v_fma_f32 v27, v28, v36, -v27
	v_dual_fmac_f32 v35, v29, v36 :: v_dual_mul_f32 v28, v51, v47
	v_dual_mul_f32 v29, v50, v47 :: v_dual_mul_f32 v34, v51, v49
	v_mul_f32_e32 v36, v50, v49
	v_mul_f32_e32 v87, v30, v49
	;; [unrolled: 1-line block ×3, first 2 shown]
	v_dual_mul_f32 v49, v32, v55 :: v_dual_fmac_f32 v90, v33, v56
	v_fma_f32 v25, v30, v46, -v25
	v_fma_f32 v30, v30, v48, -v86
	;; [unrolled: 1-line block ×3, first 2 shown]
	v_fmac_f32_e32 v36, v51, v48
	v_fmac_f32_e32 v87, v31, v48
	v_fma_f32 v31, v50, v48, -v34
	v_mul_f32_e32 v34, v53, v55
	v_mul_f32_e32 v48, v53, v57
	v_dual_mul_f32 v50, v52, v57 :: v_dual_fmac_f32 v29, v51, v46
	v_mul_f32_e32 v46, v52, v55
	v_fma_f32 v47, v32, v54, -v47
	v_fmac_f32_e32 v49, v33, v54
	v_fma_f32 v32, v32, v56, -v88
	s_delay_alu instid0(VALU_DEP_4)
	v_dual_mul_f32 v33, v39, v59 :: v_dual_fmac_f32 v46, v53, v54
	v_mul_f32_e32 v51, v38, v59
	v_mul_f32_e32 v55, v39, v61
	v_fma_f32 v34, v52, v54, -v34
	v_fma_f32 v48, v52, v56, -v48
	v_fmac_f32_e32 v50, v53, v56
	v_mul_f32_e32 v52, v71, v59
	v_dual_mul_f32 v53, v70, v59 :: v_dual_mul_f32 v86, v41, v65
	v_mul_f32_e32 v54, v71, v61
	v_dual_mul_f32 v56, v70, v61 :: v_dual_mul_f32 v59, v41, v63
	v_mul_f32_e32 v57, v38, v61
	v_mul_f32_e32 v61, v40, v63
	v_dual_mul_f32 v88, v40, v65 :: v_dual_fmac_f32 v51, v39, v58
	v_fma_f32 v33, v38, v58, -v33
	v_fmac_f32_e32 v53, v71, v58
	v_fmac_f32_e32 v56, v71, v60
	s_delay_alu instid0(VALU_DEP_4)
	v_fmac_f32_e32 v88, v41, v64
	v_fmac_f32_e32 v57, v39, v60
	v_fma_f32 v39, v70, v58, -v52
	v_fma_f32 v52, v70, v60, -v54
	v_mul_f32_e32 v54, v73, v63
	v_fma_f32 v38, v38, v60, -v55
	v_mul_f32_e32 v60, v72, v65
	v_dual_mul_f32 v55, v72, v63 :: v_dual_mul_f32 v70, v42, v69
	v_mul_f32_e32 v58, v73, v65
	v_fma_f32 v59, v40, v62, -v59
	v_fmac_f32_e32 v61, v41, v62
	v_fma_f32 v40, v40, v64, -v86
	v_dual_mul_f32 v41, v43, v67 :: v_dual_fmac_f32 v60, v73, v64
	v_dual_mul_f32 v63, v42, v67 :: v_dual_mul_f32 v86, v44, v81
	v_mul_f32_e32 v65, v43, v69
	v_fma_f32 v54, v72, v62, -v54
	v_fmac_f32_e32 v55, v73, v62
	v_fma_f32 v58, v72, v64, -v58
	v_mul_f32_e32 v72, v44, v79
	v_mul_f32_e32 v62, v75, v67
	v_dual_mul_f32 v64, v74, v67 :: v_dual_mul_f32 v67, v75, v69
	v_dual_mul_f32 v69, v74, v69 :: v_dual_fmac_f32 v70, v43, v68
	s_delay_alu instid0(VALU_DEP_2)
	v_dual_mul_f32 v71, v45, v79 :: v_dual_fmac_f32 v64, v75, v66
	v_fma_f32 v41, v42, v66, -v41
	v_fmac_f32_e32 v63, v43, v66
	v_fma_f32 v42, v42, v68, -v65
	v_fma_f32 v43, v74, v66, -v62
	v_dual_fmac_f32 v69, v75, v68 :: v_dual_fmac_f32 v72, v45, v78
	v_mul_f32_e32 v66, v76, v79
	v_fma_f32 v62, v74, v68, -v67
	v_mul_f32_e32 v68, v76, v81
	v_dual_mul_f32 v73, v45, v81 :: v_dual_add_f32 v16, v16, v82
	v_dual_mul_f32 v65, v77, v79 :: v_dual_add_f32 v12, v12, v22
	;; [unrolled: 1-line block ×3, first 2 shown]
	v_dual_fmac_f32 v86, v45, v80 :: v_dual_add_f32 v11, v11, v85
	v_dual_fmac_f32 v68, v77, v80 :: v_dual_add_f32 v7, v7, v18
	v_dual_add_f32 v17, v17, v83 :: v_dual_add_f32 v6, v6, v21
	v_dual_add_f32 v9, v9, v23 :: v_dual_add_f32 v16, v16, v37
	s_delay_alu instid0(VALU_DEP_4) | instskip(NEXT) | instid1(VALU_DEP_3)
	v_dual_fmac_f32 v66, v77, v78 :: v_dual_add_f32 v11, v11, v91
	v_dual_add_f32 v17, v17, v89 :: v_dual_add_f32 v12, v12, v24
	s_delay_alu instid0(VALU_DEP_3) | instskip(NEXT) | instid1(VALU_DEP_4)
	v_dual_add_f32 v9, v9, v20 :: v_dual_add_f32 v8, v8, v26
	v_dual_add_f32 v7, v7, v27 :: v_dual_add_f32 v16, v16, v25
	s_delay_alu instid0(VALU_DEP_3) | instskip(NEXT) | instid1(VALU_DEP_4)
	v_dual_add_f32 v6, v6, v35 :: v_dual_add_f32 v17, v17, v84
	v_dual_add_f32 v12, v12, v30 :: v_dual_add_f32 v11, v11, v87
	s_delay_alu instid0(VALU_DEP_4) | instskip(NEXT) | instid1(VALU_DEP_3)
	v_dual_add_f32 v9, v9, v28 :: v_dual_add_f32 v8, v8, v29
	v_dual_add_f32 v7, v7, v31 :: v_dual_add_f32 v6, v6, v36
	s_delay_alu instid0(VALU_DEP_4) | instskip(NEXT) | instid1(VALU_DEP_4)
	v_dual_add_f32 v16, v16, v47 :: v_dual_add_f32 v17, v17, v49
	v_dual_add_f32 v12, v12, v32 :: v_dual_add_f32 v11, v11, v90
	s_delay_alu instid0(VALU_DEP_2) | instskip(NEXT) | instid1(VALU_DEP_4)
	v_dual_add_f32 v9, v9, v34 :: v_dual_add_f32 v16, v16, v33
	v_dual_add_f32 v8, v8, v46 :: v_dual_add_f32 v7, v7, v48
	s_delay_alu instid0(VALU_DEP_4) | instskip(NEXT) | instid1(VALU_DEP_4)
	v_dual_add_f32 v6, v6, v50 :: v_dual_add_f32 v17, v17, v51
	v_dual_add_f32 v12, v12, v38 :: v_dual_add_f32 v11, v11, v57
	s_delay_alu instid0(VALU_DEP_3) | instskip(NEXT) | instid1(VALU_DEP_4)
	v_dual_add_f32 v9, v9, v39 :: v_dual_add_f32 v8, v8, v53
	v_dual_add_f32 v7, v7, v52 :: v_dual_add_f32 v16, v16, v59
	s_delay_alu instid0(VALU_DEP_4) | instskip(NEXT) | instid1(VALU_DEP_3)
	v_dual_add_f32 v6, v6, v56 :: v_dual_add_f32 v17, v17, v61
	v_dual_add_f32 v12, v12, v40 :: v_dual_add_f32 v9, v9, v54
	s_delay_alu instid0(VALU_DEP_4) | instskip(NEXT) | instid1(VALU_DEP_3)
	v_dual_add_f32 v11, v11, v88 :: v_dual_add_f32 v8, v8, v55
	v_dual_add_f32 v7, v7, v58 :: v_dual_add_f32 v6, v6, v60
	v_fma_f32 v71, v44, v78, -v71
	v_fma_f32 v44, v44, v80, -v73
	;; [unrolled: 1-line block ×4, first 2 shown]
	v_dual_add_f32 v16, v16, v41 :: v_dual_add_f32 v17, v17, v63
	v_dual_add_f32 v12, v12, v42 :: v_dual_add_f32 v9, v9, v43
	;; [unrolled: 1-line block ×4, first 2 shown]
	s_delay_alu instid0(VALU_DEP_4) | instskip(NEXT) | instid1(VALU_DEP_3)
	v_dual_add_f32 v16, v16, v71 :: v_dual_add_f32 v17, v17, v72
	v_dual_add_f32 v12, v12, v44 :: v_dual_add_f32 v11, v11, v86
	s_delay_alu instid0(VALU_DEP_4) | instskip(NEXT) | instid1(VALU_DEP_4)
	v_dual_add_f32 v9, v9, v45 :: v_dual_add_f32 v8, v8, v66
	v_dual_add_f32 v7, v7, v65 :: v_dual_add_f32 v6, v6, v68
	s_cbranch_scc0 .LBB780_2
.LBB780_3:
	s_load_b32 s5, s[0:1], 0x40
	v_add_nc_u32_e32 v5, s12, v5
	v_add_nc_u32_e32 v0, s6, v4
	s_delay_alu instid0(VALU_DEP_1) | instskip(SKIP_1) | instid1(VALU_DEP_2)
	v_cmp_le_i32_e64 s0, v5, v0
	v_cmp_gt_i32_e32 vcc_lo, s4, v0
	s_and_b32 s0, s0, vcc_lo
	s_waitcnt lgkmcnt(0)
	v_mad_i64_i32 v[1:2], null, v5, s5, 0
	s_delay_alu instid0(VALU_DEP_1) | instskip(NEXT) | instid1(VALU_DEP_1)
	v_lshlrev_b64 v[1:2], 3, v[1:2]
	v_add_co_u32 v4, s1, s2, v1
	s_delay_alu instid0(VALU_DEP_1)
	v_add_co_ci_u32_e64 v10, s1, s3, v2, s1
	s_and_saveexec_b32 s1, s0
	s_cbranch_execz .LBB780_6
; %bb.4:
	v_ashrrev_i32_e32 v1, 31, v0
	s_delay_alu instid0(VALU_DEP_1) | instskip(NEXT) | instid1(VALU_DEP_1)
	v_lshlrev_b64 v[1:2], 3, v[0:1]
	v_add_co_u32 v1, s0, v4, v1
	s_delay_alu instid0(VALU_DEP_1)
	v_add_co_ci_u32_e64 v2, s0, v10, v2, s0
	v_cmp_eq_u32_e64 s0, v5, v0
	global_load_b64 v[13:14], v[1:2], off
	s_waitcnt vmcnt(0)
	v_dual_sub_f32 v13, v16, v13 :: v_dual_sub_f32 v14, v17, v14
	global_store_b64 v[1:2], v[13:14], off
	s_and_b32 exec_lo, exec_lo, s0
	s_cbranch_execz .LBB780_6
; %bb.5:
	v_mov_b32_e32 v3, 0
	global_store_b32 v[1:2], v3, off offset:4
.LBB780_6:
	s_or_b32 exec_lo, exec_lo, s1
	v_add_nc_u32_e32 v2, 16, v0
	s_delay_alu instid0(VALU_DEP_1) | instskip(SKIP_1) | instid1(VALU_DEP_1)
	v_cmp_le_i32_e64 s1, v5, v2
	v_cmp_gt_i32_e64 s0, s4, v2
	s_and_b32 s1, s1, s0
	s_delay_alu instid0(SALU_CYCLE_1)
	s_and_saveexec_b32 s4, s1
	s_cbranch_execz .LBB780_9
; %bb.7:
	v_ashrrev_i32_e32 v3, 31, v2
	s_delay_alu instid0(VALU_DEP_1) | instskip(NEXT) | instid1(VALU_DEP_1)
	v_lshlrev_b64 v[13:14], 3, v[2:3]
	v_add_co_u32 v3, s1, v4, v13
	s_delay_alu instid0(VALU_DEP_1)
	v_add_co_ci_u32_e64 v4, s1, v10, v14, s1
	v_cmp_eq_u32_e64 s1, v5, v2
	global_load_b64 v[13:14], v[3:4], off
	s_waitcnt vmcnt(0)
	v_dual_sub_f32 v10, v12, v13 :: v_dual_sub_f32 v11, v11, v14
	global_store_b64 v[3:4], v[10:11], off
	s_and_b32 exec_lo, exec_lo, s1
	s_cbranch_execz .LBB780_9
; %bb.8:
	v_mov_b32_e32 v1, 0
	global_store_b32 v[3:4], v1, off offset:4
.LBB780_9:
	s_or_b32 exec_lo, exec_lo, s4
	v_add_nc_u32_e32 v12, 16, v5
	s_delay_alu instid0(VALU_DEP_1) | instskip(SKIP_1) | instid1(VALU_DEP_2)
	v_mad_i64_i32 v[3:4], null, v12, s5, 0
	v_cmp_le_i32_e64 s1, v12, v0
	v_lshlrev_b64 v[3:4], 3, v[3:4]
	s_delay_alu instid0(VALU_DEP_1) | instskip(NEXT) | instid1(VALU_DEP_1)
	v_add_co_u32 v10, s2, s2, v3
	v_add_co_ci_u32_e64 v11, s2, s3, v4, s2
	s_delay_alu instid0(VALU_DEP_4) | instskip(NEXT) | instid1(SALU_CYCLE_1)
	s_and_b32 s2, s1, vcc_lo
	s_and_saveexec_b32 s1, s2
	s_cbranch_execz .LBB780_12
; %bb.10:
	v_ashrrev_i32_e32 v1, 31, v0
	s_delay_alu instid0(VALU_DEP_1) | instskip(NEXT) | instid1(VALU_DEP_1)
	v_lshlrev_b64 v[3:4], 3, v[0:1]
	v_add_co_u32 v3, vcc_lo, v10, v3
	s_delay_alu instid0(VALU_DEP_2)
	v_add_co_ci_u32_e32 v4, vcc_lo, v11, v4, vcc_lo
	v_cmp_eq_u32_e32 vcc_lo, v12, v0
	global_load_b64 v[13:14], v[3:4], off
	s_waitcnt vmcnt(0)
	v_dual_sub_f32 v13, v9, v13 :: v_dual_sub_f32 v14, v8, v14
	global_store_b64 v[3:4], v[13:14], off
	s_and_b32 exec_lo, exec_lo, vcc_lo
	s_cbranch_execz .LBB780_12
; %bb.11:
	v_mov_b32_e32 v1, 0
	global_store_b32 v[3:4], v1, off offset:4
.LBB780_12:
	s_or_b32 exec_lo, exec_lo, s1
	v_cmp_le_i32_e32 vcc_lo, v12, v2
	s_and_b32 s0, vcc_lo, s0
	s_delay_alu instid0(SALU_CYCLE_1)
	s_and_saveexec_b32 s1, s0
	s_cbranch_execz .LBB780_15
; %bb.13:
	v_ashrrev_i32_e32 v3, 31, v2
	s_delay_alu instid0(VALU_DEP_1) | instskip(NEXT) | instid1(VALU_DEP_1)
	v_lshlrev_b64 v[1:2], 3, v[2:3]
	v_add_co_u32 v1, vcc_lo, v10, v1
	s_delay_alu instid0(VALU_DEP_2)
	v_add_co_ci_u32_e32 v2, vcc_lo, v11, v2, vcc_lo
	v_cmp_eq_u32_e32 vcc_lo, v5, v0
	global_load_b64 v[3:4], v[1:2], off
	s_waitcnt vmcnt(0)
	v_dual_sub_f32 v3, v7, v3 :: v_dual_sub_f32 v4, v6, v4
	global_store_b64 v[1:2], v[3:4], off
	s_and_b32 exec_lo, exec_lo, vcc_lo
	s_cbranch_execz .LBB780_15
; %bb.14:
	v_mov_b32_e32 v0, 0
	global_store_b32 v[1:2], v0, off offset:4
.LBB780_15:
	s_nop 0
	s_sendmsg sendmsg(MSG_DEALLOC_VGPRS)
	s_endpgm
	.section	.rodata,"a",@progbits
	.p2align	6, 0x0
	.amdhsa_kernel _ZL37rocblas_syrkx_herkx_restricted_kernelIi19rocblas_complex_numIfELi16ELi32ELi8ELi1ELin1ELb1ELc78ELc76EKPKS1_KPS1_EviT_PT9_S7_lS9_S7_lPT10_S7_li
		.amdhsa_group_segment_fixed_size 4096
		.amdhsa_private_segment_fixed_size 0
		.amdhsa_kernarg_size 84
		.amdhsa_user_sgpr_count 13
		.amdhsa_user_sgpr_dispatch_ptr 0
		.amdhsa_user_sgpr_queue_ptr 0
		.amdhsa_user_sgpr_kernarg_segment_ptr 1
		.amdhsa_user_sgpr_dispatch_id 0
		.amdhsa_user_sgpr_private_segment_size 0
		.amdhsa_wavefront_size32 1
		.amdhsa_uses_dynamic_stack 0
		.amdhsa_enable_private_segment 0
		.amdhsa_system_sgpr_workgroup_id_x 1
		.amdhsa_system_sgpr_workgroup_id_y 1
		.amdhsa_system_sgpr_workgroup_id_z 1
		.amdhsa_system_sgpr_workgroup_info 0
		.amdhsa_system_vgpr_workitem_id 1
		.amdhsa_next_free_vgpr 92
		.amdhsa_next_free_sgpr 20
		.amdhsa_reserve_vcc 1
		.amdhsa_float_round_mode_32 0
		.amdhsa_float_round_mode_16_64 0
		.amdhsa_float_denorm_mode_32 3
		.amdhsa_float_denorm_mode_16_64 3
		.amdhsa_dx10_clamp 1
		.amdhsa_ieee_mode 1
		.amdhsa_fp16_overflow 0
		.amdhsa_workgroup_processor_mode 1
		.amdhsa_memory_ordered 1
		.amdhsa_forward_progress 0
		.amdhsa_shared_vgpr_count 0
		.amdhsa_exception_fp_ieee_invalid_op 0
		.amdhsa_exception_fp_denorm_src 0
		.amdhsa_exception_fp_ieee_div_zero 0
		.amdhsa_exception_fp_ieee_overflow 0
		.amdhsa_exception_fp_ieee_underflow 0
		.amdhsa_exception_fp_ieee_inexact 0
		.amdhsa_exception_int_div_zero 0
	.end_amdhsa_kernel
	.section	.text._ZL37rocblas_syrkx_herkx_restricted_kernelIi19rocblas_complex_numIfELi16ELi32ELi8ELi1ELin1ELb1ELc78ELc76EKPKS1_KPS1_EviT_PT9_S7_lS9_S7_lPT10_S7_li,"axG",@progbits,_ZL37rocblas_syrkx_herkx_restricted_kernelIi19rocblas_complex_numIfELi16ELi32ELi8ELi1ELin1ELb1ELc78ELc76EKPKS1_KPS1_EviT_PT9_S7_lS9_S7_lPT10_S7_li,comdat
.Lfunc_end780:
	.size	_ZL37rocblas_syrkx_herkx_restricted_kernelIi19rocblas_complex_numIfELi16ELi32ELi8ELi1ELin1ELb1ELc78ELc76EKPKS1_KPS1_EviT_PT9_S7_lS9_S7_lPT10_S7_li, .Lfunc_end780-_ZL37rocblas_syrkx_herkx_restricted_kernelIi19rocblas_complex_numIfELi16ELi32ELi8ELi1ELin1ELb1ELc78ELc76EKPKS1_KPS1_EviT_PT9_S7_lS9_S7_lPT10_S7_li
                                        ; -- End function
	.section	.AMDGPU.csdata,"",@progbits
; Kernel info:
; codeLenInByte = 2224
; NumSgprs: 22
; NumVgprs: 92
; ScratchSize: 0
; MemoryBound: 0
; FloatMode: 240
; IeeeMode: 1
; LDSByteSize: 4096 bytes/workgroup (compile time only)
; SGPRBlocks: 2
; VGPRBlocks: 11
; NumSGPRsForWavesPerEU: 22
; NumVGPRsForWavesPerEU: 92
; Occupancy: 16
; WaveLimiterHint : 1
; COMPUTE_PGM_RSRC2:SCRATCH_EN: 0
; COMPUTE_PGM_RSRC2:USER_SGPR: 13
; COMPUTE_PGM_RSRC2:TRAP_HANDLER: 0
; COMPUTE_PGM_RSRC2:TGID_X_EN: 1
; COMPUTE_PGM_RSRC2:TGID_Y_EN: 1
; COMPUTE_PGM_RSRC2:TGID_Z_EN: 1
; COMPUTE_PGM_RSRC2:TIDIG_COMP_CNT: 1
	.section	.text._ZL37rocblas_syrkx_herkx_restricted_kernelIi19rocblas_complex_numIfELi16ELi32ELi8ELi1ELin1ELb1ELc84ELc85EKPKS1_KPS1_EviT_PT9_S7_lS9_S7_lPT10_S7_li,"axG",@progbits,_ZL37rocblas_syrkx_herkx_restricted_kernelIi19rocblas_complex_numIfELi16ELi32ELi8ELi1ELin1ELb1ELc84ELc85EKPKS1_KPS1_EviT_PT9_S7_lS9_S7_lPT10_S7_li,comdat
	.globl	_ZL37rocblas_syrkx_herkx_restricted_kernelIi19rocblas_complex_numIfELi16ELi32ELi8ELi1ELin1ELb1ELc84ELc85EKPKS1_KPS1_EviT_PT9_S7_lS9_S7_lPT10_S7_li ; -- Begin function _ZL37rocblas_syrkx_herkx_restricted_kernelIi19rocblas_complex_numIfELi16ELi32ELi8ELi1ELin1ELb1ELc84ELc85EKPKS1_KPS1_EviT_PT9_S7_lS9_S7_lPT10_S7_li
	.p2align	8
	.type	_ZL37rocblas_syrkx_herkx_restricted_kernelIi19rocblas_complex_numIfELi16ELi32ELi8ELi1ELin1ELb1ELc84ELc85EKPKS1_KPS1_EviT_PT9_S7_lS9_S7_lPT10_S7_li,@function
_ZL37rocblas_syrkx_herkx_restricted_kernelIi19rocblas_complex_numIfELi16ELi32ELi8ELi1ELin1ELb1ELc84ELc85EKPKS1_KPS1_EviT_PT9_S7_lS9_S7_lPT10_S7_li: ; @_ZL37rocblas_syrkx_herkx_restricted_kernelIi19rocblas_complex_numIfELi16ELi32ELi8ELi1ELin1ELb1ELc84ELc85EKPKS1_KPS1_EviT_PT9_S7_lS9_S7_lPT10_S7_li
; %bb.0:
	s_clause 0x1
	s_load_b64 s[4:5], s[0:1], 0x38
	s_load_b64 s[2:3], s[0:1], 0x0
	s_mov_b32 s6, s15
	s_mov_b32 s7, 0
	v_dual_mov_b32 v17, 0 :: v_dual_and_b32 v6, 0x3ff, v0
	s_lshl_b64 s[8:9], s[6:7], 3
	v_bfe_u32 v8, v0, 10, 10
	v_dual_mov_b32 v16, 0 :: v_dual_mov_b32 v13, 0
	v_dual_mov_b32 v12, 0 :: v_dual_mov_b32 v9, 0
	;; [unrolled: 1-line block ×3, first 2 shown]
	v_mov_b32_e32 v1, 0
	s_waitcnt lgkmcnt(0)
	s_add_u32 s4, s4, s8
	s_addc_u32 s5, s5, s9
	s_lshl_b32 s6, s13, 5
	s_load_b64 s[4:5], s[4:5], 0x0
	s_lshl_b32 s10, s14, 5
	s_cmp_lt_i32 s3, 1
	s_cbranch_scc1 .LBB781_3
; %bb.1:
	s_clause 0x3
	s_load_b64 s[12:13], s[0:1], 0x8
	s_load_b64 s[14:15], s[0:1], 0x20
	s_load_b32 s11, s[0:1], 0x10
	s_load_b32 s16, s[0:1], 0x28
	v_lshl_add_u32 v2, v8, 4, v6
	v_dual_mov_b32 v1, 0 :: v_dual_and_b32 v0, 7, v6
	v_lshlrev_b32_e32 v10, 3, v6
	v_lshl_add_u32 v11, v8, 6, 0x800
	s_delay_alu instid0(VALU_DEP_4)
	v_and_b32_e32 v14, 31, v2
	v_lshrrev_b32_e32 v9, 3, v2
	v_lshrrev_b32_e32 v2, 5, v2
	v_mov_b32_e32 v3, v1
	v_mov_b32_e32 v17, v1
	v_add_nc_u32_e32 v7, s6, v14
	v_dual_mov_b32 v16, v1 :: v_dual_add_nc_u32 v15, s10, v9
	s_waitcnt lgkmcnt(0)
	s_add_u32 s12, s12, s8
	s_addc_u32 s13, s13, s9
	s_add_u32 s8, s14, s8
	s_load_b64 s[12:13], s[12:13], 0x0
	s_addc_u32 s9, s15, s9
	v_mad_i64_i32 v[4:5], null, s11, v7, v[2:3]
	s_load_b64 s[8:9], s[8:9], 0x0
	v_lshlrev_b32_e32 v3, 3, v0
	v_mad_i64_i32 v[12:13], null, s16, v15, v[0:1]
	v_dual_mov_b32 v7, v1 :: v_dual_lshlrev_b32 v14, 3, v14
	s_delay_alu instid0(VALU_DEP_3)
	v_lshl_or_b32 v15, v9, 6, v3
	v_mov_b32_e32 v9, v1
	v_lshlrev_b64 v[3:4], 3, v[4:5]
	v_mov_b32_e32 v0, v1
	v_lshlrev_b64 v[12:13], 3, v[12:13]
	v_lshl_or_b32 v14, v2, 8, v14
	v_add_nc_u32_e32 v15, 0x800, v15
	s_waitcnt lgkmcnt(0)
	v_add_co_u32 v2, vcc_lo, v3, s12
	v_add_co_ci_u32_e32 v3, vcc_lo, s13, v4, vcc_lo
	v_add_co_u32 v4, vcc_lo, v12, s8
	v_add_co_ci_u32_e32 v5, vcc_lo, s9, v13, vcc_lo
	s_delay_alu instid0(VALU_DEP_4) | instskip(NEXT) | instid1(VALU_DEP_4)
	v_add_co_u32 v2, vcc_lo, v2, 4
	v_add_co_ci_u32_e32 v3, vcc_lo, 0, v3, vcc_lo
	s_delay_alu instid0(VALU_DEP_4) | instskip(NEXT) | instid1(VALU_DEP_4)
	v_add_co_u32 v4, vcc_lo, v4, 4
	v_add_co_ci_u32_e32 v5, vcc_lo, 0, v5, vcc_lo
	v_mov_b32_e32 v12, v1
	v_mov_b32_e32 v13, v1
.LBB781_2:                              ; =>This Inner Loop Header: Depth=1
	global_load_b64 v[18:19], v[2:3], off offset:-4
	global_load_b64 v[20:21], v[4:5], off offset:-4
	v_add_co_u32 v2, vcc_lo, v2, 64
	v_add_co_ci_u32_e32 v3, vcc_lo, 0, v3, vcc_lo
	v_add_co_u32 v4, vcc_lo, v4, 64
	v_add_co_ci_u32_e32 v5, vcc_lo, 0, v5, vcc_lo
	s_add_i32 s7, s7, 8
	s_waitcnt vmcnt(1)
	ds_store_b64 v14, v[18:19]
	s_waitcnt vmcnt(0)
	ds_store_b64 v15, v[20:21]
	s_waitcnt lgkmcnt(0)
	s_barrier
	buffer_gl0_inv
	ds_load_2addr_b64 v[18:21], v10 offset1:16
	ds_load_b128 v[22:25], v11
	ds_load_b128 v[26:29], v11 offset:1024
	ds_load_b128 v[30:33], v11 offset:16
	ds_load_2addr_b64 v[34:37], v10 offset0:32 offset1:48
	ds_load_b128 v[38:41], v11 offset:32
	ds_load_b128 v[42:45], v11 offset:48
	ds_load_2addr_b64 v[46:49], v10 offset0:64 offset1:80
	ds_load_b128 v[50:53], v11 offset:1040
	ds_load_2addr_b64 v[54:57], v10 offset0:96 offset1:112
	ds_load_2addr_b64 v[58:61], v10 offset0:128 offset1:144
	;; [unrolled: 1-line block ×4, first 2 shown]
	ds_load_b128 v[70:73], v11 offset:1056
	ds_load_b128 v[74:77], v11 offset:1072
	ds_load_2addr_b64 v[78:81], v10 offset0:224 offset1:240
	s_cmp_ge_i32 s7, s3
	s_waitcnt lgkmcnt(0)
	s_barrier
	buffer_gl0_inv
	v_dual_mul_f32 v82, v23, v19 :: v_dual_mul_f32 v85, v22, v21
	v_dual_mul_f32 v83, v22, v19 :: v_dual_mul_f32 v84, v23, v21
	v_mul_f32_e32 v86, v27, v19
	v_dual_mul_f32 v19, v26, v19 :: v_dual_mul_f32 v90, v25, v37
	v_dual_mul_f32 v87, v27, v21 :: v_dual_mul_f32 v88, v25, v35
	v_mul_f32_e32 v21, v26, v21
	v_fma_f32 v82, v22, v18, -v82
	v_fmac_f32_e32 v83, v23, v18
	v_fma_f32 v22, v22, v20, -v84
	v_fmac_f32_e32 v85, v23, v20
	v_fma_f32 v23, v26, v18, -v86
	v_dual_fmac_f32 v19, v27, v18 :: v_dual_mul_f32 v86, v30, v47
	v_fma_f32 v18, v26, v20, -v87
	v_dual_fmac_f32 v21, v27, v20 :: v_dual_mul_f32 v20, v24, v37
	v_mul_f32_e32 v89, v24, v35
	v_mul_f32_e32 v26, v29, v35
	;; [unrolled: 1-line block ×4, first 2 shown]
	v_fmac_f32_e32 v20, v25, v36
	v_fmac_f32_e32 v89, v25, v34
	v_dual_mul_f32 v25, v28, v37 :: v_dual_fmac_f32 v86, v31, v46
	v_fma_f32 v84, v24, v34, -v88
	v_fma_f32 v24, v24, v36, -v90
	v_dual_mul_f32 v37, v31, v47 :: v_dual_mul_f32 v90, v33, v57
	v_fma_f32 v26, v28, v34, -v26
	v_fma_f32 v28, v28, v36, -v35
	v_fmac_f32_e32 v25, v29, v36
	v_dual_mul_f32 v35, v50, v47 :: v_dual_mul_f32 v36, v51, v49
	v_dual_fmac_f32 v27, v29, v34 :: v_dual_mul_f32 v34, v51, v47
	v_dual_mul_f32 v88, v32, v55 :: v_dual_mul_f32 v29, v30, v49
	v_mul_f32_e32 v87, v31, v49
	v_fma_f32 v37, v30, v46, -v37
	v_add_f32_e32 v16, v16, v82
	s_delay_alu instid0(VALU_DEP_4)
	v_dual_fmac_f32 v88, v33, v54 :: v_dual_fmac_f32 v29, v31, v48
	v_fma_f32 v31, v50, v46, -v34
	v_fma_f32 v34, v50, v48, -v36
	v_mul_f32_e32 v36, v32, v57
	v_mul_f32_e32 v47, v50, v49
	v_dual_mul_f32 v50, v53, v57 :: v_dual_fmac_f32 v35, v51, v46
	v_mul_f32_e32 v46, v53, v55
	v_mul_f32_e32 v49, v33, v55
	v_fma_f32 v30, v30, v48, -v87
	v_fmac_f32_e32 v36, v33, v56
	v_dual_fmac_f32 v47, v51, v48 :: v_dual_mul_f32 v48, v52, v55
	v_mul_f32_e32 v33, v52, v57
	v_fma_f32 v46, v52, v54, -v46
	v_fma_f32 v50, v52, v56, -v50
	v_mul_f32_e32 v52, v38, v61
	v_fma_f32 v49, v32, v54, -v49
	v_fma_f32 v32, v32, v56, -v90
	v_dual_mul_f32 v51, v39, v59 :: v_dual_fmac_f32 v48, v53, v54
	v_mul_f32_e32 v54, v70, v59
	v_dual_mul_f32 v55, v38, v59 :: v_dual_fmac_f32 v52, v39, v60
	v_fmac_f32_e32 v33, v53, v56
	v_mul_f32_e32 v53, v71, v59
	v_mul_f32_e32 v56, v71, v61
	;; [unrolled: 1-line block ×3, first 2 shown]
	v_fmac_f32_e32 v54, v71, v58
	v_fmac_f32_e32 v55, v39, v58
	v_fma_f32 v39, v70, v58, -v53
	v_fma_f32 v53, v70, v60, -v56
	v_mul_f32_e32 v56, v40, v65
	v_mul_f32_e32 v59, v70, v61
	v_fma_f32 v51, v38, v58, -v51
	v_mul_f32_e32 v58, v72, v63
	v_mul_f32_e32 v87, v40, v63
	;; [unrolled: 1-line block ×4, first 2 shown]
	v_fma_f32 v38, v38, v60, -v57
	v_mul_f32_e32 v57, v73, v63
	v_fmac_f32_e32 v56, v41, v64
	v_dual_fmac_f32 v59, v71, v60 :: v_dual_mul_f32 v60, v73, v65
	v_mul_f32_e32 v63, v43, v67
	v_mul_f32_e32 v70, v43, v69
	v_fmac_f32_e32 v58, v73, v62
	v_fmac_f32_e32 v87, v41, v62
	v_mul_f32_e32 v41, v72, v65
	v_fma_f32 v61, v40, v62, -v61
	v_fma_f32 v40, v40, v64, -v90
	v_mul_f32_e32 v65, v42, v67
	v_fma_f32 v57, v72, v62, -v57
	v_fma_f32 v60, v72, v64, -v60
	v_dual_fmac_f32 v41, v73, v64 :: v_dual_mul_f32 v62, v42, v69
	v_mul_f32_e32 v64, v75, v67
	v_fma_f32 v63, v42, v66, -v63
	v_fma_f32 v42, v42, v68, -v70
	v_mul_f32_e32 v70, v76, v79
	v_mul_f32_e32 v67, v74, v67
	;; [unrolled: 1-line block ×4, first 2 shown]
	v_dual_fmac_f32 v65, v43, v66 :: v_dual_add_f32 v12, v12, v85
	v_fmac_f32_e32 v62, v43, v68
	v_fma_f32 v43, v74, v66, -v64
	v_fmac_f32_e32 v70, v77, v78
	v_dual_fmac_f32 v67, v75, v66 :: v_dual_add_f32 v16, v16, v84
	v_mul_f32_e32 v66, v44, v81
	v_dual_mul_f32 v69, v74, v69 :: v_dual_add_f32 v0, v0, v19
	v_mul_f32_e32 v72, v45, v79
	v_mul_f32_e32 v90, v45, v81
	v_fma_f32 v64, v74, v68, -v71
	v_dual_mul_f32 v71, v77, v81 :: v_dual_add_f32 v12, v12, v20
	v_dual_fmac_f32 v73, v45, v78 :: v_dual_add_f32 v16, v16, v37
	v_dual_fmac_f32 v66, v45, v80 :: v_dual_mul_f32 v45, v76, v81
	v_dual_fmac_f32 v69, v75, v68 :: v_dual_add_f32 v0, v0, v27
	s_delay_alu instid0(VALU_DEP_4) | instskip(NEXT) | instid1(VALU_DEP_3)
	v_dual_add_f32 v12, v12, v29 :: v_dual_add_f32 v17, v17, v83
	v_dual_add_f32 v16, v16, v49 :: v_dual_fmac_f32 v45, v77, v80
	s_delay_alu instid0(VALU_DEP_3) | instskip(NEXT) | instid1(VALU_DEP_3)
	v_dual_add_f32 v13, v13, v22 :: v_dual_add_f32 v0, v0, v35
	v_dual_add_f32 v9, v9, v23 :: v_dual_add_f32 v12, v12, v36
	v_add_f32_e32 v7, v7, v18
	s_delay_alu instid0(VALU_DEP_4) | instskip(NEXT) | instid1(VALU_DEP_3)
	v_dual_add_f32 v1, v1, v21 :: v_dual_add_f32 v16, v16, v51
	v_dual_add_f32 v17, v17, v89 :: v_dual_add_f32 v12, v12, v52
	v_add_f32_e32 v0, v0, v48
	v_add_f32_e32 v13, v13, v24
	s_delay_alu instid0(VALU_DEP_4) | instskip(NEXT) | instid1(VALU_DEP_4)
	v_dual_add_f32 v9, v9, v26 :: v_dual_add_f32 v16, v16, v61
	v_dual_add_f32 v1, v1, v25 :: v_dual_add_f32 v12, v12, v56
	s_delay_alu instid0(VALU_DEP_4) | instskip(SKIP_1) | instid1(VALU_DEP_4)
	v_dual_add_f32 v0, v0, v54 :: v_dual_add_f32 v7, v7, v28
	v_fma_f32 v72, v44, v78, -v72
	v_dual_add_f32 v17, v17, v86 :: v_dual_add_f32 v16, v16, v63
	s_delay_alu instid0(VALU_DEP_4) | instskip(NEXT) | instid1(VALU_DEP_4)
	v_dual_add_f32 v9, v9, v31 :: v_dual_add_f32 v12, v12, v62
	v_dual_add_f32 v1, v1, v47 :: v_dual_add_f32 v0, v0, v58
	v_add_f32_e32 v13, v13, v30
	s_delay_alu instid0(VALU_DEP_4) | instskip(NEXT) | instid1(VALU_DEP_3)
	v_dual_add_f32 v7, v7, v34 :: v_dual_add_f32 v16, v16, v72
	v_dual_add_f32 v9, v9, v46 :: v_dual_add_f32 v0, v0, v67
	v_add_f32_e32 v17, v17, v88
	s_delay_alu instid0(VALU_DEP_4) | instskip(NEXT) | instid1(VALU_DEP_4)
	v_add_f32_e32 v13, v13, v32
	v_add_f32_e32 v7, v7, v50
	v_add_f32_e32 v12, v12, v66
	v_dual_add_f32 v0, v0, v70 :: v_dual_add_f32 v1, v1, v33
	v_add_f32_e32 v17, v17, v55
	v_add_f32_e32 v13, v13, v38
	v_add_f32_e32 v9, v9, v39
	v_add_f32_e32 v7, v7, v53
	v_add_f32_e32 v1, v1, v59
	v_mul_f32_e32 v68, v77, v79
	v_add_f32_e32 v17, v17, v87
	v_add_f32_e32 v13, v13, v40
	;; [unrolled: 1-line block ×5, first 2 shown]
	v_fma_f32 v44, v44, v80, -v90
	v_fma_f32 v68, v76, v78, -v68
	;; [unrolled: 1-line block ×3, first 2 shown]
	v_add_f32_e32 v17, v17, v65
	v_add_f32_e32 v13, v13, v42
	;; [unrolled: 1-line block ×10, first 2 shown]
	s_cbranch_scc0 .LBB781_2
.LBB781_3:
	s_load_b32 s3, s[0:1], 0x40
	v_add_nc_u32_e32 v8, s10, v8
	v_add_nc_u32_e32 v2, s6, v6
	s_delay_alu instid0(VALU_DEP_2) | instskip(NEXT) | instid1(VALU_DEP_2)
	v_cmp_gt_i32_e32 vcc_lo, s2, v8
	v_cmp_le_i32_e64 s0, v2, v8
	s_delay_alu instid0(VALU_DEP_1) | instskip(SKIP_2) | instid1(VALU_DEP_1)
	s_and_b32 s0, vcc_lo, s0
	s_waitcnt lgkmcnt(0)
	v_mad_i64_i32 v[3:4], null, v8, s3, 0
	v_lshlrev_b64 v[3:4], 3, v[3:4]
	s_delay_alu instid0(VALU_DEP_1) | instskip(NEXT) | instid1(VALU_DEP_1)
	v_add_co_u32 v6, s1, s4, v3
	v_add_co_ci_u32_e64 v10, s1, s5, v4, s1
	s_and_saveexec_b32 s1, s0
	s_cbranch_execz .LBB781_6
; %bb.4:
	v_ashrrev_i32_e32 v3, 31, v2
	s_delay_alu instid0(VALU_DEP_1) | instskip(NEXT) | instid1(VALU_DEP_1)
	v_lshlrev_b64 v[3:4], 3, v[2:3]
	v_add_co_u32 v3, s0, v6, v3
	s_delay_alu instid0(VALU_DEP_1)
	v_add_co_ci_u32_e64 v4, s0, v10, v4, s0
	v_cmp_eq_u32_e64 s0, v8, v2
	global_load_b64 v[14:15], v[3:4], off
	s_waitcnt vmcnt(0)
	v_dual_sub_f32 v14, v16, v14 :: v_dual_sub_f32 v15, v17, v15
	global_store_b64 v[3:4], v[14:15], off
	s_and_b32 exec_lo, exec_lo, s0
	s_cbranch_execz .LBB781_6
; %bb.5:
	v_mov_b32_e32 v5, 0
	global_store_b32 v[3:4], v5, off offset:4
.LBB781_6:
	s_or_b32 exec_lo, exec_lo, s1
	v_add_nc_u32_e32 v4, 16, v2
	s_delay_alu instid0(VALU_DEP_1) | instskip(NEXT) | instid1(VALU_DEP_1)
	v_cmp_le_i32_e64 s0, v4, v8
	s_and_b32 s1, vcc_lo, s0
	s_delay_alu instid0(SALU_CYCLE_1)
	s_and_saveexec_b32 s0, s1
	s_cbranch_execz .LBB781_9
; %bb.7:
	v_ashrrev_i32_e32 v5, 31, v4
	s_delay_alu instid0(VALU_DEP_1) | instskip(NEXT) | instid1(VALU_DEP_1)
	v_lshlrev_b64 v[14:15], 3, v[4:5]
	v_add_co_u32 v5, vcc_lo, v6, v14
	s_delay_alu instid0(VALU_DEP_2)
	v_add_co_ci_u32_e32 v6, vcc_lo, v10, v15, vcc_lo
	v_cmp_eq_u32_e32 vcc_lo, v8, v4
	global_load_b64 v[10:11], v[5:6], off
	s_waitcnt vmcnt(0)
	v_dual_sub_f32 v10, v13, v10 :: v_dual_sub_f32 v11, v12, v11
	global_store_b64 v[5:6], v[10:11], off
	s_and_b32 exec_lo, exec_lo, vcc_lo
	s_cbranch_execz .LBB781_9
; %bb.8:
	v_mov_b32_e32 v3, 0
	global_store_b32 v[5:6], v3, off offset:4
.LBB781_9:
	s_or_b32 exec_lo, exec_lo, s0
	v_add_nc_u32_e32 v12, 16, v8
	s_delay_alu instid0(VALU_DEP_1) | instskip(SKIP_2) | instid1(VALU_DEP_1)
	v_mad_i64_i32 v[5:6], null, v12, s3, 0
	v_cmp_gt_i32_e32 vcc_lo, s2, v12
	v_cmp_le_i32_e64 s0, v2, v12
	s_and_b32 s0, vcc_lo, s0
	s_delay_alu instid0(VALU_DEP_3) | instskip(NEXT) | instid1(VALU_DEP_1)
	v_lshlrev_b64 v[5:6], 3, v[5:6]
	v_add_co_u32 v10, s1, s4, v5
	s_delay_alu instid0(VALU_DEP_1)
	v_add_co_ci_u32_e64 v11, s1, s5, v6, s1
	s_and_saveexec_b32 s1, s0
	s_cbranch_execz .LBB781_12
; %bb.10:
	v_ashrrev_i32_e32 v3, 31, v2
	s_delay_alu instid0(VALU_DEP_1) | instskip(NEXT) | instid1(VALU_DEP_1)
	v_lshlrev_b64 v[5:6], 3, v[2:3]
	v_add_co_u32 v5, s0, v10, v5
	s_delay_alu instid0(VALU_DEP_1)
	v_add_co_ci_u32_e64 v6, s0, v11, v6, s0
	v_cmp_eq_u32_e64 s0, v12, v2
	global_load_b64 v[13:14], v[5:6], off
	s_waitcnt vmcnt(0)
	v_dual_sub_f32 v13, v9, v13 :: v_dual_sub_f32 v14, v0, v14
	global_store_b64 v[5:6], v[13:14], off
	s_and_b32 exec_lo, exec_lo, s0
	s_cbranch_execz .LBB781_12
; %bb.11:
	v_mov_b32_e32 v0, 0
	global_store_b32 v[5:6], v0, off offset:4
.LBB781_12:
	s_or_b32 exec_lo, exec_lo, s1
	v_cmp_le_i32_e64 s0, v4, v12
	s_delay_alu instid0(VALU_DEP_1) | instskip(NEXT) | instid1(SALU_CYCLE_1)
	s_and_b32 s0, vcc_lo, s0
	s_and_saveexec_b32 s1, s0
	s_cbranch_execz .LBB781_15
; %bb.13:
	v_ashrrev_i32_e32 v5, 31, v4
	s_delay_alu instid0(VALU_DEP_1) | instskip(NEXT) | instid1(VALU_DEP_1)
	v_lshlrev_b64 v[3:4], 3, v[4:5]
	v_add_co_u32 v3, vcc_lo, v10, v3
	s_delay_alu instid0(VALU_DEP_2)
	v_add_co_ci_u32_e32 v4, vcc_lo, v11, v4, vcc_lo
	v_cmp_eq_u32_e32 vcc_lo, v8, v2
	global_load_b64 v[5:6], v[3:4], off
	s_waitcnt vmcnt(0)
	v_dual_sub_f32 v0, v7, v5 :: v_dual_sub_f32 v1, v1, v6
	global_store_b64 v[3:4], v[0:1], off
	s_and_b32 exec_lo, exec_lo, vcc_lo
	s_cbranch_execz .LBB781_15
; %bb.14:
	v_mov_b32_e32 v0, 0
	global_store_b32 v[3:4], v0, off offset:4
.LBB781_15:
	s_nop 0
	s_sendmsg sendmsg(MSG_DEALLOC_VGPRS)
	s_endpgm
	.section	.rodata,"a",@progbits
	.p2align	6, 0x0
	.amdhsa_kernel _ZL37rocblas_syrkx_herkx_restricted_kernelIi19rocblas_complex_numIfELi16ELi32ELi8ELi1ELin1ELb1ELc84ELc85EKPKS1_KPS1_EviT_PT9_S7_lS9_S7_lPT10_S7_li
		.amdhsa_group_segment_fixed_size 4096
		.amdhsa_private_segment_fixed_size 0
		.amdhsa_kernarg_size 84
		.amdhsa_user_sgpr_count 13
		.amdhsa_user_sgpr_dispatch_ptr 0
		.amdhsa_user_sgpr_queue_ptr 0
		.amdhsa_user_sgpr_kernarg_segment_ptr 1
		.amdhsa_user_sgpr_dispatch_id 0
		.amdhsa_user_sgpr_private_segment_size 0
		.amdhsa_wavefront_size32 1
		.amdhsa_uses_dynamic_stack 0
		.amdhsa_enable_private_segment 0
		.amdhsa_system_sgpr_workgroup_id_x 1
		.amdhsa_system_sgpr_workgroup_id_y 1
		.amdhsa_system_sgpr_workgroup_id_z 1
		.amdhsa_system_sgpr_workgroup_info 0
		.amdhsa_system_vgpr_workitem_id 1
		.amdhsa_next_free_vgpr 91
		.amdhsa_next_free_sgpr 17
		.amdhsa_reserve_vcc 1
		.amdhsa_float_round_mode_32 0
		.amdhsa_float_round_mode_16_64 0
		.amdhsa_float_denorm_mode_32 3
		.amdhsa_float_denorm_mode_16_64 3
		.amdhsa_dx10_clamp 1
		.amdhsa_ieee_mode 1
		.amdhsa_fp16_overflow 0
		.amdhsa_workgroup_processor_mode 1
		.amdhsa_memory_ordered 1
		.amdhsa_forward_progress 0
		.amdhsa_shared_vgpr_count 0
		.amdhsa_exception_fp_ieee_invalid_op 0
		.amdhsa_exception_fp_denorm_src 0
		.amdhsa_exception_fp_ieee_div_zero 0
		.amdhsa_exception_fp_ieee_overflow 0
		.amdhsa_exception_fp_ieee_underflow 0
		.amdhsa_exception_fp_ieee_inexact 0
		.amdhsa_exception_int_div_zero 0
	.end_amdhsa_kernel
	.section	.text._ZL37rocblas_syrkx_herkx_restricted_kernelIi19rocblas_complex_numIfELi16ELi32ELi8ELi1ELin1ELb1ELc84ELc85EKPKS1_KPS1_EviT_PT9_S7_lS9_S7_lPT10_S7_li,"axG",@progbits,_ZL37rocblas_syrkx_herkx_restricted_kernelIi19rocblas_complex_numIfELi16ELi32ELi8ELi1ELin1ELb1ELc84ELc85EKPKS1_KPS1_EviT_PT9_S7_lS9_S7_lPT10_S7_li,comdat
.Lfunc_end781:
	.size	_ZL37rocblas_syrkx_herkx_restricted_kernelIi19rocblas_complex_numIfELi16ELi32ELi8ELi1ELin1ELb1ELc84ELc85EKPKS1_KPS1_EviT_PT9_S7_lS9_S7_lPT10_S7_li, .Lfunc_end781-_ZL37rocblas_syrkx_herkx_restricted_kernelIi19rocblas_complex_numIfELi16ELi32ELi8ELi1ELin1ELb1ELc84ELc85EKPKS1_KPS1_EviT_PT9_S7_lS9_S7_lPT10_S7_li
                                        ; -- End function
	.section	.AMDGPU.csdata,"",@progbits
; Kernel info:
; codeLenInByte = 2164
; NumSgprs: 19
; NumVgprs: 91
; ScratchSize: 0
; MemoryBound: 0
; FloatMode: 240
; IeeeMode: 1
; LDSByteSize: 4096 bytes/workgroup (compile time only)
; SGPRBlocks: 2
; VGPRBlocks: 11
; NumSGPRsForWavesPerEU: 19
; NumVGPRsForWavesPerEU: 91
; Occupancy: 16
; WaveLimiterHint : 1
; COMPUTE_PGM_RSRC2:SCRATCH_EN: 0
; COMPUTE_PGM_RSRC2:USER_SGPR: 13
; COMPUTE_PGM_RSRC2:TRAP_HANDLER: 0
; COMPUTE_PGM_RSRC2:TGID_X_EN: 1
; COMPUTE_PGM_RSRC2:TGID_Y_EN: 1
; COMPUTE_PGM_RSRC2:TGID_Z_EN: 1
; COMPUTE_PGM_RSRC2:TIDIG_COMP_CNT: 1
	.section	.text._ZL37rocblas_syrkx_herkx_restricted_kernelIi19rocblas_complex_numIfELi16ELi32ELi8ELi1ELin1ELb1ELc67ELc85EKPKS1_KPS1_EviT_PT9_S7_lS9_S7_lPT10_S7_li,"axG",@progbits,_ZL37rocblas_syrkx_herkx_restricted_kernelIi19rocblas_complex_numIfELi16ELi32ELi8ELi1ELin1ELb1ELc67ELc85EKPKS1_KPS1_EviT_PT9_S7_lS9_S7_lPT10_S7_li,comdat
	.globl	_ZL37rocblas_syrkx_herkx_restricted_kernelIi19rocblas_complex_numIfELi16ELi32ELi8ELi1ELin1ELb1ELc67ELc85EKPKS1_KPS1_EviT_PT9_S7_lS9_S7_lPT10_S7_li ; -- Begin function _ZL37rocblas_syrkx_herkx_restricted_kernelIi19rocblas_complex_numIfELi16ELi32ELi8ELi1ELin1ELb1ELc67ELc85EKPKS1_KPS1_EviT_PT9_S7_lS9_S7_lPT10_S7_li
	.p2align	8
	.type	_ZL37rocblas_syrkx_herkx_restricted_kernelIi19rocblas_complex_numIfELi16ELi32ELi8ELi1ELin1ELb1ELc67ELc85EKPKS1_KPS1_EviT_PT9_S7_lS9_S7_lPT10_S7_li,@function
_ZL37rocblas_syrkx_herkx_restricted_kernelIi19rocblas_complex_numIfELi16ELi32ELi8ELi1ELin1ELb1ELc67ELc85EKPKS1_KPS1_EviT_PT9_S7_lS9_S7_lPT10_S7_li: ; @_ZL37rocblas_syrkx_herkx_restricted_kernelIi19rocblas_complex_numIfELi16ELi32ELi8ELi1ELin1ELb1ELc67ELc85EKPKS1_KPS1_EviT_PT9_S7_lS9_S7_lPT10_S7_li
; %bb.0:
	s_clause 0x1
	s_load_b64 s[4:5], s[0:1], 0x38
	s_load_b64 s[2:3], s[0:1], 0x0
	s_mov_b32 s6, s15
	s_mov_b32 s7, 0
	v_dual_mov_b32 v17, 0 :: v_dual_and_b32 v6, 0x3ff, v0
	s_lshl_b64 s[8:9], s[6:7], 3
	v_bfe_u32 v8, v0, 10, 10
	v_dual_mov_b32 v16, 0 :: v_dual_mov_b32 v13, 0
	v_dual_mov_b32 v12, 0 :: v_dual_mov_b32 v9, 0
	;; [unrolled: 1-line block ×3, first 2 shown]
	v_mov_b32_e32 v1, 0
	s_waitcnt lgkmcnt(0)
	s_add_u32 s4, s4, s8
	s_addc_u32 s5, s5, s9
	s_lshl_b32 s6, s13, 5
	s_load_b64 s[4:5], s[4:5], 0x0
	s_lshl_b32 s10, s14, 5
	s_cmp_lt_i32 s3, 1
	s_cbranch_scc1 .LBB782_3
; %bb.1:
	s_clause 0x3
	s_load_b64 s[12:13], s[0:1], 0x8
	s_load_b64 s[14:15], s[0:1], 0x20
	s_load_b32 s11, s[0:1], 0x10
	s_load_b32 s16, s[0:1], 0x28
	v_lshl_add_u32 v2, v8, 4, v6
	v_dual_mov_b32 v1, 0 :: v_dual_and_b32 v0, 7, v6
	v_lshlrev_b32_e32 v10, 3, v6
	v_lshl_add_u32 v11, v8, 6, 0x800
	s_delay_alu instid0(VALU_DEP_4)
	v_and_b32_e32 v14, 31, v2
	v_lshrrev_b32_e32 v9, 3, v2
	v_lshrrev_b32_e32 v2, 5, v2
	v_mov_b32_e32 v3, v1
	v_mov_b32_e32 v17, v1
	v_add_nc_u32_e32 v7, s6, v14
	v_dual_mov_b32 v16, v1 :: v_dual_add_nc_u32 v15, s10, v9
	s_waitcnt lgkmcnt(0)
	s_add_u32 s12, s12, s8
	s_addc_u32 s13, s13, s9
	s_add_u32 s8, s14, s8
	s_load_b64 s[12:13], s[12:13], 0x0
	s_addc_u32 s9, s15, s9
	v_mad_i64_i32 v[4:5], null, s11, v7, v[2:3]
	s_load_b64 s[8:9], s[8:9], 0x0
	v_lshlrev_b32_e32 v3, 3, v0
	v_mad_i64_i32 v[12:13], null, s16, v15, v[0:1]
	v_dual_mov_b32 v7, v1 :: v_dual_lshlrev_b32 v14, 3, v14
	s_delay_alu instid0(VALU_DEP_3)
	v_lshl_or_b32 v15, v9, 6, v3
	v_mov_b32_e32 v9, v1
	v_lshlrev_b64 v[3:4], 3, v[4:5]
	v_mov_b32_e32 v0, v1
	v_lshlrev_b64 v[12:13], 3, v[12:13]
	v_lshl_or_b32 v14, v2, 8, v14
	v_add_nc_u32_e32 v15, 0x800, v15
	s_waitcnt lgkmcnt(0)
	v_add_co_u32 v2, vcc_lo, v3, s12
	v_add_co_ci_u32_e32 v3, vcc_lo, s13, v4, vcc_lo
	v_add_co_u32 v4, vcc_lo, v12, s8
	v_add_co_ci_u32_e32 v5, vcc_lo, s9, v13, vcc_lo
	s_delay_alu instid0(VALU_DEP_4) | instskip(NEXT) | instid1(VALU_DEP_4)
	v_add_co_u32 v2, vcc_lo, v2, 4
	v_add_co_ci_u32_e32 v3, vcc_lo, 0, v3, vcc_lo
	s_delay_alu instid0(VALU_DEP_4) | instskip(NEXT) | instid1(VALU_DEP_4)
	v_add_co_u32 v4, vcc_lo, v4, 4
	v_add_co_ci_u32_e32 v5, vcc_lo, 0, v5, vcc_lo
	v_mov_b32_e32 v12, v1
	v_mov_b32_e32 v13, v1
.LBB782_2:                              ; =>This Inner Loop Header: Depth=1
	global_load_b64 v[18:19], v[2:3], off offset:-4
	global_load_b64 v[20:21], v[4:5], off offset:-4
	v_add_co_u32 v2, vcc_lo, v2, 64
	v_add_co_ci_u32_e32 v3, vcc_lo, 0, v3, vcc_lo
	v_add_co_u32 v4, vcc_lo, v4, 64
	v_add_co_ci_u32_e32 v5, vcc_lo, 0, v5, vcc_lo
	s_add_i32 s7, s7, 8
	s_delay_alu instid0(SALU_CYCLE_1)
	s_cmp_ge_i32 s7, s3
	s_waitcnt vmcnt(1)
	v_xor_b32_e32 v19, 0x80000000, v19
	ds_store_b64 v14, v[18:19]
	s_waitcnt vmcnt(0)
	ds_store_b64 v15, v[20:21]
	s_waitcnt lgkmcnt(0)
	s_barrier
	buffer_gl0_inv
	ds_load_2addr_b64 v[18:21], v10 offset1:16
	ds_load_b128 v[22:25], v11
	ds_load_b128 v[26:29], v11 offset:1024
	ds_load_b128 v[30:33], v11 offset:16
	ds_load_2addr_b64 v[34:37], v10 offset0:32 offset1:48
	ds_load_b128 v[38:41], v11 offset:32
	ds_load_b128 v[42:45], v11 offset:48
	ds_load_2addr_b64 v[46:49], v10 offset0:64 offset1:80
	ds_load_b128 v[50:53], v11 offset:1040
	ds_load_2addr_b64 v[54:57], v10 offset0:96 offset1:112
	ds_load_2addr_b64 v[58:61], v10 offset0:128 offset1:144
	;; [unrolled: 1-line block ×4, first 2 shown]
	ds_load_b128 v[70:73], v11 offset:1056
	ds_load_b128 v[74:77], v11 offset:1072
	ds_load_2addr_b64 v[78:81], v10 offset0:224 offset1:240
	s_waitcnt lgkmcnt(0)
	s_barrier
	buffer_gl0_inv
	v_dual_mul_f32 v82, v23, v19 :: v_dual_mul_f32 v85, v22, v21
	v_dual_mul_f32 v83, v22, v19 :: v_dual_mul_f32 v84, v23, v21
	v_mul_f32_e32 v86, v27, v19
	v_dual_mul_f32 v19, v26, v19 :: v_dual_mul_f32 v90, v25, v37
	v_dual_mul_f32 v87, v27, v21 :: v_dual_mul_f32 v88, v25, v35
	v_mul_f32_e32 v21, v26, v21
	v_fma_f32 v82, v22, v18, -v82
	v_fmac_f32_e32 v83, v23, v18
	v_fma_f32 v22, v22, v20, -v84
	v_fmac_f32_e32 v85, v23, v20
	v_fma_f32 v23, v26, v18, -v86
	v_dual_fmac_f32 v19, v27, v18 :: v_dual_mul_f32 v86, v30, v47
	v_fma_f32 v18, v26, v20, -v87
	v_dual_fmac_f32 v21, v27, v20 :: v_dual_mul_f32 v20, v24, v37
	v_mul_f32_e32 v89, v24, v35
	v_mul_f32_e32 v26, v29, v35
	v_mul_f32_e32 v27, v28, v35
	v_mul_f32_e32 v35, v29, v37
	v_fmac_f32_e32 v20, v25, v36
	v_fmac_f32_e32 v89, v25, v34
	v_dual_mul_f32 v25, v28, v37 :: v_dual_fmac_f32 v86, v31, v46
	v_fma_f32 v84, v24, v34, -v88
	v_fma_f32 v24, v24, v36, -v90
	v_dual_mul_f32 v37, v31, v47 :: v_dual_mul_f32 v90, v33, v57
	v_fma_f32 v26, v28, v34, -v26
	v_fma_f32 v28, v28, v36, -v35
	v_fmac_f32_e32 v25, v29, v36
	v_dual_mul_f32 v35, v50, v47 :: v_dual_mul_f32 v36, v51, v49
	v_dual_fmac_f32 v27, v29, v34 :: v_dual_mul_f32 v34, v51, v47
	v_dual_mul_f32 v88, v32, v55 :: v_dual_mul_f32 v29, v30, v49
	v_mul_f32_e32 v87, v31, v49
	v_fma_f32 v37, v30, v46, -v37
	v_add_f32_e32 v16, v16, v82
	s_delay_alu instid0(VALU_DEP_4)
	v_dual_fmac_f32 v88, v33, v54 :: v_dual_fmac_f32 v29, v31, v48
	v_fma_f32 v31, v50, v46, -v34
	v_fma_f32 v34, v50, v48, -v36
	v_mul_f32_e32 v36, v32, v57
	v_mul_f32_e32 v47, v50, v49
	v_dual_mul_f32 v50, v53, v57 :: v_dual_fmac_f32 v35, v51, v46
	v_mul_f32_e32 v46, v53, v55
	v_mul_f32_e32 v49, v33, v55
	v_fma_f32 v30, v30, v48, -v87
	v_fmac_f32_e32 v36, v33, v56
	v_dual_fmac_f32 v47, v51, v48 :: v_dual_mul_f32 v48, v52, v55
	v_mul_f32_e32 v33, v52, v57
	v_fma_f32 v46, v52, v54, -v46
	v_fma_f32 v50, v52, v56, -v50
	v_mul_f32_e32 v52, v38, v61
	v_fma_f32 v49, v32, v54, -v49
	v_fma_f32 v32, v32, v56, -v90
	v_dual_mul_f32 v51, v39, v59 :: v_dual_fmac_f32 v48, v53, v54
	v_mul_f32_e32 v54, v70, v59
	v_dual_mul_f32 v55, v38, v59 :: v_dual_fmac_f32 v52, v39, v60
	v_fmac_f32_e32 v33, v53, v56
	v_mul_f32_e32 v53, v71, v59
	v_mul_f32_e32 v56, v71, v61
	;; [unrolled: 1-line block ×3, first 2 shown]
	v_fmac_f32_e32 v54, v71, v58
	v_fmac_f32_e32 v55, v39, v58
	v_fma_f32 v39, v70, v58, -v53
	v_fma_f32 v53, v70, v60, -v56
	v_mul_f32_e32 v56, v40, v65
	v_mul_f32_e32 v59, v70, v61
	v_fma_f32 v51, v38, v58, -v51
	v_mul_f32_e32 v58, v72, v63
	v_mul_f32_e32 v87, v40, v63
	;; [unrolled: 1-line block ×4, first 2 shown]
	v_fma_f32 v38, v38, v60, -v57
	v_mul_f32_e32 v57, v73, v63
	v_fmac_f32_e32 v56, v41, v64
	v_dual_fmac_f32 v59, v71, v60 :: v_dual_mul_f32 v60, v73, v65
	v_mul_f32_e32 v63, v43, v67
	v_mul_f32_e32 v70, v43, v69
	v_fmac_f32_e32 v58, v73, v62
	v_fmac_f32_e32 v87, v41, v62
	v_mul_f32_e32 v41, v72, v65
	v_fma_f32 v61, v40, v62, -v61
	v_fma_f32 v40, v40, v64, -v90
	v_mul_f32_e32 v65, v42, v67
	v_fma_f32 v57, v72, v62, -v57
	v_fma_f32 v60, v72, v64, -v60
	v_dual_fmac_f32 v41, v73, v64 :: v_dual_mul_f32 v62, v42, v69
	v_mul_f32_e32 v64, v75, v67
	v_fma_f32 v63, v42, v66, -v63
	v_fma_f32 v42, v42, v68, -v70
	v_mul_f32_e32 v70, v76, v79
	v_mul_f32_e32 v67, v74, v67
	v_mul_f32_e32 v71, v75, v69
	v_mul_f32_e32 v73, v44, v79
	v_dual_fmac_f32 v65, v43, v66 :: v_dual_add_f32 v12, v12, v85
	v_fmac_f32_e32 v62, v43, v68
	v_fma_f32 v43, v74, v66, -v64
	v_fmac_f32_e32 v70, v77, v78
	v_dual_fmac_f32 v67, v75, v66 :: v_dual_add_f32 v16, v16, v84
	v_mul_f32_e32 v66, v44, v81
	v_dual_mul_f32 v69, v74, v69 :: v_dual_add_f32 v0, v0, v19
	v_mul_f32_e32 v72, v45, v79
	v_mul_f32_e32 v90, v45, v81
	v_fma_f32 v64, v74, v68, -v71
	v_dual_mul_f32 v71, v77, v81 :: v_dual_add_f32 v12, v12, v20
	v_dual_fmac_f32 v73, v45, v78 :: v_dual_add_f32 v16, v16, v37
	v_dual_fmac_f32 v66, v45, v80 :: v_dual_mul_f32 v45, v76, v81
	v_dual_fmac_f32 v69, v75, v68 :: v_dual_add_f32 v0, v0, v27
	s_delay_alu instid0(VALU_DEP_4) | instskip(NEXT) | instid1(VALU_DEP_3)
	v_dual_add_f32 v12, v12, v29 :: v_dual_add_f32 v17, v17, v83
	v_dual_add_f32 v16, v16, v49 :: v_dual_fmac_f32 v45, v77, v80
	s_delay_alu instid0(VALU_DEP_3) | instskip(NEXT) | instid1(VALU_DEP_3)
	v_dual_add_f32 v13, v13, v22 :: v_dual_add_f32 v0, v0, v35
	v_dual_add_f32 v9, v9, v23 :: v_dual_add_f32 v12, v12, v36
	v_add_f32_e32 v7, v7, v18
	s_delay_alu instid0(VALU_DEP_4) | instskip(NEXT) | instid1(VALU_DEP_3)
	v_dual_add_f32 v1, v1, v21 :: v_dual_add_f32 v16, v16, v51
	v_dual_add_f32 v17, v17, v89 :: v_dual_add_f32 v12, v12, v52
	v_add_f32_e32 v0, v0, v48
	v_add_f32_e32 v13, v13, v24
	s_delay_alu instid0(VALU_DEP_4) | instskip(NEXT) | instid1(VALU_DEP_4)
	v_dual_add_f32 v9, v9, v26 :: v_dual_add_f32 v16, v16, v61
	v_dual_add_f32 v1, v1, v25 :: v_dual_add_f32 v12, v12, v56
	s_delay_alu instid0(VALU_DEP_4) | instskip(SKIP_1) | instid1(VALU_DEP_4)
	v_dual_add_f32 v0, v0, v54 :: v_dual_add_f32 v7, v7, v28
	v_fma_f32 v72, v44, v78, -v72
	v_dual_add_f32 v17, v17, v86 :: v_dual_add_f32 v16, v16, v63
	s_delay_alu instid0(VALU_DEP_4) | instskip(NEXT) | instid1(VALU_DEP_4)
	v_dual_add_f32 v9, v9, v31 :: v_dual_add_f32 v12, v12, v62
	v_dual_add_f32 v1, v1, v47 :: v_dual_add_f32 v0, v0, v58
	v_add_f32_e32 v13, v13, v30
	s_delay_alu instid0(VALU_DEP_4) | instskip(NEXT) | instid1(VALU_DEP_3)
	v_dual_add_f32 v7, v7, v34 :: v_dual_add_f32 v16, v16, v72
	v_dual_add_f32 v9, v9, v46 :: v_dual_add_f32 v0, v0, v67
	v_add_f32_e32 v17, v17, v88
	s_delay_alu instid0(VALU_DEP_4) | instskip(NEXT) | instid1(VALU_DEP_4)
	v_add_f32_e32 v13, v13, v32
	v_add_f32_e32 v7, v7, v50
	;; [unrolled: 1-line block ×3, first 2 shown]
	v_dual_add_f32 v0, v0, v70 :: v_dual_add_f32 v1, v1, v33
	v_add_f32_e32 v17, v17, v55
	v_add_f32_e32 v13, v13, v38
	;; [unrolled: 1-line block ×5, first 2 shown]
	v_mul_f32_e32 v68, v77, v79
	v_add_f32_e32 v17, v17, v87
	v_add_f32_e32 v13, v13, v40
	;; [unrolled: 1-line block ×5, first 2 shown]
	v_fma_f32 v44, v44, v80, -v90
	v_fma_f32 v68, v76, v78, -v68
	;; [unrolled: 1-line block ×3, first 2 shown]
	v_add_f32_e32 v17, v17, v65
	v_add_f32_e32 v13, v13, v42
	;; [unrolled: 1-line block ×10, first 2 shown]
	s_cbranch_scc0 .LBB782_2
.LBB782_3:
	s_load_b32 s3, s[0:1], 0x40
	v_add_nc_u32_e32 v8, s10, v8
	v_add_nc_u32_e32 v2, s6, v6
	s_delay_alu instid0(VALU_DEP_2) | instskip(NEXT) | instid1(VALU_DEP_2)
	v_cmp_gt_i32_e32 vcc_lo, s2, v8
	v_cmp_le_i32_e64 s0, v2, v8
	s_delay_alu instid0(VALU_DEP_1) | instskip(SKIP_2) | instid1(VALU_DEP_1)
	s_and_b32 s0, vcc_lo, s0
	s_waitcnt lgkmcnt(0)
	v_mad_i64_i32 v[3:4], null, v8, s3, 0
	v_lshlrev_b64 v[3:4], 3, v[3:4]
	s_delay_alu instid0(VALU_DEP_1) | instskip(NEXT) | instid1(VALU_DEP_1)
	v_add_co_u32 v6, s1, s4, v3
	v_add_co_ci_u32_e64 v10, s1, s5, v4, s1
	s_and_saveexec_b32 s1, s0
	s_cbranch_execz .LBB782_6
; %bb.4:
	v_ashrrev_i32_e32 v3, 31, v2
	s_delay_alu instid0(VALU_DEP_1) | instskip(NEXT) | instid1(VALU_DEP_1)
	v_lshlrev_b64 v[3:4], 3, v[2:3]
	v_add_co_u32 v3, s0, v6, v3
	s_delay_alu instid0(VALU_DEP_1)
	v_add_co_ci_u32_e64 v4, s0, v10, v4, s0
	v_cmp_eq_u32_e64 s0, v8, v2
	global_load_b64 v[14:15], v[3:4], off
	s_waitcnt vmcnt(0)
	v_dual_sub_f32 v14, v16, v14 :: v_dual_sub_f32 v15, v17, v15
	global_store_b64 v[3:4], v[14:15], off
	s_and_b32 exec_lo, exec_lo, s0
	s_cbranch_execz .LBB782_6
; %bb.5:
	v_mov_b32_e32 v5, 0
	global_store_b32 v[3:4], v5, off offset:4
.LBB782_6:
	s_or_b32 exec_lo, exec_lo, s1
	v_add_nc_u32_e32 v4, 16, v2
	s_delay_alu instid0(VALU_DEP_1) | instskip(NEXT) | instid1(VALU_DEP_1)
	v_cmp_le_i32_e64 s0, v4, v8
	s_and_b32 s1, vcc_lo, s0
	s_delay_alu instid0(SALU_CYCLE_1)
	s_and_saveexec_b32 s0, s1
	s_cbranch_execz .LBB782_9
; %bb.7:
	v_ashrrev_i32_e32 v5, 31, v4
	s_delay_alu instid0(VALU_DEP_1) | instskip(NEXT) | instid1(VALU_DEP_1)
	v_lshlrev_b64 v[14:15], 3, v[4:5]
	v_add_co_u32 v5, vcc_lo, v6, v14
	s_delay_alu instid0(VALU_DEP_2)
	v_add_co_ci_u32_e32 v6, vcc_lo, v10, v15, vcc_lo
	v_cmp_eq_u32_e32 vcc_lo, v8, v4
	global_load_b64 v[10:11], v[5:6], off
	s_waitcnt vmcnt(0)
	v_dual_sub_f32 v10, v13, v10 :: v_dual_sub_f32 v11, v12, v11
	global_store_b64 v[5:6], v[10:11], off
	s_and_b32 exec_lo, exec_lo, vcc_lo
	s_cbranch_execz .LBB782_9
; %bb.8:
	v_mov_b32_e32 v3, 0
	global_store_b32 v[5:6], v3, off offset:4
.LBB782_9:
	s_or_b32 exec_lo, exec_lo, s0
	v_add_nc_u32_e32 v12, 16, v8
	s_delay_alu instid0(VALU_DEP_1) | instskip(SKIP_2) | instid1(VALU_DEP_1)
	v_mad_i64_i32 v[5:6], null, v12, s3, 0
	v_cmp_gt_i32_e32 vcc_lo, s2, v12
	v_cmp_le_i32_e64 s0, v2, v12
	s_and_b32 s0, vcc_lo, s0
	s_delay_alu instid0(VALU_DEP_3) | instskip(NEXT) | instid1(VALU_DEP_1)
	v_lshlrev_b64 v[5:6], 3, v[5:6]
	v_add_co_u32 v10, s1, s4, v5
	s_delay_alu instid0(VALU_DEP_1)
	v_add_co_ci_u32_e64 v11, s1, s5, v6, s1
	s_and_saveexec_b32 s1, s0
	s_cbranch_execz .LBB782_12
; %bb.10:
	v_ashrrev_i32_e32 v3, 31, v2
	s_delay_alu instid0(VALU_DEP_1) | instskip(NEXT) | instid1(VALU_DEP_1)
	v_lshlrev_b64 v[5:6], 3, v[2:3]
	v_add_co_u32 v5, s0, v10, v5
	s_delay_alu instid0(VALU_DEP_1)
	v_add_co_ci_u32_e64 v6, s0, v11, v6, s0
	v_cmp_eq_u32_e64 s0, v12, v2
	global_load_b64 v[13:14], v[5:6], off
	s_waitcnt vmcnt(0)
	v_dual_sub_f32 v13, v9, v13 :: v_dual_sub_f32 v14, v0, v14
	global_store_b64 v[5:6], v[13:14], off
	s_and_b32 exec_lo, exec_lo, s0
	s_cbranch_execz .LBB782_12
; %bb.11:
	v_mov_b32_e32 v0, 0
	global_store_b32 v[5:6], v0, off offset:4
.LBB782_12:
	s_or_b32 exec_lo, exec_lo, s1
	v_cmp_le_i32_e64 s0, v4, v12
	s_delay_alu instid0(VALU_DEP_1) | instskip(NEXT) | instid1(SALU_CYCLE_1)
	s_and_b32 s0, vcc_lo, s0
	s_and_saveexec_b32 s1, s0
	s_cbranch_execz .LBB782_15
; %bb.13:
	v_ashrrev_i32_e32 v5, 31, v4
	s_delay_alu instid0(VALU_DEP_1) | instskip(NEXT) | instid1(VALU_DEP_1)
	v_lshlrev_b64 v[3:4], 3, v[4:5]
	v_add_co_u32 v3, vcc_lo, v10, v3
	s_delay_alu instid0(VALU_DEP_2)
	v_add_co_ci_u32_e32 v4, vcc_lo, v11, v4, vcc_lo
	v_cmp_eq_u32_e32 vcc_lo, v8, v2
	global_load_b64 v[5:6], v[3:4], off
	s_waitcnt vmcnt(0)
	v_dual_sub_f32 v0, v7, v5 :: v_dual_sub_f32 v1, v1, v6
	global_store_b64 v[3:4], v[0:1], off
	s_and_b32 exec_lo, exec_lo, vcc_lo
	s_cbranch_execz .LBB782_15
; %bb.14:
	v_mov_b32_e32 v0, 0
	global_store_b32 v[3:4], v0, off offset:4
.LBB782_15:
	s_nop 0
	s_sendmsg sendmsg(MSG_DEALLOC_VGPRS)
	s_endpgm
	.section	.rodata,"a",@progbits
	.p2align	6, 0x0
	.amdhsa_kernel _ZL37rocblas_syrkx_herkx_restricted_kernelIi19rocblas_complex_numIfELi16ELi32ELi8ELi1ELin1ELb1ELc67ELc85EKPKS1_KPS1_EviT_PT9_S7_lS9_S7_lPT10_S7_li
		.amdhsa_group_segment_fixed_size 4096
		.amdhsa_private_segment_fixed_size 0
		.amdhsa_kernarg_size 84
		.amdhsa_user_sgpr_count 13
		.amdhsa_user_sgpr_dispatch_ptr 0
		.amdhsa_user_sgpr_queue_ptr 0
		.amdhsa_user_sgpr_kernarg_segment_ptr 1
		.amdhsa_user_sgpr_dispatch_id 0
		.amdhsa_user_sgpr_private_segment_size 0
		.amdhsa_wavefront_size32 1
		.amdhsa_uses_dynamic_stack 0
		.amdhsa_enable_private_segment 0
		.amdhsa_system_sgpr_workgroup_id_x 1
		.amdhsa_system_sgpr_workgroup_id_y 1
		.amdhsa_system_sgpr_workgroup_id_z 1
		.amdhsa_system_sgpr_workgroup_info 0
		.amdhsa_system_vgpr_workitem_id 1
		.amdhsa_next_free_vgpr 91
		.amdhsa_next_free_sgpr 17
		.amdhsa_reserve_vcc 1
		.amdhsa_float_round_mode_32 0
		.amdhsa_float_round_mode_16_64 0
		.amdhsa_float_denorm_mode_32 3
		.amdhsa_float_denorm_mode_16_64 3
		.amdhsa_dx10_clamp 1
		.amdhsa_ieee_mode 1
		.amdhsa_fp16_overflow 0
		.amdhsa_workgroup_processor_mode 1
		.amdhsa_memory_ordered 1
		.amdhsa_forward_progress 0
		.amdhsa_shared_vgpr_count 0
		.amdhsa_exception_fp_ieee_invalid_op 0
		.amdhsa_exception_fp_denorm_src 0
		.amdhsa_exception_fp_ieee_div_zero 0
		.amdhsa_exception_fp_ieee_overflow 0
		.amdhsa_exception_fp_ieee_underflow 0
		.amdhsa_exception_fp_ieee_inexact 0
		.amdhsa_exception_int_div_zero 0
	.end_amdhsa_kernel
	.section	.text._ZL37rocblas_syrkx_herkx_restricted_kernelIi19rocblas_complex_numIfELi16ELi32ELi8ELi1ELin1ELb1ELc67ELc85EKPKS1_KPS1_EviT_PT9_S7_lS9_S7_lPT10_S7_li,"axG",@progbits,_ZL37rocblas_syrkx_herkx_restricted_kernelIi19rocblas_complex_numIfELi16ELi32ELi8ELi1ELin1ELb1ELc67ELc85EKPKS1_KPS1_EviT_PT9_S7_lS9_S7_lPT10_S7_li,comdat
.Lfunc_end782:
	.size	_ZL37rocblas_syrkx_herkx_restricted_kernelIi19rocblas_complex_numIfELi16ELi32ELi8ELi1ELin1ELb1ELc67ELc85EKPKS1_KPS1_EviT_PT9_S7_lS9_S7_lPT10_S7_li, .Lfunc_end782-_ZL37rocblas_syrkx_herkx_restricted_kernelIi19rocblas_complex_numIfELi16ELi32ELi8ELi1ELin1ELb1ELc67ELc85EKPKS1_KPS1_EviT_PT9_S7_lS9_S7_lPT10_S7_li
                                        ; -- End function
	.section	.AMDGPU.csdata,"",@progbits
; Kernel info:
; codeLenInByte = 2176
; NumSgprs: 19
; NumVgprs: 91
; ScratchSize: 0
; MemoryBound: 0
; FloatMode: 240
; IeeeMode: 1
; LDSByteSize: 4096 bytes/workgroup (compile time only)
; SGPRBlocks: 2
; VGPRBlocks: 11
; NumSGPRsForWavesPerEU: 19
; NumVGPRsForWavesPerEU: 91
; Occupancy: 16
; WaveLimiterHint : 1
; COMPUTE_PGM_RSRC2:SCRATCH_EN: 0
; COMPUTE_PGM_RSRC2:USER_SGPR: 13
; COMPUTE_PGM_RSRC2:TRAP_HANDLER: 0
; COMPUTE_PGM_RSRC2:TGID_X_EN: 1
; COMPUTE_PGM_RSRC2:TGID_Y_EN: 1
; COMPUTE_PGM_RSRC2:TGID_Z_EN: 1
; COMPUTE_PGM_RSRC2:TIDIG_COMP_CNT: 1
	.section	.text._ZL37rocblas_syrkx_herkx_restricted_kernelIi19rocblas_complex_numIfELi16ELi32ELi8ELi1ELin1ELb1ELc78ELc85EKPKS1_KPS1_EviT_PT9_S7_lS9_S7_lPT10_S7_li,"axG",@progbits,_ZL37rocblas_syrkx_herkx_restricted_kernelIi19rocblas_complex_numIfELi16ELi32ELi8ELi1ELin1ELb1ELc78ELc85EKPKS1_KPS1_EviT_PT9_S7_lS9_S7_lPT10_S7_li,comdat
	.globl	_ZL37rocblas_syrkx_herkx_restricted_kernelIi19rocblas_complex_numIfELi16ELi32ELi8ELi1ELin1ELb1ELc78ELc85EKPKS1_KPS1_EviT_PT9_S7_lS9_S7_lPT10_S7_li ; -- Begin function _ZL37rocblas_syrkx_herkx_restricted_kernelIi19rocblas_complex_numIfELi16ELi32ELi8ELi1ELin1ELb1ELc78ELc85EKPKS1_KPS1_EviT_PT9_S7_lS9_S7_lPT10_S7_li
	.p2align	8
	.type	_ZL37rocblas_syrkx_herkx_restricted_kernelIi19rocblas_complex_numIfELi16ELi32ELi8ELi1ELin1ELb1ELc78ELc85EKPKS1_KPS1_EviT_PT9_S7_lS9_S7_lPT10_S7_li,@function
_ZL37rocblas_syrkx_herkx_restricted_kernelIi19rocblas_complex_numIfELi16ELi32ELi8ELi1ELin1ELb1ELc78ELc85EKPKS1_KPS1_EviT_PT9_S7_lS9_S7_lPT10_S7_li: ; @_ZL37rocblas_syrkx_herkx_restricted_kernelIi19rocblas_complex_numIfELi16ELi32ELi8ELi1ELin1ELb1ELc78ELc85EKPKS1_KPS1_EviT_PT9_S7_lS9_S7_lPT10_S7_li
; %bb.0:
	s_clause 0x1
	s_load_b64 s[4:5], s[0:1], 0x38
	s_load_b64 s[2:3], s[0:1], 0x0
	s_mov_b32 s6, s15
	s_mov_b32 s7, 0
	v_dual_mov_b32 v17, 0 :: v_dual_and_b32 v4, 0x3ff, v0
	s_lshl_b64 s[8:9], s[6:7], 3
	v_bfe_u32 v5, v0, 10, 10
	v_dual_mov_b32 v16, 0 :: v_dual_mov_b32 v11, 0
	v_dual_mov_b32 v12, 0 :: v_dual_mov_b32 v9, 0
	;; [unrolled: 1-line block ×3, first 2 shown]
	v_mov_b32_e32 v6, 0
	s_waitcnt lgkmcnt(0)
	s_add_u32 s4, s4, s8
	s_addc_u32 s5, s5, s9
	s_lshl_b32 s6, s13, 5
	s_load_b64 s[4:5], s[4:5], 0x0
	s_lshl_b32 s12, s14, 5
	s_cmp_lt_i32 s3, 1
	s_cbranch_scc1 .LBB783_3
; %bb.1:
	s_clause 0x3
	s_load_b32 s10, s[0:1], 0x10
	s_load_b32 s14, s[0:1], 0x28
	s_load_b64 s[16:17], s[0:1], 0x8
	s_load_b64 s[18:19], s[0:1], 0x20
	v_lshl_add_u32 v0, v5, 4, v4
	v_and_b32_e32 v11, 7, v4
	v_lshlrev_b32_e32 v10, 3, v4
	v_lshl_add_u32 v13, v5, 6, 0x800
	v_mov_b32_e32 v17, 0
	v_and_b32_e32 v9, 31, v0
	v_lshrrev_b32_e32 v6, 3, v0
	v_lshrrev_b32_e32 v12, 5, v0
	v_mov_b32_e32 v16, 0
	s_delay_alu instid0(VALU_DEP_4) | instskip(NEXT) | instid1(VALU_DEP_4)
	v_add_nc_u32_e32 v2, s6, v9
	v_add_nc_u32_e32 v0, s12, v6
	s_delay_alu instid0(VALU_DEP_2)
	v_ashrrev_i32_e32 v3, 31, v2
	s_waitcnt lgkmcnt(0)
	s_ashr_i32 s11, s10, 31
	s_ashr_i32 s15, s14, 31
	s_add_u32 s16, s16, s8
	s_addc_u32 s17, s17, s9
	s_add_u32 s8, s18, s8
	s_load_b64 s[16:17], s[16:17], 0x0
	s_addc_u32 s9, s19, s9
	v_ashrrev_i32_e32 v1, 31, v0
	s_load_b64 s[8:9], s[8:9], 0x0
	v_mad_i64_i32 v[7:8], null, s10, v12, v[2:3]
	s_delay_alu instid0(VALU_DEP_2) | instskip(NEXT) | instid1(VALU_DEP_2)
	v_mad_i64_i32 v[2:3], null, s14, v11, v[0:1]
	v_lshlrev_b64 v[0:1], 3, v[7:8]
	v_mov_b32_e32 v8, 0
	v_lshlrev_b32_e32 v14, 3, v11
	s_delay_alu instid0(VALU_DEP_4) | instskip(SKIP_1) | instid1(VALU_DEP_3)
	v_lshlrev_b64 v[2:3], 3, v[2:3]
	v_mov_b32_e32 v7, 0
	v_lshl_or_b32 v11, v6, 6, v14
	s_waitcnt lgkmcnt(0)
	v_add_co_u32 v0, vcc_lo, v0, s16
	v_add_co_ci_u32_e32 v1, vcc_lo, s17, v1, vcc_lo
	v_add_co_u32 v2, vcc_lo, v2, s8
	v_add_co_ci_u32_e32 v3, vcc_lo, s9, v3, vcc_lo
	v_dual_mov_b32 v6, 0 :: v_dual_lshlrev_b32 v9, 3, v9
	v_add_co_u32 v0, vcc_lo, v0, 4
	v_add_co_ci_u32_e32 v1, vcc_lo, 0, v1, vcc_lo
	v_add_co_u32 v2, vcc_lo, v2, 4
	s_delay_alu instid0(VALU_DEP_4)
	v_lshl_or_b32 v14, v12, 8, v9
	v_dual_mov_b32 v12, 0 :: v_dual_add_nc_u32 v15, 0x800, v11
	v_add_co_ci_u32_e32 v3, vcc_lo, 0, v3, vcc_lo
	v_mov_b32_e32 v9, 0
	v_mov_b32_e32 v11, 0
	s_lshl_b64 s[8:9], s[10:11], 6
	s_lshl_b64 s[10:11], s[14:15], 6
.LBB783_2:                              ; =>This Inner Loop Header: Depth=1
	global_load_b64 v[18:19], v[2:3], off offset:-4
	global_load_b64 v[20:21], v[0:1], off offset:-4
	v_add_co_u32 v0, vcc_lo, v0, s8
	v_add_co_ci_u32_e32 v1, vcc_lo, s9, v1, vcc_lo
	v_add_co_u32 v2, vcc_lo, v2, s10
	v_add_co_ci_u32_e32 v3, vcc_lo, s11, v3, vcc_lo
	s_add_i32 s7, s7, 8
	s_delay_alu instid0(SALU_CYCLE_1)
	s_cmp_ge_i32 s7, s3
	s_waitcnt vmcnt(1)
	v_xor_b32_e32 v19, 0x80000000, v19
	s_waitcnt vmcnt(0)
	ds_store_b64 v14, v[20:21]
	ds_store_b64 v15, v[18:19]
	s_waitcnt lgkmcnt(0)
	s_barrier
	buffer_gl0_inv
	ds_load_2addr_b64 v[18:21], v10 offset1:16
	ds_load_b128 v[22:25], v13
	ds_load_b128 v[26:29], v13 offset:1024
	ds_load_b128 v[30:33], v13 offset:16
	ds_load_2addr_b64 v[34:37], v10 offset0:32 offset1:48
	ds_load_b128 v[38:41], v13 offset:32
	ds_load_b128 v[42:45], v13 offset:48
	ds_load_2addr_b64 v[46:49], v10 offset0:64 offset1:80
	ds_load_b128 v[50:53], v13 offset:1040
	ds_load_2addr_b64 v[54:57], v10 offset0:96 offset1:112
	ds_load_2addr_b64 v[58:61], v10 offset0:128 offset1:144
	;; [unrolled: 1-line block ×4, first 2 shown]
	ds_load_b128 v[70:73], v13 offset:1056
	ds_load_b128 v[74:77], v13 offset:1072
	ds_load_2addr_b64 v[78:81], v10 offset0:224 offset1:240
	s_waitcnt lgkmcnt(0)
	s_barrier
	buffer_gl0_inv
	v_dual_mul_f32 v82, v23, v19 :: v_dual_mul_f32 v85, v22, v21
	v_dual_mul_f32 v83, v22, v19 :: v_dual_mul_f32 v84, v23, v21
	v_mul_f32_e32 v86, v27, v19
	v_dual_mul_f32 v19, v26, v19 :: v_dual_mul_f32 v90, v25, v37
	v_dual_mul_f32 v87, v27, v21 :: v_dual_mul_f32 v88, v25, v35
	v_mul_f32_e32 v21, v26, v21
	v_mul_f32_e32 v89, v24, v35
	;; [unrolled: 1-line block ×3, first 2 shown]
	v_fma_f32 v82, v22, v18, -v82
	v_fmac_f32_e32 v83, v23, v18
	v_fma_f32 v22, v22, v20, -v84
	v_dual_fmac_f32 v85, v23, v20 :: v_dual_mul_f32 v84, v30, v47
	v_fma_f32 v23, v26, v18, -v86
	v_fmac_f32_e32 v19, v27, v18
	v_fma_f32 v18, v26, v20, -v87
	v_dual_mul_f32 v26, v28, v35 :: v_dual_fmac_f32 v21, v27, v20
	v_mul_f32_e32 v20, v29, v35
	v_mul_f32_e32 v27, v29, v37
	v_dual_mul_f32 v35, v28, v37 :: v_dual_fmac_f32 v84, v31, v46
	v_fma_f32 v37, v24, v34, -v88
	v_fma_f32 v24, v24, v36, -v90
	v_dual_fmac_f32 v91, v25, v36 :: v_dual_mul_f32 v90, v32, v57
	v_dual_mul_f32 v86, v31, v49 :: v_dual_fmac_f32 v89, v25, v34
	v_dual_mul_f32 v25, v31, v47 :: v_dual_mul_f32 v88, v33, v57
	v_fma_f32 v20, v28, v34, -v20
	v_fmac_f32_e32 v26, v29, v34
	v_fma_f32 v27, v28, v36, -v27
	v_dual_fmac_f32 v35, v29, v36 :: v_dual_mul_f32 v28, v51, v47
	v_dual_mul_f32 v29, v50, v47 :: v_dual_mul_f32 v34, v51, v49
	v_mul_f32_e32 v36, v50, v49
	v_mul_f32_e32 v87, v30, v49
	;; [unrolled: 1-line block ×3, first 2 shown]
	v_dual_mul_f32 v49, v32, v55 :: v_dual_fmac_f32 v90, v33, v56
	v_fma_f32 v25, v30, v46, -v25
	v_fma_f32 v30, v30, v48, -v86
	;; [unrolled: 1-line block ×3, first 2 shown]
	v_fmac_f32_e32 v36, v51, v48
	v_fmac_f32_e32 v87, v31, v48
	v_fma_f32 v31, v50, v48, -v34
	v_mul_f32_e32 v34, v53, v55
	v_mul_f32_e32 v48, v53, v57
	v_dual_mul_f32 v50, v52, v57 :: v_dual_fmac_f32 v29, v51, v46
	v_mul_f32_e32 v46, v52, v55
	v_fma_f32 v47, v32, v54, -v47
	v_fmac_f32_e32 v49, v33, v54
	v_fma_f32 v32, v32, v56, -v88
	s_delay_alu instid0(VALU_DEP_4)
	v_dual_mul_f32 v33, v39, v59 :: v_dual_fmac_f32 v46, v53, v54
	v_mul_f32_e32 v51, v38, v59
	v_mul_f32_e32 v55, v39, v61
	v_fma_f32 v34, v52, v54, -v34
	v_fma_f32 v48, v52, v56, -v48
	v_fmac_f32_e32 v50, v53, v56
	v_mul_f32_e32 v52, v71, v59
	v_dual_mul_f32 v53, v70, v59 :: v_dual_mul_f32 v86, v41, v65
	v_mul_f32_e32 v54, v71, v61
	v_dual_mul_f32 v56, v70, v61 :: v_dual_mul_f32 v59, v41, v63
	v_mul_f32_e32 v57, v38, v61
	v_mul_f32_e32 v61, v40, v63
	v_dual_mul_f32 v88, v40, v65 :: v_dual_fmac_f32 v51, v39, v58
	v_fma_f32 v33, v38, v58, -v33
	v_fmac_f32_e32 v53, v71, v58
	v_fmac_f32_e32 v56, v71, v60
	s_delay_alu instid0(VALU_DEP_4)
	v_fmac_f32_e32 v88, v41, v64
	v_fmac_f32_e32 v57, v39, v60
	v_fma_f32 v39, v70, v58, -v52
	v_fma_f32 v52, v70, v60, -v54
	v_mul_f32_e32 v54, v73, v63
	v_fma_f32 v38, v38, v60, -v55
	v_mul_f32_e32 v60, v72, v65
	v_dual_mul_f32 v55, v72, v63 :: v_dual_mul_f32 v70, v42, v69
	v_mul_f32_e32 v58, v73, v65
	v_fma_f32 v59, v40, v62, -v59
	v_fmac_f32_e32 v61, v41, v62
	v_fma_f32 v40, v40, v64, -v86
	v_dual_mul_f32 v41, v43, v67 :: v_dual_fmac_f32 v60, v73, v64
	v_dual_mul_f32 v63, v42, v67 :: v_dual_mul_f32 v86, v44, v81
	v_mul_f32_e32 v65, v43, v69
	v_fma_f32 v54, v72, v62, -v54
	v_fmac_f32_e32 v55, v73, v62
	v_fma_f32 v58, v72, v64, -v58
	v_mul_f32_e32 v72, v44, v79
	v_mul_f32_e32 v62, v75, v67
	v_dual_mul_f32 v64, v74, v67 :: v_dual_mul_f32 v67, v75, v69
	v_dual_mul_f32 v69, v74, v69 :: v_dual_fmac_f32 v70, v43, v68
	s_delay_alu instid0(VALU_DEP_2)
	v_dual_mul_f32 v71, v45, v79 :: v_dual_fmac_f32 v64, v75, v66
	v_fma_f32 v41, v42, v66, -v41
	v_fmac_f32_e32 v63, v43, v66
	v_fma_f32 v42, v42, v68, -v65
	v_fma_f32 v43, v74, v66, -v62
	v_dual_fmac_f32 v69, v75, v68 :: v_dual_fmac_f32 v72, v45, v78
	v_mul_f32_e32 v66, v76, v79
	v_fma_f32 v62, v74, v68, -v67
	v_mul_f32_e32 v68, v76, v81
	v_dual_mul_f32 v73, v45, v81 :: v_dual_add_f32 v16, v16, v82
	v_dual_mul_f32 v65, v77, v79 :: v_dual_add_f32 v12, v12, v22
	;; [unrolled: 1-line block ×3, first 2 shown]
	v_dual_fmac_f32 v86, v45, v80 :: v_dual_add_f32 v11, v11, v85
	v_dual_fmac_f32 v68, v77, v80 :: v_dual_add_f32 v7, v7, v18
	v_dual_add_f32 v17, v17, v83 :: v_dual_add_f32 v6, v6, v21
	v_dual_add_f32 v9, v9, v23 :: v_dual_add_f32 v16, v16, v37
	s_delay_alu instid0(VALU_DEP_4) | instskip(NEXT) | instid1(VALU_DEP_3)
	v_dual_fmac_f32 v66, v77, v78 :: v_dual_add_f32 v11, v11, v91
	v_dual_add_f32 v17, v17, v89 :: v_dual_add_f32 v12, v12, v24
	s_delay_alu instid0(VALU_DEP_3) | instskip(NEXT) | instid1(VALU_DEP_4)
	v_dual_add_f32 v9, v9, v20 :: v_dual_add_f32 v8, v8, v26
	v_dual_add_f32 v7, v7, v27 :: v_dual_add_f32 v16, v16, v25
	s_delay_alu instid0(VALU_DEP_3) | instskip(NEXT) | instid1(VALU_DEP_4)
	v_dual_add_f32 v6, v6, v35 :: v_dual_add_f32 v17, v17, v84
	v_dual_add_f32 v12, v12, v30 :: v_dual_add_f32 v11, v11, v87
	s_delay_alu instid0(VALU_DEP_4) | instskip(NEXT) | instid1(VALU_DEP_3)
	v_dual_add_f32 v9, v9, v28 :: v_dual_add_f32 v8, v8, v29
	v_dual_add_f32 v7, v7, v31 :: v_dual_add_f32 v6, v6, v36
	s_delay_alu instid0(VALU_DEP_4) | instskip(NEXT) | instid1(VALU_DEP_4)
	v_dual_add_f32 v16, v16, v47 :: v_dual_add_f32 v17, v17, v49
	v_dual_add_f32 v12, v12, v32 :: v_dual_add_f32 v11, v11, v90
	s_delay_alu instid0(VALU_DEP_2) | instskip(NEXT) | instid1(VALU_DEP_4)
	v_dual_add_f32 v9, v9, v34 :: v_dual_add_f32 v16, v16, v33
	v_dual_add_f32 v8, v8, v46 :: v_dual_add_f32 v7, v7, v48
	s_delay_alu instid0(VALU_DEP_4) | instskip(NEXT) | instid1(VALU_DEP_4)
	v_dual_add_f32 v6, v6, v50 :: v_dual_add_f32 v17, v17, v51
	v_dual_add_f32 v12, v12, v38 :: v_dual_add_f32 v11, v11, v57
	s_delay_alu instid0(VALU_DEP_3) | instskip(NEXT) | instid1(VALU_DEP_4)
	v_dual_add_f32 v9, v9, v39 :: v_dual_add_f32 v8, v8, v53
	v_dual_add_f32 v7, v7, v52 :: v_dual_add_f32 v16, v16, v59
	s_delay_alu instid0(VALU_DEP_4) | instskip(NEXT) | instid1(VALU_DEP_3)
	v_dual_add_f32 v6, v6, v56 :: v_dual_add_f32 v17, v17, v61
	v_dual_add_f32 v12, v12, v40 :: v_dual_add_f32 v9, v9, v54
	s_delay_alu instid0(VALU_DEP_4) | instskip(NEXT) | instid1(VALU_DEP_3)
	v_dual_add_f32 v11, v11, v88 :: v_dual_add_f32 v8, v8, v55
	v_dual_add_f32 v7, v7, v58 :: v_dual_add_f32 v6, v6, v60
	v_fma_f32 v71, v44, v78, -v71
	v_fma_f32 v44, v44, v80, -v73
	;; [unrolled: 1-line block ×4, first 2 shown]
	v_dual_add_f32 v16, v16, v41 :: v_dual_add_f32 v17, v17, v63
	v_dual_add_f32 v12, v12, v42 :: v_dual_add_f32 v9, v9, v43
	;; [unrolled: 1-line block ×4, first 2 shown]
	s_delay_alu instid0(VALU_DEP_4) | instskip(NEXT) | instid1(VALU_DEP_3)
	v_dual_add_f32 v16, v16, v71 :: v_dual_add_f32 v17, v17, v72
	v_dual_add_f32 v12, v12, v44 :: v_dual_add_f32 v11, v11, v86
	s_delay_alu instid0(VALU_DEP_4) | instskip(NEXT) | instid1(VALU_DEP_4)
	v_dual_add_f32 v9, v9, v45 :: v_dual_add_f32 v8, v8, v66
	v_dual_add_f32 v7, v7, v65 :: v_dual_add_f32 v6, v6, v68
	s_cbranch_scc0 .LBB783_2
.LBB783_3:
	s_load_b32 s3, s[0:1], 0x40
	v_add_nc_u32_e32 v5, s12, v5
	v_add_nc_u32_e32 v0, s6, v4
	s_delay_alu instid0(VALU_DEP_2) | instskip(NEXT) | instid1(VALU_DEP_2)
	v_cmp_gt_i32_e32 vcc_lo, s2, v5
	v_cmp_le_i32_e64 s0, v0, v5
	s_delay_alu instid0(VALU_DEP_1) | instskip(SKIP_2) | instid1(VALU_DEP_1)
	s_and_b32 s0, vcc_lo, s0
	s_waitcnt lgkmcnt(0)
	v_mad_i64_i32 v[1:2], null, v5, s3, 0
	v_lshlrev_b64 v[1:2], 3, v[1:2]
	s_delay_alu instid0(VALU_DEP_1) | instskip(NEXT) | instid1(VALU_DEP_1)
	v_add_co_u32 v4, s1, s4, v1
	v_add_co_ci_u32_e64 v10, s1, s5, v2, s1
	s_and_saveexec_b32 s1, s0
	s_cbranch_execz .LBB783_6
; %bb.4:
	v_ashrrev_i32_e32 v1, 31, v0
	s_delay_alu instid0(VALU_DEP_1) | instskip(NEXT) | instid1(VALU_DEP_1)
	v_lshlrev_b64 v[1:2], 3, v[0:1]
	v_add_co_u32 v1, s0, v4, v1
	s_delay_alu instid0(VALU_DEP_1)
	v_add_co_ci_u32_e64 v2, s0, v10, v2, s0
	v_cmp_eq_u32_e64 s0, v5, v0
	global_load_b64 v[13:14], v[1:2], off
	s_waitcnt vmcnt(0)
	v_dual_sub_f32 v13, v16, v13 :: v_dual_sub_f32 v14, v17, v14
	global_store_b64 v[1:2], v[13:14], off
	s_and_b32 exec_lo, exec_lo, s0
	s_cbranch_execz .LBB783_6
; %bb.5:
	v_mov_b32_e32 v3, 0
	global_store_b32 v[1:2], v3, off offset:4
.LBB783_6:
	s_or_b32 exec_lo, exec_lo, s1
	v_add_nc_u32_e32 v2, 16, v0
	s_delay_alu instid0(VALU_DEP_1) | instskip(NEXT) | instid1(VALU_DEP_1)
	v_cmp_le_i32_e64 s0, v2, v5
	s_and_b32 s1, vcc_lo, s0
	s_delay_alu instid0(SALU_CYCLE_1)
	s_and_saveexec_b32 s0, s1
	s_cbranch_execz .LBB783_9
; %bb.7:
	v_ashrrev_i32_e32 v3, 31, v2
	s_delay_alu instid0(VALU_DEP_1) | instskip(NEXT) | instid1(VALU_DEP_1)
	v_lshlrev_b64 v[13:14], 3, v[2:3]
	v_add_co_u32 v3, vcc_lo, v4, v13
	s_delay_alu instid0(VALU_DEP_2)
	v_add_co_ci_u32_e32 v4, vcc_lo, v10, v14, vcc_lo
	v_cmp_eq_u32_e32 vcc_lo, v5, v2
	global_load_b64 v[13:14], v[3:4], off
	s_waitcnt vmcnt(0)
	v_dual_sub_f32 v10, v12, v13 :: v_dual_sub_f32 v11, v11, v14
	global_store_b64 v[3:4], v[10:11], off
	s_and_b32 exec_lo, exec_lo, vcc_lo
	s_cbranch_execz .LBB783_9
; %bb.8:
	v_mov_b32_e32 v1, 0
	global_store_b32 v[3:4], v1, off offset:4
.LBB783_9:
	s_or_b32 exec_lo, exec_lo, s0
	v_add_nc_u32_e32 v12, 16, v5
	s_delay_alu instid0(VALU_DEP_1) | instskip(SKIP_2) | instid1(VALU_DEP_1)
	v_mad_i64_i32 v[3:4], null, v12, s3, 0
	v_cmp_gt_i32_e32 vcc_lo, s2, v12
	v_cmp_le_i32_e64 s0, v0, v12
	s_and_b32 s0, vcc_lo, s0
	s_delay_alu instid0(VALU_DEP_3) | instskip(NEXT) | instid1(VALU_DEP_1)
	v_lshlrev_b64 v[3:4], 3, v[3:4]
	v_add_co_u32 v10, s1, s4, v3
	s_delay_alu instid0(VALU_DEP_1)
	v_add_co_ci_u32_e64 v11, s1, s5, v4, s1
	s_and_saveexec_b32 s1, s0
	s_cbranch_execz .LBB783_12
; %bb.10:
	v_ashrrev_i32_e32 v1, 31, v0
	s_delay_alu instid0(VALU_DEP_1) | instskip(NEXT) | instid1(VALU_DEP_1)
	v_lshlrev_b64 v[3:4], 3, v[0:1]
	v_add_co_u32 v3, s0, v10, v3
	s_delay_alu instid0(VALU_DEP_1)
	v_add_co_ci_u32_e64 v4, s0, v11, v4, s0
	v_cmp_eq_u32_e64 s0, v12, v0
	global_load_b64 v[13:14], v[3:4], off
	s_waitcnt vmcnt(0)
	v_dual_sub_f32 v13, v9, v13 :: v_dual_sub_f32 v14, v8, v14
	global_store_b64 v[3:4], v[13:14], off
	s_and_b32 exec_lo, exec_lo, s0
	s_cbranch_execz .LBB783_12
; %bb.11:
	v_mov_b32_e32 v1, 0
	global_store_b32 v[3:4], v1, off offset:4
.LBB783_12:
	s_or_b32 exec_lo, exec_lo, s1
	v_cmp_le_i32_e64 s0, v2, v12
	s_delay_alu instid0(VALU_DEP_1) | instskip(NEXT) | instid1(SALU_CYCLE_1)
	s_and_b32 s0, vcc_lo, s0
	s_and_saveexec_b32 s1, s0
	s_cbranch_execz .LBB783_15
; %bb.13:
	v_ashrrev_i32_e32 v3, 31, v2
	s_delay_alu instid0(VALU_DEP_1) | instskip(NEXT) | instid1(VALU_DEP_1)
	v_lshlrev_b64 v[1:2], 3, v[2:3]
	v_add_co_u32 v1, vcc_lo, v10, v1
	s_delay_alu instid0(VALU_DEP_2)
	v_add_co_ci_u32_e32 v2, vcc_lo, v11, v2, vcc_lo
	v_cmp_eq_u32_e32 vcc_lo, v5, v0
	global_load_b64 v[3:4], v[1:2], off
	s_waitcnt vmcnt(0)
	v_dual_sub_f32 v3, v7, v3 :: v_dual_sub_f32 v4, v6, v4
	global_store_b64 v[1:2], v[3:4], off
	s_and_b32 exec_lo, exec_lo, vcc_lo
	s_cbranch_execz .LBB783_15
; %bb.14:
	v_mov_b32_e32 v0, 0
	global_store_b32 v[1:2], v0, off offset:4
.LBB783_15:
	s_nop 0
	s_sendmsg sendmsg(MSG_DEALLOC_VGPRS)
	s_endpgm
	.section	.rodata,"a",@progbits
	.p2align	6, 0x0
	.amdhsa_kernel _ZL37rocblas_syrkx_herkx_restricted_kernelIi19rocblas_complex_numIfELi16ELi32ELi8ELi1ELin1ELb1ELc78ELc85EKPKS1_KPS1_EviT_PT9_S7_lS9_S7_lPT10_S7_li
		.amdhsa_group_segment_fixed_size 4096
		.amdhsa_private_segment_fixed_size 0
		.amdhsa_kernarg_size 84
		.amdhsa_user_sgpr_count 13
		.amdhsa_user_sgpr_dispatch_ptr 0
		.amdhsa_user_sgpr_queue_ptr 0
		.amdhsa_user_sgpr_kernarg_segment_ptr 1
		.amdhsa_user_sgpr_dispatch_id 0
		.amdhsa_user_sgpr_private_segment_size 0
		.amdhsa_wavefront_size32 1
		.amdhsa_uses_dynamic_stack 0
		.amdhsa_enable_private_segment 0
		.amdhsa_system_sgpr_workgroup_id_x 1
		.amdhsa_system_sgpr_workgroup_id_y 1
		.amdhsa_system_sgpr_workgroup_id_z 1
		.amdhsa_system_sgpr_workgroup_info 0
		.amdhsa_system_vgpr_workitem_id 1
		.amdhsa_next_free_vgpr 92
		.amdhsa_next_free_sgpr 20
		.amdhsa_reserve_vcc 1
		.amdhsa_float_round_mode_32 0
		.amdhsa_float_round_mode_16_64 0
		.amdhsa_float_denorm_mode_32 3
		.amdhsa_float_denorm_mode_16_64 3
		.amdhsa_dx10_clamp 1
		.amdhsa_ieee_mode 1
		.amdhsa_fp16_overflow 0
		.amdhsa_workgroup_processor_mode 1
		.amdhsa_memory_ordered 1
		.amdhsa_forward_progress 0
		.amdhsa_shared_vgpr_count 0
		.amdhsa_exception_fp_ieee_invalid_op 0
		.amdhsa_exception_fp_denorm_src 0
		.amdhsa_exception_fp_ieee_div_zero 0
		.amdhsa_exception_fp_ieee_overflow 0
		.amdhsa_exception_fp_ieee_underflow 0
		.amdhsa_exception_fp_ieee_inexact 0
		.amdhsa_exception_int_div_zero 0
	.end_amdhsa_kernel
	.section	.text._ZL37rocblas_syrkx_herkx_restricted_kernelIi19rocblas_complex_numIfELi16ELi32ELi8ELi1ELin1ELb1ELc78ELc85EKPKS1_KPS1_EviT_PT9_S7_lS9_S7_lPT10_S7_li,"axG",@progbits,_ZL37rocblas_syrkx_herkx_restricted_kernelIi19rocblas_complex_numIfELi16ELi32ELi8ELi1ELin1ELb1ELc78ELc85EKPKS1_KPS1_EviT_PT9_S7_lS9_S7_lPT10_S7_li,comdat
.Lfunc_end783:
	.size	_ZL37rocblas_syrkx_herkx_restricted_kernelIi19rocblas_complex_numIfELi16ELi32ELi8ELi1ELin1ELb1ELc78ELc85EKPKS1_KPS1_EviT_PT9_S7_lS9_S7_lPT10_S7_li, .Lfunc_end783-_ZL37rocblas_syrkx_herkx_restricted_kernelIi19rocblas_complex_numIfELi16ELi32ELi8ELi1ELin1ELb1ELc78ELc85EKPKS1_KPS1_EviT_PT9_S7_lS9_S7_lPT10_S7_li
                                        ; -- End function
	.section	.AMDGPU.csdata,"",@progbits
; Kernel info:
; codeLenInByte = 2224
; NumSgprs: 22
; NumVgprs: 92
; ScratchSize: 0
; MemoryBound: 0
; FloatMode: 240
; IeeeMode: 1
; LDSByteSize: 4096 bytes/workgroup (compile time only)
; SGPRBlocks: 2
; VGPRBlocks: 11
; NumSGPRsForWavesPerEU: 22
; NumVGPRsForWavesPerEU: 92
; Occupancy: 16
; WaveLimiterHint : 1
; COMPUTE_PGM_RSRC2:SCRATCH_EN: 0
; COMPUTE_PGM_RSRC2:USER_SGPR: 13
; COMPUTE_PGM_RSRC2:TRAP_HANDLER: 0
; COMPUTE_PGM_RSRC2:TGID_X_EN: 1
; COMPUTE_PGM_RSRC2:TGID_Y_EN: 1
; COMPUTE_PGM_RSRC2:TGID_Z_EN: 1
; COMPUTE_PGM_RSRC2:TIDIG_COMP_CNT: 1
	.section	.text._ZL37rocblas_syrkx_herkx_restricted_kernelIi19rocblas_complex_numIfELi16ELi32ELi8ELi1ELi0ELb1ELc84ELc76EKPKS1_KPS1_EviT_PT9_S7_lS9_S7_lPT10_S7_li,"axG",@progbits,_ZL37rocblas_syrkx_herkx_restricted_kernelIi19rocblas_complex_numIfELi16ELi32ELi8ELi1ELi0ELb1ELc84ELc76EKPKS1_KPS1_EviT_PT9_S7_lS9_S7_lPT10_S7_li,comdat
	.globl	_ZL37rocblas_syrkx_herkx_restricted_kernelIi19rocblas_complex_numIfELi16ELi32ELi8ELi1ELi0ELb1ELc84ELc76EKPKS1_KPS1_EviT_PT9_S7_lS9_S7_lPT10_S7_li ; -- Begin function _ZL37rocblas_syrkx_herkx_restricted_kernelIi19rocblas_complex_numIfELi16ELi32ELi8ELi1ELi0ELb1ELc84ELc76EKPKS1_KPS1_EviT_PT9_S7_lS9_S7_lPT10_S7_li
	.p2align	8
	.type	_ZL37rocblas_syrkx_herkx_restricted_kernelIi19rocblas_complex_numIfELi16ELi32ELi8ELi1ELi0ELb1ELc84ELc76EKPKS1_KPS1_EviT_PT9_S7_lS9_S7_lPT10_S7_li,@function
_ZL37rocblas_syrkx_herkx_restricted_kernelIi19rocblas_complex_numIfELi16ELi32ELi8ELi1ELi0ELb1ELc84ELc76EKPKS1_KPS1_EviT_PT9_S7_lS9_S7_lPT10_S7_li: ; @_ZL37rocblas_syrkx_herkx_restricted_kernelIi19rocblas_complex_numIfELi16ELi32ELi8ELi1ELi0ELb1ELc84ELc76EKPKS1_KPS1_EviT_PT9_S7_lS9_S7_lPT10_S7_li
; %bb.0:
	s_clause 0x1
	s_load_b64 s[2:3], s[0:1], 0x38
	s_load_b64 s[4:5], s[0:1], 0x0
	s_mov_b32 s6, s15
	s_mov_b32 s7, 0
	v_dual_mov_b32 v5, 0 :: v_dual_and_b32 v10, 0x3ff, v0
	s_lshl_b64 s[8:9], s[6:7], 3
	v_bfe_u32 v11, v0, 10, 10
	v_dual_mov_b32 v16, 0 :: v_dual_mov_b32 v3, 0
	v_dual_mov_b32 v4, 0 :: v_dual_mov_b32 v1, 0
	v_mov_b32_e32 v14, 0
	v_mov_b32_e32 v0, 0
	;; [unrolled: 1-line block ×3, first 2 shown]
	s_waitcnt lgkmcnt(0)
	s_add_u32 s2, s2, s8
	s_addc_u32 s3, s3, s9
	s_lshl_b32 s6, s13, 5
	s_load_b64 s[2:3], s[2:3], 0x0
	s_lshl_b32 s10, s14, 5
	s_cmp_lt_i32 s5, 1
	s_cbranch_scc1 .LBB784_3
; %bb.1:
	s_clause 0x3
	s_load_b64 s[12:13], s[0:1], 0x8
	s_load_b64 s[14:15], s[0:1], 0x20
	s_load_b32 s11, s[0:1], 0x10
	s_load_b32 s16, s[0:1], 0x28
	v_lshl_add_u32 v2, v11, 4, v10
	v_dual_mov_b32 v1, 0 :: v_dual_and_b32 v0, 7, v10
	v_lshlrev_b32_e32 v12, 3, v10
	v_lshl_add_u32 v13, v11, 6, 0x800
	s_delay_alu instid0(VALU_DEP_4) | instskip(SKIP_2) | instid1(VALU_DEP_3)
	v_and_b32_e32 v14, 31, v2
	v_lshrrev_b32_e32 v3, 3, v2
	v_lshrrev_b32_e32 v4, 5, v2
	v_dual_mov_b32 v5, v1 :: v_dual_add_nc_u32 v2, s6, v14
	s_delay_alu instid0(VALU_DEP_3)
	v_add_nc_u32_e32 v15, s10, v3
	s_waitcnt lgkmcnt(0)
	s_add_u32 s12, s12, s8
	s_addc_u32 s13, s13, s9
	s_add_u32 s8, s14, s8
	s_load_b64 s[12:13], s[12:13], 0x0
	s_addc_u32 s9, s15, s9
	v_mad_i64_i32 v[6:7], null, s11, v2, v[4:5]
	v_mov_b32_e32 v2, v1
	s_load_b64 s[8:9], s[8:9], 0x0
	v_lshlrev_b32_e32 v5, 3, v0
	v_mad_i64_i32 v[8:9], null, s16, v15, v[0:1]
	v_mov_b32_e32 v0, v1
	s_delay_alu instid0(VALU_DEP_3) | instskip(SKIP_3) | instid1(VALU_DEP_4)
	v_lshl_or_b32 v16, v3, 6, v5
	v_lshlrev_b64 v[5:6], 3, v[6:7]
	v_dual_mov_b32 v3, v1 :: v_dual_lshlrev_b32 v14, 3, v14
	v_lshlrev_b64 v[7:8], 3, v[8:9]
	v_dual_mov_b32 v16, v1 :: v_dual_add_nc_u32 v17, 0x800, v16
	s_delay_alu instid0(VALU_DEP_3)
	v_lshl_or_b32 v15, v4, 8, v14
	s_waitcnt lgkmcnt(0)
	v_add_co_u32 v4, vcc_lo, v5, s12
	v_add_co_ci_u32_e32 v5, vcc_lo, s13, v6, vcc_lo
	v_add_co_u32 v9, vcc_lo, v7, s8
	v_add_co_ci_u32_e32 v14, vcc_lo, s9, v8, vcc_lo
	s_delay_alu instid0(VALU_DEP_4) | instskip(NEXT) | instid1(VALU_DEP_4)
	v_add_co_u32 v6, vcc_lo, v4, 4
	v_add_co_ci_u32_e32 v7, vcc_lo, 0, v5, vcc_lo
	s_delay_alu instid0(VALU_DEP_4) | instskip(NEXT) | instid1(VALU_DEP_4)
	v_add_co_u32 v8, vcc_lo, v9, 4
	v_add_co_ci_u32_e32 v9, vcc_lo, 0, v14, vcc_lo
	v_mov_b32_e32 v14, v1
	v_mov_b32_e32 v4, v1
	;; [unrolled: 1-line block ×3, first 2 shown]
.LBB784_2:                              ; =>This Inner Loop Header: Depth=1
	global_load_b64 v[18:19], v[6:7], off offset:-4
	global_load_b64 v[20:21], v[8:9], off offset:-4
	v_add_co_u32 v6, vcc_lo, v6, 64
	v_add_co_ci_u32_e32 v7, vcc_lo, 0, v7, vcc_lo
	v_add_co_u32 v8, vcc_lo, v8, 64
	v_add_co_ci_u32_e32 v9, vcc_lo, 0, v9, vcc_lo
	s_add_i32 s7, s7, 8
	s_waitcnt vmcnt(1)
	ds_store_b64 v15, v[18:19]
	s_waitcnt vmcnt(0)
	ds_store_b64 v17, v[20:21]
	s_waitcnt lgkmcnt(0)
	s_barrier
	buffer_gl0_inv
	ds_load_2addr_b64 v[18:21], v12 offset1:16
	ds_load_b128 v[22:25], v13
	ds_load_b128 v[26:29], v13 offset:1024
	ds_load_2addr_b64 v[30:33], v12 offset0:32 offset1:48
	ds_load_b128 v[34:37], v13 offset:16
	ds_load_b128 v[38:41], v13 offset:32
	;; [unrolled: 1-line block ×3, first 2 shown]
	ds_load_2addr_b64 v[46:49], v12 offset0:64 offset1:80
	ds_load_b128 v[50:53], v13 offset:1040
	ds_load_2addr_b64 v[54:57], v12 offset0:96 offset1:112
	ds_load_2addr_b64 v[58:61], v12 offset0:128 offset1:144
	;; [unrolled: 1-line block ×4, first 2 shown]
	ds_load_b128 v[70:73], v13 offset:1056
	ds_load_b128 v[74:77], v13 offset:1072
	s_cmp_ge_i32 s7, s5
	s_waitcnt lgkmcnt(13)
	v_dual_mul_f32 v78, v23, v19 :: v_dual_mul_f32 v81, v22, v21
	s_waitcnt lgkmcnt(11)
	v_dual_mul_f32 v83, v26, v19 :: v_dual_mul_f32 v86, v25, v33
	v_mul_f32_e32 v84, v26, v21
	v_dual_mul_f32 v79, v22, v19 :: v_dual_mul_f32 v80, v23, v21
	v_mul_f32_e32 v82, v27, v19
	v_mul_f32_e32 v19, v27, v21
	;; [unrolled: 1-line block ×3, first 2 shown]
	v_dual_mul_f32 v85, v24, v31 :: v_dual_fmac_f32 v84, v27, v20
	v_fmac_f32_e32 v83, v27, v18
	v_mul_f32_e32 v27, v24, v33
	v_fma_f32 v78, v22, v18, -v78
	v_fmac_f32_e32 v79, v23, v18
	v_fmac_f32_e32 v81, v23, v20
	v_fma_f32 v23, v26, v18, -v82
	v_mul_f32_e32 v18, v29, v31
	v_fma_f32 v26, v26, v20, -v19
	v_mul_f32_e32 v31, v28, v31
	v_mul_f32_e32 v19, v29, v33
	v_fmac_f32_e32 v85, v25, v30
	v_fmac_f32_e32 v27, v25, v32
	v_mul_f32_e32 v25, v28, v33
	v_fma_f32 v22, v22, v20, -v80
	v_fma_f32 v80, v24, v30, -v21
	;; [unrolled: 1-line block ×3, first 2 shown]
	s_waitcnt lgkmcnt(7)
	v_mul_f32_e32 v20, v35, v47
	v_mul_f32_e32 v33, v34, v47
	;; [unrolled: 1-line block ×3, first 2 shown]
	v_fma_f32 v82, v28, v30, -v18
	v_fmac_f32_e32 v31, v29, v30
	v_fma_f32 v28, v28, v32, -v19
	v_fmac_f32_e32 v25, v29, v32
	s_waitcnt lgkmcnt(6)
	v_dual_mul_f32 v29, v34, v49 :: v_dual_mul_f32 v18, v51, v47
	v_dual_mul_f32 v30, v50, v47 :: v_dual_mul_f32 v19, v51, v49
	s_waitcnt lgkmcnt(5)
	v_dual_mul_f32 v32, v50, v49 :: v_dual_mul_f32 v49, v36, v55
	v_fma_f32 v87, v34, v46, -v20
	v_fmac_f32_e32 v33, v35, v46
	v_fmac_f32_e32 v29, v35, v48
	v_fma_f32 v35, v50, v46, -v18
	v_fmac_f32_e32 v30, v51, v46
	v_fma_f32 v46, v50, v48, -v19
	v_fmac_f32_e32 v32, v51, v48
	v_mul_f32_e32 v18, v53, v55
	v_fma_f32 v34, v34, v48, -v21
	v_dual_mul_f32 v48, v36, v57 :: v_dual_mul_f32 v47, v37, v55
	v_mul_f32_e32 v86, v37, v57
	v_dual_mul_f32 v50, v52, v55 :: v_dual_mul_f32 v19, v53, v57
	v_fmac_f32_e32 v49, v37, v54
	s_delay_alu instid0(VALU_DEP_4)
	v_dual_fmac_f32 v48, v37, v56 :: v_dual_mul_f32 v37, v52, v57
	v_fma_f32 v47, v36, v54, -v47
	v_fma_f32 v36, v36, v56, -v86
	s_waitcnt lgkmcnt(4)
	v_mul_f32_e32 v20, v39, v59
	v_mul_f32_e32 v51, v38, v59
	v_mul_f32_e32 v21, v39, v61
	v_fma_f32 v55, v52, v54, -v18
	v_fmac_f32_e32 v50, v53, v54
	v_fmac_f32_e32 v37, v53, v56
	s_waitcnt lgkmcnt(1)
	v_dual_mul_f32 v53, v38, v61 :: v_dual_mul_f32 v18, v71, v59
	v_fma_f32 v52, v52, v56, -v19
	v_dual_mul_f32 v54, v70, v59 :: v_dual_mul_f32 v19, v71, v61
	v_dual_mul_f32 v56, v70, v61 :: v_dual_mul_f32 v59, v40, v63
	v_fma_f32 v86, v38, v58, -v20
	v_fmac_f32_e32 v51, v39, v58
	v_fma_f32 v38, v38, v60, -v21
	v_dual_fmac_f32 v53, v39, v60 :: v_dual_add_f32 v4, v4, v22
	v_fma_f32 v39, v70, v58, -v18
	v_fmac_f32_e32 v54, v71, v58
	v_fma_f32 v58, v70, v60, -v19
	v_fmac_f32_e32 v56, v71, v60
	v_dual_mul_f32 v60, v40, v65 :: v_dual_mul_f32 v57, v41, v63
	v_dual_mul_f32 v61, v41, v65 :: v_dual_add_f32 v16, v16, v79
	v_mul_f32_e32 v18, v73, v63
	v_dual_mul_f32 v63, v72, v63 :: v_dual_add_f32 v14, v14, v81
	v_dual_mul_f32 v19, v73, v65 :: v_dual_add_f32 v0, v0, v83
	s_delay_alu instid0(VALU_DEP_4)
	v_dual_fmac_f32 v59, v41, v62 :: v_dual_add_f32 v16, v16, v85
	v_dual_fmac_f32 v60, v41, v64 :: v_dual_mul_f32 v41, v72, v65
	v_add_f32_e32 v2, v2, v26
	v_fma_f32 v57, v40, v62, -v57
	v_fma_f32 v40, v40, v64, -v61
	v_mul_f32_e32 v20, v43, v67
	v_dual_mul_f32 v61, v42, v67 :: v_dual_add_f32 v4, v4, v24
	v_dual_mul_f32 v21, v43, v69 :: v_dual_add_f32 v14, v14, v27
	v_fma_f32 v65, v72, v62, -v18
	v_dual_fmac_f32 v63, v73, v62 :: v_dual_add_f32 v0, v0, v31
	v_fma_f32 v62, v72, v64, -v19
	v_dual_fmac_f32 v41, v73, v64 :: v_dual_add_f32 v16, v16, v33
	v_mul_f32_e32 v64, v42, v69
	s_waitcnt lgkmcnt(0)
	v_mul_f32_e32 v18, v75, v67
	v_dual_mul_f32 v67, v74, v67 :: v_dual_add_f32 v4, v4, v34
	v_dual_mul_f32 v19, v75, v69 :: v_dual_add_f32 v2, v2, v28
	v_fma_f32 v70, v42, v66, -v20
	v_dual_fmac_f32 v61, v43, v66 :: v_dual_add_f32 v14, v14, v29
	v_fma_f32 v42, v42, v68, -v21
	v_fmac_f32_e32 v64, v43, v68
	v_fma_f32 v43, v74, v66, -v18
	v_dual_fmac_f32 v67, v75, v66 :: v_dual_add_f32 v16, v16, v49
	v_fma_f32 v66, v74, v68, -v19
	ds_load_2addr_b64 v[18:21], v12 offset0:224 offset1:240
	v_dual_mul_f32 v69, v74, v69 :: v_dual_add_f32 v0, v0, v30
	v_add_f32_e32 v2, v2, v46
	v_add_f32_e32 v14, v14, v48
	;; [unrolled: 1-line block ×3, first 2 shown]
	s_delay_alu instid0(VALU_DEP_4) | instskip(NEXT) | instid1(VALU_DEP_4)
	v_dual_fmac_f32 v69, v75, v68 :: v_dual_add_f32 v0, v0, v50
	v_dual_add_f32 v3, v3, v23 :: v_dual_add_f32 v2, v2, v52
	s_delay_alu instid0(VALU_DEP_3) | instskip(SKIP_1) | instid1(VALU_DEP_4)
	v_add_f32_e32 v4, v4, v38
	v_add_f32_e32 v14, v14, v53
	v_dual_add_f32 v0, v0, v54 :: v_dual_add_f32 v1, v1, v84
	s_delay_alu instid0(VALU_DEP_3) | instskip(SKIP_1) | instid1(VALU_DEP_3)
	v_dual_add_f32 v3, v3, v82 :: v_dual_add_f32 v4, v4, v40
	v_add_f32_e32 v2, v2, v58
	v_dual_add_f32 v0, v0, v63 :: v_dual_add_f32 v1, v1, v25
	v_add_f32_e32 v14, v14, v60
	s_waitcnt lgkmcnt(0)
	v_mul_f32_e32 v68, v45, v19
	v_dual_mul_f32 v72, v45, v21 :: v_dual_mul_f32 v71, v44, v19
	v_dual_add_f32 v3, v3, v35 :: v_dual_add_f32 v4, v4, v42
	s_delay_alu instid0(VALU_DEP_3) | instskip(NEXT) | instid1(VALU_DEP_3)
	v_fma_f32 v68, v44, v18, -v68
	v_fma_f32 v72, v44, v20, -v72
	s_delay_alu instid0(VALU_DEP_4) | instskip(SKIP_1) | instid1(VALU_DEP_2)
	v_dual_mul_f32 v44, v44, v21 :: v_dual_fmac_f32 v71, v45, v18
	v_dual_mul_f32 v73, v77, v21 :: v_dual_add_f32 v16, v16, v51
	v_dual_mul_f32 v21, v76, v21 :: v_dual_fmac_f32 v44, v45, v20
	v_mul_f32_e32 v45, v77, v19
	v_mul_f32_e32 v19, v76, v19
	s_delay_alu instid0(VALU_DEP_4) | instskip(NEXT) | instid1(VALU_DEP_4)
	v_dual_add_f32 v5, v5, v78 :: v_dual_add_f32 v16, v16, v59
	v_fmac_f32_e32 v21, v77, v20
	v_dual_add_f32 v1, v1, v32 :: v_dual_add_f32 v0, v0, v67
	s_delay_alu instid0(VALU_DEP_4) | instskip(NEXT) | instid1(VALU_DEP_4)
	v_fmac_f32_e32 v19, v77, v18
	v_dual_add_f32 v5, v5, v80 :: v_dual_add_f32 v2, v2, v62
	v_dual_add_f32 v3, v3, v55 :: v_dual_add_f32 v16, v16, v61
	s_delay_alu instid0(VALU_DEP_4) | instskip(NEXT) | instid1(VALU_DEP_3)
	v_add_f32_e32 v1, v1, v37
	v_dual_add_f32 v5, v5, v87 :: v_dual_add_f32 v14, v14, v64
	s_delay_alu instid0(VALU_DEP_3) | instskip(NEXT) | instid1(VALU_DEP_4)
	v_dual_add_f32 v2, v2, v66 :: v_dual_add_f32 v3, v3, v39
	v_add_f32_e32 v16, v16, v71
	s_delay_alu instid0(VALU_DEP_3) | instskip(SKIP_3) | instid1(VALU_DEP_4)
	v_add_f32_e32 v5, v5, v47
	v_dual_add_f32 v1, v1, v56 :: v_dual_add_f32 v0, v0, v19
	v_fma_f32 v45, v76, v18, -v45
	v_fma_f32 v18, v76, v20, -v73
	v_dual_add_f32 v5, v5, v86 :: v_dual_add_f32 v4, v4, v72
	s_delay_alu instid0(VALU_DEP_4) | instskip(SKIP_1) | instid1(VALU_DEP_3)
	v_dual_add_f32 v1, v1, v41 :: v_dual_add_f32 v14, v14, v44
	v_add_f32_e32 v3, v3, v65
	v_dual_add_f32 v5, v5, v57 :: v_dual_add_f32 v2, v2, v18
	s_delay_alu instid0(VALU_DEP_3) | instskip(NEXT) | instid1(VALU_DEP_3)
	v_add_f32_e32 v1, v1, v69
	v_add_f32_e32 v3, v3, v43
	s_delay_alu instid0(VALU_DEP_3) | instskip(SKIP_1) | instid1(VALU_DEP_3)
	v_add_f32_e32 v5, v5, v70
	s_barrier
	v_add_f32_e32 v1, v1, v21
	buffer_gl0_inv
	v_add_f32_e32 v3, v3, v45
	v_add_f32_e32 v5, v5, v68
	s_cbranch_scc0 .LBB784_2
.LBB784_3:
	s_load_b32 s5, s[0:1], 0x40
	v_add_nc_u32_e32 v11, s10, v11
	v_add_nc_u32_e32 v7, s6, v10
	s_delay_alu instid0(VALU_DEP_1) | instskip(SKIP_1) | instid1(VALU_DEP_2)
	v_cmp_le_i32_e64 s0, v11, v7
	v_cmp_gt_i32_e32 vcc_lo, s4, v7
	s_and_b32 s0, s0, vcc_lo
	s_waitcnt lgkmcnt(0)
	v_mad_i64_i32 v[8:9], null, v11, s5, 0
	s_delay_alu instid0(VALU_DEP_1) | instskip(NEXT) | instid1(VALU_DEP_1)
	v_lshlrev_b64 v[8:9], 3, v[8:9]
	v_add_co_u32 v12, s1, s2, v8
	s_delay_alu instid0(VALU_DEP_1)
	v_add_co_ci_u32_e64 v13, s1, s3, v9, s1
	s_and_saveexec_b32 s1, s0
	s_cbranch_execz .LBB784_5
; %bb.4:
	v_ashrrev_i32_e32 v8, 31, v7
	s_delay_alu instid0(VALU_DEP_1) | instskip(NEXT) | instid1(VALU_DEP_1)
	v_lshlrev_b64 v[8:9], 3, v[7:8]
	v_add_co_u32 v8, s0, v12, v8
	s_delay_alu instid0(VALU_DEP_1) | instskip(SKIP_1) | instid1(VALU_DEP_1)
	v_add_co_ci_u32_e64 v9, s0, v13, v9, s0
	v_cmp_ne_u32_e64 s0, v11, v7
	v_cndmask_b32_e64 v6, 0, v16, s0
	global_store_b64 v[8:9], v[5:6], off
.LBB784_5:
	s_or_b32 exec_lo, exec_lo, s1
	v_add_nc_u32_e32 v9, 16, v7
	s_delay_alu instid0(VALU_DEP_1) | instskip(SKIP_1) | instid1(VALU_DEP_1)
	v_cmp_le_i32_e64 s1, v11, v9
	v_cmp_gt_i32_e64 s0, s4, v9
	s_and_b32 s1, s1, s0
	s_delay_alu instid0(SALU_CYCLE_1)
	s_and_saveexec_b32 s4, s1
	s_cbranch_execz .LBB784_7
; %bb.6:
	v_ashrrev_i32_e32 v10, 31, v9
	s_delay_alu instid0(VALU_DEP_1) | instskip(NEXT) | instid1(VALU_DEP_1)
	v_lshlrev_b64 v[5:6], 3, v[9:10]
	v_add_co_u32 v12, s1, v12, v5
	s_delay_alu instid0(VALU_DEP_1) | instskip(SKIP_1) | instid1(VALU_DEP_1)
	v_add_co_ci_u32_e64 v13, s1, v13, v6, s1
	v_cmp_ne_u32_e64 s1, v11, v9
	v_cndmask_b32_e64 v5, 0, v14, s1
	global_store_b64 v[12:13], v[4:5], off
.LBB784_7:
	s_or_b32 exec_lo, exec_lo, s4
	v_add_nc_u32_e32 v10, 16, v11
	s_delay_alu instid0(VALU_DEP_1) | instskip(SKIP_1) | instid1(VALU_DEP_2)
	v_mad_i64_i32 v[4:5], null, v10, s5, 0
	v_cmp_le_i32_e64 s1, v10, v7
	v_lshlrev_b64 v[5:6], 3, v[4:5]
	s_delay_alu instid0(VALU_DEP_1) | instskip(NEXT) | instid1(VALU_DEP_1)
	v_add_co_u32 v5, s2, s2, v5
	v_add_co_ci_u32_e64 v6, s2, s3, v6, s2
	s_delay_alu instid0(VALU_DEP_4) | instskip(NEXT) | instid1(SALU_CYCLE_1)
	s_and_b32 s2, s1, vcc_lo
	s_and_saveexec_b32 s1, s2
	s_cbranch_execz .LBB784_9
; %bb.8:
	v_ashrrev_i32_e32 v8, 31, v7
	s_delay_alu instid0(VALU_DEP_1) | instskip(NEXT) | instid1(VALU_DEP_1)
	v_lshlrev_b64 v[12:13], 3, v[7:8]
	v_add_co_u32 v12, vcc_lo, v5, v12
	s_delay_alu instid0(VALU_DEP_2)
	v_add_co_ci_u32_e32 v13, vcc_lo, v6, v13, vcc_lo
	v_cmp_ne_u32_e32 vcc_lo, v10, v7
	v_cndmask_b32_e32 v4, 0, v0, vcc_lo
	global_store_b64 v[12:13], v[3:4], off
.LBB784_9:
	s_or_b32 exec_lo, exec_lo, s1
	v_cmp_le_i32_e32 vcc_lo, v10, v9
	s_and_b32 s0, vcc_lo, s0
	s_delay_alu instid0(SALU_CYCLE_1)
	s_and_saveexec_b32 s1, s0
	s_cbranch_execz .LBB784_11
; %bb.10:
	v_ashrrev_i32_e32 v10, 31, v9
	s_delay_alu instid0(VALU_DEP_1) | instskip(NEXT) | instid1(VALU_DEP_1)
	v_lshlrev_b64 v[3:4], 3, v[9:10]
	v_add_co_u32 v5, vcc_lo, v5, v3
	s_delay_alu instid0(VALU_DEP_2)
	v_add_co_ci_u32_e32 v6, vcc_lo, v6, v4, vcc_lo
	v_cmp_ne_u32_e32 vcc_lo, v11, v7
	v_cndmask_b32_e32 v3, 0, v1, vcc_lo
	global_store_b64 v[5:6], v[2:3], off
.LBB784_11:
	s_nop 0
	s_sendmsg sendmsg(MSG_DEALLOC_VGPRS)
	s_endpgm
	.section	.rodata,"a",@progbits
	.p2align	6, 0x0
	.amdhsa_kernel _ZL37rocblas_syrkx_herkx_restricted_kernelIi19rocblas_complex_numIfELi16ELi32ELi8ELi1ELi0ELb1ELc84ELc76EKPKS1_KPS1_EviT_PT9_S7_lS9_S7_lPT10_S7_li
		.amdhsa_group_segment_fixed_size 4096
		.amdhsa_private_segment_fixed_size 0
		.amdhsa_kernarg_size 84
		.amdhsa_user_sgpr_count 13
		.amdhsa_user_sgpr_dispatch_ptr 0
		.amdhsa_user_sgpr_queue_ptr 0
		.amdhsa_user_sgpr_kernarg_segment_ptr 1
		.amdhsa_user_sgpr_dispatch_id 0
		.amdhsa_user_sgpr_private_segment_size 0
		.amdhsa_wavefront_size32 1
		.amdhsa_uses_dynamic_stack 0
		.amdhsa_enable_private_segment 0
		.amdhsa_system_sgpr_workgroup_id_x 1
		.amdhsa_system_sgpr_workgroup_id_y 1
		.amdhsa_system_sgpr_workgroup_id_z 1
		.amdhsa_system_sgpr_workgroup_info 0
		.amdhsa_system_vgpr_workitem_id 1
		.amdhsa_next_free_vgpr 88
		.amdhsa_next_free_sgpr 17
		.amdhsa_reserve_vcc 1
		.amdhsa_float_round_mode_32 0
		.amdhsa_float_round_mode_16_64 0
		.amdhsa_float_denorm_mode_32 3
		.amdhsa_float_denorm_mode_16_64 3
		.amdhsa_dx10_clamp 1
		.amdhsa_ieee_mode 1
		.amdhsa_fp16_overflow 0
		.amdhsa_workgroup_processor_mode 1
		.amdhsa_memory_ordered 1
		.amdhsa_forward_progress 0
		.amdhsa_shared_vgpr_count 0
		.amdhsa_exception_fp_ieee_invalid_op 0
		.amdhsa_exception_fp_denorm_src 0
		.amdhsa_exception_fp_ieee_div_zero 0
		.amdhsa_exception_fp_ieee_overflow 0
		.amdhsa_exception_fp_ieee_underflow 0
		.amdhsa_exception_fp_ieee_inexact 0
		.amdhsa_exception_int_div_zero 0
	.end_amdhsa_kernel
	.section	.text._ZL37rocblas_syrkx_herkx_restricted_kernelIi19rocblas_complex_numIfELi16ELi32ELi8ELi1ELi0ELb1ELc84ELc76EKPKS1_KPS1_EviT_PT9_S7_lS9_S7_lPT10_S7_li,"axG",@progbits,_ZL37rocblas_syrkx_herkx_restricted_kernelIi19rocblas_complex_numIfELi16ELi32ELi8ELi1ELi0ELb1ELc84ELc76EKPKS1_KPS1_EviT_PT9_S7_lS9_S7_lPT10_S7_li,comdat
.Lfunc_end784:
	.size	_ZL37rocblas_syrkx_herkx_restricted_kernelIi19rocblas_complex_numIfELi16ELi32ELi8ELi1ELi0ELb1ELc84ELc76EKPKS1_KPS1_EviT_PT9_S7_lS9_S7_lPT10_S7_li, .Lfunc_end784-_ZL37rocblas_syrkx_herkx_restricted_kernelIi19rocblas_complex_numIfELi16ELi32ELi8ELi1ELi0ELb1ELc84ELc76EKPKS1_KPS1_EviT_PT9_S7_lS9_S7_lPT10_S7_li
                                        ; -- End function
	.section	.AMDGPU.csdata,"",@progbits
; Kernel info:
; codeLenInByte = 2092
; NumSgprs: 19
; NumVgprs: 88
; ScratchSize: 0
; MemoryBound: 0
; FloatMode: 240
; IeeeMode: 1
; LDSByteSize: 4096 bytes/workgroup (compile time only)
; SGPRBlocks: 2
; VGPRBlocks: 10
; NumSGPRsForWavesPerEU: 19
; NumVGPRsForWavesPerEU: 88
; Occupancy: 16
; WaveLimiterHint : 1
; COMPUTE_PGM_RSRC2:SCRATCH_EN: 0
; COMPUTE_PGM_RSRC2:USER_SGPR: 13
; COMPUTE_PGM_RSRC2:TRAP_HANDLER: 0
; COMPUTE_PGM_RSRC2:TGID_X_EN: 1
; COMPUTE_PGM_RSRC2:TGID_Y_EN: 1
; COMPUTE_PGM_RSRC2:TGID_Z_EN: 1
; COMPUTE_PGM_RSRC2:TIDIG_COMP_CNT: 1
	.section	.text._ZL37rocblas_syrkx_herkx_restricted_kernelIi19rocblas_complex_numIfELi16ELi32ELi8ELi1ELi0ELb1ELc67ELc76EKPKS1_KPS1_EviT_PT9_S7_lS9_S7_lPT10_S7_li,"axG",@progbits,_ZL37rocblas_syrkx_herkx_restricted_kernelIi19rocblas_complex_numIfELi16ELi32ELi8ELi1ELi0ELb1ELc67ELc76EKPKS1_KPS1_EviT_PT9_S7_lS9_S7_lPT10_S7_li,comdat
	.globl	_ZL37rocblas_syrkx_herkx_restricted_kernelIi19rocblas_complex_numIfELi16ELi32ELi8ELi1ELi0ELb1ELc67ELc76EKPKS1_KPS1_EviT_PT9_S7_lS9_S7_lPT10_S7_li ; -- Begin function _ZL37rocblas_syrkx_herkx_restricted_kernelIi19rocblas_complex_numIfELi16ELi32ELi8ELi1ELi0ELb1ELc67ELc76EKPKS1_KPS1_EviT_PT9_S7_lS9_S7_lPT10_S7_li
	.p2align	8
	.type	_ZL37rocblas_syrkx_herkx_restricted_kernelIi19rocblas_complex_numIfELi16ELi32ELi8ELi1ELi0ELb1ELc67ELc76EKPKS1_KPS1_EviT_PT9_S7_lS9_S7_lPT10_S7_li,@function
_ZL37rocblas_syrkx_herkx_restricted_kernelIi19rocblas_complex_numIfELi16ELi32ELi8ELi1ELi0ELb1ELc67ELc76EKPKS1_KPS1_EviT_PT9_S7_lS9_S7_lPT10_S7_li: ; @_ZL37rocblas_syrkx_herkx_restricted_kernelIi19rocblas_complex_numIfELi16ELi32ELi8ELi1ELi0ELb1ELc67ELc76EKPKS1_KPS1_EviT_PT9_S7_lS9_S7_lPT10_S7_li
; %bb.0:
	s_clause 0x1
	s_load_b64 s[2:3], s[0:1], 0x38
	s_load_b64 s[4:5], s[0:1], 0x0
	s_mov_b32 s6, s15
	s_mov_b32 s7, 0
	v_dual_mov_b32 v5, 0 :: v_dual_and_b32 v10, 0x3ff, v0
	s_lshl_b64 s[8:9], s[6:7], 3
	v_bfe_u32 v11, v0, 10, 10
	v_dual_mov_b32 v16, 0 :: v_dual_mov_b32 v3, 0
	v_dual_mov_b32 v4, 0 :: v_dual_mov_b32 v1, 0
	v_mov_b32_e32 v14, 0
	v_mov_b32_e32 v0, 0
	;; [unrolled: 1-line block ×3, first 2 shown]
	s_waitcnt lgkmcnt(0)
	s_add_u32 s2, s2, s8
	s_addc_u32 s3, s3, s9
	s_lshl_b32 s6, s13, 5
	s_load_b64 s[2:3], s[2:3], 0x0
	s_lshl_b32 s10, s14, 5
	s_cmp_lt_i32 s5, 1
	s_cbranch_scc1 .LBB785_3
; %bb.1:
	s_clause 0x3
	s_load_b64 s[12:13], s[0:1], 0x8
	s_load_b64 s[14:15], s[0:1], 0x20
	s_load_b32 s11, s[0:1], 0x10
	s_load_b32 s16, s[0:1], 0x28
	v_lshl_add_u32 v2, v11, 4, v10
	v_dual_mov_b32 v1, 0 :: v_dual_and_b32 v0, 7, v10
	v_lshlrev_b32_e32 v12, 3, v10
	v_lshl_add_u32 v13, v11, 6, 0x800
	s_delay_alu instid0(VALU_DEP_4) | instskip(SKIP_2) | instid1(VALU_DEP_3)
	v_and_b32_e32 v14, 31, v2
	v_lshrrev_b32_e32 v3, 3, v2
	v_lshrrev_b32_e32 v4, 5, v2
	v_dual_mov_b32 v5, v1 :: v_dual_add_nc_u32 v2, s6, v14
	s_delay_alu instid0(VALU_DEP_3)
	v_add_nc_u32_e32 v15, s10, v3
	s_waitcnt lgkmcnt(0)
	s_add_u32 s12, s12, s8
	s_addc_u32 s13, s13, s9
	s_add_u32 s8, s14, s8
	s_load_b64 s[12:13], s[12:13], 0x0
	s_addc_u32 s9, s15, s9
	v_mad_i64_i32 v[6:7], null, s11, v2, v[4:5]
	v_mov_b32_e32 v2, v1
	s_load_b64 s[8:9], s[8:9], 0x0
	v_lshlrev_b32_e32 v5, 3, v0
	v_mad_i64_i32 v[8:9], null, s16, v15, v[0:1]
	v_mov_b32_e32 v0, v1
	s_delay_alu instid0(VALU_DEP_3) | instskip(SKIP_3) | instid1(VALU_DEP_4)
	v_lshl_or_b32 v16, v3, 6, v5
	v_lshlrev_b64 v[5:6], 3, v[6:7]
	v_dual_mov_b32 v3, v1 :: v_dual_lshlrev_b32 v14, 3, v14
	v_lshlrev_b64 v[7:8], 3, v[8:9]
	v_dual_mov_b32 v16, v1 :: v_dual_add_nc_u32 v17, 0x800, v16
	s_delay_alu instid0(VALU_DEP_3)
	v_lshl_or_b32 v15, v4, 8, v14
	s_waitcnt lgkmcnt(0)
	v_add_co_u32 v4, vcc_lo, v5, s12
	v_add_co_ci_u32_e32 v5, vcc_lo, s13, v6, vcc_lo
	v_add_co_u32 v9, vcc_lo, v7, s8
	v_add_co_ci_u32_e32 v14, vcc_lo, s9, v8, vcc_lo
	s_delay_alu instid0(VALU_DEP_4) | instskip(NEXT) | instid1(VALU_DEP_4)
	v_add_co_u32 v6, vcc_lo, v4, 4
	v_add_co_ci_u32_e32 v7, vcc_lo, 0, v5, vcc_lo
	s_delay_alu instid0(VALU_DEP_4) | instskip(NEXT) | instid1(VALU_DEP_4)
	v_add_co_u32 v8, vcc_lo, v9, 4
	v_add_co_ci_u32_e32 v9, vcc_lo, 0, v14, vcc_lo
	v_mov_b32_e32 v14, v1
	v_mov_b32_e32 v4, v1
	;; [unrolled: 1-line block ×3, first 2 shown]
.LBB785_2:                              ; =>This Inner Loop Header: Depth=1
	global_load_b64 v[18:19], v[6:7], off offset:-4
	global_load_b64 v[20:21], v[8:9], off offset:-4
	v_add_co_u32 v6, vcc_lo, v6, 64
	v_add_co_ci_u32_e32 v7, vcc_lo, 0, v7, vcc_lo
	v_add_co_u32 v8, vcc_lo, v8, 64
	v_add_co_ci_u32_e32 v9, vcc_lo, 0, v9, vcc_lo
	s_add_i32 s7, s7, 8
	s_delay_alu instid0(SALU_CYCLE_1)
	s_cmp_ge_i32 s7, s5
	s_waitcnt vmcnt(1)
	v_xor_b32_e32 v19, 0x80000000, v19
	ds_store_b64 v15, v[18:19]
	s_waitcnt vmcnt(0)
	ds_store_b64 v17, v[20:21]
	s_waitcnt lgkmcnt(0)
	s_barrier
	buffer_gl0_inv
	ds_load_2addr_b64 v[18:21], v12 offset1:16
	ds_load_b128 v[22:25], v13
	ds_load_b128 v[26:29], v13 offset:1024
	ds_load_2addr_b64 v[30:33], v12 offset0:32 offset1:48
	ds_load_b128 v[34:37], v13 offset:16
	ds_load_b128 v[38:41], v13 offset:32
	;; [unrolled: 1-line block ×3, first 2 shown]
	ds_load_2addr_b64 v[46:49], v12 offset0:64 offset1:80
	ds_load_b128 v[50:53], v13 offset:1040
	ds_load_2addr_b64 v[54:57], v12 offset0:96 offset1:112
	ds_load_2addr_b64 v[58:61], v12 offset0:128 offset1:144
	;; [unrolled: 1-line block ×4, first 2 shown]
	ds_load_b128 v[70:73], v13 offset:1056
	ds_load_b128 v[74:77], v13 offset:1072
	s_waitcnt lgkmcnt(13)
	v_dual_mul_f32 v78, v23, v19 :: v_dual_mul_f32 v81, v22, v21
	s_waitcnt lgkmcnt(11)
	v_dual_mul_f32 v83, v26, v19 :: v_dual_mul_f32 v86, v25, v33
	v_mul_f32_e32 v84, v26, v21
	v_dual_mul_f32 v79, v22, v19 :: v_dual_mul_f32 v80, v23, v21
	v_mul_f32_e32 v82, v27, v19
	v_mul_f32_e32 v19, v27, v21
	;; [unrolled: 1-line block ×3, first 2 shown]
	v_dual_mul_f32 v85, v24, v31 :: v_dual_fmac_f32 v84, v27, v20
	v_fmac_f32_e32 v83, v27, v18
	v_mul_f32_e32 v27, v24, v33
	v_fma_f32 v78, v22, v18, -v78
	v_fmac_f32_e32 v79, v23, v18
	v_fmac_f32_e32 v81, v23, v20
	v_fma_f32 v23, v26, v18, -v82
	v_mul_f32_e32 v18, v29, v31
	v_fma_f32 v26, v26, v20, -v19
	v_mul_f32_e32 v31, v28, v31
	v_mul_f32_e32 v19, v29, v33
	v_fmac_f32_e32 v85, v25, v30
	v_fmac_f32_e32 v27, v25, v32
	v_mul_f32_e32 v25, v28, v33
	v_fma_f32 v22, v22, v20, -v80
	v_fma_f32 v80, v24, v30, -v21
	;; [unrolled: 1-line block ×3, first 2 shown]
	s_waitcnt lgkmcnt(7)
	v_mul_f32_e32 v20, v35, v47
	v_mul_f32_e32 v33, v34, v47
	;; [unrolled: 1-line block ×3, first 2 shown]
	v_fma_f32 v82, v28, v30, -v18
	v_fmac_f32_e32 v31, v29, v30
	v_fma_f32 v28, v28, v32, -v19
	v_fmac_f32_e32 v25, v29, v32
	s_waitcnt lgkmcnt(6)
	v_dual_mul_f32 v29, v34, v49 :: v_dual_mul_f32 v18, v51, v47
	v_dual_mul_f32 v30, v50, v47 :: v_dual_mul_f32 v19, v51, v49
	s_waitcnt lgkmcnt(5)
	v_dual_mul_f32 v32, v50, v49 :: v_dual_mul_f32 v49, v36, v55
	v_fma_f32 v87, v34, v46, -v20
	v_fmac_f32_e32 v33, v35, v46
	v_fmac_f32_e32 v29, v35, v48
	v_fma_f32 v35, v50, v46, -v18
	v_fmac_f32_e32 v30, v51, v46
	v_fma_f32 v46, v50, v48, -v19
	v_fmac_f32_e32 v32, v51, v48
	v_mul_f32_e32 v18, v53, v55
	v_fma_f32 v34, v34, v48, -v21
	v_dual_mul_f32 v48, v36, v57 :: v_dual_mul_f32 v47, v37, v55
	v_mul_f32_e32 v86, v37, v57
	v_dual_mul_f32 v50, v52, v55 :: v_dual_mul_f32 v19, v53, v57
	v_fmac_f32_e32 v49, v37, v54
	s_delay_alu instid0(VALU_DEP_4)
	v_dual_fmac_f32 v48, v37, v56 :: v_dual_mul_f32 v37, v52, v57
	v_fma_f32 v47, v36, v54, -v47
	v_fma_f32 v36, v36, v56, -v86
	s_waitcnt lgkmcnt(4)
	v_mul_f32_e32 v20, v39, v59
	v_mul_f32_e32 v51, v38, v59
	;; [unrolled: 1-line block ×3, first 2 shown]
	v_fma_f32 v55, v52, v54, -v18
	v_fmac_f32_e32 v50, v53, v54
	v_fmac_f32_e32 v37, v53, v56
	s_waitcnt lgkmcnt(1)
	v_dual_mul_f32 v53, v38, v61 :: v_dual_mul_f32 v18, v71, v59
	v_fma_f32 v52, v52, v56, -v19
	v_dual_mul_f32 v54, v70, v59 :: v_dual_mul_f32 v19, v71, v61
	v_dual_mul_f32 v56, v70, v61 :: v_dual_mul_f32 v59, v40, v63
	v_fma_f32 v86, v38, v58, -v20
	v_fmac_f32_e32 v51, v39, v58
	v_fma_f32 v38, v38, v60, -v21
	v_dual_fmac_f32 v53, v39, v60 :: v_dual_add_f32 v4, v4, v22
	v_fma_f32 v39, v70, v58, -v18
	v_fmac_f32_e32 v54, v71, v58
	v_fma_f32 v58, v70, v60, -v19
	v_fmac_f32_e32 v56, v71, v60
	v_dual_mul_f32 v60, v40, v65 :: v_dual_mul_f32 v57, v41, v63
	v_dual_mul_f32 v61, v41, v65 :: v_dual_add_f32 v16, v16, v79
	v_mul_f32_e32 v18, v73, v63
	v_dual_mul_f32 v63, v72, v63 :: v_dual_add_f32 v14, v14, v81
	v_dual_mul_f32 v19, v73, v65 :: v_dual_add_f32 v0, v0, v83
	s_delay_alu instid0(VALU_DEP_4)
	v_dual_fmac_f32 v59, v41, v62 :: v_dual_add_f32 v16, v16, v85
	v_dual_fmac_f32 v60, v41, v64 :: v_dual_mul_f32 v41, v72, v65
	v_add_f32_e32 v2, v2, v26
	v_fma_f32 v57, v40, v62, -v57
	v_fma_f32 v40, v40, v64, -v61
	v_mul_f32_e32 v20, v43, v67
	v_dual_mul_f32 v61, v42, v67 :: v_dual_add_f32 v4, v4, v24
	v_dual_mul_f32 v21, v43, v69 :: v_dual_add_f32 v14, v14, v27
	v_fma_f32 v65, v72, v62, -v18
	v_dual_fmac_f32 v63, v73, v62 :: v_dual_add_f32 v0, v0, v31
	v_fma_f32 v62, v72, v64, -v19
	v_dual_fmac_f32 v41, v73, v64 :: v_dual_add_f32 v16, v16, v33
	v_mul_f32_e32 v64, v42, v69
	s_waitcnt lgkmcnt(0)
	v_mul_f32_e32 v18, v75, v67
	v_dual_mul_f32 v67, v74, v67 :: v_dual_add_f32 v4, v4, v34
	v_dual_mul_f32 v19, v75, v69 :: v_dual_add_f32 v2, v2, v28
	v_fma_f32 v70, v42, v66, -v20
	v_dual_fmac_f32 v61, v43, v66 :: v_dual_add_f32 v14, v14, v29
	v_fma_f32 v42, v42, v68, -v21
	v_fmac_f32_e32 v64, v43, v68
	v_fma_f32 v43, v74, v66, -v18
	v_dual_fmac_f32 v67, v75, v66 :: v_dual_add_f32 v16, v16, v49
	v_fma_f32 v66, v74, v68, -v19
	ds_load_2addr_b64 v[18:21], v12 offset0:224 offset1:240
	v_dual_mul_f32 v69, v74, v69 :: v_dual_add_f32 v0, v0, v30
	v_add_f32_e32 v2, v2, v46
	v_add_f32_e32 v14, v14, v48
	v_add_f32_e32 v4, v4, v36
	s_delay_alu instid0(VALU_DEP_4) | instskip(NEXT) | instid1(VALU_DEP_4)
	v_dual_fmac_f32 v69, v75, v68 :: v_dual_add_f32 v0, v0, v50
	v_dual_add_f32 v3, v3, v23 :: v_dual_add_f32 v2, v2, v52
	s_delay_alu instid0(VALU_DEP_3) | instskip(SKIP_1) | instid1(VALU_DEP_4)
	v_add_f32_e32 v4, v4, v38
	v_add_f32_e32 v14, v14, v53
	v_dual_add_f32 v0, v0, v54 :: v_dual_add_f32 v1, v1, v84
	s_delay_alu instid0(VALU_DEP_3) | instskip(SKIP_1) | instid1(VALU_DEP_3)
	v_dual_add_f32 v3, v3, v82 :: v_dual_add_f32 v4, v4, v40
	v_add_f32_e32 v2, v2, v58
	v_dual_add_f32 v0, v0, v63 :: v_dual_add_f32 v1, v1, v25
	v_add_f32_e32 v14, v14, v60
	s_waitcnt lgkmcnt(0)
	v_mul_f32_e32 v68, v45, v19
	v_dual_mul_f32 v72, v45, v21 :: v_dual_mul_f32 v71, v44, v19
	v_dual_add_f32 v3, v3, v35 :: v_dual_add_f32 v4, v4, v42
	s_delay_alu instid0(VALU_DEP_3) | instskip(NEXT) | instid1(VALU_DEP_3)
	v_fma_f32 v68, v44, v18, -v68
	v_fma_f32 v72, v44, v20, -v72
	s_delay_alu instid0(VALU_DEP_4) | instskip(SKIP_1) | instid1(VALU_DEP_2)
	v_dual_mul_f32 v44, v44, v21 :: v_dual_fmac_f32 v71, v45, v18
	v_dual_mul_f32 v73, v77, v21 :: v_dual_add_f32 v16, v16, v51
	v_dual_mul_f32 v21, v76, v21 :: v_dual_fmac_f32 v44, v45, v20
	v_mul_f32_e32 v45, v77, v19
	v_mul_f32_e32 v19, v76, v19
	s_delay_alu instid0(VALU_DEP_4) | instskip(NEXT) | instid1(VALU_DEP_4)
	v_dual_add_f32 v5, v5, v78 :: v_dual_add_f32 v16, v16, v59
	v_fmac_f32_e32 v21, v77, v20
	v_dual_add_f32 v1, v1, v32 :: v_dual_add_f32 v0, v0, v67
	s_delay_alu instid0(VALU_DEP_4) | instskip(NEXT) | instid1(VALU_DEP_4)
	v_fmac_f32_e32 v19, v77, v18
	v_dual_add_f32 v5, v5, v80 :: v_dual_add_f32 v2, v2, v62
	v_dual_add_f32 v3, v3, v55 :: v_dual_add_f32 v16, v16, v61
	s_delay_alu instid0(VALU_DEP_4) | instskip(NEXT) | instid1(VALU_DEP_3)
	v_add_f32_e32 v1, v1, v37
	v_dual_add_f32 v5, v5, v87 :: v_dual_add_f32 v14, v14, v64
	s_delay_alu instid0(VALU_DEP_3) | instskip(NEXT) | instid1(VALU_DEP_4)
	v_dual_add_f32 v2, v2, v66 :: v_dual_add_f32 v3, v3, v39
	v_add_f32_e32 v16, v16, v71
	s_delay_alu instid0(VALU_DEP_3) | instskip(SKIP_3) | instid1(VALU_DEP_4)
	v_add_f32_e32 v5, v5, v47
	v_dual_add_f32 v1, v1, v56 :: v_dual_add_f32 v0, v0, v19
	v_fma_f32 v45, v76, v18, -v45
	v_fma_f32 v18, v76, v20, -v73
	v_dual_add_f32 v5, v5, v86 :: v_dual_add_f32 v4, v4, v72
	s_delay_alu instid0(VALU_DEP_4) | instskip(SKIP_1) | instid1(VALU_DEP_3)
	v_dual_add_f32 v1, v1, v41 :: v_dual_add_f32 v14, v14, v44
	v_add_f32_e32 v3, v3, v65
	v_dual_add_f32 v5, v5, v57 :: v_dual_add_f32 v2, v2, v18
	s_delay_alu instid0(VALU_DEP_3) | instskip(NEXT) | instid1(VALU_DEP_3)
	v_add_f32_e32 v1, v1, v69
	v_add_f32_e32 v3, v3, v43
	s_delay_alu instid0(VALU_DEP_3) | instskip(SKIP_1) | instid1(VALU_DEP_3)
	v_add_f32_e32 v5, v5, v70
	s_barrier
	v_add_f32_e32 v1, v1, v21
	buffer_gl0_inv
	v_add_f32_e32 v3, v3, v45
	v_add_f32_e32 v5, v5, v68
	s_cbranch_scc0 .LBB785_2
.LBB785_3:
	s_load_b32 s5, s[0:1], 0x40
	v_add_nc_u32_e32 v11, s10, v11
	v_add_nc_u32_e32 v7, s6, v10
	s_delay_alu instid0(VALU_DEP_1) | instskip(SKIP_1) | instid1(VALU_DEP_2)
	v_cmp_le_i32_e64 s0, v11, v7
	v_cmp_gt_i32_e32 vcc_lo, s4, v7
	s_and_b32 s0, s0, vcc_lo
	s_waitcnt lgkmcnt(0)
	v_mad_i64_i32 v[8:9], null, v11, s5, 0
	s_delay_alu instid0(VALU_DEP_1) | instskip(NEXT) | instid1(VALU_DEP_1)
	v_lshlrev_b64 v[8:9], 3, v[8:9]
	v_add_co_u32 v12, s1, s2, v8
	s_delay_alu instid0(VALU_DEP_1)
	v_add_co_ci_u32_e64 v13, s1, s3, v9, s1
	s_and_saveexec_b32 s1, s0
	s_cbranch_execz .LBB785_5
; %bb.4:
	v_ashrrev_i32_e32 v8, 31, v7
	s_delay_alu instid0(VALU_DEP_1) | instskip(NEXT) | instid1(VALU_DEP_1)
	v_lshlrev_b64 v[8:9], 3, v[7:8]
	v_add_co_u32 v8, s0, v12, v8
	s_delay_alu instid0(VALU_DEP_1) | instskip(SKIP_1) | instid1(VALU_DEP_1)
	v_add_co_ci_u32_e64 v9, s0, v13, v9, s0
	v_cmp_ne_u32_e64 s0, v11, v7
	v_cndmask_b32_e64 v6, 0, v16, s0
	global_store_b64 v[8:9], v[5:6], off
.LBB785_5:
	s_or_b32 exec_lo, exec_lo, s1
	v_add_nc_u32_e32 v9, 16, v7
	s_delay_alu instid0(VALU_DEP_1) | instskip(SKIP_1) | instid1(VALU_DEP_1)
	v_cmp_le_i32_e64 s1, v11, v9
	v_cmp_gt_i32_e64 s0, s4, v9
	s_and_b32 s1, s1, s0
	s_delay_alu instid0(SALU_CYCLE_1)
	s_and_saveexec_b32 s4, s1
	s_cbranch_execz .LBB785_7
; %bb.6:
	v_ashrrev_i32_e32 v10, 31, v9
	s_delay_alu instid0(VALU_DEP_1) | instskip(NEXT) | instid1(VALU_DEP_1)
	v_lshlrev_b64 v[5:6], 3, v[9:10]
	v_add_co_u32 v12, s1, v12, v5
	s_delay_alu instid0(VALU_DEP_1) | instskip(SKIP_1) | instid1(VALU_DEP_1)
	v_add_co_ci_u32_e64 v13, s1, v13, v6, s1
	v_cmp_ne_u32_e64 s1, v11, v9
	v_cndmask_b32_e64 v5, 0, v14, s1
	global_store_b64 v[12:13], v[4:5], off
.LBB785_7:
	s_or_b32 exec_lo, exec_lo, s4
	v_add_nc_u32_e32 v10, 16, v11
	s_delay_alu instid0(VALU_DEP_1) | instskip(SKIP_1) | instid1(VALU_DEP_2)
	v_mad_i64_i32 v[4:5], null, v10, s5, 0
	v_cmp_le_i32_e64 s1, v10, v7
	v_lshlrev_b64 v[5:6], 3, v[4:5]
	s_delay_alu instid0(VALU_DEP_1) | instskip(NEXT) | instid1(VALU_DEP_1)
	v_add_co_u32 v5, s2, s2, v5
	v_add_co_ci_u32_e64 v6, s2, s3, v6, s2
	s_delay_alu instid0(VALU_DEP_4) | instskip(NEXT) | instid1(SALU_CYCLE_1)
	s_and_b32 s2, s1, vcc_lo
	s_and_saveexec_b32 s1, s2
	s_cbranch_execz .LBB785_9
; %bb.8:
	v_ashrrev_i32_e32 v8, 31, v7
	s_delay_alu instid0(VALU_DEP_1) | instskip(NEXT) | instid1(VALU_DEP_1)
	v_lshlrev_b64 v[12:13], 3, v[7:8]
	v_add_co_u32 v12, vcc_lo, v5, v12
	s_delay_alu instid0(VALU_DEP_2)
	v_add_co_ci_u32_e32 v13, vcc_lo, v6, v13, vcc_lo
	v_cmp_ne_u32_e32 vcc_lo, v10, v7
	v_cndmask_b32_e32 v4, 0, v0, vcc_lo
	global_store_b64 v[12:13], v[3:4], off
.LBB785_9:
	s_or_b32 exec_lo, exec_lo, s1
	v_cmp_le_i32_e32 vcc_lo, v10, v9
	s_and_b32 s0, vcc_lo, s0
	s_delay_alu instid0(SALU_CYCLE_1)
	s_and_saveexec_b32 s1, s0
	s_cbranch_execz .LBB785_11
; %bb.10:
	v_ashrrev_i32_e32 v10, 31, v9
	s_delay_alu instid0(VALU_DEP_1) | instskip(NEXT) | instid1(VALU_DEP_1)
	v_lshlrev_b64 v[3:4], 3, v[9:10]
	v_add_co_u32 v5, vcc_lo, v5, v3
	s_delay_alu instid0(VALU_DEP_2)
	v_add_co_ci_u32_e32 v6, vcc_lo, v6, v4, vcc_lo
	v_cmp_ne_u32_e32 vcc_lo, v11, v7
	v_cndmask_b32_e32 v3, 0, v1, vcc_lo
	global_store_b64 v[5:6], v[2:3], off
.LBB785_11:
	s_nop 0
	s_sendmsg sendmsg(MSG_DEALLOC_VGPRS)
	s_endpgm
	.section	.rodata,"a",@progbits
	.p2align	6, 0x0
	.amdhsa_kernel _ZL37rocblas_syrkx_herkx_restricted_kernelIi19rocblas_complex_numIfELi16ELi32ELi8ELi1ELi0ELb1ELc67ELc76EKPKS1_KPS1_EviT_PT9_S7_lS9_S7_lPT10_S7_li
		.amdhsa_group_segment_fixed_size 4096
		.amdhsa_private_segment_fixed_size 0
		.amdhsa_kernarg_size 84
		.amdhsa_user_sgpr_count 13
		.amdhsa_user_sgpr_dispatch_ptr 0
		.amdhsa_user_sgpr_queue_ptr 0
		.amdhsa_user_sgpr_kernarg_segment_ptr 1
		.amdhsa_user_sgpr_dispatch_id 0
		.amdhsa_user_sgpr_private_segment_size 0
		.amdhsa_wavefront_size32 1
		.amdhsa_uses_dynamic_stack 0
		.amdhsa_enable_private_segment 0
		.amdhsa_system_sgpr_workgroup_id_x 1
		.amdhsa_system_sgpr_workgroup_id_y 1
		.amdhsa_system_sgpr_workgroup_id_z 1
		.amdhsa_system_sgpr_workgroup_info 0
		.amdhsa_system_vgpr_workitem_id 1
		.amdhsa_next_free_vgpr 88
		.amdhsa_next_free_sgpr 17
		.amdhsa_reserve_vcc 1
		.amdhsa_float_round_mode_32 0
		.amdhsa_float_round_mode_16_64 0
		.amdhsa_float_denorm_mode_32 3
		.amdhsa_float_denorm_mode_16_64 3
		.amdhsa_dx10_clamp 1
		.amdhsa_ieee_mode 1
		.amdhsa_fp16_overflow 0
		.amdhsa_workgroup_processor_mode 1
		.amdhsa_memory_ordered 1
		.amdhsa_forward_progress 0
		.amdhsa_shared_vgpr_count 0
		.amdhsa_exception_fp_ieee_invalid_op 0
		.amdhsa_exception_fp_denorm_src 0
		.amdhsa_exception_fp_ieee_div_zero 0
		.amdhsa_exception_fp_ieee_overflow 0
		.amdhsa_exception_fp_ieee_underflow 0
		.amdhsa_exception_fp_ieee_inexact 0
		.amdhsa_exception_int_div_zero 0
	.end_amdhsa_kernel
	.section	.text._ZL37rocblas_syrkx_herkx_restricted_kernelIi19rocblas_complex_numIfELi16ELi32ELi8ELi1ELi0ELb1ELc67ELc76EKPKS1_KPS1_EviT_PT9_S7_lS9_S7_lPT10_S7_li,"axG",@progbits,_ZL37rocblas_syrkx_herkx_restricted_kernelIi19rocblas_complex_numIfELi16ELi32ELi8ELi1ELi0ELb1ELc67ELc76EKPKS1_KPS1_EviT_PT9_S7_lS9_S7_lPT10_S7_li,comdat
.Lfunc_end785:
	.size	_ZL37rocblas_syrkx_herkx_restricted_kernelIi19rocblas_complex_numIfELi16ELi32ELi8ELi1ELi0ELb1ELc67ELc76EKPKS1_KPS1_EviT_PT9_S7_lS9_S7_lPT10_S7_li, .Lfunc_end785-_ZL37rocblas_syrkx_herkx_restricted_kernelIi19rocblas_complex_numIfELi16ELi32ELi8ELi1ELi0ELb1ELc67ELc76EKPKS1_KPS1_EviT_PT9_S7_lS9_S7_lPT10_S7_li
                                        ; -- End function
	.section	.AMDGPU.csdata,"",@progbits
; Kernel info:
; codeLenInByte = 2104
; NumSgprs: 19
; NumVgprs: 88
; ScratchSize: 0
; MemoryBound: 0
; FloatMode: 240
; IeeeMode: 1
; LDSByteSize: 4096 bytes/workgroup (compile time only)
; SGPRBlocks: 2
; VGPRBlocks: 10
; NumSGPRsForWavesPerEU: 19
; NumVGPRsForWavesPerEU: 88
; Occupancy: 16
; WaveLimiterHint : 1
; COMPUTE_PGM_RSRC2:SCRATCH_EN: 0
; COMPUTE_PGM_RSRC2:USER_SGPR: 13
; COMPUTE_PGM_RSRC2:TRAP_HANDLER: 0
; COMPUTE_PGM_RSRC2:TGID_X_EN: 1
; COMPUTE_PGM_RSRC2:TGID_Y_EN: 1
; COMPUTE_PGM_RSRC2:TGID_Z_EN: 1
; COMPUTE_PGM_RSRC2:TIDIG_COMP_CNT: 1
	.section	.text._ZL37rocblas_syrkx_herkx_restricted_kernelIi19rocblas_complex_numIfELi16ELi32ELi8ELi1ELi0ELb1ELc78ELc76EKPKS1_KPS1_EviT_PT9_S7_lS9_S7_lPT10_S7_li,"axG",@progbits,_ZL37rocblas_syrkx_herkx_restricted_kernelIi19rocblas_complex_numIfELi16ELi32ELi8ELi1ELi0ELb1ELc78ELc76EKPKS1_KPS1_EviT_PT9_S7_lS9_S7_lPT10_S7_li,comdat
	.globl	_ZL37rocblas_syrkx_herkx_restricted_kernelIi19rocblas_complex_numIfELi16ELi32ELi8ELi1ELi0ELb1ELc78ELc76EKPKS1_KPS1_EviT_PT9_S7_lS9_S7_lPT10_S7_li ; -- Begin function _ZL37rocblas_syrkx_herkx_restricted_kernelIi19rocblas_complex_numIfELi16ELi32ELi8ELi1ELi0ELb1ELc78ELc76EKPKS1_KPS1_EviT_PT9_S7_lS9_S7_lPT10_S7_li
	.p2align	8
	.type	_ZL37rocblas_syrkx_herkx_restricted_kernelIi19rocblas_complex_numIfELi16ELi32ELi8ELi1ELi0ELb1ELc78ELc76EKPKS1_KPS1_EviT_PT9_S7_lS9_S7_lPT10_S7_li,@function
_ZL37rocblas_syrkx_herkx_restricted_kernelIi19rocblas_complex_numIfELi16ELi32ELi8ELi1ELi0ELb1ELc78ELc76EKPKS1_KPS1_EviT_PT9_S7_lS9_S7_lPT10_S7_li: ; @_ZL37rocblas_syrkx_herkx_restricted_kernelIi19rocblas_complex_numIfELi16ELi32ELi8ELi1ELi0ELb1ELc78ELc76EKPKS1_KPS1_EviT_PT9_S7_lS9_S7_lPT10_S7_li
; %bb.0:
	s_clause 0x1
	s_load_b64 s[2:3], s[0:1], 0x38
	s_load_b64 s[4:5], s[0:1], 0x0
	s_mov_b32 s6, s15
	s_mov_b32 s7, 0
	v_dual_mov_b32 v3, 0 :: v_dual_and_b32 v8, 0x3ff, v0
	s_lshl_b64 s[8:9], s[6:7], 3
	v_bfe_u32 v9, v0, 10, 10
	v_dual_mov_b32 v17, 0 :: v_dual_mov_b32 v2, 0
	v_dual_mov_b32 v14, 0 :: v_dual_mov_b32 v1, 0
	;; [unrolled: 1-line block ×3, first 2 shown]
	v_mov_b32_e32 v10, 0
	s_waitcnt lgkmcnt(0)
	s_add_u32 s2, s2, s8
	s_addc_u32 s3, s3, s9
	s_lshl_b32 s6, s13, 5
	s_load_b64 s[2:3], s[2:3], 0x0
	s_lshl_b32 s12, s14, 5
	s_cmp_lt_i32 s5, 1
	s_cbranch_scc1 .LBB786_3
; %bb.1:
	s_clause 0x3
	s_load_b32 s10, s[0:1], 0x10
	s_load_b32 s14, s[0:1], 0x28
	s_load_b64 s[16:17], s[0:1], 0x8
	s_load_b64 s[18:19], s[0:1], 0x20
	v_lshl_add_u32 v0, v9, 4, v8
	v_and_b32_e32 v10, 7, v8
	v_lshlrev_b32_e32 v12, 3, v8
	v_lshl_add_u32 v13, v9, 6, 0x800
	v_mov_b32_e32 v17, 0
	v_and_b32_e32 v7, 31, v0
	v_lshrrev_b32_e32 v6, 3, v0
	v_lshrrev_b32_e32 v11, 5, v0
	v_lshlrev_b32_e32 v14, 3, v10
	s_delay_alu instid0(VALU_DEP_4) | instskip(NEXT) | instid1(VALU_DEP_4)
	v_add_nc_u32_e32 v2, s6, v7
	v_add_nc_u32_e32 v0, s12, v6
	s_delay_alu instid0(VALU_DEP_3) | instskip(SKIP_1) | instid1(VALU_DEP_4)
	v_lshl_or_b32 v6, v6, 6, v14
	v_mov_b32_e32 v14, 0
	v_ashrrev_i32_e32 v3, 31, v2
	s_waitcnt lgkmcnt(0)
	s_ashr_i32 s11, s10, 31
	s_ashr_i32 s15, s14, 31
	s_add_u32 s16, s16, s8
	s_addc_u32 s17, s17, s9
	s_add_u32 s8, s18, s8
	s_load_b64 s[16:17], s[16:17], 0x0
	s_addc_u32 s9, s19, s9
	v_ashrrev_i32_e32 v1, 31, v0
	s_load_b64 s[8:9], s[8:9], 0x0
	v_mad_i64_i32 v[4:5], null, s10, v11, v[2:3]
	v_add_nc_u32_e32 v16, 0x800, v6
	s_delay_alu instid0(VALU_DEP_3) | instskip(SKIP_3) | instid1(VALU_DEP_3)
	v_mad_i64_i32 v[2:3], null, s14, v10, v[0:1]
	v_dual_mov_b32 v10, 0 :: v_dual_lshlrev_b32 v1, 3, v7
	v_mov_b32_e32 v0, 0
	v_lshlrev_b64 v[4:5], 3, v[4:5]
	v_lshl_or_b32 v15, v11, 8, v1
	v_lshlrev_b64 v[1:2], 3, v[2:3]
	v_mov_b32_e32 v11, 0
	s_waitcnt lgkmcnt(0)
	s_delay_alu instid0(VALU_DEP_4) | instskip(SKIP_1) | instid1(VALU_DEP_4)
	v_add_co_u32 v3, vcc_lo, v4, s16
	v_add_co_ci_u32_e32 v5, vcc_lo, s17, v5, vcc_lo
	v_add_co_u32 v1, vcc_lo, v1, s8
	v_add_co_ci_u32_e32 v2, vcc_lo, s9, v2, vcc_lo
	s_delay_alu instid0(VALU_DEP_4) | instskip(NEXT) | instid1(VALU_DEP_4)
	v_add_co_u32 v4, vcc_lo, v3, 4
	v_add_co_ci_u32_e32 v5, vcc_lo, 0, v5, vcc_lo
	s_delay_alu instid0(VALU_DEP_4) | instskip(NEXT) | instid1(VALU_DEP_4)
	v_add_co_u32 v6, vcc_lo, v1, 4
	v_add_co_ci_u32_e32 v7, vcc_lo, 0, v2, vcc_lo
	v_dual_mov_b32 v1, 0 :: v_dual_mov_b32 v2, 0
	v_mov_b32_e32 v3, 0
	s_lshl_b64 s[8:9], s[10:11], 6
	s_lshl_b64 s[10:11], s[14:15], 6
.LBB786_2:                              ; =>This Inner Loop Header: Depth=1
	global_load_b64 v[18:19], v[6:7], off offset:-4
	global_load_b64 v[20:21], v[4:5], off offset:-4
	v_add_co_u32 v4, vcc_lo, v4, s8
	v_add_co_ci_u32_e32 v5, vcc_lo, s9, v5, vcc_lo
	v_add_co_u32 v6, vcc_lo, v6, s10
	v_add_co_ci_u32_e32 v7, vcc_lo, s11, v7, vcc_lo
	s_add_i32 s7, s7, 8
	s_delay_alu instid0(SALU_CYCLE_1)
	s_cmp_ge_i32 s7, s5
	s_waitcnt vmcnt(1)
	v_xor_b32_e32 v19, 0x80000000, v19
	s_waitcnt vmcnt(0)
	ds_store_b64 v15, v[20:21]
	ds_store_b64 v16, v[18:19]
	s_waitcnt lgkmcnt(0)
	s_barrier
	buffer_gl0_inv
	ds_load_2addr_b64 v[18:21], v12 offset1:16
	ds_load_b128 v[22:25], v13
	ds_load_b128 v[26:29], v13 offset:1024
	ds_load_b128 v[30:33], v13 offset:16
	;; [unrolled: 1-line block ×4, first 2 shown]
	ds_load_2addr_b64 v[42:45], v12 offset0:32 offset1:48
	ds_load_2addr_b64 v[46:49], v12 offset0:64 offset1:80
	ds_load_b128 v[50:53], v13 offset:1040
	ds_load_2addr_b64 v[54:57], v12 offset0:96 offset1:112
	ds_load_2addr_b64 v[58:61], v12 offset0:128 offset1:144
	;; [unrolled: 1-line block ×4, first 2 shown]
	ds_load_b128 v[70:73], v13 offset:1056
	ds_load_b128 v[74:77], v13 offset:1072
	ds_load_2addr_b64 v[78:81], v12 offset0:224 offset1:240
	s_waitcnt lgkmcnt(0)
	s_barrier
	buffer_gl0_inv
	v_dual_mul_f32 v82, v23, v19 :: v_dual_mul_f32 v85, v22, v21
	v_dual_mul_f32 v83, v22, v19 :: v_dual_mul_f32 v84, v23, v21
	v_mul_f32_e32 v86, v27, v19
	v_mul_f32_e32 v19, v26, v19
	;; [unrolled: 1-line block ×4, first 2 shown]
	v_fma_f32 v82, v22, v18, -v82
	v_fmac_f32_e32 v83, v23, v18
	v_fma_f32 v22, v22, v20, -v84
	v_fmac_f32_e32 v85, v23, v20
	v_fma_f32 v23, v26, v18, -v86
	v_dual_fmac_f32 v21, v27, v20 :: v_dual_mul_f32 v84, v24, v45
	v_fmac_f32_e32 v19, v27, v18
	v_fma_f32 v18, v26, v20, -v87
	v_mul_f32_e32 v20, v25, v43
	v_mul_f32_e32 v26, v24, v43
	v_fmac_f32_e32 v84, v25, v44
	v_dual_mul_f32 v27, v25, v45 :: v_dual_mul_f32 v86, v51, v47
	s_delay_alu instid0(VALU_DEP_4) | instskip(NEXT) | instid1(VALU_DEP_4)
	v_fma_f32 v20, v24, v42, -v20
	v_fmac_f32_e32 v26, v25, v42
	v_mul_f32_e32 v25, v29, v43
	s_delay_alu instid0(VALU_DEP_4)
	v_fma_f32 v24, v24, v44, -v27
	v_mul_f32_e32 v27, v28, v43
	v_mul_f32_e32 v43, v29, v45
	;; [unrolled: 1-line block ×3, first 2 shown]
	v_fma_f32 v25, v28, v42, -v25
	v_mul_f32_e32 v87, v51, v49
	v_fmac_f32_e32 v27, v29, v42
	v_fma_f32 v28, v28, v44, -v43
	v_fmac_f32_e32 v45, v29, v44
	v_mul_f32_e32 v29, v31, v47
	v_dual_mul_f32 v42, v30, v47 :: v_dual_mul_f32 v43, v31, v49
	v_mul_f32_e32 v44, v30, v49
	v_mul_f32_e32 v47, v50, v47
	;; [unrolled: 1-line block ×3, first 2 shown]
	v_fma_f32 v29, v30, v46, -v29
	v_fmac_f32_e32 v42, v31, v46
	v_fma_f32 v30, v30, v48, -v43
	v_fmac_f32_e32 v44, v31, v48
	v_fma_f32 v31, v50, v46, -v86
	v_mul_f32_e32 v86, v71, v59
	v_fmac_f32_e32 v47, v51, v46
	v_fma_f32 v43, v50, v48, -v87
	v_dual_fmac_f32 v49, v51, v48 :: v_dual_mul_f32 v46, v33, v55
	v_mul_f32_e32 v48, v32, v55
	v_mul_f32_e32 v50, v33, v57
	;; [unrolled: 1-line block ×4, first 2 shown]
	v_fma_f32 v46, v32, v54, -v46
	v_fmac_f32_e32 v48, v33, v54
	v_fma_f32 v32, v32, v56, -v50
	v_fmac_f32_e32 v51, v33, v56
	v_mul_f32_e32 v33, v53, v55
	v_dual_mul_f32 v50, v52, v55 :: v_dual_mul_f32 v55, v53, v57
	v_dual_mul_f32 v57, v52, v57 :: v_dual_add_f32 v2, v2, v22
	s_delay_alu instid0(VALU_DEP_3) | instskip(NEXT) | instid1(VALU_DEP_3)
	v_fma_f32 v33, v52, v54, -v33
	v_fmac_f32_e32 v50, v53, v54
	s_delay_alu instid0(VALU_DEP_4) | instskip(NEXT) | instid1(VALU_DEP_4)
	v_fma_f32 v52, v52, v56, -v55
	v_fmac_f32_e32 v57, v53, v56
	v_mul_f32_e32 v53, v35, v59
	v_dual_mul_f32 v54, v34, v59 :: v_dual_mul_f32 v55, v35, v61
	v_mul_f32_e32 v56, v34, v61
	v_mul_f32_e32 v59, v70, v59
	;; [unrolled: 1-line block ×3, first 2 shown]
	v_fma_f32 v53, v34, v58, -v53
	v_fmac_f32_e32 v54, v35, v58
	v_fma_f32 v34, v34, v60, -v55
	v_fmac_f32_e32 v56, v35, v60
	v_fma_f32 v35, v70, v58, -v86
	v_mul_f32_e32 v86, v75, v67
	v_fmac_f32_e32 v59, v71, v58
	v_fma_f32 v55, v70, v60, -v87
	v_dual_fmac_f32 v61, v71, v60 :: v_dual_mul_f32 v58, v37, v63
	v_mul_f32_e32 v60, v36, v63
	v_mul_f32_e32 v70, v37, v65
	;; [unrolled: 1-line block ×3, first 2 shown]
	v_add_f32_e32 v0, v0, v18
	v_fma_f32 v58, v36, v62, -v58
	v_fmac_f32_e32 v60, v37, v62
	v_fma_f32 v36, v36, v64, -v70
	v_fmac_f32_e32 v71, v37, v64
	v_mul_f32_e32 v37, v73, v63
	v_dual_mul_f32 v63, v72, v63 :: v_dual_mul_f32 v70, v73, v65
	v_dual_mul_f32 v65, v72, v65 :: v_dual_add_f32 v2, v2, v24
	s_delay_alu instid0(VALU_DEP_3) | instskip(NEXT) | instid1(VALU_DEP_3)
	v_fma_f32 v37, v72, v62, -v37
	v_fmac_f32_e32 v63, v73, v62
	s_delay_alu instid0(VALU_DEP_4) | instskip(NEXT) | instid1(VALU_DEP_4)
	v_fma_f32 v62, v72, v64, -v70
	v_dual_fmac_f32 v65, v73, v64 :: v_dual_add_f32 v14, v14, v85
	v_dual_mul_f32 v73, v38, v69 :: v_dual_mul_f32 v64, v39, v67
	v_mul_f32_e32 v70, v38, v67
	v_dual_mul_f32 v72, v39, v69 :: v_dual_mul_f32 v67, v74, v67
	v_dual_add_f32 v0, v0, v28 :: v_dual_mul_f32 v87, v75, v69
	v_add_f32_e32 v14, v14, v84
	v_mul_f32_e32 v69, v74, v69
	v_dual_fmac_f32 v73, v39, v68 :: v_dual_add_f32 v10, v10, v21
	v_fma_f32 v64, v38, v66, -v64
	v_fmac_f32_e32 v70, v39, v66
	v_fma_f32 v38, v38, v68, -v72
	v_fma_f32 v39, v74, v66, -v86
	v_dual_fmac_f32 v67, v75, v66 :: v_dual_add_f32 v10, v10, v45
	v_fma_f32 v66, v74, v68, -v87
	v_mul_f32_e32 v72, v40, v79
	v_mul_f32_e32 v74, v41, v81
	v_add_f32_e32 v2, v2, v30
	v_dual_add_f32 v0, v0, v43 :: v_dual_fmac_f32 v69, v75, v68
	v_dual_mul_f32 v68, v41, v79 :: v_dual_mul_f32 v75, v40, v81
	v_add_f32_e32 v14, v14, v44
	v_fmac_f32_e32 v72, v41, v78
	v_add_f32_e32 v10, v10, v49
	s_delay_alu instid0(VALU_DEP_4)
	v_fma_f32 v68, v40, v78, -v68
	v_fma_f32 v40, v40, v80, -v74
	v_fmac_f32_e32 v75, v41, v80
	v_dual_mul_f32 v41, v77, v79 :: v_dual_add_f32 v2, v2, v32
	v_dual_mul_f32 v74, v76, v79 :: v_dual_mul_f32 v79, v77, v81
	v_dual_add_f32 v14, v14, v51 :: v_dual_mul_f32 v81, v76, v81
	s_delay_alu instid0(VALU_DEP_3) | instskip(SKIP_1) | instid1(VALU_DEP_3)
	v_add_f32_e32 v2, v2, v34
	v_dual_add_f32 v3, v3, v82 :: v_dual_add_f32 v0, v0, v52
	v_dual_add_f32 v17, v17, v83 :: v_dual_add_f32 v14, v14, v56
	s_delay_alu instid0(VALU_DEP_4)
	v_dual_fmac_f32 v81, v77, v80 :: v_dual_add_f32 v10, v10, v57
	v_add_f32_e32 v1, v1, v23
	v_dual_add_f32 v11, v11, v19 :: v_dual_add_f32 v2, v2, v36
	v_dual_add_f32 v3, v3, v20 :: v_dual_add_f32 v0, v0, v55
	;; [unrolled: 1-line block ×3, first 2 shown]
	v_add_f32_e32 v10, v10, v61
	s_delay_alu instid0(VALU_DEP_3) | instskip(SKIP_3) | instid1(VALU_DEP_4)
	v_dual_add_f32 v1, v1, v25 :: v_dual_add_f32 v0, v0, v62
	v_add_f32_e32 v11, v11, v27
	v_dual_add_f32 v3, v3, v29 :: v_dual_add_f32 v2, v2, v38
	v_dual_add_f32 v17, v17, v42 :: v_dual_add_f32 v14, v14, v73
	;; [unrolled: 1-line block ×3, first 2 shown]
	s_delay_alu instid0(VALU_DEP_4) | instskip(SKIP_4) | instid1(VALU_DEP_3)
	v_dual_add_f32 v10, v10, v65 :: v_dual_add_f32 v11, v11, v47
	v_fma_f32 v41, v76, v78, -v41
	v_fma_f32 v76, v76, v80, -v79
	v_dual_add_f32 v3, v3, v46 :: v_dual_add_f32 v2, v2, v40
	v_dual_add_f32 v17, v17, v48 :: v_dual_add_f32 v14, v14, v75
	;; [unrolled: 1-line block ×4, first 2 shown]
	s_delay_alu instid0(VALU_DEP_4) | instskip(NEXT) | instid1(VALU_DEP_4)
	v_add_f32_e32 v3, v3, v53
	v_add_f32_e32 v17, v17, v54
	s_delay_alu instid0(VALU_DEP_3) | instskip(NEXT) | instid1(VALU_DEP_4)
	v_dual_add_f32 v1, v1, v35 :: v_dual_add_f32 v10, v10, v81
	v_add_f32_e32 v11, v11, v59
	s_delay_alu instid0(VALU_DEP_4) | instskip(NEXT) | instid1(VALU_DEP_4)
	v_add_f32_e32 v3, v3, v58
	v_add_f32_e32 v17, v17, v60
	s_delay_alu instid0(VALU_DEP_4) | instskip(NEXT) | instid1(VALU_DEP_4)
	v_add_f32_e32 v1, v1, v37
	v_dual_fmac_f32 v74, v77, v78 :: v_dual_add_f32 v11, v11, v63
	s_delay_alu instid0(VALU_DEP_4) | instskip(NEXT) | instid1(VALU_DEP_4)
	v_add_f32_e32 v3, v3, v64
	v_add_f32_e32 v17, v17, v70
	s_delay_alu instid0(VALU_DEP_4) | instskip(NEXT) | instid1(VALU_DEP_4)
	v_add_f32_e32 v1, v1, v39
	v_add_f32_e32 v11, v11, v67
	;; [unrolled: 3-line block ×4, first 2 shown]
	s_cbranch_scc0 .LBB786_2
.LBB786_3:
	s_load_b32 s5, s[0:1], 0x40
	v_add_nc_u32_e32 v9, s12, v9
	v_add_nc_u32_e32 v5, s6, v8
	s_delay_alu instid0(VALU_DEP_1) | instskip(SKIP_1) | instid1(VALU_DEP_2)
	v_cmp_le_i32_e64 s0, v9, v5
	v_cmp_gt_i32_e32 vcc_lo, s4, v5
	s_and_b32 s0, s0, vcc_lo
	s_waitcnt lgkmcnt(0)
	v_mad_i64_i32 v[6:7], null, v9, s5, 0
	s_delay_alu instid0(VALU_DEP_1) | instskip(NEXT) | instid1(VALU_DEP_1)
	v_lshlrev_b64 v[6:7], 3, v[6:7]
	v_add_co_u32 v12, s1, s2, v6
	s_delay_alu instid0(VALU_DEP_1)
	v_add_co_ci_u32_e64 v13, s1, s3, v7, s1
	s_and_saveexec_b32 s1, s0
	s_cbranch_execz .LBB786_5
; %bb.4:
	v_ashrrev_i32_e32 v6, 31, v5
	s_delay_alu instid0(VALU_DEP_1) | instskip(NEXT) | instid1(VALU_DEP_1)
	v_lshlrev_b64 v[6:7], 3, v[5:6]
	v_add_co_u32 v6, s0, v12, v6
	s_delay_alu instid0(VALU_DEP_1) | instskip(SKIP_1) | instid1(VALU_DEP_1)
	v_add_co_ci_u32_e64 v7, s0, v13, v7, s0
	v_cmp_ne_u32_e64 s0, v9, v5
	v_cndmask_b32_e64 v4, 0, v17, s0
	global_store_b64 v[6:7], v[3:4], off
.LBB786_5:
	s_or_b32 exec_lo, exec_lo, s1
	v_add_nc_u32_e32 v7, 16, v5
	s_delay_alu instid0(VALU_DEP_1) | instskip(SKIP_1) | instid1(VALU_DEP_1)
	v_cmp_le_i32_e64 s1, v9, v7
	v_cmp_gt_i32_e64 s0, s4, v7
	s_and_b32 s1, s1, s0
	s_delay_alu instid0(SALU_CYCLE_1)
	s_and_saveexec_b32 s4, s1
	s_cbranch_execz .LBB786_7
; %bb.6:
	v_ashrrev_i32_e32 v8, 31, v7
	s_delay_alu instid0(VALU_DEP_1) | instskip(NEXT) | instid1(VALU_DEP_1)
	v_lshlrev_b64 v[3:4], 3, v[7:8]
	v_add_co_u32 v12, s1, v12, v3
	s_delay_alu instid0(VALU_DEP_1) | instskip(SKIP_1) | instid1(VALU_DEP_1)
	v_add_co_ci_u32_e64 v13, s1, v13, v4, s1
	v_cmp_ne_u32_e64 s1, v9, v7
	v_cndmask_b32_e64 v3, 0, v14, s1
	global_store_b64 v[12:13], v[2:3], off
.LBB786_7:
	s_or_b32 exec_lo, exec_lo, s4
	v_add_nc_u32_e32 v8, 16, v9
	s_delay_alu instid0(VALU_DEP_1) | instskip(SKIP_1) | instid1(VALU_DEP_2)
	v_mad_i64_i32 v[2:3], null, v8, s5, 0
	v_cmp_le_i32_e64 s1, v8, v5
	v_lshlrev_b64 v[3:4], 3, v[2:3]
	s_delay_alu instid0(VALU_DEP_1) | instskip(NEXT) | instid1(VALU_DEP_1)
	v_add_co_u32 v3, s2, s2, v3
	v_add_co_ci_u32_e64 v4, s2, s3, v4, s2
	s_delay_alu instid0(VALU_DEP_4) | instskip(NEXT) | instid1(SALU_CYCLE_1)
	s_and_b32 s2, s1, vcc_lo
	s_and_saveexec_b32 s1, s2
	s_cbranch_execz .LBB786_9
; %bb.8:
	v_ashrrev_i32_e32 v6, 31, v5
	s_delay_alu instid0(VALU_DEP_1) | instskip(NEXT) | instid1(VALU_DEP_1)
	v_lshlrev_b64 v[12:13], 3, v[5:6]
	v_add_co_u32 v12, vcc_lo, v3, v12
	s_delay_alu instid0(VALU_DEP_2)
	v_add_co_ci_u32_e32 v13, vcc_lo, v4, v13, vcc_lo
	v_cmp_ne_u32_e32 vcc_lo, v8, v5
	v_cndmask_b32_e32 v2, 0, v11, vcc_lo
	global_store_b64 v[12:13], v[1:2], off
.LBB786_9:
	s_or_b32 exec_lo, exec_lo, s1
	v_cmp_le_i32_e32 vcc_lo, v8, v7
	s_and_b32 s0, vcc_lo, s0
	s_delay_alu instid0(SALU_CYCLE_1)
	s_and_saveexec_b32 s1, s0
	s_cbranch_execz .LBB786_11
; %bb.10:
	v_ashrrev_i32_e32 v8, 31, v7
	s_delay_alu instid0(VALU_DEP_1) | instskip(NEXT) | instid1(VALU_DEP_1)
	v_lshlrev_b64 v[1:2], 3, v[7:8]
	v_add_co_u32 v3, vcc_lo, v3, v1
	s_delay_alu instid0(VALU_DEP_2)
	v_add_co_ci_u32_e32 v4, vcc_lo, v4, v2, vcc_lo
	v_cmp_ne_u32_e32 vcc_lo, v9, v5
	v_cndmask_b32_e32 v1, 0, v10, vcc_lo
	global_store_b64 v[3:4], v[0:1], off
.LBB786_11:
	s_nop 0
	s_sendmsg sendmsg(MSG_DEALLOC_VGPRS)
	s_endpgm
	.section	.rodata,"a",@progbits
	.p2align	6, 0x0
	.amdhsa_kernel _ZL37rocblas_syrkx_herkx_restricted_kernelIi19rocblas_complex_numIfELi16ELi32ELi8ELi1ELi0ELb1ELc78ELc76EKPKS1_KPS1_EviT_PT9_S7_lS9_S7_lPT10_S7_li
		.amdhsa_group_segment_fixed_size 4096
		.amdhsa_private_segment_fixed_size 0
		.amdhsa_kernarg_size 84
		.amdhsa_user_sgpr_count 13
		.amdhsa_user_sgpr_dispatch_ptr 0
		.amdhsa_user_sgpr_queue_ptr 0
		.amdhsa_user_sgpr_kernarg_segment_ptr 1
		.amdhsa_user_sgpr_dispatch_id 0
		.amdhsa_user_sgpr_private_segment_size 0
		.amdhsa_wavefront_size32 1
		.amdhsa_uses_dynamic_stack 0
		.amdhsa_enable_private_segment 0
		.amdhsa_system_sgpr_workgroup_id_x 1
		.amdhsa_system_sgpr_workgroup_id_y 1
		.amdhsa_system_sgpr_workgroup_id_z 1
		.amdhsa_system_sgpr_workgroup_info 0
		.amdhsa_system_vgpr_workitem_id 1
		.amdhsa_next_free_vgpr 88
		.amdhsa_next_free_sgpr 20
		.amdhsa_reserve_vcc 1
		.amdhsa_float_round_mode_32 0
		.amdhsa_float_round_mode_16_64 0
		.amdhsa_float_denorm_mode_32 3
		.amdhsa_float_denorm_mode_16_64 3
		.amdhsa_dx10_clamp 1
		.amdhsa_ieee_mode 1
		.amdhsa_fp16_overflow 0
		.amdhsa_workgroup_processor_mode 1
		.amdhsa_memory_ordered 1
		.amdhsa_forward_progress 0
		.amdhsa_shared_vgpr_count 0
		.amdhsa_exception_fp_ieee_invalid_op 0
		.amdhsa_exception_fp_denorm_src 0
		.amdhsa_exception_fp_ieee_div_zero 0
		.amdhsa_exception_fp_ieee_overflow 0
		.amdhsa_exception_fp_ieee_underflow 0
		.amdhsa_exception_fp_ieee_inexact 0
		.amdhsa_exception_int_div_zero 0
	.end_amdhsa_kernel
	.section	.text._ZL37rocblas_syrkx_herkx_restricted_kernelIi19rocblas_complex_numIfELi16ELi32ELi8ELi1ELi0ELb1ELc78ELc76EKPKS1_KPS1_EviT_PT9_S7_lS9_S7_lPT10_S7_li,"axG",@progbits,_ZL37rocblas_syrkx_herkx_restricted_kernelIi19rocblas_complex_numIfELi16ELi32ELi8ELi1ELi0ELb1ELc78ELc76EKPKS1_KPS1_EviT_PT9_S7_lS9_S7_lPT10_S7_li,comdat
.Lfunc_end786:
	.size	_ZL37rocblas_syrkx_herkx_restricted_kernelIi19rocblas_complex_numIfELi16ELi32ELi8ELi1ELi0ELb1ELc78ELc76EKPKS1_KPS1_EviT_PT9_S7_lS9_S7_lPT10_S7_li, .Lfunc_end786-_ZL37rocblas_syrkx_herkx_restricted_kernelIi19rocblas_complex_numIfELi16ELi32ELi8ELi1ELi0ELb1ELc78ELc76EKPKS1_KPS1_EviT_PT9_S7_lS9_S7_lPT10_S7_li
                                        ; -- End function
	.section	.AMDGPU.csdata,"",@progbits
; Kernel info:
; codeLenInByte = 2108
; NumSgprs: 22
; NumVgprs: 88
; ScratchSize: 0
; MemoryBound: 0
; FloatMode: 240
; IeeeMode: 1
; LDSByteSize: 4096 bytes/workgroup (compile time only)
; SGPRBlocks: 2
; VGPRBlocks: 10
; NumSGPRsForWavesPerEU: 22
; NumVGPRsForWavesPerEU: 88
; Occupancy: 16
; WaveLimiterHint : 1
; COMPUTE_PGM_RSRC2:SCRATCH_EN: 0
; COMPUTE_PGM_RSRC2:USER_SGPR: 13
; COMPUTE_PGM_RSRC2:TRAP_HANDLER: 0
; COMPUTE_PGM_RSRC2:TGID_X_EN: 1
; COMPUTE_PGM_RSRC2:TGID_Y_EN: 1
; COMPUTE_PGM_RSRC2:TGID_Z_EN: 1
; COMPUTE_PGM_RSRC2:TIDIG_COMP_CNT: 1
	.section	.text._ZL37rocblas_syrkx_herkx_restricted_kernelIi19rocblas_complex_numIfELi16ELi32ELi8ELi1ELi0ELb1ELc84ELc85EKPKS1_KPS1_EviT_PT9_S7_lS9_S7_lPT10_S7_li,"axG",@progbits,_ZL37rocblas_syrkx_herkx_restricted_kernelIi19rocblas_complex_numIfELi16ELi32ELi8ELi1ELi0ELb1ELc84ELc85EKPKS1_KPS1_EviT_PT9_S7_lS9_S7_lPT10_S7_li,comdat
	.globl	_ZL37rocblas_syrkx_herkx_restricted_kernelIi19rocblas_complex_numIfELi16ELi32ELi8ELi1ELi0ELb1ELc84ELc85EKPKS1_KPS1_EviT_PT9_S7_lS9_S7_lPT10_S7_li ; -- Begin function _ZL37rocblas_syrkx_herkx_restricted_kernelIi19rocblas_complex_numIfELi16ELi32ELi8ELi1ELi0ELb1ELc84ELc85EKPKS1_KPS1_EviT_PT9_S7_lS9_S7_lPT10_S7_li
	.p2align	8
	.type	_ZL37rocblas_syrkx_herkx_restricted_kernelIi19rocblas_complex_numIfELi16ELi32ELi8ELi1ELi0ELb1ELc84ELc85EKPKS1_KPS1_EviT_PT9_S7_lS9_S7_lPT10_S7_li,@function
_ZL37rocblas_syrkx_herkx_restricted_kernelIi19rocblas_complex_numIfELi16ELi32ELi8ELi1ELi0ELb1ELc84ELc85EKPKS1_KPS1_EviT_PT9_S7_lS9_S7_lPT10_S7_li: ; @_ZL37rocblas_syrkx_herkx_restricted_kernelIi19rocblas_complex_numIfELi16ELi32ELi8ELi1ELi0ELb1ELc84ELc85EKPKS1_KPS1_EviT_PT9_S7_lS9_S7_lPT10_S7_li
; %bb.0:
	s_clause 0x1
	s_load_b64 s[4:5], s[0:1], 0x38
	s_load_b64 s[2:3], s[0:1], 0x0
	s_mov_b32 s6, s15
	s_mov_b32 s7, 0
	v_dual_mov_b32 v5, 0 :: v_dual_and_b32 v10, 0x3ff, v0
	s_lshl_b64 s[8:9], s[6:7], 3
	v_bfe_u32 v11, v0, 10, 10
	v_dual_mov_b32 v15, 0 :: v_dual_mov_b32 v4, 0
	v_dual_mov_b32 v14, 0 :: v_dual_mov_b32 v3, 0
	;; [unrolled: 1-line block ×3, first 2 shown]
	v_mov_b32_e32 v2, 0
	s_waitcnt lgkmcnt(0)
	s_add_u32 s4, s4, s8
	s_addc_u32 s5, s5, s9
	s_lshl_b32 s6, s13, 5
	s_load_b64 s[4:5], s[4:5], 0x0
	s_lshl_b32 s10, s14, 5
	s_cmp_lt_i32 s3, 1
	s_cbranch_scc1 .LBB787_3
; %bb.1:
	s_clause 0x3
	s_load_b64 s[12:13], s[0:1], 0x8
	s_load_b64 s[14:15], s[0:1], 0x20
	s_load_b32 s11, s[0:1], 0x10
	s_load_b32 s16, s[0:1], 0x28
	v_lshl_add_u32 v2, v11, 4, v10
	v_dual_mov_b32 v1, 0 :: v_dual_and_b32 v0, 7, v10
	v_lshlrev_b32_e32 v12, 3, v10
	v_lshl_add_u32 v13, v11, 6, 0x800
	s_delay_alu instid0(VALU_DEP_4) | instskip(SKIP_2) | instid1(VALU_DEP_3)
	v_and_b32_e32 v14, 31, v2
	v_lshrrev_b32_e32 v3, 3, v2
	v_lshrrev_b32_e32 v4, 5, v2
	v_dual_mov_b32 v5, v1 :: v_dual_add_nc_u32 v2, s6, v14
	s_delay_alu instid0(VALU_DEP_3)
	v_add_nc_u32_e32 v15, s10, v3
	s_waitcnt lgkmcnt(0)
	s_add_u32 s12, s12, s8
	s_addc_u32 s13, s13, s9
	s_add_u32 s8, s14, s8
	s_load_b64 s[12:13], s[12:13], 0x0
	s_addc_u32 s9, s15, s9
	v_mad_i64_i32 v[6:7], null, s11, v2, v[4:5]
	v_mov_b32_e32 v2, v1
	s_load_b64 s[8:9], s[8:9], 0x0
	v_lshlrev_b32_e32 v5, 3, v0
	v_mad_i64_i32 v[8:9], null, s16, v15, v[0:1]
	v_mov_b32_e32 v0, v1
	s_delay_alu instid0(VALU_DEP_3) | instskip(SKIP_3) | instid1(VALU_DEP_4)
	v_lshl_or_b32 v15, v3, 6, v5
	v_lshlrev_b64 v[5:6], 3, v[6:7]
	v_dual_mov_b32 v3, v1 :: v_dual_lshlrev_b32 v14, 3, v14
	v_lshlrev_b64 v[7:8], 3, v[8:9]
	v_add_nc_u32_e32 v17, 0x800, v15
	v_mov_b32_e32 v15, v1
	s_delay_alu instid0(VALU_DEP_4)
	v_lshl_or_b32 v16, v4, 8, v14
	s_waitcnt lgkmcnt(0)
	v_add_co_u32 v4, vcc_lo, v5, s12
	v_add_co_ci_u32_e32 v5, vcc_lo, s13, v6, vcc_lo
	v_add_co_u32 v9, vcc_lo, v7, s8
	v_add_co_ci_u32_e32 v14, vcc_lo, s9, v8, vcc_lo
	s_delay_alu instid0(VALU_DEP_4) | instskip(NEXT) | instid1(VALU_DEP_4)
	v_add_co_u32 v6, vcc_lo, v4, 4
	v_add_co_ci_u32_e32 v7, vcc_lo, 0, v5, vcc_lo
	s_delay_alu instid0(VALU_DEP_4) | instskip(NEXT) | instid1(VALU_DEP_4)
	v_add_co_u32 v8, vcc_lo, v9, 4
	v_add_co_ci_u32_e32 v9, vcc_lo, 0, v14, vcc_lo
	v_mov_b32_e32 v14, v1
	v_mov_b32_e32 v4, v1
	;; [unrolled: 1-line block ×3, first 2 shown]
.LBB787_2:                              ; =>This Inner Loop Header: Depth=1
	global_load_b64 v[18:19], v[6:7], off offset:-4
	global_load_b64 v[20:21], v[8:9], off offset:-4
	v_add_co_u32 v6, vcc_lo, v6, 64
	v_add_co_ci_u32_e32 v7, vcc_lo, 0, v7, vcc_lo
	v_add_co_u32 v8, vcc_lo, v8, 64
	v_add_co_ci_u32_e32 v9, vcc_lo, 0, v9, vcc_lo
	s_add_i32 s7, s7, 8
	s_waitcnt vmcnt(1)
	ds_store_b64 v16, v[18:19]
	s_waitcnt vmcnt(0)
	ds_store_b64 v17, v[20:21]
	s_waitcnt lgkmcnt(0)
	s_barrier
	buffer_gl0_inv
	ds_load_2addr_b64 v[18:21], v12 offset1:16
	ds_load_b128 v[22:25], v13
	ds_load_b128 v[26:29], v13 offset:1024
	ds_load_2addr_b64 v[30:33], v12 offset0:32 offset1:48
	ds_load_b128 v[34:37], v13 offset:16
	ds_load_b128 v[38:41], v13 offset:32
	;; [unrolled: 1-line block ×3, first 2 shown]
	ds_load_2addr_b64 v[46:49], v12 offset0:64 offset1:80
	ds_load_b128 v[50:53], v13 offset:1040
	ds_load_2addr_b64 v[54:57], v12 offset0:96 offset1:112
	ds_load_2addr_b64 v[58:61], v12 offset0:128 offset1:144
	;; [unrolled: 1-line block ×4, first 2 shown]
	ds_load_b128 v[70:73], v13 offset:1056
	ds_load_b128 v[74:77], v13 offset:1072
	s_cmp_ge_i32 s7, s3
	s_waitcnt lgkmcnt(13)
	v_dual_mul_f32 v78, v23, v19 :: v_dual_mul_f32 v81, v22, v21
	s_waitcnt lgkmcnt(11)
	v_dual_mul_f32 v83, v26, v19 :: v_dual_mul_f32 v86, v25, v33
	v_mul_f32_e32 v84, v26, v21
	v_dual_mul_f32 v79, v22, v19 :: v_dual_mul_f32 v80, v23, v21
	v_mul_f32_e32 v82, v27, v19
	v_mul_f32_e32 v19, v27, v21
	;; [unrolled: 1-line block ×3, first 2 shown]
	v_dual_mul_f32 v85, v24, v31 :: v_dual_fmac_f32 v84, v27, v20
	v_fmac_f32_e32 v83, v27, v18
	v_mul_f32_e32 v27, v24, v33
	v_fma_f32 v78, v22, v18, -v78
	v_fmac_f32_e32 v79, v23, v18
	v_fmac_f32_e32 v81, v23, v20
	v_fma_f32 v23, v26, v18, -v82
	v_mul_f32_e32 v18, v29, v31
	v_fma_f32 v26, v26, v20, -v19
	v_mul_f32_e32 v31, v28, v31
	v_mul_f32_e32 v19, v29, v33
	v_fmac_f32_e32 v85, v25, v30
	v_fmac_f32_e32 v27, v25, v32
	v_mul_f32_e32 v25, v28, v33
	v_fma_f32 v22, v22, v20, -v80
	v_fma_f32 v80, v24, v30, -v21
	;; [unrolled: 1-line block ×3, first 2 shown]
	s_waitcnt lgkmcnt(7)
	v_mul_f32_e32 v20, v35, v47
	v_mul_f32_e32 v33, v34, v47
	;; [unrolled: 1-line block ×3, first 2 shown]
	v_fma_f32 v82, v28, v30, -v18
	v_fmac_f32_e32 v31, v29, v30
	v_fma_f32 v28, v28, v32, -v19
	v_fmac_f32_e32 v25, v29, v32
	s_waitcnt lgkmcnt(6)
	v_dual_mul_f32 v29, v34, v49 :: v_dual_mul_f32 v18, v51, v47
	v_dual_mul_f32 v30, v50, v47 :: v_dual_mul_f32 v19, v51, v49
	s_waitcnt lgkmcnt(5)
	v_dual_mul_f32 v32, v50, v49 :: v_dual_mul_f32 v49, v36, v55
	v_fma_f32 v87, v34, v46, -v20
	v_fmac_f32_e32 v33, v35, v46
	v_fmac_f32_e32 v29, v35, v48
	v_fma_f32 v35, v50, v46, -v18
	v_fmac_f32_e32 v30, v51, v46
	v_fma_f32 v46, v50, v48, -v19
	v_fmac_f32_e32 v32, v51, v48
	v_mul_f32_e32 v18, v53, v55
	v_fma_f32 v34, v34, v48, -v21
	v_dual_mul_f32 v48, v36, v57 :: v_dual_mul_f32 v47, v37, v55
	v_mul_f32_e32 v86, v37, v57
	v_dual_mul_f32 v50, v52, v55 :: v_dual_mul_f32 v19, v53, v57
	v_fmac_f32_e32 v49, v37, v54
	s_delay_alu instid0(VALU_DEP_4)
	v_dual_fmac_f32 v48, v37, v56 :: v_dual_mul_f32 v37, v52, v57
	v_fma_f32 v47, v36, v54, -v47
	v_fma_f32 v36, v36, v56, -v86
	s_waitcnt lgkmcnt(4)
	v_mul_f32_e32 v20, v39, v59
	v_mul_f32_e32 v51, v38, v59
	;; [unrolled: 1-line block ×3, first 2 shown]
	v_fma_f32 v55, v52, v54, -v18
	v_fmac_f32_e32 v50, v53, v54
	v_fmac_f32_e32 v37, v53, v56
	s_waitcnt lgkmcnt(1)
	v_dual_mul_f32 v53, v38, v61 :: v_dual_mul_f32 v18, v71, v59
	v_fma_f32 v52, v52, v56, -v19
	v_dual_mul_f32 v54, v70, v59 :: v_dual_mul_f32 v19, v71, v61
	v_dual_mul_f32 v56, v70, v61 :: v_dual_mul_f32 v59, v40, v63
	v_fma_f32 v86, v38, v58, -v20
	v_fmac_f32_e32 v51, v39, v58
	v_fma_f32 v38, v38, v60, -v21
	v_dual_fmac_f32 v53, v39, v60 :: v_dual_add_f32 v14, v14, v81
	v_fma_f32 v39, v70, v58, -v18
	v_fmac_f32_e32 v54, v71, v58
	v_fma_f32 v58, v70, v60, -v19
	v_fmac_f32_e32 v56, v71, v60
	v_dual_mul_f32 v60, v40, v65 :: v_dual_mul_f32 v57, v41, v63
	v_dual_mul_f32 v61, v41, v65 :: v_dual_add_f32 v4, v4, v22
	v_mul_f32_e32 v18, v73, v63
	v_dual_mul_f32 v63, v72, v63 :: v_dual_add_f32 v2, v2, v26
	v_dual_mul_f32 v19, v73, v65 :: v_dual_add_f32 v0, v0, v83
	s_delay_alu instid0(VALU_DEP_4)
	v_dual_fmac_f32 v59, v41, v62 :: v_dual_add_f32 v4, v4, v24
	v_dual_fmac_f32 v60, v41, v64 :: v_dual_mul_f32 v41, v72, v65
	v_add_f32_e32 v14, v14, v27
	v_fma_f32 v57, v40, v62, -v57
	v_fma_f32 v40, v40, v64, -v61
	v_mul_f32_e32 v20, v43, v67
	v_dual_mul_f32 v61, v42, v67 :: v_dual_add_f32 v4, v4, v34
	v_dual_mul_f32 v21, v43, v69 :: v_dual_add_f32 v0, v0, v31
	v_fma_f32 v65, v72, v62, -v18
	v_dual_fmac_f32 v63, v73, v62 :: v_dual_add_f32 v2, v2, v28
	v_fma_f32 v62, v72, v64, -v19
	v_dual_fmac_f32 v41, v73, v64 :: v_dual_add_f32 v14, v14, v29
	v_mul_f32_e32 v64, v42, v69
	s_waitcnt lgkmcnt(0)
	v_mul_f32_e32 v18, v75, v67
	v_dual_mul_f32 v67, v74, v67 :: v_dual_add_f32 v0, v0, v30
	v_dual_mul_f32 v19, v75, v69 :: v_dual_add_f32 v2, v2, v46
	v_fma_f32 v70, v42, v66, -v20
	v_dual_fmac_f32 v61, v43, v66 :: v_dual_add_f32 v14, v14, v48
	v_fma_f32 v42, v42, v68, -v21
	v_fmac_f32_e32 v64, v43, v68
	v_fma_f32 v43, v74, v66, -v18
	v_dual_fmac_f32 v67, v75, v66 :: v_dual_add_f32 v2, v2, v52
	v_fma_f32 v66, v74, v68, -v19
	ds_load_2addr_b64 v[18:21], v12 offset0:224 offset1:240
	v_dual_mul_f32 v69, v74, v69 :: v_dual_add_f32 v4, v4, v36
	v_add_f32_e32 v0, v0, v50
	v_add_f32_e32 v14, v14, v53
	s_delay_alu instid0(VALU_DEP_3) | instskip(NEXT) | instid1(VALU_DEP_4)
	v_dual_add_f32 v2, v2, v58 :: v_dual_fmac_f32 v69, v75, v68
	v_add_f32_e32 v4, v4, v38
	s_delay_alu instid0(VALU_DEP_4) | instskip(NEXT) | instid1(VALU_DEP_4)
	v_add_f32_e32 v0, v0, v54
	v_dual_add_f32 v14, v14, v60 :: v_dual_add_f32 v5, v5, v78
	s_delay_alu instid0(VALU_DEP_4) | instskip(NEXT) | instid1(VALU_DEP_4)
	v_dual_add_f32 v2, v2, v62 :: v_dual_add_f32 v3, v3, v23
	v_dual_add_f32 v4, v4, v40 :: v_dual_add_f32 v15, v15, v79
	s_delay_alu instid0(VALU_DEP_4) | instskip(NEXT) | instid1(VALU_DEP_4)
	v_dual_add_f32 v0, v0, v63 :: v_dual_add_f32 v1, v1, v84
	v_add_f32_e32 v14, v14, v64
	s_delay_alu instid0(VALU_DEP_3) | instskip(SKIP_1) | instid1(VALU_DEP_4)
	v_add_f32_e32 v4, v4, v42
	v_add_f32_e32 v2, v2, v66
	;; [unrolled: 1-line block ×3, first 2 shown]
	s_waitcnt lgkmcnt(0)
	v_mul_f32_e32 v68, v45, v19
	v_dual_mul_f32 v72, v45, v21 :: v_dual_mul_f32 v71, v44, v19
	v_mul_f32_e32 v73, v77, v21
	s_delay_alu instid0(VALU_DEP_3) | instskip(NEXT) | instid1(VALU_DEP_3)
	v_fma_f32 v68, v44, v18, -v68
	v_fma_f32 v72, v44, v20, -v72
	s_delay_alu instid0(VALU_DEP_4) | instskip(SKIP_1) | instid1(VALU_DEP_3)
	v_dual_mul_f32 v44, v44, v21 :: v_dual_fmac_f32 v71, v45, v18
	v_mul_f32_e32 v21, v76, v21
	v_dual_add_f32 v15, v15, v85 :: v_dual_add_f32 v4, v4, v72
	s_delay_alu instid0(VALU_DEP_3) | instskip(SKIP_3) | instid1(VALU_DEP_4)
	v_fmac_f32_e32 v44, v45, v20
	v_mul_f32_e32 v45, v77, v19
	v_mul_f32_e32 v19, v76, v19
	v_fmac_f32_e32 v21, v77, v20
	v_dual_add_f32 v3, v3, v82 :: v_dual_add_f32 v14, v14, v44
	s_delay_alu instid0(VALU_DEP_4) | instskip(NEXT) | instid1(VALU_DEP_4)
	v_fma_f32 v45, v76, v18, -v45
	v_fmac_f32_e32 v19, v77, v18
	v_fma_f32 v18, v76, v20, -v73
	v_add_f32_e32 v5, v5, v80
	v_add_f32_e32 v1, v1, v25
	;; [unrolled: 1-line block ×3, first 2 shown]
	s_delay_alu instid0(VALU_DEP_4)
	v_dual_add_f32 v3, v3, v35 :: v_dual_add_f32 v2, v2, v18
	v_add_f32_e32 v0, v0, v19
	v_add_f32_e32 v5, v5, v87
	;; [unrolled: 1-line block ×5, first 2 shown]
	s_barrier
	v_add_f32_e32 v5, v5, v47
	v_add_f32_e32 v1, v1, v37
	;; [unrolled: 1-line block ×4, first 2 shown]
	buffer_gl0_inv
	v_add_f32_e32 v5, v5, v86
	v_add_f32_e32 v1, v1, v56
	;; [unrolled: 1-line block ×4, first 2 shown]
	s_delay_alu instid0(VALU_DEP_4) | instskip(NEXT) | instid1(VALU_DEP_4)
	v_add_f32_e32 v5, v5, v57
	v_add_f32_e32 v1, v1, v41
	s_delay_alu instid0(VALU_DEP_4) | instskip(NEXT) | instid1(VALU_DEP_4)
	v_add_f32_e32 v15, v15, v61
	v_add_f32_e32 v3, v3, v43
	;; [unrolled: 3-line block ×5, first 2 shown]
	s_cbranch_scc0 .LBB787_2
.LBB787_3:
	s_load_b32 s3, s[0:1], 0x40
	v_add_nc_u32_e32 v11, s10, v11
	v_add_nc_u32_e32 v7, s6, v10
	s_delay_alu instid0(VALU_DEP_2) | instskip(NEXT) | instid1(VALU_DEP_2)
	v_cmp_gt_i32_e32 vcc_lo, s2, v11
	v_cmp_le_i32_e64 s0, v7, v11
	s_delay_alu instid0(VALU_DEP_1) | instskip(SKIP_2) | instid1(VALU_DEP_1)
	s_and_b32 s0, vcc_lo, s0
	s_waitcnt lgkmcnt(0)
	v_mad_i64_i32 v[8:9], null, v11, s3, 0
	v_lshlrev_b64 v[8:9], 3, v[8:9]
	s_delay_alu instid0(VALU_DEP_1) | instskip(NEXT) | instid1(VALU_DEP_1)
	v_add_co_u32 v12, s1, s4, v8
	v_add_co_ci_u32_e64 v13, s1, s5, v9, s1
	s_and_saveexec_b32 s1, s0
	s_cbranch_execz .LBB787_5
; %bb.4:
	v_ashrrev_i32_e32 v8, 31, v7
	s_delay_alu instid0(VALU_DEP_1) | instskip(NEXT) | instid1(VALU_DEP_1)
	v_lshlrev_b64 v[8:9], 3, v[7:8]
	v_add_co_u32 v8, s0, v12, v8
	s_delay_alu instid0(VALU_DEP_1) | instskip(SKIP_1) | instid1(VALU_DEP_1)
	v_add_co_ci_u32_e64 v9, s0, v13, v9, s0
	v_cmp_ne_u32_e64 s0, v11, v7
	v_cndmask_b32_e64 v6, 0, v15, s0
	global_store_b64 v[8:9], v[5:6], off
.LBB787_5:
	s_or_b32 exec_lo, exec_lo, s1
	v_add_nc_u32_e32 v9, 16, v7
	s_delay_alu instid0(VALU_DEP_1) | instskip(NEXT) | instid1(VALU_DEP_1)
	v_cmp_le_i32_e64 s0, v9, v11
	s_and_b32 s1, vcc_lo, s0
	s_delay_alu instid0(SALU_CYCLE_1)
	s_and_saveexec_b32 s0, s1
	s_cbranch_execz .LBB787_7
; %bb.6:
	v_ashrrev_i32_e32 v10, 31, v9
	s_delay_alu instid0(VALU_DEP_1) | instskip(NEXT) | instid1(VALU_DEP_1)
	v_lshlrev_b64 v[5:6], 3, v[9:10]
	v_add_co_u32 v12, vcc_lo, v12, v5
	s_delay_alu instid0(VALU_DEP_2)
	v_add_co_ci_u32_e32 v13, vcc_lo, v13, v6, vcc_lo
	v_cmp_ne_u32_e32 vcc_lo, v11, v9
	v_cndmask_b32_e32 v5, 0, v14, vcc_lo
	global_store_b64 v[12:13], v[4:5], off
.LBB787_7:
	s_or_b32 exec_lo, exec_lo, s0
	v_add_nc_u32_e32 v10, 16, v11
	s_delay_alu instid0(VALU_DEP_1) | instskip(SKIP_2) | instid1(VALU_DEP_1)
	v_mad_i64_i32 v[4:5], null, v10, s3, 0
	v_cmp_gt_i32_e32 vcc_lo, s2, v10
	v_cmp_le_i32_e64 s0, v7, v10
	s_and_b32 s0, vcc_lo, s0
	s_delay_alu instid0(VALU_DEP_3) | instskip(NEXT) | instid1(VALU_DEP_1)
	v_lshlrev_b64 v[5:6], 3, v[4:5]
	v_add_co_u32 v5, s1, s4, v5
	s_delay_alu instid0(VALU_DEP_1)
	v_add_co_ci_u32_e64 v6, s1, s5, v6, s1
	s_and_saveexec_b32 s1, s0
	s_cbranch_execz .LBB787_9
; %bb.8:
	v_ashrrev_i32_e32 v8, 31, v7
	s_delay_alu instid0(VALU_DEP_1) | instskip(NEXT) | instid1(VALU_DEP_1)
	v_lshlrev_b64 v[12:13], 3, v[7:8]
	v_add_co_u32 v12, s0, v5, v12
	s_delay_alu instid0(VALU_DEP_1) | instskip(SKIP_1) | instid1(VALU_DEP_1)
	v_add_co_ci_u32_e64 v13, s0, v6, v13, s0
	v_cmp_ne_u32_e64 s0, v10, v7
	v_cndmask_b32_e64 v4, 0, v0, s0
	global_store_b64 v[12:13], v[3:4], off
.LBB787_9:
	s_or_b32 exec_lo, exec_lo, s1
	v_cmp_le_i32_e64 s0, v9, v10
	s_delay_alu instid0(VALU_DEP_1) | instskip(NEXT) | instid1(SALU_CYCLE_1)
	s_and_b32 s0, vcc_lo, s0
	s_and_saveexec_b32 s1, s0
	s_cbranch_execz .LBB787_11
; %bb.10:
	v_ashrrev_i32_e32 v10, 31, v9
	s_delay_alu instid0(VALU_DEP_1) | instskip(NEXT) | instid1(VALU_DEP_1)
	v_lshlrev_b64 v[3:4], 3, v[9:10]
	v_add_co_u32 v5, vcc_lo, v5, v3
	s_delay_alu instid0(VALU_DEP_2)
	v_add_co_ci_u32_e32 v6, vcc_lo, v6, v4, vcc_lo
	v_cmp_ne_u32_e32 vcc_lo, v11, v7
	v_cndmask_b32_e32 v3, 0, v1, vcc_lo
	global_store_b64 v[5:6], v[2:3], off
.LBB787_11:
	s_nop 0
	s_sendmsg sendmsg(MSG_DEALLOC_VGPRS)
	s_endpgm
	.section	.rodata,"a",@progbits
	.p2align	6, 0x0
	.amdhsa_kernel _ZL37rocblas_syrkx_herkx_restricted_kernelIi19rocblas_complex_numIfELi16ELi32ELi8ELi1ELi0ELb1ELc84ELc85EKPKS1_KPS1_EviT_PT9_S7_lS9_S7_lPT10_S7_li
		.amdhsa_group_segment_fixed_size 4096
		.amdhsa_private_segment_fixed_size 0
		.amdhsa_kernarg_size 84
		.amdhsa_user_sgpr_count 13
		.amdhsa_user_sgpr_dispatch_ptr 0
		.amdhsa_user_sgpr_queue_ptr 0
		.amdhsa_user_sgpr_kernarg_segment_ptr 1
		.amdhsa_user_sgpr_dispatch_id 0
		.amdhsa_user_sgpr_private_segment_size 0
		.amdhsa_wavefront_size32 1
		.amdhsa_uses_dynamic_stack 0
		.amdhsa_enable_private_segment 0
		.amdhsa_system_sgpr_workgroup_id_x 1
		.amdhsa_system_sgpr_workgroup_id_y 1
		.amdhsa_system_sgpr_workgroup_id_z 1
		.amdhsa_system_sgpr_workgroup_info 0
		.amdhsa_system_vgpr_workitem_id 1
		.amdhsa_next_free_vgpr 88
		.amdhsa_next_free_sgpr 17
		.amdhsa_reserve_vcc 1
		.amdhsa_float_round_mode_32 0
		.amdhsa_float_round_mode_16_64 0
		.amdhsa_float_denorm_mode_32 3
		.amdhsa_float_denorm_mode_16_64 3
		.amdhsa_dx10_clamp 1
		.amdhsa_ieee_mode 1
		.amdhsa_fp16_overflow 0
		.amdhsa_workgroup_processor_mode 1
		.amdhsa_memory_ordered 1
		.amdhsa_forward_progress 0
		.amdhsa_shared_vgpr_count 0
		.amdhsa_exception_fp_ieee_invalid_op 0
		.amdhsa_exception_fp_denorm_src 0
		.amdhsa_exception_fp_ieee_div_zero 0
		.amdhsa_exception_fp_ieee_overflow 0
		.amdhsa_exception_fp_ieee_underflow 0
		.amdhsa_exception_fp_ieee_inexact 0
		.amdhsa_exception_int_div_zero 0
	.end_amdhsa_kernel
	.section	.text._ZL37rocblas_syrkx_herkx_restricted_kernelIi19rocblas_complex_numIfELi16ELi32ELi8ELi1ELi0ELb1ELc84ELc85EKPKS1_KPS1_EviT_PT9_S7_lS9_S7_lPT10_S7_li,"axG",@progbits,_ZL37rocblas_syrkx_herkx_restricted_kernelIi19rocblas_complex_numIfELi16ELi32ELi8ELi1ELi0ELb1ELc84ELc85EKPKS1_KPS1_EviT_PT9_S7_lS9_S7_lPT10_S7_li,comdat
.Lfunc_end787:
	.size	_ZL37rocblas_syrkx_herkx_restricted_kernelIi19rocblas_complex_numIfELi16ELi32ELi8ELi1ELi0ELb1ELc84ELc85EKPKS1_KPS1_EviT_PT9_S7_lS9_S7_lPT10_S7_li, .Lfunc_end787-_ZL37rocblas_syrkx_herkx_restricted_kernelIi19rocblas_complex_numIfELi16ELi32ELi8ELi1ELi0ELb1ELc84ELc85EKPKS1_KPS1_EviT_PT9_S7_lS9_S7_lPT10_S7_li
                                        ; -- End function
	.section	.AMDGPU.csdata,"",@progbits
; Kernel info:
; codeLenInByte = 2100
; NumSgprs: 19
; NumVgprs: 88
; ScratchSize: 0
; MemoryBound: 0
; FloatMode: 240
; IeeeMode: 1
; LDSByteSize: 4096 bytes/workgroup (compile time only)
; SGPRBlocks: 2
; VGPRBlocks: 10
; NumSGPRsForWavesPerEU: 19
; NumVGPRsForWavesPerEU: 88
; Occupancy: 16
; WaveLimiterHint : 1
; COMPUTE_PGM_RSRC2:SCRATCH_EN: 0
; COMPUTE_PGM_RSRC2:USER_SGPR: 13
; COMPUTE_PGM_RSRC2:TRAP_HANDLER: 0
; COMPUTE_PGM_RSRC2:TGID_X_EN: 1
; COMPUTE_PGM_RSRC2:TGID_Y_EN: 1
; COMPUTE_PGM_RSRC2:TGID_Z_EN: 1
; COMPUTE_PGM_RSRC2:TIDIG_COMP_CNT: 1
	.section	.text._ZL37rocblas_syrkx_herkx_restricted_kernelIi19rocblas_complex_numIfELi16ELi32ELi8ELi1ELi0ELb1ELc67ELc85EKPKS1_KPS1_EviT_PT9_S7_lS9_S7_lPT10_S7_li,"axG",@progbits,_ZL37rocblas_syrkx_herkx_restricted_kernelIi19rocblas_complex_numIfELi16ELi32ELi8ELi1ELi0ELb1ELc67ELc85EKPKS1_KPS1_EviT_PT9_S7_lS9_S7_lPT10_S7_li,comdat
	.globl	_ZL37rocblas_syrkx_herkx_restricted_kernelIi19rocblas_complex_numIfELi16ELi32ELi8ELi1ELi0ELb1ELc67ELc85EKPKS1_KPS1_EviT_PT9_S7_lS9_S7_lPT10_S7_li ; -- Begin function _ZL37rocblas_syrkx_herkx_restricted_kernelIi19rocblas_complex_numIfELi16ELi32ELi8ELi1ELi0ELb1ELc67ELc85EKPKS1_KPS1_EviT_PT9_S7_lS9_S7_lPT10_S7_li
	.p2align	8
	.type	_ZL37rocblas_syrkx_herkx_restricted_kernelIi19rocblas_complex_numIfELi16ELi32ELi8ELi1ELi0ELb1ELc67ELc85EKPKS1_KPS1_EviT_PT9_S7_lS9_S7_lPT10_S7_li,@function
_ZL37rocblas_syrkx_herkx_restricted_kernelIi19rocblas_complex_numIfELi16ELi32ELi8ELi1ELi0ELb1ELc67ELc85EKPKS1_KPS1_EviT_PT9_S7_lS9_S7_lPT10_S7_li: ; @_ZL37rocblas_syrkx_herkx_restricted_kernelIi19rocblas_complex_numIfELi16ELi32ELi8ELi1ELi0ELb1ELc67ELc85EKPKS1_KPS1_EviT_PT9_S7_lS9_S7_lPT10_S7_li
; %bb.0:
	s_clause 0x1
	s_load_b64 s[4:5], s[0:1], 0x38
	s_load_b64 s[2:3], s[0:1], 0x0
	s_mov_b32 s6, s15
	s_mov_b32 s7, 0
	v_dual_mov_b32 v5, 0 :: v_dual_and_b32 v10, 0x3ff, v0
	s_lshl_b64 s[8:9], s[6:7], 3
	v_bfe_u32 v11, v0, 10, 10
	v_dual_mov_b32 v15, 0 :: v_dual_mov_b32 v4, 0
	v_dual_mov_b32 v14, 0 :: v_dual_mov_b32 v3, 0
	v_dual_mov_b32 v0, 0 :: v_dual_mov_b32 v1, 0
	v_mov_b32_e32 v2, 0
	s_waitcnt lgkmcnt(0)
	s_add_u32 s4, s4, s8
	s_addc_u32 s5, s5, s9
	s_lshl_b32 s6, s13, 5
	s_load_b64 s[4:5], s[4:5], 0x0
	s_lshl_b32 s10, s14, 5
	s_cmp_lt_i32 s3, 1
	s_cbranch_scc1 .LBB788_3
; %bb.1:
	s_clause 0x3
	s_load_b64 s[12:13], s[0:1], 0x8
	s_load_b64 s[14:15], s[0:1], 0x20
	s_load_b32 s11, s[0:1], 0x10
	s_load_b32 s16, s[0:1], 0x28
	v_lshl_add_u32 v2, v11, 4, v10
	v_dual_mov_b32 v1, 0 :: v_dual_and_b32 v0, 7, v10
	v_lshlrev_b32_e32 v12, 3, v10
	v_lshl_add_u32 v13, v11, 6, 0x800
	s_delay_alu instid0(VALU_DEP_4) | instskip(SKIP_2) | instid1(VALU_DEP_3)
	v_and_b32_e32 v14, 31, v2
	v_lshrrev_b32_e32 v3, 3, v2
	v_lshrrev_b32_e32 v4, 5, v2
	v_dual_mov_b32 v5, v1 :: v_dual_add_nc_u32 v2, s6, v14
	s_delay_alu instid0(VALU_DEP_3)
	v_add_nc_u32_e32 v15, s10, v3
	s_waitcnt lgkmcnt(0)
	s_add_u32 s12, s12, s8
	s_addc_u32 s13, s13, s9
	s_add_u32 s8, s14, s8
	s_load_b64 s[12:13], s[12:13], 0x0
	s_addc_u32 s9, s15, s9
	v_mad_i64_i32 v[6:7], null, s11, v2, v[4:5]
	v_mov_b32_e32 v2, v1
	s_load_b64 s[8:9], s[8:9], 0x0
	v_lshlrev_b32_e32 v5, 3, v0
	v_mad_i64_i32 v[8:9], null, s16, v15, v[0:1]
	v_mov_b32_e32 v0, v1
	s_delay_alu instid0(VALU_DEP_3) | instskip(SKIP_3) | instid1(VALU_DEP_4)
	v_lshl_or_b32 v15, v3, 6, v5
	v_lshlrev_b64 v[5:6], 3, v[6:7]
	v_dual_mov_b32 v3, v1 :: v_dual_lshlrev_b32 v14, 3, v14
	v_lshlrev_b64 v[7:8], 3, v[8:9]
	v_add_nc_u32_e32 v17, 0x800, v15
	v_mov_b32_e32 v15, v1
	s_delay_alu instid0(VALU_DEP_4)
	v_lshl_or_b32 v16, v4, 8, v14
	s_waitcnt lgkmcnt(0)
	v_add_co_u32 v4, vcc_lo, v5, s12
	v_add_co_ci_u32_e32 v5, vcc_lo, s13, v6, vcc_lo
	v_add_co_u32 v9, vcc_lo, v7, s8
	v_add_co_ci_u32_e32 v14, vcc_lo, s9, v8, vcc_lo
	s_delay_alu instid0(VALU_DEP_4) | instskip(NEXT) | instid1(VALU_DEP_4)
	v_add_co_u32 v6, vcc_lo, v4, 4
	v_add_co_ci_u32_e32 v7, vcc_lo, 0, v5, vcc_lo
	s_delay_alu instid0(VALU_DEP_4) | instskip(NEXT) | instid1(VALU_DEP_4)
	v_add_co_u32 v8, vcc_lo, v9, 4
	v_add_co_ci_u32_e32 v9, vcc_lo, 0, v14, vcc_lo
	v_mov_b32_e32 v14, v1
	v_mov_b32_e32 v4, v1
	;; [unrolled: 1-line block ×3, first 2 shown]
.LBB788_2:                              ; =>This Inner Loop Header: Depth=1
	global_load_b64 v[18:19], v[6:7], off offset:-4
	global_load_b64 v[20:21], v[8:9], off offset:-4
	v_add_co_u32 v6, vcc_lo, v6, 64
	v_add_co_ci_u32_e32 v7, vcc_lo, 0, v7, vcc_lo
	v_add_co_u32 v8, vcc_lo, v8, 64
	v_add_co_ci_u32_e32 v9, vcc_lo, 0, v9, vcc_lo
	s_add_i32 s7, s7, 8
	s_delay_alu instid0(SALU_CYCLE_1)
	s_cmp_ge_i32 s7, s3
	s_waitcnt vmcnt(1)
	v_xor_b32_e32 v19, 0x80000000, v19
	ds_store_b64 v16, v[18:19]
	s_waitcnt vmcnt(0)
	ds_store_b64 v17, v[20:21]
	s_waitcnt lgkmcnt(0)
	s_barrier
	buffer_gl0_inv
	ds_load_2addr_b64 v[18:21], v12 offset1:16
	ds_load_b128 v[22:25], v13
	ds_load_b128 v[26:29], v13 offset:1024
	ds_load_2addr_b64 v[30:33], v12 offset0:32 offset1:48
	ds_load_b128 v[34:37], v13 offset:16
	ds_load_b128 v[38:41], v13 offset:32
	;; [unrolled: 1-line block ×3, first 2 shown]
	ds_load_2addr_b64 v[46:49], v12 offset0:64 offset1:80
	ds_load_b128 v[50:53], v13 offset:1040
	ds_load_2addr_b64 v[54:57], v12 offset0:96 offset1:112
	ds_load_2addr_b64 v[58:61], v12 offset0:128 offset1:144
	;; [unrolled: 1-line block ×4, first 2 shown]
	ds_load_b128 v[70:73], v13 offset:1056
	ds_load_b128 v[74:77], v13 offset:1072
	s_waitcnt lgkmcnt(13)
	v_dual_mul_f32 v78, v23, v19 :: v_dual_mul_f32 v81, v22, v21
	s_waitcnt lgkmcnt(11)
	v_dual_mul_f32 v83, v26, v19 :: v_dual_mul_f32 v86, v25, v33
	v_mul_f32_e32 v84, v26, v21
	v_dual_mul_f32 v79, v22, v19 :: v_dual_mul_f32 v80, v23, v21
	v_mul_f32_e32 v82, v27, v19
	v_mul_f32_e32 v19, v27, v21
	;; [unrolled: 1-line block ×3, first 2 shown]
	v_dual_mul_f32 v85, v24, v31 :: v_dual_fmac_f32 v84, v27, v20
	v_fmac_f32_e32 v83, v27, v18
	v_mul_f32_e32 v27, v24, v33
	v_fma_f32 v78, v22, v18, -v78
	v_fmac_f32_e32 v79, v23, v18
	v_fmac_f32_e32 v81, v23, v20
	v_fma_f32 v23, v26, v18, -v82
	v_mul_f32_e32 v18, v29, v31
	v_fma_f32 v26, v26, v20, -v19
	v_mul_f32_e32 v31, v28, v31
	v_mul_f32_e32 v19, v29, v33
	v_fmac_f32_e32 v85, v25, v30
	v_fmac_f32_e32 v27, v25, v32
	v_mul_f32_e32 v25, v28, v33
	v_fma_f32 v22, v22, v20, -v80
	v_fma_f32 v80, v24, v30, -v21
	;; [unrolled: 1-line block ×3, first 2 shown]
	s_waitcnt lgkmcnt(7)
	v_mul_f32_e32 v20, v35, v47
	v_mul_f32_e32 v33, v34, v47
	;; [unrolled: 1-line block ×3, first 2 shown]
	v_fma_f32 v82, v28, v30, -v18
	v_fmac_f32_e32 v31, v29, v30
	v_fma_f32 v28, v28, v32, -v19
	v_fmac_f32_e32 v25, v29, v32
	s_waitcnt lgkmcnt(6)
	v_dual_mul_f32 v29, v34, v49 :: v_dual_mul_f32 v18, v51, v47
	v_dual_mul_f32 v30, v50, v47 :: v_dual_mul_f32 v19, v51, v49
	s_waitcnt lgkmcnt(5)
	v_dual_mul_f32 v32, v50, v49 :: v_dual_mul_f32 v49, v36, v55
	v_fma_f32 v87, v34, v46, -v20
	v_fmac_f32_e32 v33, v35, v46
	v_fmac_f32_e32 v29, v35, v48
	v_fma_f32 v35, v50, v46, -v18
	v_fmac_f32_e32 v30, v51, v46
	v_fma_f32 v46, v50, v48, -v19
	v_fmac_f32_e32 v32, v51, v48
	v_mul_f32_e32 v18, v53, v55
	v_fma_f32 v34, v34, v48, -v21
	v_dual_mul_f32 v48, v36, v57 :: v_dual_mul_f32 v47, v37, v55
	v_mul_f32_e32 v86, v37, v57
	v_dual_mul_f32 v50, v52, v55 :: v_dual_mul_f32 v19, v53, v57
	v_fmac_f32_e32 v49, v37, v54
	s_delay_alu instid0(VALU_DEP_4)
	v_dual_fmac_f32 v48, v37, v56 :: v_dual_mul_f32 v37, v52, v57
	v_fma_f32 v47, v36, v54, -v47
	v_fma_f32 v36, v36, v56, -v86
	s_waitcnt lgkmcnt(4)
	v_mul_f32_e32 v20, v39, v59
	v_mul_f32_e32 v51, v38, v59
	;; [unrolled: 1-line block ×3, first 2 shown]
	v_fma_f32 v55, v52, v54, -v18
	v_fmac_f32_e32 v50, v53, v54
	v_fmac_f32_e32 v37, v53, v56
	s_waitcnt lgkmcnt(1)
	v_dual_mul_f32 v53, v38, v61 :: v_dual_mul_f32 v18, v71, v59
	v_fma_f32 v52, v52, v56, -v19
	v_dual_mul_f32 v54, v70, v59 :: v_dual_mul_f32 v19, v71, v61
	v_dual_mul_f32 v56, v70, v61 :: v_dual_mul_f32 v59, v40, v63
	v_fma_f32 v86, v38, v58, -v20
	v_fmac_f32_e32 v51, v39, v58
	v_fma_f32 v38, v38, v60, -v21
	v_dual_fmac_f32 v53, v39, v60 :: v_dual_add_f32 v14, v14, v81
	v_fma_f32 v39, v70, v58, -v18
	v_fmac_f32_e32 v54, v71, v58
	v_fma_f32 v58, v70, v60, -v19
	v_fmac_f32_e32 v56, v71, v60
	v_dual_mul_f32 v60, v40, v65 :: v_dual_mul_f32 v57, v41, v63
	v_dual_mul_f32 v61, v41, v65 :: v_dual_add_f32 v4, v4, v22
	v_mul_f32_e32 v18, v73, v63
	v_dual_mul_f32 v63, v72, v63 :: v_dual_add_f32 v2, v2, v26
	v_dual_mul_f32 v19, v73, v65 :: v_dual_add_f32 v0, v0, v83
	s_delay_alu instid0(VALU_DEP_4)
	v_dual_fmac_f32 v59, v41, v62 :: v_dual_add_f32 v4, v4, v24
	v_dual_fmac_f32 v60, v41, v64 :: v_dual_mul_f32 v41, v72, v65
	v_add_f32_e32 v14, v14, v27
	v_fma_f32 v57, v40, v62, -v57
	v_fma_f32 v40, v40, v64, -v61
	v_mul_f32_e32 v20, v43, v67
	v_dual_mul_f32 v61, v42, v67 :: v_dual_add_f32 v4, v4, v34
	v_dual_mul_f32 v21, v43, v69 :: v_dual_add_f32 v0, v0, v31
	v_fma_f32 v65, v72, v62, -v18
	v_dual_fmac_f32 v63, v73, v62 :: v_dual_add_f32 v2, v2, v28
	v_fma_f32 v62, v72, v64, -v19
	v_dual_fmac_f32 v41, v73, v64 :: v_dual_add_f32 v14, v14, v29
	v_mul_f32_e32 v64, v42, v69
	s_waitcnt lgkmcnt(0)
	v_mul_f32_e32 v18, v75, v67
	v_dual_mul_f32 v67, v74, v67 :: v_dual_add_f32 v0, v0, v30
	v_dual_mul_f32 v19, v75, v69 :: v_dual_add_f32 v2, v2, v46
	v_fma_f32 v70, v42, v66, -v20
	v_dual_fmac_f32 v61, v43, v66 :: v_dual_add_f32 v14, v14, v48
	v_fma_f32 v42, v42, v68, -v21
	v_fmac_f32_e32 v64, v43, v68
	v_fma_f32 v43, v74, v66, -v18
	v_dual_fmac_f32 v67, v75, v66 :: v_dual_add_f32 v2, v2, v52
	v_fma_f32 v66, v74, v68, -v19
	ds_load_2addr_b64 v[18:21], v12 offset0:224 offset1:240
	v_dual_mul_f32 v69, v74, v69 :: v_dual_add_f32 v4, v4, v36
	v_add_f32_e32 v0, v0, v50
	v_add_f32_e32 v14, v14, v53
	s_delay_alu instid0(VALU_DEP_3) | instskip(NEXT) | instid1(VALU_DEP_4)
	v_dual_add_f32 v2, v2, v58 :: v_dual_fmac_f32 v69, v75, v68
	v_add_f32_e32 v4, v4, v38
	s_delay_alu instid0(VALU_DEP_4) | instskip(NEXT) | instid1(VALU_DEP_4)
	v_add_f32_e32 v0, v0, v54
	v_dual_add_f32 v14, v14, v60 :: v_dual_add_f32 v5, v5, v78
	s_delay_alu instid0(VALU_DEP_4) | instskip(NEXT) | instid1(VALU_DEP_4)
	v_dual_add_f32 v2, v2, v62 :: v_dual_add_f32 v3, v3, v23
	v_dual_add_f32 v4, v4, v40 :: v_dual_add_f32 v15, v15, v79
	s_delay_alu instid0(VALU_DEP_4) | instskip(NEXT) | instid1(VALU_DEP_4)
	v_dual_add_f32 v0, v0, v63 :: v_dual_add_f32 v1, v1, v84
	v_add_f32_e32 v14, v14, v64
	s_delay_alu instid0(VALU_DEP_3) | instskip(SKIP_1) | instid1(VALU_DEP_4)
	v_add_f32_e32 v4, v4, v42
	v_add_f32_e32 v2, v2, v66
	;; [unrolled: 1-line block ×3, first 2 shown]
	s_waitcnt lgkmcnt(0)
	v_mul_f32_e32 v68, v45, v19
	v_dual_mul_f32 v72, v45, v21 :: v_dual_mul_f32 v71, v44, v19
	v_mul_f32_e32 v73, v77, v21
	s_delay_alu instid0(VALU_DEP_3) | instskip(NEXT) | instid1(VALU_DEP_3)
	v_fma_f32 v68, v44, v18, -v68
	v_fma_f32 v72, v44, v20, -v72
	s_delay_alu instid0(VALU_DEP_4) | instskip(SKIP_1) | instid1(VALU_DEP_3)
	v_dual_mul_f32 v44, v44, v21 :: v_dual_fmac_f32 v71, v45, v18
	v_mul_f32_e32 v21, v76, v21
	v_dual_add_f32 v15, v15, v85 :: v_dual_add_f32 v4, v4, v72
	s_delay_alu instid0(VALU_DEP_3) | instskip(SKIP_3) | instid1(VALU_DEP_4)
	v_fmac_f32_e32 v44, v45, v20
	v_mul_f32_e32 v45, v77, v19
	v_mul_f32_e32 v19, v76, v19
	v_fmac_f32_e32 v21, v77, v20
	v_dual_add_f32 v3, v3, v82 :: v_dual_add_f32 v14, v14, v44
	s_delay_alu instid0(VALU_DEP_4) | instskip(NEXT) | instid1(VALU_DEP_4)
	v_fma_f32 v45, v76, v18, -v45
	v_fmac_f32_e32 v19, v77, v18
	v_fma_f32 v18, v76, v20, -v73
	v_add_f32_e32 v5, v5, v80
	v_add_f32_e32 v1, v1, v25
	v_add_f32_e32 v15, v15, v33
	s_delay_alu instid0(VALU_DEP_4)
	v_dual_add_f32 v3, v3, v35 :: v_dual_add_f32 v2, v2, v18
	v_add_f32_e32 v0, v0, v19
	v_add_f32_e32 v5, v5, v87
	;; [unrolled: 1-line block ×5, first 2 shown]
	s_barrier
	v_add_f32_e32 v5, v5, v47
	v_add_f32_e32 v1, v1, v37
	;; [unrolled: 1-line block ×4, first 2 shown]
	buffer_gl0_inv
	v_add_f32_e32 v5, v5, v86
	v_add_f32_e32 v1, v1, v56
	;; [unrolled: 1-line block ×4, first 2 shown]
	s_delay_alu instid0(VALU_DEP_4) | instskip(NEXT) | instid1(VALU_DEP_4)
	v_add_f32_e32 v5, v5, v57
	v_add_f32_e32 v1, v1, v41
	s_delay_alu instid0(VALU_DEP_4) | instskip(NEXT) | instid1(VALU_DEP_4)
	v_add_f32_e32 v15, v15, v61
	v_add_f32_e32 v3, v3, v43
	;; [unrolled: 3-line block ×5, first 2 shown]
	s_cbranch_scc0 .LBB788_2
.LBB788_3:
	s_load_b32 s3, s[0:1], 0x40
	v_add_nc_u32_e32 v11, s10, v11
	v_add_nc_u32_e32 v7, s6, v10
	s_delay_alu instid0(VALU_DEP_2) | instskip(NEXT) | instid1(VALU_DEP_2)
	v_cmp_gt_i32_e32 vcc_lo, s2, v11
	v_cmp_le_i32_e64 s0, v7, v11
	s_delay_alu instid0(VALU_DEP_1) | instskip(SKIP_2) | instid1(VALU_DEP_1)
	s_and_b32 s0, vcc_lo, s0
	s_waitcnt lgkmcnt(0)
	v_mad_i64_i32 v[8:9], null, v11, s3, 0
	v_lshlrev_b64 v[8:9], 3, v[8:9]
	s_delay_alu instid0(VALU_DEP_1) | instskip(NEXT) | instid1(VALU_DEP_1)
	v_add_co_u32 v12, s1, s4, v8
	v_add_co_ci_u32_e64 v13, s1, s5, v9, s1
	s_and_saveexec_b32 s1, s0
	s_cbranch_execz .LBB788_5
; %bb.4:
	v_ashrrev_i32_e32 v8, 31, v7
	s_delay_alu instid0(VALU_DEP_1) | instskip(NEXT) | instid1(VALU_DEP_1)
	v_lshlrev_b64 v[8:9], 3, v[7:8]
	v_add_co_u32 v8, s0, v12, v8
	s_delay_alu instid0(VALU_DEP_1) | instskip(SKIP_1) | instid1(VALU_DEP_1)
	v_add_co_ci_u32_e64 v9, s0, v13, v9, s0
	v_cmp_ne_u32_e64 s0, v11, v7
	v_cndmask_b32_e64 v6, 0, v15, s0
	global_store_b64 v[8:9], v[5:6], off
.LBB788_5:
	s_or_b32 exec_lo, exec_lo, s1
	v_add_nc_u32_e32 v9, 16, v7
	s_delay_alu instid0(VALU_DEP_1) | instskip(NEXT) | instid1(VALU_DEP_1)
	v_cmp_le_i32_e64 s0, v9, v11
	s_and_b32 s1, vcc_lo, s0
	s_delay_alu instid0(SALU_CYCLE_1)
	s_and_saveexec_b32 s0, s1
	s_cbranch_execz .LBB788_7
; %bb.6:
	v_ashrrev_i32_e32 v10, 31, v9
	s_delay_alu instid0(VALU_DEP_1) | instskip(NEXT) | instid1(VALU_DEP_1)
	v_lshlrev_b64 v[5:6], 3, v[9:10]
	v_add_co_u32 v12, vcc_lo, v12, v5
	s_delay_alu instid0(VALU_DEP_2)
	v_add_co_ci_u32_e32 v13, vcc_lo, v13, v6, vcc_lo
	v_cmp_ne_u32_e32 vcc_lo, v11, v9
	v_cndmask_b32_e32 v5, 0, v14, vcc_lo
	global_store_b64 v[12:13], v[4:5], off
.LBB788_7:
	s_or_b32 exec_lo, exec_lo, s0
	v_add_nc_u32_e32 v10, 16, v11
	s_delay_alu instid0(VALU_DEP_1) | instskip(SKIP_2) | instid1(VALU_DEP_1)
	v_mad_i64_i32 v[4:5], null, v10, s3, 0
	v_cmp_gt_i32_e32 vcc_lo, s2, v10
	v_cmp_le_i32_e64 s0, v7, v10
	s_and_b32 s0, vcc_lo, s0
	s_delay_alu instid0(VALU_DEP_3) | instskip(NEXT) | instid1(VALU_DEP_1)
	v_lshlrev_b64 v[5:6], 3, v[4:5]
	v_add_co_u32 v5, s1, s4, v5
	s_delay_alu instid0(VALU_DEP_1)
	v_add_co_ci_u32_e64 v6, s1, s5, v6, s1
	s_and_saveexec_b32 s1, s0
	s_cbranch_execz .LBB788_9
; %bb.8:
	v_ashrrev_i32_e32 v8, 31, v7
	s_delay_alu instid0(VALU_DEP_1) | instskip(NEXT) | instid1(VALU_DEP_1)
	v_lshlrev_b64 v[12:13], 3, v[7:8]
	v_add_co_u32 v12, s0, v5, v12
	s_delay_alu instid0(VALU_DEP_1) | instskip(SKIP_1) | instid1(VALU_DEP_1)
	v_add_co_ci_u32_e64 v13, s0, v6, v13, s0
	v_cmp_ne_u32_e64 s0, v10, v7
	v_cndmask_b32_e64 v4, 0, v0, s0
	global_store_b64 v[12:13], v[3:4], off
.LBB788_9:
	s_or_b32 exec_lo, exec_lo, s1
	v_cmp_le_i32_e64 s0, v9, v10
	s_delay_alu instid0(VALU_DEP_1) | instskip(NEXT) | instid1(SALU_CYCLE_1)
	s_and_b32 s0, vcc_lo, s0
	s_and_saveexec_b32 s1, s0
	s_cbranch_execz .LBB788_11
; %bb.10:
	v_ashrrev_i32_e32 v10, 31, v9
	s_delay_alu instid0(VALU_DEP_1) | instskip(NEXT) | instid1(VALU_DEP_1)
	v_lshlrev_b64 v[3:4], 3, v[9:10]
	v_add_co_u32 v5, vcc_lo, v5, v3
	s_delay_alu instid0(VALU_DEP_2)
	v_add_co_ci_u32_e32 v6, vcc_lo, v6, v4, vcc_lo
	v_cmp_ne_u32_e32 vcc_lo, v11, v7
	v_cndmask_b32_e32 v3, 0, v1, vcc_lo
	global_store_b64 v[5:6], v[2:3], off
.LBB788_11:
	s_nop 0
	s_sendmsg sendmsg(MSG_DEALLOC_VGPRS)
	s_endpgm
	.section	.rodata,"a",@progbits
	.p2align	6, 0x0
	.amdhsa_kernel _ZL37rocblas_syrkx_herkx_restricted_kernelIi19rocblas_complex_numIfELi16ELi32ELi8ELi1ELi0ELb1ELc67ELc85EKPKS1_KPS1_EviT_PT9_S7_lS9_S7_lPT10_S7_li
		.amdhsa_group_segment_fixed_size 4096
		.amdhsa_private_segment_fixed_size 0
		.amdhsa_kernarg_size 84
		.amdhsa_user_sgpr_count 13
		.amdhsa_user_sgpr_dispatch_ptr 0
		.amdhsa_user_sgpr_queue_ptr 0
		.amdhsa_user_sgpr_kernarg_segment_ptr 1
		.amdhsa_user_sgpr_dispatch_id 0
		.amdhsa_user_sgpr_private_segment_size 0
		.amdhsa_wavefront_size32 1
		.amdhsa_uses_dynamic_stack 0
		.amdhsa_enable_private_segment 0
		.amdhsa_system_sgpr_workgroup_id_x 1
		.amdhsa_system_sgpr_workgroup_id_y 1
		.amdhsa_system_sgpr_workgroup_id_z 1
		.amdhsa_system_sgpr_workgroup_info 0
		.amdhsa_system_vgpr_workitem_id 1
		.amdhsa_next_free_vgpr 88
		.amdhsa_next_free_sgpr 17
		.amdhsa_reserve_vcc 1
		.amdhsa_float_round_mode_32 0
		.amdhsa_float_round_mode_16_64 0
		.amdhsa_float_denorm_mode_32 3
		.amdhsa_float_denorm_mode_16_64 3
		.amdhsa_dx10_clamp 1
		.amdhsa_ieee_mode 1
		.amdhsa_fp16_overflow 0
		.amdhsa_workgroup_processor_mode 1
		.amdhsa_memory_ordered 1
		.amdhsa_forward_progress 0
		.amdhsa_shared_vgpr_count 0
		.amdhsa_exception_fp_ieee_invalid_op 0
		.amdhsa_exception_fp_denorm_src 0
		.amdhsa_exception_fp_ieee_div_zero 0
		.amdhsa_exception_fp_ieee_overflow 0
		.amdhsa_exception_fp_ieee_underflow 0
		.amdhsa_exception_fp_ieee_inexact 0
		.amdhsa_exception_int_div_zero 0
	.end_amdhsa_kernel
	.section	.text._ZL37rocblas_syrkx_herkx_restricted_kernelIi19rocblas_complex_numIfELi16ELi32ELi8ELi1ELi0ELb1ELc67ELc85EKPKS1_KPS1_EviT_PT9_S7_lS9_S7_lPT10_S7_li,"axG",@progbits,_ZL37rocblas_syrkx_herkx_restricted_kernelIi19rocblas_complex_numIfELi16ELi32ELi8ELi1ELi0ELb1ELc67ELc85EKPKS1_KPS1_EviT_PT9_S7_lS9_S7_lPT10_S7_li,comdat
.Lfunc_end788:
	.size	_ZL37rocblas_syrkx_herkx_restricted_kernelIi19rocblas_complex_numIfELi16ELi32ELi8ELi1ELi0ELb1ELc67ELc85EKPKS1_KPS1_EviT_PT9_S7_lS9_S7_lPT10_S7_li, .Lfunc_end788-_ZL37rocblas_syrkx_herkx_restricted_kernelIi19rocblas_complex_numIfELi16ELi32ELi8ELi1ELi0ELb1ELc67ELc85EKPKS1_KPS1_EviT_PT9_S7_lS9_S7_lPT10_S7_li
                                        ; -- End function
	.section	.AMDGPU.csdata,"",@progbits
; Kernel info:
; codeLenInByte = 2112
; NumSgprs: 19
; NumVgprs: 88
; ScratchSize: 0
; MemoryBound: 0
; FloatMode: 240
; IeeeMode: 1
; LDSByteSize: 4096 bytes/workgroup (compile time only)
; SGPRBlocks: 2
; VGPRBlocks: 10
; NumSGPRsForWavesPerEU: 19
; NumVGPRsForWavesPerEU: 88
; Occupancy: 16
; WaveLimiterHint : 1
; COMPUTE_PGM_RSRC2:SCRATCH_EN: 0
; COMPUTE_PGM_RSRC2:USER_SGPR: 13
; COMPUTE_PGM_RSRC2:TRAP_HANDLER: 0
; COMPUTE_PGM_RSRC2:TGID_X_EN: 1
; COMPUTE_PGM_RSRC2:TGID_Y_EN: 1
; COMPUTE_PGM_RSRC2:TGID_Z_EN: 1
; COMPUTE_PGM_RSRC2:TIDIG_COMP_CNT: 1
	.section	.text._ZL37rocblas_syrkx_herkx_restricted_kernelIi19rocblas_complex_numIfELi16ELi32ELi8ELi1ELi0ELb1ELc78ELc85EKPKS1_KPS1_EviT_PT9_S7_lS9_S7_lPT10_S7_li,"axG",@progbits,_ZL37rocblas_syrkx_herkx_restricted_kernelIi19rocblas_complex_numIfELi16ELi32ELi8ELi1ELi0ELb1ELc78ELc85EKPKS1_KPS1_EviT_PT9_S7_lS9_S7_lPT10_S7_li,comdat
	.globl	_ZL37rocblas_syrkx_herkx_restricted_kernelIi19rocblas_complex_numIfELi16ELi32ELi8ELi1ELi0ELb1ELc78ELc85EKPKS1_KPS1_EviT_PT9_S7_lS9_S7_lPT10_S7_li ; -- Begin function _ZL37rocblas_syrkx_herkx_restricted_kernelIi19rocblas_complex_numIfELi16ELi32ELi8ELi1ELi0ELb1ELc78ELc85EKPKS1_KPS1_EviT_PT9_S7_lS9_S7_lPT10_S7_li
	.p2align	8
	.type	_ZL37rocblas_syrkx_herkx_restricted_kernelIi19rocblas_complex_numIfELi16ELi32ELi8ELi1ELi0ELb1ELc78ELc85EKPKS1_KPS1_EviT_PT9_S7_lS9_S7_lPT10_S7_li,@function
_ZL37rocblas_syrkx_herkx_restricted_kernelIi19rocblas_complex_numIfELi16ELi32ELi8ELi1ELi0ELb1ELc78ELc85EKPKS1_KPS1_EviT_PT9_S7_lS9_S7_lPT10_S7_li: ; @_ZL37rocblas_syrkx_herkx_restricted_kernelIi19rocblas_complex_numIfELi16ELi32ELi8ELi1ELi0ELb1ELc78ELc85EKPKS1_KPS1_EviT_PT9_S7_lS9_S7_lPT10_S7_li
; %bb.0:
	s_clause 0x1
	s_load_b64 s[4:5], s[0:1], 0x38
	s_load_b64 s[2:3], s[0:1], 0x0
	s_mov_b32 s6, s15
	s_mov_b32 s7, 0
	v_dual_mov_b32 v3, 0 :: v_dual_and_b32 v8, 0x3ff, v0
	s_lshl_b64 s[8:9], s[6:7], 3
	v_bfe_u32 v9, v0, 10, 10
	v_dual_mov_b32 v17, 0 :: v_dual_mov_b32 v2, 0
	v_dual_mov_b32 v14, 0 :: v_dual_mov_b32 v1, 0
	;; [unrolled: 1-line block ×3, first 2 shown]
	v_mov_b32_e32 v10, 0
	s_waitcnt lgkmcnt(0)
	s_add_u32 s4, s4, s8
	s_addc_u32 s5, s5, s9
	s_lshl_b32 s6, s13, 5
	s_load_b64 s[4:5], s[4:5], 0x0
	s_lshl_b32 s12, s14, 5
	s_cmp_lt_i32 s3, 1
	s_cbranch_scc1 .LBB789_3
; %bb.1:
	s_clause 0x3
	s_load_b32 s10, s[0:1], 0x10
	s_load_b32 s14, s[0:1], 0x28
	s_load_b64 s[16:17], s[0:1], 0x8
	s_load_b64 s[18:19], s[0:1], 0x20
	v_lshl_add_u32 v0, v9, 4, v8
	v_and_b32_e32 v10, 7, v8
	v_lshlrev_b32_e32 v12, 3, v8
	v_lshl_add_u32 v13, v9, 6, 0x800
	v_mov_b32_e32 v17, 0
	v_and_b32_e32 v7, 31, v0
	v_lshrrev_b32_e32 v6, 3, v0
	v_lshrrev_b32_e32 v11, 5, v0
	v_lshlrev_b32_e32 v14, 3, v10
	s_delay_alu instid0(VALU_DEP_4) | instskip(NEXT) | instid1(VALU_DEP_4)
	v_add_nc_u32_e32 v2, s6, v7
	v_add_nc_u32_e32 v0, s12, v6
	s_delay_alu instid0(VALU_DEP_3) | instskip(SKIP_1) | instid1(VALU_DEP_4)
	v_lshl_or_b32 v6, v6, 6, v14
	v_mov_b32_e32 v14, 0
	v_ashrrev_i32_e32 v3, 31, v2
	s_waitcnt lgkmcnt(0)
	s_ashr_i32 s11, s10, 31
	s_ashr_i32 s15, s14, 31
	s_add_u32 s16, s16, s8
	s_addc_u32 s17, s17, s9
	s_add_u32 s8, s18, s8
	s_load_b64 s[16:17], s[16:17], 0x0
	s_addc_u32 s9, s19, s9
	v_ashrrev_i32_e32 v1, 31, v0
	s_load_b64 s[8:9], s[8:9], 0x0
	v_mad_i64_i32 v[4:5], null, s10, v11, v[2:3]
	v_add_nc_u32_e32 v16, 0x800, v6
	s_delay_alu instid0(VALU_DEP_3) | instskip(SKIP_3) | instid1(VALU_DEP_3)
	v_mad_i64_i32 v[2:3], null, s14, v10, v[0:1]
	v_dual_mov_b32 v10, 0 :: v_dual_lshlrev_b32 v1, 3, v7
	v_mov_b32_e32 v0, 0
	v_lshlrev_b64 v[4:5], 3, v[4:5]
	v_lshl_or_b32 v15, v11, 8, v1
	v_lshlrev_b64 v[1:2], 3, v[2:3]
	v_mov_b32_e32 v11, 0
	s_waitcnt lgkmcnt(0)
	s_delay_alu instid0(VALU_DEP_4) | instskip(SKIP_1) | instid1(VALU_DEP_4)
	v_add_co_u32 v3, vcc_lo, v4, s16
	v_add_co_ci_u32_e32 v5, vcc_lo, s17, v5, vcc_lo
	v_add_co_u32 v1, vcc_lo, v1, s8
	v_add_co_ci_u32_e32 v2, vcc_lo, s9, v2, vcc_lo
	s_delay_alu instid0(VALU_DEP_4) | instskip(NEXT) | instid1(VALU_DEP_4)
	v_add_co_u32 v4, vcc_lo, v3, 4
	v_add_co_ci_u32_e32 v5, vcc_lo, 0, v5, vcc_lo
	s_delay_alu instid0(VALU_DEP_4) | instskip(NEXT) | instid1(VALU_DEP_4)
	v_add_co_u32 v6, vcc_lo, v1, 4
	v_add_co_ci_u32_e32 v7, vcc_lo, 0, v2, vcc_lo
	v_dual_mov_b32 v1, 0 :: v_dual_mov_b32 v2, 0
	v_mov_b32_e32 v3, 0
	s_lshl_b64 s[8:9], s[10:11], 6
	s_lshl_b64 s[10:11], s[14:15], 6
.LBB789_2:                              ; =>This Inner Loop Header: Depth=1
	global_load_b64 v[18:19], v[6:7], off offset:-4
	global_load_b64 v[20:21], v[4:5], off offset:-4
	v_add_co_u32 v4, vcc_lo, v4, s8
	v_add_co_ci_u32_e32 v5, vcc_lo, s9, v5, vcc_lo
	v_add_co_u32 v6, vcc_lo, v6, s10
	v_add_co_ci_u32_e32 v7, vcc_lo, s11, v7, vcc_lo
	s_add_i32 s7, s7, 8
	s_delay_alu instid0(SALU_CYCLE_1)
	s_cmp_ge_i32 s7, s3
	s_waitcnt vmcnt(1)
	v_xor_b32_e32 v19, 0x80000000, v19
	s_waitcnt vmcnt(0)
	ds_store_b64 v15, v[20:21]
	ds_store_b64 v16, v[18:19]
	s_waitcnt lgkmcnt(0)
	s_barrier
	buffer_gl0_inv
	ds_load_2addr_b64 v[18:21], v12 offset1:16
	ds_load_b128 v[22:25], v13
	ds_load_b128 v[26:29], v13 offset:1024
	ds_load_b128 v[30:33], v13 offset:16
	ds_load_b128 v[34:37], v13 offset:32
	ds_load_b128 v[38:41], v13 offset:48
	ds_load_2addr_b64 v[42:45], v12 offset0:32 offset1:48
	ds_load_2addr_b64 v[46:49], v12 offset0:64 offset1:80
	ds_load_b128 v[50:53], v13 offset:1040
	ds_load_2addr_b64 v[54:57], v12 offset0:96 offset1:112
	ds_load_2addr_b64 v[58:61], v12 offset0:128 offset1:144
	;; [unrolled: 1-line block ×4, first 2 shown]
	ds_load_b128 v[70:73], v13 offset:1056
	ds_load_b128 v[74:77], v13 offset:1072
	ds_load_2addr_b64 v[78:81], v12 offset0:224 offset1:240
	s_waitcnt lgkmcnt(0)
	s_barrier
	buffer_gl0_inv
	v_dual_mul_f32 v82, v23, v19 :: v_dual_mul_f32 v85, v22, v21
	v_dual_mul_f32 v83, v22, v19 :: v_dual_mul_f32 v84, v23, v21
	v_mul_f32_e32 v86, v27, v19
	v_mul_f32_e32 v19, v26, v19
	;; [unrolled: 1-line block ×4, first 2 shown]
	v_fma_f32 v82, v22, v18, -v82
	v_fmac_f32_e32 v83, v23, v18
	v_fma_f32 v22, v22, v20, -v84
	v_fmac_f32_e32 v85, v23, v20
	v_fma_f32 v23, v26, v18, -v86
	v_dual_fmac_f32 v21, v27, v20 :: v_dual_mul_f32 v84, v24, v45
	v_fmac_f32_e32 v19, v27, v18
	v_fma_f32 v18, v26, v20, -v87
	v_mul_f32_e32 v20, v25, v43
	v_mul_f32_e32 v26, v24, v43
	v_fmac_f32_e32 v84, v25, v44
	v_dual_mul_f32 v27, v25, v45 :: v_dual_mul_f32 v86, v51, v47
	s_delay_alu instid0(VALU_DEP_4) | instskip(NEXT) | instid1(VALU_DEP_4)
	v_fma_f32 v20, v24, v42, -v20
	v_fmac_f32_e32 v26, v25, v42
	v_mul_f32_e32 v25, v29, v43
	s_delay_alu instid0(VALU_DEP_4)
	v_fma_f32 v24, v24, v44, -v27
	v_mul_f32_e32 v27, v28, v43
	v_mul_f32_e32 v43, v29, v45
	;; [unrolled: 1-line block ×3, first 2 shown]
	v_fma_f32 v25, v28, v42, -v25
	v_mul_f32_e32 v87, v51, v49
	v_fmac_f32_e32 v27, v29, v42
	v_fma_f32 v28, v28, v44, -v43
	v_fmac_f32_e32 v45, v29, v44
	v_mul_f32_e32 v29, v31, v47
	v_dual_mul_f32 v42, v30, v47 :: v_dual_mul_f32 v43, v31, v49
	v_mul_f32_e32 v44, v30, v49
	v_mul_f32_e32 v47, v50, v47
	;; [unrolled: 1-line block ×3, first 2 shown]
	v_fma_f32 v29, v30, v46, -v29
	v_fmac_f32_e32 v42, v31, v46
	v_fma_f32 v30, v30, v48, -v43
	v_fmac_f32_e32 v44, v31, v48
	v_fma_f32 v31, v50, v46, -v86
	v_mul_f32_e32 v86, v71, v59
	v_fmac_f32_e32 v47, v51, v46
	v_fma_f32 v43, v50, v48, -v87
	v_dual_fmac_f32 v49, v51, v48 :: v_dual_mul_f32 v46, v33, v55
	v_mul_f32_e32 v48, v32, v55
	v_mul_f32_e32 v50, v33, v57
	;; [unrolled: 1-line block ×4, first 2 shown]
	v_fma_f32 v46, v32, v54, -v46
	v_fmac_f32_e32 v48, v33, v54
	v_fma_f32 v32, v32, v56, -v50
	v_fmac_f32_e32 v51, v33, v56
	v_mul_f32_e32 v33, v53, v55
	v_dual_mul_f32 v50, v52, v55 :: v_dual_mul_f32 v55, v53, v57
	v_dual_mul_f32 v57, v52, v57 :: v_dual_add_f32 v2, v2, v22
	s_delay_alu instid0(VALU_DEP_3) | instskip(NEXT) | instid1(VALU_DEP_3)
	v_fma_f32 v33, v52, v54, -v33
	v_fmac_f32_e32 v50, v53, v54
	s_delay_alu instid0(VALU_DEP_4) | instskip(NEXT) | instid1(VALU_DEP_4)
	v_fma_f32 v52, v52, v56, -v55
	v_fmac_f32_e32 v57, v53, v56
	v_mul_f32_e32 v53, v35, v59
	v_dual_mul_f32 v54, v34, v59 :: v_dual_mul_f32 v55, v35, v61
	v_mul_f32_e32 v56, v34, v61
	v_mul_f32_e32 v59, v70, v59
	;; [unrolled: 1-line block ×3, first 2 shown]
	v_fma_f32 v53, v34, v58, -v53
	v_fmac_f32_e32 v54, v35, v58
	v_fma_f32 v34, v34, v60, -v55
	v_fmac_f32_e32 v56, v35, v60
	v_fma_f32 v35, v70, v58, -v86
	v_mul_f32_e32 v86, v75, v67
	v_fmac_f32_e32 v59, v71, v58
	v_fma_f32 v55, v70, v60, -v87
	v_dual_fmac_f32 v61, v71, v60 :: v_dual_mul_f32 v58, v37, v63
	v_mul_f32_e32 v60, v36, v63
	v_mul_f32_e32 v70, v37, v65
	;; [unrolled: 1-line block ×3, first 2 shown]
	v_add_f32_e32 v0, v0, v18
	v_fma_f32 v58, v36, v62, -v58
	v_fmac_f32_e32 v60, v37, v62
	v_fma_f32 v36, v36, v64, -v70
	v_fmac_f32_e32 v71, v37, v64
	v_mul_f32_e32 v37, v73, v63
	v_dual_mul_f32 v63, v72, v63 :: v_dual_mul_f32 v70, v73, v65
	v_dual_mul_f32 v65, v72, v65 :: v_dual_add_f32 v2, v2, v24
	s_delay_alu instid0(VALU_DEP_3) | instskip(NEXT) | instid1(VALU_DEP_3)
	v_fma_f32 v37, v72, v62, -v37
	v_fmac_f32_e32 v63, v73, v62
	s_delay_alu instid0(VALU_DEP_4) | instskip(NEXT) | instid1(VALU_DEP_4)
	v_fma_f32 v62, v72, v64, -v70
	v_dual_fmac_f32 v65, v73, v64 :: v_dual_add_f32 v14, v14, v85
	v_dual_mul_f32 v73, v38, v69 :: v_dual_mul_f32 v64, v39, v67
	v_mul_f32_e32 v70, v38, v67
	v_dual_mul_f32 v72, v39, v69 :: v_dual_mul_f32 v67, v74, v67
	v_dual_add_f32 v0, v0, v28 :: v_dual_mul_f32 v87, v75, v69
	v_add_f32_e32 v14, v14, v84
	v_mul_f32_e32 v69, v74, v69
	v_dual_fmac_f32 v73, v39, v68 :: v_dual_add_f32 v10, v10, v21
	v_fma_f32 v64, v38, v66, -v64
	v_fmac_f32_e32 v70, v39, v66
	v_fma_f32 v38, v38, v68, -v72
	v_fma_f32 v39, v74, v66, -v86
	v_dual_fmac_f32 v67, v75, v66 :: v_dual_add_f32 v10, v10, v45
	v_fma_f32 v66, v74, v68, -v87
	v_mul_f32_e32 v72, v40, v79
	v_mul_f32_e32 v74, v41, v81
	v_add_f32_e32 v2, v2, v30
	v_dual_add_f32 v0, v0, v43 :: v_dual_fmac_f32 v69, v75, v68
	v_dual_mul_f32 v68, v41, v79 :: v_dual_mul_f32 v75, v40, v81
	v_add_f32_e32 v14, v14, v44
	v_fmac_f32_e32 v72, v41, v78
	v_add_f32_e32 v10, v10, v49
	s_delay_alu instid0(VALU_DEP_4)
	v_fma_f32 v68, v40, v78, -v68
	v_fma_f32 v40, v40, v80, -v74
	v_fmac_f32_e32 v75, v41, v80
	v_dual_mul_f32 v41, v77, v79 :: v_dual_add_f32 v2, v2, v32
	v_dual_mul_f32 v74, v76, v79 :: v_dual_mul_f32 v79, v77, v81
	v_dual_add_f32 v14, v14, v51 :: v_dual_mul_f32 v81, v76, v81
	s_delay_alu instid0(VALU_DEP_3) | instskip(SKIP_1) | instid1(VALU_DEP_3)
	v_add_f32_e32 v2, v2, v34
	v_dual_add_f32 v3, v3, v82 :: v_dual_add_f32 v0, v0, v52
	v_dual_add_f32 v17, v17, v83 :: v_dual_add_f32 v14, v14, v56
	s_delay_alu instid0(VALU_DEP_4)
	v_dual_fmac_f32 v81, v77, v80 :: v_dual_add_f32 v10, v10, v57
	v_add_f32_e32 v1, v1, v23
	v_dual_add_f32 v11, v11, v19 :: v_dual_add_f32 v2, v2, v36
	v_dual_add_f32 v3, v3, v20 :: v_dual_add_f32 v0, v0, v55
	;; [unrolled: 1-line block ×3, first 2 shown]
	v_add_f32_e32 v10, v10, v61
	s_delay_alu instid0(VALU_DEP_3) | instskip(SKIP_3) | instid1(VALU_DEP_4)
	v_dual_add_f32 v1, v1, v25 :: v_dual_add_f32 v0, v0, v62
	v_add_f32_e32 v11, v11, v27
	v_dual_add_f32 v3, v3, v29 :: v_dual_add_f32 v2, v2, v38
	v_dual_add_f32 v17, v17, v42 :: v_dual_add_f32 v14, v14, v73
	;; [unrolled: 1-line block ×3, first 2 shown]
	s_delay_alu instid0(VALU_DEP_4) | instskip(SKIP_4) | instid1(VALU_DEP_3)
	v_dual_add_f32 v10, v10, v65 :: v_dual_add_f32 v11, v11, v47
	v_fma_f32 v41, v76, v78, -v41
	v_fma_f32 v76, v76, v80, -v79
	v_dual_add_f32 v3, v3, v46 :: v_dual_add_f32 v2, v2, v40
	v_dual_add_f32 v17, v17, v48 :: v_dual_add_f32 v14, v14, v75
	;; [unrolled: 1-line block ×4, first 2 shown]
	s_delay_alu instid0(VALU_DEP_4) | instskip(NEXT) | instid1(VALU_DEP_4)
	v_add_f32_e32 v3, v3, v53
	v_add_f32_e32 v17, v17, v54
	s_delay_alu instid0(VALU_DEP_3) | instskip(NEXT) | instid1(VALU_DEP_4)
	v_dual_add_f32 v1, v1, v35 :: v_dual_add_f32 v10, v10, v81
	v_add_f32_e32 v11, v11, v59
	s_delay_alu instid0(VALU_DEP_4) | instskip(NEXT) | instid1(VALU_DEP_4)
	v_add_f32_e32 v3, v3, v58
	v_add_f32_e32 v17, v17, v60
	s_delay_alu instid0(VALU_DEP_4) | instskip(NEXT) | instid1(VALU_DEP_4)
	v_add_f32_e32 v1, v1, v37
	v_dual_fmac_f32 v74, v77, v78 :: v_dual_add_f32 v11, v11, v63
	s_delay_alu instid0(VALU_DEP_4) | instskip(NEXT) | instid1(VALU_DEP_4)
	v_add_f32_e32 v3, v3, v64
	v_add_f32_e32 v17, v17, v70
	s_delay_alu instid0(VALU_DEP_4) | instskip(NEXT) | instid1(VALU_DEP_4)
	v_add_f32_e32 v1, v1, v39
	v_add_f32_e32 v11, v11, v67
	;; [unrolled: 3-line block ×4, first 2 shown]
	s_cbranch_scc0 .LBB789_2
.LBB789_3:
	s_load_b32 s3, s[0:1], 0x40
	v_add_nc_u32_e32 v9, s12, v9
	v_add_nc_u32_e32 v5, s6, v8
	s_delay_alu instid0(VALU_DEP_2) | instskip(NEXT) | instid1(VALU_DEP_2)
	v_cmp_gt_i32_e32 vcc_lo, s2, v9
	v_cmp_le_i32_e64 s0, v5, v9
	s_delay_alu instid0(VALU_DEP_1) | instskip(SKIP_2) | instid1(VALU_DEP_1)
	s_and_b32 s0, vcc_lo, s0
	s_waitcnt lgkmcnt(0)
	v_mad_i64_i32 v[6:7], null, v9, s3, 0
	v_lshlrev_b64 v[6:7], 3, v[6:7]
	s_delay_alu instid0(VALU_DEP_1) | instskip(NEXT) | instid1(VALU_DEP_1)
	v_add_co_u32 v12, s1, s4, v6
	v_add_co_ci_u32_e64 v13, s1, s5, v7, s1
	s_and_saveexec_b32 s1, s0
	s_cbranch_execz .LBB789_5
; %bb.4:
	v_ashrrev_i32_e32 v6, 31, v5
	s_delay_alu instid0(VALU_DEP_1) | instskip(NEXT) | instid1(VALU_DEP_1)
	v_lshlrev_b64 v[6:7], 3, v[5:6]
	v_add_co_u32 v6, s0, v12, v6
	s_delay_alu instid0(VALU_DEP_1) | instskip(SKIP_1) | instid1(VALU_DEP_1)
	v_add_co_ci_u32_e64 v7, s0, v13, v7, s0
	v_cmp_ne_u32_e64 s0, v9, v5
	v_cndmask_b32_e64 v4, 0, v17, s0
	global_store_b64 v[6:7], v[3:4], off
.LBB789_5:
	s_or_b32 exec_lo, exec_lo, s1
	v_add_nc_u32_e32 v7, 16, v5
	s_delay_alu instid0(VALU_DEP_1) | instskip(NEXT) | instid1(VALU_DEP_1)
	v_cmp_le_i32_e64 s0, v7, v9
	s_and_b32 s1, vcc_lo, s0
	s_delay_alu instid0(SALU_CYCLE_1)
	s_and_saveexec_b32 s0, s1
	s_cbranch_execz .LBB789_7
; %bb.6:
	v_ashrrev_i32_e32 v8, 31, v7
	s_delay_alu instid0(VALU_DEP_1) | instskip(NEXT) | instid1(VALU_DEP_1)
	v_lshlrev_b64 v[3:4], 3, v[7:8]
	v_add_co_u32 v12, vcc_lo, v12, v3
	s_delay_alu instid0(VALU_DEP_2)
	v_add_co_ci_u32_e32 v13, vcc_lo, v13, v4, vcc_lo
	v_cmp_ne_u32_e32 vcc_lo, v9, v7
	v_cndmask_b32_e32 v3, 0, v14, vcc_lo
	global_store_b64 v[12:13], v[2:3], off
.LBB789_7:
	s_or_b32 exec_lo, exec_lo, s0
	v_add_nc_u32_e32 v8, 16, v9
	s_delay_alu instid0(VALU_DEP_1) | instskip(SKIP_2) | instid1(VALU_DEP_1)
	v_mad_i64_i32 v[2:3], null, v8, s3, 0
	v_cmp_gt_i32_e32 vcc_lo, s2, v8
	v_cmp_le_i32_e64 s0, v5, v8
	s_and_b32 s0, vcc_lo, s0
	s_delay_alu instid0(VALU_DEP_3) | instskip(NEXT) | instid1(VALU_DEP_1)
	v_lshlrev_b64 v[3:4], 3, v[2:3]
	v_add_co_u32 v3, s1, s4, v3
	s_delay_alu instid0(VALU_DEP_1)
	v_add_co_ci_u32_e64 v4, s1, s5, v4, s1
	s_and_saveexec_b32 s1, s0
	s_cbranch_execz .LBB789_9
; %bb.8:
	v_ashrrev_i32_e32 v6, 31, v5
	s_delay_alu instid0(VALU_DEP_1) | instskip(NEXT) | instid1(VALU_DEP_1)
	v_lshlrev_b64 v[12:13], 3, v[5:6]
	v_add_co_u32 v12, s0, v3, v12
	s_delay_alu instid0(VALU_DEP_1) | instskip(SKIP_1) | instid1(VALU_DEP_1)
	v_add_co_ci_u32_e64 v13, s0, v4, v13, s0
	v_cmp_ne_u32_e64 s0, v8, v5
	v_cndmask_b32_e64 v2, 0, v11, s0
	global_store_b64 v[12:13], v[1:2], off
.LBB789_9:
	s_or_b32 exec_lo, exec_lo, s1
	v_cmp_le_i32_e64 s0, v7, v8
	s_delay_alu instid0(VALU_DEP_1) | instskip(NEXT) | instid1(SALU_CYCLE_1)
	s_and_b32 s0, vcc_lo, s0
	s_and_saveexec_b32 s1, s0
	s_cbranch_execz .LBB789_11
; %bb.10:
	v_ashrrev_i32_e32 v8, 31, v7
	s_delay_alu instid0(VALU_DEP_1) | instskip(NEXT) | instid1(VALU_DEP_1)
	v_lshlrev_b64 v[1:2], 3, v[7:8]
	v_add_co_u32 v3, vcc_lo, v3, v1
	s_delay_alu instid0(VALU_DEP_2)
	v_add_co_ci_u32_e32 v4, vcc_lo, v4, v2, vcc_lo
	v_cmp_ne_u32_e32 vcc_lo, v9, v5
	v_cndmask_b32_e32 v1, 0, v10, vcc_lo
	global_store_b64 v[3:4], v[0:1], off
.LBB789_11:
	s_nop 0
	s_sendmsg sendmsg(MSG_DEALLOC_VGPRS)
	s_endpgm
	.section	.rodata,"a",@progbits
	.p2align	6, 0x0
	.amdhsa_kernel _ZL37rocblas_syrkx_herkx_restricted_kernelIi19rocblas_complex_numIfELi16ELi32ELi8ELi1ELi0ELb1ELc78ELc85EKPKS1_KPS1_EviT_PT9_S7_lS9_S7_lPT10_S7_li
		.amdhsa_group_segment_fixed_size 4096
		.amdhsa_private_segment_fixed_size 0
		.amdhsa_kernarg_size 84
		.amdhsa_user_sgpr_count 13
		.amdhsa_user_sgpr_dispatch_ptr 0
		.amdhsa_user_sgpr_queue_ptr 0
		.amdhsa_user_sgpr_kernarg_segment_ptr 1
		.amdhsa_user_sgpr_dispatch_id 0
		.amdhsa_user_sgpr_private_segment_size 0
		.amdhsa_wavefront_size32 1
		.amdhsa_uses_dynamic_stack 0
		.amdhsa_enable_private_segment 0
		.amdhsa_system_sgpr_workgroup_id_x 1
		.amdhsa_system_sgpr_workgroup_id_y 1
		.amdhsa_system_sgpr_workgroup_id_z 1
		.amdhsa_system_sgpr_workgroup_info 0
		.amdhsa_system_vgpr_workitem_id 1
		.amdhsa_next_free_vgpr 88
		.amdhsa_next_free_sgpr 20
		.amdhsa_reserve_vcc 1
		.amdhsa_float_round_mode_32 0
		.amdhsa_float_round_mode_16_64 0
		.amdhsa_float_denorm_mode_32 3
		.amdhsa_float_denorm_mode_16_64 3
		.amdhsa_dx10_clamp 1
		.amdhsa_ieee_mode 1
		.amdhsa_fp16_overflow 0
		.amdhsa_workgroup_processor_mode 1
		.amdhsa_memory_ordered 1
		.amdhsa_forward_progress 0
		.amdhsa_shared_vgpr_count 0
		.amdhsa_exception_fp_ieee_invalid_op 0
		.amdhsa_exception_fp_denorm_src 0
		.amdhsa_exception_fp_ieee_div_zero 0
		.amdhsa_exception_fp_ieee_overflow 0
		.amdhsa_exception_fp_ieee_underflow 0
		.amdhsa_exception_fp_ieee_inexact 0
		.amdhsa_exception_int_div_zero 0
	.end_amdhsa_kernel
	.section	.text._ZL37rocblas_syrkx_herkx_restricted_kernelIi19rocblas_complex_numIfELi16ELi32ELi8ELi1ELi0ELb1ELc78ELc85EKPKS1_KPS1_EviT_PT9_S7_lS9_S7_lPT10_S7_li,"axG",@progbits,_ZL37rocblas_syrkx_herkx_restricted_kernelIi19rocblas_complex_numIfELi16ELi32ELi8ELi1ELi0ELb1ELc78ELc85EKPKS1_KPS1_EviT_PT9_S7_lS9_S7_lPT10_S7_li,comdat
.Lfunc_end789:
	.size	_ZL37rocblas_syrkx_herkx_restricted_kernelIi19rocblas_complex_numIfELi16ELi32ELi8ELi1ELi0ELb1ELc78ELc85EKPKS1_KPS1_EviT_PT9_S7_lS9_S7_lPT10_S7_li, .Lfunc_end789-_ZL37rocblas_syrkx_herkx_restricted_kernelIi19rocblas_complex_numIfELi16ELi32ELi8ELi1ELi0ELb1ELc78ELc85EKPKS1_KPS1_EviT_PT9_S7_lS9_S7_lPT10_S7_li
                                        ; -- End function
	.section	.AMDGPU.csdata,"",@progbits
; Kernel info:
; codeLenInByte = 2108
; NumSgprs: 22
; NumVgprs: 88
; ScratchSize: 0
; MemoryBound: 0
; FloatMode: 240
; IeeeMode: 1
; LDSByteSize: 4096 bytes/workgroup (compile time only)
; SGPRBlocks: 2
; VGPRBlocks: 10
; NumSGPRsForWavesPerEU: 22
; NumVGPRsForWavesPerEU: 88
; Occupancy: 16
; WaveLimiterHint : 1
; COMPUTE_PGM_RSRC2:SCRATCH_EN: 0
; COMPUTE_PGM_RSRC2:USER_SGPR: 13
; COMPUTE_PGM_RSRC2:TRAP_HANDLER: 0
; COMPUTE_PGM_RSRC2:TGID_X_EN: 1
; COMPUTE_PGM_RSRC2:TGID_Y_EN: 1
; COMPUTE_PGM_RSRC2:TGID_Z_EN: 1
; COMPUTE_PGM_RSRC2:TIDIG_COMP_CNT: 1
	.section	.text._ZL37rocblas_syrkx_herkx_restricted_kernelIi19rocblas_complex_numIfELi16ELi32ELi8ELin1ELi0ELb1ELc84ELc76EKPKS1_KPS1_EviT_PT9_S7_lS9_S7_lPT10_S7_li,"axG",@progbits,_ZL37rocblas_syrkx_herkx_restricted_kernelIi19rocblas_complex_numIfELi16ELi32ELi8ELin1ELi0ELb1ELc84ELc76EKPKS1_KPS1_EviT_PT9_S7_lS9_S7_lPT10_S7_li,comdat
	.globl	_ZL37rocblas_syrkx_herkx_restricted_kernelIi19rocblas_complex_numIfELi16ELi32ELi8ELin1ELi0ELb1ELc84ELc76EKPKS1_KPS1_EviT_PT9_S7_lS9_S7_lPT10_S7_li ; -- Begin function _ZL37rocblas_syrkx_herkx_restricted_kernelIi19rocblas_complex_numIfELi16ELi32ELi8ELin1ELi0ELb1ELc84ELc76EKPKS1_KPS1_EviT_PT9_S7_lS9_S7_lPT10_S7_li
	.p2align	8
	.type	_ZL37rocblas_syrkx_herkx_restricted_kernelIi19rocblas_complex_numIfELi16ELi32ELi8ELin1ELi0ELb1ELc84ELc76EKPKS1_KPS1_EviT_PT9_S7_lS9_S7_lPT10_S7_li,@function
_ZL37rocblas_syrkx_herkx_restricted_kernelIi19rocblas_complex_numIfELi16ELi32ELi8ELin1ELi0ELb1ELc84ELc76EKPKS1_KPS1_EviT_PT9_S7_lS9_S7_lPT10_S7_li: ; @_ZL37rocblas_syrkx_herkx_restricted_kernelIi19rocblas_complex_numIfELi16ELi32ELi8ELin1ELi0ELb1ELc84ELc76EKPKS1_KPS1_EviT_PT9_S7_lS9_S7_lPT10_S7_li
; %bb.0:
	s_clause 0x1
	s_load_b64 s[2:3], s[0:1], 0x38
	s_load_b64 s[4:5], s[0:1], 0x0
	s_mov_b32 s6, s15
	s_mov_b32 s7, 0
	v_dual_mov_b32 v17, 0 :: v_dual_and_b32 v6, 0x3ff, v0
	s_lshl_b64 s[8:9], s[6:7], 3
	v_bfe_u32 v8, v0, 10, 10
	v_dual_mov_b32 v16, 0 :: v_dual_mov_b32 v13, 0
	v_dual_mov_b32 v12, 0 :: v_dual_mov_b32 v9, 0
	;; [unrolled: 1-line block ×3, first 2 shown]
	v_mov_b32_e32 v1, 0
	s_waitcnt lgkmcnt(0)
	s_add_u32 s2, s2, s8
	s_addc_u32 s3, s3, s9
	s_lshl_b32 s6, s13, 5
	s_load_b64 s[2:3], s[2:3], 0x0
	s_lshl_b32 s10, s14, 5
	s_cmp_lt_i32 s5, 1
	s_cbranch_scc1 .LBB790_3
; %bb.1:
	s_clause 0x3
	s_load_b64 s[12:13], s[0:1], 0x8
	s_load_b64 s[14:15], s[0:1], 0x20
	s_load_b32 s11, s[0:1], 0x10
	s_load_b32 s16, s[0:1], 0x28
	v_lshl_add_u32 v2, v8, 4, v6
	v_dual_mov_b32 v1, 0 :: v_dual_and_b32 v0, 7, v6
	v_lshlrev_b32_e32 v10, 3, v6
	v_lshl_add_u32 v11, v8, 6, 0x800
	s_delay_alu instid0(VALU_DEP_4)
	v_and_b32_e32 v14, 31, v2
	v_lshrrev_b32_e32 v9, 3, v2
	v_lshrrev_b32_e32 v2, 5, v2
	v_mov_b32_e32 v3, v1
	v_mov_b32_e32 v17, v1
	v_add_nc_u32_e32 v7, s6, v14
	v_dual_mov_b32 v16, v1 :: v_dual_add_nc_u32 v15, s10, v9
	s_waitcnt lgkmcnt(0)
	s_add_u32 s12, s12, s8
	s_addc_u32 s13, s13, s9
	s_add_u32 s8, s14, s8
	s_load_b64 s[12:13], s[12:13], 0x0
	s_addc_u32 s9, s15, s9
	v_mad_i64_i32 v[4:5], null, s11, v7, v[2:3]
	s_load_b64 s[8:9], s[8:9], 0x0
	v_lshlrev_b32_e32 v3, 3, v0
	v_mad_i64_i32 v[12:13], null, s16, v15, v[0:1]
	v_dual_mov_b32 v7, v1 :: v_dual_lshlrev_b32 v14, 3, v14
	s_delay_alu instid0(VALU_DEP_3)
	v_lshl_or_b32 v15, v9, 6, v3
	v_mov_b32_e32 v9, v1
	v_lshlrev_b64 v[3:4], 3, v[4:5]
	v_mov_b32_e32 v0, v1
	v_lshlrev_b64 v[12:13], 3, v[12:13]
	v_lshl_or_b32 v14, v2, 8, v14
	v_add_nc_u32_e32 v15, 0x800, v15
	s_waitcnt lgkmcnt(0)
	v_add_co_u32 v2, vcc_lo, v3, s12
	v_add_co_ci_u32_e32 v3, vcc_lo, s13, v4, vcc_lo
	v_add_co_u32 v4, vcc_lo, v12, s8
	v_add_co_ci_u32_e32 v5, vcc_lo, s9, v13, vcc_lo
	s_delay_alu instid0(VALU_DEP_4) | instskip(NEXT) | instid1(VALU_DEP_4)
	v_add_co_u32 v2, vcc_lo, v2, 4
	v_add_co_ci_u32_e32 v3, vcc_lo, 0, v3, vcc_lo
	s_delay_alu instid0(VALU_DEP_4) | instskip(NEXT) | instid1(VALU_DEP_4)
	v_add_co_u32 v4, vcc_lo, v4, 4
	v_add_co_ci_u32_e32 v5, vcc_lo, 0, v5, vcc_lo
	v_mov_b32_e32 v12, v1
	v_mov_b32_e32 v13, v1
.LBB790_2:                              ; =>This Inner Loop Header: Depth=1
	global_load_b64 v[18:19], v[2:3], off offset:-4
	global_load_b64 v[20:21], v[4:5], off offset:-4
	v_add_co_u32 v2, vcc_lo, v2, 64
	v_add_co_ci_u32_e32 v3, vcc_lo, 0, v3, vcc_lo
	v_add_co_u32 v4, vcc_lo, v4, 64
	v_add_co_ci_u32_e32 v5, vcc_lo, 0, v5, vcc_lo
	s_add_i32 s7, s7, 8
	s_waitcnt vmcnt(1)
	ds_store_b64 v14, v[18:19]
	s_waitcnt vmcnt(0)
	ds_store_b64 v15, v[20:21]
	s_waitcnt lgkmcnt(0)
	s_barrier
	buffer_gl0_inv
	ds_load_2addr_b64 v[18:21], v10 offset1:16
	ds_load_b128 v[22:25], v11
	ds_load_b128 v[26:29], v11 offset:1024
	ds_load_b128 v[30:33], v11 offset:16
	ds_load_2addr_b64 v[34:37], v10 offset0:32 offset1:48
	ds_load_b128 v[38:41], v11 offset:32
	ds_load_b128 v[42:45], v11 offset:48
	ds_load_2addr_b64 v[46:49], v10 offset0:64 offset1:80
	ds_load_b128 v[50:53], v11 offset:1040
	ds_load_2addr_b64 v[54:57], v10 offset0:96 offset1:112
	ds_load_2addr_b64 v[58:61], v10 offset0:128 offset1:144
	;; [unrolled: 1-line block ×4, first 2 shown]
	ds_load_b128 v[70:73], v11 offset:1056
	ds_load_b128 v[74:77], v11 offset:1072
	ds_load_2addr_b64 v[78:81], v10 offset0:224 offset1:240
	s_cmp_ge_i32 s7, s5
	s_waitcnt lgkmcnt(0)
	s_barrier
	buffer_gl0_inv
	v_dual_mul_f32 v82, v23, v19 :: v_dual_mul_f32 v85, v22, v21
	v_dual_mul_f32 v83, v22, v19 :: v_dual_mul_f32 v84, v23, v21
	v_mul_f32_e32 v86, v27, v19
	v_dual_mul_f32 v19, v26, v19 :: v_dual_mul_f32 v90, v25, v37
	v_dual_mul_f32 v87, v27, v21 :: v_dual_mul_f32 v88, v25, v35
	v_mul_f32_e32 v21, v26, v21
	v_fma_f32 v82, v22, v18, -v82
	v_fmac_f32_e32 v83, v23, v18
	v_fma_f32 v22, v22, v20, -v84
	v_fmac_f32_e32 v85, v23, v20
	v_fma_f32 v23, v26, v18, -v86
	v_dual_fmac_f32 v19, v27, v18 :: v_dual_mul_f32 v86, v30, v47
	v_fma_f32 v18, v26, v20, -v87
	v_dual_fmac_f32 v21, v27, v20 :: v_dual_mul_f32 v20, v24, v37
	v_mul_f32_e32 v89, v24, v35
	v_mul_f32_e32 v26, v29, v35
	;; [unrolled: 1-line block ×4, first 2 shown]
	v_fmac_f32_e32 v20, v25, v36
	v_fmac_f32_e32 v89, v25, v34
	v_dual_mul_f32 v25, v28, v37 :: v_dual_fmac_f32 v86, v31, v46
	v_fma_f32 v84, v24, v34, -v88
	v_fma_f32 v24, v24, v36, -v90
	v_dual_mul_f32 v37, v31, v47 :: v_dual_mul_f32 v90, v33, v57
	v_fma_f32 v26, v28, v34, -v26
	v_fma_f32 v28, v28, v36, -v35
	v_fmac_f32_e32 v25, v29, v36
	v_dual_mul_f32 v35, v50, v47 :: v_dual_mul_f32 v36, v51, v49
	v_dual_fmac_f32 v27, v29, v34 :: v_dual_mul_f32 v34, v51, v47
	v_dual_mul_f32 v88, v32, v55 :: v_dual_mul_f32 v29, v30, v49
	v_mul_f32_e32 v87, v31, v49
	v_fma_f32 v37, v30, v46, -v37
	v_add_f32_e32 v16, v16, v82
	s_delay_alu instid0(VALU_DEP_4)
	v_dual_fmac_f32 v88, v33, v54 :: v_dual_fmac_f32 v29, v31, v48
	v_fma_f32 v31, v50, v46, -v34
	v_fma_f32 v34, v50, v48, -v36
	v_mul_f32_e32 v36, v32, v57
	v_mul_f32_e32 v47, v50, v49
	v_dual_mul_f32 v50, v53, v57 :: v_dual_fmac_f32 v35, v51, v46
	v_mul_f32_e32 v46, v53, v55
	v_mul_f32_e32 v49, v33, v55
	v_fma_f32 v30, v30, v48, -v87
	v_fmac_f32_e32 v36, v33, v56
	v_dual_fmac_f32 v47, v51, v48 :: v_dual_mul_f32 v48, v52, v55
	v_mul_f32_e32 v33, v52, v57
	v_fma_f32 v46, v52, v54, -v46
	v_fma_f32 v50, v52, v56, -v50
	v_mul_f32_e32 v52, v38, v61
	v_fma_f32 v49, v32, v54, -v49
	v_fma_f32 v32, v32, v56, -v90
	v_dual_mul_f32 v51, v39, v59 :: v_dual_fmac_f32 v48, v53, v54
	v_mul_f32_e32 v54, v70, v59
	v_dual_mul_f32 v55, v38, v59 :: v_dual_fmac_f32 v52, v39, v60
	v_fmac_f32_e32 v33, v53, v56
	v_mul_f32_e32 v53, v71, v59
	v_mul_f32_e32 v56, v71, v61
	;; [unrolled: 1-line block ×3, first 2 shown]
	v_fmac_f32_e32 v54, v71, v58
	v_fmac_f32_e32 v55, v39, v58
	v_fma_f32 v39, v70, v58, -v53
	v_fma_f32 v53, v70, v60, -v56
	v_mul_f32_e32 v56, v40, v65
	v_mul_f32_e32 v59, v70, v61
	v_fma_f32 v51, v38, v58, -v51
	v_mul_f32_e32 v58, v72, v63
	v_mul_f32_e32 v87, v40, v63
	;; [unrolled: 1-line block ×4, first 2 shown]
	v_fma_f32 v38, v38, v60, -v57
	v_mul_f32_e32 v57, v73, v63
	v_fmac_f32_e32 v56, v41, v64
	v_dual_fmac_f32 v59, v71, v60 :: v_dual_mul_f32 v60, v73, v65
	v_mul_f32_e32 v63, v43, v67
	v_mul_f32_e32 v70, v43, v69
	v_fmac_f32_e32 v58, v73, v62
	v_fmac_f32_e32 v87, v41, v62
	v_mul_f32_e32 v41, v72, v65
	v_fma_f32 v61, v40, v62, -v61
	v_fma_f32 v40, v40, v64, -v90
	v_mul_f32_e32 v65, v42, v67
	v_fma_f32 v57, v72, v62, -v57
	v_fma_f32 v60, v72, v64, -v60
	v_dual_fmac_f32 v41, v73, v64 :: v_dual_mul_f32 v62, v42, v69
	v_mul_f32_e32 v64, v75, v67
	v_fma_f32 v63, v42, v66, -v63
	v_fma_f32 v42, v42, v68, -v70
	v_mul_f32_e32 v70, v76, v79
	v_mul_f32_e32 v67, v74, v67
	v_mul_f32_e32 v71, v75, v69
	v_mul_f32_e32 v73, v44, v79
	v_dual_fmac_f32 v65, v43, v66 :: v_dual_add_f32 v12, v12, v85
	v_fmac_f32_e32 v62, v43, v68
	v_fma_f32 v43, v74, v66, -v64
	v_fmac_f32_e32 v70, v77, v78
	v_dual_fmac_f32 v67, v75, v66 :: v_dual_add_f32 v16, v16, v84
	v_mul_f32_e32 v66, v44, v81
	v_dual_mul_f32 v69, v74, v69 :: v_dual_add_f32 v0, v0, v19
	v_mul_f32_e32 v72, v45, v79
	v_mul_f32_e32 v90, v45, v81
	v_fma_f32 v64, v74, v68, -v71
	v_dual_mul_f32 v71, v77, v81 :: v_dual_add_f32 v12, v12, v20
	v_dual_fmac_f32 v73, v45, v78 :: v_dual_add_f32 v16, v16, v37
	v_dual_fmac_f32 v66, v45, v80 :: v_dual_mul_f32 v45, v76, v81
	v_dual_fmac_f32 v69, v75, v68 :: v_dual_add_f32 v0, v0, v27
	s_delay_alu instid0(VALU_DEP_4) | instskip(NEXT) | instid1(VALU_DEP_3)
	v_dual_add_f32 v12, v12, v29 :: v_dual_add_f32 v17, v17, v83
	v_dual_add_f32 v16, v16, v49 :: v_dual_fmac_f32 v45, v77, v80
	s_delay_alu instid0(VALU_DEP_3) | instskip(NEXT) | instid1(VALU_DEP_3)
	v_dual_add_f32 v13, v13, v22 :: v_dual_add_f32 v0, v0, v35
	v_dual_add_f32 v9, v9, v23 :: v_dual_add_f32 v12, v12, v36
	v_add_f32_e32 v7, v7, v18
	s_delay_alu instid0(VALU_DEP_4) | instskip(NEXT) | instid1(VALU_DEP_3)
	v_dual_add_f32 v1, v1, v21 :: v_dual_add_f32 v16, v16, v51
	v_dual_add_f32 v17, v17, v89 :: v_dual_add_f32 v12, v12, v52
	v_add_f32_e32 v0, v0, v48
	v_add_f32_e32 v13, v13, v24
	s_delay_alu instid0(VALU_DEP_4) | instskip(NEXT) | instid1(VALU_DEP_4)
	v_dual_add_f32 v9, v9, v26 :: v_dual_add_f32 v16, v16, v61
	v_dual_add_f32 v1, v1, v25 :: v_dual_add_f32 v12, v12, v56
	s_delay_alu instid0(VALU_DEP_4) | instskip(SKIP_1) | instid1(VALU_DEP_4)
	v_dual_add_f32 v0, v0, v54 :: v_dual_add_f32 v7, v7, v28
	v_fma_f32 v72, v44, v78, -v72
	v_dual_add_f32 v17, v17, v86 :: v_dual_add_f32 v16, v16, v63
	s_delay_alu instid0(VALU_DEP_4) | instskip(NEXT) | instid1(VALU_DEP_4)
	v_dual_add_f32 v9, v9, v31 :: v_dual_add_f32 v12, v12, v62
	v_dual_add_f32 v1, v1, v47 :: v_dual_add_f32 v0, v0, v58
	v_add_f32_e32 v13, v13, v30
	s_delay_alu instid0(VALU_DEP_4) | instskip(NEXT) | instid1(VALU_DEP_3)
	v_dual_add_f32 v7, v7, v34 :: v_dual_add_f32 v16, v16, v72
	v_dual_add_f32 v9, v9, v46 :: v_dual_add_f32 v0, v0, v67
	v_add_f32_e32 v17, v17, v88
	s_delay_alu instid0(VALU_DEP_4) | instskip(NEXT) | instid1(VALU_DEP_4)
	v_add_f32_e32 v13, v13, v32
	v_add_f32_e32 v7, v7, v50
	;; [unrolled: 1-line block ×3, first 2 shown]
	v_dual_add_f32 v0, v0, v70 :: v_dual_add_f32 v1, v1, v33
	v_add_f32_e32 v17, v17, v55
	v_add_f32_e32 v13, v13, v38
	;; [unrolled: 1-line block ×5, first 2 shown]
	v_mul_f32_e32 v68, v77, v79
	v_add_f32_e32 v17, v17, v87
	v_add_f32_e32 v13, v13, v40
	;; [unrolled: 1-line block ×5, first 2 shown]
	v_fma_f32 v44, v44, v80, -v90
	v_fma_f32 v68, v76, v78, -v68
	v_fma_f32 v71, v76, v80, -v71
	v_add_f32_e32 v17, v17, v65
	v_add_f32_e32 v13, v13, v42
	v_add_f32_e32 v9, v9, v43
	v_add_f32_e32 v7, v7, v64
	v_add_f32_e32 v1, v1, v69
	v_add_f32_e32 v17, v17, v73
	v_add_f32_e32 v13, v13, v44
	v_add_f32_e32 v9, v9, v68
	v_add_f32_e32 v7, v7, v71
	v_add_f32_e32 v1, v1, v45
	s_cbranch_scc0 .LBB790_2
.LBB790_3:
	s_load_b32 s5, s[0:1], 0x40
	v_add_nc_u32_e32 v8, s10, v8
	v_add_nc_u32_e32 v2, s6, v6
	s_delay_alu instid0(VALU_DEP_1) | instskip(SKIP_1) | instid1(VALU_DEP_2)
	v_cmp_le_i32_e64 s0, v8, v2
	v_cmp_gt_i32_e32 vcc_lo, s4, v2
	s_and_b32 s0, s0, vcc_lo
	s_waitcnt lgkmcnt(0)
	v_mad_i64_i32 v[3:4], null, v8, s5, 0
	s_delay_alu instid0(VALU_DEP_1) | instskip(NEXT) | instid1(VALU_DEP_1)
	v_lshlrev_b64 v[3:4], 3, v[3:4]
	v_add_co_u32 v6, s1, s2, v3
	s_delay_alu instid0(VALU_DEP_1)
	v_add_co_ci_u32_e64 v10, s1, s3, v4, s1
	s_and_saveexec_b32 s1, s0
	s_cbranch_execz .LBB790_6
; %bb.4:
	v_ashrrev_i32_e32 v3, 31, v2
	v_xor_b32_e32 v14, 0x80000000, v16
	v_xor_b32_e32 v15, 0x80000000, v17
	s_delay_alu instid0(VALU_DEP_3) | instskip(NEXT) | instid1(VALU_DEP_1)
	v_lshlrev_b64 v[3:4], 3, v[2:3]
	v_add_co_u32 v3, s0, v6, v3
	s_delay_alu instid0(VALU_DEP_1)
	v_add_co_ci_u32_e64 v4, s0, v10, v4, s0
	v_cmp_eq_u32_e64 s0, v8, v2
	global_store_b64 v[3:4], v[14:15], off
	s_and_b32 exec_lo, exec_lo, s0
	s_cbranch_execz .LBB790_6
; %bb.5:
	v_mov_b32_e32 v5, 0
	global_store_b32 v[3:4], v5, off offset:4
.LBB790_6:
	s_or_b32 exec_lo, exec_lo, s1
	v_add_nc_u32_e32 v4, 16, v2
	s_delay_alu instid0(VALU_DEP_1) | instskip(SKIP_1) | instid1(VALU_DEP_1)
	v_cmp_le_i32_e64 s1, v8, v4
	v_cmp_gt_i32_e64 s0, s4, v4
	s_and_b32 s1, s1, s0
	s_delay_alu instid0(SALU_CYCLE_1)
	s_and_saveexec_b32 s4, s1
	s_cbranch_execz .LBB790_9
; %bb.7:
	v_ashrrev_i32_e32 v5, 31, v4
	v_xor_b32_e32 v11, 0x80000000, v13
	v_xor_b32_e32 v12, 0x80000000, v12
	s_delay_alu instid0(VALU_DEP_3) | instskip(NEXT) | instid1(VALU_DEP_1)
	v_lshlrev_b64 v[14:15], 3, v[4:5]
	v_add_co_u32 v5, s1, v6, v14
	s_delay_alu instid0(VALU_DEP_1)
	v_add_co_ci_u32_e64 v6, s1, v10, v15, s1
	v_cmp_eq_u32_e64 s1, v8, v4
	global_store_b64 v[5:6], v[11:12], off
	s_and_b32 exec_lo, exec_lo, s1
	s_cbranch_execz .LBB790_9
; %bb.8:
	v_mov_b32_e32 v3, 0
	global_store_b32 v[5:6], v3, off offset:4
.LBB790_9:
	s_or_b32 exec_lo, exec_lo, s4
	v_add_nc_u32_e32 v12, 16, v8
	s_delay_alu instid0(VALU_DEP_1) | instskip(SKIP_1) | instid1(VALU_DEP_2)
	v_mad_i64_i32 v[5:6], null, v12, s5, 0
	v_cmp_le_i32_e64 s1, v12, v2
	v_lshlrev_b64 v[5:6], 3, v[5:6]
	s_delay_alu instid0(VALU_DEP_1) | instskip(NEXT) | instid1(VALU_DEP_1)
	v_add_co_u32 v10, s2, s2, v5
	v_add_co_ci_u32_e64 v11, s2, s3, v6, s2
	s_delay_alu instid0(VALU_DEP_4) | instskip(NEXT) | instid1(SALU_CYCLE_1)
	s_and_b32 s2, s1, vcc_lo
	s_and_saveexec_b32 s1, s2
	s_cbranch_execz .LBB790_12
; %bb.10:
	v_ashrrev_i32_e32 v3, 31, v2
	v_xor_b32_e32 v13, 0x80000000, v9
	v_xor_b32_e32 v14, 0x80000000, v0
	s_delay_alu instid0(VALU_DEP_3) | instskip(NEXT) | instid1(VALU_DEP_1)
	v_lshlrev_b64 v[5:6], 3, v[2:3]
	v_add_co_u32 v5, vcc_lo, v10, v5
	s_delay_alu instid0(VALU_DEP_2)
	v_add_co_ci_u32_e32 v6, vcc_lo, v11, v6, vcc_lo
	v_cmp_eq_u32_e32 vcc_lo, v12, v2
	global_store_b64 v[5:6], v[13:14], off
	s_and_b32 exec_lo, exec_lo, vcc_lo
	s_cbranch_execz .LBB790_12
; %bb.11:
	v_mov_b32_e32 v0, 0
	global_store_b32 v[5:6], v0, off offset:4
.LBB790_12:
	s_or_b32 exec_lo, exec_lo, s1
	v_cmp_le_i32_e32 vcc_lo, v12, v4
	s_and_b32 s0, vcc_lo, s0
	s_delay_alu instid0(SALU_CYCLE_1)
	s_and_saveexec_b32 s1, s0
	s_cbranch_execz .LBB790_15
; %bb.13:
	v_ashrrev_i32_e32 v5, 31, v4
	v_xor_b32_e32 v6, 0x80000000, v1
	s_delay_alu instid0(VALU_DEP_2) | instskip(SKIP_1) | instid1(VALU_DEP_2)
	v_lshlrev_b64 v[3:4], 3, v[4:5]
	v_xor_b32_e32 v5, 0x80000000, v7
	v_add_co_u32 v0, vcc_lo, v10, v3
	s_delay_alu instid0(VALU_DEP_3)
	v_add_co_ci_u32_e32 v1, vcc_lo, v11, v4, vcc_lo
	v_cmp_eq_u32_e32 vcc_lo, v8, v2
	global_store_b64 v[0:1], v[5:6], off
	s_and_b32 exec_lo, exec_lo, vcc_lo
	s_cbranch_execz .LBB790_15
; %bb.14:
	v_mov_b32_e32 v2, 0
	global_store_b32 v[0:1], v2, off offset:4
.LBB790_15:
	s_nop 0
	s_sendmsg sendmsg(MSG_DEALLOC_VGPRS)
	s_endpgm
	.section	.rodata,"a",@progbits
	.p2align	6, 0x0
	.amdhsa_kernel _ZL37rocblas_syrkx_herkx_restricted_kernelIi19rocblas_complex_numIfELi16ELi32ELi8ELin1ELi0ELb1ELc84ELc76EKPKS1_KPS1_EviT_PT9_S7_lS9_S7_lPT10_S7_li
		.amdhsa_group_segment_fixed_size 4096
		.amdhsa_private_segment_fixed_size 0
		.amdhsa_kernarg_size 84
		.amdhsa_user_sgpr_count 13
		.amdhsa_user_sgpr_dispatch_ptr 0
		.amdhsa_user_sgpr_queue_ptr 0
		.amdhsa_user_sgpr_kernarg_segment_ptr 1
		.amdhsa_user_sgpr_dispatch_id 0
		.amdhsa_user_sgpr_private_segment_size 0
		.amdhsa_wavefront_size32 1
		.amdhsa_uses_dynamic_stack 0
		.amdhsa_enable_private_segment 0
		.amdhsa_system_sgpr_workgroup_id_x 1
		.amdhsa_system_sgpr_workgroup_id_y 1
		.amdhsa_system_sgpr_workgroup_id_z 1
		.amdhsa_system_sgpr_workgroup_info 0
		.amdhsa_system_vgpr_workitem_id 1
		.amdhsa_next_free_vgpr 91
		.amdhsa_next_free_sgpr 17
		.amdhsa_reserve_vcc 1
		.amdhsa_float_round_mode_32 0
		.amdhsa_float_round_mode_16_64 0
		.amdhsa_float_denorm_mode_32 3
		.amdhsa_float_denorm_mode_16_64 3
		.amdhsa_dx10_clamp 1
		.amdhsa_ieee_mode 1
		.amdhsa_fp16_overflow 0
		.amdhsa_workgroup_processor_mode 1
		.amdhsa_memory_ordered 1
		.amdhsa_forward_progress 0
		.amdhsa_shared_vgpr_count 0
		.amdhsa_exception_fp_ieee_invalid_op 0
		.amdhsa_exception_fp_denorm_src 0
		.amdhsa_exception_fp_ieee_div_zero 0
		.amdhsa_exception_fp_ieee_overflow 0
		.amdhsa_exception_fp_ieee_underflow 0
		.amdhsa_exception_fp_ieee_inexact 0
		.amdhsa_exception_int_div_zero 0
	.end_amdhsa_kernel
	.section	.text._ZL37rocblas_syrkx_herkx_restricted_kernelIi19rocblas_complex_numIfELi16ELi32ELi8ELin1ELi0ELb1ELc84ELc76EKPKS1_KPS1_EviT_PT9_S7_lS9_S7_lPT10_S7_li,"axG",@progbits,_ZL37rocblas_syrkx_herkx_restricted_kernelIi19rocblas_complex_numIfELi16ELi32ELi8ELin1ELi0ELb1ELc84ELc76EKPKS1_KPS1_EviT_PT9_S7_lS9_S7_lPT10_S7_li,comdat
.Lfunc_end790:
	.size	_ZL37rocblas_syrkx_herkx_restricted_kernelIi19rocblas_complex_numIfELi16ELi32ELi8ELin1ELi0ELb1ELc84ELc76EKPKS1_KPS1_EviT_PT9_S7_lS9_S7_lPT10_S7_li, .Lfunc_end790-_ZL37rocblas_syrkx_herkx_restricted_kernelIi19rocblas_complex_numIfELi16ELi32ELi8ELin1ELi0ELb1ELc84ELc76EKPKS1_KPS1_EviT_PT9_S7_lS9_S7_lPT10_S7_li
                                        ; -- End function
	.section	.AMDGPU.csdata,"",@progbits
; Kernel info:
; codeLenInByte = 2148
; NumSgprs: 19
; NumVgprs: 91
; ScratchSize: 0
; MemoryBound: 0
; FloatMode: 240
; IeeeMode: 1
; LDSByteSize: 4096 bytes/workgroup (compile time only)
; SGPRBlocks: 2
; VGPRBlocks: 11
; NumSGPRsForWavesPerEU: 19
; NumVGPRsForWavesPerEU: 91
; Occupancy: 16
; WaveLimiterHint : 1
; COMPUTE_PGM_RSRC2:SCRATCH_EN: 0
; COMPUTE_PGM_RSRC2:USER_SGPR: 13
; COMPUTE_PGM_RSRC2:TRAP_HANDLER: 0
; COMPUTE_PGM_RSRC2:TGID_X_EN: 1
; COMPUTE_PGM_RSRC2:TGID_Y_EN: 1
; COMPUTE_PGM_RSRC2:TGID_Z_EN: 1
; COMPUTE_PGM_RSRC2:TIDIG_COMP_CNT: 1
	.section	.text._ZL37rocblas_syrkx_herkx_restricted_kernelIi19rocblas_complex_numIfELi16ELi32ELi8ELin1ELi0ELb1ELc67ELc76EKPKS1_KPS1_EviT_PT9_S7_lS9_S7_lPT10_S7_li,"axG",@progbits,_ZL37rocblas_syrkx_herkx_restricted_kernelIi19rocblas_complex_numIfELi16ELi32ELi8ELin1ELi0ELb1ELc67ELc76EKPKS1_KPS1_EviT_PT9_S7_lS9_S7_lPT10_S7_li,comdat
	.globl	_ZL37rocblas_syrkx_herkx_restricted_kernelIi19rocblas_complex_numIfELi16ELi32ELi8ELin1ELi0ELb1ELc67ELc76EKPKS1_KPS1_EviT_PT9_S7_lS9_S7_lPT10_S7_li ; -- Begin function _ZL37rocblas_syrkx_herkx_restricted_kernelIi19rocblas_complex_numIfELi16ELi32ELi8ELin1ELi0ELb1ELc67ELc76EKPKS1_KPS1_EviT_PT9_S7_lS9_S7_lPT10_S7_li
	.p2align	8
	.type	_ZL37rocblas_syrkx_herkx_restricted_kernelIi19rocblas_complex_numIfELi16ELi32ELi8ELin1ELi0ELb1ELc67ELc76EKPKS1_KPS1_EviT_PT9_S7_lS9_S7_lPT10_S7_li,@function
_ZL37rocblas_syrkx_herkx_restricted_kernelIi19rocblas_complex_numIfELi16ELi32ELi8ELin1ELi0ELb1ELc67ELc76EKPKS1_KPS1_EviT_PT9_S7_lS9_S7_lPT10_S7_li: ; @_ZL37rocblas_syrkx_herkx_restricted_kernelIi19rocblas_complex_numIfELi16ELi32ELi8ELin1ELi0ELb1ELc67ELc76EKPKS1_KPS1_EviT_PT9_S7_lS9_S7_lPT10_S7_li
; %bb.0:
	s_clause 0x1
	s_load_b64 s[2:3], s[0:1], 0x38
	s_load_b64 s[4:5], s[0:1], 0x0
	s_mov_b32 s6, s15
	s_mov_b32 s7, 0
	v_dual_mov_b32 v17, 0 :: v_dual_and_b32 v6, 0x3ff, v0
	s_lshl_b64 s[8:9], s[6:7], 3
	v_bfe_u32 v8, v0, 10, 10
	v_dual_mov_b32 v16, 0 :: v_dual_mov_b32 v13, 0
	v_dual_mov_b32 v12, 0 :: v_dual_mov_b32 v9, 0
	;; [unrolled: 1-line block ×3, first 2 shown]
	v_mov_b32_e32 v1, 0
	s_waitcnt lgkmcnt(0)
	s_add_u32 s2, s2, s8
	s_addc_u32 s3, s3, s9
	s_lshl_b32 s6, s13, 5
	s_load_b64 s[2:3], s[2:3], 0x0
	s_lshl_b32 s10, s14, 5
	s_cmp_lt_i32 s5, 1
	s_cbranch_scc1 .LBB791_3
; %bb.1:
	s_clause 0x3
	s_load_b64 s[12:13], s[0:1], 0x8
	s_load_b64 s[14:15], s[0:1], 0x20
	s_load_b32 s11, s[0:1], 0x10
	s_load_b32 s16, s[0:1], 0x28
	v_lshl_add_u32 v2, v8, 4, v6
	v_dual_mov_b32 v1, 0 :: v_dual_and_b32 v0, 7, v6
	v_lshlrev_b32_e32 v10, 3, v6
	v_lshl_add_u32 v11, v8, 6, 0x800
	s_delay_alu instid0(VALU_DEP_4)
	v_and_b32_e32 v14, 31, v2
	v_lshrrev_b32_e32 v9, 3, v2
	v_lshrrev_b32_e32 v2, 5, v2
	v_mov_b32_e32 v3, v1
	v_mov_b32_e32 v17, v1
	v_add_nc_u32_e32 v7, s6, v14
	v_dual_mov_b32 v16, v1 :: v_dual_add_nc_u32 v15, s10, v9
	s_waitcnt lgkmcnt(0)
	s_add_u32 s12, s12, s8
	s_addc_u32 s13, s13, s9
	s_add_u32 s8, s14, s8
	s_load_b64 s[12:13], s[12:13], 0x0
	s_addc_u32 s9, s15, s9
	v_mad_i64_i32 v[4:5], null, s11, v7, v[2:3]
	s_load_b64 s[8:9], s[8:9], 0x0
	v_lshlrev_b32_e32 v3, 3, v0
	v_mad_i64_i32 v[12:13], null, s16, v15, v[0:1]
	v_dual_mov_b32 v7, v1 :: v_dual_lshlrev_b32 v14, 3, v14
	s_delay_alu instid0(VALU_DEP_3)
	v_lshl_or_b32 v15, v9, 6, v3
	v_mov_b32_e32 v9, v1
	v_lshlrev_b64 v[3:4], 3, v[4:5]
	v_mov_b32_e32 v0, v1
	v_lshlrev_b64 v[12:13], 3, v[12:13]
	v_lshl_or_b32 v14, v2, 8, v14
	v_add_nc_u32_e32 v15, 0x800, v15
	s_waitcnt lgkmcnt(0)
	v_add_co_u32 v2, vcc_lo, v3, s12
	v_add_co_ci_u32_e32 v3, vcc_lo, s13, v4, vcc_lo
	v_add_co_u32 v4, vcc_lo, v12, s8
	v_add_co_ci_u32_e32 v5, vcc_lo, s9, v13, vcc_lo
	s_delay_alu instid0(VALU_DEP_4) | instskip(NEXT) | instid1(VALU_DEP_4)
	v_add_co_u32 v2, vcc_lo, v2, 4
	v_add_co_ci_u32_e32 v3, vcc_lo, 0, v3, vcc_lo
	s_delay_alu instid0(VALU_DEP_4) | instskip(NEXT) | instid1(VALU_DEP_4)
	v_add_co_u32 v4, vcc_lo, v4, 4
	v_add_co_ci_u32_e32 v5, vcc_lo, 0, v5, vcc_lo
	v_mov_b32_e32 v12, v1
	v_mov_b32_e32 v13, v1
.LBB791_2:                              ; =>This Inner Loop Header: Depth=1
	global_load_b64 v[18:19], v[2:3], off offset:-4
	global_load_b64 v[20:21], v[4:5], off offset:-4
	v_add_co_u32 v2, vcc_lo, v2, 64
	v_add_co_ci_u32_e32 v3, vcc_lo, 0, v3, vcc_lo
	v_add_co_u32 v4, vcc_lo, v4, 64
	v_add_co_ci_u32_e32 v5, vcc_lo, 0, v5, vcc_lo
	s_add_i32 s7, s7, 8
	s_delay_alu instid0(SALU_CYCLE_1)
	s_cmp_ge_i32 s7, s5
	s_waitcnt vmcnt(1)
	v_xor_b32_e32 v19, 0x80000000, v19
	ds_store_b64 v14, v[18:19]
	s_waitcnt vmcnt(0)
	ds_store_b64 v15, v[20:21]
	s_waitcnt lgkmcnt(0)
	s_barrier
	buffer_gl0_inv
	ds_load_2addr_b64 v[18:21], v10 offset1:16
	ds_load_b128 v[22:25], v11
	ds_load_b128 v[26:29], v11 offset:1024
	ds_load_b128 v[30:33], v11 offset:16
	ds_load_2addr_b64 v[34:37], v10 offset0:32 offset1:48
	ds_load_b128 v[38:41], v11 offset:32
	ds_load_b128 v[42:45], v11 offset:48
	ds_load_2addr_b64 v[46:49], v10 offset0:64 offset1:80
	ds_load_b128 v[50:53], v11 offset:1040
	ds_load_2addr_b64 v[54:57], v10 offset0:96 offset1:112
	ds_load_2addr_b64 v[58:61], v10 offset0:128 offset1:144
	;; [unrolled: 1-line block ×4, first 2 shown]
	ds_load_b128 v[70:73], v11 offset:1056
	ds_load_b128 v[74:77], v11 offset:1072
	ds_load_2addr_b64 v[78:81], v10 offset0:224 offset1:240
	s_waitcnt lgkmcnt(0)
	s_barrier
	buffer_gl0_inv
	v_dual_mul_f32 v82, v23, v19 :: v_dual_mul_f32 v85, v22, v21
	v_dual_mul_f32 v83, v22, v19 :: v_dual_mul_f32 v84, v23, v21
	v_mul_f32_e32 v86, v27, v19
	v_dual_mul_f32 v19, v26, v19 :: v_dual_mul_f32 v90, v25, v37
	v_dual_mul_f32 v87, v27, v21 :: v_dual_mul_f32 v88, v25, v35
	v_mul_f32_e32 v21, v26, v21
	v_fma_f32 v82, v22, v18, -v82
	v_fmac_f32_e32 v83, v23, v18
	v_fma_f32 v22, v22, v20, -v84
	v_fmac_f32_e32 v85, v23, v20
	v_fma_f32 v23, v26, v18, -v86
	v_dual_fmac_f32 v19, v27, v18 :: v_dual_mul_f32 v86, v30, v47
	v_fma_f32 v18, v26, v20, -v87
	v_dual_fmac_f32 v21, v27, v20 :: v_dual_mul_f32 v20, v24, v37
	v_mul_f32_e32 v89, v24, v35
	v_mul_f32_e32 v26, v29, v35
	v_mul_f32_e32 v27, v28, v35
	v_mul_f32_e32 v35, v29, v37
	v_fmac_f32_e32 v20, v25, v36
	v_fmac_f32_e32 v89, v25, v34
	v_dual_mul_f32 v25, v28, v37 :: v_dual_fmac_f32 v86, v31, v46
	v_fma_f32 v84, v24, v34, -v88
	v_fma_f32 v24, v24, v36, -v90
	v_dual_mul_f32 v37, v31, v47 :: v_dual_mul_f32 v90, v33, v57
	v_fma_f32 v26, v28, v34, -v26
	v_fma_f32 v28, v28, v36, -v35
	v_fmac_f32_e32 v25, v29, v36
	v_dual_mul_f32 v35, v50, v47 :: v_dual_mul_f32 v36, v51, v49
	v_dual_fmac_f32 v27, v29, v34 :: v_dual_mul_f32 v34, v51, v47
	v_dual_mul_f32 v88, v32, v55 :: v_dual_mul_f32 v29, v30, v49
	v_mul_f32_e32 v87, v31, v49
	v_fma_f32 v37, v30, v46, -v37
	v_add_f32_e32 v16, v16, v82
	s_delay_alu instid0(VALU_DEP_4)
	v_dual_fmac_f32 v88, v33, v54 :: v_dual_fmac_f32 v29, v31, v48
	v_fma_f32 v31, v50, v46, -v34
	v_fma_f32 v34, v50, v48, -v36
	v_mul_f32_e32 v36, v32, v57
	v_mul_f32_e32 v47, v50, v49
	v_dual_mul_f32 v50, v53, v57 :: v_dual_fmac_f32 v35, v51, v46
	v_mul_f32_e32 v46, v53, v55
	v_mul_f32_e32 v49, v33, v55
	v_fma_f32 v30, v30, v48, -v87
	v_fmac_f32_e32 v36, v33, v56
	v_dual_fmac_f32 v47, v51, v48 :: v_dual_mul_f32 v48, v52, v55
	v_mul_f32_e32 v33, v52, v57
	v_fma_f32 v46, v52, v54, -v46
	v_fma_f32 v50, v52, v56, -v50
	v_mul_f32_e32 v52, v38, v61
	v_fma_f32 v49, v32, v54, -v49
	v_fma_f32 v32, v32, v56, -v90
	v_dual_mul_f32 v51, v39, v59 :: v_dual_fmac_f32 v48, v53, v54
	v_mul_f32_e32 v54, v70, v59
	v_dual_mul_f32 v55, v38, v59 :: v_dual_fmac_f32 v52, v39, v60
	v_fmac_f32_e32 v33, v53, v56
	v_mul_f32_e32 v53, v71, v59
	v_mul_f32_e32 v56, v71, v61
	;; [unrolled: 1-line block ×3, first 2 shown]
	v_fmac_f32_e32 v54, v71, v58
	v_fmac_f32_e32 v55, v39, v58
	v_fma_f32 v39, v70, v58, -v53
	v_fma_f32 v53, v70, v60, -v56
	v_mul_f32_e32 v56, v40, v65
	v_mul_f32_e32 v59, v70, v61
	v_fma_f32 v51, v38, v58, -v51
	v_mul_f32_e32 v58, v72, v63
	v_mul_f32_e32 v87, v40, v63
	;; [unrolled: 1-line block ×4, first 2 shown]
	v_fma_f32 v38, v38, v60, -v57
	v_mul_f32_e32 v57, v73, v63
	v_fmac_f32_e32 v56, v41, v64
	v_dual_fmac_f32 v59, v71, v60 :: v_dual_mul_f32 v60, v73, v65
	v_mul_f32_e32 v63, v43, v67
	v_mul_f32_e32 v70, v43, v69
	v_fmac_f32_e32 v58, v73, v62
	v_fmac_f32_e32 v87, v41, v62
	v_mul_f32_e32 v41, v72, v65
	v_fma_f32 v61, v40, v62, -v61
	v_fma_f32 v40, v40, v64, -v90
	v_mul_f32_e32 v65, v42, v67
	v_fma_f32 v57, v72, v62, -v57
	v_fma_f32 v60, v72, v64, -v60
	v_dual_fmac_f32 v41, v73, v64 :: v_dual_mul_f32 v62, v42, v69
	v_mul_f32_e32 v64, v75, v67
	v_fma_f32 v63, v42, v66, -v63
	v_fma_f32 v42, v42, v68, -v70
	v_mul_f32_e32 v70, v76, v79
	v_mul_f32_e32 v67, v74, v67
	;; [unrolled: 1-line block ×4, first 2 shown]
	v_dual_fmac_f32 v65, v43, v66 :: v_dual_add_f32 v12, v12, v85
	v_fmac_f32_e32 v62, v43, v68
	v_fma_f32 v43, v74, v66, -v64
	v_fmac_f32_e32 v70, v77, v78
	v_dual_fmac_f32 v67, v75, v66 :: v_dual_add_f32 v16, v16, v84
	v_mul_f32_e32 v66, v44, v81
	v_dual_mul_f32 v69, v74, v69 :: v_dual_add_f32 v0, v0, v19
	v_mul_f32_e32 v72, v45, v79
	v_mul_f32_e32 v90, v45, v81
	v_fma_f32 v64, v74, v68, -v71
	v_dual_mul_f32 v71, v77, v81 :: v_dual_add_f32 v12, v12, v20
	v_dual_fmac_f32 v73, v45, v78 :: v_dual_add_f32 v16, v16, v37
	v_dual_fmac_f32 v66, v45, v80 :: v_dual_mul_f32 v45, v76, v81
	v_dual_fmac_f32 v69, v75, v68 :: v_dual_add_f32 v0, v0, v27
	s_delay_alu instid0(VALU_DEP_4) | instskip(NEXT) | instid1(VALU_DEP_3)
	v_dual_add_f32 v12, v12, v29 :: v_dual_add_f32 v17, v17, v83
	v_dual_add_f32 v16, v16, v49 :: v_dual_fmac_f32 v45, v77, v80
	s_delay_alu instid0(VALU_DEP_3) | instskip(NEXT) | instid1(VALU_DEP_3)
	v_dual_add_f32 v13, v13, v22 :: v_dual_add_f32 v0, v0, v35
	v_dual_add_f32 v9, v9, v23 :: v_dual_add_f32 v12, v12, v36
	v_add_f32_e32 v7, v7, v18
	s_delay_alu instid0(VALU_DEP_4) | instskip(NEXT) | instid1(VALU_DEP_3)
	v_dual_add_f32 v1, v1, v21 :: v_dual_add_f32 v16, v16, v51
	v_dual_add_f32 v17, v17, v89 :: v_dual_add_f32 v12, v12, v52
	v_add_f32_e32 v0, v0, v48
	v_add_f32_e32 v13, v13, v24
	s_delay_alu instid0(VALU_DEP_4) | instskip(NEXT) | instid1(VALU_DEP_4)
	v_dual_add_f32 v9, v9, v26 :: v_dual_add_f32 v16, v16, v61
	v_dual_add_f32 v1, v1, v25 :: v_dual_add_f32 v12, v12, v56
	s_delay_alu instid0(VALU_DEP_4) | instskip(SKIP_1) | instid1(VALU_DEP_4)
	v_dual_add_f32 v0, v0, v54 :: v_dual_add_f32 v7, v7, v28
	v_fma_f32 v72, v44, v78, -v72
	v_dual_add_f32 v17, v17, v86 :: v_dual_add_f32 v16, v16, v63
	s_delay_alu instid0(VALU_DEP_4) | instskip(NEXT) | instid1(VALU_DEP_4)
	v_dual_add_f32 v9, v9, v31 :: v_dual_add_f32 v12, v12, v62
	v_dual_add_f32 v1, v1, v47 :: v_dual_add_f32 v0, v0, v58
	v_add_f32_e32 v13, v13, v30
	s_delay_alu instid0(VALU_DEP_4) | instskip(NEXT) | instid1(VALU_DEP_3)
	v_dual_add_f32 v7, v7, v34 :: v_dual_add_f32 v16, v16, v72
	v_dual_add_f32 v9, v9, v46 :: v_dual_add_f32 v0, v0, v67
	v_add_f32_e32 v17, v17, v88
	s_delay_alu instid0(VALU_DEP_4) | instskip(NEXT) | instid1(VALU_DEP_4)
	v_add_f32_e32 v13, v13, v32
	v_add_f32_e32 v7, v7, v50
	;; [unrolled: 1-line block ×3, first 2 shown]
	v_dual_add_f32 v0, v0, v70 :: v_dual_add_f32 v1, v1, v33
	v_add_f32_e32 v17, v17, v55
	v_add_f32_e32 v13, v13, v38
	v_add_f32_e32 v9, v9, v39
	v_add_f32_e32 v7, v7, v53
	v_add_f32_e32 v1, v1, v59
	v_mul_f32_e32 v68, v77, v79
	v_add_f32_e32 v17, v17, v87
	v_add_f32_e32 v13, v13, v40
	;; [unrolled: 1-line block ×5, first 2 shown]
	v_fma_f32 v44, v44, v80, -v90
	v_fma_f32 v68, v76, v78, -v68
	;; [unrolled: 1-line block ×3, first 2 shown]
	v_add_f32_e32 v17, v17, v65
	v_add_f32_e32 v13, v13, v42
	;; [unrolled: 1-line block ×10, first 2 shown]
	s_cbranch_scc0 .LBB791_2
.LBB791_3:
	s_load_b32 s5, s[0:1], 0x40
	v_add_nc_u32_e32 v8, s10, v8
	v_add_nc_u32_e32 v2, s6, v6
	s_delay_alu instid0(VALU_DEP_1) | instskip(SKIP_1) | instid1(VALU_DEP_2)
	v_cmp_le_i32_e64 s0, v8, v2
	v_cmp_gt_i32_e32 vcc_lo, s4, v2
	s_and_b32 s0, s0, vcc_lo
	s_waitcnt lgkmcnt(0)
	v_mad_i64_i32 v[3:4], null, v8, s5, 0
	s_delay_alu instid0(VALU_DEP_1) | instskip(NEXT) | instid1(VALU_DEP_1)
	v_lshlrev_b64 v[3:4], 3, v[3:4]
	v_add_co_u32 v6, s1, s2, v3
	s_delay_alu instid0(VALU_DEP_1)
	v_add_co_ci_u32_e64 v10, s1, s3, v4, s1
	s_and_saveexec_b32 s1, s0
	s_cbranch_execz .LBB791_6
; %bb.4:
	v_ashrrev_i32_e32 v3, 31, v2
	v_xor_b32_e32 v14, 0x80000000, v16
	v_xor_b32_e32 v15, 0x80000000, v17
	s_delay_alu instid0(VALU_DEP_3) | instskip(NEXT) | instid1(VALU_DEP_1)
	v_lshlrev_b64 v[3:4], 3, v[2:3]
	v_add_co_u32 v3, s0, v6, v3
	s_delay_alu instid0(VALU_DEP_1)
	v_add_co_ci_u32_e64 v4, s0, v10, v4, s0
	v_cmp_eq_u32_e64 s0, v8, v2
	global_store_b64 v[3:4], v[14:15], off
	s_and_b32 exec_lo, exec_lo, s0
	s_cbranch_execz .LBB791_6
; %bb.5:
	v_mov_b32_e32 v5, 0
	global_store_b32 v[3:4], v5, off offset:4
.LBB791_6:
	s_or_b32 exec_lo, exec_lo, s1
	v_add_nc_u32_e32 v4, 16, v2
	s_delay_alu instid0(VALU_DEP_1) | instskip(SKIP_1) | instid1(VALU_DEP_1)
	v_cmp_le_i32_e64 s1, v8, v4
	v_cmp_gt_i32_e64 s0, s4, v4
	s_and_b32 s1, s1, s0
	s_delay_alu instid0(SALU_CYCLE_1)
	s_and_saveexec_b32 s4, s1
	s_cbranch_execz .LBB791_9
; %bb.7:
	v_ashrrev_i32_e32 v5, 31, v4
	v_xor_b32_e32 v11, 0x80000000, v13
	v_xor_b32_e32 v12, 0x80000000, v12
	s_delay_alu instid0(VALU_DEP_3) | instskip(NEXT) | instid1(VALU_DEP_1)
	v_lshlrev_b64 v[14:15], 3, v[4:5]
	v_add_co_u32 v5, s1, v6, v14
	s_delay_alu instid0(VALU_DEP_1)
	v_add_co_ci_u32_e64 v6, s1, v10, v15, s1
	v_cmp_eq_u32_e64 s1, v8, v4
	global_store_b64 v[5:6], v[11:12], off
	s_and_b32 exec_lo, exec_lo, s1
	s_cbranch_execz .LBB791_9
; %bb.8:
	v_mov_b32_e32 v3, 0
	global_store_b32 v[5:6], v3, off offset:4
.LBB791_9:
	s_or_b32 exec_lo, exec_lo, s4
	v_add_nc_u32_e32 v12, 16, v8
	s_delay_alu instid0(VALU_DEP_1) | instskip(SKIP_1) | instid1(VALU_DEP_2)
	v_mad_i64_i32 v[5:6], null, v12, s5, 0
	v_cmp_le_i32_e64 s1, v12, v2
	v_lshlrev_b64 v[5:6], 3, v[5:6]
	s_delay_alu instid0(VALU_DEP_1) | instskip(NEXT) | instid1(VALU_DEP_1)
	v_add_co_u32 v10, s2, s2, v5
	v_add_co_ci_u32_e64 v11, s2, s3, v6, s2
	s_delay_alu instid0(VALU_DEP_4) | instskip(NEXT) | instid1(SALU_CYCLE_1)
	s_and_b32 s2, s1, vcc_lo
	s_and_saveexec_b32 s1, s2
	s_cbranch_execz .LBB791_12
; %bb.10:
	v_ashrrev_i32_e32 v3, 31, v2
	v_xor_b32_e32 v13, 0x80000000, v9
	v_xor_b32_e32 v14, 0x80000000, v0
	s_delay_alu instid0(VALU_DEP_3) | instskip(NEXT) | instid1(VALU_DEP_1)
	v_lshlrev_b64 v[5:6], 3, v[2:3]
	v_add_co_u32 v5, vcc_lo, v10, v5
	s_delay_alu instid0(VALU_DEP_2)
	v_add_co_ci_u32_e32 v6, vcc_lo, v11, v6, vcc_lo
	v_cmp_eq_u32_e32 vcc_lo, v12, v2
	global_store_b64 v[5:6], v[13:14], off
	s_and_b32 exec_lo, exec_lo, vcc_lo
	s_cbranch_execz .LBB791_12
; %bb.11:
	v_mov_b32_e32 v0, 0
	global_store_b32 v[5:6], v0, off offset:4
.LBB791_12:
	s_or_b32 exec_lo, exec_lo, s1
	v_cmp_le_i32_e32 vcc_lo, v12, v4
	s_and_b32 s0, vcc_lo, s0
	s_delay_alu instid0(SALU_CYCLE_1)
	s_and_saveexec_b32 s1, s0
	s_cbranch_execz .LBB791_15
; %bb.13:
	v_ashrrev_i32_e32 v5, 31, v4
	v_xor_b32_e32 v6, 0x80000000, v1
	s_delay_alu instid0(VALU_DEP_2) | instskip(SKIP_1) | instid1(VALU_DEP_2)
	v_lshlrev_b64 v[3:4], 3, v[4:5]
	v_xor_b32_e32 v5, 0x80000000, v7
	v_add_co_u32 v0, vcc_lo, v10, v3
	s_delay_alu instid0(VALU_DEP_3)
	v_add_co_ci_u32_e32 v1, vcc_lo, v11, v4, vcc_lo
	v_cmp_eq_u32_e32 vcc_lo, v8, v2
	global_store_b64 v[0:1], v[5:6], off
	s_and_b32 exec_lo, exec_lo, vcc_lo
	s_cbranch_execz .LBB791_15
; %bb.14:
	v_mov_b32_e32 v2, 0
	global_store_b32 v[0:1], v2, off offset:4
.LBB791_15:
	s_nop 0
	s_sendmsg sendmsg(MSG_DEALLOC_VGPRS)
	s_endpgm
	.section	.rodata,"a",@progbits
	.p2align	6, 0x0
	.amdhsa_kernel _ZL37rocblas_syrkx_herkx_restricted_kernelIi19rocblas_complex_numIfELi16ELi32ELi8ELin1ELi0ELb1ELc67ELc76EKPKS1_KPS1_EviT_PT9_S7_lS9_S7_lPT10_S7_li
		.amdhsa_group_segment_fixed_size 4096
		.amdhsa_private_segment_fixed_size 0
		.amdhsa_kernarg_size 84
		.amdhsa_user_sgpr_count 13
		.amdhsa_user_sgpr_dispatch_ptr 0
		.amdhsa_user_sgpr_queue_ptr 0
		.amdhsa_user_sgpr_kernarg_segment_ptr 1
		.amdhsa_user_sgpr_dispatch_id 0
		.amdhsa_user_sgpr_private_segment_size 0
		.amdhsa_wavefront_size32 1
		.amdhsa_uses_dynamic_stack 0
		.amdhsa_enable_private_segment 0
		.amdhsa_system_sgpr_workgroup_id_x 1
		.amdhsa_system_sgpr_workgroup_id_y 1
		.amdhsa_system_sgpr_workgroup_id_z 1
		.amdhsa_system_sgpr_workgroup_info 0
		.amdhsa_system_vgpr_workitem_id 1
		.amdhsa_next_free_vgpr 91
		.amdhsa_next_free_sgpr 17
		.amdhsa_reserve_vcc 1
		.amdhsa_float_round_mode_32 0
		.amdhsa_float_round_mode_16_64 0
		.amdhsa_float_denorm_mode_32 3
		.amdhsa_float_denorm_mode_16_64 3
		.amdhsa_dx10_clamp 1
		.amdhsa_ieee_mode 1
		.amdhsa_fp16_overflow 0
		.amdhsa_workgroup_processor_mode 1
		.amdhsa_memory_ordered 1
		.amdhsa_forward_progress 0
		.amdhsa_shared_vgpr_count 0
		.amdhsa_exception_fp_ieee_invalid_op 0
		.amdhsa_exception_fp_denorm_src 0
		.amdhsa_exception_fp_ieee_div_zero 0
		.amdhsa_exception_fp_ieee_overflow 0
		.amdhsa_exception_fp_ieee_underflow 0
		.amdhsa_exception_fp_ieee_inexact 0
		.amdhsa_exception_int_div_zero 0
	.end_amdhsa_kernel
	.section	.text._ZL37rocblas_syrkx_herkx_restricted_kernelIi19rocblas_complex_numIfELi16ELi32ELi8ELin1ELi0ELb1ELc67ELc76EKPKS1_KPS1_EviT_PT9_S7_lS9_S7_lPT10_S7_li,"axG",@progbits,_ZL37rocblas_syrkx_herkx_restricted_kernelIi19rocblas_complex_numIfELi16ELi32ELi8ELin1ELi0ELb1ELc67ELc76EKPKS1_KPS1_EviT_PT9_S7_lS9_S7_lPT10_S7_li,comdat
.Lfunc_end791:
	.size	_ZL37rocblas_syrkx_herkx_restricted_kernelIi19rocblas_complex_numIfELi16ELi32ELi8ELin1ELi0ELb1ELc67ELc76EKPKS1_KPS1_EviT_PT9_S7_lS9_S7_lPT10_S7_li, .Lfunc_end791-_ZL37rocblas_syrkx_herkx_restricted_kernelIi19rocblas_complex_numIfELi16ELi32ELi8ELin1ELi0ELb1ELc67ELc76EKPKS1_KPS1_EviT_PT9_S7_lS9_S7_lPT10_S7_li
                                        ; -- End function
	.section	.AMDGPU.csdata,"",@progbits
; Kernel info:
; codeLenInByte = 2160
; NumSgprs: 19
; NumVgprs: 91
; ScratchSize: 0
; MemoryBound: 0
; FloatMode: 240
; IeeeMode: 1
; LDSByteSize: 4096 bytes/workgroup (compile time only)
; SGPRBlocks: 2
; VGPRBlocks: 11
; NumSGPRsForWavesPerEU: 19
; NumVGPRsForWavesPerEU: 91
; Occupancy: 16
; WaveLimiterHint : 1
; COMPUTE_PGM_RSRC2:SCRATCH_EN: 0
; COMPUTE_PGM_RSRC2:USER_SGPR: 13
; COMPUTE_PGM_RSRC2:TRAP_HANDLER: 0
; COMPUTE_PGM_RSRC2:TGID_X_EN: 1
; COMPUTE_PGM_RSRC2:TGID_Y_EN: 1
; COMPUTE_PGM_RSRC2:TGID_Z_EN: 1
; COMPUTE_PGM_RSRC2:TIDIG_COMP_CNT: 1
	.section	.text._ZL37rocblas_syrkx_herkx_restricted_kernelIi19rocblas_complex_numIfELi16ELi32ELi8ELin1ELi0ELb1ELc78ELc76EKPKS1_KPS1_EviT_PT9_S7_lS9_S7_lPT10_S7_li,"axG",@progbits,_ZL37rocblas_syrkx_herkx_restricted_kernelIi19rocblas_complex_numIfELi16ELi32ELi8ELin1ELi0ELb1ELc78ELc76EKPKS1_KPS1_EviT_PT9_S7_lS9_S7_lPT10_S7_li,comdat
	.globl	_ZL37rocblas_syrkx_herkx_restricted_kernelIi19rocblas_complex_numIfELi16ELi32ELi8ELin1ELi0ELb1ELc78ELc76EKPKS1_KPS1_EviT_PT9_S7_lS9_S7_lPT10_S7_li ; -- Begin function _ZL37rocblas_syrkx_herkx_restricted_kernelIi19rocblas_complex_numIfELi16ELi32ELi8ELin1ELi0ELb1ELc78ELc76EKPKS1_KPS1_EviT_PT9_S7_lS9_S7_lPT10_S7_li
	.p2align	8
	.type	_ZL37rocblas_syrkx_herkx_restricted_kernelIi19rocblas_complex_numIfELi16ELi32ELi8ELin1ELi0ELb1ELc78ELc76EKPKS1_KPS1_EviT_PT9_S7_lS9_S7_lPT10_S7_li,@function
_ZL37rocblas_syrkx_herkx_restricted_kernelIi19rocblas_complex_numIfELi16ELi32ELi8ELin1ELi0ELb1ELc78ELc76EKPKS1_KPS1_EviT_PT9_S7_lS9_S7_lPT10_S7_li: ; @_ZL37rocblas_syrkx_herkx_restricted_kernelIi19rocblas_complex_numIfELi16ELi32ELi8ELin1ELi0ELb1ELc78ELc76EKPKS1_KPS1_EviT_PT9_S7_lS9_S7_lPT10_S7_li
; %bb.0:
	s_clause 0x1
	s_load_b64 s[2:3], s[0:1], 0x38
	s_load_b64 s[4:5], s[0:1], 0x0
	s_mov_b32 s6, s15
	s_mov_b32 s7, 0
	v_dual_mov_b32 v17, 0 :: v_dual_and_b32 v4, 0x3ff, v0
	s_lshl_b64 s[8:9], s[6:7], 3
	v_bfe_u32 v5, v0, 10, 10
	v_dual_mov_b32 v16, 0 :: v_dual_mov_b32 v13, 0
	v_dual_mov_b32 v11, 0 :: v_dual_mov_b32 v8, 0
	;; [unrolled: 1-line block ×3, first 2 shown]
	v_mov_b32_e32 v7, 0
	s_waitcnt lgkmcnt(0)
	s_add_u32 s2, s2, s8
	s_addc_u32 s3, s3, s9
	s_lshl_b32 s6, s13, 5
	s_load_b64 s[2:3], s[2:3], 0x0
	s_lshl_b32 s12, s14, 5
	s_cmp_lt_i32 s5, 1
	s_cbranch_scc1 .LBB792_3
; %bb.1:
	s_clause 0x3
	s_load_b32 s10, s[0:1], 0x10
	s_load_b32 s14, s[0:1], 0x28
	s_load_b64 s[16:17], s[0:1], 0x8
	s_load_b64 s[18:19], s[0:1], 0x20
	v_lshl_add_u32 v0, v5, 4, v4
	v_and_b32_e32 v11, 7, v4
	v_lshlrev_b32_e32 v10, 3, v4
	v_lshl_add_u32 v12, v5, 6, 0x800
	v_mov_b32_e32 v17, 0
	v_and_b32_e32 v9, 31, v0
	v_lshrrev_b32_e32 v6, 3, v0
	v_lshrrev_b32_e32 v13, 5, v0
	v_mov_b32_e32 v16, 0
	s_delay_alu instid0(VALU_DEP_4) | instskip(NEXT) | instid1(VALU_DEP_4)
	v_add_nc_u32_e32 v2, s6, v9
	v_add_nc_u32_e32 v0, s12, v6
	s_delay_alu instid0(VALU_DEP_2)
	v_ashrrev_i32_e32 v3, 31, v2
	s_waitcnt lgkmcnt(0)
	s_ashr_i32 s11, s10, 31
	s_ashr_i32 s15, s14, 31
	s_add_u32 s16, s16, s8
	s_addc_u32 s17, s17, s9
	s_add_u32 s8, s18, s8
	s_load_b64 s[16:17], s[16:17], 0x0
	s_addc_u32 s9, s19, s9
	v_ashrrev_i32_e32 v1, 31, v0
	s_load_b64 s[8:9], s[8:9], 0x0
	v_mad_i64_i32 v[7:8], null, s10, v13, v[2:3]
	s_delay_alu instid0(VALU_DEP_2) | instskip(NEXT) | instid1(VALU_DEP_2)
	v_mad_i64_i32 v[2:3], null, s14, v11, v[0:1]
	v_lshlrev_b64 v[0:1], 3, v[7:8]
	v_mov_b32_e32 v8, 0
	v_lshlrev_b32_e32 v14, 3, v11
	s_delay_alu instid0(VALU_DEP_4) | instskip(SKIP_1) | instid1(VALU_DEP_3)
	v_lshlrev_b64 v[2:3], 3, v[2:3]
	v_mov_b32_e32 v7, 0
	v_lshl_or_b32 v11, v6, 6, v14
	s_waitcnt lgkmcnt(0)
	v_add_co_u32 v0, vcc_lo, v0, s16
	v_add_co_ci_u32_e32 v1, vcc_lo, s17, v1, vcc_lo
	v_add_co_u32 v2, vcc_lo, v2, s8
	v_add_co_ci_u32_e32 v3, vcc_lo, s9, v3, vcc_lo
	v_dual_mov_b32 v6, 0 :: v_dual_lshlrev_b32 v9, 3, v9
	v_add_co_u32 v0, vcc_lo, v0, 4
	v_add_co_ci_u32_e32 v1, vcc_lo, 0, v1, vcc_lo
	v_add_co_u32 v2, vcc_lo, v2, 4
	s_delay_alu instid0(VALU_DEP_4)
	v_lshl_or_b32 v14, v13, 8, v9
	v_add_nc_u32_e32 v15, 0x800, v11
	v_add_co_ci_u32_e32 v3, vcc_lo, 0, v3, vcc_lo
	v_mov_b32_e32 v9, 0
	v_mov_b32_e32 v11, 0
	;; [unrolled: 1-line block ×3, first 2 shown]
	s_lshl_b64 s[8:9], s[10:11], 6
	s_lshl_b64 s[10:11], s[14:15], 6
.LBB792_2:                              ; =>This Inner Loop Header: Depth=1
	global_load_b64 v[18:19], v[2:3], off offset:-4
	global_load_b64 v[20:21], v[0:1], off offset:-4
	v_add_co_u32 v0, vcc_lo, v0, s8
	v_add_co_ci_u32_e32 v1, vcc_lo, s9, v1, vcc_lo
	v_add_co_u32 v2, vcc_lo, v2, s10
	v_add_co_ci_u32_e32 v3, vcc_lo, s11, v3, vcc_lo
	s_add_i32 s7, s7, 8
	s_delay_alu instid0(SALU_CYCLE_1)
	s_cmp_ge_i32 s7, s5
	s_waitcnt vmcnt(1)
	v_xor_b32_e32 v19, 0x80000000, v19
	s_waitcnt vmcnt(0)
	ds_store_b64 v14, v[20:21]
	ds_store_b64 v15, v[18:19]
	s_waitcnt lgkmcnt(0)
	s_barrier
	buffer_gl0_inv
	ds_load_2addr_b64 v[18:21], v10 offset1:16
	ds_load_b128 v[22:25], v12
	ds_load_b128 v[26:29], v12 offset:1024
	ds_load_b128 v[30:33], v12 offset:16
	ds_load_2addr_b64 v[34:37], v10 offset0:32 offset1:48
	ds_load_b128 v[38:41], v12 offset:32
	ds_load_b128 v[42:45], v12 offset:48
	ds_load_2addr_b64 v[46:49], v10 offset0:64 offset1:80
	ds_load_b128 v[50:53], v12 offset:1040
	ds_load_2addr_b64 v[54:57], v10 offset0:96 offset1:112
	ds_load_2addr_b64 v[58:61], v10 offset0:128 offset1:144
	;; [unrolled: 1-line block ×4, first 2 shown]
	ds_load_b128 v[70:73], v12 offset:1056
	ds_load_b128 v[74:77], v12 offset:1072
	ds_load_2addr_b64 v[78:81], v10 offset0:224 offset1:240
	s_waitcnt lgkmcnt(0)
	s_barrier
	buffer_gl0_inv
	v_dual_mul_f32 v82, v23, v19 :: v_dual_mul_f32 v85, v22, v21
	v_dual_mul_f32 v83, v22, v19 :: v_dual_mul_f32 v84, v23, v21
	v_mul_f32_e32 v86, v27, v19
	v_dual_mul_f32 v19, v26, v19 :: v_dual_mul_f32 v90, v25, v37
	v_dual_mul_f32 v87, v27, v21 :: v_dual_mul_f32 v88, v25, v35
	v_mul_f32_e32 v21, v26, v21
	v_mul_f32_e32 v89, v24, v35
	;; [unrolled: 1-line block ×3, first 2 shown]
	v_fma_f32 v82, v22, v18, -v82
	v_fmac_f32_e32 v83, v23, v18
	v_fma_f32 v22, v22, v20, -v84
	v_dual_fmac_f32 v85, v23, v20 :: v_dual_mul_f32 v84, v30, v47
	v_fma_f32 v23, v26, v18, -v86
	v_fmac_f32_e32 v19, v27, v18
	v_fma_f32 v18, v26, v20, -v87
	v_dual_mul_f32 v26, v28, v35 :: v_dual_fmac_f32 v21, v27, v20
	v_mul_f32_e32 v20, v29, v35
	v_mul_f32_e32 v27, v29, v37
	v_dual_mul_f32 v35, v28, v37 :: v_dual_fmac_f32 v84, v31, v46
	v_fma_f32 v37, v24, v34, -v88
	v_fma_f32 v24, v24, v36, -v90
	v_dual_fmac_f32 v91, v25, v36 :: v_dual_mul_f32 v90, v32, v57
	v_dual_mul_f32 v86, v31, v49 :: v_dual_fmac_f32 v89, v25, v34
	v_dual_mul_f32 v25, v31, v47 :: v_dual_mul_f32 v88, v33, v57
	v_fma_f32 v20, v28, v34, -v20
	v_fmac_f32_e32 v26, v29, v34
	v_fma_f32 v27, v28, v36, -v27
	v_dual_fmac_f32 v35, v29, v36 :: v_dual_mul_f32 v28, v51, v47
	v_dual_mul_f32 v29, v50, v47 :: v_dual_mul_f32 v34, v51, v49
	v_mul_f32_e32 v36, v50, v49
	v_mul_f32_e32 v87, v30, v49
	;; [unrolled: 1-line block ×3, first 2 shown]
	v_dual_mul_f32 v49, v32, v55 :: v_dual_fmac_f32 v90, v33, v56
	v_fma_f32 v25, v30, v46, -v25
	v_fma_f32 v30, v30, v48, -v86
	;; [unrolled: 1-line block ×3, first 2 shown]
	v_fmac_f32_e32 v36, v51, v48
	v_fmac_f32_e32 v87, v31, v48
	v_fma_f32 v31, v50, v48, -v34
	v_mul_f32_e32 v34, v53, v55
	v_mul_f32_e32 v48, v53, v57
	v_dual_mul_f32 v50, v52, v57 :: v_dual_fmac_f32 v29, v51, v46
	v_mul_f32_e32 v46, v52, v55
	v_fma_f32 v47, v32, v54, -v47
	v_fmac_f32_e32 v49, v33, v54
	v_fma_f32 v32, v32, v56, -v88
	s_delay_alu instid0(VALU_DEP_4)
	v_dual_mul_f32 v33, v39, v59 :: v_dual_fmac_f32 v46, v53, v54
	v_mul_f32_e32 v51, v38, v59
	v_mul_f32_e32 v55, v39, v61
	v_fma_f32 v34, v52, v54, -v34
	v_fma_f32 v48, v52, v56, -v48
	v_fmac_f32_e32 v50, v53, v56
	v_mul_f32_e32 v52, v71, v59
	v_dual_mul_f32 v53, v70, v59 :: v_dual_mul_f32 v86, v41, v65
	v_mul_f32_e32 v54, v71, v61
	v_dual_mul_f32 v56, v70, v61 :: v_dual_mul_f32 v59, v41, v63
	v_mul_f32_e32 v57, v38, v61
	v_mul_f32_e32 v61, v40, v63
	v_dual_mul_f32 v88, v40, v65 :: v_dual_fmac_f32 v51, v39, v58
	v_fma_f32 v33, v38, v58, -v33
	v_fmac_f32_e32 v53, v71, v58
	v_fmac_f32_e32 v56, v71, v60
	s_delay_alu instid0(VALU_DEP_4)
	v_fmac_f32_e32 v88, v41, v64
	v_fmac_f32_e32 v57, v39, v60
	v_fma_f32 v39, v70, v58, -v52
	v_fma_f32 v52, v70, v60, -v54
	v_mul_f32_e32 v54, v73, v63
	v_fma_f32 v38, v38, v60, -v55
	v_mul_f32_e32 v60, v72, v65
	v_dual_mul_f32 v55, v72, v63 :: v_dual_mul_f32 v70, v42, v69
	v_mul_f32_e32 v58, v73, v65
	v_fma_f32 v59, v40, v62, -v59
	v_fmac_f32_e32 v61, v41, v62
	v_fma_f32 v40, v40, v64, -v86
	v_dual_mul_f32 v41, v43, v67 :: v_dual_fmac_f32 v60, v73, v64
	v_dual_mul_f32 v63, v42, v67 :: v_dual_mul_f32 v86, v44, v81
	v_mul_f32_e32 v65, v43, v69
	v_fma_f32 v54, v72, v62, -v54
	v_fmac_f32_e32 v55, v73, v62
	v_fma_f32 v58, v72, v64, -v58
	v_mul_f32_e32 v72, v44, v79
	v_mul_f32_e32 v62, v75, v67
	v_dual_mul_f32 v64, v74, v67 :: v_dual_mul_f32 v67, v75, v69
	v_dual_mul_f32 v69, v74, v69 :: v_dual_fmac_f32 v70, v43, v68
	s_delay_alu instid0(VALU_DEP_2)
	v_dual_mul_f32 v71, v45, v79 :: v_dual_fmac_f32 v64, v75, v66
	v_dual_mul_f32 v73, v45, v81 :: v_dual_add_f32 v16, v16, v82
	v_fma_f32 v41, v42, v66, -v41
	v_fmac_f32_e32 v63, v43, v66
	v_fma_f32 v42, v42, v68, -v65
	v_fma_f32 v43, v74, v66, -v62
	v_dual_mul_f32 v65, v77, v79 :: v_dual_add_f32 v6, v6, v21
	v_mul_f32_e32 v66, v76, v79
	v_fma_f32 v62, v74, v68, -v67
	v_dual_mul_f32 v67, v77, v81 :: v_dual_add_f32 v8, v8, v19
	v_dual_fmac_f32 v69, v75, v68 :: v_dual_fmac_f32 v72, v45, v78
	v_mul_f32_e32 v68, v76, v81
	v_dual_fmac_f32 v86, v45, v80 :: v_dual_add_f32 v11, v11, v85
	v_dual_add_f32 v17, v17, v83 :: v_dual_add_f32 v16, v16, v37
	v_dual_add_f32 v13, v13, v22 :: v_dual_add_f32 v6, v6, v35
	;; [unrolled: 1-line block ×3, first 2 shown]
	s_delay_alu instid0(VALU_DEP_4) | instskip(SKIP_1) | instid1(VALU_DEP_4)
	v_dual_fmac_f32 v66, v77, v78 :: v_dual_add_f32 v11, v11, v91
	v_dual_fmac_f32 v68, v77, v80 :: v_dual_add_f32 v7, v7, v18
	v_dual_add_f32 v17, v17, v89 :: v_dual_add_f32 v6, v6, v36
	v_dual_add_f32 v13, v13, v24 :: v_dual_add_f32 v16, v16, v25
	;; [unrolled: 1-line block ×3, first 2 shown]
	s_delay_alu instid0(VALU_DEP_4) | instskip(NEXT) | instid1(VALU_DEP_3)
	v_add_f32_e32 v7, v7, v27
	v_dual_add_f32 v17, v17, v84 :: v_dual_add_f32 v16, v16, v47
	v_dual_add_f32 v11, v11, v87 :: v_dual_add_f32 v6, v6, v50
	s_delay_alu instid0(VALU_DEP_4) | instskip(NEXT) | instid1(VALU_DEP_3)
	v_add_f32_e32 v8, v8, v46
	v_dual_add_f32 v13, v13, v30 :: v_dual_add_f32 v16, v16, v33
	v_add_f32_e32 v9, v9, v28
	s_delay_alu instid0(VALU_DEP_4) | instskip(NEXT) | instid1(VALU_DEP_4)
	v_dual_add_f32 v7, v7, v31 :: v_dual_add_f32 v6, v6, v56
	v_add_f32_e32 v8, v8, v53
	s_delay_alu instid0(VALU_DEP_4) | instskip(SKIP_1) | instid1(VALU_DEP_4)
	v_dual_add_f32 v17, v17, v49 :: v_dual_add_f32 v16, v16, v59
	v_add_f32_e32 v13, v13, v32
	v_dual_add_f32 v11, v11, v90 :: v_dual_add_f32 v6, v6, v60
	s_delay_alu instid0(VALU_DEP_3) | instskip(SKIP_1) | instid1(VALU_DEP_3)
	v_dual_add_f32 v9, v9, v34 :: v_dual_add_f32 v16, v16, v41
	v_dual_add_f32 v7, v7, v48 :: v_dual_add_f32 v8, v8, v55
	v_add_f32_e32 v6, v6, v69
	v_fma_f32 v71, v44, v78, -v71
	v_add_f32_e32 v17, v17, v51
	v_add_f32_e32 v13, v13, v38
	s_delay_alu instid0(VALU_DEP_4) | instskip(SKIP_3) | instid1(VALU_DEP_4)
	v_dual_add_f32 v9, v9, v39 :: v_dual_add_f32 v6, v6, v68
	v_add_f32_e32 v7, v7, v52
	v_dual_add_f32 v8, v8, v64 :: v_dual_add_f32 v11, v11, v57
	v_add_f32_e32 v17, v17, v61
	v_add_f32_e32 v9, v9, v54
	s_delay_alu instid0(VALU_DEP_4) | instskip(NEXT) | instid1(VALU_DEP_4)
	v_add_f32_e32 v7, v7, v58
	v_dual_add_f32 v8, v8, v66 :: v_dual_add_f32 v11, v11, v88
	v_dual_add_f32 v16, v16, v71 :: v_dual_add_f32 v13, v13, v40
	v_fma_f32 v44, v44, v80, -v73
	v_fma_f32 v45, v76, v78, -v65
	;; [unrolled: 1-line block ×3, first 2 shown]
	v_add_f32_e32 v17, v17, v63
	v_add_f32_e32 v13, v13, v42
	;; [unrolled: 1-line block ×10, first 2 shown]
	s_cbranch_scc0 .LBB792_2
.LBB792_3:
	s_load_b32 s5, s[0:1], 0x40
	v_add_nc_u32_e32 v5, s12, v5
	v_add_nc_u32_e32 v0, s6, v4
	s_delay_alu instid0(VALU_DEP_1) | instskip(SKIP_1) | instid1(VALU_DEP_2)
	v_cmp_le_i32_e64 s0, v5, v0
	v_cmp_gt_i32_e32 vcc_lo, s4, v0
	s_and_b32 s0, s0, vcc_lo
	s_waitcnt lgkmcnt(0)
	v_mad_i64_i32 v[1:2], null, v5, s5, 0
	s_delay_alu instid0(VALU_DEP_1) | instskip(NEXT) | instid1(VALU_DEP_1)
	v_lshlrev_b64 v[1:2], 3, v[1:2]
	v_add_co_u32 v4, s1, s2, v1
	s_delay_alu instid0(VALU_DEP_1)
	v_add_co_ci_u32_e64 v10, s1, s3, v2, s1
	s_and_saveexec_b32 s1, s0
	s_cbranch_execz .LBB792_6
; %bb.4:
	v_ashrrev_i32_e32 v1, 31, v0
	v_xor_b32_e32 v14, 0x80000000, v16
	v_xor_b32_e32 v15, 0x80000000, v17
	s_delay_alu instid0(VALU_DEP_3) | instskip(NEXT) | instid1(VALU_DEP_1)
	v_lshlrev_b64 v[1:2], 3, v[0:1]
	v_add_co_u32 v1, s0, v4, v1
	s_delay_alu instid0(VALU_DEP_1)
	v_add_co_ci_u32_e64 v2, s0, v10, v2, s0
	v_cmp_eq_u32_e64 s0, v5, v0
	global_store_b64 v[1:2], v[14:15], off
	s_and_b32 exec_lo, exec_lo, s0
	s_cbranch_execz .LBB792_6
; %bb.5:
	v_mov_b32_e32 v3, 0
	global_store_b32 v[1:2], v3, off offset:4
.LBB792_6:
	s_or_b32 exec_lo, exec_lo, s1
	v_add_nc_u32_e32 v2, 16, v0
	s_delay_alu instid0(VALU_DEP_1) | instskip(SKIP_1) | instid1(VALU_DEP_1)
	v_cmp_le_i32_e64 s1, v5, v2
	v_cmp_gt_i32_e64 s0, s4, v2
	s_and_b32 s1, s1, s0
	s_delay_alu instid0(SALU_CYCLE_1)
	s_and_saveexec_b32 s4, s1
	s_cbranch_execz .LBB792_9
; %bb.7:
	v_ashrrev_i32_e32 v3, 31, v2
	v_xor_b32_e32 v12, 0x80000000, v13
	v_xor_b32_e32 v13, 0x80000000, v11
	s_delay_alu instid0(VALU_DEP_3) | instskip(NEXT) | instid1(VALU_DEP_1)
	v_lshlrev_b64 v[14:15], 3, v[2:3]
	v_add_co_u32 v3, s1, v4, v14
	s_delay_alu instid0(VALU_DEP_1)
	v_add_co_ci_u32_e64 v4, s1, v10, v15, s1
	v_cmp_eq_u32_e64 s1, v5, v2
	global_store_b64 v[3:4], v[12:13], off
	s_and_b32 exec_lo, exec_lo, s1
	s_cbranch_execz .LBB792_9
; %bb.8:
	v_mov_b32_e32 v1, 0
	global_store_b32 v[3:4], v1, off offset:4
.LBB792_9:
	s_or_b32 exec_lo, exec_lo, s4
	v_add_nc_u32_e32 v12, 16, v5
	s_delay_alu instid0(VALU_DEP_1) | instskip(SKIP_1) | instid1(VALU_DEP_2)
	v_mad_i64_i32 v[3:4], null, v12, s5, 0
	v_cmp_le_i32_e64 s1, v12, v0
	v_lshlrev_b64 v[3:4], 3, v[3:4]
	s_delay_alu instid0(VALU_DEP_1) | instskip(NEXT) | instid1(VALU_DEP_1)
	v_add_co_u32 v10, s2, s2, v3
	v_add_co_ci_u32_e64 v11, s2, s3, v4, s2
	s_delay_alu instid0(VALU_DEP_4) | instskip(NEXT) | instid1(SALU_CYCLE_1)
	s_and_b32 s2, s1, vcc_lo
	s_and_saveexec_b32 s1, s2
	s_cbranch_execz .LBB792_12
; %bb.10:
	v_ashrrev_i32_e32 v1, 31, v0
	v_xor_b32_e32 v13, 0x80000000, v9
	v_xor_b32_e32 v14, 0x80000000, v8
	s_delay_alu instid0(VALU_DEP_3) | instskip(NEXT) | instid1(VALU_DEP_1)
	v_lshlrev_b64 v[3:4], 3, v[0:1]
	v_add_co_u32 v3, vcc_lo, v10, v3
	s_delay_alu instid0(VALU_DEP_2)
	v_add_co_ci_u32_e32 v4, vcc_lo, v11, v4, vcc_lo
	v_cmp_eq_u32_e32 vcc_lo, v12, v0
	global_store_b64 v[3:4], v[13:14], off
	s_and_b32 exec_lo, exec_lo, vcc_lo
	s_cbranch_execz .LBB792_12
; %bb.11:
	v_mov_b32_e32 v1, 0
	global_store_b32 v[3:4], v1, off offset:4
.LBB792_12:
	s_or_b32 exec_lo, exec_lo, s1
	v_cmp_le_i32_e32 vcc_lo, v12, v2
	s_and_b32 s0, vcc_lo, s0
	s_delay_alu instid0(SALU_CYCLE_1)
	s_and_saveexec_b32 s1, s0
	s_cbranch_execz .LBB792_15
; %bb.13:
	v_ashrrev_i32_e32 v3, 31, v2
	v_xor_b32_e32 v4, 0x80000000, v6
	s_delay_alu instid0(VALU_DEP_2) | instskip(SKIP_1) | instid1(VALU_DEP_2)
	v_lshlrev_b64 v[1:2], 3, v[2:3]
	v_xor_b32_e32 v3, 0x80000000, v7
	v_add_co_u32 v1, vcc_lo, v10, v1
	s_delay_alu instid0(VALU_DEP_3)
	v_add_co_ci_u32_e32 v2, vcc_lo, v11, v2, vcc_lo
	v_cmp_eq_u32_e32 vcc_lo, v5, v0
	global_store_b64 v[1:2], v[3:4], off
	s_and_b32 exec_lo, exec_lo, vcc_lo
	s_cbranch_execz .LBB792_15
; %bb.14:
	v_mov_b32_e32 v0, 0
	global_store_b32 v[1:2], v0, off offset:4
.LBB792_15:
	s_nop 0
	s_sendmsg sendmsg(MSG_DEALLOC_VGPRS)
	s_endpgm
	.section	.rodata,"a",@progbits
	.p2align	6, 0x0
	.amdhsa_kernel _ZL37rocblas_syrkx_herkx_restricted_kernelIi19rocblas_complex_numIfELi16ELi32ELi8ELin1ELi0ELb1ELc78ELc76EKPKS1_KPS1_EviT_PT9_S7_lS9_S7_lPT10_S7_li
		.amdhsa_group_segment_fixed_size 4096
		.amdhsa_private_segment_fixed_size 0
		.amdhsa_kernarg_size 84
		.amdhsa_user_sgpr_count 13
		.amdhsa_user_sgpr_dispatch_ptr 0
		.amdhsa_user_sgpr_queue_ptr 0
		.amdhsa_user_sgpr_kernarg_segment_ptr 1
		.amdhsa_user_sgpr_dispatch_id 0
		.amdhsa_user_sgpr_private_segment_size 0
		.amdhsa_wavefront_size32 1
		.amdhsa_uses_dynamic_stack 0
		.amdhsa_enable_private_segment 0
		.amdhsa_system_sgpr_workgroup_id_x 1
		.amdhsa_system_sgpr_workgroup_id_y 1
		.amdhsa_system_sgpr_workgroup_id_z 1
		.amdhsa_system_sgpr_workgroup_info 0
		.amdhsa_system_vgpr_workitem_id 1
		.amdhsa_next_free_vgpr 92
		.amdhsa_next_free_sgpr 20
		.amdhsa_reserve_vcc 1
		.amdhsa_float_round_mode_32 0
		.amdhsa_float_round_mode_16_64 0
		.amdhsa_float_denorm_mode_32 3
		.amdhsa_float_denorm_mode_16_64 3
		.amdhsa_dx10_clamp 1
		.amdhsa_ieee_mode 1
		.amdhsa_fp16_overflow 0
		.amdhsa_workgroup_processor_mode 1
		.amdhsa_memory_ordered 1
		.amdhsa_forward_progress 0
		.amdhsa_shared_vgpr_count 0
		.amdhsa_exception_fp_ieee_invalid_op 0
		.amdhsa_exception_fp_denorm_src 0
		.amdhsa_exception_fp_ieee_div_zero 0
		.amdhsa_exception_fp_ieee_overflow 0
		.amdhsa_exception_fp_ieee_underflow 0
		.amdhsa_exception_fp_ieee_inexact 0
		.amdhsa_exception_int_div_zero 0
	.end_amdhsa_kernel
	.section	.text._ZL37rocblas_syrkx_herkx_restricted_kernelIi19rocblas_complex_numIfELi16ELi32ELi8ELin1ELi0ELb1ELc78ELc76EKPKS1_KPS1_EviT_PT9_S7_lS9_S7_lPT10_S7_li,"axG",@progbits,_ZL37rocblas_syrkx_herkx_restricted_kernelIi19rocblas_complex_numIfELi16ELi32ELi8ELin1ELi0ELb1ELc78ELc76EKPKS1_KPS1_EviT_PT9_S7_lS9_S7_lPT10_S7_li,comdat
.Lfunc_end792:
	.size	_ZL37rocblas_syrkx_herkx_restricted_kernelIi19rocblas_complex_numIfELi16ELi32ELi8ELin1ELi0ELb1ELc78ELc76EKPKS1_KPS1_EviT_PT9_S7_lS9_S7_lPT10_S7_li, .Lfunc_end792-_ZL37rocblas_syrkx_herkx_restricted_kernelIi19rocblas_complex_numIfELi16ELi32ELi8ELin1ELi0ELb1ELc78ELc76EKPKS1_KPS1_EviT_PT9_S7_lS9_S7_lPT10_S7_li
                                        ; -- End function
	.section	.AMDGPU.csdata,"",@progbits
; Kernel info:
; codeLenInByte = 2192
; NumSgprs: 22
; NumVgprs: 92
; ScratchSize: 0
; MemoryBound: 0
; FloatMode: 240
; IeeeMode: 1
; LDSByteSize: 4096 bytes/workgroup (compile time only)
; SGPRBlocks: 2
; VGPRBlocks: 11
; NumSGPRsForWavesPerEU: 22
; NumVGPRsForWavesPerEU: 92
; Occupancy: 16
; WaveLimiterHint : 1
; COMPUTE_PGM_RSRC2:SCRATCH_EN: 0
; COMPUTE_PGM_RSRC2:USER_SGPR: 13
; COMPUTE_PGM_RSRC2:TRAP_HANDLER: 0
; COMPUTE_PGM_RSRC2:TGID_X_EN: 1
; COMPUTE_PGM_RSRC2:TGID_Y_EN: 1
; COMPUTE_PGM_RSRC2:TGID_Z_EN: 1
; COMPUTE_PGM_RSRC2:TIDIG_COMP_CNT: 1
	.section	.text._ZL37rocblas_syrkx_herkx_restricted_kernelIi19rocblas_complex_numIfELi16ELi32ELi8ELin1ELi0ELb1ELc84ELc85EKPKS1_KPS1_EviT_PT9_S7_lS9_S7_lPT10_S7_li,"axG",@progbits,_ZL37rocblas_syrkx_herkx_restricted_kernelIi19rocblas_complex_numIfELi16ELi32ELi8ELin1ELi0ELb1ELc84ELc85EKPKS1_KPS1_EviT_PT9_S7_lS9_S7_lPT10_S7_li,comdat
	.globl	_ZL37rocblas_syrkx_herkx_restricted_kernelIi19rocblas_complex_numIfELi16ELi32ELi8ELin1ELi0ELb1ELc84ELc85EKPKS1_KPS1_EviT_PT9_S7_lS9_S7_lPT10_S7_li ; -- Begin function _ZL37rocblas_syrkx_herkx_restricted_kernelIi19rocblas_complex_numIfELi16ELi32ELi8ELin1ELi0ELb1ELc84ELc85EKPKS1_KPS1_EviT_PT9_S7_lS9_S7_lPT10_S7_li
	.p2align	8
	.type	_ZL37rocblas_syrkx_herkx_restricted_kernelIi19rocblas_complex_numIfELi16ELi32ELi8ELin1ELi0ELb1ELc84ELc85EKPKS1_KPS1_EviT_PT9_S7_lS9_S7_lPT10_S7_li,@function
_ZL37rocblas_syrkx_herkx_restricted_kernelIi19rocblas_complex_numIfELi16ELi32ELi8ELin1ELi0ELb1ELc84ELc85EKPKS1_KPS1_EviT_PT9_S7_lS9_S7_lPT10_S7_li: ; @_ZL37rocblas_syrkx_herkx_restricted_kernelIi19rocblas_complex_numIfELi16ELi32ELi8ELin1ELi0ELb1ELc84ELc85EKPKS1_KPS1_EviT_PT9_S7_lS9_S7_lPT10_S7_li
; %bb.0:
	s_clause 0x1
	s_load_b64 s[4:5], s[0:1], 0x38
	s_load_b64 s[2:3], s[0:1], 0x0
	s_mov_b32 s6, s15
	s_mov_b32 s7, 0
	v_dual_mov_b32 v17, 0 :: v_dual_and_b32 v6, 0x3ff, v0
	s_lshl_b64 s[8:9], s[6:7], 3
	v_bfe_u32 v8, v0, 10, 10
	v_dual_mov_b32 v16, 0 :: v_dual_mov_b32 v13, 0
	v_dual_mov_b32 v12, 0 :: v_dual_mov_b32 v9, 0
	;; [unrolled: 1-line block ×3, first 2 shown]
	v_mov_b32_e32 v1, 0
	s_waitcnt lgkmcnt(0)
	s_add_u32 s4, s4, s8
	s_addc_u32 s5, s5, s9
	s_lshl_b32 s6, s13, 5
	s_load_b64 s[4:5], s[4:5], 0x0
	s_lshl_b32 s10, s14, 5
	s_cmp_lt_i32 s3, 1
	s_cbranch_scc1 .LBB793_3
; %bb.1:
	s_clause 0x3
	s_load_b64 s[12:13], s[0:1], 0x8
	s_load_b64 s[14:15], s[0:1], 0x20
	s_load_b32 s11, s[0:1], 0x10
	s_load_b32 s16, s[0:1], 0x28
	v_lshl_add_u32 v2, v8, 4, v6
	v_dual_mov_b32 v1, 0 :: v_dual_and_b32 v0, 7, v6
	v_lshlrev_b32_e32 v10, 3, v6
	v_lshl_add_u32 v11, v8, 6, 0x800
	s_delay_alu instid0(VALU_DEP_4)
	v_and_b32_e32 v14, 31, v2
	v_lshrrev_b32_e32 v9, 3, v2
	v_lshrrev_b32_e32 v2, 5, v2
	v_mov_b32_e32 v3, v1
	v_mov_b32_e32 v17, v1
	v_add_nc_u32_e32 v7, s6, v14
	v_dual_mov_b32 v16, v1 :: v_dual_add_nc_u32 v15, s10, v9
	s_waitcnt lgkmcnt(0)
	s_add_u32 s12, s12, s8
	s_addc_u32 s13, s13, s9
	s_add_u32 s8, s14, s8
	s_load_b64 s[12:13], s[12:13], 0x0
	s_addc_u32 s9, s15, s9
	v_mad_i64_i32 v[4:5], null, s11, v7, v[2:3]
	s_load_b64 s[8:9], s[8:9], 0x0
	v_lshlrev_b32_e32 v3, 3, v0
	v_mad_i64_i32 v[12:13], null, s16, v15, v[0:1]
	v_dual_mov_b32 v7, v1 :: v_dual_lshlrev_b32 v14, 3, v14
	s_delay_alu instid0(VALU_DEP_3)
	v_lshl_or_b32 v15, v9, 6, v3
	v_mov_b32_e32 v9, v1
	v_lshlrev_b64 v[3:4], 3, v[4:5]
	v_mov_b32_e32 v0, v1
	v_lshlrev_b64 v[12:13], 3, v[12:13]
	v_lshl_or_b32 v14, v2, 8, v14
	v_add_nc_u32_e32 v15, 0x800, v15
	s_waitcnt lgkmcnt(0)
	v_add_co_u32 v2, vcc_lo, v3, s12
	v_add_co_ci_u32_e32 v3, vcc_lo, s13, v4, vcc_lo
	v_add_co_u32 v4, vcc_lo, v12, s8
	v_add_co_ci_u32_e32 v5, vcc_lo, s9, v13, vcc_lo
	s_delay_alu instid0(VALU_DEP_4) | instskip(NEXT) | instid1(VALU_DEP_4)
	v_add_co_u32 v2, vcc_lo, v2, 4
	v_add_co_ci_u32_e32 v3, vcc_lo, 0, v3, vcc_lo
	s_delay_alu instid0(VALU_DEP_4) | instskip(NEXT) | instid1(VALU_DEP_4)
	v_add_co_u32 v4, vcc_lo, v4, 4
	v_add_co_ci_u32_e32 v5, vcc_lo, 0, v5, vcc_lo
	v_mov_b32_e32 v12, v1
	v_mov_b32_e32 v13, v1
.LBB793_2:                              ; =>This Inner Loop Header: Depth=1
	global_load_b64 v[18:19], v[2:3], off offset:-4
	global_load_b64 v[20:21], v[4:5], off offset:-4
	v_add_co_u32 v2, vcc_lo, v2, 64
	v_add_co_ci_u32_e32 v3, vcc_lo, 0, v3, vcc_lo
	v_add_co_u32 v4, vcc_lo, v4, 64
	v_add_co_ci_u32_e32 v5, vcc_lo, 0, v5, vcc_lo
	s_add_i32 s7, s7, 8
	s_waitcnt vmcnt(1)
	ds_store_b64 v14, v[18:19]
	s_waitcnt vmcnt(0)
	ds_store_b64 v15, v[20:21]
	s_waitcnt lgkmcnt(0)
	s_barrier
	buffer_gl0_inv
	ds_load_2addr_b64 v[18:21], v10 offset1:16
	ds_load_b128 v[22:25], v11
	ds_load_b128 v[26:29], v11 offset:1024
	ds_load_b128 v[30:33], v11 offset:16
	ds_load_2addr_b64 v[34:37], v10 offset0:32 offset1:48
	ds_load_b128 v[38:41], v11 offset:32
	ds_load_b128 v[42:45], v11 offset:48
	ds_load_2addr_b64 v[46:49], v10 offset0:64 offset1:80
	ds_load_b128 v[50:53], v11 offset:1040
	ds_load_2addr_b64 v[54:57], v10 offset0:96 offset1:112
	ds_load_2addr_b64 v[58:61], v10 offset0:128 offset1:144
	ds_load_2addr_b64 v[62:65], v10 offset0:160 offset1:176
	ds_load_2addr_b64 v[66:69], v10 offset0:192 offset1:208
	ds_load_b128 v[70:73], v11 offset:1056
	ds_load_b128 v[74:77], v11 offset:1072
	ds_load_2addr_b64 v[78:81], v10 offset0:224 offset1:240
	s_cmp_ge_i32 s7, s3
	s_waitcnt lgkmcnt(0)
	s_barrier
	buffer_gl0_inv
	v_dual_mul_f32 v82, v23, v19 :: v_dual_mul_f32 v85, v22, v21
	v_dual_mul_f32 v83, v22, v19 :: v_dual_mul_f32 v84, v23, v21
	v_mul_f32_e32 v86, v27, v19
	v_dual_mul_f32 v19, v26, v19 :: v_dual_mul_f32 v90, v25, v37
	v_dual_mul_f32 v87, v27, v21 :: v_dual_mul_f32 v88, v25, v35
	v_mul_f32_e32 v21, v26, v21
	v_fma_f32 v82, v22, v18, -v82
	v_fmac_f32_e32 v83, v23, v18
	v_fma_f32 v22, v22, v20, -v84
	v_fmac_f32_e32 v85, v23, v20
	v_fma_f32 v23, v26, v18, -v86
	v_dual_fmac_f32 v19, v27, v18 :: v_dual_mul_f32 v86, v30, v47
	v_fma_f32 v18, v26, v20, -v87
	v_dual_fmac_f32 v21, v27, v20 :: v_dual_mul_f32 v20, v24, v37
	v_mul_f32_e32 v89, v24, v35
	v_mul_f32_e32 v26, v29, v35
	v_mul_f32_e32 v27, v28, v35
	v_mul_f32_e32 v35, v29, v37
	v_fmac_f32_e32 v20, v25, v36
	v_fmac_f32_e32 v89, v25, v34
	v_dual_mul_f32 v25, v28, v37 :: v_dual_fmac_f32 v86, v31, v46
	v_fma_f32 v84, v24, v34, -v88
	v_fma_f32 v24, v24, v36, -v90
	v_dual_mul_f32 v37, v31, v47 :: v_dual_mul_f32 v90, v33, v57
	v_fma_f32 v26, v28, v34, -v26
	v_fma_f32 v28, v28, v36, -v35
	v_fmac_f32_e32 v25, v29, v36
	v_dual_mul_f32 v35, v50, v47 :: v_dual_mul_f32 v36, v51, v49
	v_dual_fmac_f32 v27, v29, v34 :: v_dual_mul_f32 v34, v51, v47
	v_dual_mul_f32 v88, v32, v55 :: v_dual_mul_f32 v29, v30, v49
	v_mul_f32_e32 v87, v31, v49
	v_fma_f32 v37, v30, v46, -v37
	v_add_f32_e32 v16, v16, v82
	s_delay_alu instid0(VALU_DEP_4)
	v_dual_fmac_f32 v88, v33, v54 :: v_dual_fmac_f32 v29, v31, v48
	v_fma_f32 v31, v50, v46, -v34
	v_fma_f32 v34, v50, v48, -v36
	v_mul_f32_e32 v36, v32, v57
	v_mul_f32_e32 v47, v50, v49
	v_dual_mul_f32 v50, v53, v57 :: v_dual_fmac_f32 v35, v51, v46
	v_mul_f32_e32 v46, v53, v55
	v_mul_f32_e32 v49, v33, v55
	v_fma_f32 v30, v30, v48, -v87
	v_fmac_f32_e32 v36, v33, v56
	v_dual_fmac_f32 v47, v51, v48 :: v_dual_mul_f32 v48, v52, v55
	v_mul_f32_e32 v33, v52, v57
	v_fma_f32 v46, v52, v54, -v46
	v_fma_f32 v50, v52, v56, -v50
	v_mul_f32_e32 v52, v38, v61
	v_fma_f32 v49, v32, v54, -v49
	v_fma_f32 v32, v32, v56, -v90
	v_dual_mul_f32 v51, v39, v59 :: v_dual_fmac_f32 v48, v53, v54
	v_mul_f32_e32 v54, v70, v59
	v_dual_mul_f32 v55, v38, v59 :: v_dual_fmac_f32 v52, v39, v60
	v_fmac_f32_e32 v33, v53, v56
	v_mul_f32_e32 v53, v71, v59
	v_mul_f32_e32 v56, v71, v61
	;; [unrolled: 1-line block ×3, first 2 shown]
	v_fmac_f32_e32 v54, v71, v58
	v_fmac_f32_e32 v55, v39, v58
	v_fma_f32 v39, v70, v58, -v53
	v_fma_f32 v53, v70, v60, -v56
	v_mul_f32_e32 v56, v40, v65
	v_mul_f32_e32 v59, v70, v61
	v_fma_f32 v51, v38, v58, -v51
	v_mul_f32_e32 v58, v72, v63
	v_mul_f32_e32 v87, v40, v63
	;; [unrolled: 1-line block ×4, first 2 shown]
	v_fma_f32 v38, v38, v60, -v57
	v_mul_f32_e32 v57, v73, v63
	v_fmac_f32_e32 v56, v41, v64
	v_dual_fmac_f32 v59, v71, v60 :: v_dual_mul_f32 v60, v73, v65
	v_mul_f32_e32 v63, v43, v67
	v_mul_f32_e32 v70, v43, v69
	v_fmac_f32_e32 v58, v73, v62
	v_fmac_f32_e32 v87, v41, v62
	v_mul_f32_e32 v41, v72, v65
	v_fma_f32 v61, v40, v62, -v61
	v_fma_f32 v40, v40, v64, -v90
	v_mul_f32_e32 v65, v42, v67
	v_fma_f32 v57, v72, v62, -v57
	v_fma_f32 v60, v72, v64, -v60
	v_dual_fmac_f32 v41, v73, v64 :: v_dual_mul_f32 v62, v42, v69
	v_mul_f32_e32 v64, v75, v67
	v_fma_f32 v63, v42, v66, -v63
	v_fma_f32 v42, v42, v68, -v70
	v_mul_f32_e32 v70, v76, v79
	v_mul_f32_e32 v67, v74, v67
	;; [unrolled: 1-line block ×4, first 2 shown]
	v_dual_fmac_f32 v65, v43, v66 :: v_dual_add_f32 v12, v12, v85
	v_fmac_f32_e32 v62, v43, v68
	v_fma_f32 v43, v74, v66, -v64
	v_fmac_f32_e32 v70, v77, v78
	v_dual_fmac_f32 v67, v75, v66 :: v_dual_add_f32 v16, v16, v84
	v_mul_f32_e32 v66, v44, v81
	v_dual_mul_f32 v69, v74, v69 :: v_dual_add_f32 v0, v0, v19
	v_mul_f32_e32 v72, v45, v79
	v_mul_f32_e32 v90, v45, v81
	v_fma_f32 v64, v74, v68, -v71
	v_dual_mul_f32 v71, v77, v81 :: v_dual_add_f32 v12, v12, v20
	v_dual_fmac_f32 v73, v45, v78 :: v_dual_add_f32 v16, v16, v37
	v_dual_fmac_f32 v66, v45, v80 :: v_dual_mul_f32 v45, v76, v81
	v_dual_fmac_f32 v69, v75, v68 :: v_dual_add_f32 v0, v0, v27
	s_delay_alu instid0(VALU_DEP_4) | instskip(NEXT) | instid1(VALU_DEP_3)
	v_dual_add_f32 v12, v12, v29 :: v_dual_add_f32 v17, v17, v83
	v_dual_add_f32 v16, v16, v49 :: v_dual_fmac_f32 v45, v77, v80
	s_delay_alu instid0(VALU_DEP_3) | instskip(NEXT) | instid1(VALU_DEP_3)
	v_dual_add_f32 v13, v13, v22 :: v_dual_add_f32 v0, v0, v35
	v_dual_add_f32 v9, v9, v23 :: v_dual_add_f32 v12, v12, v36
	v_add_f32_e32 v7, v7, v18
	s_delay_alu instid0(VALU_DEP_4) | instskip(NEXT) | instid1(VALU_DEP_3)
	v_dual_add_f32 v1, v1, v21 :: v_dual_add_f32 v16, v16, v51
	v_dual_add_f32 v17, v17, v89 :: v_dual_add_f32 v12, v12, v52
	v_add_f32_e32 v0, v0, v48
	v_add_f32_e32 v13, v13, v24
	s_delay_alu instid0(VALU_DEP_4) | instskip(NEXT) | instid1(VALU_DEP_4)
	v_dual_add_f32 v9, v9, v26 :: v_dual_add_f32 v16, v16, v61
	v_dual_add_f32 v1, v1, v25 :: v_dual_add_f32 v12, v12, v56
	s_delay_alu instid0(VALU_DEP_4) | instskip(SKIP_1) | instid1(VALU_DEP_4)
	v_dual_add_f32 v0, v0, v54 :: v_dual_add_f32 v7, v7, v28
	v_fma_f32 v72, v44, v78, -v72
	v_dual_add_f32 v17, v17, v86 :: v_dual_add_f32 v16, v16, v63
	s_delay_alu instid0(VALU_DEP_4) | instskip(NEXT) | instid1(VALU_DEP_4)
	v_dual_add_f32 v9, v9, v31 :: v_dual_add_f32 v12, v12, v62
	v_dual_add_f32 v1, v1, v47 :: v_dual_add_f32 v0, v0, v58
	v_add_f32_e32 v13, v13, v30
	s_delay_alu instid0(VALU_DEP_4) | instskip(NEXT) | instid1(VALU_DEP_3)
	v_dual_add_f32 v7, v7, v34 :: v_dual_add_f32 v16, v16, v72
	v_dual_add_f32 v9, v9, v46 :: v_dual_add_f32 v0, v0, v67
	v_add_f32_e32 v17, v17, v88
	s_delay_alu instid0(VALU_DEP_4) | instskip(NEXT) | instid1(VALU_DEP_4)
	v_add_f32_e32 v13, v13, v32
	v_add_f32_e32 v7, v7, v50
	;; [unrolled: 1-line block ×3, first 2 shown]
	v_dual_add_f32 v0, v0, v70 :: v_dual_add_f32 v1, v1, v33
	v_add_f32_e32 v17, v17, v55
	v_add_f32_e32 v13, v13, v38
	;; [unrolled: 1-line block ×5, first 2 shown]
	v_mul_f32_e32 v68, v77, v79
	v_add_f32_e32 v17, v17, v87
	v_add_f32_e32 v13, v13, v40
	;; [unrolled: 1-line block ×5, first 2 shown]
	v_fma_f32 v44, v44, v80, -v90
	v_fma_f32 v68, v76, v78, -v68
	;; [unrolled: 1-line block ×3, first 2 shown]
	v_add_f32_e32 v17, v17, v65
	v_add_f32_e32 v13, v13, v42
	;; [unrolled: 1-line block ×10, first 2 shown]
	s_cbranch_scc0 .LBB793_2
.LBB793_3:
	s_load_b32 s3, s[0:1], 0x40
	v_add_nc_u32_e32 v8, s10, v8
	v_add_nc_u32_e32 v2, s6, v6
	s_delay_alu instid0(VALU_DEP_2) | instskip(NEXT) | instid1(VALU_DEP_2)
	v_cmp_gt_i32_e32 vcc_lo, s2, v8
	v_cmp_le_i32_e64 s0, v2, v8
	s_delay_alu instid0(VALU_DEP_1) | instskip(SKIP_2) | instid1(VALU_DEP_1)
	s_and_b32 s0, vcc_lo, s0
	s_waitcnt lgkmcnt(0)
	v_mad_i64_i32 v[3:4], null, v8, s3, 0
	v_lshlrev_b64 v[3:4], 3, v[3:4]
	s_delay_alu instid0(VALU_DEP_1) | instskip(NEXT) | instid1(VALU_DEP_1)
	v_add_co_u32 v6, s1, s4, v3
	v_add_co_ci_u32_e64 v10, s1, s5, v4, s1
	s_and_saveexec_b32 s1, s0
	s_cbranch_execz .LBB793_6
; %bb.4:
	v_ashrrev_i32_e32 v3, 31, v2
	v_xor_b32_e32 v14, 0x80000000, v16
	v_xor_b32_e32 v15, 0x80000000, v17
	s_delay_alu instid0(VALU_DEP_3) | instskip(NEXT) | instid1(VALU_DEP_1)
	v_lshlrev_b64 v[3:4], 3, v[2:3]
	v_add_co_u32 v3, s0, v6, v3
	s_delay_alu instid0(VALU_DEP_1)
	v_add_co_ci_u32_e64 v4, s0, v10, v4, s0
	v_cmp_eq_u32_e64 s0, v8, v2
	global_store_b64 v[3:4], v[14:15], off
	s_and_b32 exec_lo, exec_lo, s0
	s_cbranch_execz .LBB793_6
; %bb.5:
	v_mov_b32_e32 v5, 0
	global_store_b32 v[3:4], v5, off offset:4
.LBB793_6:
	s_or_b32 exec_lo, exec_lo, s1
	v_add_nc_u32_e32 v4, 16, v2
	s_delay_alu instid0(VALU_DEP_1) | instskip(NEXT) | instid1(VALU_DEP_1)
	v_cmp_le_i32_e64 s0, v4, v8
	s_and_b32 s1, vcc_lo, s0
	s_delay_alu instid0(SALU_CYCLE_1)
	s_and_saveexec_b32 s0, s1
	s_cbranch_execz .LBB793_9
; %bb.7:
	v_ashrrev_i32_e32 v5, 31, v4
	v_xor_b32_e32 v11, 0x80000000, v13
	v_xor_b32_e32 v12, 0x80000000, v12
	s_delay_alu instid0(VALU_DEP_3) | instskip(NEXT) | instid1(VALU_DEP_1)
	v_lshlrev_b64 v[14:15], 3, v[4:5]
	v_add_co_u32 v5, vcc_lo, v6, v14
	s_delay_alu instid0(VALU_DEP_2)
	v_add_co_ci_u32_e32 v6, vcc_lo, v10, v15, vcc_lo
	v_cmp_eq_u32_e32 vcc_lo, v8, v4
	global_store_b64 v[5:6], v[11:12], off
	s_and_b32 exec_lo, exec_lo, vcc_lo
	s_cbranch_execz .LBB793_9
; %bb.8:
	v_mov_b32_e32 v3, 0
	global_store_b32 v[5:6], v3, off offset:4
.LBB793_9:
	s_or_b32 exec_lo, exec_lo, s0
	v_add_nc_u32_e32 v12, 16, v8
	s_delay_alu instid0(VALU_DEP_1) | instskip(SKIP_2) | instid1(VALU_DEP_1)
	v_mad_i64_i32 v[5:6], null, v12, s3, 0
	v_cmp_gt_i32_e32 vcc_lo, s2, v12
	v_cmp_le_i32_e64 s0, v2, v12
	s_and_b32 s0, vcc_lo, s0
	s_delay_alu instid0(VALU_DEP_3) | instskip(NEXT) | instid1(VALU_DEP_1)
	v_lshlrev_b64 v[5:6], 3, v[5:6]
	v_add_co_u32 v10, s1, s4, v5
	s_delay_alu instid0(VALU_DEP_1)
	v_add_co_ci_u32_e64 v11, s1, s5, v6, s1
	s_and_saveexec_b32 s1, s0
	s_cbranch_execz .LBB793_12
; %bb.10:
	v_ashrrev_i32_e32 v3, 31, v2
	v_xor_b32_e32 v13, 0x80000000, v9
	v_xor_b32_e32 v14, 0x80000000, v0
	s_delay_alu instid0(VALU_DEP_3) | instskip(NEXT) | instid1(VALU_DEP_1)
	v_lshlrev_b64 v[5:6], 3, v[2:3]
	v_add_co_u32 v5, s0, v10, v5
	s_delay_alu instid0(VALU_DEP_1)
	v_add_co_ci_u32_e64 v6, s0, v11, v6, s0
	v_cmp_eq_u32_e64 s0, v12, v2
	global_store_b64 v[5:6], v[13:14], off
	s_and_b32 exec_lo, exec_lo, s0
	s_cbranch_execz .LBB793_12
; %bb.11:
	v_mov_b32_e32 v0, 0
	global_store_b32 v[5:6], v0, off offset:4
.LBB793_12:
	s_or_b32 exec_lo, exec_lo, s1
	v_cmp_le_i32_e64 s0, v4, v12
	s_delay_alu instid0(VALU_DEP_1) | instskip(NEXT) | instid1(SALU_CYCLE_1)
	s_and_b32 s0, vcc_lo, s0
	s_and_saveexec_b32 s1, s0
	s_cbranch_execz .LBB793_15
; %bb.13:
	v_ashrrev_i32_e32 v5, 31, v4
	v_xor_b32_e32 v6, 0x80000000, v1
	s_delay_alu instid0(VALU_DEP_2) | instskip(SKIP_1) | instid1(VALU_DEP_2)
	v_lshlrev_b64 v[3:4], 3, v[4:5]
	v_xor_b32_e32 v5, 0x80000000, v7
	v_add_co_u32 v0, vcc_lo, v10, v3
	s_delay_alu instid0(VALU_DEP_3)
	v_add_co_ci_u32_e32 v1, vcc_lo, v11, v4, vcc_lo
	v_cmp_eq_u32_e32 vcc_lo, v8, v2
	global_store_b64 v[0:1], v[5:6], off
	s_and_b32 exec_lo, exec_lo, vcc_lo
	s_cbranch_execz .LBB793_15
; %bb.14:
	v_mov_b32_e32 v2, 0
	global_store_b32 v[0:1], v2, off offset:4
.LBB793_15:
	s_nop 0
	s_sendmsg sendmsg(MSG_DEALLOC_VGPRS)
	s_endpgm
	.section	.rodata,"a",@progbits
	.p2align	6, 0x0
	.amdhsa_kernel _ZL37rocblas_syrkx_herkx_restricted_kernelIi19rocblas_complex_numIfELi16ELi32ELi8ELin1ELi0ELb1ELc84ELc85EKPKS1_KPS1_EviT_PT9_S7_lS9_S7_lPT10_S7_li
		.amdhsa_group_segment_fixed_size 4096
		.amdhsa_private_segment_fixed_size 0
		.amdhsa_kernarg_size 84
		.amdhsa_user_sgpr_count 13
		.amdhsa_user_sgpr_dispatch_ptr 0
		.amdhsa_user_sgpr_queue_ptr 0
		.amdhsa_user_sgpr_kernarg_segment_ptr 1
		.amdhsa_user_sgpr_dispatch_id 0
		.amdhsa_user_sgpr_private_segment_size 0
		.amdhsa_wavefront_size32 1
		.amdhsa_uses_dynamic_stack 0
		.amdhsa_enable_private_segment 0
		.amdhsa_system_sgpr_workgroup_id_x 1
		.amdhsa_system_sgpr_workgroup_id_y 1
		.amdhsa_system_sgpr_workgroup_id_z 1
		.amdhsa_system_sgpr_workgroup_info 0
		.amdhsa_system_vgpr_workitem_id 1
		.amdhsa_next_free_vgpr 91
		.amdhsa_next_free_sgpr 17
		.amdhsa_reserve_vcc 1
		.amdhsa_float_round_mode_32 0
		.amdhsa_float_round_mode_16_64 0
		.amdhsa_float_denorm_mode_32 3
		.amdhsa_float_denorm_mode_16_64 3
		.amdhsa_dx10_clamp 1
		.amdhsa_ieee_mode 1
		.amdhsa_fp16_overflow 0
		.amdhsa_workgroup_processor_mode 1
		.amdhsa_memory_ordered 1
		.amdhsa_forward_progress 0
		.amdhsa_shared_vgpr_count 0
		.amdhsa_exception_fp_ieee_invalid_op 0
		.amdhsa_exception_fp_denorm_src 0
		.amdhsa_exception_fp_ieee_div_zero 0
		.amdhsa_exception_fp_ieee_overflow 0
		.amdhsa_exception_fp_ieee_underflow 0
		.amdhsa_exception_fp_ieee_inexact 0
		.amdhsa_exception_int_div_zero 0
	.end_amdhsa_kernel
	.section	.text._ZL37rocblas_syrkx_herkx_restricted_kernelIi19rocblas_complex_numIfELi16ELi32ELi8ELin1ELi0ELb1ELc84ELc85EKPKS1_KPS1_EviT_PT9_S7_lS9_S7_lPT10_S7_li,"axG",@progbits,_ZL37rocblas_syrkx_herkx_restricted_kernelIi19rocblas_complex_numIfELi16ELi32ELi8ELin1ELi0ELb1ELc84ELc85EKPKS1_KPS1_EviT_PT9_S7_lS9_S7_lPT10_S7_li,comdat
.Lfunc_end793:
	.size	_ZL37rocblas_syrkx_herkx_restricted_kernelIi19rocblas_complex_numIfELi16ELi32ELi8ELin1ELi0ELb1ELc84ELc85EKPKS1_KPS1_EviT_PT9_S7_lS9_S7_lPT10_S7_li, .Lfunc_end793-_ZL37rocblas_syrkx_herkx_restricted_kernelIi19rocblas_complex_numIfELi16ELi32ELi8ELin1ELi0ELb1ELc84ELc85EKPKS1_KPS1_EviT_PT9_S7_lS9_S7_lPT10_S7_li
                                        ; -- End function
	.section	.AMDGPU.csdata,"",@progbits
; Kernel info:
; codeLenInByte = 2148
; NumSgprs: 19
; NumVgprs: 91
; ScratchSize: 0
; MemoryBound: 0
; FloatMode: 240
; IeeeMode: 1
; LDSByteSize: 4096 bytes/workgroup (compile time only)
; SGPRBlocks: 2
; VGPRBlocks: 11
; NumSGPRsForWavesPerEU: 19
; NumVGPRsForWavesPerEU: 91
; Occupancy: 16
; WaveLimiterHint : 1
; COMPUTE_PGM_RSRC2:SCRATCH_EN: 0
; COMPUTE_PGM_RSRC2:USER_SGPR: 13
; COMPUTE_PGM_RSRC2:TRAP_HANDLER: 0
; COMPUTE_PGM_RSRC2:TGID_X_EN: 1
; COMPUTE_PGM_RSRC2:TGID_Y_EN: 1
; COMPUTE_PGM_RSRC2:TGID_Z_EN: 1
; COMPUTE_PGM_RSRC2:TIDIG_COMP_CNT: 1
	.section	.text._ZL37rocblas_syrkx_herkx_restricted_kernelIi19rocblas_complex_numIfELi16ELi32ELi8ELin1ELi0ELb1ELc67ELc85EKPKS1_KPS1_EviT_PT9_S7_lS9_S7_lPT10_S7_li,"axG",@progbits,_ZL37rocblas_syrkx_herkx_restricted_kernelIi19rocblas_complex_numIfELi16ELi32ELi8ELin1ELi0ELb1ELc67ELc85EKPKS1_KPS1_EviT_PT9_S7_lS9_S7_lPT10_S7_li,comdat
	.globl	_ZL37rocblas_syrkx_herkx_restricted_kernelIi19rocblas_complex_numIfELi16ELi32ELi8ELin1ELi0ELb1ELc67ELc85EKPKS1_KPS1_EviT_PT9_S7_lS9_S7_lPT10_S7_li ; -- Begin function _ZL37rocblas_syrkx_herkx_restricted_kernelIi19rocblas_complex_numIfELi16ELi32ELi8ELin1ELi0ELb1ELc67ELc85EKPKS1_KPS1_EviT_PT9_S7_lS9_S7_lPT10_S7_li
	.p2align	8
	.type	_ZL37rocblas_syrkx_herkx_restricted_kernelIi19rocblas_complex_numIfELi16ELi32ELi8ELin1ELi0ELb1ELc67ELc85EKPKS1_KPS1_EviT_PT9_S7_lS9_S7_lPT10_S7_li,@function
_ZL37rocblas_syrkx_herkx_restricted_kernelIi19rocblas_complex_numIfELi16ELi32ELi8ELin1ELi0ELb1ELc67ELc85EKPKS1_KPS1_EviT_PT9_S7_lS9_S7_lPT10_S7_li: ; @_ZL37rocblas_syrkx_herkx_restricted_kernelIi19rocblas_complex_numIfELi16ELi32ELi8ELin1ELi0ELb1ELc67ELc85EKPKS1_KPS1_EviT_PT9_S7_lS9_S7_lPT10_S7_li
; %bb.0:
	s_clause 0x1
	s_load_b64 s[4:5], s[0:1], 0x38
	s_load_b64 s[2:3], s[0:1], 0x0
	s_mov_b32 s6, s15
	s_mov_b32 s7, 0
	v_dual_mov_b32 v17, 0 :: v_dual_and_b32 v6, 0x3ff, v0
	s_lshl_b64 s[8:9], s[6:7], 3
	v_bfe_u32 v8, v0, 10, 10
	v_dual_mov_b32 v16, 0 :: v_dual_mov_b32 v13, 0
	v_dual_mov_b32 v12, 0 :: v_dual_mov_b32 v9, 0
	;; [unrolled: 1-line block ×3, first 2 shown]
	v_mov_b32_e32 v1, 0
	s_waitcnt lgkmcnt(0)
	s_add_u32 s4, s4, s8
	s_addc_u32 s5, s5, s9
	s_lshl_b32 s6, s13, 5
	s_load_b64 s[4:5], s[4:5], 0x0
	s_lshl_b32 s10, s14, 5
	s_cmp_lt_i32 s3, 1
	s_cbranch_scc1 .LBB794_3
; %bb.1:
	s_clause 0x3
	s_load_b64 s[12:13], s[0:1], 0x8
	s_load_b64 s[14:15], s[0:1], 0x20
	s_load_b32 s11, s[0:1], 0x10
	s_load_b32 s16, s[0:1], 0x28
	v_lshl_add_u32 v2, v8, 4, v6
	v_dual_mov_b32 v1, 0 :: v_dual_and_b32 v0, 7, v6
	v_lshlrev_b32_e32 v10, 3, v6
	v_lshl_add_u32 v11, v8, 6, 0x800
	s_delay_alu instid0(VALU_DEP_4)
	v_and_b32_e32 v14, 31, v2
	v_lshrrev_b32_e32 v9, 3, v2
	v_lshrrev_b32_e32 v2, 5, v2
	v_mov_b32_e32 v3, v1
	v_mov_b32_e32 v17, v1
	v_add_nc_u32_e32 v7, s6, v14
	v_dual_mov_b32 v16, v1 :: v_dual_add_nc_u32 v15, s10, v9
	s_waitcnt lgkmcnt(0)
	s_add_u32 s12, s12, s8
	s_addc_u32 s13, s13, s9
	s_add_u32 s8, s14, s8
	s_load_b64 s[12:13], s[12:13], 0x0
	s_addc_u32 s9, s15, s9
	v_mad_i64_i32 v[4:5], null, s11, v7, v[2:3]
	s_load_b64 s[8:9], s[8:9], 0x0
	v_lshlrev_b32_e32 v3, 3, v0
	v_mad_i64_i32 v[12:13], null, s16, v15, v[0:1]
	v_dual_mov_b32 v7, v1 :: v_dual_lshlrev_b32 v14, 3, v14
	s_delay_alu instid0(VALU_DEP_3)
	v_lshl_or_b32 v15, v9, 6, v3
	v_mov_b32_e32 v9, v1
	v_lshlrev_b64 v[3:4], 3, v[4:5]
	v_mov_b32_e32 v0, v1
	v_lshlrev_b64 v[12:13], 3, v[12:13]
	v_lshl_or_b32 v14, v2, 8, v14
	v_add_nc_u32_e32 v15, 0x800, v15
	s_waitcnt lgkmcnt(0)
	v_add_co_u32 v2, vcc_lo, v3, s12
	v_add_co_ci_u32_e32 v3, vcc_lo, s13, v4, vcc_lo
	v_add_co_u32 v4, vcc_lo, v12, s8
	v_add_co_ci_u32_e32 v5, vcc_lo, s9, v13, vcc_lo
	s_delay_alu instid0(VALU_DEP_4) | instskip(NEXT) | instid1(VALU_DEP_4)
	v_add_co_u32 v2, vcc_lo, v2, 4
	v_add_co_ci_u32_e32 v3, vcc_lo, 0, v3, vcc_lo
	s_delay_alu instid0(VALU_DEP_4) | instskip(NEXT) | instid1(VALU_DEP_4)
	v_add_co_u32 v4, vcc_lo, v4, 4
	v_add_co_ci_u32_e32 v5, vcc_lo, 0, v5, vcc_lo
	v_mov_b32_e32 v12, v1
	v_mov_b32_e32 v13, v1
.LBB794_2:                              ; =>This Inner Loop Header: Depth=1
	global_load_b64 v[18:19], v[2:3], off offset:-4
	global_load_b64 v[20:21], v[4:5], off offset:-4
	v_add_co_u32 v2, vcc_lo, v2, 64
	v_add_co_ci_u32_e32 v3, vcc_lo, 0, v3, vcc_lo
	v_add_co_u32 v4, vcc_lo, v4, 64
	v_add_co_ci_u32_e32 v5, vcc_lo, 0, v5, vcc_lo
	s_add_i32 s7, s7, 8
	s_delay_alu instid0(SALU_CYCLE_1)
	s_cmp_ge_i32 s7, s3
	s_waitcnt vmcnt(1)
	v_xor_b32_e32 v19, 0x80000000, v19
	ds_store_b64 v14, v[18:19]
	s_waitcnt vmcnt(0)
	ds_store_b64 v15, v[20:21]
	s_waitcnt lgkmcnt(0)
	s_barrier
	buffer_gl0_inv
	ds_load_2addr_b64 v[18:21], v10 offset1:16
	ds_load_b128 v[22:25], v11
	ds_load_b128 v[26:29], v11 offset:1024
	ds_load_b128 v[30:33], v11 offset:16
	ds_load_2addr_b64 v[34:37], v10 offset0:32 offset1:48
	ds_load_b128 v[38:41], v11 offset:32
	ds_load_b128 v[42:45], v11 offset:48
	ds_load_2addr_b64 v[46:49], v10 offset0:64 offset1:80
	ds_load_b128 v[50:53], v11 offset:1040
	ds_load_2addr_b64 v[54:57], v10 offset0:96 offset1:112
	ds_load_2addr_b64 v[58:61], v10 offset0:128 offset1:144
	;; [unrolled: 1-line block ×4, first 2 shown]
	ds_load_b128 v[70:73], v11 offset:1056
	ds_load_b128 v[74:77], v11 offset:1072
	ds_load_2addr_b64 v[78:81], v10 offset0:224 offset1:240
	s_waitcnt lgkmcnt(0)
	s_barrier
	buffer_gl0_inv
	v_dual_mul_f32 v82, v23, v19 :: v_dual_mul_f32 v85, v22, v21
	v_dual_mul_f32 v83, v22, v19 :: v_dual_mul_f32 v84, v23, v21
	v_mul_f32_e32 v86, v27, v19
	v_dual_mul_f32 v19, v26, v19 :: v_dual_mul_f32 v90, v25, v37
	v_dual_mul_f32 v87, v27, v21 :: v_dual_mul_f32 v88, v25, v35
	v_mul_f32_e32 v21, v26, v21
	v_fma_f32 v82, v22, v18, -v82
	v_fmac_f32_e32 v83, v23, v18
	v_fma_f32 v22, v22, v20, -v84
	v_fmac_f32_e32 v85, v23, v20
	v_fma_f32 v23, v26, v18, -v86
	v_dual_fmac_f32 v19, v27, v18 :: v_dual_mul_f32 v86, v30, v47
	v_fma_f32 v18, v26, v20, -v87
	v_dual_fmac_f32 v21, v27, v20 :: v_dual_mul_f32 v20, v24, v37
	v_mul_f32_e32 v89, v24, v35
	v_mul_f32_e32 v26, v29, v35
	;; [unrolled: 1-line block ×4, first 2 shown]
	v_fmac_f32_e32 v20, v25, v36
	v_fmac_f32_e32 v89, v25, v34
	v_dual_mul_f32 v25, v28, v37 :: v_dual_fmac_f32 v86, v31, v46
	v_fma_f32 v84, v24, v34, -v88
	v_fma_f32 v24, v24, v36, -v90
	v_dual_mul_f32 v37, v31, v47 :: v_dual_mul_f32 v90, v33, v57
	v_fma_f32 v26, v28, v34, -v26
	v_fma_f32 v28, v28, v36, -v35
	v_fmac_f32_e32 v25, v29, v36
	v_dual_mul_f32 v35, v50, v47 :: v_dual_mul_f32 v36, v51, v49
	v_dual_fmac_f32 v27, v29, v34 :: v_dual_mul_f32 v34, v51, v47
	v_dual_mul_f32 v88, v32, v55 :: v_dual_mul_f32 v29, v30, v49
	v_mul_f32_e32 v87, v31, v49
	v_fma_f32 v37, v30, v46, -v37
	v_add_f32_e32 v16, v16, v82
	s_delay_alu instid0(VALU_DEP_4)
	v_dual_fmac_f32 v88, v33, v54 :: v_dual_fmac_f32 v29, v31, v48
	v_fma_f32 v31, v50, v46, -v34
	v_fma_f32 v34, v50, v48, -v36
	v_mul_f32_e32 v36, v32, v57
	v_mul_f32_e32 v47, v50, v49
	v_dual_mul_f32 v50, v53, v57 :: v_dual_fmac_f32 v35, v51, v46
	v_mul_f32_e32 v46, v53, v55
	v_mul_f32_e32 v49, v33, v55
	v_fma_f32 v30, v30, v48, -v87
	v_fmac_f32_e32 v36, v33, v56
	v_dual_fmac_f32 v47, v51, v48 :: v_dual_mul_f32 v48, v52, v55
	v_mul_f32_e32 v33, v52, v57
	v_fma_f32 v46, v52, v54, -v46
	v_fma_f32 v50, v52, v56, -v50
	v_mul_f32_e32 v52, v38, v61
	v_fma_f32 v49, v32, v54, -v49
	v_fma_f32 v32, v32, v56, -v90
	v_dual_mul_f32 v51, v39, v59 :: v_dual_fmac_f32 v48, v53, v54
	v_mul_f32_e32 v54, v70, v59
	v_dual_mul_f32 v55, v38, v59 :: v_dual_fmac_f32 v52, v39, v60
	v_fmac_f32_e32 v33, v53, v56
	v_mul_f32_e32 v53, v71, v59
	v_mul_f32_e32 v56, v71, v61
	;; [unrolled: 1-line block ×3, first 2 shown]
	v_fmac_f32_e32 v54, v71, v58
	v_fmac_f32_e32 v55, v39, v58
	v_fma_f32 v39, v70, v58, -v53
	v_fma_f32 v53, v70, v60, -v56
	v_mul_f32_e32 v56, v40, v65
	v_mul_f32_e32 v59, v70, v61
	v_fma_f32 v51, v38, v58, -v51
	v_mul_f32_e32 v58, v72, v63
	v_mul_f32_e32 v87, v40, v63
	;; [unrolled: 1-line block ×4, first 2 shown]
	v_fma_f32 v38, v38, v60, -v57
	v_mul_f32_e32 v57, v73, v63
	v_fmac_f32_e32 v56, v41, v64
	v_dual_fmac_f32 v59, v71, v60 :: v_dual_mul_f32 v60, v73, v65
	v_mul_f32_e32 v63, v43, v67
	v_mul_f32_e32 v70, v43, v69
	v_fmac_f32_e32 v58, v73, v62
	v_fmac_f32_e32 v87, v41, v62
	v_mul_f32_e32 v41, v72, v65
	v_fma_f32 v61, v40, v62, -v61
	v_fma_f32 v40, v40, v64, -v90
	v_mul_f32_e32 v65, v42, v67
	v_fma_f32 v57, v72, v62, -v57
	v_fma_f32 v60, v72, v64, -v60
	v_dual_fmac_f32 v41, v73, v64 :: v_dual_mul_f32 v62, v42, v69
	v_mul_f32_e32 v64, v75, v67
	v_fma_f32 v63, v42, v66, -v63
	v_fma_f32 v42, v42, v68, -v70
	v_mul_f32_e32 v70, v76, v79
	v_mul_f32_e32 v67, v74, v67
	;; [unrolled: 1-line block ×4, first 2 shown]
	v_dual_fmac_f32 v65, v43, v66 :: v_dual_add_f32 v12, v12, v85
	v_fmac_f32_e32 v62, v43, v68
	v_fma_f32 v43, v74, v66, -v64
	v_fmac_f32_e32 v70, v77, v78
	v_dual_fmac_f32 v67, v75, v66 :: v_dual_add_f32 v16, v16, v84
	v_mul_f32_e32 v66, v44, v81
	v_dual_mul_f32 v69, v74, v69 :: v_dual_add_f32 v0, v0, v19
	v_mul_f32_e32 v72, v45, v79
	v_mul_f32_e32 v90, v45, v81
	v_fma_f32 v64, v74, v68, -v71
	v_dual_mul_f32 v71, v77, v81 :: v_dual_add_f32 v12, v12, v20
	v_dual_fmac_f32 v73, v45, v78 :: v_dual_add_f32 v16, v16, v37
	v_dual_fmac_f32 v66, v45, v80 :: v_dual_mul_f32 v45, v76, v81
	v_dual_fmac_f32 v69, v75, v68 :: v_dual_add_f32 v0, v0, v27
	s_delay_alu instid0(VALU_DEP_4) | instskip(NEXT) | instid1(VALU_DEP_3)
	v_dual_add_f32 v12, v12, v29 :: v_dual_add_f32 v17, v17, v83
	v_dual_add_f32 v16, v16, v49 :: v_dual_fmac_f32 v45, v77, v80
	s_delay_alu instid0(VALU_DEP_3) | instskip(NEXT) | instid1(VALU_DEP_3)
	v_dual_add_f32 v13, v13, v22 :: v_dual_add_f32 v0, v0, v35
	v_dual_add_f32 v9, v9, v23 :: v_dual_add_f32 v12, v12, v36
	v_add_f32_e32 v7, v7, v18
	s_delay_alu instid0(VALU_DEP_4) | instskip(NEXT) | instid1(VALU_DEP_3)
	v_dual_add_f32 v1, v1, v21 :: v_dual_add_f32 v16, v16, v51
	v_dual_add_f32 v17, v17, v89 :: v_dual_add_f32 v12, v12, v52
	v_add_f32_e32 v0, v0, v48
	v_add_f32_e32 v13, v13, v24
	s_delay_alu instid0(VALU_DEP_4) | instskip(NEXT) | instid1(VALU_DEP_4)
	v_dual_add_f32 v9, v9, v26 :: v_dual_add_f32 v16, v16, v61
	v_dual_add_f32 v1, v1, v25 :: v_dual_add_f32 v12, v12, v56
	s_delay_alu instid0(VALU_DEP_4) | instskip(SKIP_1) | instid1(VALU_DEP_4)
	v_dual_add_f32 v0, v0, v54 :: v_dual_add_f32 v7, v7, v28
	v_fma_f32 v72, v44, v78, -v72
	v_dual_add_f32 v17, v17, v86 :: v_dual_add_f32 v16, v16, v63
	s_delay_alu instid0(VALU_DEP_4) | instskip(NEXT) | instid1(VALU_DEP_4)
	v_dual_add_f32 v9, v9, v31 :: v_dual_add_f32 v12, v12, v62
	v_dual_add_f32 v1, v1, v47 :: v_dual_add_f32 v0, v0, v58
	v_add_f32_e32 v13, v13, v30
	s_delay_alu instid0(VALU_DEP_4) | instskip(NEXT) | instid1(VALU_DEP_3)
	v_dual_add_f32 v7, v7, v34 :: v_dual_add_f32 v16, v16, v72
	v_dual_add_f32 v9, v9, v46 :: v_dual_add_f32 v0, v0, v67
	v_add_f32_e32 v17, v17, v88
	s_delay_alu instid0(VALU_DEP_4) | instskip(NEXT) | instid1(VALU_DEP_4)
	v_add_f32_e32 v13, v13, v32
	v_add_f32_e32 v7, v7, v50
	v_add_f32_e32 v12, v12, v66
	v_dual_add_f32 v0, v0, v70 :: v_dual_add_f32 v1, v1, v33
	v_add_f32_e32 v17, v17, v55
	v_add_f32_e32 v13, v13, v38
	;; [unrolled: 1-line block ×5, first 2 shown]
	v_mul_f32_e32 v68, v77, v79
	v_add_f32_e32 v17, v17, v87
	v_add_f32_e32 v13, v13, v40
	;; [unrolled: 1-line block ×5, first 2 shown]
	v_fma_f32 v44, v44, v80, -v90
	v_fma_f32 v68, v76, v78, -v68
	;; [unrolled: 1-line block ×3, first 2 shown]
	v_add_f32_e32 v17, v17, v65
	v_add_f32_e32 v13, v13, v42
	v_add_f32_e32 v9, v9, v43
	v_add_f32_e32 v7, v7, v64
	v_add_f32_e32 v1, v1, v69
	v_add_f32_e32 v17, v17, v73
	v_add_f32_e32 v13, v13, v44
	v_add_f32_e32 v9, v9, v68
	v_add_f32_e32 v7, v7, v71
	v_add_f32_e32 v1, v1, v45
	s_cbranch_scc0 .LBB794_2
.LBB794_3:
	s_load_b32 s3, s[0:1], 0x40
	v_add_nc_u32_e32 v8, s10, v8
	v_add_nc_u32_e32 v2, s6, v6
	s_delay_alu instid0(VALU_DEP_2) | instskip(NEXT) | instid1(VALU_DEP_2)
	v_cmp_gt_i32_e32 vcc_lo, s2, v8
	v_cmp_le_i32_e64 s0, v2, v8
	s_delay_alu instid0(VALU_DEP_1) | instskip(SKIP_2) | instid1(VALU_DEP_1)
	s_and_b32 s0, vcc_lo, s0
	s_waitcnt lgkmcnt(0)
	v_mad_i64_i32 v[3:4], null, v8, s3, 0
	v_lshlrev_b64 v[3:4], 3, v[3:4]
	s_delay_alu instid0(VALU_DEP_1) | instskip(NEXT) | instid1(VALU_DEP_1)
	v_add_co_u32 v6, s1, s4, v3
	v_add_co_ci_u32_e64 v10, s1, s5, v4, s1
	s_and_saveexec_b32 s1, s0
	s_cbranch_execz .LBB794_6
; %bb.4:
	v_ashrrev_i32_e32 v3, 31, v2
	v_xor_b32_e32 v14, 0x80000000, v16
	v_xor_b32_e32 v15, 0x80000000, v17
	s_delay_alu instid0(VALU_DEP_3) | instskip(NEXT) | instid1(VALU_DEP_1)
	v_lshlrev_b64 v[3:4], 3, v[2:3]
	v_add_co_u32 v3, s0, v6, v3
	s_delay_alu instid0(VALU_DEP_1)
	v_add_co_ci_u32_e64 v4, s0, v10, v4, s0
	v_cmp_eq_u32_e64 s0, v8, v2
	global_store_b64 v[3:4], v[14:15], off
	s_and_b32 exec_lo, exec_lo, s0
	s_cbranch_execz .LBB794_6
; %bb.5:
	v_mov_b32_e32 v5, 0
	global_store_b32 v[3:4], v5, off offset:4
.LBB794_6:
	s_or_b32 exec_lo, exec_lo, s1
	v_add_nc_u32_e32 v4, 16, v2
	s_delay_alu instid0(VALU_DEP_1) | instskip(NEXT) | instid1(VALU_DEP_1)
	v_cmp_le_i32_e64 s0, v4, v8
	s_and_b32 s1, vcc_lo, s0
	s_delay_alu instid0(SALU_CYCLE_1)
	s_and_saveexec_b32 s0, s1
	s_cbranch_execz .LBB794_9
; %bb.7:
	v_ashrrev_i32_e32 v5, 31, v4
	v_xor_b32_e32 v11, 0x80000000, v13
	v_xor_b32_e32 v12, 0x80000000, v12
	s_delay_alu instid0(VALU_DEP_3) | instskip(NEXT) | instid1(VALU_DEP_1)
	v_lshlrev_b64 v[14:15], 3, v[4:5]
	v_add_co_u32 v5, vcc_lo, v6, v14
	s_delay_alu instid0(VALU_DEP_2)
	v_add_co_ci_u32_e32 v6, vcc_lo, v10, v15, vcc_lo
	v_cmp_eq_u32_e32 vcc_lo, v8, v4
	global_store_b64 v[5:6], v[11:12], off
	s_and_b32 exec_lo, exec_lo, vcc_lo
	s_cbranch_execz .LBB794_9
; %bb.8:
	v_mov_b32_e32 v3, 0
	global_store_b32 v[5:6], v3, off offset:4
.LBB794_9:
	s_or_b32 exec_lo, exec_lo, s0
	v_add_nc_u32_e32 v12, 16, v8
	s_delay_alu instid0(VALU_DEP_1) | instskip(SKIP_2) | instid1(VALU_DEP_1)
	v_mad_i64_i32 v[5:6], null, v12, s3, 0
	v_cmp_gt_i32_e32 vcc_lo, s2, v12
	v_cmp_le_i32_e64 s0, v2, v12
	s_and_b32 s0, vcc_lo, s0
	s_delay_alu instid0(VALU_DEP_3) | instskip(NEXT) | instid1(VALU_DEP_1)
	v_lshlrev_b64 v[5:6], 3, v[5:6]
	v_add_co_u32 v10, s1, s4, v5
	s_delay_alu instid0(VALU_DEP_1)
	v_add_co_ci_u32_e64 v11, s1, s5, v6, s1
	s_and_saveexec_b32 s1, s0
	s_cbranch_execz .LBB794_12
; %bb.10:
	v_ashrrev_i32_e32 v3, 31, v2
	v_xor_b32_e32 v13, 0x80000000, v9
	v_xor_b32_e32 v14, 0x80000000, v0
	s_delay_alu instid0(VALU_DEP_3) | instskip(NEXT) | instid1(VALU_DEP_1)
	v_lshlrev_b64 v[5:6], 3, v[2:3]
	v_add_co_u32 v5, s0, v10, v5
	s_delay_alu instid0(VALU_DEP_1)
	v_add_co_ci_u32_e64 v6, s0, v11, v6, s0
	v_cmp_eq_u32_e64 s0, v12, v2
	global_store_b64 v[5:6], v[13:14], off
	s_and_b32 exec_lo, exec_lo, s0
	s_cbranch_execz .LBB794_12
; %bb.11:
	v_mov_b32_e32 v0, 0
	global_store_b32 v[5:6], v0, off offset:4
.LBB794_12:
	s_or_b32 exec_lo, exec_lo, s1
	v_cmp_le_i32_e64 s0, v4, v12
	s_delay_alu instid0(VALU_DEP_1) | instskip(NEXT) | instid1(SALU_CYCLE_1)
	s_and_b32 s0, vcc_lo, s0
	s_and_saveexec_b32 s1, s0
	s_cbranch_execz .LBB794_15
; %bb.13:
	v_ashrrev_i32_e32 v5, 31, v4
	v_xor_b32_e32 v6, 0x80000000, v1
	s_delay_alu instid0(VALU_DEP_2) | instskip(SKIP_1) | instid1(VALU_DEP_2)
	v_lshlrev_b64 v[3:4], 3, v[4:5]
	v_xor_b32_e32 v5, 0x80000000, v7
	v_add_co_u32 v0, vcc_lo, v10, v3
	s_delay_alu instid0(VALU_DEP_3)
	v_add_co_ci_u32_e32 v1, vcc_lo, v11, v4, vcc_lo
	v_cmp_eq_u32_e32 vcc_lo, v8, v2
	global_store_b64 v[0:1], v[5:6], off
	s_and_b32 exec_lo, exec_lo, vcc_lo
	s_cbranch_execz .LBB794_15
; %bb.14:
	v_mov_b32_e32 v2, 0
	global_store_b32 v[0:1], v2, off offset:4
.LBB794_15:
	s_nop 0
	s_sendmsg sendmsg(MSG_DEALLOC_VGPRS)
	s_endpgm
	.section	.rodata,"a",@progbits
	.p2align	6, 0x0
	.amdhsa_kernel _ZL37rocblas_syrkx_herkx_restricted_kernelIi19rocblas_complex_numIfELi16ELi32ELi8ELin1ELi0ELb1ELc67ELc85EKPKS1_KPS1_EviT_PT9_S7_lS9_S7_lPT10_S7_li
		.amdhsa_group_segment_fixed_size 4096
		.amdhsa_private_segment_fixed_size 0
		.amdhsa_kernarg_size 84
		.amdhsa_user_sgpr_count 13
		.amdhsa_user_sgpr_dispatch_ptr 0
		.amdhsa_user_sgpr_queue_ptr 0
		.amdhsa_user_sgpr_kernarg_segment_ptr 1
		.amdhsa_user_sgpr_dispatch_id 0
		.amdhsa_user_sgpr_private_segment_size 0
		.amdhsa_wavefront_size32 1
		.amdhsa_uses_dynamic_stack 0
		.amdhsa_enable_private_segment 0
		.amdhsa_system_sgpr_workgroup_id_x 1
		.amdhsa_system_sgpr_workgroup_id_y 1
		.amdhsa_system_sgpr_workgroup_id_z 1
		.amdhsa_system_sgpr_workgroup_info 0
		.amdhsa_system_vgpr_workitem_id 1
		.amdhsa_next_free_vgpr 91
		.amdhsa_next_free_sgpr 17
		.amdhsa_reserve_vcc 1
		.amdhsa_float_round_mode_32 0
		.amdhsa_float_round_mode_16_64 0
		.amdhsa_float_denorm_mode_32 3
		.amdhsa_float_denorm_mode_16_64 3
		.amdhsa_dx10_clamp 1
		.amdhsa_ieee_mode 1
		.amdhsa_fp16_overflow 0
		.amdhsa_workgroup_processor_mode 1
		.amdhsa_memory_ordered 1
		.amdhsa_forward_progress 0
		.amdhsa_shared_vgpr_count 0
		.amdhsa_exception_fp_ieee_invalid_op 0
		.amdhsa_exception_fp_denorm_src 0
		.amdhsa_exception_fp_ieee_div_zero 0
		.amdhsa_exception_fp_ieee_overflow 0
		.amdhsa_exception_fp_ieee_underflow 0
		.amdhsa_exception_fp_ieee_inexact 0
		.amdhsa_exception_int_div_zero 0
	.end_amdhsa_kernel
	.section	.text._ZL37rocblas_syrkx_herkx_restricted_kernelIi19rocblas_complex_numIfELi16ELi32ELi8ELin1ELi0ELb1ELc67ELc85EKPKS1_KPS1_EviT_PT9_S7_lS9_S7_lPT10_S7_li,"axG",@progbits,_ZL37rocblas_syrkx_herkx_restricted_kernelIi19rocblas_complex_numIfELi16ELi32ELi8ELin1ELi0ELb1ELc67ELc85EKPKS1_KPS1_EviT_PT9_S7_lS9_S7_lPT10_S7_li,comdat
.Lfunc_end794:
	.size	_ZL37rocblas_syrkx_herkx_restricted_kernelIi19rocblas_complex_numIfELi16ELi32ELi8ELin1ELi0ELb1ELc67ELc85EKPKS1_KPS1_EviT_PT9_S7_lS9_S7_lPT10_S7_li, .Lfunc_end794-_ZL37rocblas_syrkx_herkx_restricted_kernelIi19rocblas_complex_numIfELi16ELi32ELi8ELin1ELi0ELb1ELc67ELc85EKPKS1_KPS1_EviT_PT9_S7_lS9_S7_lPT10_S7_li
                                        ; -- End function
	.section	.AMDGPU.csdata,"",@progbits
; Kernel info:
; codeLenInByte = 2160
; NumSgprs: 19
; NumVgprs: 91
; ScratchSize: 0
; MemoryBound: 0
; FloatMode: 240
; IeeeMode: 1
; LDSByteSize: 4096 bytes/workgroup (compile time only)
; SGPRBlocks: 2
; VGPRBlocks: 11
; NumSGPRsForWavesPerEU: 19
; NumVGPRsForWavesPerEU: 91
; Occupancy: 16
; WaveLimiterHint : 1
; COMPUTE_PGM_RSRC2:SCRATCH_EN: 0
; COMPUTE_PGM_RSRC2:USER_SGPR: 13
; COMPUTE_PGM_RSRC2:TRAP_HANDLER: 0
; COMPUTE_PGM_RSRC2:TGID_X_EN: 1
; COMPUTE_PGM_RSRC2:TGID_Y_EN: 1
; COMPUTE_PGM_RSRC2:TGID_Z_EN: 1
; COMPUTE_PGM_RSRC2:TIDIG_COMP_CNT: 1
	.section	.text._ZL37rocblas_syrkx_herkx_restricted_kernelIi19rocblas_complex_numIfELi16ELi32ELi8ELin1ELi0ELb1ELc78ELc85EKPKS1_KPS1_EviT_PT9_S7_lS9_S7_lPT10_S7_li,"axG",@progbits,_ZL37rocblas_syrkx_herkx_restricted_kernelIi19rocblas_complex_numIfELi16ELi32ELi8ELin1ELi0ELb1ELc78ELc85EKPKS1_KPS1_EviT_PT9_S7_lS9_S7_lPT10_S7_li,comdat
	.globl	_ZL37rocblas_syrkx_herkx_restricted_kernelIi19rocblas_complex_numIfELi16ELi32ELi8ELin1ELi0ELb1ELc78ELc85EKPKS1_KPS1_EviT_PT9_S7_lS9_S7_lPT10_S7_li ; -- Begin function _ZL37rocblas_syrkx_herkx_restricted_kernelIi19rocblas_complex_numIfELi16ELi32ELi8ELin1ELi0ELb1ELc78ELc85EKPKS1_KPS1_EviT_PT9_S7_lS9_S7_lPT10_S7_li
	.p2align	8
	.type	_ZL37rocblas_syrkx_herkx_restricted_kernelIi19rocblas_complex_numIfELi16ELi32ELi8ELin1ELi0ELb1ELc78ELc85EKPKS1_KPS1_EviT_PT9_S7_lS9_S7_lPT10_S7_li,@function
_ZL37rocblas_syrkx_herkx_restricted_kernelIi19rocblas_complex_numIfELi16ELi32ELi8ELin1ELi0ELb1ELc78ELc85EKPKS1_KPS1_EviT_PT9_S7_lS9_S7_lPT10_S7_li: ; @_ZL37rocblas_syrkx_herkx_restricted_kernelIi19rocblas_complex_numIfELi16ELi32ELi8ELin1ELi0ELb1ELc78ELc85EKPKS1_KPS1_EviT_PT9_S7_lS9_S7_lPT10_S7_li
; %bb.0:
	s_clause 0x1
	s_load_b64 s[4:5], s[0:1], 0x38
	s_load_b64 s[2:3], s[0:1], 0x0
	s_mov_b32 s6, s15
	s_mov_b32 s7, 0
	v_dual_mov_b32 v17, 0 :: v_dual_and_b32 v4, 0x3ff, v0
	s_lshl_b64 s[8:9], s[6:7], 3
	v_bfe_u32 v5, v0, 10, 10
	v_dual_mov_b32 v16, 0 :: v_dual_mov_b32 v13, 0
	v_dual_mov_b32 v11, 0 :: v_dual_mov_b32 v8, 0
	;; [unrolled: 1-line block ×3, first 2 shown]
	v_mov_b32_e32 v7, 0
	s_waitcnt lgkmcnt(0)
	s_add_u32 s4, s4, s8
	s_addc_u32 s5, s5, s9
	s_lshl_b32 s6, s13, 5
	s_load_b64 s[4:5], s[4:5], 0x0
	s_lshl_b32 s12, s14, 5
	s_cmp_lt_i32 s3, 1
	s_cbranch_scc1 .LBB795_3
; %bb.1:
	s_clause 0x3
	s_load_b32 s10, s[0:1], 0x10
	s_load_b32 s14, s[0:1], 0x28
	s_load_b64 s[16:17], s[0:1], 0x8
	s_load_b64 s[18:19], s[0:1], 0x20
	v_lshl_add_u32 v0, v5, 4, v4
	v_and_b32_e32 v11, 7, v4
	v_lshlrev_b32_e32 v10, 3, v4
	v_lshl_add_u32 v12, v5, 6, 0x800
	v_mov_b32_e32 v17, 0
	v_and_b32_e32 v9, 31, v0
	v_lshrrev_b32_e32 v6, 3, v0
	v_lshrrev_b32_e32 v13, 5, v0
	v_mov_b32_e32 v16, 0
	s_delay_alu instid0(VALU_DEP_4) | instskip(NEXT) | instid1(VALU_DEP_4)
	v_add_nc_u32_e32 v2, s6, v9
	v_add_nc_u32_e32 v0, s12, v6
	s_delay_alu instid0(VALU_DEP_2)
	v_ashrrev_i32_e32 v3, 31, v2
	s_waitcnt lgkmcnt(0)
	s_ashr_i32 s11, s10, 31
	s_ashr_i32 s15, s14, 31
	s_add_u32 s16, s16, s8
	s_addc_u32 s17, s17, s9
	s_add_u32 s8, s18, s8
	s_load_b64 s[16:17], s[16:17], 0x0
	s_addc_u32 s9, s19, s9
	v_ashrrev_i32_e32 v1, 31, v0
	s_load_b64 s[8:9], s[8:9], 0x0
	v_mad_i64_i32 v[7:8], null, s10, v13, v[2:3]
	s_delay_alu instid0(VALU_DEP_2) | instskip(NEXT) | instid1(VALU_DEP_2)
	v_mad_i64_i32 v[2:3], null, s14, v11, v[0:1]
	v_lshlrev_b64 v[0:1], 3, v[7:8]
	v_mov_b32_e32 v8, 0
	v_lshlrev_b32_e32 v14, 3, v11
	s_delay_alu instid0(VALU_DEP_4) | instskip(SKIP_1) | instid1(VALU_DEP_3)
	v_lshlrev_b64 v[2:3], 3, v[2:3]
	v_mov_b32_e32 v7, 0
	v_lshl_or_b32 v11, v6, 6, v14
	s_waitcnt lgkmcnt(0)
	v_add_co_u32 v0, vcc_lo, v0, s16
	v_add_co_ci_u32_e32 v1, vcc_lo, s17, v1, vcc_lo
	v_add_co_u32 v2, vcc_lo, v2, s8
	v_add_co_ci_u32_e32 v3, vcc_lo, s9, v3, vcc_lo
	v_dual_mov_b32 v6, 0 :: v_dual_lshlrev_b32 v9, 3, v9
	v_add_co_u32 v0, vcc_lo, v0, 4
	v_add_co_ci_u32_e32 v1, vcc_lo, 0, v1, vcc_lo
	v_add_co_u32 v2, vcc_lo, v2, 4
	s_delay_alu instid0(VALU_DEP_4)
	v_lshl_or_b32 v14, v13, 8, v9
	v_add_nc_u32_e32 v15, 0x800, v11
	v_add_co_ci_u32_e32 v3, vcc_lo, 0, v3, vcc_lo
	v_mov_b32_e32 v9, 0
	v_mov_b32_e32 v11, 0
	;; [unrolled: 1-line block ×3, first 2 shown]
	s_lshl_b64 s[8:9], s[10:11], 6
	s_lshl_b64 s[10:11], s[14:15], 6
.LBB795_2:                              ; =>This Inner Loop Header: Depth=1
	global_load_b64 v[18:19], v[2:3], off offset:-4
	global_load_b64 v[20:21], v[0:1], off offset:-4
	v_add_co_u32 v0, vcc_lo, v0, s8
	v_add_co_ci_u32_e32 v1, vcc_lo, s9, v1, vcc_lo
	v_add_co_u32 v2, vcc_lo, v2, s10
	v_add_co_ci_u32_e32 v3, vcc_lo, s11, v3, vcc_lo
	s_add_i32 s7, s7, 8
	s_delay_alu instid0(SALU_CYCLE_1)
	s_cmp_ge_i32 s7, s3
	s_waitcnt vmcnt(1)
	v_xor_b32_e32 v19, 0x80000000, v19
	s_waitcnt vmcnt(0)
	ds_store_b64 v14, v[20:21]
	ds_store_b64 v15, v[18:19]
	s_waitcnt lgkmcnt(0)
	s_barrier
	buffer_gl0_inv
	ds_load_2addr_b64 v[18:21], v10 offset1:16
	ds_load_b128 v[22:25], v12
	ds_load_b128 v[26:29], v12 offset:1024
	ds_load_b128 v[30:33], v12 offset:16
	ds_load_2addr_b64 v[34:37], v10 offset0:32 offset1:48
	ds_load_b128 v[38:41], v12 offset:32
	ds_load_b128 v[42:45], v12 offset:48
	ds_load_2addr_b64 v[46:49], v10 offset0:64 offset1:80
	ds_load_b128 v[50:53], v12 offset:1040
	ds_load_2addr_b64 v[54:57], v10 offset0:96 offset1:112
	ds_load_2addr_b64 v[58:61], v10 offset0:128 offset1:144
	ds_load_2addr_b64 v[62:65], v10 offset0:160 offset1:176
	ds_load_2addr_b64 v[66:69], v10 offset0:192 offset1:208
	ds_load_b128 v[70:73], v12 offset:1056
	ds_load_b128 v[74:77], v12 offset:1072
	ds_load_2addr_b64 v[78:81], v10 offset0:224 offset1:240
	s_waitcnt lgkmcnt(0)
	s_barrier
	buffer_gl0_inv
	v_dual_mul_f32 v82, v23, v19 :: v_dual_mul_f32 v85, v22, v21
	v_dual_mul_f32 v83, v22, v19 :: v_dual_mul_f32 v84, v23, v21
	v_mul_f32_e32 v86, v27, v19
	v_dual_mul_f32 v19, v26, v19 :: v_dual_mul_f32 v90, v25, v37
	v_dual_mul_f32 v87, v27, v21 :: v_dual_mul_f32 v88, v25, v35
	v_mul_f32_e32 v21, v26, v21
	v_mul_f32_e32 v89, v24, v35
	v_mul_f32_e32 v91, v24, v37
	v_fma_f32 v82, v22, v18, -v82
	v_fmac_f32_e32 v83, v23, v18
	v_fma_f32 v22, v22, v20, -v84
	v_dual_fmac_f32 v85, v23, v20 :: v_dual_mul_f32 v84, v30, v47
	v_fma_f32 v23, v26, v18, -v86
	v_fmac_f32_e32 v19, v27, v18
	v_fma_f32 v18, v26, v20, -v87
	v_dual_mul_f32 v26, v28, v35 :: v_dual_fmac_f32 v21, v27, v20
	v_mul_f32_e32 v20, v29, v35
	v_mul_f32_e32 v27, v29, v37
	v_dual_mul_f32 v35, v28, v37 :: v_dual_fmac_f32 v84, v31, v46
	v_fma_f32 v37, v24, v34, -v88
	v_fma_f32 v24, v24, v36, -v90
	v_dual_fmac_f32 v91, v25, v36 :: v_dual_mul_f32 v90, v32, v57
	v_dual_mul_f32 v86, v31, v49 :: v_dual_fmac_f32 v89, v25, v34
	v_dual_mul_f32 v25, v31, v47 :: v_dual_mul_f32 v88, v33, v57
	v_fma_f32 v20, v28, v34, -v20
	v_fmac_f32_e32 v26, v29, v34
	v_fma_f32 v27, v28, v36, -v27
	v_dual_fmac_f32 v35, v29, v36 :: v_dual_mul_f32 v28, v51, v47
	v_dual_mul_f32 v29, v50, v47 :: v_dual_mul_f32 v34, v51, v49
	v_mul_f32_e32 v36, v50, v49
	v_mul_f32_e32 v87, v30, v49
	;; [unrolled: 1-line block ×3, first 2 shown]
	v_dual_mul_f32 v49, v32, v55 :: v_dual_fmac_f32 v90, v33, v56
	v_fma_f32 v25, v30, v46, -v25
	v_fma_f32 v30, v30, v48, -v86
	;; [unrolled: 1-line block ×3, first 2 shown]
	v_fmac_f32_e32 v36, v51, v48
	v_fmac_f32_e32 v87, v31, v48
	v_fma_f32 v31, v50, v48, -v34
	v_mul_f32_e32 v34, v53, v55
	v_mul_f32_e32 v48, v53, v57
	v_dual_mul_f32 v50, v52, v57 :: v_dual_fmac_f32 v29, v51, v46
	v_mul_f32_e32 v46, v52, v55
	v_fma_f32 v47, v32, v54, -v47
	v_fmac_f32_e32 v49, v33, v54
	v_fma_f32 v32, v32, v56, -v88
	s_delay_alu instid0(VALU_DEP_4)
	v_dual_mul_f32 v33, v39, v59 :: v_dual_fmac_f32 v46, v53, v54
	v_mul_f32_e32 v51, v38, v59
	v_mul_f32_e32 v55, v39, v61
	v_fma_f32 v34, v52, v54, -v34
	v_fma_f32 v48, v52, v56, -v48
	v_fmac_f32_e32 v50, v53, v56
	v_mul_f32_e32 v52, v71, v59
	v_dual_mul_f32 v53, v70, v59 :: v_dual_mul_f32 v86, v41, v65
	v_mul_f32_e32 v54, v71, v61
	v_dual_mul_f32 v56, v70, v61 :: v_dual_mul_f32 v59, v41, v63
	v_mul_f32_e32 v57, v38, v61
	v_mul_f32_e32 v61, v40, v63
	v_dual_mul_f32 v88, v40, v65 :: v_dual_fmac_f32 v51, v39, v58
	v_fma_f32 v33, v38, v58, -v33
	v_fmac_f32_e32 v53, v71, v58
	v_fmac_f32_e32 v56, v71, v60
	s_delay_alu instid0(VALU_DEP_4)
	v_fmac_f32_e32 v88, v41, v64
	v_fmac_f32_e32 v57, v39, v60
	v_fma_f32 v39, v70, v58, -v52
	v_fma_f32 v52, v70, v60, -v54
	v_mul_f32_e32 v54, v73, v63
	v_fma_f32 v38, v38, v60, -v55
	v_mul_f32_e32 v60, v72, v65
	v_dual_mul_f32 v55, v72, v63 :: v_dual_mul_f32 v70, v42, v69
	v_mul_f32_e32 v58, v73, v65
	v_fma_f32 v59, v40, v62, -v59
	v_fmac_f32_e32 v61, v41, v62
	v_fma_f32 v40, v40, v64, -v86
	v_dual_mul_f32 v41, v43, v67 :: v_dual_fmac_f32 v60, v73, v64
	v_dual_mul_f32 v63, v42, v67 :: v_dual_mul_f32 v86, v44, v81
	v_mul_f32_e32 v65, v43, v69
	v_fma_f32 v54, v72, v62, -v54
	v_fmac_f32_e32 v55, v73, v62
	v_fma_f32 v58, v72, v64, -v58
	v_mul_f32_e32 v72, v44, v79
	v_mul_f32_e32 v62, v75, v67
	v_dual_mul_f32 v64, v74, v67 :: v_dual_mul_f32 v67, v75, v69
	v_dual_mul_f32 v69, v74, v69 :: v_dual_fmac_f32 v70, v43, v68
	s_delay_alu instid0(VALU_DEP_2)
	v_dual_mul_f32 v71, v45, v79 :: v_dual_fmac_f32 v64, v75, v66
	v_dual_mul_f32 v73, v45, v81 :: v_dual_add_f32 v16, v16, v82
	v_fma_f32 v41, v42, v66, -v41
	v_fmac_f32_e32 v63, v43, v66
	v_fma_f32 v42, v42, v68, -v65
	v_fma_f32 v43, v74, v66, -v62
	v_dual_mul_f32 v65, v77, v79 :: v_dual_add_f32 v6, v6, v21
	v_mul_f32_e32 v66, v76, v79
	v_fma_f32 v62, v74, v68, -v67
	v_dual_mul_f32 v67, v77, v81 :: v_dual_add_f32 v8, v8, v19
	v_dual_fmac_f32 v69, v75, v68 :: v_dual_fmac_f32 v72, v45, v78
	v_mul_f32_e32 v68, v76, v81
	v_dual_fmac_f32 v86, v45, v80 :: v_dual_add_f32 v11, v11, v85
	v_dual_add_f32 v17, v17, v83 :: v_dual_add_f32 v16, v16, v37
	v_dual_add_f32 v13, v13, v22 :: v_dual_add_f32 v6, v6, v35
	;; [unrolled: 1-line block ×3, first 2 shown]
	s_delay_alu instid0(VALU_DEP_4) | instskip(SKIP_1) | instid1(VALU_DEP_4)
	v_dual_fmac_f32 v66, v77, v78 :: v_dual_add_f32 v11, v11, v91
	v_dual_fmac_f32 v68, v77, v80 :: v_dual_add_f32 v7, v7, v18
	v_dual_add_f32 v17, v17, v89 :: v_dual_add_f32 v6, v6, v36
	v_dual_add_f32 v13, v13, v24 :: v_dual_add_f32 v16, v16, v25
	;; [unrolled: 1-line block ×3, first 2 shown]
	s_delay_alu instid0(VALU_DEP_4) | instskip(NEXT) | instid1(VALU_DEP_3)
	v_add_f32_e32 v7, v7, v27
	v_dual_add_f32 v17, v17, v84 :: v_dual_add_f32 v16, v16, v47
	v_dual_add_f32 v11, v11, v87 :: v_dual_add_f32 v6, v6, v50
	s_delay_alu instid0(VALU_DEP_4) | instskip(NEXT) | instid1(VALU_DEP_3)
	v_add_f32_e32 v8, v8, v46
	v_dual_add_f32 v13, v13, v30 :: v_dual_add_f32 v16, v16, v33
	v_add_f32_e32 v9, v9, v28
	s_delay_alu instid0(VALU_DEP_4) | instskip(NEXT) | instid1(VALU_DEP_4)
	v_dual_add_f32 v7, v7, v31 :: v_dual_add_f32 v6, v6, v56
	v_add_f32_e32 v8, v8, v53
	s_delay_alu instid0(VALU_DEP_4) | instskip(SKIP_1) | instid1(VALU_DEP_4)
	v_dual_add_f32 v17, v17, v49 :: v_dual_add_f32 v16, v16, v59
	v_add_f32_e32 v13, v13, v32
	v_dual_add_f32 v11, v11, v90 :: v_dual_add_f32 v6, v6, v60
	s_delay_alu instid0(VALU_DEP_3) | instskip(SKIP_1) | instid1(VALU_DEP_3)
	v_dual_add_f32 v9, v9, v34 :: v_dual_add_f32 v16, v16, v41
	v_dual_add_f32 v7, v7, v48 :: v_dual_add_f32 v8, v8, v55
	v_add_f32_e32 v6, v6, v69
	v_fma_f32 v71, v44, v78, -v71
	v_add_f32_e32 v17, v17, v51
	v_add_f32_e32 v13, v13, v38
	s_delay_alu instid0(VALU_DEP_4) | instskip(SKIP_3) | instid1(VALU_DEP_4)
	v_dual_add_f32 v9, v9, v39 :: v_dual_add_f32 v6, v6, v68
	v_add_f32_e32 v7, v7, v52
	v_dual_add_f32 v8, v8, v64 :: v_dual_add_f32 v11, v11, v57
	v_add_f32_e32 v17, v17, v61
	v_add_f32_e32 v9, v9, v54
	s_delay_alu instid0(VALU_DEP_4) | instskip(NEXT) | instid1(VALU_DEP_4)
	v_add_f32_e32 v7, v7, v58
	v_dual_add_f32 v8, v8, v66 :: v_dual_add_f32 v11, v11, v88
	v_dual_add_f32 v16, v16, v71 :: v_dual_add_f32 v13, v13, v40
	v_fma_f32 v44, v44, v80, -v73
	v_fma_f32 v45, v76, v78, -v65
	;; [unrolled: 1-line block ×3, first 2 shown]
	v_add_f32_e32 v17, v17, v63
	v_add_f32_e32 v13, v13, v42
	;; [unrolled: 1-line block ×10, first 2 shown]
	s_cbranch_scc0 .LBB795_2
.LBB795_3:
	s_load_b32 s3, s[0:1], 0x40
	v_add_nc_u32_e32 v5, s12, v5
	v_add_nc_u32_e32 v0, s6, v4
	s_delay_alu instid0(VALU_DEP_2) | instskip(NEXT) | instid1(VALU_DEP_2)
	v_cmp_gt_i32_e32 vcc_lo, s2, v5
	v_cmp_le_i32_e64 s0, v0, v5
	s_delay_alu instid0(VALU_DEP_1) | instskip(SKIP_2) | instid1(VALU_DEP_1)
	s_and_b32 s0, vcc_lo, s0
	s_waitcnt lgkmcnt(0)
	v_mad_i64_i32 v[1:2], null, v5, s3, 0
	v_lshlrev_b64 v[1:2], 3, v[1:2]
	s_delay_alu instid0(VALU_DEP_1) | instskip(NEXT) | instid1(VALU_DEP_1)
	v_add_co_u32 v4, s1, s4, v1
	v_add_co_ci_u32_e64 v10, s1, s5, v2, s1
	s_and_saveexec_b32 s1, s0
	s_cbranch_execz .LBB795_6
; %bb.4:
	v_ashrrev_i32_e32 v1, 31, v0
	v_xor_b32_e32 v14, 0x80000000, v16
	v_xor_b32_e32 v15, 0x80000000, v17
	s_delay_alu instid0(VALU_DEP_3) | instskip(NEXT) | instid1(VALU_DEP_1)
	v_lshlrev_b64 v[1:2], 3, v[0:1]
	v_add_co_u32 v1, s0, v4, v1
	s_delay_alu instid0(VALU_DEP_1)
	v_add_co_ci_u32_e64 v2, s0, v10, v2, s0
	v_cmp_eq_u32_e64 s0, v5, v0
	global_store_b64 v[1:2], v[14:15], off
	s_and_b32 exec_lo, exec_lo, s0
	s_cbranch_execz .LBB795_6
; %bb.5:
	v_mov_b32_e32 v3, 0
	global_store_b32 v[1:2], v3, off offset:4
.LBB795_6:
	s_or_b32 exec_lo, exec_lo, s1
	v_add_nc_u32_e32 v2, 16, v0
	s_delay_alu instid0(VALU_DEP_1) | instskip(NEXT) | instid1(VALU_DEP_1)
	v_cmp_le_i32_e64 s0, v2, v5
	s_and_b32 s1, vcc_lo, s0
	s_delay_alu instid0(SALU_CYCLE_1)
	s_and_saveexec_b32 s0, s1
	s_cbranch_execz .LBB795_9
; %bb.7:
	v_ashrrev_i32_e32 v3, 31, v2
	v_xor_b32_e32 v12, 0x80000000, v13
	v_xor_b32_e32 v13, 0x80000000, v11
	s_delay_alu instid0(VALU_DEP_3) | instskip(NEXT) | instid1(VALU_DEP_1)
	v_lshlrev_b64 v[14:15], 3, v[2:3]
	v_add_co_u32 v3, vcc_lo, v4, v14
	s_delay_alu instid0(VALU_DEP_2)
	v_add_co_ci_u32_e32 v4, vcc_lo, v10, v15, vcc_lo
	v_cmp_eq_u32_e32 vcc_lo, v5, v2
	global_store_b64 v[3:4], v[12:13], off
	s_and_b32 exec_lo, exec_lo, vcc_lo
	s_cbranch_execz .LBB795_9
; %bb.8:
	v_mov_b32_e32 v1, 0
	global_store_b32 v[3:4], v1, off offset:4
.LBB795_9:
	s_or_b32 exec_lo, exec_lo, s0
	v_add_nc_u32_e32 v12, 16, v5
	s_delay_alu instid0(VALU_DEP_1) | instskip(SKIP_2) | instid1(VALU_DEP_1)
	v_mad_i64_i32 v[3:4], null, v12, s3, 0
	v_cmp_gt_i32_e32 vcc_lo, s2, v12
	v_cmp_le_i32_e64 s0, v0, v12
	s_and_b32 s0, vcc_lo, s0
	s_delay_alu instid0(VALU_DEP_3) | instskip(NEXT) | instid1(VALU_DEP_1)
	v_lshlrev_b64 v[3:4], 3, v[3:4]
	v_add_co_u32 v10, s1, s4, v3
	s_delay_alu instid0(VALU_DEP_1)
	v_add_co_ci_u32_e64 v11, s1, s5, v4, s1
	s_and_saveexec_b32 s1, s0
	s_cbranch_execz .LBB795_12
; %bb.10:
	v_ashrrev_i32_e32 v1, 31, v0
	v_xor_b32_e32 v13, 0x80000000, v9
	v_xor_b32_e32 v14, 0x80000000, v8
	s_delay_alu instid0(VALU_DEP_3) | instskip(NEXT) | instid1(VALU_DEP_1)
	v_lshlrev_b64 v[3:4], 3, v[0:1]
	v_add_co_u32 v3, s0, v10, v3
	s_delay_alu instid0(VALU_DEP_1)
	v_add_co_ci_u32_e64 v4, s0, v11, v4, s0
	v_cmp_eq_u32_e64 s0, v12, v0
	global_store_b64 v[3:4], v[13:14], off
	s_and_b32 exec_lo, exec_lo, s0
	s_cbranch_execz .LBB795_12
; %bb.11:
	v_mov_b32_e32 v1, 0
	global_store_b32 v[3:4], v1, off offset:4
.LBB795_12:
	s_or_b32 exec_lo, exec_lo, s1
	v_cmp_le_i32_e64 s0, v2, v12
	s_delay_alu instid0(VALU_DEP_1) | instskip(NEXT) | instid1(SALU_CYCLE_1)
	s_and_b32 s0, vcc_lo, s0
	s_and_saveexec_b32 s1, s0
	s_cbranch_execz .LBB795_15
; %bb.13:
	v_ashrrev_i32_e32 v3, 31, v2
	v_xor_b32_e32 v4, 0x80000000, v6
	s_delay_alu instid0(VALU_DEP_2) | instskip(SKIP_1) | instid1(VALU_DEP_2)
	v_lshlrev_b64 v[1:2], 3, v[2:3]
	v_xor_b32_e32 v3, 0x80000000, v7
	v_add_co_u32 v1, vcc_lo, v10, v1
	s_delay_alu instid0(VALU_DEP_3)
	v_add_co_ci_u32_e32 v2, vcc_lo, v11, v2, vcc_lo
	v_cmp_eq_u32_e32 vcc_lo, v5, v0
	global_store_b64 v[1:2], v[3:4], off
	s_and_b32 exec_lo, exec_lo, vcc_lo
	s_cbranch_execz .LBB795_15
; %bb.14:
	v_mov_b32_e32 v0, 0
	global_store_b32 v[1:2], v0, off offset:4
.LBB795_15:
	s_nop 0
	s_sendmsg sendmsg(MSG_DEALLOC_VGPRS)
	s_endpgm
	.section	.rodata,"a",@progbits
	.p2align	6, 0x0
	.amdhsa_kernel _ZL37rocblas_syrkx_herkx_restricted_kernelIi19rocblas_complex_numIfELi16ELi32ELi8ELin1ELi0ELb1ELc78ELc85EKPKS1_KPS1_EviT_PT9_S7_lS9_S7_lPT10_S7_li
		.amdhsa_group_segment_fixed_size 4096
		.amdhsa_private_segment_fixed_size 0
		.amdhsa_kernarg_size 84
		.amdhsa_user_sgpr_count 13
		.amdhsa_user_sgpr_dispatch_ptr 0
		.amdhsa_user_sgpr_queue_ptr 0
		.amdhsa_user_sgpr_kernarg_segment_ptr 1
		.amdhsa_user_sgpr_dispatch_id 0
		.amdhsa_user_sgpr_private_segment_size 0
		.amdhsa_wavefront_size32 1
		.amdhsa_uses_dynamic_stack 0
		.amdhsa_enable_private_segment 0
		.amdhsa_system_sgpr_workgroup_id_x 1
		.amdhsa_system_sgpr_workgroup_id_y 1
		.amdhsa_system_sgpr_workgroup_id_z 1
		.amdhsa_system_sgpr_workgroup_info 0
		.amdhsa_system_vgpr_workitem_id 1
		.amdhsa_next_free_vgpr 92
		.amdhsa_next_free_sgpr 20
		.amdhsa_reserve_vcc 1
		.amdhsa_float_round_mode_32 0
		.amdhsa_float_round_mode_16_64 0
		.amdhsa_float_denorm_mode_32 3
		.amdhsa_float_denorm_mode_16_64 3
		.amdhsa_dx10_clamp 1
		.amdhsa_ieee_mode 1
		.amdhsa_fp16_overflow 0
		.amdhsa_workgroup_processor_mode 1
		.amdhsa_memory_ordered 1
		.amdhsa_forward_progress 0
		.amdhsa_shared_vgpr_count 0
		.amdhsa_exception_fp_ieee_invalid_op 0
		.amdhsa_exception_fp_denorm_src 0
		.amdhsa_exception_fp_ieee_div_zero 0
		.amdhsa_exception_fp_ieee_overflow 0
		.amdhsa_exception_fp_ieee_underflow 0
		.amdhsa_exception_fp_ieee_inexact 0
		.amdhsa_exception_int_div_zero 0
	.end_amdhsa_kernel
	.section	.text._ZL37rocblas_syrkx_herkx_restricted_kernelIi19rocblas_complex_numIfELi16ELi32ELi8ELin1ELi0ELb1ELc78ELc85EKPKS1_KPS1_EviT_PT9_S7_lS9_S7_lPT10_S7_li,"axG",@progbits,_ZL37rocblas_syrkx_herkx_restricted_kernelIi19rocblas_complex_numIfELi16ELi32ELi8ELin1ELi0ELb1ELc78ELc85EKPKS1_KPS1_EviT_PT9_S7_lS9_S7_lPT10_S7_li,comdat
.Lfunc_end795:
	.size	_ZL37rocblas_syrkx_herkx_restricted_kernelIi19rocblas_complex_numIfELi16ELi32ELi8ELin1ELi0ELb1ELc78ELc85EKPKS1_KPS1_EviT_PT9_S7_lS9_S7_lPT10_S7_li, .Lfunc_end795-_ZL37rocblas_syrkx_herkx_restricted_kernelIi19rocblas_complex_numIfELi16ELi32ELi8ELin1ELi0ELb1ELc78ELc85EKPKS1_KPS1_EviT_PT9_S7_lS9_S7_lPT10_S7_li
                                        ; -- End function
	.section	.AMDGPU.csdata,"",@progbits
; Kernel info:
; codeLenInByte = 2192
; NumSgprs: 22
; NumVgprs: 92
; ScratchSize: 0
; MemoryBound: 0
; FloatMode: 240
; IeeeMode: 1
; LDSByteSize: 4096 bytes/workgroup (compile time only)
; SGPRBlocks: 2
; VGPRBlocks: 11
; NumSGPRsForWavesPerEU: 22
; NumVGPRsForWavesPerEU: 92
; Occupancy: 16
; WaveLimiterHint : 1
; COMPUTE_PGM_RSRC2:SCRATCH_EN: 0
; COMPUTE_PGM_RSRC2:USER_SGPR: 13
; COMPUTE_PGM_RSRC2:TRAP_HANDLER: 0
; COMPUTE_PGM_RSRC2:TGID_X_EN: 1
; COMPUTE_PGM_RSRC2:TGID_Y_EN: 1
; COMPUTE_PGM_RSRC2:TGID_Z_EN: 1
; COMPUTE_PGM_RSRC2:TIDIG_COMP_CNT: 1
	.section	.text._ZL37rocblas_syrkx_herkx_restricted_kernelIi19rocblas_complex_numIfELi16ELi32ELi8ELb1ELb1ELc84ELc76EKPKS1_KPS1_EviT_T0_PT8_S7_lSA_S7_lS8_PT9_S7_li,"axG",@progbits,_ZL37rocblas_syrkx_herkx_restricted_kernelIi19rocblas_complex_numIfELi16ELi32ELi8ELb1ELb1ELc84ELc76EKPKS1_KPS1_EviT_T0_PT8_S7_lSA_S7_lS8_PT9_S7_li,comdat
	.globl	_ZL37rocblas_syrkx_herkx_restricted_kernelIi19rocblas_complex_numIfELi16ELi32ELi8ELb1ELb1ELc84ELc76EKPKS1_KPS1_EviT_T0_PT8_S7_lSA_S7_lS8_PT9_S7_li ; -- Begin function _ZL37rocblas_syrkx_herkx_restricted_kernelIi19rocblas_complex_numIfELi16ELi32ELi8ELb1ELb1ELc84ELc76EKPKS1_KPS1_EviT_T0_PT8_S7_lSA_S7_lS8_PT9_S7_li
	.p2align	8
	.type	_ZL37rocblas_syrkx_herkx_restricted_kernelIi19rocblas_complex_numIfELi16ELi32ELi8ELb1ELb1ELc84ELc76EKPKS1_KPS1_EviT_T0_PT8_S7_lSA_S7_lS8_PT9_S7_li,@function
_ZL37rocblas_syrkx_herkx_restricted_kernelIi19rocblas_complex_numIfELi16ELi32ELi8ELb1ELb1ELc84ELc76EKPKS1_KPS1_EviT_T0_PT8_S7_lSA_S7_lS8_PT9_S7_li: ; @_ZL37rocblas_syrkx_herkx_restricted_kernelIi19rocblas_complex_numIfELi16ELi32ELi8ELb1ELb1ELc84ELc76EKPKS1_KPS1_EviT_T0_PT8_S7_lSA_S7_lS8_PT9_S7_li
; %bb.0:
	s_clause 0x1
	s_load_b64 s[2:3], s[0:1], 0x48
	s_load_b64 s[8:9], s[0:1], 0x0
	s_mov_b32 s10, s15
	s_mov_b32 s11, 0
	v_dual_mov_b32 v17, 0 :: v_dual_and_b32 v6, 0x3ff, v0
	s_lshl_b64 s[16:17], s[10:11], 3
	v_bfe_u32 v7, v0, 10, 10
	v_dual_mov_b32 v16, 0 :: v_dual_mov_b32 v11, 0
	v_dual_mov_b32 v12, 0 :: v_dual_mov_b32 v9, 0
	;; [unrolled: 1-line block ×3, first 2 shown]
	v_mov_b32_e32 v0, 0
	s_waitcnt lgkmcnt(0)
	s_add_u32 s2, s2, s16
	s_addc_u32 s3, s3, s17
	s_load_b128 s[4:7], s[0:1], 0x8
	s_load_b64 s[2:3], s[2:3], 0x0
	s_lshl_b32 s10, s13, 5
	s_lshl_b32 s12, s14, 5
	s_cmp_lt_i32 s9, 1
	s_cbranch_scc1 .LBB796_3
; %bb.1:
	s_clause 0x2
	s_load_b64 s[14:15], s[0:1], 0x28
	s_load_b32 s13, s[0:1], 0x18
	s_load_b32 s18, s[0:1], 0x30
	v_lshl_add_u32 v2, v7, 4, v6
	v_dual_mov_b32 v1, 0 :: v_dual_and_b32 v0, 7, v6
	s_waitcnt lgkmcnt(0)
	s_add_u32 s6, s6, s16
	s_addc_u32 s7, s7, s17
	v_and_b32_e32 v8, 31, v2
	v_lshrrev_b32_e32 v9, 3, v2
	v_dual_mov_b32 v3, v1 :: v_dual_lshlrev_b32 v10, 3, v6
	s_load_b64 s[6:7], s[6:7], 0x0
	v_lshrrev_b32_e32 v2, 5, v2
	v_add_nc_u32_e32 v11, s10, v8
	v_add_nc_u32_e32 v14, s12, v9
	v_lshl_add_u32 v13, v7, 6, 0x800
	v_mov_b32_e32 v16, v1
	v_mov_b32_e32 v17, v1
	s_add_u32 s14, s14, s16
	s_addc_u32 s15, s15, s17
	v_mad_i64_i32 v[4:5], null, s13, v11, v[2:3]
	s_load_b64 s[14:15], s[14:15], 0x0
	v_lshlrev_b32_e32 v3, 3, v0
	v_mad_i64_i32 v[11:12], null, s18, v14, v[0:1]
	v_mov_b32_e32 v0, v1
	s_delay_alu instid0(VALU_DEP_3) | instskip(SKIP_1) | instid1(VALU_DEP_4)
	v_lshl_or_b32 v9, v9, 6, v3
	v_lshlrev_b64 v[3:4], 3, v[4:5]
	v_lshlrev_b64 v[11:12], 3, v[11:12]
	s_delay_alu instid0(VALU_DEP_3) | instskip(SKIP_2) | instid1(VALU_DEP_2)
	v_add_nc_u32_e32 v15, 0x800, v9
	v_dual_mov_b32 v9, v1 :: v_dual_lshlrev_b32 v14, 3, v8
	v_mov_b32_e32 v8, v1
	v_lshl_or_b32 v14, v2, 8, v14
	s_waitcnt lgkmcnt(0)
	v_add_co_u32 v2, vcc_lo, v3, s6
	v_add_co_ci_u32_e32 v3, vcc_lo, s7, v4, vcc_lo
	v_add_co_u32 v4, vcc_lo, v11, s14
	v_add_co_ci_u32_e32 v5, vcc_lo, s15, v12, vcc_lo
	s_delay_alu instid0(VALU_DEP_4) | instskip(NEXT) | instid1(VALU_DEP_4)
	v_add_co_u32 v2, vcc_lo, v2, 4
	v_add_co_ci_u32_e32 v3, vcc_lo, 0, v3, vcc_lo
	s_delay_alu instid0(VALU_DEP_4) | instskip(NEXT) | instid1(VALU_DEP_4)
	v_add_co_u32 v4, vcc_lo, v4, 4
	v_add_co_ci_u32_e32 v5, vcc_lo, 0, v5, vcc_lo
	v_mov_b32_e32 v12, v1
	v_mov_b32_e32 v11, v1
.LBB796_2:                              ; =>This Inner Loop Header: Depth=1
	global_load_b64 v[18:19], v[2:3], off offset:-4
	global_load_b64 v[20:21], v[4:5], off offset:-4
	v_add_co_u32 v2, vcc_lo, v2, 64
	v_add_co_ci_u32_e32 v3, vcc_lo, 0, v3, vcc_lo
	v_add_co_u32 v4, vcc_lo, v4, 64
	v_add_co_ci_u32_e32 v5, vcc_lo, 0, v5, vcc_lo
	s_add_i32 s11, s11, 8
	s_waitcnt vmcnt(1)
	ds_store_b64 v14, v[18:19]
	s_waitcnt vmcnt(0)
	ds_store_b64 v15, v[20:21]
	s_waitcnt lgkmcnt(0)
	s_barrier
	buffer_gl0_inv
	ds_load_2addr_b64 v[18:21], v10 offset1:16
	ds_load_b128 v[22:25], v13
	ds_load_b128 v[26:29], v13 offset:1024
	ds_load_b128 v[30:33], v13 offset:16
	ds_load_2addr_b64 v[34:37], v10 offset0:32 offset1:48
	ds_load_b128 v[38:41], v13 offset:32
	ds_load_b128 v[42:45], v13 offset:48
	ds_load_2addr_b64 v[46:49], v10 offset0:64 offset1:80
	ds_load_b128 v[50:53], v13 offset:1040
	ds_load_2addr_b64 v[54:57], v10 offset0:96 offset1:112
	ds_load_2addr_b64 v[58:61], v10 offset0:128 offset1:144
	;; [unrolled: 1-line block ×4, first 2 shown]
	ds_load_b128 v[70:73], v13 offset:1056
	ds_load_b128 v[74:77], v13 offset:1072
	ds_load_2addr_b64 v[78:81], v10 offset0:224 offset1:240
	s_cmp_ge_i32 s11, s9
	s_waitcnt lgkmcnt(0)
	s_barrier
	buffer_gl0_inv
	v_dual_mul_f32 v82, v23, v19 :: v_dual_mul_f32 v85, v22, v21
	v_dual_mul_f32 v83, v22, v19 :: v_dual_mul_f32 v84, v23, v21
	v_mul_f32_e32 v86, v27, v19
	v_dual_mul_f32 v19, v26, v19 :: v_dual_mul_f32 v90, v25, v37
	v_dual_mul_f32 v87, v27, v21 :: v_dual_mul_f32 v88, v25, v35
	v_mul_f32_e32 v21, v26, v21
	v_fma_f32 v82, v22, v18, -v82
	v_fmac_f32_e32 v83, v23, v18
	v_fma_f32 v22, v22, v20, -v84
	v_fmac_f32_e32 v85, v23, v20
	v_fma_f32 v23, v26, v18, -v86
	v_dual_fmac_f32 v19, v27, v18 :: v_dual_mul_f32 v86, v30, v47
	v_fma_f32 v18, v26, v20, -v87
	v_dual_fmac_f32 v21, v27, v20 :: v_dual_mul_f32 v20, v24, v37
	v_mul_f32_e32 v89, v24, v35
	v_mul_f32_e32 v26, v29, v35
	;; [unrolled: 1-line block ×4, first 2 shown]
	v_fmac_f32_e32 v20, v25, v36
	v_fmac_f32_e32 v89, v25, v34
	v_dual_mul_f32 v25, v28, v37 :: v_dual_fmac_f32 v86, v31, v46
	v_fma_f32 v84, v24, v34, -v88
	v_fma_f32 v24, v24, v36, -v90
	v_dual_mul_f32 v37, v31, v47 :: v_dual_mul_f32 v90, v33, v57
	v_fma_f32 v26, v28, v34, -v26
	v_fma_f32 v28, v28, v36, -v35
	v_fmac_f32_e32 v25, v29, v36
	v_dual_mul_f32 v35, v50, v47 :: v_dual_mul_f32 v36, v51, v49
	v_dual_fmac_f32 v27, v29, v34 :: v_dual_mul_f32 v34, v51, v47
	v_dual_mul_f32 v88, v32, v55 :: v_dual_mul_f32 v29, v30, v49
	v_mul_f32_e32 v87, v31, v49
	v_fma_f32 v37, v30, v46, -v37
	v_add_f32_e32 v16, v16, v82
	s_delay_alu instid0(VALU_DEP_4)
	v_dual_fmac_f32 v88, v33, v54 :: v_dual_fmac_f32 v29, v31, v48
	v_fma_f32 v31, v50, v46, -v34
	v_fma_f32 v34, v50, v48, -v36
	v_mul_f32_e32 v36, v32, v57
	v_mul_f32_e32 v47, v50, v49
	v_dual_mul_f32 v50, v53, v57 :: v_dual_fmac_f32 v35, v51, v46
	v_mul_f32_e32 v46, v53, v55
	v_mul_f32_e32 v49, v33, v55
	v_fma_f32 v30, v30, v48, -v87
	v_fmac_f32_e32 v36, v33, v56
	v_dual_fmac_f32 v47, v51, v48 :: v_dual_mul_f32 v48, v52, v55
	v_mul_f32_e32 v33, v52, v57
	v_fma_f32 v46, v52, v54, -v46
	v_fma_f32 v50, v52, v56, -v50
	v_mul_f32_e32 v52, v38, v61
	v_fma_f32 v49, v32, v54, -v49
	v_fma_f32 v32, v32, v56, -v90
	v_dual_mul_f32 v51, v39, v59 :: v_dual_fmac_f32 v48, v53, v54
	v_mul_f32_e32 v54, v70, v59
	v_dual_mul_f32 v55, v38, v59 :: v_dual_fmac_f32 v52, v39, v60
	v_fmac_f32_e32 v33, v53, v56
	v_mul_f32_e32 v53, v71, v59
	v_mul_f32_e32 v56, v71, v61
	;; [unrolled: 1-line block ×3, first 2 shown]
	v_fmac_f32_e32 v54, v71, v58
	v_fmac_f32_e32 v55, v39, v58
	v_fma_f32 v39, v70, v58, -v53
	v_fma_f32 v53, v70, v60, -v56
	v_mul_f32_e32 v56, v40, v65
	v_mul_f32_e32 v59, v70, v61
	v_fma_f32 v51, v38, v58, -v51
	v_mul_f32_e32 v58, v72, v63
	v_mul_f32_e32 v87, v40, v63
	;; [unrolled: 1-line block ×4, first 2 shown]
	v_fma_f32 v38, v38, v60, -v57
	v_mul_f32_e32 v57, v73, v63
	v_fmac_f32_e32 v56, v41, v64
	v_dual_fmac_f32 v59, v71, v60 :: v_dual_mul_f32 v60, v73, v65
	v_mul_f32_e32 v63, v43, v67
	v_mul_f32_e32 v70, v43, v69
	v_fmac_f32_e32 v58, v73, v62
	v_fmac_f32_e32 v87, v41, v62
	v_mul_f32_e32 v41, v72, v65
	v_fma_f32 v61, v40, v62, -v61
	v_fma_f32 v40, v40, v64, -v90
	v_mul_f32_e32 v65, v42, v67
	v_fma_f32 v57, v72, v62, -v57
	v_fma_f32 v60, v72, v64, -v60
	v_dual_fmac_f32 v41, v73, v64 :: v_dual_mul_f32 v62, v42, v69
	v_mul_f32_e32 v64, v75, v67
	v_fma_f32 v63, v42, v66, -v63
	v_fma_f32 v42, v42, v68, -v70
	v_mul_f32_e32 v70, v76, v79
	v_mul_f32_e32 v67, v74, v67
	;; [unrolled: 1-line block ×3, first 2 shown]
	v_dual_mul_f32 v69, v74, v69 :: v_dual_add_f32 v8, v8, v19
	v_mul_f32_e32 v73, v44, v79
	v_dual_fmac_f32 v65, v43, v66 :: v_dual_add_f32 v12, v12, v85
	v_fmac_f32_e32 v62, v43, v68
	v_fma_f32 v43, v74, v66, -v64
	v_fmac_f32_e32 v70, v77, v78
	v_dual_fmac_f32 v67, v75, v66 :: v_dual_add_f32 v16, v16, v84
	v_mul_f32_e32 v66, v44, v81
	v_mul_f32_e32 v72, v45, v79
	v_dual_mul_f32 v90, v45, v81 :: v_dual_fmac_f32 v69, v75, v68
	v_add_f32_e32 v0, v0, v18
	v_dual_fmac_f32 v73, v45, v78 :: v_dual_add_f32 v8, v8, v27
	v_dual_fmac_f32 v66, v45, v80 :: v_dual_mul_f32 v45, v76, v81
	v_fma_f32 v64, v74, v68, -v71
	v_dual_mul_f32 v71, v77, v81 :: v_dual_add_f32 v12, v12, v20
	v_dual_add_f32 v17, v17, v83 :: v_dual_add_f32 v0, v0, v28
	s_delay_alu instid0(VALU_DEP_4) | instskip(NEXT) | instid1(VALU_DEP_3)
	v_dual_fmac_f32 v45, v77, v80 :: v_dual_add_f32 v16, v16, v37
	v_dual_add_f32 v11, v11, v22 :: v_dual_add_f32 v12, v12, v29
	s_delay_alu instid0(VALU_DEP_3) | instskip(SKIP_1) | instid1(VALU_DEP_3)
	v_dual_add_f32 v9, v9, v23 :: v_dual_add_f32 v0, v0, v34
	v_dual_add_f32 v1, v1, v21 :: v_dual_add_f32 v8, v8, v35
	;; [unrolled: 1-line block ×3, first 2 shown]
	s_delay_alu instid0(VALU_DEP_4) | instskip(NEXT) | instid1(VALU_DEP_3)
	v_dual_add_f32 v11, v11, v24 :: v_dual_add_f32 v16, v16, v49
	v_dual_add_f32 v9, v9, v26 :: v_dual_add_f32 v8, v8, v48
	s_delay_alu instid0(VALU_DEP_4) | instskip(NEXT) | instid1(VALU_DEP_3)
	v_dual_add_f32 v1, v1, v25 :: v_dual_add_f32 v0, v0, v50
	v_dual_add_f32 v17, v17, v86 :: v_dual_add_f32 v16, v16, v51
	s_delay_alu instid0(VALU_DEP_4) | instskip(NEXT) | instid1(VALU_DEP_4)
	v_dual_add_f32 v11, v11, v30 :: v_dual_add_f32 v12, v12, v52
	v_dual_add_f32 v9, v9, v31 :: v_dual_add_f32 v8, v8, v54
	s_delay_alu instid0(VALU_DEP_4) | instskip(NEXT) | instid1(VALU_DEP_4)
	v_dual_add_f32 v1, v1, v47 :: v_dual_add_f32 v0, v0, v53
	v_dual_add_f32 v17, v17, v88 :: v_dual_add_f32 v16, v16, v61
	s_delay_alu instid0(VALU_DEP_3) | instskip(NEXT) | instid1(VALU_DEP_4)
	v_dual_add_f32 v11, v11, v32 :: v_dual_add_f32 v8, v8, v58
	v_dual_add_f32 v9, v9, v46 :: v_dual_add_f32 v12, v12, v56
	s_delay_alu instid0(VALU_DEP_4) | instskip(SKIP_1) | instid1(VALU_DEP_3)
	v_dual_add_f32 v1, v1, v33 :: v_dual_add_f32 v0, v0, v60
	v_fma_f32 v72, v44, v78, -v72
	v_dual_add_f32 v17, v17, v55 :: v_dual_add_f32 v12, v12, v62
	v_dual_add_f32 v11, v11, v38 :: v_dual_add_f32 v16, v16, v63
	s_delay_alu instid0(VALU_DEP_4) | instskip(SKIP_2) | instid1(VALU_DEP_4)
	v_dual_add_f32 v9, v9, v39 :: v_dual_add_f32 v0, v0, v64
	v_add_f32_e32 v1, v1, v59
	v_mul_f32_e32 v68, v77, v79
	v_add_f32_e32 v16, v16, v72
	v_fma_f32 v71, v76, v80, -v71
	v_dual_add_f32 v17, v17, v87 :: v_dual_add_f32 v12, v12, v66
	v_dual_add_f32 v11, v11, v40 :: v_dual_add_f32 v8, v8, v67
	v_add_f32_e32 v9, v9, v57
	s_delay_alu instid0(VALU_DEP_4)
	v_dual_add_f32 v1, v1, v41 :: v_dual_add_f32 v0, v0, v71
	v_fma_f32 v44, v44, v80, -v90
	v_fma_f32 v68, v76, v78, -v68
	v_add_f32_e32 v17, v17, v65
	v_add_f32_e32 v11, v11, v42
	v_dual_add_f32 v1, v1, v69 :: v_dual_add_f32 v8, v8, v70
	v_add_f32_e32 v9, v9, v43
	s_delay_alu instid0(VALU_DEP_4) | instskip(NEXT) | instid1(VALU_DEP_4)
	v_add_f32_e32 v17, v17, v73
	v_add_f32_e32 v11, v11, v44
	s_delay_alu instid0(VALU_DEP_4) | instskip(NEXT) | instid1(VALU_DEP_4)
	v_add_f32_e32 v1, v1, v45
	v_add_f32_e32 v9, v9, v68
	s_cbranch_scc0 .LBB796_2
.LBB796_3:
	s_waitcnt lgkmcnt(0)
	s_load_b32 s6, s[0:1], 0x50
	v_add_nc_u32_e32 v7, s12, v7
	v_add_nc_u32_e32 v2, s10, v6
	s_delay_alu instid0(VALU_DEP_1) | instskip(SKIP_1) | instid1(VALU_DEP_2)
	v_cmp_le_i32_e64 s0, v7, v2
	v_cmp_gt_i32_e32 vcc_lo, s8, v2
	s_and_b32 s0, s0, vcc_lo
	s_waitcnt lgkmcnt(0)
	v_mad_i64_i32 v[3:4], null, v7, s6, 0
	s_delay_alu instid0(VALU_DEP_1) | instskip(NEXT) | instid1(VALU_DEP_1)
	v_lshlrev_b64 v[3:4], 3, v[3:4]
	v_add_co_u32 v6, s1, s2, v3
	s_delay_alu instid0(VALU_DEP_1)
	v_add_co_ci_u32_e64 v10, s1, s3, v4, s1
	s_and_saveexec_b32 s1, s0
	s_cbranch_execz .LBB796_6
; %bb.4:
	v_ashrrev_i32_e32 v3, 31, v2
	v_mul_f32_e32 v14, s4, v17
	v_mul_f32_e32 v5, s5, v17
	s_delay_alu instid0(VALU_DEP_3) | instskip(NEXT) | instid1(VALU_DEP_3)
	v_lshlrev_b64 v[3:4], 3, v[2:3]
	v_fmac_f32_e32 v14, s5, v16
	s_delay_alu instid0(VALU_DEP_3) | instskip(NEXT) | instid1(VALU_DEP_3)
	v_fma_f32 v13, v16, s4, -v5
	v_add_co_u32 v3, s0, v6, v3
	s_delay_alu instid0(VALU_DEP_1)
	v_add_co_ci_u32_e64 v4, s0, v10, v4, s0
	v_cmp_eq_u32_e64 s0, v7, v2
	global_store_b64 v[3:4], v[13:14], off
	s_and_b32 exec_lo, exec_lo, s0
	s_cbranch_execz .LBB796_6
; %bb.5:
	v_mov_b32_e32 v5, 0
	global_store_b32 v[3:4], v5, off offset:4
.LBB796_6:
	s_or_b32 exec_lo, exec_lo, s1
	v_add_nc_u32_e32 v4, 16, v2
	s_delay_alu instid0(VALU_DEP_1) | instskip(SKIP_1) | instid1(VALU_DEP_1)
	v_cmp_le_i32_e64 s1, v7, v4
	v_cmp_gt_i32_e64 s0, s8, v4
	s_and_b32 s1, s1, s0
	s_delay_alu instid0(SALU_CYCLE_1)
	s_and_saveexec_b32 s7, s1
	s_cbranch_execz .LBB796_9
; %bb.7:
	v_ashrrev_i32_e32 v5, 31, v4
	v_mul_f32_e32 v3, s5, v12
	v_mul_f32_e32 v13, s4, v12
	s_delay_alu instid0(VALU_DEP_3) | instskip(NEXT) | instid1(VALU_DEP_3)
	v_lshlrev_b64 v[14:15], 3, v[4:5]
	v_fma_f32 v12, v11, s4, -v3
	s_delay_alu instid0(VALU_DEP_3) | instskip(NEXT) | instid1(VALU_DEP_3)
	v_fmac_f32_e32 v13, s5, v11
	v_add_co_u32 v5, s1, v6, v14
	s_delay_alu instid0(VALU_DEP_1)
	v_add_co_ci_u32_e64 v6, s1, v10, v15, s1
	v_cmp_eq_u32_e64 s1, v7, v4
	global_store_b64 v[5:6], v[12:13], off
	s_and_b32 exec_lo, exec_lo, s1
	s_cbranch_execz .LBB796_9
; %bb.8:
	v_mov_b32_e32 v3, 0
	global_store_b32 v[5:6], v3, off offset:4
.LBB796_9:
	s_or_b32 exec_lo, exec_lo, s7
	v_add_nc_u32_e32 v12, 16, v7
	s_delay_alu instid0(VALU_DEP_1) | instskip(SKIP_1) | instid1(VALU_DEP_2)
	v_mad_i64_i32 v[5:6], null, v12, s6, 0
	v_cmp_le_i32_e64 s1, v12, v2
	v_lshlrev_b64 v[5:6], 3, v[5:6]
	s_delay_alu instid0(VALU_DEP_1) | instskip(NEXT) | instid1(VALU_DEP_1)
	v_add_co_u32 v10, s2, s2, v5
	v_add_co_ci_u32_e64 v11, s2, s3, v6, s2
	s_delay_alu instid0(VALU_DEP_4) | instskip(NEXT) | instid1(SALU_CYCLE_1)
	s_and_b32 s2, s1, vcc_lo
	s_and_saveexec_b32 s1, s2
	s_cbranch_execz .LBB796_12
; %bb.10:
	v_ashrrev_i32_e32 v3, 31, v2
	v_mul_f32_e32 v14, s4, v8
	v_mul_f32_e32 v13, s5, v8
	s_delay_alu instid0(VALU_DEP_3) | instskip(NEXT) | instid1(VALU_DEP_3)
	v_lshlrev_b64 v[5:6], 3, v[2:3]
	v_fmac_f32_e32 v14, s5, v9
	s_delay_alu instid0(VALU_DEP_3) | instskip(NEXT) | instid1(VALU_DEP_3)
	v_fma_f32 v13, v9, s4, -v13
	v_add_co_u32 v5, vcc_lo, v10, v5
	s_delay_alu instid0(VALU_DEP_4)
	v_add_co_ci_u32_e32 v6, vcc_lo, v11, v6, vcc_lo
	v_cmp_eq_u32_e32 vcc_lo, v12, v2
	global_store_b64 v[5:6], v[13:14], off
	s_and_b32 exec_lo, exec_lo, vcc_lo
	s_cbranch_execz .LBB796_12
; %bb.11:
	v_mov_b32_e32 v3, 0
	global_store_b32 v[5:6], v3, off offset:4
.LBB796_12:
	s_or_b32 exec_lo, exec_lo, s1
	v_cmp_le_i32_e32 vcc_lo, v12, v4
	s_and_b32 s0, vcc_lo, s0
	s_delay_alu instid0(SALU_CYCLE_1)
	s_and_saveexec_b32 s1, s0
	s_cbranch_execz .LBB796_15
; %bb.13:
	v_ashrrev_i32_e32 v5, 31, v4
	v_mul_f32_e32 v8, s5, v1
	v_mul_f32_e32 v6, s4, v1
	s_delay_alu instid0(VALU_DEP_3) | instskip(NEXT) | instid1(VALU_DEP_3)
	v_lshlrev_b64 v[3:4], 3, v[4:5]
	v_fma_f32 v5, v0, s4, -v8
	s_delay_alu instid0(VALU_DEP_3) | instskip(NEXT) | instid1(VALU_DEP_3)
	v_fmac_f32_e32 v6, s5, v0
	v_add_co_u32 v0, vcc_lo, v10, v3
	s_delay_alu instid0(VALU_DEP_4)
	v_add_co_ci_u32_e32 v1, vcc_lo, v11, v4, vcc_lo
	v_cmp_eq_u32_e32 vcc_lo, v7, v2
	global_store_b64 v[0:1], v[5:6], off
	s_and_b32 exec_lo, exec_lo, vcc_lo
	s_cbranch_execz .LBB796_15
; %bb.14:
	v_mov_b32_e32 v2, 0
	global_store_b32 v[0:1], v2, off offset:4
.LBB796_15:
	s_nop 0
	s_sendmsg sendmsg(MSG_DEALLOC_VGPRS)
	s_endpgm
	.section	.rodata,"a",@progbits
	.p2align	6, 0x0
	.amdhsa_kernel _ZL37rocblas_syrkx_herkx_restricted_kernelIi19rocblas_complex_numIfELi16ELi32ELi8ELb1ELb1ELc84ELc76EKPKS1_KPS1_EviT_T0_PT8_S7_lSA_S7_lS8_PT9_S7_li
		.amdhsa_group_segment_fixed_size 4096
		.amdhsa_private_segment_fixed_size 0
		.amdhsa_kernarg_size 100
		.amdhsa_user_sgpr_count 13
		.amdhsa_user_sgpr_dispatch_ptr 0
		.amdhsa_user_sgpr_queue_ptr 0
		.amdhsa_user_sgpr_kernarg_segment_ptr 1
		.amdhsa_user_sgpr_dispatch_id 0
		.amdhsa_user_sgpr_private_segment_size 0
		.amdhsa_wavefront_size32 1
		.amdhsa_uses_dynamic_stack 0
		.amdhsa_enable_private_segment 0
		.amdhsa_system_sgpr_workgroup_id_x 1
		.amdhsa_system_sgpr_workgroup_id_y 1
		.amdhsa_system_sgpr_workgroup_id_z 1
		.amdhsa_system_sgpr_workgroup_info 0
		.amdhsa_system_vgpr_workitem_id 1
		.amdhsa_next_free_vgpr 91
		.amdhsa_next_free_sgpr 19
		.amdhsa_reserve_vcc 1
		.amdhsa_float_round_mode_32 0
		.amdhsa_float_round_mode_16_64 0
		.amdhsa_float_denorm_mode_32 3
		.amdhsa_float_denorm_mode_16_64 3
		.amdhsa_dx10_clamp 1
		.amdhsa_ieee_mode 1
		.amdhsa_fp16_overflow 0
		.amdhsa_workgroup_processor_mode 1
		.amdhsa_memory_ordered 1
		.amdhsa_forward_progress 0
		.amdhsa_shared_vgpr_count 0
		.amdhsa_exception_fp_ieee_invalid_op 0
		.amdhsa_exception_fp_denorm_src 0
		.amdhsa_exception_fp_ieee_div_zero 0
		.amdhsa_exception_fp_ieee_overflow 0
		.amdhsa_exception_fp_ieee_underflow 0
		.amdhsa_exception_fp_ieee_inexact 0
		.amdhsa_exception_int_div_zero 0
	.end_amdhsa_kernel
	.section	.text._ZL37rocblas_syrkx_herkx_restricted_kernelIi19rocblas_complex_numIfELi16ELi32ELi8ELb1ELb1ELc84ELc76EKPKS1_KPS1_EviT_T0_PT8_S7_lSA_S7_lS8_PT9_S7_li,"axG",@progbits,_ZL37rocblas_syrkx_herkx_restricted_kernelIi19rocblas_complex_numIfELi16ELi32ELi8ELb1ELb1ELc84ELc76EKPKS1_KPS1_EviT_T0_PT8_S7_lSA_S7_lS8_PT9_S7_li,comdat
.Lfunc_end796:
	.size	_ZL37rocblas_syrkx_herkx_restricted_kernelIi19rocblas_complex_numIfELi16ELi32ELi8ELb1ELb1ELc84ELc76EKPKS1_KPS1_EviT_T0_PT8_S7_lSA_S7_lS8_PT9_S7_li, .Lfunc_end796-_ZL37rocblas_syrkx_herkx_restricted_kernelIi19rocblas_complex_numIfELi16ELi32ELi8ELb1ELb1ELc84ELc76EKPKS1_KPS1_EviT_T0_PT8_S7_lSA_S7_lS8_PT9_S7_li
                                        ; -- End function
	.section	.AMDGPU.csdata,"",@progbits
; Kernel info:
; codeLenInByte = 2200
; NumSgprs: 21
; NumVgprs: 91
; ScratchSize: 0
; MemoryBound: 0
; FloatMode: 240
; IeeeMode: 1
; LDSByteSize: 4096 bytes/workgroup (compile time only)
; SGPRBlocks: 2
; VGPRBlocks: 11
; NumSGPRsForWavesPerEU: 21
; NumVGPRsForWavesPerEU: 91
; Occupancy: 16
; WaveLimiterHint : 1
; COMPUTE_PGM_RSRC2:SCRATCH_EN: 0
; COMPUTE_PGM_RSRC2:USER_SGPR: 13
; COMPUTE_PGM_RSRC2:TRAP_HANDLER: 0
; COMPUTE_PGM_RSRC2:TGID_X_EN: 1
; COMPUTE_PGM_RSRC2:TGID_Y_EN: 1
; COMPUTE_PGM_RSRC2:TGID_Z_EN: 1
; COMPUTE_PGM_RSRC2:TIDIG_COMP_CNT: 1
	.section	.text._ZL37rocblas_syrkx_herkx_restricted_kernelIi19rocblas_complex_numIfELi16ELi32ELi8ELb1ELb1ELc67ELc76EKPKS1_KPS1_EviT_T0_PT8_S7_lSA_S7_lS8_PT9_S7_li,"axG",@progbits,_ZL37rocblas_syrkx_herkx_restricted_kernelIi19rocblas_complex_numIfELi16ELi32ELi8ELb1ELb1ELc67ELc76EKPKS1_KPS1_EviT_T0_PT8_S7_lSA_S7_lS8_PT9_S7_li,comdat
	.globl	_ZL37rocblas_syrkx_herkx_restricted_kernelIi19rocblas_complex_numIfELi16ELi32ELi8ELb1ELb1ELc67ELc76EKPKS1_KPS1_EviT_T0_PT8_S7_lSA_S7_lS8_PT9_S7_li ; -- Begin function _ZL37rocblas_syrkx_herkx_restricted_kernelIi19rocblas_complex_numIfELi16ELi32ELi8ELb1ELb1ELc67ELc76EKPKS1_KPS1_EviT_T0_PT8_S7_lSA_S7_lS8_PT9_S7_li
	.p2align	8
	.type	_ZL37rocblas_syrkx_herkx_restricted_kernelIi19rocblas_complex_numIfELi16ELi32ELi8ELb1ELb1ELc67ELc76EKPKS1_KPS1_EviT_T0_PT8_S7_lSA_S7_lS8_PT9_S7_li,@function
_ZL37rocblas_syrkx_herkx_restricted_kernelIi19rocblas_complex_numIfELi16ELi32ELi8ELb1ELb1ELc67ELc76EKPKS1_KPS1_EviT_T0_PT8_S7_lSA_S7_lS8_PT9_S7_li: ; @_ZL37rocblas_syrkx_herkx_restricted_kernelIi19rocblas_complex_numIfELi16ELi32ELi8ELb1ELb1ELc67ELc76EKPKS1_KPS1_EviT_T0_PT8_S7_lSA_S7_lS8_PT9_S7_li
; %bb.0:
	s_clause 0x1
	s_load_b64 s[2:3], s[0:1], 0x48
	s_load_b64 s[8:9], s[0:1], 0x0
	s_mov_b32 s10, s15
	s_mov_b32 s11, 0
	v_dual_mov_b32 v17, 0 :: v_dual_and_b32 v6, 0x3ff, v0
	s_lshl_b64 s[16:17], s[10:11], 3
	v_bfe_u32 v7, v0, 10, 10
	v_dual_mov_b32 v16, 0 :: v_dual_mov_b32 v11, 0
	v_dual_mov_b32 v12, 0 :: v_dual_mov_b32 v9, 0
	;; [unrolled: 1-line block ×3, first 2 shown]
	v_mov_b32_e32 v0, 0
	s_waitcnt lgkmcnt(0)
	s_add_u32 s2, s2, s16
	s_addc_u32 s3, s3, s17
	s_load_b128 s[4:7], s[0:1], 0x8
	s_load_b64 s[2:3], s[2:3], 0x0
	s_lshl_b32 s10, s13, 5
	s_lshl_b32 s12, s14, 5
	s_cmp_lt_i32 s9, 1
	s_cbranch_scc1 .LBB797_3
; %bb.1:
	s_clause 0x2
	s_load_b64 s[14:15], s[0:1], 0x28
	s_load_b32 s13, s[0:1], 0x18
	s_load_b32 s18, s[0:1], 0x30
	v_lshl_add_u32 v2, v7, 4, v6
	v_dual_mov_b32 v1, 0 :: v_dual_and_b32 v0, 7, v6
	s_waitcnt lgkmcnt(0)
	s_add_u32 s6, s6, s16
	s_addc_u32 s7, s7, s17
	v_and_b32_e32 v8, 31, v2
	v_lshrrev_b32_e32 v9, 3, v2
	v_dual_mov_b32 v3, v1 :: v_dual_lshlrev_b32 v10, 3, v6
	s_load_b64 s[6:7], s[6:7], 0x0
	v_lshrrev_b32_e32 v2, 5, v2
	v_add_nc_u32_e32 v11, s10, v8
	v_add_nc_u32_e32 v14, s12, v9
	v_lshl_add_u32 v13, v7, 6, 0x800
	v_mov_b32_e32 v16, v1
	v_mov_b32_e32 v17, v1
	s_add_u32 s14, s14, s16
	s_addc_u32 s15, s15, s17
	v_mad_i64_i32 v[4:5], null, s13, v11, v[2:3]
	s_load_b64 s[14:15], s[14:15], 0x0
	v_lshlrev_b32_e32 v3, 3, v0
	v_mad_i64_i32 v[11:12], null, s18, v14, v[0:1]
	v_mov_b32_e32 v0, v1
	s_delay_alu instid0(VALU_DEP_3) | instskip(SKIP_1) | instid1(VALU_DEP_4)
	v_lshl_or_b32 v9, v9, 6, v3
	v_lshlrev_b64 v[3:4], 3, v[4:5]
	v_lshlrev_b64 v[11:12], 3, v[11:12]
	s_delay_alu instid0(VALU_DEP_3) | instskip(SKIP_2) | instid1(VALU_DEP_2)
	v_add_nc_u32_e32 v15, 0x800, v9
	v_dual_mov_b32 v9, v1 :: v_dual_lshlrev_b32 v14, 3, v8
	v_mov_b32_e32 v8, v1
	v_lshl_or_b32 v14, v2, 8, v14
	s_waitcnt lgkmcnt(0)
	v_add_co_u32 v2, vcc_lo, v3, s6
	v_add_co_ci_u32_e32 v3, vcc_lo, s7, v4, vcc_lo
	v_add_co_u32 v4, vcc_lo, v11, s14
	v_add_co_ci_u32_e32 v5, vcc_lo, s15, v12, vcc_lo
	s_delay_alu instid0(VALU_DEP_4) | instskip(NEXT) | instid1(VALU_DEP_4)
	v_add_co_u32 v2, vcc_lo, v2, 4
	v_add_co_ci_u32_e32 v3, vcc_lo, 0, v3, vcc_lo
	s_delay_alu instid0(VALU_DEP_4) | instskip(NEXT) | instid1(VALU_DEP_4)
	v_add_co_u32 v4, vcc_lo, v4, 4
	v_add_co_ci_u32_e32 v5, vcc_lo, 0, v5, vcc_lo
	v_mov_b32_e32 v12, v1
	v_mov_b32_e32 v11, v1
.LBB797_2:                              ; =>This Inner Loop Header: Depth=1
	global_load_b64 v[18:19], v[2:3], off offset:-4
	global_load_b64 v[20:21], v[4:5], off offset:-4
	v_add_co_u32 v2, vcc_lo, v2, 64
	v_add_co_ci_u32_e32 v3, vcc_lo, 0, v3, vcc_lo
	v_add_co_u32 v4, vcc_lo, v4, 64
	v_add_co_ci_u32_e32 v5, vcc_lo, 0, v5, vcc_lo
	s_add_i32 s11, s11, 8
	s_delay_alu instid0(SALU_CYCLE_1)
	s_cmp_ge_i32 s11, s9
	s_waitcnt vmcnt(1)
	v_xor_b32_e32 v19, 0x80000000, v19
	ds_store_b64 v14, v[18:19]
	s_waitcnt vmcnt(0)
	ds_store_b64 v15, v[20:21]
	s_waitcnt lgkmcnt(0)
	s_barrier
	buffer_gl0_inv
	ds_load_2addr_b64 v[18:21], v10 offset1:16
	ds_load_b128 v[22:25], v13
	ds_load_b128 v[26:29], v13 offset:1024
	ds_load_b128 v[30:33], v13 offset:16
	ds_load_2addr_b64 v[34:37], v10 offset0:32 offset1:48
	ds_load_b128 v[38:41], v13 offset:32
	ds_load_b128 v[42:45], v13 offset:48
	ds_load_2addr_b64 v[46:49], v10 offset0:64 offset1:80
	ds_load_b128 v[50:53], v13 offset:1040
	ds_load_2addr_b64 v[54:57], v10 offset0:96 offset1:112
	ds_load_2addr_b64 v[58:61], v10 offset0:128 offset1:144
	;; [unrolled: 1-line block ×4, first 2 shown]
	ds_load_b128 v[70:73], v13 offset:1056
	ds_load_b128 v[74:77], v13 offset:1072
	ds_load_2addr_b64 v[78:81], v10 offset0:224 offset1:240
	s_waitcnt lgkmcnt(0)
	s_barrier
	buffer_gl0_inv
	v_dual_mul_f32 v82, v23, v19 :: v_dual_mul_f32 v85, v22, v21
	v_dual_mul_f32 v83, v22, v19 :: v_dual_mul_f32 v84, v23, v21
	v_mul_f32_e32 v86, v27, v19
	v_dual_mul_f32 v19, v26, v19 :: v_dual_mul_f32 v90, v25, v37
	v_dual_mul_f32 v87, v27, v21 :: v_dual_mul_f32 v88, v25, v35
	v_mul_f32_e32 v21, v26, v21
	v_fma_f32 v82, v22, v18, -v82
	v_fmac_f32_e32 v83, v23, v18
	v_fma_f32 v22, v22, v20, -v84
	v_fmac_f32_e32 v85, v23, v20
	v_fma_f32 v23, v26, v18, -v86
	v_dual_fmac_f32 v19, v27, v18 :: v_dual_mul_f32 v86, v30, v47
	v_fma_f32 v18, v26, v20, -v87
	v_dual_fmac_f32 v21, v27, v20 :: v_dual_mul_f32 v20, v24, v37
	v_mul_f32_e32 v89, v24, v35
	v_mul_f32_e32 v26, v29, v35
	;; [unrolled: 1-line block ×4, first 2 shown]
	v_fmac_f32_e32 v20, v25, v36
	v_fmac_f32_e32 v89, v25, v34
	v_dual_mul_f32 v25, v28, v37 :: v_dual_fmac_f32 v86, v31, v46
	v_fma_f32 v84, v24, v34, -v88
	v_fma_f32 v24, v24, v36, -v90
	v_dual_mul_f32 v37, v31, v47 :: v_dual_mul_f32 v90, v33, v57
	v_fma_f32 v26, v28, v34, -v26
	v_fma_f32 v28, v28, v36, -v35
	v_fmac_f32_e32 v25, v29, v36
	v_dual_mul_f32 v35, v50, v47 :: v_dual_mul_f32 v36, v51, v49
	v_dual_fmac_f32 v27, v29, v34 :: v_dual_mul_f32 v34, v51, v47
	v_dual_mul_f32 v88, v32, v55 :: v_dual_mul_f32 v29, v30, v49
	v_mul_f32_e32 v87, v31, v49
	v_fma_f32 v37, v30, v46, -v37
	v_add_f32_e32 v16, v16, v82
	s_delay_alu instid0(VALU_DEP_4)
	v_dual_fmac_f32 v88, v33, v54 :: v_dual_fmac_f32 v29, v31, v48
	v_fma_f32 v31, v50, v46, -v34
	v_fma_f32 v34, v50, v48, -v36
	v_mul_f32_e32 v36, v32, v57
	v_mul_f32_e32 v47, v50, v49
	v_dual_mul_f32 v50, v53, v57 :: v_dual_fmac_f32 v35, v51, v46
	v_mul_f32_e32 v46, v53, v55
	v_mul_f32_e32 v49, v33, v55
	v_fma_f32 v30, v30, v48, -v87
	v_fmac_f32_e32 v36, v33, v56
	v_dual_fmac_f32 v47, v51, v48 :: v_dual_mul_f32 v48, v52, v55
	v_mul_f32_e32 v33, v52, v57
	v_fma_f32 v46, v52, v54, -v46
	v_fma_f32 v50, v52, v56, -v50
	v_mul_f32_e32 v52, v38, v61
	v_fma_f32 v49, v32, v54, -v49
	v_fma_f32 v32, v32, v56, -v90
	v_dual_mul_f32 v51, v39, v59 :: v_dual_fmac_f32 v48, v53, v54
	v_mul_f32_e32 v54, v70, v59
	v_dual_mul_f32 v55, v38, v59 :: v_dual_fmac_f32 v52, v39, v60
	v_fmac_f32_e32 v33, v53, v56
	v_mul_f32_e32 v53, v71, v59
	v_mul_f32_e32 v56, v71, v61
	;; [unrolled: 1-line block ×3, first 2 shown]
	v_fmac_f32_e32 v54, v71, v58
	v_fmac_f32_e32 v55, v39, v58
	v_fma_f32 v39, v70, v58, -v53
	v_fma_f32 v53, v70, v60, -v56
	v_mul_f32_e32 v56, v40, v65
	v_mul_f32_e32 v59, v70, v61
	v_fma_f32 v51, v38, v58, -v51
	v_mul_f32_e32 v58, v72, v63
	v_mul_f32_e32 v87, v40, v63
	;; [unrolled: 1-line block ×4, first 2 shown]
	v_fma_f32 v38, v38, v60, -v57
	v_mul_f32_e32 v57, v73, v63
	v_fmac_f32_e32 v56, v41, v64
	v_dual_fmac_f32 v59, v71, v60 :: v_dual_mul_f32 v60, v73, v65
	v_mul_f32_e32 v63, v43, v67
	v_mul_f32_e32 v70, v43, v69
	v_fmac_f32_e32 v58, v73, v62
	v_fmac_f32_e32 v87, v41, v62
	v_mul_f32_e32 v41, v72, v65
	v_fma_f32 v61, v40, v62, -v61
	v_fma_f32 v40, v40, v64, -v90
	v_mul_f32_e32 v65, v42, v67
	v_fma_f32 v57, v72, v62, -v57
	v_fma_f32 v60, v72, v64, -v60
	v_dual_fmac_f32 v41, v73, v64 :: v_dual_mul_f32 v62, v42, v69
	v_mul_f32_e32 v64, v75, v67
	v_fma_f32 v63, v42, v66, -v63
	v_fma_f32 v42, v42, v68, -v70
	v_mul_f32_e32 v70, v76, v79
	v_mul_f32_e32 v67, v74, v67
	;; [unrolled: 1-line block ×3, first 2 shown]
	v_dual_mul_f32 v69, v74, v69 :: v_dual_add_f32 v8, v8, v19
	v_mul_f32_e32 v73, v44, v79
	v_dual_fmac_f32 v65, v43, v66 :: v_dual_add_f32 v12, v12, v85
	v_fmac_f32_e32 v62, v43, v68
	v_fma_f32 v43, v74, v66, -v64
	v_fmac_f32_e32 v70, v77, v78
	v_dual_fmac_f32 v67, v75, v66 :: v_dual_add_f32 v16, v16, v84
	v_mul_f32_e32 v66, v44, v81
	v_mul_f32_e32 v72, v45, v79
	v_dual_mul_f32 v90, v45, v81 :: v_dual_fmac_f32 v69, v75, v68
	v_add_f32_e32 v0, v0, v18
	v_dual_fmac_f32 v73, v45, v78 :: v_dual_add_f32 v8, v8, v27
	v_dual_fmac_f32 v66, v45, v80 :: v_dual_mul_f32 v45, v76, v81
	v_fma_f32 v64, v74, v68, -v71
	v_dual_mul_f32 v71, v77, v81 :: v_dual_add_f32 v12, v12, v20
	v_dual_add_f32 v17, v17, v83 :: v_dual_add_f32 v0, v0, v28
	s_delay_alu instid0(VALU_DEP_4) | instskip(NEXT) | instid1(VALU_DEP_3)
	v_dual_fmac_f32 v45, v77, v80 :: v_dual_add_f32 v16, v16, v37
	v_dual_add_f32 v11, v11, v22 :: v_dual_add_f32 v12, v12, v29
	s_delay_alu instid0(VALU_DEP_3) | instskip(SKIP_1) | instid1(VALU_DEP_3)
	v_dual_add_f32 v9, v9, v23 :: v_dual_add_f32 v0, v0, v34
	v_dual_add_f32 v1, v1, v21 :: v_dual_add_f32 v8, v8, v35
	;; [unrolled: 1-line block ×3, first 2 shown]
	s_delay_alu instid0(VALU_DEP_4) | instskip(NEXT) | instid1(VALU_DEP_3)
	v_dual_add_f32 v11, v11, v24 :: v_dual_add_f32 v16, v16, v49
	v_dual_add_f32 v9, v9, v26 :: v_dual_add_f32 v8, v8, v48
	s_delay_alu instid0(VALU_DEP_4) | instskip(NEXT) | instid1(VALU_DEP_3)
	v_dual_add_f32 v1, v1, v25 :: v_dual_add_f32 v0, v0, v50
	v_dual_add_f32 v17, v17, v86 :: v_dual_add_f32 v16, v16, v51
	s_delay_alu instid0(VALU_DEP_4) | instskip(NEXT) | instid1(VALU_DEP_4)
	v_dual_add_f32 v11, v11, v30 :: v_dual_add_f32 v12, v12, v52
	v_dual_add_f32 v9, v9, v31 :: v_dual_add_f32 v8, v8, v54
	s_delay_alu instid0(VALU_DEP_4) | instskip(NEXT) | instid1(VALU_DEP_4)
	v_dual_add_f32 v1, v1, v47 :: v_dual_add_f32 v0, v0, v53
	v_dual_add_f32 v17, v17, v88 :: v_dual_add_f32 v16, v16, v61
	s_delay_alu instid0(VALU_DEP_3) | instskip(NEXT) | instid1(VALU_DEP_4)
	v_dual_add_f32 v11, v11, v32 :: v_dual_add_f32 v8, v8, v58
	v_dual_add_f32 v9, v9, v46 :: v_dual_add_f32 v12, v12, v56
	s_delay_alu instid0(VALU_DEP_4) | instskip(SKIP_1) | instid1(VALU_DEP_3)
	v_dual_add_f32 v1, v1, v33 :: v_dual_add_f32 v0, v0, v60
	v_fma_f32 v72, v44, v78, -v72
	v_dual_add_f32 v17, v17, v55 :: v_dual_add_f32 v12, v12, v62
	v_dual_add_f32 v11, v11, v38 :: v_dual_add_f32 v16, v16, v63
	s_delay_alu instid0(VALU_DEP_4) | instskip(SKIP_2) | instid1(VALU_DEP_4)
	v_dual_add_f32 v9, v9, v39 :: v_dual_add_f32 v0, v0, v64
	v_add_f32_e32 v1, v1, v59
	v_mul_f32_e32 v68, v77, v79
	v_add_f32_e32 v16, v16, v72
	v_fma_f32 v71, v76, v80, -v71
	v_dual_add_f32 v17, v17, v87 :: v_dual_add_f32 v12, v12, v66
	v_dual_add_f32 v11, v11, v40 :: v_dual_add_f32 v8, v8, v67
	v_add_f32_e32 v9, v9, v57
	s_delay_alu instid0(VALU_DEP_4)
	v_dual_add_f32 v1, v1, v41 :: v_dual_add_f32 v0, v0, v71
	v_fma_f32 v44, v44, v80, -v90
	v_fma_f32 v68, v76, v78, -v68
	v_add_f32_e32 v17, v17, v65
	v_add_f32_e32 v11, v11, v42
	v_dual_add_f32 v1, v1, v69 :: v_dual_add_f32 v8, v8, v70
	v_add_f32_e32 v9, v9, v43
	s_delay_alu instid0(VALU_DEP_4) | instskip(NEXT) | instid1(VALU_DEP_4)
	v_add_f32_e32 v17, v17, v73
	v_add_f32_e32 v11, v11, v44
	s_delay_alu instid0(VALU_DEP_4) | instskip(NEXT) | instid1(VALU_DEP_4)
	v_add_f32_e32 v1, v1, v45
	v_add_f32_e32 v9, v9, v68
	s_cbranch_scc0 .LBB797_2
.LBB797_3:
	s_waitcnt lgkmcnt(0)
	s_load_b32 s6, s[0:1], 0x50
	v_add_nc_u32_e32 v7, s12, v7
	v_add_nc_u32_e32 v2, s10, v6
	s_delay_alu instid0(VALU_DEP_1) | instskip(SKIP_1) | instid1(VALU_DEP_2)
	v_cmp_le_i32_e64 s0, v7, v2
	v_cmp_gt_i32_e32 vcc_lo, s8, v2
	s_and_b32 s0, s0, vcc_lo
	s_waitcnt lgkmcnt(0)
	v_mad_i64_i32 v[3:4], null, v7, s6, 0
	s_delay_alu instid0(VALU_DEP_1) | instskip(NEXT) | instid1(VALU_DEP_1)
	v_lshlrev_b64 v[3:4], 3, v[3:4]
	v_add_co_u32 v6, s1, s2, v3
	s_delay_alu instid0(VALU_DEP_1)
	v_add_co_ci_u32_e64 v10, s1, s3, v4, s1
	s_and_saveexec_b32 s1, s0
	s_cbranch_execz .LBB797_6
; %bb.4:
	v_ashrrev_i32_e32 v3, 31, v2
	v_mul_f32_e32 v14, s4, v17
	v_mul_f32_e32 v5, s5, v17
	s_delay_alu instid0(VALU_DEP_3) | instskip(NEXT) | instid1(VALU_DEP_3)
	v_lshlrev_b64 v[3:4], 3, v[2:3]
	v_fmac_f32_e32 v14, s5, v16
	s_delay_alu instid0(VALU_DEP_3) | instskip(NEXT) | instid1(VALU_DEP_3)
	v_fma_f32 v13, v16, s4, -v5
	v_add_co_u32 v3, s0, v6, v3
	s_delay_alu instid0(VALU_DEP_1)
	v_add_co_ci_u32_e64 v4, s0, v10, v4, s0
	v_cmp_eq_u32_e64 s0, v7, v2
	global_store_b64 v[3:4], v[13:14], off
	s_and_b32 exec_lo, exec_lo, s0
	s_cbranch_execz .LBB797_6
; %bb.5:
	v_mov_b32_e32 v5, 0
	global_store_b32 v[3:4], v5, off offset:4
.LBB797_6:
	s_or_b32 exec_lo, exec_lo, s1
	v_add_nc_u32_e32 v4, 16, v2
	s_delay_alu instid0(VALU_DEP_1) | instskip(SKIP_1) | instid1(VALU_DEP_1)
	v_cmp_le_i32_e64 s1, v7, v4
	v_cmp_gt_i32_e64 s0, s8, v4
	s_and_b32 s1, s1, s0
	s_delay_alu instid0(SALU_CYCLE_1)
	s_and_saveexec_b32 s7, s1
	s_cbranch_execz .LBB797_9
; %bb.7:
	v_ashrrev_i32_e32 v5, 31, v4
	v_mul_f32_e32 v3, s5, v12
	v_mul_f32_e32 v13, s4, v12
	s_delay_alu instid0(VALU_DEP_3) | instskip(NEXT) | instid1(VALU_DEP_3)
	v_lshlrev_b64 v[14:15], 3, v[4:5]
	v_fma_f32 v12, v11, s4, -v3
	s_delay_alu instid0(VALU_DEP_3) | instskip(NEXT) | instid1(VALU_DEP_3)
	v_fmac_f32_e32 v13, s5, v11
	v_add_co_u32 v5, s1, v6, v14
	s_delay_alu instid0(VALU_DEP_1)
	v_add_co_ci_u32_e64 v6, s1, v10, v15, s1
	v_cmp_eq_u32_e64 s1, v7, v4
	global_store_b64 v[5:6], v[12:13], off
	s_and_b32 exec_lo, exec_lo, s1
	s_cbranch_execz .LBB797_9
; %bb.8:
	v_mov_b32_e32 v3, 0
	global_store_b32 v[5:6], v3, off offset:4
.LBB797_9:
	s_or_b32 exec_lo, exec_lo, s7
	v_add_nc_u32_e32 v12, 16, v7
	s_delay_alu instid0(VALU_DEP_1) | instskip(SKIP_1) | instid1(VALU_DEP_2)
	v_mad_i64_i32 v[5:6], null, v12, s6, 0
	v_cmp_le_i32_e64 s1, v12, v2
	v_lshlrev_b64 v[5:6], 3, v[5:6]
	s_delay_alu instid0(VALU_DEP_1) | instskip(NEXT) | instid1(VALU_DEP_1)
	v_add_co_u32 v10, s2, s2, v5
	v_add_co_ci_u32_e64 v11, s2, s3, v6, s2
	s_delay_alu instid0(VALU_DEP_4) | instskip(NEXT) | instid1(SALU_CYCLE_1)
	s_and_b32 s2, s1, vcc_lo
	s_and_saveexec_b32 s1, s2
	s_cbranch_execz .LBB797_12
; %bb.10:
	v_ashrrev_i32_e32 v3, 31, v2
	v_mul_f32_e32 v14, s4, v8
	v_mul_f32_e32 v13, s5, v8
	s_delay_alu instid0(VALU_DEP_3) | instskip(NEXT) | instid1(VALU_DEP_3)
	v_lshlrev_b64 v[5:6], 3, v[2:3]
	v_fmac_f32_e32 v14, s5, v9
	s_delay_alu instid0(VALU_DEP_3) | instskip(NEXT) | instid1(VALU_DEP_3)
	v_fma_f32 v13, v9, s4, -v13
	v_add_co_u32 v5, vcc_lo, v10, v5
	s_delay_alu instid0(VALU_DEP_4)
	v_add_co_ci_u32_e32 v6, vcc_lo, v11, v6, vcc_lo
	v_cmp_eq_u32_e32 vcc_lo, v12, v2
	global_store_b64 v[5:6], v[13:14], off
	s_and_b32 exec_lo, exec_lo, vcc_lo
	s_cbranch_execz .LBB797_12
; %bb.11:
	v_mov_b32_e32 v3, 0
	global_store_b32 v[5:6], v3, off offset:4
.LBB797_12:
	s_or_b32 exec_lo, exec_lo, s1
	v_cmp_le_i32_e32 vcc_lo, v12, v4
	s_and_b32 s0, vcc_lo, s0
	s_delay_alu instid0(SALU_CYCLE_1)
	s_and_saveexec_b32 s1, s0
	s_cbranch_execz .LBB797_15
; %bb.13:
	v_ashrrev_i32_e32 v5, 31, v4
	v_mul_f32_e32 v8, s5, v1
	v_mul_f32_e32 v6, s4, v1
	s_delay_alu instid0(VALU_DEP_3) | instskip(NEXT) | instid1(VALU_DEP_3)
	v_lshlrev_b64 v[3:4], 3, v[4:5]
	v_fma_f32 v5, v0, s4, -v8
	s_delay_alu instid0(VALU_DEP_3) | instskip(NEXT) | instid1(VALU_DEP_3)
	v_fmac_f32_e32 v6, s5, v0
	v_add_co_u32 v0, vcc_lo, v10, v3
	s_delay_alu instid0(VALU_DEP_4)
	v_add_co_ci_u32_e32 v1, vcc_lo, v11, v4, vcc_lo
	v_cmp_eq_u32_e32 vcc_lo, v7, v2
	global_store_b64 v[0:1], v[5:6], off
	s_and_b32 exec_lo, exec_lo, vcc_lo
	s_cbranch_execz .LBB797_15
; %bb.14:
	v_mov_b32_e32 v2, 0
	global_store_b32 v[0:1], v2, off offset:4
.LBB797_15:
	s_nop 0
	s_sendmsg sendmsg(MSG_DEALLOC_VGPRS)
	s_endpgm
	.section	.rodata,"a",@progbits
	.p2align	6, 0x0
	.amdhsa_kernel _ZL37rocblas_syrkx_herkx_restricted_kernelIi19rocblas_complex_numIfELi16ELi32ELi8ELb1ELb1ELc67ELc76EKPKS1_KPS1_EviT_T0_PT8_S7_lSA_S7_lS8_PT9_S7_li
		.amdhsa_group_segment_fixed_size 4096
		.amdhsa_private_segment_fixed_size 0
		.amdhsa_kernarg_size 100
		.amdhsa_user_sgpr_count 13
		.amdhsa_user_sgpr_dispatch_ptr 0
		.amdhsa_user_sgpr_queue_ptr 0
		.amdhsa_user_sgpr_kernarg_segment_ptr 1
		.amdhsa_user_sgpr_dispatch_id 0
		.amdhsa_user_sgpr_private_segment_size 0
		.amdhsa_wavefront_size32 1
		.amdhsa_uses_dynamic_stack 0
		.amdhsa_enable_private_segment 0
		.amdhsa_system_sgpr_workgroup_id_x 1
		.amdhsa_system_sgpr_workgroup_id_y 1
		.amdhsa_system_sgpr_workgroup_id_z 1
		.amdhsa_system_sgpr_workgroup_info 0
		.amdhsa_system_vgpr_workitem_id 1
		.amdhsa_next_free_vgpr 91
		.amdhsa_next_free_sgpr 19
		.amdhsa_reserve_vcc 1
		.amdhsa_float_round_mode_32 0
		.amdhsa_float_round_mode_16_64 0
		.amdhsa_float_denorm_mode_32 3
		.amdhsa_float_denorm_mode_16_64 3
		.amdhsa_dx10_clamp 1
		.amdhsa_ieee_mode 1
		.amdhsa_fp16_overflow 0
		.amdhsa_workgroup_processor_mode 1
		.amdhsa_memory_ordered 1
		.amdhsa_forward_progress 0
		.amdhsa_shared_vgpr_count 0
		.amdhsa_exception_fp_ieee_invalid_op 0
		.amdhsa_exception_fp_denorm_src 0
		.amdhsa_exception_fp_ieee_div_zero 0
		.amdhsa_exception_fp_ieee_overflow 0
		.amdhsa_exception_fp_ieee_underflow 0
		.amdhsa_exception_fp_ieee_inexact 0
		.amdhsa_exception_int_div_zero 0
	.end_amdhsa_kernel
	.section	.text._ZL37rocblas_syrkx_herkx_restricted_kernelIi19rocblas_complex_numIfELi16ELi32ELi8ELb1ELb1ELc67ELc76EKPKS1_KPS1_EviT_T0_PT8_S7_lSA_S7_lS8_PT9_S7_li,"axG",@progbits,_ZL37rocblas_syrkx_herkx_restricted_kernelIi19rocblas_complex_numIfELi16ELi32ELi8ELb1ELb1ELc67ELc76EKPKS1_KPS1_EviT_T0_PT8_S7_lSA_S7_lS8_PT9_S7_li,comdat
.Lfunc_end797:
	.size	_ZL37rocblas_syrkx_herkx_restricted_kernelIi19rocblas_complex_numIfELi16ELi32ELi8ELb1ELb1ELc67ELc76EKPKS1_KPS1_EviT_T0_PT8_S7_lSA_S7_lS8_PT9_S7_li, .Lfunc_end797-_ZL37rocblas_syrkx_herkx_restricted_kernelIi19rocblas_complex_numIfELi16ELi32ELi8ELb1ELb1ELc67ELc76EKPKS1_KPS1_EviT_T0_PT8_S7_lSA_S7_lS8_PT9_S7_li
                                        ; -- End function
	.section	.AMDGPU.csdata,"",@progbits
; Kernel info:
; codeLenInByte = 2212
; NumSgprs: 21
; NumVgprs: 91
; ScratchSize: 0
; MemoryBound: 0
; FloatMode: 240
; IeeeMode: 1
; LDSByteSize: 4096 bytes/workgroup (compile time only)
; SGPRBlocks: 2
; VGPRBlocks: 11
; NumSGPRsForWavesPerEU: 21
; NumVGPRsForWavesPerEU: 91
; Occupancy: 16
; WaveLimiterHint : 1
; COMPUTE_PGM_RSRC2:SCRATCH_EN: 0
; COMPUTE_PGM_RSRC2:USER_SGPR: 13
; COMPUTE_PGM_RSRC2:TRAP_HANDLER: 0
; COMPUTE_PGM_RSRC2:TGID_X_EN: 1
; COMPUTE_PGM_RSRC2:TGID_Y_EN: 1
; COMPUTE_PGM_RSRC2:TGID_Z_EN: 1
; COMPUTE_PGM_RSRC2:TIDIG_COMP_CNT: 1
	.section	.text._ZL37rocblas_syrkx_herkx_restricted_kernelIi19rocblas_complex_numIfELi16ELi32ELi8ELb1ELb1ELc78ELc76EKPKS1_KPS1_EviT_T0_PT8_S7_lSA_S7_lS8_PT9_S7_li,"axG",@progbits,_ZL37rocblas_syrkx_herkx_restricted_kernelIi19rocblas_complex_numIfELi16ELi32ELi8ELb1ELb1ELc78ELc76EKPKS1_KPS1_EviT_T0_PT8_S7_lSA_S7_lS8_PT9_S7_li,comdat
	.globl	_ZL37rocblas_syrkx_herkx_restricted_kernelIi19rocblas_complex_numIfELi16ELi32ELi8ELb1ELb1ELc78ELc76EKPKS1_KPS1_EviT_T0_PT8_S7_lSA_S7_lS8_PT9_S7_li ; -- Begin function _ZL37rocblas_syrkx_herkx_restricted_kernelIi19rocblas_complex_numIfELi16ELi32ELi8ELb1ELb1ELc78ELc76EKPKS1_KPS1_EviT_T0_PT8_S7_lSA_S7_lS8_PT9_S7_li
	.p2align	8
	.type	_ZL37rocblas_syrkx_herkx_restricted_kernelIi19rocblas_complex_numIfELi16ELi32ELi8ELb1ELb1ELc78ELc76EKPKS1_KPS1_EviT_T0_PT8_S7_lSA_S7_lS8_PT9_S7_li,@function
_ZL37rocblas_syrkx_herkx_restricted_kernelIi19rocblas_complex_numIfELi16ELi32ELi8ELb1ELb1ELc78ELc76EKPKS1_KPS1_EviT_T0_PT8_S7_lSA_S7_lS8_PT9_S7_li: ; @_ZL37rocblas_syrkx_herkx_restricted_kernelIi19rocblas_complex_numIfELi16ELi32ELi8ELb1ELb1ELc78ELc76EKPKS1_KPS1_EviT_T0_PT8_S7_lSA_S7_lS8_PT9_S7_li
; %bb.0:
	s_clause 0x1
	s_load_b64 s[2:3], s[0:1], 0x48
	s_load_b64 s[8:9], s[0:1], 0x0
	s_mov_b32 s10, s15
	s_mov_b32 s11, 0
	v_dual_mov_b32 v17, 0 :: v_dual_and_b32 v4, 0x3ff, v0
	s_lshl_b64 s[16:17], s[10:11], 3
	v_bfe_u32 v7, v0, 10, 10
	v_dual_mov_b32 v16, 0 :: v_dual_mov_b32 v13, 0
	v_dual_mov_b32 v12, 0 :: v_dual_mov_b32 v9, 0
	;; [unrolled: 1-line block ×3, first 2 shown]
	v_mov_b32_e32 v6, 0
	s_waitcnt lgkmcnt(0)
	s_add_u32 s2, s2, s16
	s_addc_u32 s3, s3, s17
	s_load_b128 s[4:7], s[0:1], 0x8
	s_load_b64 s[2:3], s[2:3], 0x0
	s_lshl_b32 s10, s13, 5
	s_lshl_b32 s14, s14, 5
	s_cmp_lt_i32 s9, 1
	s_cbranch_scc1 .LBB798_3
; %bb.1:
	s_clause 0x2
	s_load_b32 s12, s[0:1], 0x18
	s_load_b32 s18, s[0:1], 0x30
	s_load_b64 s[20:21], s[0:1], 0x28
	v_lshl_add_u32 v0, v7, 4, v4
	v_dual_mov_b32 v5, 0 :: v_dual_and_b32 v6, 7, v4
	v_lshlrev_b32_e32 v10, 3, v4
	v_lshl_add_u32 v11, v7, 6, 0x800
	s_delay_alu instid0(VALU_DEP_4) | instskip(SKIP_3) | instid1(VALU_DEP_4)
	v_and_b32_e32 v13, 31, v0
	v_lshrrev_b32_e32 v12, 3, v0
	v_lshrrev_b32_e32 v14, 5, v0
	v_lshlrev_b32_e32 v15, 3, v6
	v_dual_mov_b32 v17, 0 :: v_dual_add_nc_u32 v2, s10, v13
	s_delay_alu instid0(VALU_DEP_4) | instskip(SKIP_1) | instid1(VALU_DEP_3)
	v_add_nc_u32_e32 v0, s14, v12
	v_mov_b32_e32 v16, 0
	v_ashrrev_i32_e32 v3, 31, v2
	s_delay_alu instid0(VALU_DEP_3)
	v_ashrrev_i32_e32 v1, 31, v0
	s_waitcnt lgkmcnt(0)
	s_ashr_i32 s13, s12, 31
	s_ashr_i32 s19, s18, 31
	s_add_u32 s6, s6, s16
	s_addc_u32 s7, s7, s17
	s_add_u32 s16, s20, s16
	s_load_b64 s[6:7], s[6:7], 0x0
	s_addc_u32 s17, s21, s17
	v_mad_i64_i32 v[8:9], null, s12, v14, v[2:3]
	s_load_b64 s[16:17], s[16:17], 0x0
	v_mad_i64_i32 v[2:3], null, s18, v6, v[0:1]
	v_dual_mov_b32 v6, 0 :: v_dual_lshlrev_b32 v13, 3, v13
	s_delay_alu instid0(VALU_DEP_3) | instskip(SKIP_4) | instid1(VALU_DEP_3)
	v_lshlrev_b64 v[0:1], 3, v[8:9]
	v_mov_b32_e32 v8, 0
	v_lshl_or_b32 v12, v12, 6, v15
	v_lshlrev_b64 v[2:3], 3, v[2:3]
	v_mov_b32_e32 v9, 0
	v_dual_mov_b32 v12, 0 :: v_dual_add_nc_u32 v15, 0x800, v12
	v_lshl_or_b32 v14, v14, 8, v13
	s_waitcnt lgkmcnt(0)
	v_add_co_u32 v0, vcc_lo, v0, s6
	v_add_co_ci_u32_e32 v1, vcc_lo, s7, v1, vcc_lo
	v_add_co_u32 v2, vcc_lo, v2, s16
	v_add_co_ci_u32_e32 v3, vcc_lo, s17, v3, vcc_lo
	s_delay_alu instid0(VALU_DEP_4) | instskip(NEXT) | instid1(VALU_DEP_4)
	v_add_co_u32 v0, vcc_lo, v0, 4
	v_add_co_ci_u32_e32 v1, vcc_lo, 0, v1, vcc_lo
	s_delay_alu instid0(VALU_DEP_4) | instskip(NEXT) | instid1(VALU_DEP_4)
	v_add_co_u32 v2, vcc_lo, v2, 4
	v_add_co_ci_u32_e32 v3, vcc_lo, 0, v3, vcc_lo
	v_mov_b32_e32 v13, 0
	s_lshl_b64 s[6:7], s[12:13], 6
	s_lshl_b64 s[12:13], s[18:19], 6
.LBB798_2:                              ; =>This Inner Loop Header: Depth=1
	global_load_b64 v[18:19], v[2:3], off offset:-4
	global_load_b64 v[20:21], v[0:1], off offset:-4
	v_add_co_u32 v0, vcc_lo, v0, s6
	v_add_co_ci_u32_e32 v1, vcc_lo, s7, v1, vcc_lo
	v_add_co_u32 v2, vcc_lo, v2, s12
	v_add_co_ci_u32_e32 v3, vcc_lo, s13, v3, vcc_lo
	s_add_i32 s11, s11, 8
	s_delay_alu instid0(SALU_CYCLE_1)
	s_cmp_ge_i32 s11, s9
	s_waitcnt vmcnt(1)
	v_xor_b32_e32 v19, 0x80000000, v19
	s_waitcnt vmcnt(0)
	ds_store_b64 v14, v[20:21]
	ds_store_b64 v15, v[18:19]
	s_waitcnt lgkmcnt(0)
	s_barrier
	buffer_gl0_inv
	ds_load_2addr_b64 v[18:21], v10 offset1:16
	ds_load_b128 v[22:25], v11
	ds_load_b128 v[26:29], v11 offset:1024
	ds_load_b128 v[30:33], v11 offset:16
	ds_load_2addr_b64 v[34:37], v10 offset0:32 offset1:48
	ds_load_b128 v[38:41], v11 offset:32
	ds_load_b128 v[42:45], v11 offset:48
	ds_load_2addr_b64 v[46:49], v10 offset0:64 offset1:80
	ds_load_b128 v[50:53], v11 offset:1040
	ds_load_2addr_b64 v[54:57], v10 offset0:96 offset1:112
	ds_load_2addr_b64 v[58:61], v10 offset0:128 offset1:144
	;; [unrolled: 1-line block ×4, first 2 shown]
	ds_load_b128 v[70:73], v11 offset:1056
	ds_load_b128 v[74:77], v11 offset:1072
	ds_load_2addr_b64 v[78:81], v10 offset0:224 offset1:240
	s_waitcnt lgkmcnt(0)
	s_barrier
	buffer_gl0_inv
	v_dual_mul_f32 v82, v23, v19 :: v_dual_mul_f32 v85, v22, v21
	v_dual_mul_f32 v83, v22, v19 :: v_dual_mul_f32 v84, v23, v21
	v_mul_f32_e32 v86, v27, v19
	v_dual_mul_f32 v19, v26, v19 :: v_dual_mul_f32 v90, v25, v37
	v_dual_mul_f32 v87, v27, v21 :: v_dual_mul_f32 v88, v25, v35
	v_mul_f32_e32 v21, v26, v21
	v_mul_f32_e32 v89, v24, v35
	v_mul_f32_e32 v91, v24, v37
	v_fma_f32 v82, v22, v18, -v82
	v_fmac_f32_e32 v83, v23, v18
	v_fma_f32 v22, v22, v20, -v84
	v_dual_fmac_f32 v85, v23, v20 :: v_dual_mul_f32 v84, v30, v47
	v_fma_f32 v23, v26, v18, -v86
	v_fmac_f32_e32 v19, v27, v18
	v_fma_f32 v18, v26, v20, -v87
	v_dual_mul_f32 v26, v28, v35 :: v_dual_fmac_f32 v21, v27, v20
	v_mul_f32_e32 v20, v29, v35
	v_mul_f32_e32 v27, v29, v37
	v_dual_mul_f32 v35, v28, v37 :: v_dual_fmac_f32 v84, v31, v46
	v_fma_f32 v37, v24, v34, -v88
	v_fma_f32 v24, v24, v36, -v90
	v_dual_fmac_f32 v91, v25, v36 :: v_dual_mul_f32 v90, v32, v57
	v_dual_mul_f32 v86, v31, v49 :: v_dual_fmac_f32 v89, v25, v34
	v_dual_mul_f32 v25, v31, v47 :: v_dual_mul_f32 v88, v33, v57
	v_fma_f32 v20, v28, v34, -v20
	v_fmac_f32_e32 v26, v29, v34
	v_fma_f32 v27, v28, v36, -v27
	v_dual_fmac_f32 v35, v29, v36 :: v_dual_mul_f32 v28, v51, v47
	v_dual_mul_f32 v29, v50, v47 :: v_dual_mul_f32 v34, v51, v49
	v_mul_f32_e32 v36, v50, v49
	v_mul_f32_e32 v87, v30, v49
	;; [unrolled: 1-line block ×3, first 2 shown]
	v_dual_mul_f32 v49, v32, v55 :: v_dual_fmac_f32 v90, v33, v56
	v_fma_f32 v25, v30, v46, -v25
	v_fma_f32 v30, v30, v48, -v86
	;; [unrolled: 1-line block ×3, first 2 shown]
	v_fmac_f32_e32 v36, v51, v48
	v_fmac_f32_e32 v87, v31, v48
	v_fma_f32 v31, v50, v48, -v34
	v_mul_f32_e32 v34, v53, v55
	v_mul_f32_e32 v48, v53, v57
	v_dual_mul_f32 v50, v52, v57 :: v_dual_fmac_f32 v29, v51, v46
	v_mul_f32_e32 v46, v52, v55
	v_fma_f32 v47, v32, v54, -v47
	v_fmac_f32_e32 v49, v33, v54
	v_fma_f32 v32, v32, v56, -v88
	s_delay_alu instid0(VALU_DEP_4)
	v_dual_mul_f32 v33, v39, v59 :: v_dual_fmac_f32 v46, v53, v54
	v_mul_f32_e32 v51, v38, v59
	v_mul_f32_e32 v55, v39, v61
	v_fma_f32 v34, v52, v54, -v34
	v_fma_f32 v48, v52, v56, -v48
	v_fmac_f32_e32 v50, v53, v56
	v_mul_f32_e32 v52, v71, v59
	v_dual_mul_f32 v53, v70, v59 :: v_dual_mul_f32 v86, v41, v65
	v_mul_f32_e32 v54, v71, v61
	v_dual_mul_f32 v56, v70, v61 :: v_dual_mul_f32 v59, v41, v63
	v_mul_f32_e32 v57, v38, v61
	v_mul_f32_e32 v61, v40, v63
	v_dual_mul_f32 v88, v40, v65 :: v_dual_fmac_f32 v51, v39, v58
	v_fma_f32 v33, v38, v58, -v33
	v_fmac_f32_e32 v53, v71, v58
	v_fmac_f32_e32 v56, v71, v60
	s_delay_alu instid0(VALU_DEP_4)
	v_fmac_f32_e32 v88, v41, v64
	v_fmac_f32_e32 v57, v39, v60
	v_fma_f32 v39, v70, v58, -v52
	v_fma_f32 v52, v70, v60, -v54
	v_mul_f32_e32 v54, v73, v63
	v_fma_f32 v38, v38, v60, -v55
	v_mul_f32_e32 v60, v72, v65
	v_dual_mul_f32 v55, v72, v63 :: v_dual_mul_f32 v70, v42, v69
	v_mul_f32_e32 v58, v73, v65
	v_fma_f32 v59, v40, v62, -v59
	v_fmac_f32_e32 v61, v41, v62
	v_fma_f32 v40, v40, v64, -v86
	v_dual_mul_f32 v41, v43, v67 :: v_dual_fmac_f32 v60, v73, v64
	v_dual_mul_f32 v63, v42, v67 :: v_dual_mul_f32 v86, v44, v81
	v_mul_f32_e32 v65, v43, v69
	v_fma_f32 v54, v72, v62, -v54
	v_fmac_f32_e32 v55, v73, v62
	v_fma_f32 v58, v72, v64, -v58
	v_mul_f32_e32 v72, v44, v79
	v_mul_f32_e32 v62, v75, v67
	v_dual_mul_f32 v64, v74, v67 :: v_dual_mul_f32 v67, v75, v69
	v_dual_mul_f32 v69, v74, v69 :: v_dual_fmac_f32 v70, v43, v68
	s_delay_alu instid0(VALU_DEP_2)
	v_dual_mul_f32 v71, v45, v79 :: v_dual_fmac_f32 v64, v75, v66
	v_dual_mul_f32 v73, v45, v81 :: v_dual_add_f32 v16, v16, v82
	v_fma_f32 v41, v42, v66, -v41
	v_fmac_f32_e32 v63, v43, v66
	v_fma_f32 v42, v42, v68, -v65
	v_fma_f32 v43, v74, v66, -v62
	v_dual_mul_f32 v65, v77, v79 :: v_dual_add_f32 v12, v12, v22
	v_mul_f32_e32 v66, v76, v79
	v_fma_f32 v62, v74, v68, -v67
	v_dual_mul_f32 v67, v77, v81 :: v_dual_add_f32 v8, v8, v19
	v_dual_add_f32 v17, v17, v83 :: v_dual_add_f32 v6, v6, v18
	v_dual_add_f32 v13, v13, v85 :: v_dual_add_f32 v12, v12, v24
	v_dual_add_f32 v9, v9, v23 :: v_dual_add_f32 v16, v16, v37
	s_delay_alu instid0(VALU_DEP_4) | instskip(NEXT) | instid1(VALU_DEP_4)
	v_dual_add_f32 v5, v5, v21 :: v_dual_add_f32 v8, v8, v26
	v_dual_add_f32 v17, v17, v89 :: v_dual_add_f32 v6, v6, v27
	s_delay_alu instid0(VALU_DEP_3) | instskip(NEXT) | instid1(VALU_DEP_4)
	v_dual_add_f32 v13, v13, v91 :: v_dual_add_f32 v16, v16, v25
	v_dual_add_f32 v9, v9, v20 :: v_dual_add_f32 v12, v12, v30
	s_delay_alu instid0(VALU_DEP_4) | instskip(NEXT) | instid1(VALU_DEP_4)
	v_dual_add_f32 v5, v5, v35 :: v_dual_add_f32 v8, v8, v29
	v_dual_add_f32 v17, v17, v84 :: v_dual_add_f32 v6, v6, v31
	s_delay_alu instid0(VALU_DEP_3) | instskip(NEXT) | instid1(VALU_DEP_4)
	v_dual_add_f32 v13, v13, v87 :: v_dual_add_f32 v12, v12, v32
	v_dual_add_f32 v9, v9, v28 :: v_dual_add_f32 v16, v16, v47
	s_delay_alu instid0(VALU_DEP_4) | instskip(NEXT) | instid1(VALU_DEP_4)
	v_dual_add_f32 v5, v5, v36 :: v_dual_add_f32 v8, v8, v46
	v_dual_add_f32 v17, v17, v49 :: v_dual_add_f32 v6, v6, v48
	s_delay_alu instid0(VALU_DEP_3) | instskip(NEXT) | instid1(VALU_DEP_3)
	v_dual_add_f32 v13, v13, v90 :: v_dual_add_f32 v16, v16, v33
	v_dual_add_f32 v9, v9, v34 :: v_dual_add_f32 v8, v8, v53
	s_delay_alu instid0(VALU_DEP_3) | instskip(NEXT) | instid1(VALU_DEP_4)
	v_dual_add_f32 v5, v5, v50 :: v_dual_add_f32 v6, v6, v52
	v_dual_add_f32 v17, v17, v51 :: v_dual_add_f32 v12, v12, v38
	s_delay_alu instid0(VALU_DEP_4) | instskip(NEXT) | instid1(VALU_DEP_4)
	v_dual_add_f32 v13, v13, v57 :: v_dual_add_f32 v16, v16, v59
	v_add_f32_e32 v9, v9, v39
	s_delay_alu instid0(VALU_DEP_4)
	v_dual_add_f32 v5, v5, v56 :: v_dual_add_f32 v8, v8, v55
	v_dual_fmac_f32 v69, v75, v68 :: v_dual_fmac_f32 v72, v45, v78
	v_mul_f32_e32 v68, v76, v81
	v_dual_add_f32 v17, v17, v61 :: v_dual_add_f32 v6, v6, v58
	v_add_f32_e32 v12, v12, v40
	v_dual_add_f32 v13, v13, v88 :: v_dual_add_f32 v16, v16, v41
	v_dual_add_f32 v9, v9, v54 :: v_dual_add_f32 v8, v8, v64
	s_delay_alu instid0(VALU_DEP_3)
	v_dual_add_f32 v5, v5, v60 :: v_dual_add_f32 v12, v12, v42
	v_fma_f32 v71, v44, v78, -v71
	v_fma_f32 v44, v44, v80, -v73
	v_fmac_f32_e32 v86, v45, v80
	v_fma_f32 v45, v76, v78, -v65
	v_fmac_f32_e32 v66, v77, v78
	;; [unrolled: 2-line block ×3, first 2 shown]
	v_dual_add_f32 v17, v17, v63 :: v_dual_add_f32 v6, v6, v62
	v_dual_add_f32 v13, v13, v70 :: v_dual_add_f32 v16, v16, v71
	;; [unrolled: 1-line block ×4, first 2 shown]
	s_delay_alu instid0(VALU_DEP_4) | instskip(NEXT) | instid1(VALU_DEP_4)
	v_dual_add_f32 v17, v17, v72 :: v_dual_add_f32 v6, v6, v65
	v_add_f32_e32 v13, v13, v86
	s_delay_alu instid0(VALU_DEP_4) | instskip(NEXT) | instid1(VALU_DEP_4)
	v_add_f32_e32 v9, v9, v45
	v_add_f32_e32 v5, v5, v68
	s_cbranch_scc0 .LBB798_2
.LBB798_3:
	s_waitcnt lgkmcnt(0)
	s_load_b32 s6, s[0:1], 0x50
	v_add_nc_u32_e32 v7, s14, v7
	v_add_nc_u32_e32 v0, s10, v4
	s_delay_alu instid0(VALU_DEP_1) | instskip(SKIP_1) | instid1(VALU_DEP_2)
	v_cmp_le_i32_e64 s0, v7, v0
	v_cmp_gt_i32_e32 vcc_lo, s8, v0
	s_and_b32 s0, s0, vcc_lo
	s_waitcnt lgkmcnt(0)
	v_mad_i64_i32 v[1:2], null, v7, s6, 0
	s_delay_alu instid0(VALU_DEP_1) | instskip(NEXT) | instid1(VALU_DEP_1)
	v_lshlrev_b64 v[1:2], 3, v[1:2]
	v_add_co_u32 v4, s1, s2, v1
	s_delay_alu instid0(VALU_DEP_1)
	v_add_co_ci_u32_e64 v10, s1, s3, v2, s1
	s_and_saveexec_b32 s1, s0
	s_cbranch_execz .LBB798_6
; %bb.4:
	v_ashrrev_i32_e32 v1, 31, v0
	v_mul_f32_e32 v3, s5, v17
	v_mul_f32_e32 v15, s4, v17
	s_delay_alu instid0(VALU_DEP_3) | instskip(NEXT) | instid1(VALU_DEP_3)
	v_lshlrev_b64 v[1:2], 3, v[0:1]
	v_fma_f32 v14, v16, s4, -v3
	s_delay_alu instid0(VALU_DEP_3) | instskip(NEXT) | instid1(VALU_DEP_3)
	v_fmac_f32_e32 v15, s5, v16
	v_add_co_u32 v1, s0, v4, v1
	s_delay_alu instid0(VALU_DEP_1)
	v_add_co_ci_u32_e64 v2, s0, v10, v2, s0
	v_cmp_eq_u32_e64 s0, v7, v0
	global_store_b64 v[1:2], v[14:15], off
	s_and_b32 exec_lo, exec_lo, s0
	s_cbranch_execz .LBB798_6
; %bb.5:
	v_mov_b32_e32 v3, 0
	global_store_b32 v[1:2], v3, off offset:4
.LBB798_6:
	s_or_b32 exec_lo, exec_lo, s1
	v_add_nc_u32_e32 v2, 16, v0
	s_delay_alu instid0(VALU_DEP_1) | instskip(SKIP_1) | instid1(VALU_DEP_1)
	v_cmp_le_i32_e64 s1, v7, v2
	v_cmp_gt_i32_e64 s0, s8, v2
	s_and_b32 s1, s1, s0
	s_delay_alu instid0(SALU_CYCLE_1)
	s_and_saveexec_b32 s7, s1
	s_cbranch_execz .LBB798_9
; %bb.7:
	v_ashrrev_i32_e32 v3, 31, v2
	v_mul_f32_e32 v14, s4, v13
	v_mul_f32_e32 v1, s5, v13
	s_delay_alu instid0(VALU_DEP_3) | instskip(NEXT) | instid1(VALU_DEP_3)
	v_lshlrev_b64 v[15:16], 3, v[2:3]
	v_fmac_f32_e32 v14, s5, v12
	s_delay_alu instid0(VALU_DEP_3) | instskip(NEXT) | instid1(VALU_DEP_3)
	v_fma_f32 v13, v12, s4, -v1
	v_add_co_u32 v3, s1, v4, v15
	s_delay_alu instid0(VALU_DEP_1)
	v_add_co_ci_u32_e64 v4, s1, v10, v16, s1
	v_cmp_eq_u32_e64 s1, v7, v2
	global_store_b64 v[3:4], v[13:14], off
	s_and_b32 exec_lo, exec_lo, s1
	s_cbranch_execz .LBB798_9
; %bb.8:
	v_mov_b32_e32 v1, 0
	global_store_b32 v[3:4], v1, off offset:4
.LBB798_9:
	s_or_b32 exec_lo, exec_lo, s7
	v_add_nc_u32_e32 v12, 16, v7
	s_delay_alu instid0(VALU_DEP_1) | instskip(SKIP_1) | instid1(VALU_DEP_2)
	v_mad_i64_i32 v[3:4], null, v12, s6, 0
	v_cmp_le_i32_e64 s1, v12, v0
	v_lshlrev_b64 v[3:4], 3, v[3:4]
	s_delay_alu instid0(VALU_DEP_1) | instskip(NEXT) | instid1(VALU_DEP_1)
	v_add_co_u32 v10, s2, s2, v3
	v_add_co_ci_u32_e64 v11, s2, s3, v4, s2
	s_delay_alu instid0(VALU_DEP_4) | instskip(NEXT) | instid1(SALU_CYCLE_1)
	s_and_b32 s2, s1, vcc_lo
	s_and_saveexec_b32 s1, s2
	s_cbranch_execz .LBB798_12
; %bb.10:
	v_ashrrev_i32_e32 v1, 31, v0
	v_mul_f32_e32 v14, s4, v8
	v_mul_f32_e32 v13, s5, v8
	s_delay_alu instid0(VALU_DEP_3) | instskip(NEXT) | instid1(VALU_DEP_3)
	v_lshlrev_b64 v[3:4], 3, v[0:1]
	v_fmac_f32_e32 v14, s5, v9
	s_delay_alu instid0(VALU_DEP_3) | instskip(NEXT) | instid1(VALU_DEP_3)
	v_fma_f32 v13, v9, s4, -v13
	v_add_co_u32 v3, vcc_lo, v10, v3
	s_delay_alu instid0(VALU_DEP_4)
	v_add_co_ci_u32_e32 v4, vcc_lo, v11, v4, vcc_lo
	v_cmp_eq_u32_e32 vcc_lo, v12, v0
	global_store_b64 v[3:4], v[13:14], off
	s_and_b32 exec_lo, exec_lo, vcc_lo
	s_cbranch_execz .LBB798_12
; %bb.11:
	v_mov_b32_e32 v1, 0
	global_store_b32 v[3:4], v1, off offset:4
.LBB798_12:
	s_or_b32 exec_lo, exec_lo, s1
	v_cmp_le_i32_e32 vcc_lo, v12, v2
	s_and_b32 s0, vcc_lo, s0
	s_delay_alu instid0(SALU_CYCLE_1)
	s_and_saveexec_b32 s1, s0
	s_cbranch_execz .LBB798_15
; %bb.13:
	v_ashrrev_i32_e32 v3, 31, v2
	v_mul_f32_e32 v8, s5, v5
	v_mul_f32_e32 v4, s4, v5
	s_delay_alu instid0(VALU_DEP_3) | instskip(NEXT) | instid1(VALU_DEP_3)
	v_lshlrev_b64 v[1:2], 3, v[2:3]
	v_fma_f32 v3, v6, s4, -v8
	s_delay_alu instid0(VALU_DEP_3) | instskip(NEXT) | instid1(VALU_DEP_3)
	v_fmac_f32_e32 v4, s5, v6
	v_add_co_u32 v1, vcc_lo, v10, v1
	s_delay_alu instid0(VALU_DEP_4)
	v_add_co_ci_u32_e32 v2, vcc_lo, v11, v2, vcc_lo
	v_cmp_eq_u32_e32 vcc_lo, v7, v0
	global_store_b64 v[1:2], v[3:4], off
	s_and_b32 exec_lo, exec_lo, vcc_lo
	s_cbranch_execz .LBB798_15
; %bb.14:
	v_mov_b32_e32 v0, 0
	global_store_b32 v[1:2], v0, off offset:4
.LBB798_15:
	s_nop 0
	s_sendmsg sendmsg(MSG_DEALLOC_VGPRS)
	s_endpgm
	.section	.rodata,"a",@progbits
	.p2align	6, 0x0
	.amdhsa_kernel _ZL37rocblas_syrkx_herkx_restricted_kernelIi19rocblas_complex_numIfELi16ELi32ELi8ELb1ELb1ELc78ELc76EKPKS1_KPS1_EviT_T0_PT8_S7_lSA_S7_lS8_PT9_S7_li
		.amdhsa_group_segment_fixed_size 4096
		.amdhsa_private_segment_fixed_size 0
		.amdhsa_kernarg_size 100
		.amdhsa_user_sgpr_count 13
		.amdhsa_user_sgpr_dispatch_ptr 0
		.amdhsa_user_sgpr_queue_ptr 0
		.amdhsa_user_sgpr_kernarg_segment_ptr 1
		.amdhsa_user_sgpr_dispatch_id 0
		.amdhsa_user_sgpr_private_segment_size 0
		.amdhsa_wavefront_size32 1
		.amdhsa_uses_dynamic_stack 0
		.amdhsa_enable_private_segment 0
		.amdhsa_system_sgpr_workgroup_id_x 1
		.amdhsa_system_sgpr_workgroup_id_y 1
		.amdhsa_system_sgpr_workgroup_id_z 1
		.amdhsa_system_sgpr_workgroup_info 0
		.amdhsa_system_vgpr_workitem_id 1
		.amdhsa_next_free_vgpr 92
		.amdhsa_next_free_sgpr 22
		.amdhsa_reserve_vcc 1
		.amdhsa_float_round_mode_32 0
		.amdhsa_float_round_mode_16_64 0
		.amdhsa_float_denorm_mode_32 3
		.amdhsa_float_denorm_mode_16_64 3
		.amdhsa_dx10_clamp 1
		.amdhsa_ieee_mode 1
		.amdhsa_fp16_overflow 0
		.amdhsa_workgroup_processor_mode 1
		.amdhsa_memory_ordered 1
		.amdhsa_forward_progress 0
		.amdhsa_shared_vgpr_count 0
		.amdhsa_exception_fp_ieee_invalid_op 0
		.amdhsa_exception_fp_denorm_src 0
		.amdhsa_exception_fp_ieee_div_zero 0
		.amdhsa_exception_fp_ieee_overflow 0
		.amdhsa_exception_fp_ieee_underflow 0
		.amdhsa_exception_fp_ieee_inexact 0
		.amdhsa_exception_int_div_zero 0
	.end_amdhsa_kernel
	.section	.text._ZL37rocblas_syrkx_herkx_restricted_kernelIi19rocblas_complex_numIfELi16ELi32ELi8ELb1ELb1ELc78ELc76EKPKS1_KPS1_EviT_T0_PT8_S7_lSA_S7_lS8_PT9_S7_li,"axG",@progbits,_ZL37rocblas_syrkx_herkx_restricted_kernelIi19rocblas_complex_numIfELi16ELi32ELi8ELb1ELb1ELc78ELc76EKPKS1_KPS1_EviT_T0_PT8_S7_lSA_S7_lS8_PT9_S7_li,comdat
.Lfunc_end798:
	.size	_ZL37rocblas_syrkx_herkx_restricted_kernelIi19rocblas_complex_numIfELi16ELi32ELi8ELb1ELb1ELc78ELc76EKPKS1_KPS1_EviT_T0_PT8_S7_lSA_S7_lS8_PT9_S7_li, .Lfunc_end798-_ZL37rocblas_syrkx_herkx_restricted_kernelIi19rocblas_complex_numIfELi16ELi32ELi8ELb1ELb1ELc78ELc76EKPKS1_KPS1_EviT_T0_PT8_S7_lSA_S7_lS8_PT9_S7_li
                                        ; -- End function
	.section	.AMDGPU.csdata,"",@progbits
; Kernel info:
; codeLenInByte = 2248
; NumSgprs: 24
; NumVgprs: 92
; ScratchSize: 0
; MemoryBound: 0
; FloatMode: 240
; IeeeMode: 1
; LDSByteSize: 4096 bytes/workgroup (compile time only)
; SGPRBlocks: 2
; VGPRBlocks: 11
; NumSGPRsForWavesPerEU: 24
; NumVGPRsForWavesPerEU: 92
; Occupancy: 16
; WaveLimiterHint : 1
; COMPUTE_PGM_RSRC2:SCRATCH_EN: 0
; COMPUTE_PGM_RSRC2:USER_SGPR: 13
; COMPUTE_PGM_RSRC2:TRAP_HANDLER: 0
; COMPUTE_PGM_RSRC2:TGID_X_EN: 1
; COMPUTE_PGM_RSRC2:TGID_Y_EN: 1
; COMPUTE_PGM_RSRC2:TGID_Z_EN: 1
; COMPUTE_PGM_RSRC2:TIDIG_COMP_CNT: 1
	.section	.text._ZL37rocblas_syrkx_herkx_restricted_kernelIi19rocblas_complex_numIfELi16ELi32ELi8ELb1ELb1ELc84ELc85EKPKS1_KPS1_EviT_T0_PT8_S7_lSA_S7_lS8_PT9_S7_li,"axG",@progbits,_ZL37rocblas_syrkx_herkx_restricted_kernelIi19rocblas_complex_numIfELi16ELi32ELi8ELb1ELb1ELc84ELc85EKPKS1_KPS1_EviT_T0_PT8_S7_lSA_S7_lS8_PT9_S7_li,comdat
	.globl	_ZL37rocblas_syrkx_herkx_restricted_kernelIi19rocblas_complex_numIfELi16ELi32ELi8ELb1ELb1ELc84ELc85EKPKS1_KPS1_EviT_T0_PT8_S7_lSA_S7_lS8_PT9_S7_li ; -- Begin function _ZL37rocblas_syrkx_herkx_restricted_kernelIi19rocblas_complex_numIfELi16ELi32ELi8ELb1ELb1ELc84ELc85EKPKS1_KPS1_EviT_T0_PT8_S7_lSA_S7_lS8_PT9_S7_li
	.p2align	8
	.type	_ZL37rocblas_syrkx_herkx_restricted_kernelIi19rocblas_complex_numIfELi16ELi32ELi8ELb1ELb1ELc84ELc85EKPKS1_KPS1_EviT_T0_PT8_S7_lSA_S7_lS8_PT9_S7_li,@function
_ZL37rocblas_syrkx_herkx_restricted_kernelIi19rocblas_complex_numIfELi16ELi32ELi8ELb1ELb1ELc84ELc85EKPKS1_KPS1_EviT_T0_PT8_S7_lSA_S7_lS8_PT9_S7_li: ; @_ZL37rocblas_syrkx_herkx_restricted_kernelIi19rocblas_complex_numIfELi16ELi32ELi8ELb1ELb1ELc84ELc85EKPKS1_KPS1_EviT_T0_PT8_S7_lSA_S7_lS8_PT9_S7_li
; %bb.0:
	s_clause 0x1
	s_load_b64 s[4:5], s[0:1], 0x48
	s_load_b64 s[2:3], s[0:1], 0x0
	s_mov_b32 s10, s15
	s_mov_b32 s11, 0
	v_dual_mov_b32 v17, 0 :: v_dual_and_b32 v6, 0x3ff, v0
	s_lshl_b64 s[16:17], s[10:11], 3
	v_bfe_u32 v7, v0, 10, 10
	v_dual_mov_b32 v16, 0 :: v_dual_mov_b32 v11, 0
	v_dual_mov_b32 v12, 0 :: v_dual_mov_b32 v9, 0
	;; [unrolled: 1-line block ×3, first 2 shown]
	v_mov_b32_e32 v0, 0
	s_waitcnt lgkmcnt(0)
	s_add_u32 s8, s4, s16
	s_addc_u32 s9, s5, s17
	s_load_b128 s[4:7], s[0:1], 0x8
	s_load_b64 s[8:9], s[8:9], 0x0
	s_lshl_b32 s10, s13, 5
	s_lshl_b32 s12, s14, 5
	s_cmp_lt_i32 s3, 1
	s_cbranch_scc1 .LBB799_3
; %bb.1:
	s_clause 0x2
	s_load_b64 s[14:15], s[0:1], 0x28
	s_load_b32 s13, s[0:1], 0x18
	s_load_b32 s18, s[0:1], 0x30
	v_lshl_add_u32 v2, v7, 4, v6
	v_dual_mov_b32 v1, 0 :: v_dual_and_b32 v0, 7, v6
	s_waitcnt lgkmcnt(0)
	s_add_u32 s6, s6, s16
	s_addc_u32 s7, s7, s17
	v_and_b32_e32 v8, 31, v2
	v_lshrrev_b32_e32 v9, 3, v2
	v_dual_mov_b32 v3, v1 :: v_dual_lshlrev_b32 v10, 3, v6
	s_load_b64 s[6:7], s[6:7], 0x0
	v_lshrrev_b32_e32 v2, 5, v2
	v_add_nc_u32_e32 v11, s10, v8
	v_add_nc_u32_e32 v14, s12, v9
	v_lshl_add_u32 v13, v7, 6, 0x800
	v_mov_b32_e32 v16, v1
	v_mov_b32_e32 v17, v1
	s_add_u32 s14, s14, s16
	s_addc_u32 s15, s15, s17
	v_mad_i64_i32 v[4:5], null, s13, v11, v[2:3]
	s_load_b64 s[14:15], s[14:15], 0x0
	v_lshlrev_b32_e32 v3, 3, v0
	v_mad_i64_i32 v[11:12], null, s18, v14, v[0:1]
	v_mov_b32_e32 v0, v1
	s_delay_alu instid0(VALU_DEP_3) | instskip(SKIP_1) | instid1(VALU_DEP_4)
	v_lshl_or_b32 v9, v9, 6, v3
	v_lshlrev_b64 v[3:4], 3, v[4:5]
	v_lshlrev_b64 v[11:12], 3, v[11:12]
	s_delay_alu instid0(VALU_DEP_3) | instskip(SKIP_2) | instid1(VALU_DEP_2)
	v_add_nc_u32_e32 v15, 0x800, v9
	v_dual_mov_b32 v9, v1 :: v_dual_lshlrev_b32 v14, 3, v8
	v_mov_b32_e32 v8, v1
	v_lshl_or_b32 v14, v2, 8, v14
	s_waitcnt lgkmcnt(0)
	v_add_co_u32 v2, vcc_lo, v3, s6
	v_add_co_ci_u32_e32 v3, vcc_lo, s7, v4, vcc_lo
	v_add_co_u32 v4, vcc_lo, v11, s14
	v_add_co_ci_u32_e32 v5, vcc_lo, s15, v12, vcc_lo
	s_delay_alu instid0(VALU_DEP_4) | instskip(NEXT) | instid1(VALU_DEP_4)
	v_add_co_u32 v2, vcc_lo, v2, 4
	v_add_co_ci_u32_e32 v3, vcc_lo, 0, v3, vcc_lo
	s_delay_alu instid0(VALU_DEP_4) | instskip(NEXT) | instid1(VALU_DEP_4)
	v_add_co_u32 v4, vcc_lo, v4, 4
	v_add_co_ci_u32_e32 v5, vcc_lo, 0, v5, vcc_lo
	v_mov_b32_e32 v12, v1
	v_mov_b32_e32 v11, v1
.LBB799_2:                              ; =>This Inner Loop Header: Depth=1
	global_load_b64 v[18:19], v[2:3], off offset:-4
	global_load_b64 v[20:21], v[4:5], off offset:-4
	v_add_co_u32 v2, vcc_lo, v2, 64
	v_add_co_ci_u32_e32 v3, vcc_lo, 0, v3, vcc_lo
	v_add_co_u32 v4, vcc_lo, v4, 64
	v_add_co_ci_u32_e32 v5, vcc_lo, 0, v5, vcc_lo
	s_add_i32 s11, s11, 8
	s_waitcnt vmcnt(1)
	ds_store_b64 v14, v[18:19]
	s_waitcnt vmcnt(0)
	ds_store_b64 v15, v[20:21]
	s_waitcnt lgkmcnt(0)
	s_barrier
	buffer_gl0_inv
	ds_load_2addr_b64 v[18:21], v10 offset1:16
	ds_load_b128 v[22:25], v13
	ds_load_b128 v[26:29], v13 offset:1024
	ds_load_b128 v[30:33], v13 offset:16
	ds_load_2addr_b64 v[34:37], v10 offset0:32 offset1:48
	ds_load_b128 v[38:41], v13 offset:32
	ds_load_b128 v[42:45], v13 offset:48
	ds_load_2addr_b64 v[46:49], v10 offset0:64 offset1:80
	ds_load_b128 v[50:53], v13 offset:1040
	ds_load_2addr_b64 v[54:57], v10 offset0:96 offset1:112
	ds_load_2addr_b64 v[58:61], v10 offset0:128 offset1:144
	;; [unrolled: 1-line block ×4, first 2 shown]
	ds_load_b128 v[70:73], v13 offset:1056
	ds_load_b128 v[74:77], v13 offset:1072
	ds_load_2addr_b64 v[78:81], v10 offset0:224 offset1:240
	s_cmp_ge_i32 s11, s3
	s_waitcnt lgkmcnt(0)
	s_barrier
	buffer_gl0_inv
	v_dual_mul_f32 v82, v23, v19 :: v_dual_mul_f32 v85, v22, v21
	v_dual_mul_f32 v83, v22, v19 :: v_dual_mul_f32 v84, v23, v21
	v_mul_f32_e32 v86, v27, v19
	v_dual_mul_f32 v19, v26, v19 :: v_dual_mul_f32 v90, v25, v37
	v_dual_mul_f32 v87, v27, v21 :: v_dual_mul_f32 v88, v25, v35
	v_mul_f32_e32 v21, v26, v21
	v_fma_f32 v82, v22, v18, -v82
	v_fmac_f32_e32 v83, v23, v18
	v_fma_f32 v22, v22, v20, -v84
	v_fmac_f32_e32 v85, v23, v20
	v_fma_f32 v23, v26, v18, -v86
	v_dual_fmac_f32 v19, v27, v18 :: v_dual_mul_f32 v86, v30, v47
	v_fma_f32 v18, v26, v20, -v87
	v_dual_fmac_f32 v21, v27, v20 :: v_dual_mul_f32 v20, v24, v37
	v_mul_f32_e32 v89, v24, v35
	v_mul_f32_e32 v26, v29, v35
	;; [unrolled: 1-line block ×4, first 2 shown]
	v_fmac_f32_e32 v20, v25, v36
	v_fmac_f32_e32 v89, v25, v34
	v_dual_mul_f32 v25, v28, v37 :: v_dual_fmac_f32 v86, v31, v46
	v_fma_f32 v84, v24, v34, -v88
	v_fma_f32 v24, v24, v36, -v90
	v_dual_mul_f32 v37, v31, v47 :: v_dual_mul_f32 v90, v33, v57
	v_fma_f32 v26, v28, v34, -v26
	v_fma_f32 v28, v28, v36, -v35
	v_fmac_f32_e32 v25, v29, v36
	v_dual_mul_f32 v35, v50, v47 :: v_dual_mul_f32 v36, v51, v49
	v_dual_fmac_f32 v27, v29, v34 :: v_dual_mul_f32 v34, v51, v47
	v_dual_mul_f32 v88, v32, v55 :: v_dual_mul_f32 v29, v30, v49
	v_mul_f32_e32 v87, v31, v49
	v_fma_f32 v37, v30, v46, -v37
	v_add_f32_e32 v16, v16, v82
	s_delay_alu instid0(VALU_DEP_4)
	v_dual_fmac_f32 v88, v33, v54 :: v_dual_fmac_f32 v29, v31, v48
	v_fma_f32 v31, v50, v46, -v34
	v_fma_f32 v34, v50, v48, -v36
	v_mul_f32_e32 v36, v32, v57
	v_mul_f32_e32 v47, v50, v49
	v_dual_mul_f32 v50, v53, v57 :: v_dual_fmac_f32 v35, v51, v46
	v_mul_f32_e32 v46, v53, v55
	v_mul_f32_e32 v49, v33, v55
	v_fma_f32 v30, v30, v48, -v87
	v_fmac_f32_e32 v36, v33, v56
	v_dual_fmac_f32 v47, v51, v48 :: v_dual_mul_f32 v48, v52, v55
	v_mul_f32_e32 v33, v52, v57
	v_fma_f32 v46, v52, v54, -v46
	v_fma_f32 v50, v52, v56, -v50
	v_mul_f32_e32 v52, v38, v61
	v_fma_f32 v49, v32, v54, -v49
	v_fma_f32 v32, v32, v56, -v90
	v_dual_mul_f32 v51, v39, v59 :: v_dual_fmac_f32 v48, v53, v54
	v_mul_f32_e32 v54, v70, v59
	v_dual_mul_f32 v55, v38, v59 :: v_dual_fmac_f32 v52, v39, v60
	v_fmac_f32_e32 v33, v53, v56
	v_mul_f32_e32 v53, v71, v59
	v_mul_f32_e32 v56, v71, v61
	;; [unrolled: 1-line block ×3, first 2 shown]
	v_fmac_f32_e32 v54, v71, v58
	v_fmac_f32_e32 v55, v39, v58
	v_fma_f32 v39, v70, v58, -v53
	v_fma_f32 v53, v70, v60, -v56
	v_mul_f32_e32 v56, v40, v65
	v_mul_f32_e32 v59, v70, v61
	v_fma_f32 v51, v38, v58, -v51
	v_mul_f32_e32 v58, v72, v63
	v_mul_f32_e32 v87, v40, v63
	;; [unrolled: 1-line block ×4, first 2 shown]
	v_fma_f32 v38, v38, v60, -v57
	v_mul_f32_e32 v57, v73, v63
	v_fmac_f32_e32 v56, v41, v64
	v_dual_fmac_f32 v59, v71, v60 :: v_dual_mul_f32 v60, v73, v65
	v_mul_f32_e32 v63, v43, v67
	v_mul_f32_e32 v70, v43, v69
	v_fmac_f32_e32 v58, v73, v62
	v_fmac_f32_e32 v87, v41, v62
	v_mul_f32_e32 v41, v72, v65
	v_fma_f32 v61, v40, v62, -v61
	v_fma_f32 v40, v40, v64, -v90
	v_mul_f32_e32 v65, v42, v67
	v_fma_f32 v57, v72, v62, -v57
	v_fma_f32 v60, v72, v64, -v60
	v_dual_fmac_f32 v41, v73, v64 :: v_dual_mul_f32 v62, v42, v69
	v_mul_f32_e32 v64, v75, v67
	v_fma_f32 v63, v42, v66, -v63
	v_fma_f32 v42, v42, v68, -v70
	v_mul_f32_e32 v70, v76, v79
	v_mul_f32_e32 v67, v74, v67
	v_mul_f32_e32 v71, v75, v69
	v_dual_mul_f32 v69, v74, v69 :: v_dual_add_f32 v8, v8, v19
	v_mul_f32_e32 v73, v44, v79
	v_dual_fmac_f32 v65, v43, v66 :: v_dual_add_f32 v12, v12, v85
	v_fmac_f32_e32 v62, v43, v68
	v_fma_f32 v43, v74, v66, -v64
	v_fmac_f32_e32 v70, v77, v78
	v_dual_fmac_f32 v67, v75, v66 :: v_dual_add_f32 v16, v16, v84
	v_mul_f32_e32 v66, v44, v81
	v_mul_f32_e32 v72, v45, v79
	v_dual_mul_f32 v90, v45, v81 :: v_dual_fmac_f32 v69, v75, v68
	v_add_f32_e32 v0, v0, v18
	v_dual_fmac_f32 v73, v45, v78 :: v_dual_add_f32 v8, v8, v27
	v_dual_fmac_f32 v66, v45, v80 :: v_dual_mul_f32 v45, v76, v81
	v_fma_f32 v64, v74, v68, -v71
	v_dual_mul_f32 v71, v77, v81 :: v_dual_add_f32 v12, v12, v20
	v_dual_add_f32 v17, v17, v83 :: v_dual_add_f32 v0, v0, v28
	s_delay_alu instid0(VALU_DEP_4) | instskip(NEXT) | instid1(VALU_DEP_3)
	v_dual_fmac_f32 v45, v77, v80 :: v_dual_add_f32 v16, v16, v37
	v_dual_add_f32 v11, v11, v22 :: v_dual_add_f32 v12, v12, v29
	s_delay_alu instid0(VALU_DEP_3) | instskip(SKIP_1) | instid1(VALU_DEP_3)
	v_dual_add_f32 v9, v9, v23 :: v_dual_add_f32 v0, v0, v34
	v_dual_add_f32 v1, v1, v21 :: v_dual_add_f32 v8, v8, v35
	;; [unrolled: 1-line block ×3, first 2 shown]
	s_delay_alu instid0(VALU_DEP_4) | instskip(NEXT) | instid1(VALU_DEP_3)
	v_dual_add_f32 v11, v11, v24 :: v_dual_add_f32 v16, v16, v49
	v_dual_add_f32 v9, v9, v26 :: v_dual_add_f32 v8, v8, v48
	s_delay_alu instid0(VALU_DEP_4) | instskip(NEXT) | instid1(VALU_DEP_3)
	v_dual_add_f32 v1, v1, v25 :: v_dual_add_f32 v0, v0, v50
	v_dual_add_f32 v17, v17, v86 :: v_dual_add_f32 v16, v16, v51
	s_delay_alu instid0(VALU_DEP_4) | instskip(NEXT) | instid1(VALU_DEP_4)
	v_dual_add_f32 v11, v11, v30 :: v_dual_add_f32 v12, v12, v52
	v_dual_add_f32 v9, v9, v31 :: v_dual_add_f32 v8, v8, v54
	s_delay_alu instid0(VALU_DEP_4) | instskip(NEXT) | instid1(VALU_DEP_4)
	v_dual_add_f32 v1, v1, v47 :: v_dual_add_f32 v0, v0, v53
	v_dual_add_f32 v17, v17, v88 :: v_dual_add_f32 v16, v16, v61
	s_delay_alu instid0(VALU_DEP_3) | instskip(NEXT) | instid1(VALU_DEP_4)
	v_dual_add_f32 v11, v11, v32 :: v_dual_add_f32 v8, v8, v58
	v_dual_add_f32 v9, v9, v46 :: v_dual_add_f32 v12, v12, v56
	s_delay_alu instid0(VALU_DEP_4) | instskip(SKIP_1) | instid1(VALU_DEP_3)
	v_dual_add_f32 v1, v1, v33 :: v_dual_add_f32 v0, v0, v60
	v_fma_f32 v72, v44, v78, -v72
	v_dual_add_f32 v17, v17, v55 :: v_dual_add_f32 v12, v12, v62
	v_dual_add_f32 v11, v11, v38 :: v_dual_add_f32 v16, v16, v63
	s_delay_alu instid0(VALU_DEP_4) | instskip(SKIP_2) | instid1(VALU_DEP_4)
	v_dual_add_f32 v9, v9, v39 :: v_dual_add_f32 v0, v0, v64
	v_add_f32_e32 v1, v1, v59
	v_mul_f32_e32 v68, v77, v79
	v_add_f32_e32 v16, v16, v72
	v_fma_f32 v71, v76, v80, -v71
	v_dual_add_f32 v17, v17, v87 :: v_dual_add_f32 v12, v12, v66
	v_dual_add_f32 v11, v11, v40 :: v_dual_add_f32 v8, v8, v67
	v_add_f32_e32 v9, v9, v57
	s_delay_alu instid0(VALU_DEP_4)
	v_dual_add_f32 v1, v1, v41 :: v_dual_add_f32 v0, v0, v71
	v_fma_f32 v44, v44, v80, -v90
	v_fma_f32 v68, v76, v78, -v68
	v_add_f32_e32 v17, v17, v65
	v_add_f32_e32 v11, v11, v42
	v_dual_add_f32 v1, v1, v69 :: v_dual_add_f32 v8, v8, v70
	v_add_f32_e32 v9, v9, v43
	s_delay_alu instid0(VALU_DEP_4) | instskip(NEXT) | instid1(VALU_DEP_4)
	v_add_f32_e32 v17, v17, v73
	v_add_f32_e32 v11, v11, v44
	s_delay_alu instid0(VALU_DEP_4) | instskip(NEXT) | instid1(VALU_DEP_4)
	v_add_f32_e32 v1, v1, v45
	v_add_f32_e32 v9, v9, v68
	s_cbranch_scc0 .LBB799_2
.LBB799_3:
	s_load_b32 s3, s[0:1], 0x50
	v_add_nc_u32_e32 v7, s12, v7
	v_add_nc_u32_e32 v2, s10, v6
	s_delay_alu instid0(VALU_DEP_2) | instskip(NEXT) | instid1(VALU_DEP_2)
	v_cmp_gt_i32_e32 vcc_lo, s2, v7
	v_cmp_le_i32_e64 s0, v2, v7
	s_delay_alu instid0(VALU_DEP_1) | instskip(SKIP_2) | instid1(VALU_DEP_1)
	s_and_b32 s0, vcc_lo, s0
	s_waitcnt lgkmcnt(0)
	v_mad_i64_i32 v[3:4], null, v7, s3, 0
	v_lshlrev_b64 v[3:4], 3, v[3:4]
	s_delay_alu instid0(VALU_DEP_1) | instskip(NEXT) | instid1(VALU_DEP_1)
	v_add_co_u32 v6, s1, s8, v3
	v_add_co_ci_u32_e64 v10, s1, s9, v4, s1
	s_and_saveexec_b32 s1, s0
	s_cbranch_execz .LBB799_6
; %bb.4:
	v_ashrrev_i32_e32 v3, 31, v2
	v_mul_f32_e32 v14, s4, v17
	v_mul_f32_e32 v5, s5, v17
	s_delay_alu instid0(VALU_DEP_3) | instskip(NEXT) | instid1(VALU_DEP_3)
	v_lshlrev_b64 v[3:4], 3, v[2:3]
	v_fmac_f32_e32 v14, s5, v16
	s_delay_alu instid0(VALU_DEP_3) | instskip(NEXT) | instid1(VALU_DEP_3)
	v_fma_f32 v13, v16, s4, -v5
	v_add_co_u32 v3, s0, v6, v3
	s_delay_alu instid0(VALU_DEP_1)
	v_add_co_ci_u32_e64 v4, s0, v10, v4, s0
	v_cmp_eq_u32_e64 s0, v7, v2
	global_store_b64 v[3:4], v[13:14], off
	s_and_b32 exec_lo, exec_lo, s0
	s_cbranch_execz .LBB799_6
; %bb.5:
	v_mov_b32_e32 v5, 0
	global_store_b32 v[3:4], v5, off offset:4
.LBB799_6:
	s_or_b32 exec_lo, exec_lo, s1
	v_add_nc_u32_e32 v4, 16, v2
	s_delay_alu instid0(VALU_DEP_1) | instskip(NEXT) | instid1(VALU_DEP_1)
	v_cmp_le_i32_e64 s0, v4, v7
	s_and_b32 s1, vcc_lo, s0
	s_delay_alu instid0(SALU_CYCLE_1)
	s_and_saveexec_b32 s0, s1
	s_cbranch_execz .LBB799_9
; %bb.7:
	v_ashrrev_i32_e32 v5, 31, v4
	v_mul_f32_e32 v3, s5, v12
	v_mul_f32_e32 v13, s4, v12
	s_delay_alu instid0(VALU_DEP_3) | instskip(NEXT) | instid1(VALU_DEP_3)
	v_lshlrev_b64 v[14:15], 3, v[4:5]
	v_fma_f32 v12, v11, s4, -v3
	s_delay_alu instid0(VALU_DEP_3) | instskip(NEXT) | instid1(VALU_DEP_3)
	v_fmac_f32_e32 v13, s5, v11
	v_add_co_u32 v5, vcc_lo, v6, v14
	s_delay_alu instid0(VALU_DEP_4)
	v_add_co_ci_u32_e32 v6, vcc_lo, v10, v15, vcc_lo
	v_cmp_eq_u32_e32 vcc_lo, v7, v4
	global_store_b64 v[5:6], v[12:13], off
	s_and_b32 exec_lo, exec_lo, vcc_lo
	s_cbranch_execz .LBB799_9
; %bb.8:
	v_mov_b32_e32 v3, 0
	global_store_b32 v[5:6], v3, off offset:4
.LBB799_9:
	s_or_b32 exec_lo, exec_lo, s0
	v_add_nc_u32_e32 v12, 16, v7
	s_delay_alu instid0(VALU_DEP_1) | instskip(SKIP_2) | instid1(VALU_DEP_1)
	v_mad_i64_i32 v[5:6], null, v12, s3, 0
	v_cmp_gt_i32_e32 vcc_lo, s2, v12
	v_cmp_le_i32_e64 s0, v2, v12
	s_and_b32 s0, vcc_lo, s0
	s_delay_alu instid0(VALU_DEP_3) | instskip(NEXT) | instid1(VALU_DEP_1)
	v_lshlrev_b64 v[5:6], 3, v[5:6]
	v_add_co_u32 v10, s1, s8, v5
	s_delay_alu instid0(VALU_DEP_1)
	v_add_co_ci_u32_e64 v11, s1, s9, v6, s1
	s_and_saveexec_b32 s1, s0
	s_cbranch_execz .LBB799_12
; %bb.10:
	v_ashrrev_i32_e32 v3, 31, v2
	v_mul_f32_e32 v14, s4, v8
	v_mul_f32_e32 v13, s5, v8
	s_delay_alu instid0(VALU_DEP_3) | instskip(NEXT) | instid1(VALU_DEP_3)
	v_lshlrev_b64 v[5:6], 3, v[2:3]
	v_fmac_f32_e32 v14, s5, v9
	s_delay_alu instid0(VALU_DEP_3) | instskip(NEXT) | instid1(VALU_DEP_3)
	v_fma_f32 v13, v9, s4, -v13
	v_add_co_u32 v5, s0, v10, v5
	s_delay_alu instid0(VALU_DEP_1)
	v_add_co_ci_u32_e64 v6, s0, v11, v6, s0
	v_cmp_eq_u32_e64 s0, v12, v2
	global_store_b64 v[5:6], v[13:14], off
	s_and_b32 exec_lo, exec_lo, s0
	s_cbranch_execz .LBB799_12
; %bb.11:
	v_mov_b32_e32 v3, 0
	global_store_b32 v[5:6], v3, off offset:4
.LBB799_12:
	s_or_b32 exec_lo, exec_lo, s1
	v_cmp_le_i32_e64 s0, v4, v12
	s_delay_alu instid0(VALU_DEP_1) | instskip(NEXT) | instid1(SALU_CYCLE_1)
	s_and_b32 s0, vcc_lo, s0
	s_and_saveexec_b32 s1, s0
	s_cbranch_execz .LBB799_15
; %bb.13:
	v_ashrrev_i32_e32 v5, 31, v4
	v_mul_f32_e32 v8, s5, v1
	v_mul_f32_e32 v6, s4, v1
	s_delay_alu instid0(VALU_DEP_3) | instskip(NEXT) | instid1(VALU_DEP_3)
	v_lshlrev_b64 v[3:4], 3, v[4:5]
	v_fma_f32 v5, v0, s4, -v8
	s_delay_alu instid0(VALU_DEP_3) | instskip(NEXT) | instid1(VALU_DEP_3)
	v_fmac_f32_e32 v6, s5, v0
	v_add_co_u32 v0, vcc_lo, v10, v3
	s_delay_alu instid0(VALU_DEP_4)
	v_add_co_ci_u32_e32 v1, vcc_lo, v11, v4, vcc_lo
	v_cmp_eq_u32_e32 vcc_lo, v7, v2
	global_store_b64 v[0:1], v[5:6], off
	s_and_b32 exec_lo, exec_lo, vcc_lo
	s_cbranch_execz .LBB799_15
; %bb.14:
	v_mov_b32_e32 v2, 0
	global_store_b32 v[0:1], v2, off offset:4
.LBB799_15:
	s_nop 0
	s_sendmsg sendmsg(MSG_DEALLOC_VGPRS)
	s_endpgm
	.section	.rodata,"a",@progbits
	.p2align	6, 0x0
	.amdhsa_kernel _ZL37rocblas_syrkx_herkx_restricted_kernelIi19rocblas_complex_numIfELi16ELi32ELi8ELb1ELb1ELc84ELc85EKPKS1_KPS1_EviT_T0_PT8_S7_lSA_S7_lS8_PT9_S7_li
		.amdhsa_group_segment_fixed_size 4096
		.amdhsa_private_segment_fixed_size 0
		.amdhsa_kernarg_size 100
		.amdhsa_user_sgpr_count 13
		.amdhsa_user_sgpr_dispatch_ptr 0
		.amdhsa_user_sgpr_queue_ptr 0
		.amdhsa_user_sgpr_kernarg_segment_ptr 1
		.amdhsa_user_sgpr_dispatch_id 0
		.amdhsa_user_sgpr_private_segment_size 0
		.amdhsa_wavefront_size32 1
		.amdhsa_uses_dynamic_stack 0
		.amdhsa_enable_private_segment 0
		.amdhsa_system_sgpr_workgroup_id_x 1
		.amdhsa_system_sgpr_workgroup_id_y 1
		.amdhsa_system_sgpr_workgroup_id_z 1
		.amdhsa_system_sgpr_workgroup_info 0
		.amdhsa_system_vgpr_workitem_id 1
		.amdhsa_next_free_vgpr 91
		.amdhsa_next_free_sgpr 19
		.amdhsa_reserve_vcc 1
		.amdhsa_float_round_mode_32 0
		.amdhsa_float_round_mode_16_64 0
		.amdhsa_float_denorm_mode_32 3
		.amdhsa_float_denorm_mode_16_64 3
		.amdhsa_dx10_clamp 1
		.amdhsa_ieee_mode 1
		.amdhsa_fp16_overflow 0
		.amdhsa_workgroup_processor_mode 1
		.amdhsa_memory_ordered 1
		.amdhsa_forward_progress 0
		.amdhsa_shared_vgpr_count 0
		.amdhsa_exception_fp_ieee_invalid_op 0
		.amdhsa_exception_fp_denorm_src 0
		.amdhsa_exception_fp_ieee_div_zero 0
		.amdhsa_exception_fp_ieee_overflow 0
		.amdhsa_exception_fp_ieee_underflow 0
		.amdhsa_exception_fp_ieee_inexact 0
		.amdhsa_exception_int_div_zero 0
	.end_amdhsa_kernel
	.section	.text._ZL37rocblas_syrkx_herkx_restricted_kernelIi19rocblas_complex_numIfELi16ELi32ELi8ELb1ELb1ELc84ELc85EKPKS1_KPS1_EviT_T0_PT8_S7_lSA_S7_lS8_PT9_S7_li,"axG",@progbits,_ZL37rocblas_syrkx_herkx_restricted_kernelIi19rocblas_complex_numIfELi16ELi32ELi8ELb1ELb1ELc84ELc85EKPKS1_KPS1_EviT_T0_PT8_S7_lSA_S7_lS8_PT9_S7_li,comdat
.Lfunc_end799:
	.size	_ZL37rocblas_syrkx_herkx_restricted_kernelIi19rocblas_complex_numIfELi16ELi32ELi8ELb1ELb1ELc84ELc85EKPKS1_KPS1_EviT_T0_PT8_S7_lSA_S7_lS8_PT9_S7_li, .Lfunc_end799-_ZL37rocblas_syrkx_herkx_restricted_kernelIi19rocblas_complex_numIfELi16ELi32ELi8ELb1ELb1ELc84ELc85EKPKS1_KPS1_EviT_T0_PT8_S7_lSA_S7_lS8_PT9_S7_li
                                        ; -- End function
	.section	.AMDGPU.csdata,"",@progbits
; Kernel info:
; codeLenInByte = 2196
; NumSgprs: 21
; NumVgprs: 91
; ScratchSize: 0
; MemoryBound: 0
; FloatMode: 240
; IeeeMode: 1
; LDSByteSize: 4096 bytes/workgroup (compile time only)
; SGPRBlocks: 2
; VGPRBlocks: 11
; NumSGPRsForWavesPerEU: 21
; NumVGPRsForWavesPerEU: 91
; Occupancy: 16
; WaveLimiterHint : 1
; COMPUTE_PGM_RSRC2:SCRATCH_EN: 0
; COMPUTE_PGM_RSRC2:USER_SGPR: 13
; COMPUTE_PGM_RSRC2:TRAP_HANDLER: 0
; COMPUTE_PGM_RSRC2:TGID_X_EN: 1
; COMPUTE_PGM_RSRC2:TGID_Y_EN: 1
; COMPUTE_PGM_RSRC2:TGID_Z_EN: 1
; COMPUTE_PGM_RSRC2:TIDIG_COMP_CNT: 1
	.section	.text._ZL37rocblas_syrkx_herkx_restricted_kernelIi19rocblas_complex_numIfELi16ELi32ELi8ELb1ELb1ELc67ELc85EKPKS1_KPS1_EviT_T0_PT8_S7_lSA_S7_lS8_PT9_S7_li,"axG",@progbits,_ZL37rocblas_syrkx_herkx_restricted_kernelIi19rocblas_complex_numIfELi16ELi32ELi8ELb1ELb1ELc67ELc85EKPKS1_KPS1_EviT_T0_PT8_S7_lSA_S7_lS8_PT9_S7_li,comdat
	.globl	_ZL37rocblas_syrkx_herkx_restricted_kernelIi19rocblas_complex_numIfELi16ELi32ELi8ELb1ELb1ELc67ELc85EKPKS1_KPS1_EviT_T0_PT8_S7_lSA_S7_lS8_PT9_S7_li ; -- Begin function _ZL37rocblas_syrkx_herkx_restricted_kernelIi19rocblas_complex_numIfELi16ELi32ELi8ELb1ELb1ELc67ELc85EKPKS1_KPS1_EviT_T0_PT8_S7_lSA_S7_lS8_PT9_S7_li
	.p2align	8
	.type	_ZL37rocblas_syrkx_herkx_restricted_kernelIi19rocblas_complex_numIfELi16ELi32ELi8ELb1ELb1ELc67ELc85EKPKS1_KPS1_EviT_T0_PT8_S7_lSA_S7_lS8_PT9_S7_li,@function
_ZL37rocblas_syrkx_herkx_restricted_kernelIi19rocblas_complex_numIfELi16ELi32ELi8ELb1ELb1ELc67ELc85EKPKS1_KPS1_EviT_T0_PT8_S7_lSA_S7_lS8_PT9_S7_li: ; @_ZL37rocblas_syrkx_herkx_restricted_kernelIi19rocblas_complex_numIfELi16ELi32ELi8ELb1ELb1ELc67ELc85EKPKS1_KPS1_EviT_T0_PT8_S7_lSA_S7_lS8_PT9_S7_li
; %bb.0:
	s_clause 0x1
	s_load_b64 s[4:5], s[0:1], 0x48
	s_load_b64 s[2:3], s[0:1], 0x0
	s_mov_b32 s10, s15
	s_mov_b32 s11, 0
	v_dual_mov_b32 v17, 0 :: v_dual_and_b32 v6, 0x3ff, v0
	s_lshl_b64 s[16:17], s[10:11], 3
	v_bfe_u32 v7, v0, 10, 10
	v_dual_mov_b32 v16, 0 :: v_dual_mov_b32 v11, 0
	v_dual_mov_b32 v12, 0 :: v_dual_mov_b32 v9, 0
	;; [unrolled: 1-line block ×3, first 2 shown]
	v_mov_b32_e32 v0, 0
	s_waitcnt lgkmcnt(0)
	s_add_u32 s8, s4, s16
	s_addc_u32 s9, s5, s17
	s_load_b128 s[4:7], s[0:1], 0x8
	s_load_b64 s[8:9], s[8:9], 0x0
	s_lshl_b32 s10, s13, 5
	s_lshl_b32 s12, s14, 5
	s_cmp_lt_i32 s3, 1
	s_cbranch_scc1 .LBB800_3
; %bb.1:
	s_clause 0x2
	s_load_b64 s[14:15], s[0:1], 0x28
	s_load_b32 s13, s[0:1], 0x18
	s_load_b32 s18, s[0:1], 0x30
	v_lshl_add_u32 v2, v7, 4, v6
	v_dual_mov_b32 v1, 0 :: v_dual_and_b32 v0, 7, v6
	s_waitcnt lgkmcnt(0)
	s_add_u32 s6, s6, s16
	s_addc_u32 s7, s7, s17
	v_and_b32_e32 v8, 31, v2
	v_lshrrev_b32_e32 v9, 3, v2
	v_dual_mov_b32 v3, v1 :: v_dual_lshlrev_b32 v10, 3, v6
	s_load_b64 s[6:7], s[6:7], 0x0
	v_lshrrev_b32_e32 v2, 5, v2
	v_add_nc_u32_e32 v11, s10, v8
	v_add_nc_u32_e32 v14, s12, v9
	v_lshl_add_u32 v13, v7, 6, 0x800
	v_mov_b32_e32 v16, v1
	v_mov_b32_e32 v17, v1
	s_add_u32 s14, s14, s16
	s_addc_u32 s15, s15, s17
	v_mad_i64_i32 v[4:5], null, s13, v11, v[2:3]
	s_load_b64 s[14:15], s[14:15], 0x0
	v_lshlrev_b32_e32 v3, 3, v0
	v_mad_i64_i32 v[11:12], null, s18, v14, v[0:1]
	v_mov_b32_e32 v0, v1
	s_delay_alu instid0(VALU_DEP_3) | instskip(SKIP_1) | instid1(VALU_DEP_4)
	v_lshl_or_b32 v9, v9, 6, v3
	v_lshlrev_b64 v[3:4], 3, v[4:5]
	v_lshlrev_b64 v[11:12], 3, v[11:12]
	s_delay_alu instid0(VALU_DEP_3) | instskip(SKIP_2) | instid1(VALU_DEP_2)
	v_add_nc_u32_e32 v15, 0x800, v9
	v_dual_mov_b32 v9, v1 :: v_dual_lshlrev_b32 v14, 3, v8
	v_mov_b32_e32 v8, v1
	v_lshl_or_b32 v14, v2, 8, v14
	s_waitcnt lgkmcnt(0)
	v_add_co_u32 v2, vcc_lo, v3, s6
	v_add_co_ci_u32_e32 v3, vcc_lo, s7, v4, vcc_lo
	v_add_co_u32 v4, vcc_lo, v11, s14
	v_add_co_ci_u32_e32 v5, vcc_lo, s15, v12, vcc_lo
	s_delay_alu instid0(VALU_DEP_4) | instskip(NEXT) | instid1(VALU_DEP_4)
	v_add_co_u32 v2, vcc_lo, v2, 4
	v_add_co_ci_u32_e32 v3, vcc_lo, 0, v3, vcc_lo
	s_delay_alu instid0(VALU_DEP_4) | instskip(NEXT) | instid1(VALU_DEP_4)
	v_add_co_u32 v4, vcc_lo, v4, 4
	v_add_co_ci_u32_e32 v5, vcc_lo, 0, v5, vcc_lo
	v_mov_b32_e32 v12, v1
	v_mov_b32_e32 v11, v1
.LBB800_2:                              ; =>This Inner Loop Header: Depth=1
	global_load_b64 v[18:19], v[2:3], off offset:-4
	global_load_b64 v[20:21], v[4:5], off offset:-4
	v_add_co_u32 v2, vcc_lo, v2, 64
	v_add_co_ci_u32_e32 v3, vcc_lo, 0, v3, vcc_lo
	v_add_co_u32 v4, vcc_lo, v4, 64
	v_add_co_ci_u32_e32 v5, vcc_lo, 0, v5, vcc_lo
	s_add_i32 s11, s11, 8
	s_delay_alu instid0(SALU_CYCLE_1)
	s_cmp_ge_i32 s11, s3
	s_waitcnt vmcnt(1)
	v_xor_b32_e32 v19, 0x80000000, v19
	ds_store_b64 v14, v[18:19]
	s_waitcnt vmcnt(0)
	ds_store_b64 v15, v[20:21]
	s_waitcnt lgkmcnt(0)
	s_barrier
	buffer_gl0_inv
	ds_load_2addr_b64 v[18:21], v10 offset1:16
	ds_load_b128 v[22:25], v13
	ds_load_b128 v[26:29], v13 offset:1024
	ds_load_b128 v[30:33], v13 offset:16
	ds_load_2addr_b64 v[34:37], v10 offset0:32 offset1:48
	ds_load_b128 v[38:41], v13 offset:32
	ds_load_b128 v[42:45], v13 offset:48
	ds_load_2addr_b64 v[46:49], v10 offset0:64 offset1:80
	ds_load_b128 v[50:53], v13 offset:1040
	ds_load_2addr_b64 v[54:57], v10 offset0:96 offset1:112
	ds_load_2addr_b64 v[58:61], v10 offset0:128 offset1:144
	;; [unrolled: 1-line block ×4, first 2 shown]
	ds_load_b128 v[70:73], v13 offset:1056
	ds_load_b128 v[74:77], v13 offset:1072
	ds_load_2addr_b64 v[78:81], v10 offset0:224 offset1:240
	s_waitcnt lgkmcnt(0)
	s_barrier
	buffer_gl0_inv
	v_dual_mul_f32 v82, v23, v19 :: v_dual_mul_f32 v85, v22, v21
	v_dual_mul_f32 v83, v22, v19 :: v_dual_mul_f32 v84, v23, v21
	v_mul_f32_e32 v86, v27, v19
	v_dual_mul_f32 v19, v26, v19 :: v_dual_mul_f32 v90, v25, v37
	v_dual_mul_f32 v87, v27, v21 :: v_dual_mul_f32 v88, v25, v35
	v_mul_f32_e32 v21, v26, v21
	v_fma_f32 v82, v22, v18, -v82
	v_fmac_f32_e32 v83, v23, v18
	v_fma_f32 v22, v22, v20, -v84
	v_fmac_f32_e32 v85, v23, v20
	v_fma_f32 v23, v26, v18, -v86
	v_dual_fmac_f32 v19, v27, v18 :: v_dual_mul_f32 v86, v30, v47
	v_fma_f32 v18, v26, v20, -v87
	v_dual_fmac_f32 v21, v27, v20 :: v_dual_mul_f32 v20, v24, v37
	v_mul_f32_e32 v89, v24, v35
	v_mul_f32_e32 v26, v29, v35
	;; [unrolled: 1-line block ×4, first 2 shown]
	v_fmac_f32_e32 v20, v25, v36
	v_fmac_f32_e32 v89, v25, v34
	v_dual_mul_f32 v25, v28, v37 :: v_dual_fmac_f32 v86, v31, v46
	v_fma_f32 v84, v24, v34, -v88
	v_fma_f32 v24, v24, v36, -v90
	v_dual_mul_f32 v37, v31, v47 :: v_dual_mul_f32 v90, v33, v57
	v_fma_f32 v26, v28, v34, -v26
	v_fma_f32 v28, v28, v36, -v35
	v_fmac_f32_e32 v25, v29, v36
	v_dual_mul_f32 v35, v50, v47 :: v_dual_mul_f32 v36, v51, v49
	v_dual_fmac_f32 v27, v29, v34 :: v_dual_mul_f32 v34, v51, v47
	v_dual_mul_f32 v88, v32, v55 :: v_dual_mul_f32 v29, v30, v49
	v_mul_f32_e32 v87, v31, v49
	v_fma_f32 v37, v30, v46, -v37
	v_add_f32_e32 v16, v16, v82
	s_delay_alu instid0(VALU_DEP_4)
	v_dual_fmac_f32 v88, v33, v54 :: v_dual_fmac_f32 v29, v31, v48
	v_fma_f32 v31, v50, v46, -v34
	v_fma_f32 v34, v50, v48, -v36
	v_mul_f32_e32 v36, v32, v57
	v_mul_f32_e32 v47, v50, v49
	v_dual_mul_f32 v50, v53, v57 :: v_dual_fmac_f32 v35, v51, v46
	v_mul_f32_e32 v46, v53, v55
	v_mul_f32_e32 v49, v33, v55
	v_fma_f32 v30, v30, v48, -v87
	v_fmac_f32_e32 v36, v33, v56
	v_dual_fmac_f32 v47, v51, v48 :: v_dual_mul_f32 v48, v52, v55
	v_mul_f32_e32 v33, v52, v57
	v_fma_f32 v46, v52, v54, -v46
	v_fma_f32 v50, v52, v56, -v50
	v_mul_f32_e32 v52, v38, v61
	v_fma_f32 v49, v32, v54, -v49
	v_fma_f32 v32, v32, v56, -v90
	v_dual_mul_f32 v51, v39, v59 :: v_dual_fmac_f32 v48, v53, v54
	v_mul_f32_e32 v54, v70, v59
	v_dual_mul_f32 v55, v38, v59 :: v_dual_fmac_f32 v52, v39, v60
	v_fmac_f32_e32 v33, v53, v56
	v_mul_f32_e32 v53, v71, v59
	v_mul_f32_e32 v56, v71, v61
	;; [unrolled: 1-line block ×3, first 2 shown]
	v_fmac_f32_e32 v54, v71, v58
	v_fmac_f32_e32 v55, v39, v58
	v_fma_f32 v39, v70, v58, -v53
	v_fma_f32 v53, v70, v60, -v56
	v_mul_f32_e32 v56, v40, v65
	v_mul_f32_e32 v59, v70, v61
	v_fma_f32 v51, v38, v58, -v51
	v_mul_f32_e32 v58, v72, v63
	v_mul_f32_e32 v87, v40, v63
	;; [unrolled: 1-line block ×4, first 2 shown]
	v_fma_f32 v38, v38, v60, -v57
	v_mul_f32_e32 v57, v73, v63
	v_fmac_f32_e32 v56, v41, v64
	v_dual_fmac_f32 v59, v71, v60 :: v_dual_mul_f32 v60, v73, v65
	v_mul_f32_e32 v63, v43, v67
	v_mul_f32_e32 v70, v43, v69
	v_fmac_f32_e32 v58, v73, v62
	v_fmac_f32_e32 v87, v41, v62
	v_mul_f32_e32 v41, v72, v65
	v_fma_f32 v61, v40, v62, -v61
	v_fma_f32 v40, v40, v64, -v90
	v_mul_f32_e32 v65, v42, v67
	v_fma_f32 v57, v72, v62, -v57
	v_fma_f32 v60, v72, v64, -v60
	v_dual_fmac_f32 v41, v73, v64 :: v_dual_mul_f32 v62, v42, v69
	v_mul_f32_e32 v64, v75, v67
	v_fma_f32 v63, v42, v66, -v63
	v_fma_f32 v42, v42, v68, -v70
	v_mul_f32_e32 v70, v76, v79
	v_mul_f32_e32 v67, v74, v67
	;; [unrolled: 1-line block ×3, first 2 shown]
	v_dual_mul_f32 v69, v74, v69 :: v_dual_add_f32 v8, v8, v19
	v_mul_f32_e32 v73, v44, v79
	v_dual_fmac_f32 v65, v43, v66 :: v_dual_add_f32 v12, v12, v85
	v_fmac_f32_e32 v62, v43, v68
	v_fma_f32 v43, v74, v66, -v64
	v_fmac_f32_e32 v70, v77, v78
	v_dual_fmac_f32 v67, v75, v66 :: v_dual_add_f32 v16, v16, v84
	v_mul_f32_e32 v66, v44, v81
	v_mul_f32_e32 v72, v45, v79
	v_dual_mul_f32 v90, v45, v81 :: v_dual_fmac_f32 v69, v75, v68
	v_add_f32_e32 v0, v0, v18
	v_dual_fmac_f32 v73, v45, v78 :: v_dual_add_f32 v8, v8, v27
	v_dual_fmac_f32 v66, v45, v80 :: v_dual_mul_f32 v45, v76, v81
	v_fma_f32 v64, v74, v68, -v71
	v_dual_mul_f32 v71, v77, v81 :: v_dual_add_f32 v12, v12, v20
	v_dual_add_f32 v17, v17, v83 :: v_dual_add_f32 v0, v0, v28
	s_delay_alu instid0(VALU_DEP_4) | instskip(NEXT) | instid1(VALU_DEP_3)
	v_dual_fmac_f32 v45, v77, v80 :: v_dual_add_f32 v16, v16, v37
	v_dual_add_f32 v11, v11, v22 :: v_dual_add_f32 v12, v12, v29
	s_delay_alu instid0(VALU_DEP_3) | instskip(SKIP_1) | instid1(VALU_DEP_3)
	v_dual_add_f32 v9, v9, v23 :: v_dual_add_f32 v0, v0, v34
	v_dual_add_f32 v1, v1, v21 :: v_dual_add_f32 v8, v8, v35
	;; [unrolled: 1-line block ×3, first 2 shown]
	s_delay_alu instid0(VALU_DEP_4) | instskip(NEXT) | instid1(VALU_DEP_3)
	v_dual_add_f32 v11, v11, v24 :: v_dual_add_f32 v16, v16, v49
	v_dual_add_f32 v9, v9, v26 :: v_dual_add_f32 v8, v8, v48
	s_delay_alu instid0(VALU_DEP_4) | instskip(NEXT) | instid1(VALU_DEP_3)
	v_dual_add_f32 v1, v1, v25 :: v_dual_add_f32 v0, v0, v50
	v_dual_add_f32 v17, v17, v86 :: v_dual_add_f32 v16, v16, v51
	s_delay_alu instid0(VALU_DEP_4) | instskip(NEXT) | instid1(VALU_DEP_4)
	v_dual_add_f32 v11, v11, v30 :: v_dual_add_f32 v12, v12, v52
	v_dual_add_f32 v9, v9, v31 :: v_dual_add_f32 v8, v8, v54
	s_delay_alu instid0(VALU_DEP_4) | instskip(NEXT) | instid1(VALU_DEP_4)
	v_dual_add_f32 v1, v1, v47 :: v_dual_add_f32 v0, v0, v53
	v_dual_add_f32 v17, v17, v88 :: v_dual_add_f32 v16, v16, v61
	s_delay_alu instid0(VALU_DEP_3) | instskip(NEXT) | instid1(VALU_DEP_4)
	v_dual_add_f32 v11, v11, v32 :: v_dual_add_f32 v8, v8, v58
	v_dual_add_f32 v9, v9, v46 :: v_dual_add_f32 v12, v12, v56
	s_delay_alu instid0(VALU_DEP_4) | instskip(SKIP_1) | instid1(VALU_DEP_3)
	v_dual_add_f32 v1, v1, v33 :: v_dual_add_f32 v0, v0, v60
	v_fma_f32 v72, v44, v78, -v72
	v_dual_add_f32 v17, v17, v55 :: v_dual_add_f32 v12, v12, v62
	v_dual_add_f32 v11, v11, v38 :: v_dual_add_f32 v16, v16, v63
	s_delay_alu instid0(VALU_DEP_4) | instskip(SKIP_2) | instid1(VALU_DEP_4)
	v_dual_add_f32 v9, v9, v39 :: v_dual_add_f32 v0, v0, v64
	v_add_f32_e32 v1, v1, v59
	v_mul_f32_e32 v68, v77, v79
	v_add_f32_e32 v16, v16, v72
	v_fma_f32 v71, v76, v80, -v71
	v_dual_add_f32 v17, v17, v87 :: v_dual_add_f32 v12, v12, v66
	v_dual_add_f32 v11, v11, v40 :: v_dual_add_f32 v8, v8, v67
	v_add_f32_e32 v9, v9, v57
	s_delay_alu instid0(VALU_DEP_4)
	v_dual_add_f32 v1, v1, v41 :: v_dual_add_f32 v0, v0, v71
	v_fma_f32 v44, v44, v80, -v90
	v_fma_f32 v68, v76, v78, -v68
	v_add_f32_e32 v17, v17, v65
	v_add_f32_e32 v11, v11, v42
	v_dual_add_f32 v1, v1, v69 :: v_dual_add_f32 v8, v8, v70
	v_add_f32_e32 v9, v9, v43
	s_delay_alu instid0(VALU_DEP_4) | instskip(NEXT) | instid1(VALU_DEP_4)
	v_add_f32_e32 v17, v17, v73
	v_add_f32_e32 v11, v11, v44
	s_delay_alu instid0(VALU_DEP_4) | instskip(NEXT) | instid1(VALU_DEP_4)
	v_add_f32_e32 v1, v1, v45
	v_add_f32_e32 v9, v9, v68
	s_cbranch_scc0 .LBB800_2
.LBB800_3:
	s_load_b32 s3, s[0:1], 0x50
	v_add_nc_u32_e32 v7, s12, v7
	v_add_nc_u32_e32 v2, s10, v6
	s_delay_alu instid0(VALU_DEP_2) | instskip(NEXT) | instid1(VALU_DEP_2)
	v_cmp_gt_i32_e32 vcc_lo, s2, v7
	v_cmp_le_i32_e64 s0, v2, v7
	s_delay_alu instid0(VALU_DEP_1) | instskip(SKIP_2) | instid1(VALU_DEP_1)
	s_and_b32 s0, vcc_lo, s0
	s_waitcnt lgkmcnt(0)
	v_mad_i64_i32 v[3:4], null, v7, s3, 0
	v_lshlrev_b64 v[3:4], 3, v[3:4]
	s_delay_alu instid0(VALU_DEP_1) | instskip(NEXT) | instid1(VALU_DEP_1)
	v_add_co_u32 v6, s1, s8, v3
	v_add_co_ci_u32_e64 v10, s1, s9, v4, s1
	s_and_saveexec_b32 s1, s0
	s_cbranch_execz .LBB800_6
; %bb.4:
	v_ashrrev_i32_e32 v3, 31, v2
	v_mul_f32_e32 v14, s4, v17
	v_mul_f32_e32 v5, s5, v17
	s_delay_alu instid0(VALU_DEP_3) | instskip(NEXT) | instid1(VALU_DEP_3)
	v_lshlrev_b64 v[3:4], 3, v[2:3]
	v_fmac_f32_e32 v14, s5, v16
	s_delay_alu instid0(VALU_DEP_3) | instskip(NEXT) | instid1(VALU_DEP_3)
	v_fma_f32 v13, v16, s4, -v5
	v_add_co_u32 v3, s0, v6, v3
	s_delay_alu instid0(VALU_DEP_1)
	v_add_co_ci_u32_e64 v4, s0, v10, v4, s0
	v_cmp_eq_u32_e64 s0, v7, v2
	global_store_b64 v[3:4], v[13:14], off
	s_and_b32 exec_lo, exec_lo, s0
	s_cbranch_execz .LBB800_6
; %bb.5:
	v_mov_b32_e32 v5, 0
	global_store_b32 v[3:4], v5, off offset:4
.LBB800_6:
	s_or_b32 exec_lo, exec_lo, s1
	v_add_nc_u32_e32 v4, 16, v2
	s_delay_alu instid0(VALU_DEP_1) | instskip(NEXT) | instid1(VALU_DEP_1)
	v_cmp_le_i32_e64 s0, v4, v7
	s_and_b32 s1, vcc_lo, s0
	s_delay_alu instid0(SALU_CYCLE_1)
	s_and_saveexec_b32 s0, s1
	s_cbranch_execz .LBB800_9
; %bb.7:
	v_ashrrev_i32_e32 v5, 31, v4
	v_mul_f32_e32 v3, s5, v12
	v_mul_f32_e32 v13, s4, v12
	s_delay_alu instid0(VALU_DEP_3) | instskip(NEXT) | instid1(VALU_DEP_3)
	v_lshlrev_b64 v[14:15], 3, v[4:5]
	v_fma_f32 v12, v11, s4, -v3
	s_delay_alu instid0(VALU_DEP_3) | instskip(NEXT) | instid1(VALU_DEP_3)
	v_fmac_f32_e32 v13, s5, v11
	v_add_co_u32 v5, vcc_lo, v6, v14
	s_delay_alu instid0(VALU_DEP_4)
	v_add_co_ci_u32_e32 v6, vcc_lo, v10, v15, vcc_lo
	v_cmp_eq_u32_e32 vcc_lo, v7, v4
	global_store_b64 v[5:6], v[12:13], off
	s_and_b32 exec_lo, exec_lo, vcc_lo
	s_cbranch_execz .LBB800_9
; %bb.8:
	v_mov_b32_e32 v3, 0
	global_store_b32 v[5:6], v3, off offset:4
.LBB800_9:
	s_or_b32 exec_lo, exec_lo, s0
	v_add_nc_u32_e32 v12, 16, v7
	s_delay_alu instid0(VALU_DEP_1) | instskip(SKIP_2) | instid1(VALU_DEP_1)
	v_mad_i64_i32 v[5:6], null, v12, s3, 0
	v_cmp_gt_i32_e32 vcc_lo, s2, v12
	v_cmp_le_i32_e64 s0, v2, v12
	s_and_b32 s0, vcc_lo, s0
	s_delay_alu instid0(VALU_DEP_3) | instskip(NEXT) | instid1(VALU_DEP_1)
	v_lshlrev_b64 v[5:6], 3, v[5:6]
	v_add_co_u32 v10, s1, s8, v5
	s_delay_alu instid0(VALU_DEP_1)
	v_add_co_ci_u32_e64 v11, s1, s9, v6, s1
	s_and_saveexec_b32 s1, s0
	s_cbranch_execz .LBB800_12
; %bb.10:
	v_ashrrev_i32_e32 v3, 31, v2
	v_mul_f32_e32 v14, s4, v8
	v_mul_f32_e32 v13, s5, v8
	s_delay_alu instid0(VALU_DEP_3) | instskip(NEXT) | instid1(VALU_DEP_3)
	v_lshlrev_b64 v[5:6], 3, v[2:3]
	v_fmac_f32_e32 v14, s5, v9
	s_delay_alu instid0(VALU_DEP_3) | instskip(NEXT) | instid1(VALU_DEP_3)
	v_fma_f32 v13, v9, s4, -v13
	v_add_co_u32 v5, s0, v10, v5
	s_delay_alu instid0(VALU_DEP_1)
	v_add_co_ci_u32_e64 v6, s0, v11, v6, s0
	v_cmp_eq_u32_e64 s0, v12, v2
	global_store_b64 v[5:6], v[13:14], off
	s_and_b32 exec_lo, exec_lo, s0
	s_cbranch_execz .LBB800_12
; %bb.11:
	v_mov_b32_e32 v3, 0
	global_store_b32 v[5:6], v3, off offset:4
.LBB800_12:
	s_or_b32 exec_lo, exec_lo, s1
	v_cmp_le_i32_e64 s0, v4, v12
	s_delay_alu instid0(VALU_DEP_1) | instskip(NEXT) | instid1(SALU_CYCLE_1)
	s_and_b32 s0, vcc_lo, s0
	s_and_saveexec_b32 s1, s0
	s_cbranch_execz .LBB800_15
; %bb.13:
	v_ashrrev_i32_e32 v5, 31, v4
	v_mul_f32_e32 v8, s5, v1
	v_mul_f32_e32 v6, s4, v1
	s_delay_alu instid0(VALU_DEP_3) | instskip(NEXT) | instid1(VALU_DEP_3)
	v_lshlrev_b64 v[3:4], 3, v[4:5]
	v_fma_f32 v5, v0, s4, -v8
	s_delay_alu instid0(VALU_DEP_3) | instskip(NEXT) | instid1(VALU_DEP_3)
	v_fmac_f32_e32 v6, s5, v0
	v_add_co_u32 v0, vcc_lo, v10, v3
	s_delay_alu instid0(VALU_DEP_4)
	v_add_co_ci_u32_e32 v1, vcc_lo, v11, v4, vcc_lo
	v_cmp_eq_u32_e32 vcc_lo, v7, v2
	global_store_b64 v[0:1], v[5:6], off
	s_and_b32 exec_lo, exec_lo, vcc_lo
	s_cbranch_execz .LBB800_15
; %bb.14:
	v_mov_b32_e32 v2, 0
	global_store_b32 v[0:1], v2, off offset:4
.LBB800_15:
	s_nop 0
	s_sendmsg sendmsg(MSG_DEALLOC_VGPRS)
	s_endpgm
	.section	.rodata,"a",@progbits
	.p2align	6, 0x0
	.amdhsa_kernel _ZL37rocblas_syrkx_herkx_restricted_kernelIi19rocblas_complex_numIfELi16ELi32ELi8ELb1ELb1ELc67ELc85EKPKS1_KPS1_EviT_T0_PT8_S7_lSA_S7_lS8_PT9_S7_li
		.amdhsa_group_segment_fixed_size 4096
		.amdhsa_private_segment_fixed_size 0
		.amdhsa_kernarg_size 100
		.amdhsa_user_sgpr_count 13
		.amdhsa_user_sgpr_dispatch_ptr 0
		.amdhsa_user_sgpr_queue_ptr 0
		.amdhsa_user_sgpr_kernarg_segment_ptr 1
		.amdhsa_user_sgpr_dispatch_id 0
		.amdhsa_user_sgpr_private_segment_size 0
		.amdhsa_wavefront_size32 1
		.amdhsa_uses_dynamic_stack 0
		.amdhsa_enable_private_segment 0
		.amdhsa_system_sgpr_workgroup_id_x 1
		.amdhsa_system_sgpr_workgroup_id_y 1
		.amdhsa_system_sgpr_workgroup_id_z 1
		.amdhsa_system_sgpr_workgroup_info 0
		.amdhsa_system_vgpr_workitem_id 1
		.amdhsa_next_free_vgpr 91
		.amdhsa_next_free_sgpr 19
		.amdhsa_reserve_vcc 1
		.amdhsa_float_round_mode_32 0
		.amdhsa_float_round_mode_16_64 0
		.amdhsa_float_denorm_mode_32 3
		.amdhsa_float_denorm_mode_16_64 3
		.amdhsa_dx10_clamp 1
		.amdhsa_ieee_mode 1
		.amdhsa_fp16_overflow 0
		.amdhsa_workgroup_processor_mode 1
		.amdhsa_memory_ordered 1
		.amdhsa_forward_progress 0
		.amdhsa_shared_vgpr_count 0
		.amdhsa_exception_fp_ieee_invalid_op 0
		.amdhsa_exception_fp_denorm_src 0
		.amdhsa_exception_fp_ieee_div_zero 0
		.amdhsa_exception_fp_ieee_overflow 0
		.amdhsa_exception_fp_ieee_underflow 0
		.amdhsa_exception_fp_ieee_inexact 0
		.amdhsa_exception_int_div_zero 0
	.end_amdhsa_kernel
	.section	.text._ZL37rocblas_syrkx_herkx_restricted_kernelIi19rocblas_complex_numIfELi16ELi32ELi8ELb1ELb1ELc67ELc85EKPKS1_KPS1_EviT_T0_PT8_S7_lSA_S7_lS8_PT9_S7_li,"axG",@progbits,_ZL37rocblas_syrkx_herkx_restricted_kernelIi19rocblas_complex_numIfELi16ELi32ELi8ELb1ELb1ELc67ELc85EKPKS1_KPS1_EviT_T0_PT8_S7_lSA_S7_lS8_PT9_S7_li,comdat
.Lfunc_end800:
	.size	_ZL37rocblas_syrkx_herkx_restricted_kernelIi19rocblas_complex_numIfELi16ELi32ELi8ELb1ELb1ELc67ELc85EKPKS1_KPS1_EviT_T0_PT8_S7_lSA_S7_lS8_PT9_S7_li, .Lfunc_end800-_ZL37rocblas_syrkx_herkx_restricted_kernelIi19rocblas_complex_numIfELi16ELi32ELi8ELb1ELb1ELc67ELc85EKPKS1_KPS1_EviT_T0_PT8_S7_lSA_S7_lS8_PT9_S7_li
                                        ; -- End function
	.section	.AMDGPU.csdata,"",@progbits
; Kernel info:
; codeLenInByte = 2208
; NumSgprs: 21
; NumVgprs: 91
; ScratchSize: 0
; MemoryBound: 0
; FloatMode: 240
; IeeeMode: 1
; LDSByteSize: 4096 bytes/workgroup (compile time only)
; SGPRBlocks: 2
; VGPRBlocks: 11
; NumSGPRsForWavesPerEU: 21
; NumVGPRsForWavesPerEU: 91
; Occupancy: 16
; WaveLimiterHint : 1
; COMPUTE_PGM_RSRC2:SCRATCH_EN: 0
; COMPUTE_PGM_RSRC2:USER_SGPR: 13
; COMPUTE_PGM_RSRC2:TRAP_HANDLER: 0
; COMPUTE_PGM_RSRC2:TGID_X_EN: 1
; COMPUTE_PGM_RSRC2:TGID_Y_EN: 1
; COMPUTE_PGM_RSRC2:TGID_Z_EN: 1
; COMPUTE_PGM_RSRC2:TIDIG_COMP_CNT: 1
	.section	.text._ZL37rocblas_syrkx_herkx_restricted_kernelIi19rocblas_complex_numIfELi16ELi32ELi8ELb1ELb1ELc78ELc85EKPKS1_KPS1_EviT_T0_PT8_S7_lSA_S7_lS8_PT9_S7_li,"axG",@progbits,_ZL37rocblas_syrkx_herkx_restricted_kernelIi19rocblas_complex_numIfELi16ELi32ELi8ELb1ELb1ELc78ELc85EKPKS1_KPS1_EviT_T0_PT8_S7_lSA_S7_lS8_PT9_S7_li,comdat
	.globl	_ZL37rocblas_syrkx_herkx_restricted_kernelIi19rocblas_complex_numIfELi16ELi32ELi8ELb1ELb1ELc78ELc85EKPKS1_KPS1_EviT_T0_PT8_S7_lSA_S7_lS8_PT9_S7_li ; -- Begin function _ZL37rocblas_syrkx_herkx_restricted_kernelIi19rocblas_complex_numIfELi16ELi32ELi8ELb1ELb1ELc78ELc85EKPKS1_KPS1_EviT_T0_PT8_S7_lSA_S7_lS8_PT9_S7_li
	.p2align	8
	.type	_ZL37rocblas_syrkx_herkx_restricted_kernelIi19rocblas_complex_numIfELi16ELi32ELi8ELb1ELb1ELc78ELc85EKPKS1_KPS1_EviT_T0_PT8_S7_lSA_S7_lS8_PT9_S7_li,@function
_ZL37rocblas_syrkx_herkx_restricted_kernelIi19rocblas_complex_numIfELi16ELi32ELi8ELb1ELb1ELc78ELc85EKPKS1_KPS1_EviT_T0_PT8_S7_lSA_S7_lS8_PT9_S7_li: ; @_ZL37rocblas_syrkx_herkx_restricted_kernelIi19rocblas_complex_numIfELi16ELi32ELi8ELb1ELb1ELc78ELc85EKPKS1_KPS1_EviT_T0_PT8_S7_lSA_S7_lS8_PT9_S7_li
; %bb.0:
	s_clause 0x1
	s_load_b64 s[4:5], s[0:1], 0x48
	s_load_b64 s[2:3], s[0:1], 0x0
	s_mov_b32 s10, s15
	s_mov_b32 s11, 0
	v_dual_mov_b32 v17, 0 :: v_dual_and_b32 v4, 0x3ff, v0
	s_lshl_b64 s[16:17], s[10:11], 3
	v_bfe_u32 v7, v0, 10, 10
	v_dual_mov_b32 v16, 0 :: v_dual_mov_b32 v13, 0
	v_dual_mov_b32 v12, 0 :: v_dual_mov_b32 v9, 0
	;; [unrolled: 1-line block ×3, first 2 shown]
	v_mov_b32_e32 v6, 0
	s_waitcnt lgkmcnt(0)
	s_add_u32 s8, s4, s16
	s_addc_u32 s9, s5, s17
	s_load_b128 s[4:7], s[0:1], 0x8
	s_load_b64 s[8:9], s[8:9], 0x0
	s_lshl_b32 s10, s13, 5
	s_lshl_b32 s14, s14, 5
	s_cmp_lt_i32 s3, 1
	s_cbranch_scc1 .LBB801_3
; %bb.1:
	s_clause 0x2
	s_load_b32 s12, s[0:1], 0x18
	s_load_b32 s18, s[0:1], 0x30
	s_load_b64 s[20:21], s[0:1], 0x28
	v_lshl_add_u32 v0, v7, 4, v4
	v_dual_mov_b32 v5, 0 :: v_dual_and_b32 v6, 7, v4
	v_lshlrev_b32_e32 v10, 3, v4
	v_lshl_add_u32 v11, v7, 6, 0x800
	s_delay_alu instid0(VALU_DEP_4) | instskip(SKIP_3) | instid1(VALU_DEP_4)
	v_and_b32_e32 v13, 31, v0
	v_lshrrev_b32_e32 v12, 3, v0
	v_lshrrev_b32_e32 v14, 5, v0
	v_lshlrev_b32_e32 v15, 3, v6
	v_dual_mov_b32 v17, 0 :: v_dual_add_nc_u32 v2, s10, v13
	s_delay_alu instid0(VALU_DEP_4) | instskip(SKIP_1) | instid1(VALU_DEP_3)
	v_add_nc_u32_e32 v0, s14, v12
	v_mov_b32_e32 v16, 0
	v_ashrrev_i32_e32 v3, 31, v2
	s_delay_alu instid0(VALU_DEP_3)
	v_ashrrev_i32_e32 v1, 31, v0
	s_waitcnt lgkmcnt(0)
	s_ashr_i32 s13, s12, 31
	s_ashr_i32 s19, s18, 31
	s_add_u32 s6, s6, s16
	s_addc_u32 s7, s7, s17
	s_add_u32 s16, s20, s16
	s_load_b64 s[6:7], s[6:7], 0x0
	s_addc_u32 s17, s21, s17
	v_mad_i64_i32 v[8:9], null, s12, v14, v[2:3]
	s_load_b64 s[16:17], s[16:17], 0x0
	v_mad_i64_i32 v[2:3], null, s18, v6, v[0:1]
	v_dual_mov_b32 v6, 0 :: v_dual_lshlrev_b32 v13, 3, v13
	s_delay_alu instid0(VALU_DEP_3) | instskip(SKIP_4) | instid1(VALU_DEP_3)
	v_lshlrev_b64 v[0:1], 3, v[8:9]
	v_mov_b32_e32 v8, 0
	v_lshl_or_b32 v12, v12, 6, v15
	v_lshlrev_b64 v[2:3], 3, v[2:3]
	v_mov_b32_e32 v9, 0
	v_dual_mov_b32 v12, 0 :: v_dual_add_nc_u32 v15, 0x800, v12
	v_lshl_or_b32 v14, v14, 8, v13
	s_waitcnt lgkmcnt(0)
	v_add_co_u32 v0, vcc_lo, v0, s6
	v_add_co_ci_u32_e32 v1, vcc_lo, s7, v1, vcc_lo
	v_add_co_u32 v2, vcc_lo, v2, s16
	v_add_co_ci_u32_e32 v3, vcc_lo, s17, v3, vcc_lo
	s_delay_alu instid0(VALU_DEP_4) | instskip(NEXT) | instid1(VALU_DEP_4)
	v_add_co_u32 v0, vcc_lo, v0, 4
	v_add_co_ci_u32_e32 v1, vcc_lo, 0, v1, vcc_lo
	s_delay_alu instid0(VALU_DEP_4) | instskip(NEXT) | instid1(VALU_DEP_4)
	v_add_co_u32 v2, vcc_lo, v2, 4
	v_add_co_ci_u32_e32 v3, vcc_lo, 0, v3, vcc_lo
	v_mov_b32_e32 v13, 0
	s_lshl_b64 s[6:7], s[12:13], 6
	s_lshl_b64 s[12:13], s[18:19], 6
.LBB801_2:                              ; =>This Inner Loop Header: Depth=1
	global_load_b64 v[18:19], v[2:3], off offset:-4
	global_load_b64 v[20:21], v[0:1], off offset:-4
	v_add_co_u32 v0, vcc_lo, v0, s6
	v_add_co_ci_u32_e32 v1, vcc_lo, s7, v1, vcc_lo
	v_add_co_u32 v2, vcc_lo, v2, s12
	v_add_co_ci_u32_e32 v3, vcc_lo, s13, v3, vcc_lo
	s_add_i32 s11, s11, 8
	s_delay_alu instid0(SALU_CYCLE_1)
	s_cmp_ge_i32 s11, s3
	s_waitcnt vmcnt(1)
	v_xor_b32_e32 v19, 0x80000000, v19
	s_waitcnt vmcnt(0)
	ds_store_b64 v14, v[20:21]
	ds_store_b64 v15, v[18:19]
	s_waitcnt lgkmcnt(0)
	s_barrier
	buffer_gl0_inv
	ds_load_2addr_b64 v[18:21], v10 offset1:16
	ds_load_b128 v[22:25], v11
	ds_load_b128 v[26:29], v11 offset:1024
	ds_load_b128 v[30:33], v11 offset:16
	ds_load_2addr_b64 v[34:37], v10 offset0:32 offset1:48
	ds_load_b128 v[38:41], v11 offset:32
	ds_load_b128 v[42:45], v11 offset:48
	ds_load_2addr_b64 v[46:49], v10 offset0:64 offset1:80
	ds_load_b128 v[50:53], v11 offset:1040
	ds_load_2addr_b64 v[54:57], v10 offset0:96 offset1:112
	ds_load_2addr_b64 v[58:61], v10 offset0:128 offset1:144
	;; [unrolled: 1-line block ×4, first 2 shown]
	ds_load_b128 v[70:73], v11 offset:1056
	ds_load_b128 v[74:77], v11 offset:1072
	ds_load_2addr_b64 v[78:81], v10 offset0:224 offset1:240
	s_waitcnt lgkmcnt(0)
	s_barrier
	buffer_gl0_inv
	v_dual_mul_f32 v82, v23, v19 :: v_dual_mul_f32 v85, v22, v21
	v_dual_mul_f32 v83, v22, v19 :: v_dual_mul_f32 v84, v23, v21
	v_mul_f32_e32 v86, v27, v19
	v_dual_mul_f32 v19, v26, v19 :: v_dual_mul_f32 v90, v25, v37
	v_dual_mul_f32 v87, v27, v21 :: v_dual_mul_f32 v88, v25, v35
	v_mul_f32_e32 v21, v26, v21
	v_mul_f32_e32 v89, v24, v35
	;; [unrolled: 1-line block ×3, first 2 shown]
	v_fma_f32 v82, v22, v18, -v82
	v_fmac_f32_e32 v83, v23, v18
	v_fma_f32 v22, v22, v20, -v84
	v_dual_fmac_f32 v85, v23, v20 :: v_dual_mul_f32 v84, v30, v47
	v_fma_f32 v23, v26, v18, -v86
	v_fmac_f32_e32 v19, v27, v18
	v_fma_f32 v18, v26, v20, -v87
	v_dual_mul_f32 v26, v28, v35 :: v_dual_fmac_f32 v21, v27, v20
	v_mul_f32_e32 v20, v29, v35
	v_mul_f32_e32 v27, v29, v37
	v_dual_mul_f32 v35, v28, v37 :: v_dual_fmac_f32 v84, v31, v46
	v_fma_f32 v37, v24, v34, -v88
	v_fma_f32 v24, v24, v36, -v90
	v_dual_fmac_f32 v91, v25, v36 :: v_dual_mul_f32 v90, v32, v57
	v_dual_mul_f32 v86, v31, v49 :: v_dual_fmac_f32 v89, v25, v34
	v_dual_mul_f32 v25, v31, v47 :: v_dual_mul_f32 v88, v33, v57
	v_fma_f32 v20, v28, v34, -v20
	v_fmac_f32_e32 v26, v29, v34
	v_fma_f32 v27, v28, v36, -v27
	v_dual_fmac_f32 v35, v29, v36 :: v_dual_mul_f32 v28, v51, v47
	v_dual_mul_f32 v29, v50, v47 :: v_dual_mul_f32 v34, v51, v49
	v_mul_f32_e32 v36, v50, v49
	v_mul_f32_e32 v87, v30, v49
	;; [unrolled: 1-line block ×3, first 2 shown]
	v_dual_mul_f32 v49, v32, v55 :: v_dual_fmac_f32 v90, v33, v56
	v_fma_f32 v25, v30, v46, -v25
	v_fma_f32 v30, v30, v48, -v86
	;; [unrolled: 1-line block ×3, first 2 shown]
	v_fmac_f32_e32 v36, v51, v48
	v_fmac_f32_e32 v87, v31, v48
	v_fma_f32 v31, v50, v48, -v34
	v_mul_f32_e32 v34, v53, v55
	v_mul_f32_e32 v48, v53, v57
	v_dual_mul_f32 v50, v52, v57 :: v_dual_fmac_f32 v29, v51, v46
	v_mul_f32_e32 v46, v52, v55
	v_fma_f32 v47, v32, v54, -v47
	v_fmac_f32_e32 v49, v33, v54
	v_fma_f32 v32, v32, v56, -v88
	s_delay_alu instid0(VALU_DEP_4)
	v_dual_mul_f32 v33, v39, v59 :: v_dual_fmac_f32 v46, v53, v54
	v_mul_f32_e32 v51, v38, v59
	v_mul_f32_e32 v55, v39, v61
	v_fma_f32 v34, v52, v54, -v34
	v_fma_f32 v48, v52, v56, -v48
	v_fmac_f32_e32 v50, v53, v56
	v_mul_f32_e32 v52, v71, v59
	v_dual_mul_f32 v53, v70, v59 :: v_dual_mul_f32 v86, v41, v65
	v_mul_f32_e32 v54, v71, v61
	v_dual_mul_f32 v56, v70, v61 :: v_dual_mul_f32 v59, v41, v63
	v_mul_f32_e32 v57, v38, v61
	v_mul_f32_e32 v61, v40, v63
	v_dual_mul_f32 v88, v40, v65 :: v_dual_fmac_f32 v51, v39, v58
	v_fma_f32 v33, v38, v58, -v33
	v_fmac_f32_e32 v53, v71, v58
	v_fmac_f32_e32 v56, v71, v60
	s_delay_alu instid0(VALU_DEP_4)
	v_fmac_f32_e32 v88, v41, v64
	v_fmac_f32_e32 v57, v39, v60
	v_fma_f32 v39, v70, v58, -v52
	v_fma_f32 v52, v70, v60, -v54
	v_mul_f32_e32 v54, v73, v63
	v_fma_f32 v38, v38, v60, -v55
	v_mul_f32_e32 v60, v72, v65
	v_dual_mul_f32 v55, v72, v63 :: v_dual_mul_f32 v70, v42, v69
	v_mul_f32_e32 v58, v73, v65
	v_fma_f32 v59, v40, v62, -v59
	v_fmac_f32_e32 v61, v41, v62
	v_fma_f32 v40, v40, v64, -v86
	v_dual_mul_f32 v41, v43, v67 :: v_dual_fmac_f32 v60, v73, v64
	v_dual_mul_f32 v63, v42, v67 :: v_dual_mul_f32 v86, v44, v81
	v_mul_f32_e32 v65, v43, v69
	v_fma_f32 v54, v72, v62, -v54
	v_fmac_f32_e32 v55, v73, v62
	v_fma_f32 v58, v72, v64, -v58
	v_mul_f32_e32 v72, v44, v79
	v_mul_f32_e32 v62, v75, v67
	v_dual_mul_f32 v64, v74, v67 :: v_dual_mul_f32 v67, v75, v69
	v_dual_mul_f32 v69, v74, v69 :: v_dual_fmac_f32 v70, v43, v68
	s_delay_alu instid0(VALU_DEP_2)
	v_dual_mul_f32 v71, v45, v79 :: v_dual_fmac_f32 v64, v75, v66
	v_dual_mul_f32 v73, v45, v81 :: v_dual_add_f32 v16, v16, v82
	v_fma_f32 v41, v42, v66, -v41
	v_fmac_f32_e32 v63, v43, v66
	v_fma_f32 v42, v42, v68, -v65
	v_fma_f32 v43, v74, v66, -v62
	v_dual_mul_f32 v65, v77, v79 :: v_dual_add_f32 v12, v12, v22
	v_mul_f32_e32 v66, v76, v79
	v_fma_f32 v62, v74, v68, -v67
	v_dual_mul_f32 v67, v77, v81 :: v_dual_add_f32 v8, v8, v19
	v_dual_add_f32 v17, v17, v83 :: v_dual_add_f32 v6, v6, v18
	v_dual_add_f32 v13, v13, v85 :: v_dual_add_f32 v12, v12, v24
	v_dual_add_f32 v9, v9, v23 :: v_dual_add_f32 v16, v16, v37
	s_delay_alu instid0(VALU_DEP_4) | instskip(NEXT) | instid1(VALU_DEP_4)
	v_dual_add_f32 v5, v5, v21 :: v_dual_add_f32 v8, v8, v26
	v_dual_add_f32 v17, v17, v89 :: v_dual_add_f32 v6, v6, v27
	s_delay_alu instid0(VALU_DEP_3) | instskip(NEXT) | instid1(VALU_DEP_4)
	v_dual_add_f32 v13, v13, v91 :: v_dual_add_f32 v16, v16, v25
	v_dual_add_f32 v9, v9, v20 :: v_dual_add_f32 v12, v12, v30
	s_delay_alu instid0(VALU_DEP_4) | instskip(NEXT) | instid1(VALU_DEP_4)
	v_dual_add_f32 v5, v5, v35 :: v_dual_add_f32 v8, v8, v29
	v_dual_add_f32 v17, v17, v84 :: v_dual_add_f32 v6, v6, v31
	s_delay_alu instid0(VALU_DEP_3) | instskip(NEXT) | instid1(VALU_DEP_4)
	v_dual_add_f32 v13, v13, v87 :: v_dual_add_f32 v12, v12, v32
	v_dual_add_f32 v9, v9, v28 :: v_dual_add_f32 v16, v16, v47
	s_delay_alu instid0(VALU_DEP_4) | instskip(NEXT) | instid1(VALU_DEP_4)
	v_dual_add_f32 v5, v5, v36 :: v_dual_add_f32 v8, v8, v46
	v_dual_add_f32 v17, v17, v49 :: v_dual_add_f32 v6, v6, v48
	s_delay_alu instid0(VALU_DEP_3) | instskip(NEXT) | instid1(VALU_DEP_3)
	v_dual_add_f32 v13, v13, v90 :: v_dual_add_f32 v16, v16, v33
	v_dual_add_f32 v9, v9, v34 :: v_dual_add_f32 v8, v8, v53
	s_delay_alu instid0(VALU_DEP_3) | instskip(NEXT) | instid1(VALU_DEP_4)
	v_dual_add_f32 v5, v5, v50 :: v_dual_add_f32 v6, v6, v52
	v_dual_add_f32 v17, v17, v51 :: v_dual_add_f32 v12, v12, v38
	s_delay_alu instid0(VALU_DEP_4) | instskip(NEXT) | instid1(VALU_DEP_4)
	v_dual_add_f32 v13, v13, v57 :: v_dual_add_f32 v16, v16, v59
	v_add_f32_e32 v9, v9, v39
	s_delay_alu instid0(VALU_DEP_4)
	v_dual_add_f32 v5, v5, v56 :: v_dual_add_f32 v8, v8, v55
	v_dual_fmac_f32 v69, v75, v68 :: v_dual_fmac_f32 v72, v45, v78
	v_mul_f32_e32 v68, v76, v81
	v_dual_add_f32 v17, v17, v61 :: v_dual_add_f32 v6, v6, v58
	v_add_f32_e32 v12, v12, v40
	v_dual_add_f32 v13, v13, v88 :: v_dual_add_f32 v16, v16, v41
	v_dual_add_f32 v9, v9, v54 :: v_dual_add_f32 v8, v8, v64
	s_delay_alu instid0(VALU_DEP_3)
	v_dual_add_f32 v5, v5, v60 :: v_dual_add_f32 v12, v12, v42
	v_fma_f32 v71, v44, v78, -v71
	v_fma_f32 v44, v44, v80, -v73
	v_fmac_f32_e32 v86, v45, v80
	v_fma_f32 v45, v76, v78, -v65
	v_fmac_f32_e32 v66, v77, v78
	;; [unrolled: 2-line block ×3, first 2 shown]
	v_dual_add_f32 v17, v17, v63 :: v_dual_add_f32 v6, v6, v62
	v_dual_add_f32 v13, v13, v70 :: v_dual_add_f32 v16, v16, v71
	v_dual_add_f32 v9, v9, v43 :: v_dual_add_f32 v12, v12, v44
	v_dual_add_f32 v5, v5, v69 :: v_dual_add_f32 v8, v8, v66
	s_delay_alu instid0(VALU_DEP_4) | instskip(NEXT) | instid1(VALU_DEP_4)
	v_dual_add_f32 v17, v17, v72 :: v_dual_add_f32 v6, v6, v65
	v_add_f32_e32 v13, v13, v86
	s_delay_alu instid0(VALU_DEP_4) | instskip(NEXT) | instid1(VALU_DEP_4)
	v_add_f32_e32 v9, v9, v45
	v_add_f32_e32 v5, v5, v68
	s_cbranch_scc0 .LBB801_2
.LBB801_3:
	s_load_b32 s3, s[0:1], 0x50
	v_add_nc_u32_e32 v7, s14, v7
	v_add_nc_u32_e32 v0, s10, v4
	s_delay_alu instid0(VALU_DEP_2) | instskip(NEXT) | instid1(VALU_DEP_2)
	v_cmp_gt_i32_e32 vcc_lo, s2, v7
	v_cmp_le_i32_e64 s0, v0, v7
	s_delay_alu instid0(VALU_DEP_1) | instskip(SKIP_2) | instid1(VALU_DEP_1)
	s_and_b32 s0, vcc_lo, s0
	s_waitcnt lgkmcnt(0)
	v_mad_i64_i32 v[1:2], null, v7, s3, 0
	v_lshlrev_b64 v[1:2], 3, v[1:2]
	s_delay_alu instid0(VALU_DEP_1) | instskip(NEXT) | instid1(VALU_DEP_1)
	v_add_co_u32 v4, s1, s8, v1
	v_add_co_ci_u32_e64 v10, s1, s9, v2, s1
	s_and_saveexec_b32 s1, s0
	s_cbranch_execz .LBB801_6
; %bb.4:
	v_ashrrev_i32_e32 v1, 31, v0
	v_mul_f32_e32 v3, s5, v17
	v_mul_f32_e32 v15, s4, v17
	s_delay_alu instid0(VALU_DEP_3) | instskip(NEXT) | instid1(VALU_DEP_3)
	v_lshlrev_b64 v[1:2], 3, v[0:1]
	v_fma_f32 v14, v16, s4, -v3
	s_delay_alu instid0(VALU_DEP_3) | instskip(NEXT) | instid1(VALU_DEP_3)
	v_fmac_f32_e32 v15, s5, v16
	v_add_co_u32 v1, s0, v4, v1
	s_delay_alu instid0(VALU_DEP_1)
	v_add_co_ci_u32_e64 v2, s0, v10, v2, s0
	v_cmp_eq_u32_e64 s0, v7, v0
	global_store_b64 v[1:2], v[14:15], off
	s_and_b32 exec_lo, exec_lo, s0
	s_cbranch_execz .LBB801_6
; %bb.5:
	v_mov_b32_e32 v3, 0
	global_store_b32 v[1:2], v3, off offset:4
.LBB801_6:
	s_or_b32 exec_lo, exec_lo, s1
	v_add_nc_u32_e32 v2, 16, v0
	s_delay_alu instid0(VALU_DEP_1) | instskip(NEXT) | instid1(VALU_DEP_1)
	v_cmp_le_i32_e64 s0, v2, v7
	s_and_b32 s1, vcc_lo, s0
	s_delay_alu instid0(SALU_CYCLE_1)
	s_and_saveexec_b32 s0, s1
	s_cbranch_execz .LBB801_9
; %bb.7:
	v_ashrrev_i32_e32 v3, 31, v2
	v_mul_f32_e32 v14, s4, v13
	v_mul_f32_e32 v1, s5, v13
	s_delay_alu instid0(VALU_DEP_3) | instskip(NEXT) | instid1(VALU_DEP_3)
	v_lshlrev_b64 v[15:16], 3, v[2:3]
	v_fmac_f32_e32 v14, s5, v12
	s_delay_alu instid0(VALU_DEP_3) | instskip(NEXT) | instid1(VALU_DEP_3)
	v_fma_f32 v13, v12, s4, -v1
	v_add_co_u32 v3, vcc_lo, v4, v15
	s_delay_alu instid0(VALU_DEP_4)
	v_add_co_ci_u32_e32 v4, vcc_lo, v10, v16, vcc_lo
	v_cmp_eq_u32_e32 vcc_lo, v7, v2
	global_store_b64 v[3:4], v[13:14], off
	s_and_b32 exec_lo, exec_lo, vcc_lo
	s_cbranch_execz .LBB801_9
; %bb.8:
	v_mov_b32_e32 v1, 0
	global_store_b32 v[3:4], v1, off offset:4
.LBB801_9:
	s_or_b32 exec_lo, exec_lo, s0
	v_add_nc_u32_e32 v12, 16, v7
	s_delay_alu instid0(VALU_DEP_1) | instskip(SKIP_2) | instid1(VALU_DEP_1)
	v_mad_i64_i32 v[3:4], null, v12, s3, 0
	v_cmp_gt_i32_e32 vcc_lo, s2, v12
	v_cmp_le_i32_e64 s0, v0, v12
	s_and_b32 s0, vcc_lo, s0
	s_delay_alu instid0(VALU_DEP_3) | instskip(NEXT) | instid1(VALU_DEP_1)
	v_lshlrev_b64 v[3:4], 3, v[3:4]
	v_add_co_u32 v10, s1, s8, v3
	s_delay_alu instid0(VALU_DEP_1)
	v_add_co_ci_u32_e64 v11, s1, s9, v4, s1
	s_and_saveexec_b32 s1, s0
	s_cbranch_execz .LBB801_12
; %bb.10:
	v_ashrrev_i32_e32 v1, 31, v0
	v_mul_f32_e32 v14, s4, v8
	v_mul_f32_e32 v13, s5, v8
	s_delay_alu instid0(VALU_DEP_3) | instskip(NEXT) | instid1(VALU_DEP_3)
	v_lshlrev_b64 v[3:4], 3, v[0:1]
	v_fmac_f32_e32 v14, s5, v9
	s_delay_alu instid0(VALU_DEP_3) | instskip(NEXT) | instid1(VALU_DEP_3)
	v_fma_f32 v13, v9, s4, -v13
	v_add_co_u32 v3, s0, v10, v3
	s_delay_alu instid0(VALU_DEP_1)
	v_add_co_ci_u32_e64 v4, s0, v11, v4, s0
	v_cmp_eq_u32_e64 s0, v12, v0
	global_store_b64 v[3:4], v[13:14], off
	s_and_b32 exec_lo, exec_lo, s0
	s_cbranch_execz .LBB801_12
; %bb.11:
	v_mov_b32_e32 v1, 0
	global_store_b32 v[3:4], v1, off offset:4
.LBB801_12:
	s_or_b32 exec_lo, exec_lo, s1
	v_cmp_le_i32_e64 s0, v2, v12
	s_delay_alu instid0(VALU_DEP_1) | instskip(NEXT) | instid1(SALU_CYCLE_1)
	s_and_b32 s0, vcc_lo, s0
	s_and_saveexec_b32 s1, s0
	s_cbranch_execz .LBB801_15
; %bb.13:
	v_ashrrev_i32_e32 v3, 31, v2
	v_mul_f32_e32 v8, s5, v5
	v_mul_f32_e32 v4, s4, v5
	s_delay_alu instid0(VALU_DEP_3) | instskip(NEXT) | instid1(VALU_DEP_3)
	v_lshlrev_b64 v[1:2], 3, v[2:3]
	v_fma_f32 v3, v6, s4, -v8
	s_delay_alu instid0(VALU_DEP_3) | instskip(NEXT) | instid1(VALU_DEP_3)
	v_fmac_f32_e32 v4, s5, v6
	v_add_co_u32 v1, vcc_lo, v10, v1
	s_delay_alu instid0(VALU_DEP_4)
	v_add_co_ci_u32_e32 v2, vcc_lo, v11, v2, vcc_lo
	v_cmp_eq_u32_e32 vcc_lo, v7, v0
	global_store_b64 v[1:2], v[3:4], off
	s_and_b32 exec_lo, exec_lo, vcc_lo
	s_cbranch_execz .LBB801_15
; %bb.14:
	v_mov_b32_e32 v0, 0
	global_store_b32 v[1:2], v0, off offset:4
.LBB801_15:
	s_nop 0
	s_sendmsg sendmsg(MSG_DEALLOC_VGPRS)
	s_endpgm
	.section	.rodata,"a",@progbits
	.p2align	6, 0x0
	.amdhsa_kernel _ZL37rocblas_syrkx_herkx_restricted_kernelIi19rocblas_complex_numIfELi16ELi32ELi8ELb1ELb1ELc78ELc85EKPKS1_KPS1_EviT_T0_PT8_S7_lSA_S7_lS8_PT9_S7_li
		.amdhsa_group_segment_fixed_size 4096
		.amdhsa_private_segment_fixed_size 0
		.amdhsa_kernarg_size 100
		.amdhsa_user_sgpr_count 13
		.amdhsa_user_sgpr_dispatch_ptr 0
		.amdhsa_user_sgpr_queue_ptr 0
		.amdhsa_user_sgpr_kernarg_segment_ptr 1
		.amdhsa_user_sgpr_dispatch_id 0
		.amdhsa_user_sgpr_private_segment_size 0
		.amdhsa_wavefront_size32 1
		.amdhsa_uses_dynamic_stack 0
		.amdhsa_enable_private_segment 0
		.amdhsa_system_sgpr_workgroup_id_x 1
		.amdhsa_system_sgpr_workgroup_id_y 1
		.amdhsa_system_sgpr_workgroup_id_z 1
		.amdhsa_system_sgpr_workgroup_info 0
		.amdhsa_system_vgpr_workitem_id 1
		.amdhsa_next_free_vgpr 92
		.amdhsa_next_free_sgpr 22
		.amdhsa_reserve_vcc 1
		.amdhsa_float_round_mode_32 0
		.amdhsa_float_round_mode_16_64 0
		.amdhsa_float_denorm_mode_32 3
		.amdhsa_float_denorm_mode_16_64 3
		.amdhsa_dx10_clamp 1
		.amdhsa_ieee_mode 1
		.amdhsa_fp16_overflow 0
		.amdhsa_workgroup_processor_mode 1
		.amdhsa_memory_ordered 1
		.amdhsa_forward_progress 0
		.amdhsa_shared_vgpr_count 0
		.amdhsa_exception_fp_ieee_invalid_op 0
		.amdhsa_exception_fp_denorm_src 0
		.amdhsa_exception_fp_ieee_div_zero 0
		.amdhsa_exception_fp_ieee_overflow 0
		.amdhsa_exception_fp_ieee_underflow 0
		.amdhsa_exception_fp_ieee_inexact 0
		.amdhsa_exception_int_div_zero 0
	.end_amdhsa_kernel
	.section	.text._ZL37rocblas_syrkx_herkx_restricted_kernelIi19rocblas_complex_numIfELi16ELi32ELi8ELb1ELb1ELc78ELc85EKPKS1_KPS1_EviT_T0_PT8_S7_lSA_S7_lS8_PT9_S7_li,"axG",@progbits,_ZL37rocblas_syrkx_herkx_restricted_kernelIi19rocblas_complex_numIfELi16ELi32ELi8ELb1ELb1ELc78ELc85EKPKS1_KPS1_EviT_T0_PT8_S7_lSA_S7_lS8_PT9_S7_li,comdat
.Lfunc_end801:
	.size	_ZL37rocblas_syrkx_herkx_restricted_kernelIi19rocblas_complex_numIfELi16ELi32ELi8ELb1ELb1ELc78ELc85EKPKS1_KPS1_EviT_T0_PT8_S7_lSA_S7_lS8_PT9_S7_li, .Lfunc_end801-_ZL37rocblas_syrkx_herkx_restricted_kernelIi19rocblas_complex_numIfELi16ELi32ELi8ELb1ELb1ELc78ELc85EKPKS1_KPS1_EviT_T0_PT8_S7_lSA_S7_lS8_PT9_S7_li
                                        ; -- End function
	.section	.AMDGPU.csdata,"",@progbits
; Kernel info:
; codeLenInByte = 2244
; NumSgprs: 24
; NumVgprs: 92
; ScratchSize: 0
; MemoryBound: 0
; FloatMode: 240
; IeeeMode: 1
; LDSByteSize: 4096 bytes/workgroup (compile time only)
; SGPRBlocks: 2
; VGPRBlocks: 11
; NumSGPRsForWavesPerEU: 24
; NumVGPRsForWavesPerEU: 92
; Occupancy: 16
; WaveLimiterHint : 1
; COMPUTE_PGM_RSRC2:SCRATCH_EN: 0
; COMPUTE_PGM_RSRC2:USER_SGPR: 13
; COMPUTE_PGM_RSRC2:TRAP_HANDLER: 0
; COMPUTE_PGM_RSRC2:TGID_X_EN: 1
; COMPUTE_PGM_RSRC2:TGID_Y_EN: 1
; COMPUTE_PGM_RSRC2:TGID_Z_EN: 1
; COMPUTE_PGM_RSRC2:TIDIG_COMP_CNT: 1
	.section	.text._ZL37rocblas_syrkx_herkx_restricted_kernelIi19rocblas_complex_numIfELi16ELi32ELi8ELb0ELb1ELc84ELc76EKPKS1_KPS1_EviT_T0_PT8_S7_lSA_S7_lS8_PT9_S7_li,"axG",@progbits,_ZL37rocblas_syrkx_herkx_restricted_kernelIi19rocblas_complex_numIfELi16ELi32ELi8ELb0ELb1ELc84ELc76EKPKS1_KPS1_EviT_T0_PT8_S7_lSA_S7_lS8_PT9_S7_li,comdat
	.globl	_ZL37rocblas_syrkx_herkx_restricted_kernelIi19rocblas_complex_numIfELi16ELi32ELi8ELb0ELb1ELc84ELc76EKPKS1_KPS1_EviT_T0_PT8_S7_lSA_S7_lS8_PT9_S7_li ; -- Begin function _ZL37rocblas_syrkx_herkx_restricted_kernelIi19rocblas_complex_numIfELi16ELi32ELi8ELb0ELb1ELc84ELc76EKPKS1_KPS1_EviT_T0_PT8_S7_lSA_S7_lS8_PT9_S7_li
	.p2align	8
	.type	_ZL37rocblas_syrkx_herkx_restricted_kernelIi19rocblas_complex_numIfELi16ELi32ELi8ELb0ELb1ELc84ELc76EKPKS1_KPS1_EviT_T0_PT8_S7_lSA_S7_lS8_PT9_S7_li,@function
_ZL37rocblas_syrkx_herkx_restricted_kernelIi19rocblas_complex_numIfELi16ELi32ELi8ELb0ELb1ELc84ELc76EKPKS1_KPS1_EviT_T0_PT8_S7_lSA_S7_lS8_PT9_S7_li: ; @_ZL37rocblas_syrkx_herkx_restricted_kernelIi19rocblas_complex_numIfELi16ELi32ELi8ELb0ELb1ELc84ELc76EKPKS1_KPS1_EviT_T0_PT8_S7_lSA_S7_lS8_PT9_S7_li
; %bb.0:
	s_clause 0x1
	s_load_b128 s[4:7], s[0:1], 0x40
	s_load_b64 s[16:17], s[0:1], 0x0
	s_mov_b32 s18, s15
	s_mov_b32 s19, 0
	v_dual_mov_b32 v17, 0 :: v_dual_and_b32 v6, 0x3ff, v0
	s_lshl_b64 s[20:21], s[18:19], 3
	v_bfe_u32 v9, v0, 10, 10
	v_dual_mov_b32 v14, 0 :: v_dual_mov_b32 v11, 0
	v_dual_mov_b32 v10, 0 :: v_dual_mov_b32 v7, 0
	;; [unrolled: 1-line block ×3, first 2 shown]
	v_mov_b32_e32 v0, 0
	s_waitcnt lgkmcnt(0)
	s_add_u32 s2, s6, s20
	s_addc_u32 s3, s7, s21
	s_load_b128 s[8:11], s[0:1], 0x8
	s_load_b64 s[2:3], s[2:3], 0x0
	s_lshl_b32 s6, s13, 5
	s_lshl_b32 s7, s14, 5
	s_cmp_lt_i32 s17, 1
	s_cbranch_scc1 .LBB802_3
; %bb.1:
	s_clause 0x2
	s_load_b64 s[12:13], s[0:1], 0x28
	s_load_b32 s14, s[0:1], 0x18
	s_load_b32 s15, s[0:1], 0x30
	v_lshl_add_u32 v2, v9, 4, v6
	v_dual_mov_b32 v1, 0 :: v_dual_and_b32 v0, 7, v6
	s_waitcnt lgkmcnt(0)
	s_add_u32 s10, s10, s20
	s_addc_u32 s11, s11, s21
	v_and_b32_e32 v7, 31, v2
	v_lshrrev_b32_e32 v8, 3, v2
	s_load_b64 s[10:11], s[10:11], 0x0
	v_dual_mov_b32 v3, v1 :: v_dual_lshlrev_b32 v12, 3, v6
	v_lshrrev_b32_e32 v2, 5, v2
	v_add_nc_u32_e32 v10, s6, v7
	v_add_nc_u32_e32 v14, s7, v8
	v_lshl_add_u32 v13, v9, 6, 0x800
	v_mov_b32_e32 v17, v1
	s_add_u32 s12, s12, s20
	s_addc_u32 s13, s13, s21
	v_mad_i64_i32 v[4:5], null, s14, v10, v[2:3]
	s_load_b64 s[12:13], s[12:13], 0x0
	v_lshlrev_b32_e32 v3, 3, v0
	v_mad_i64_i32 v[10:11], null, s15, v14, v[0:1]
	v_mov_b32_e32 v0, v1
	v_lshlrev_b32_e32 v14, 3, v7
	s_delay_alu instid0(VALU_DEP_4)
	v_lshl_or_b32 v8, v8, 6, v3
	v_lshlrev_b64 v[3:4], 3, v[4:5]
	v_mov_b32_e32 v7, v1
	v_lshlrev_b64 v[10:11], 3, v[10:11]
	v_lshl_or_b32 v15, v2, 8, v14
	v_add_nc_u32_e32 v16, 0x800, v8
	s_waitcnt lgkmcnt(0)
	v_add_co_u32 v2, vcc_lo, v3, s10
	v_add_co_ci_u32_e32 v3, vcc_lo, s11, v4, vcc_lo
	v_mov_b32_e32 v8, v1
	v_mov_b32_e32 v14, v1
	v_add_co_u32 v4, vcc_lo, v10, s12
	v_add_co_ci_u32_e32 v5, vcc_lo, s13, v11, vcc_lo
	v_add_co_u32 v2, vcc_lo, v2, 4
	v_add_co_ci_u32_e32 v3, vcc_lo, 0, v3, vcc_lo
	s_delay_alu instid0(VALU_DEP_4) | instskip(NEXT) | instid1(VALU_DEP_4)
	v_add_co_u32 v4, vcc_lo, v4, 4
	v_add_co_ci_u32_e32 v5, vcc_lo, 0, v5, vcc_lo
	v_mov_b32_e32 v11, v1
	v_mov_b32_e32 v10, v1
.LBB802_2:                              ; =>This Inner Loop Header: Depth=1
	global_load_b64 v[18:19], v[2:3], off offset:-4
	global_load_b64 v[20:21], v[4:5], off offset:-4
	v_add_co_u32 v2, vcc_lo, v2, 64
	v_add_co_ci_u32_e32 v3, vcc_lo, 0, v3, vcc_lo
	v_add_co_u32 v4, vcc_lo, v4, 64
	v_add_co_ci_u32_e32 v5, vcc_lo, 0, v5, vcc_lo
	s_add_i32 s19, s19, 8
	s_waitcnt vmcnt(1)
	ds_store_b64 v15, v[18:19]
	s_waitcnt vmcnt(0)
	ds_store_b64 v16, v[20:21]
	s_waitcnt lgkmcnt(0)
	s_barrier
	buffer_gl0_inv
	ds_load_2addr_b64 v[18:21], v12 offset1:16
	ds_load_b128 v[22:25], v13
	ds_load_b128 v[26:29], v13 offset:1024
	ds_load_b128 v[30:33], v13 offset:16
	ds_load_2addr_b64 v[34:37], v12 offset0:32 offset1:48
	ds_load_b128 v[38:41], v13 offset:32
	ds_load_b128 v[42:45], v13 offset:48
	ds_load_2addr_b64 v[46:49], v12 offset0:64 offset1:80
	ds_load_b128 v[50:53], v13 offset:1040
	ds_load_2addr_b64 v[54:57], v12 offset0:96 offset1:112
	ds_load_2addr_b64 v[58:61], v12 offset0:128 offset1:144
	;; [unrolled: 1-line block ×4, first 2 shown]
	ds_load_b128 v[70:73], v13 offset:1056
	ds_load_b128 v[74:77], v13 offset:1072
	ds_load_2addr_b64 v[78:81], v12 offset0:224 offset1:240
	s_cmp_ge_i32 s19, s17
	s_waitcnt lgkmcnt(0)
	s_barrier
	buffer_gl0_inv
	v_dual_mul_f32 v82, v23, v19 :: v_dual_mul_f32 v85, v22, v21
	v_dual_mul_f32 v83, v22, v19 :: v_dual_mul_f32 v84, v23, v21
	v_mul_f32_e32 v86, v27, v19
	v_dual_mul_f32 v19, v26, v19 :: v_dual_mul_f32 v90, v25, v37
	v_dual_mul_f32 v87, v27, v21 :: v_dual_mul_f32 v88, v25, v35
	v_mul_f32_e32 v21, v26, v21
	v_fma_f32 v82, v22, v18, -v82
	v_fmac_f32_e32 v83, v23, v18
	v_fma_f32 v22, v22, v20, -v84
	v_fmac_f32_e32 v85, v23, v20
	v_fma_f32 v23, v26, v18, -v86
	v_dual_fmac_f32 v19, v27, v18 :: v_dual_mul_f32 v86, v30, v47
	v_fma_f32 v18, v26, v20, -v87
	v_dual_fmac_f32 v21, v27, v20 :: v_dual_mul_f32 v20, v24, v37
	v_mul_f32_e32 v89, v24, v35
	v_mul_f32_e32 v26, v29, v35
	;; [unrolled: 1-line block ×4, first 2 shown]
	v_fmac_f32_e32 v20, v25, v36
	v_fmac_f32_e32 v89, v25, v34
	v_dual_mul_f32 v25, v28, v37 :: v_dual_fmac_f32 v86, v31, v46
	v_fma_f32 v84, v24, v34, -v88
	v_fma_f32 v24, v24, v36, -v90
	v_dual_mul_f32 v37, v31, v47 :: v_dual_mul_f32 v90, v33, v57
	v_fma_f32 v26, v28, v34, -v26
	v_fma_f32 v28, v28, v36, -v35
	v_fmac_f32_e32 v25, v29, v36
	v_dual_mul_f32 v35, v50, v47 :: v_dual_mul_f32 v36, v51, v49
	v_dual_fmac_f32 v27, v29, v34 :: v_dual_mul_f32 v34, v51, v47
	v_dual_mul_f32 v88, v32, v55 :: v_dual_mul_f32 v29, v30, v49
	v_mul_f32_e32 v87, v31, v49
	v_fma_f32 v37, v30, v46, -v37
	v_add_f32_e32 v14, v14, v82
	s_delay_alu instid0(VALU_DEP_4)
	v_dual_fmac_f32 v88, v33, v54 :: v_dual_fmac_f32 v29, v31, v48
	v_fma_f32 v31, v50, v46, -v34
	v_fma_f32 v34, v50, v48, -v36
	v_mul_f32_e32 v36, v32, v57
	v_mul_f32_e32 v47, v50, v49
	v_dual_mul_f32 v50, v53, v57 :: v_dual_fmac_f32 v35, v51, v46
	v_mul_f32_e32 v46, v53, v55
	v_mul_f32_e32 v49, v33, v55
	v_fma_f32 v30, v30, v48, -v87
	v_fmac_f32_e32 v36, v33, v56
	v_dual_fmac_f32 v47, v51, v48 :: v_dual_mul_f32 v48, v52, v55
	v_mul_f32_e32 v33, v52, v57
	v_fma_f32 v46, v52, v54, -v46
	v_fma_f32 v50, v52, v56, -v50
	v_mul_f32_e32 v52, v38, v61
	v_fma_f32 v49, v32, v54, -v49
	v_fma_f32 v32, v32, v56, -v90
	v_dual_mul_f32 v51, v39, v59 :: v_dual_fmac_f32 v48, v53, v54
	v_mul_f32_e32 v54, v70, v59
	v_dual_mul_f32 v55, v38, v59 :: v_dual_fmac_f32 v52, v39, v60
	v_fmac_f32_e32 v33, v53, v56
	v_mul_f32_e32 v53, v71, v59
	v_mul_f32_e32 v56, v71, v61
	;; [unrolled: 1-line block ×3, first 2 shown]
	v_fmac_f32_e32 v54, v71, v58
	v_fmac_f32_e32 v55, v39, v58
	v_fma_f32 v39, v70, v58, -v53
	v_fma_f32 v53, v70, v60, -v56
	v_mul_f32_e32 v56, v40, v65
	v_mul_f32_e32 v59, v70, v61
	v_fma_f32 v51, v38, v58, -v51
	v_mul_f32_e32 v58, v72, v63
	v_mul_f32_e32 v87, v40, v63
	;; [unrolled: 1-line block ×4, first 2 shown]
	v_fma_f32 v38, v38, v60, -v57
	v_mul_f32_e32 v57, v73, v63
	v_fmac_f32_e32 v56, v41, v64
	v_dual_fmac_f32 v59, v71, v60 :: v_dual_mul_f32 v60, v73, v65
	v_mul_f32_e32 v63, v43, v67
	v_mul_f32_e32 v70, v43, v69
	v_fmac_f32_e32 v58, v73, v62
	v_fmac_f32_e32 v87, v41, v62
	v_mul_f32_e32 v41, v72, v65
	v_fma_f32 v61, v40, v62, -v61
	v_fma_f32 v40, v40, v64, -v90
	v_mul_f32_e32 v65, v42, v67
	v_fma_f32 v57, v72, v62, -v57
	v_fma_f32 v60, v72, v64, -v60
	v_dual_fmac_f32 v41, v73, v64 :: v_dual_mul_f32 v62, v42, v69
	v_mul_f32_e32 v64, v75, v67
	v_fma_f32 v63, v42, v66, -v63
	v_fma_f32 v42, v42, v68, -v70
	v_mul_f32_e32 v70, v76, v79
	v_mul_f32_e32 v67, v74, v67
	;; [unrolled: 1-line block ×3, first 2 shown]
	v_dual_mul_f32 v69, v74, v69 :: v_dual_add_f32 v8, v8, v23
	v_dual_mul_f32 v73, v44, v79 :: v_dual_add_f32 v10, v10, v22
	v_dual_fmac_f32 v65, v43, v66 :: v_dual_add_f32 v14, v14, v84
	v_fmac_f32_e32 v62, v43, v68
	v_fma_f32 v43, v74, v66, -v64
	v_fmac_f32_e32 v70, v77, v78
	v_dual_fmac_f32 v67, v75, v66 :: v_dual_add_f32 v10, v10, v24
	v_mul_f32_e32 v66, v44, v81
	v_mul_f32_e32 v72, v45, v79
	v_dual_mul_f32 v90, v45, v81 :: v_dual_fmac_f32 v69, v75, v68
	v_add_f32_e32 v0, v0, v18
	v_fmac_f32_e32 v73, v45, v78
	v_dual_fmac_f32 v66, v45, v80 :: v_dual_mul_f32 v45, v76, v81
	v_add_f32_e32 v10, v10, v30
	v_fma_f32 v64, v74, v68, -v71
	v_dual_mul_f32 v71, v77, v81 :: v_dual_add_f32 v8, v8, v26
	s_delay_alu instid0(VALU_DEP_4)
	v_dual_fmac_f32 v45, v77, v80 :: v_dual_add_f32 v14, v14, v37
	v_add_f32_e32 v11, v11, v85
	v_add_f32_e32 v7, v7, v19
	v_dual_add_f32 v1, v1, v21 :: v_dual_add_f32 v10, v10, v32
	v_dual_add_f32 v0, v0, v28 :: v_dual_add_f32 v17, v17, v83
	v_add_f32_e32 v8, v8, v31
	s_delay_alu instid0(VALU_DEP_4) | instskip(NEXT) | instid1(VALU_DEP_4)
	v_dual_add_f32 v14, v14, v49 :: v_dual_add_f32 v7, v7, v27
	v_dual_add_f32 v10, v10, v38 :: v_dual_add_f32 v1, v1, v25
	s_delay_alu instid0(VALU_DEP_4) | instskip(NEXT) | instid1(VALU_DEP_3)
	v_add_f32_e32 v0, v0, v34
	v_dual_add_f32 v14, v14, v51 :: v_dual_add_f32 v17, v17, v89
	v_dual_add_f32 v8, v8, v46 :: v_dual_add_f32 v11, v11, v20
	s_delay_alu instid0(VALU_DEP_3) | instskip(NEXT) | instid1(VALU_DEP_2)
	v_dual_add_f32 v0, v0, v50 :: v_dual_add_f32 v7, v7, v35
	v_dual_add_f32 v17, v17, v86 :: v_dual_add_f32 v8, v8, v39
	s_delay_alu instid0(VALU_DEP_3) | instskip(SKIP_1) | instid1(VALU_DEP_3)
	v_dual_add_f32 v11, v11, v29 :: v_dual_add_f32 v10, v10, v40
	v_dual_add_f32 v1, v1, v47 :: v_dual_add_f32 v14, v14, v61
	;; [unrolled: 1-line block ×3, first 2 shown]
	s_delay_alu instid0(VALU_DEP_3) | instskip(NEXT) | instid1(VALU_DEP_3)
	v_dual_add_f32 v11, v11, v36 :: v_dual_add_f32 v0, v0, v53
	v_dual_add_f32 v14, v14, v63 :: v_dual_add_f32 v7, v7, v48
	s_delay_alu instid0(VALU_DEP_4) | instskip(NEXT) | instid1(VALU_DEP_3)
	v_dual_add_f32 v10, v10, v42 :: v_dual_add_f32 v1, v1, v33
	v_add_f32_e32 v0, v0, v60
	v_mul_f32_e32 v68, v77, v79
	v_fma_f32 v72, v44, v78, -v72
	v_fma_f32 v44, v44, v80, -v90
	s_delay_alu instid0(VALU_DEP_4) | instskip(SKIP_1) | instid1(VALU_DEP_4)
	v_dual_add_f32 v17, v17, v55 :: v_dual_add_f32 v0, v0, v64
	v_dual_add_f32 v11, v11, v52 :: v_dual_add_f32 v8, v8, v43
	;; [unrolled: 1-line block ×3, first 2 shown]
	s_delay_alu instid0(VALU_DEP_4)
	v_dual_add_f32 v1, v1, v59 :: v_dual_add_f32 v10, v10, v44
	v_fma_f32 v68, v76, v78, -v68
	v_fma_f32 v71, v76, v80, -v71
	v_add_f32_e32 v17, v17, v87
	v_add_f32_e32 v11, v11, v56
	;; [unrolled: 1-line block ×3, first 2 shown]
	s_delay_alu instid0(VALU_DEP_4) | instskip(NEXT) | instid1(VALU_DEP_4)
	v_dual_add_f32 v1, v1, v41 :: v_dual_add_f32 v0, v0, v71
	v_dual_add_f32 v8, v8, v68 :: v_dual_add_f32 v17, v17, v65
	s_delay_alu instid0(VALU_DEP_4) | instskip(NEXT) | instid1(VALU_DEP_4)
	v_add_f32_e32 v11, v11, v62
	v_add_f32_e32 v7, v7, v67
	s_delay_alu instid0(VALU_DEP_4) | instskip(NEXT) | instid1(VALU_DEP_4)
	v_add_f32_e32 v1, v1, v69
	v_add_f32_e32 v17, v17, v73
	;; [unrolled: 3-line block ×3, first 2 shown]
	s_delay_alu instid0(VALU_DEP_4)
	v_add_f32_e32 v1, v1, v45
	s_cbranch_scc0 .LBB802_2
.LBB802_3:
	s_waitcnt lgkmcnt(0)
	s_load_b32 s10, s[0:1], 0x50
	v_add_nc_u32_e32 v9, s7, v9
	v_add_nc_u32_e32 v2, s6, v6
	s_delay_alu instid0(VALU_DEP_1) | instskip(SKIP_1) | instid1(VALU_DEP_2)
	v_cmp_le_i32_e64 s0, v9, v2
	v_cmp_gt_i32_e32 vcc_lo, s16, v2
	s_and_b32 s0, s0, vcc_lo
	s_waitcnt lgkmcnt(0)
	v_mad_i64_i32 v[3:4], null, v9, s10, 0
	s_delay_alu instid0(VALU_DEP_1) | instskip(NEXT) | instid1(VALU_DEP_1)
	v_lshlrev_b64 v[3:4], 3, v[3:4]
	v_add_co_u32 v6, s1, s2, v3
	s_delay_alu instid0(VALU_DEP_1)
	v_add_co_ci_u32_e64 v12, s1, s3, v4, s1
	s_and_saveexec_b32 s1, s0
	s_cbranch_execz .LBB802_6
; %bb.4:
	v_ashrrev_i32_e32 v3, 31, v2
	s_delay_alu instid0(VALU_DEP_1) | instskip(NEXT) | instid1(VALU_DEP_1)
	v_lshlrev_b64 v[3:4], 3, v[2:3]
	v_add_co_u32 v3, s0, v6, v3
	s_delay_alu instid0(VALU_DEP_1)
	v_add_co_ci_u32_e64 v4, s0, v12, v4, s0
	v_cmp_eq_u32_e64 s0, v9, v2
	global_load_b64 v[15:16], v[3:4], off
	v_mul_f32_e32 v5, s9, v17
	s_waitcnt vmcnt(0)
	v_mul_f32_e32 v13, s5, v16
	v_dual_mul_f32 v16, s4, v16 :: v_dual_mul_f32 v17, s8, v17
	s_delay_alu instid0(VALU_DEP_3) | instskip(NEXT) | instid1(VALU_DEP_3)
	v_fma_f32 v5, v14, s8, -v5
	v_fma_f32 v13, v15, s4, -v13
	s_delay_alu instid0(VALU_DEP_3) | instskip(NEXT) | instid1(VALU_DEP_2)
	v_dual_fmac_f32 v16, s5, v15 :: v_dual_fmac_f32 v17, s9, v14
	v_add_f32_e32 v13, v5, v13
	s_delay_alu instid0(VALU_DEP_2)
	v_add_f32_e32 v14, v17, v16
	global_store_b64 v[3:4], v[13:14], off
	s_and_b32 exec_lo, exec_lo, s0
	s_cbranch_execz .LBB802_6
; %bb.5:
	v_mov_b32_e32 v5, 0
	global_store_b32 v[3:4], v5, off offset:4
.LBB802_6:
	s_or_b32 exec_lo, exec_lo, s1
	v_add_nc_u32_e32 v4, 16, v2
	s_delay_alu instid0(VALU_DEP_1) | instskip(SKIP_1) | instid1(VALU_DEP_1)
	v_cmp_le_i32_e64 s1, v9, v4
	v_cmp_gt_i32_e64 s0, s16, v4
	s_and_b32 s1, s1, s0
	s_delay_alu instid0(SALU_CYCLE_1)
	s_and_saveexec_b32 s6, s1
	s_cbranch_execz .LBB802_9
; %bb.7:
	v_ashrrev_i32_e32 v5, 31, v4
	s_delay_alu instid0(VALU_DEP_1) | instskip(NEXT) | instid1(VALU_DEP_1)
	v_lshlrev_b64 v[13:14], 3, v[4:5]
	v_add_co_u32 v5, s1, v6, v13
	s_delay_alu instid0(VALU_DEP_1)
	v_add_co_ci_u32_e64 v6, s1, v12, v14, s1
	v_cmp_eq_u32_e64 s1, v9, v4
	global_load_b64 v[12:13], v[5:6], off
	s_waitcnt vmcnt(0)
	v_dual_mul_f32 v3, s9, v11 :: v_dual_mul_f32 v14, s5, v13
	v_mul_f32_e32 v13, s4, v13
	s_delay_alu instid0(VALU_DEP_2) | instskip(SKIP_1) | instid1(VALU_DEP_3)
	v_fma_f32 v3, v10, s8, -v3
	v_mul_f32_e32 v11, s8, v11
	v_fmac_f32_e32 v13, s5, v12
	s_delay_alu instid0(VALU_DEP_2) | instskip(SKIP_1) | instid1(VALU_DEP_2)
	v_fmac_f32_e32 v11, s9, v10
	v_fma_f32 v10, v12, s4, -v14
	v_add_f32_e32 v11, v11, v13
	s_delay_alu instid0(VALU_DEP_2)
	v_add_f32_e32 v10, v3, v10
	global_store_b64 v[5:6], v[10:11], off
	s_and_b32 exec_lo, exec_lo, s1
	s_cbranch_execz .LBB802_9
; %bb.8:
	v_mov_b32_e32 v3, 0
	global_store_b32 v[5:6], v3, off offset:4
.LBB802_9:
	s_or_b32 exec_lo, exec_lo, s6
	v_add_nc_u32_e32 v12, 16, v9
	s_delay_alu instid0(VALU_DEP_1) | instskip(SKIP_1) | instid1(VALU_DEP_2)
	v_mad_i64_i32 v[5:6], null, v12, s10, 0
	v_cmp_le_i32_e64 s1, v12, v2
	v_lshlrev_b64 v[5:6], 3, v[5:6]
	s_delay_alu instid0(VALU_DEP_1) | instskip(NEXT) | instid1(VALU_DEP_1)
	v_add_co_u32 v10, s2, s2, v5
	v_add_co_ci_u32_e64 v11, s2, s3, v6, s2
	s_delay_alu instid0(VALU_DEP_4) | instskip(NEXT) | instid1(SALU_CYCLE_1)
	s_and_b32 s2, s1, vcc_lo
	s_and_saveexec_b32 s1, s2
	s_cbranch_execz .LBB802_12
; %bb.10:
	v_ashrrev_i32_e32 v3, 31, v2
	s_delay_alu instid0(VALU_DEP_1) | instskip(NEXT) | instid1(VALU_DEP_1)
	v_lshlrev_b64 v[5:6], 3, v[2:3]
	v_add_co_u32 v5, vcc_lo, v10, v5
	s_delay_alu instid0(VALU_DEP_2)
	v_add_co_ci_u32_e32 v6, vcc_lo, v11, v6, vcc_lo
	v_cmp_eq_u32_e32 vcc_lo, v12, v2
	global_load_b64 v[13:14], v[5:6], off
	v_mul_f32_e32 v3, s9, v7
	v_mul_f32_e32 v15, s8, v7
	s_waitcnt vmcnt(0)
	v_mul_f32_e32 v7, s5, v14
	v_mul_f32_e32 v14, s4, v14
	v_fma_f32 v3, v8, s8, -v3
	s_delay_alu instid0(VALU_DEP_3) | instskip(NEXT) | instid1(VALU_DEP_3)
	v_fma_f32 v7, v13, s4, -v7
	v_dual_fmac_f32 v14, s5, v13 :: v_dual_fmac_f32 v15, s9, v8
	s_delay_alu instid0(VALU_DEP_2) | instskip(NEXT) | instid1(VALU_DEP_2)
	v_add_f32_e32 v7, v3, v7
	v_add_f32_e32 v8, v15, v14
	global_store_b64 v[5:6], v[7:8], off
	s_and_b32 exec_lo, exec_lo, vcc_lo
	s_cbranch_execz .LBB802_12
; %bb.11:
	v_mov_b32_e32 v3, 0
	global_store_b32 v[5:6], v3, off offset:4
.LBB802_12:
	s_or_b32 exec_lo, exec_lo, s1
	v_cmp_le_i32_e32 vcc_lo, v12, v4
	s_and_b32 s0, vcc_lo, s0
	s_delay_alu instid0(SALU_CYCLE_1)
	s_and_saveexec_b32 s1, s0
	s_cbranch_execz .LBB802_15
; %bb.13:
	v_ashrrev_i32_e32 v5, 31, v4
	s_delay_alu instid0(VALU_DEP_1) | instskip(NEXT) | instid1(VALU_DEP_1)
	v_lshlrev_b64 v[3:4], 3, v[4:5]
	v_add_co_u32 v3, vcc_lo, v10, v3
	s_delay_alu instid0(VALU_DEP_2)
	v_add_co_ci_u32_e32 v4, vcc_lo, v11, v4, vcc_lo
	v_cmp_eq_u32_e32 vcc_lo, v9, v2
	global_load_b64 v[5:6], v[3:4], off
	v_mul_f32_e32 v7, s9, v1
	s_waitcnt vmcnt(0)
	v_dual_mul_f32 v1, s8, v1 :: v_dual_mul_f32 v8, s5, v6
	v_mul_f32_e32 v6, s4, v6
	s_delay_alu instid0(VALU_DEP_3) | instskip(NEXT) | instid1(VALU_DEP_3)
	v_fma_f32 v7, v0, s8, -v7
	v_fmac_f32_e32 v1, s9, v0
	s_delay_alu instid0(VALU_DEP_4) | instskip(NEXT) | instid1(VALU_DEP_4)
	v_fma_f32 v0, v5, s4, -v8
	v_fmac_f32_e32 v6, s5, v5
	s_delay_alu instid0(VALU_DEP_1)
	v_dual_add_f32 v0, v7, v0 :: v_dual_add_f32 v1, v1, v6
	global_store_b64 v[3:4], v[0:1], off
	s_and_b32 exec_lo, exec_lo, vcc_lo
	s_cbranch_execz .LBB802_15
; %bb.14:
	v_mov_b32_e32 v0, 0
	global_store_b32 v[3:4], v0, off offset:4
.LBB802_15:
	s_nop 0
	s_sendmsg sendmsg(MSG_DEALLOC_VGPRS)
	s_endpgm
	.section	.rodata,"a",@progbits
	.p2align	6, 0x0
	.amdhsa_kernel _ZL37rocblas_syrkx_herkx_restricted_kernelIi19rocblas_complex_numIfELi16ELi32ELi8ELb0ELb1ELc84ELc76EKPKS1_KPS1_EviT_T0_PT8_S7_lSA_S7_lS8_PT9_S7_li
		.amdhsa_group_segment_fixed_size 4096
		.amdhsa_private_segment_fixed_size 0
		.amdhsa_kernarg_size 100
		.amdhsa_user_sgpr_count 13
		.amdhsa_user_sgpr_dispatch_ptr 0
		.amdhsa_user_sgpr_queue_ptr 0
		.amdhsa_user_sgpr_kernarg_segment_ptr 1
		.amdhsa_user_sgpr_dispatch_id 0
		.amdhsa_user_sgpr_private_segment_size 0
		.amdhsa_wavefront_size32 1
		.amdhsa_uses_dynamic_stack 0
		.amdhsa_enable_private_segment 0
		.amdhsa_system_sgpr_workgroup_id_x 1
		.amdhsa_system_sgpr_workgroup_id_y 1
		.amdhsa_system_sgpr_workgroup_id_z 1
		.amdhsa_system_sgpr_workgroup_info 0
		.amdhsa_system_vgpr_workitem_id 1
		.amdhsa_next_free_vgpr 91
		.amdhsa_next_free_sgpr 22
		.amdhsa_reserve_vcc 1
		.amdhsa_float_round_mode_32 0
		.amdhsa_float_round_mode_16_64 0
		.amdhsa_float_denorm_mode_32 3
		.amdhsa_float_denorm_mode_16_64 3
		.amdhsa_dx10_clamp 1
		.amdhsa_ieee_mode 1
		.amdhsa_fp16_overflow 0
		.amdhsa_workgroup_processor_mode 1
		.amdhsa_memory_ordered 1
		.amdhsa_forward_progress 0
		.amdhsa_shared_vgpr_count 0
		.amdhsa_exception_fp_ieee_invalid_op 0
		.amdhsa_exception_fp_denorm_src 0
		.amdhsa_exception_fp_ieee_div_zero 0
		.amdhsa_exception_fp_ieee_overflow 0
		.amdhsa_exception_fp_ieee_underflow 0
		.amdhsa_exception_fp_ieee_inexact 0
		.amdhsa_exception_int_div_zero 0
	.end_amdhsa_kernel
	.section	.text._ZL37rocblas_syrkx_herkx_restricted_kernelIi19rocblas_complex_numIfELi16ELi32ELi8ELb0ELb1ELc84ELc76EKPKS1_KPS1_EviT_T0_PT8_S7_lSA_S7_lS8_PT9_S7_li,"axG",@progbits,_ZL37rocblas_syrkx_herkx_restricted_kernelIi19rocblas_complex_numIfELi16ELi32ELi8ELb0ELb1ELc84ELc76EKPKS1_KPS1_EviT_T0_PT8_S7_lSA_S7_lS8_PT9_S7_li,comdat
.Lfunc_end802:
	.size	_ZL37rocblas_syrkx_herkx_restricted_kernelIi19rocblas_complex_numIfELi16ELi32ELi8ELb0ELb1ELc84ELc76EKPKS1_KPS1_EviT_T0_PT8_S7_lSA_S7_lS8_PT9_S7_li, .Lfunc_end802-_ZL37rocblas_syrkx_herkx_restricted_kernelIi19rocblas_complex_numIfELi16ELi32ELi8ELb0ELb1ELc84ELc76EKPKS1_KPS1_EviT_T0_PT8_S7_lSA_S7_lS8_PT9_S7_li
                                        ; -- End function
	.section	.AMDGPU.csdata,"",@progbits
; Kernel info:
; codeLenInByte = 2388
; NumSgprs: 24
; NumVgprs: 91
; ScratchSize: 0
; MemoryBound: 0
; FloatMode: 240
; IeeeMode: 1
; LDSByteSize: 4096 bytes/workgroup (compile time only)
; SGPRBlocks: 2
; VGPRBlocks: 11
; NumSGPRsForWavesPerEU: 24
; NumVGPRsForWavesPerEU: 91
; Occupancy: 16
; WaveLimiterHint : 1
; COMPUTE_PGM_RSRC2:SCRATCH_EN: 0
; COMPUTE_PGM_RSRC2:USER_SGPR: 13
; COMPUTE_PGM_RSRC2:TRAP_HANDLER: 0
; COMPUTE_PGM_RSRC2:TGID_X_EN: 1
; COMPUTE_PGM_RSRC2:TGID_Y_EN: 1
; COMPUTE_PGM_RSRC2:TGID_Z_EN: 1
; COMPUTE_PGM_RSRC2:TIDIG_COMP_CNT: 1
	.section	.text._ZL37rocblas_syrkx_herkx_restricted_kernelIi19rocblas_complex_numIfELi16ELi32ELi8ELb0ELb1ELc67ELc76EKPKS1_KPS1_EviT_T0_PT8_S7_lSA_S7_lS8_PT9_S7_li,"axG",@progbits,_ZL37rocblas_syrkx_herkx_restricted_kernelIi19rocblas_complex_numIfELi16ELi32ELi8ELb0ELb1ELc67ELc76EKPKS1_KPS1_EviT_T0_PT8_S7_lSA_S7_lS8_PT9_S7_li,comdat
	.globl	_ZL37rocblas_syrkx_herkx_restricted_kernelIi19rocblas_complex_numIfELi16ELi32ELi8ELb0ELb1ELc67ELc76EKPKS1_KPS1_EviT_T0_PT8_S7_lSA_S7_lS8_PT9_S7_li ; -- Begin function _ZL37rocblas_syrkx_herkx_restricted_kernelIi19rocblas_complex_numIfELi16ELi32ELi8ELb0ELb1ELc67ELc76EKPKS1_KPS1_EviT_T0_PT8_S7_lSA_S7_lS8_PT9_S7_li
	.p2align	8
	.type	_ZL37rocblas_syrkx_herkx_restricted_kernelIi19rocblas_complex_numIfELi16ELi32ELi8ELb0ELb1ELc67ELc76EKPKS1_KPS1_EviT_T0_PT8_S7_lSA_S7_lS8_PT9_S7_li,@function
_ZL37rocblas_syrkx_herkx_restricted_kernelIi19rocblas_complex_numIfELi16ELi32ELi8ELb0ELb1ELc67ELc76EKPKS1_KPS1_EviT_T0_PT8_S7_lSA_S7_lS8_PT9_S7_li: ; @_ZL37rocblas_syrkx_herkx_restricted_kernelIi19rocblas_complex_numIfELi16ELi32ELi8ELb0ELb1ELc67ELc76EKPKS1_KPS1_EviT_T0_PT8_S7_lSA_S7_lS8_PT9_S7_li
; %bb.0:
	s_clause 0x1
	s_load_b128 s[4:7], s[0:1], 0x40
	s_load_b64 s[16:17], s[0:1], 0x0
	s_mov_b32 s18, s15
	s_mov_b32 s19, 0
	v_dual_mov_b32 v17, 0 :: v_dual_and_b32 v6, 0x3ff, v0
	s_lshl_b64 s[20:21], s[18:19], 3
	v_bfe_u32 v9, v0, 10, 10
	v_dual_mov_b32 v14, 0 :: v_dual_mov_b32 v11, 0
	v_dual_mov_b32 v10, 0 :: v_dual_mov_b32 v7, 0
	;; [unrolled: 1-line block ×3, first 2 shown]
	v_mov_b32_e32 v0, 0
	s_waitcnt lgkmcnt(0)
	s_add_u32 s2, s6, s20
	s_addc_u32 s3, s7, s21
	s_load_b128 s[8:11], s[0:1], 0x8
	s_load_b64 s[2:3], s[2:3], 0x0
	s_lshl_b32 s6, s13, 5
	s_lshl_b32 s7, s14, 5
	s_cmp_lt_i32 s17, 1
	s_cbranch_scc1 .LBB803_3
; %bb.1:
	s_clause 0x2
	s_load_b64 s[12:13], s[0:1], 0x28
	s_load_b32 s14, s[0:1], 0x18
	s_load_b32 s15, s[0:1], 0x30
	v_lshl_add_u32 v2, v9, 4, v6
	v_dual_mov_b32 v1, 0 :: v_dual_and_b32 v0, 7, v6
	s_waitcnt lgkmcnt(0)
	s_add_u32 s10, s10, s20
	s_addc_u32 s11, s11, s21
	v_and_b32_e32 v7, 31, v2
	v_lshrrev_b32_e32 v8, 3, v2
	s_load_b64 s[10:11], s[10:11], 0x0
	v_dual_mov_b32 v3, v1 :: v_dual_lshlrev_b32 v12, 3, v6
	v_lshrrev_b32_e32 v2, 5, v2
	v_add_nc_u32_e32 v10, s6, v7
	v_add_nc_u32_e32 v14, s7, v8
	v_lshl_add_u32 v13, v9, 6, 0x800
	v_mov_b32_e32 v17, v1
	s_add_u32 s12, s12, s20
	s_addc_u32 s13, s13, s21
	v_mad_i64_i32 v[4:5], null, s14, v10, v[2:3]
	s_load_b64 s[12:13], s[12:13], 0x0
	v_lshlrev_b32_e32 v3, 3, v0
	v_mad_i64_i32 v[10:11], null, s15, v14, v[0:1]
	v_mov_b32_e32 v0, v1
	v_lshlrev_b32_e32 v14, 3, v7
	s_delay_alu instid0(VALU_DEP_4)
	v_lshl_or_b32 v8, v8, 6, v3
	v_lshlrev_b64 v[3:4], 3, v[4:5]
	v_mov_b32_e32 v7, v1
	v_lshlrev_b64 v[10:11], 3, v[10:11]
	v_lshl_or_b32 v15, v2, 8, v14
	v_add_nc_u32_e32 v16, 0x800, v8
	s_waitcnt lgkmcnt(0)
	v_add_co_u32 v2, vcc_lo, v3, s10
	v_add_co_ci_u32_e32 v3, vcc_lo, s11, v4, vcc_lo
	v_mov_b32_e32 v8, v1
	v_mov_b32_e32 v14, v1
	v_add_co_u32 v4, vcc_lo, v10, s12
	v_add_co_ci_u32_e32 v5, vcc_lo, s13, v11, vcc_lo
	v_add_co_u32 v2, vcc_lo, v2, 4
	v_add_co_ci_u32_e32 v3, vcc_lo, 0, v3, vcc_lo
	s_delay_alu instid0(VALU_DEP_4) | instskip(NEXT) | instid1(VALU_DEP_4)
	v_add_co_u32 v4, vcc_lo, v4, 4
	v_add_co_ci_u32_e32 v5, vcc_lo, 0, v5, vcc_lo
	v_mov_b32_e32 v11, v1
	v_mov_b32_e32 v10, v1
.LBB803_2:                              ; =>This Inner Loop Header: Depth=1
	global_load_b64 v[18:19], v[2:3], off offset:-4
	global_load_b64 v[20:21], v[4:5], off offset:-4
	v_add_co_u32 v2, vcc_lo, v2, 64
	v_add_co_ci_u32_e32 v3, vcc_lo, 0, v3, vcc_lo
	v_add_co_u32 v4, vcc_lo, v4, 64
	v_add_co_ci_u32_e32 v5, vcc_lo, 0, v5, vcc_lo
	s_add_i32 s19, s19, 8
	s_delay_alu instid0(SALU_CYCLE_1)
	s_cmp_ge_i32 s19, s17
	s_waitcnt vmcnt(1)
	v_xor_b32_e32 v19, 0x80000000, v19
	ds_store_b64 v15, v[18:19]
	s_waitcnt vmcnt(0)
	ds_store_b64 v16, v[20:21]
	s_waitcnt lgkmcnt(0)
	s_barrier
	buffer_gl0_inv
	ds_load_2addr_b64 v[18:21], v12 offset1:16
	ds_load_b128 v[22:25], v13
	ds_load_b128 v[26:29], v13 offset:1024
	ds_load_b128 v[30:33], v13 offset:16
	ds_load_2addr_b64 v[34:37], v12 offset0:32 offset1:48
	ds_load_b128 v[38:41], v13 offset:32
	ds_load_b128 v[42:45], v13 offset:48
	ds_load_2addr_b64 v[46:49], v12 offset0:64 offset1:80
	ds_load_b128 v[50:53], v13 offset:1040
	ds_load_2addr_b64 v[54:57], v12 offset0:96 offset1:112
	ds_load_2addr_b64 v[58:61], v12 offset0:128 offset1:144
	;; [unrolled: 1-line block ×4, first 2 shown]
	ds_load_b128 v[70:73], v13 offset:1056
	ds_load_b128 v[74:77], v13 offset:1072
	ds_load_2addr_b64 v[78:81], v12 offset0:224 offset1:240
	s_waitcnt lgkmcnt(0)
	s_barrier
	buffer_gl0_inv
	v_dual_mul_f32 v82, v23, v19 :: v_dual_mul_f32 v85, v22, v21
	v_dual_mul_f32 v83, v22, v19 :: v_dual_mul_f32 v84, v23, v21
	v_mul_f32_e32 v86, v27, v19
	v_dual_mul_f32 v19, v26, v19 :: v_dual_mul_f32 v90, v25, v37
	v_dual_mul_f32 v87, v27, v21 :: v_dual_mul_f32 v88, v25, v35
	v_mul_f32_e32 v21, v26, v21
	v_fma_f32 v82, v22, v18, -v82
	v_fmac_f32_e32 v83, v23, v18
	v_fma_f32 v22, v22, v20, -v84
	v_fmac_f32_e32 v85, v23, v20
	v_fma_f32 v23, v26, v18, -v86
	v_dual_fmac_f32 v19, v27, v18 :: v_dual_mul_f32 v86, v30, v47
	v_fma_f32 v18, v26, v20, -v87
	v_dual_fmac_f32 v21, v27, v20 :: v_dual_mul_f32 v20, v24, v37
	v_mul_f32_e32 v89, v24, v35
	v_mul_f32_e32 v26, v29, v35
	v_mul_f32_e32 v27, v28, v35
	v_mul_f32_e32 v35, v29, v37
	v_fmac_f32_e32 v20, v25, v36
	v_fmac_f32_e32 v89, v25, v34
	v_dual_mul_f32 v25, v28, v37 :: v_dual_fmac_f32 v86, v31, v46
	v_fma_f32 v84, v24, v34, -v88
	v_fma_f32 v24, v24, v36, -v90
	v_dual_mul_f32 v37, v31, v47 :: v_dual_mul_f32 v90, v33, v57
	v_fma_f32 v26, v28, v34, -v26
	v_fma_f32 v28, v28, v36, -v35
	v_fmac_f32_e32 v25, v29, v36
	v_dual_mul_f32 v35, v50, v47 :: v_dual_mul_f32 v36, v51, v49
	v_dual_fmac_f32 v27, v29, v34 :: v_dual_mul_f32 v34, v51, v47
	v_dual_mul_f32 v88, v32, v55 :: v_dual_mul_f32 v29, v30, v49
	v_mul_f32_e32 v87, v31, v49
	v_fma_f32 v37, v30, v46, -v37
	v_add_f32_e32 v14, v14, v82
	s_delay_alu instid0(VALU_DEP_4)
	v_dual_fmac_f32 v88, v33, v54 :: v_dual_fmac_f32 v29, v31, v48
	v_fma_f32 v31, v50, v46, -v34
	v_fma_f32 v34, v50, v48, -v36
	v_mul_f32_e32 v36, v32, v57
	v_mul_f32_e32 v47, v50, v49
	v_dual_mul_f32 v50, v53, v57 :: v_dual_fmac_f32 v35, v51, v46
	v_mul_f32_e32 v46, v53, v55
	v_mul_f32_e32 v49, v33, v55
	v_fma_f32 v30, v30, v48, -v87
	v_fmac_f32_e32 v36, v33, v56
	v_dual_fmac_f32 v47, v51, v48 :: v_dual_mul_f32 v48, v52, v55
	v_mul_f32_e32 v33, v52, v57
	v_fma_f32 v46, v52, v54, -v46
	v_fma_f32 v50, v52, v56, -v50
	v_mul_f32_e32 v52, v38, v61
	v_fma_f32 v49, v32, v54, -v49
	v_fma_f32 v32, v32, v56, -v90
	v_dual_mul_f32 v51, v39, v59 :: v_dual_fmac_f32 v48, v53, v54
	v_mul_f32_e32 v54, v70, v59
	v_dual_mul_f32 v55, v38, v59 :: v_dual_fmac_f32 v52, v39, v60
	v_fmac_f32_e32 v33, v53, v56
	v_mul_f32_e32 v53, v71, v59
	v_mul_f32_e32 v56, v71, v61
	;; [unrolled: 1-line block ×3, first 2 shown]
	v_fmac_f32_e32 v54, v71, v58
	v_fmac_f32_e32 v55, v39, v58
	v_fma_f32 v39, v70, v58, -v53
	v_fma_f32 v53, v70, v60, -v56
	v_mul_f32_e32 v56, v40, v65
	v_mul_f32_e32 v59, v70, v61
	v_fma_f32 v51, v38, v58, -v51
	v_mul_f32_e32 v58, v72, v63
	v_mul_f32_e32 v87, v40, v63
	;; [unrolled: 1-line block ×4, first 2 shown]
	v_fma_f32 v38, v38, v60, -v57
	v_mul_f32_e32 v57, v73, v63
	v_fmac_f32_e32 v56, v41, v64
	v_dual_fmac_f32 v59, v71, v60 :: v_dual_mul_f32 v60, v73, v65
	v_mul_f32_e32 v63, v43, v67
	v_mul_f32_e32 v70, v43, v69
	v_fmac_f32_e32 v58, v73, v62
	v_fmac_f32_e32 v87, v41, v62
	v_mul_f32_e32 v41, v72, v65
	v_fma_f32 v61, v40, v62, -v61
	v_fma_f32 v40, v40, v64, -v90
	v_mul_f32_e32 v65, v42, v67
	v_fma_f32 v57, v72, v62, -v57
	v_fma_f32 v60, v72, v64, -v60
	v_dual_fmac_f32 v41, v73, v64 :: v_dual_mul_f32 v62, v42, v69
	v_mul_f32_e32 v64, v75, v67
	v_fma_f32 v63, v42, v66, -v63
	v_fma_f32 v42, v42, v68, -v70
	v_mul_f32_e32 v70, v76, v79
	v_mul_f32_e32 v67, v74, v67
	;; [unrolled: 1-line block ×3, first 2 shown]
	v_dual_mul_f32 v69, v74, v69 :: v_dual_add_f32 v8, v8, v23
	v_dual_mul_f32 v73, v44, v79 :: v_dual_add_f32 v10, v10, v22
	v_dual_fmac_f32 v65, v43, v66 :: v_dual_add_f32 v14, v14, v84
	v_fmac_f32_e32 v62, v43, v68
	v_fma_f32 v43, v74, v66, -v64
	v_fmac_f32_e32 v70, v77, v78
	v_dual_fmac_f32 v67, v75, v66 :: v_dual_add_f32 v10, v10, v24
	v_mul_f32_e32 v66, v44, v81
	v_mul_f32_e32 v72, v45, v79
	v_dual_mul_f32 v90, v45, v81 :: v_dual_fmac_f32 v69, v75, v68
	v_add_f32_e32 v0, v0, v18
	v_fmac_f32_e32 v73, v45, v78
	v_dual_fmac_f32 v66, v45, v80 :: v_dual_mul_f32 v45, v76, v81
	v_add_f32_e32 v10, v10, v30
	v_fma_f32 v64, v74, v68, -v71
	v_dual_mul_f32 v71, v77, v81 :: v_dual_add_f32 v8, v8, v26
	s_delay_alu instid0(VALU_DEP_4)
	v_dual_fmac_f32 v45, v77, v80 :: v_dual_add_f32 v14, v14, v37
	v_add_f32_e32 v11, v11, v85
	v_add_f32_e32 v7, v7, v19
	v_dual_add_f32 v1, v1, v21 :: v_dual_add_f32 v10, v10, v32
	v_dual_add_f32 v0, v0, v28 :: v_dual_add_f32 v17, v17, v83
	v_add_f32_e32 v8, v8, v31
	s_delay_alu instid0(VALU_DEP_4) | instskip(NEXT) | instid1(VALU_DEP_4)
	v_dual_add_f32 v14, v14, v49 :: v_dual_add_f32 v7, v7, v27
	v_dual_add_f32 v10, v10, v38 :: v_dual_add_f32 v1, v1, v25
	s_delay_alu instid0(VALU_DEP_4) | instskip(NEXT) | instid1(VALU_DEP_3)
	v_add_f32_e32 v0, v0, v34
	v_dual_add_f32 v14, v14, v51 :: v_dual_add_f32 v17, v17, v89
	v_dual_add_f32 v8, v8, v46 :: v_dual_add_f32 v11, v11, v20
	s_delay_alu instid0(VALU_DEP_3) | instskip(NEXT) | instid1(VALU_DEP_2)
	v_dual_add_f32 v0, v0, v50 :: v_dual_add_f32 v7, v7, v35
	v_dual_add_f32 v17, v17, v86 :: v_dual_add_f32 v8, v8, v39
	s_delay_alu instid0(VALU_DEP_3) | instskip(SKIP_1) | instid1(VALU_DEP_3)
	v_dual_add_f32 v11, v11, v29 :: v_dual_add_f32 v10, v10, v40
	v_dual_add_f32 v1, v1, v47 :: v_dual_add_f32 v14, v14, v61
	;; [unrolled: 1-line block ×3, first 2 shown]
	s_delay_alu instid0(VALU_DEP_3) | instskip(NEXT) | instid1(VALU_DEP_3)
	v_dual_add_f32 v11, v11, v36 :: v_dual_add_f32 v0, v0, v53
	v_dual_add_f32 v14, v14, v63 :: v_dual_add_f32 v7, v7, v48
	s_delay_alu instid0(VALU_DEP_4) | instskip(NEXT) | instid1(VALU_DEP_3)
	v_dual_add_f32 v10, v10, v42 :: v_dual_add_f32 v1, v1, v33
	v_add_f32_e32 v0, v0, v60
	v_mul_f32_e32 v68, v77, v79
	v_fma_f32 v72, v44, v78, -v72
	v_fma_f32 v44, v44, v80, -v90
	s_delay_alu instid0(VALU_DEP_4) | instskip(SKIP_1) | instid1(VALU_DEP_4)
	v_dual_add_f32 v17, v17, v55 :: v_dual_add_f32 v0, v0, v64
	v_dual_add_f32 v11, v11, v52 :: v_dual_add_f32 v8, v8, v43
	;; [unrolled: 1-line block ×3, first 2 shown]
	s_delay_alu instid0(VALU_DEP_4)
	v_dual_add_f32 v1, v1, v59 :: v_dual_add_f32 v10, v10, v44
	v_fma_f32 v68, v76, v78, -v68
	v_fma_f32 v71, v76, v80, -v71
	v_add_f32_e32 v17, v17, v87
	v_add_f32_e32 v11, v11, v56
	v_add_f32_e32 v7, v7, v58
	s_delay_alu instid0(VALU_DEP_4) | instskip(NEXT) | instid1(VALU_DEP_4)
	v_dual_add_f32 v1, v1, v41 :: v_dual_add_f32 v0, v0, v71
	v_dual_add_f32 v8, v8, v68 :: v_dual_add_f32 v17, v17, v65
	s_delay_alu instid0(VALU_DEP_4) | instskip(NEXT) | instid1(VALU_DEP_4)
	v_add_f32_e32 v11, v11, v62
	v_add_f32_e32 v7, v7, v67
	s_delay_alu instid0(VALU_DEP_4) | instskip(NEXT) | instid1(VALU_DEP_4)
	v_add_f32_e32 v1, v1, v69
	v_add_f32_e32 v17, v17, v73
	;; [unrolled: 3-line block ×3, first 2 shown]
	s_delay_alu instid0(VALU_DEP_4)
	v_add_f32_e32 v1, v1, v45
	s_cbranch_scc0 .LBB803_2
.LBB803_3:
	s_waitcnt lgkmcnt(0)
	s_load_b32 s10, s[0:1], 0x50
	v_add_nc_u32_e32 v9, s7, v9
	v_add_nc_u32_e32 v2, s6, v6
	s_delay_alu instid0(VALU_DEP_1) | instskip(SKIP_1) | instid1(VALU_DEP_2)
	v_cmp_le_i32_e64 s0, v9, v2
	v_cmp_gt_i32_e32 vcc_lo, s16, v2
	s_and_b32 s0, s0, vcc_lo
	s_waitcnt lgkmcnt(0)
	v_mad_i64_i32 v[3:4], null, v9, s10, 0
	s_delay_alu instid0(VALU_DEP_1) | instskip(NEXT) | instid1(VALU_DEP_1)
	v_lshlrev_b64 v[3:4], 3, v[3:4]
	v_add_co_u32 v6, s1, s2, v3
	s_delay_alu instid0(VALU_DEP_1)
	v_add_co_ci_u32_e64 v12, s1, s3, v4, s1
	s_and_saveexec_b32 s1, s0
	s_cbranch_execz .LBB803_6
; %bb.4:
	v_ashrrev_i32_e32 v3, 31, v2
	s_delay_alu instid0(VALU_DEP_1) | instskip(NEXT) | instid1(VALU_DEP_1)
	v_lshlrev_b64 v[3:4], 3, v[2:3]
	v_add_co_u32 v3, s0, v6, v3
	s_delay_alu instid0(VALU_DEP_1)
	v_add_co_ci_u32_e64 v4, s0, v12, v4, s0
	v_cmp_eq_u32_e64 s0, v9, v2
	global_load_b64 v[15:16], v[3:4], off
	v_mul_f32_e32 v5, s9, v17
	s_waitcnt vmcnt(0)
	v_mul_f32_e32 v13, s5, v16
	v_dual_mul_f32 v16, s4, v16 :: v_dual_mul_f32 v17, s8, v17
	s_delay_alu instid0(VALU_DEP_3) | instskip(NEXT) | instid1(VALU_DEP_3)
	v_fma_f32 v5, v14, s8, -v5
	v_fma_f32 v13, v15, s4, -v13
	s_delay_alu instid0(VALU_DEP_3) | instskip(NEXT) | instid1(VALU_DEP_2)
	v_dual_fmac_f32 v16, s5, v15 :: v_dual_fmac_f32 v17, s9, v14
	v_add_f32_e32 v13, v5, v13
	s_delay_alu instid0(VALU_DEP_2)
	v_add_f32_e32 v14, v17, v16
	global_store_b64 v[3:4], v[13:14], off
	s_and_b32 exec_lo, exec_lo, s0
	s_cbranch_execz .LBB803_6
; %bb.5:
	v_mov_b32_e32 v5, 0
	global_store_b32 v[3:4], v5, off offset:4
.LBB803_6:
	s_or_b32 exec_lo, exec_lo, s1
	v_add_nc_u32_e32 v4, 16, v2
	s_delay_alu instid0(VALU_DEP_1) | instskip(SKIP_1) | instid1(VALU_DEP_1)
	v_cmp_le_i32_e64 s1, v9, v4
	v_cmp_gt_i32_e64 s0, s16, v4
	s_and_b32 s1, s1, s0
	s_delay_alu instid0(SALU_CYCLE_1)
	s_and_saveexec_b32 s6, s1
	s_cbranch_execz .LBB803_9
; %bb.7:
	v_ashrrev_i32_e32 v5, 31, v4
	s_delay_alu instid0(VALU_DEP_1) | instskip(NEXT) | instid1(VALU_DEP_1)
	v_lshlrev_b64 v[13:14], 3, v[4:5]
	v_add_co_u32 v5, s1, v6, v13
	s_delay_alu instid0(VALU_DEP_1)
	v_add_co_ci_u32_e64 v6, s1, v12, v14, s1
	v_cmp_eq_u32_e64 s1, v9, v4
	global_load_b64 v[12:13], v[5:6], off
	s_waitcnt vmcnt(0)
	v_dual_mul_f32 v3, s9, v11 :: v_dual_mul_f32 v14, s5, v13
	v_mul_f32_e32 v13, s4, v13
	s_delay_alu instid0(VALU_DEP_2) | instskip(SKIP_1) | instid1(VALU_DEP_3)
	v_fma_f32 v3, v10, s8, -v3
	v_mul_f32_e32 v11, s8, v11
	v_fmac_f32_e32 v13, s5, v12
	s_delay_alu instid0(VALU_DEP_2) | instskip(SKIP_1) | instid1(VALU_DEP_2)
	v_fmac_f32_e32 v11, s9, v10
	v_fma_f32 v10, v12, s4, -v14
	v_add_f32_e32 v11, v11, v13
	s_delay_alu instid0(VALU_DEP_2)
	v_add_f32_e32 v10, v3, v10
	global_store_b64 v[5:6], v[10:11], off
	s_and_b32 exec_lo, exec_lo, s1
	s_cbranch_execz .LBB803_9
; %bb.8:
	v_mov_b32_e32 v3, 0
	global_store_b32 v[5:6], v3, off offset:4
.LBB803_9:
	s_or_b32 exec_lo, exec_lo, s6
	v_add_nc_u32_e32 v12, 16, v9
	s_delay_alu instid0(VALU_DEP_1) | instskip(SKIP_1) | instid1(VALU_DEP_2)
	v_mad_i64_i32 v[5:6], null, v12, s10, 0
	v_cmp_le_i32_e64 s1, v12, v2
	v_lshlrev_b64 v[5:6], 3, v[5:6]
	s_delay_alu instid0(VALU_DEP_1) | instskip(NEXT) | instid1(VALU_DEP_1)
	v_add_co_u32 v10, s2, s2, v5
	v_add_co_ci_u32_e64 v11, s2, s3, v6, s2
	s_delay_alu instid0(VALU_DEP_4) | instskip(NEXT) | instid1(SALU_CYCLE_1)
	s_and_b32 s2, s1, vcc_lo
	s_and_saveexec_b32 s1, s2
	s_cbranch_execz .LBB803_12
; %bb.10:
	v_ashrrev_i32_e32 v3, 31, v2
	s_delay_alu instid0(VALU_DEP_1) | instskip(NEXT) | instid1(VALU_DEP_1)
	v_lshlrev_b64 v[5:6], 3, v[2:3]
	v_add_co_u32 v5, vcc_lo, v10, v5
	s_delay_alu instid0(VALU_DEP_2)
	v_add_co_ci_u32_e32 v6, vcc_lo, v11, v6, vcc_lo
	v_cmp_eq_u32_e32 vcc_lo, v12, v2
	global_load_b64 v[13:14], v[5:6], off
	v_mul_f32_e32 v3, s9, v7
	v_mul_f32_e32 v15, s8, v7
	s_waitcnt vmcnt(0)
	v_mul_f32_e32 v7, s5, v14
	v_mul_f32_e32 v14, s4, v14
	v_fma_f32 v3, v8, s8, -v3
	s_delay_alu instid0(VALU_DEP_3) | instskip(NEXT) | instid1(VALU_DEP_3)
	v_fma_f32 v7, v13, s4, -v7
	v_dual_fmac_f32 v14, s5, v13 :: v_dual_fmac_f32 v15, s9, v8
	s_delay_alu instid0(VALU_DEP_2) | instskip(NEXT) | instid1(VALU_DEP_2)
	v_add_f32_e32 v7, v3, v7
	v_add_f32_e32 v8, v15, v14
	global_store_b64 v[5:6], v[7:8], off
	s_and_b32 exec_lo, exec_lo, vcc_lo
	s_cbranch_execz .LBB803_12
; %bb.11:
	v_mov_b32_e32 v3, 0
	global_store_b32 v[5:6], v3, off offset:4
.LBB803_12:
	s_or_b32 exec_lo, exec_lo, s1
	v_cmp_le_i32_e32 vcc_lo, v12, v4
	s_and_b32 s0, vcc_lo, s0
	s_delay_alu instid0(SALU_CYCLE_1)
	s_and_saveexec_b32 s1, s0
	s_cbranch_execz .LBB803_15
; %bb.13:
	v_ashrrev_i32_e32 v5, 31, v4
	s_delay_alu instid0(VALU_DEP_1) | instskip(NEXT) | instid1(VALU_DEP_1)
	v_lshlrev_b64 v[3:4], 3, v[4:5]
	v_add_co_u32 v3, vcc_lo, v10, v3
	s_delay_alu instid0(VALU_DEP_2)
	v_add_co_ci_u32_e32 v4, vcc_lo, v11, v4, vcc_lo
	v_cmp_eq_u32_e32 vcc_lo, v9, v2
	global_load_b64 v[5:6], v[3:4], off
	v_mul_f32_e32 v7, s9, v1
	s_waitcnt vmcnt(0)
	v_dual_mul_f32 v1, s8, v1 :: v_dual_mul_f32 v8, s5, v6
	v_mul_f32_e32 v6, s4, v6
	s_delay_alu instid0(VALU_DEP_3) | instskip(NEXT) | instid1(VALU_DEP_3)
	v_fma_f32 v7, v0, s8, -v7
	v_fmac_f32_e32 v1, s9, v0
	s_delay_alu instid0(VALU_DEP_4) | instskip(NEXT) | instid1(VALU_DEP_4)
	v_fma_f32 v0, v5, s4, -v8
	v_fmac_f32_e32 v6, s5, v5
	s_delay_alu instid0(VALU_DEP_1)
	v_dual_add_f32 v0, v7, v0 :: v_dual_add_f32 v1, v1, v6
	global_store_b64 v[3:4], v[0:1], off
	s_and_b32 exec_lo, exec_lo, vcc_lo
	s_cbranch_execz .LBB803_15
; %bb.14:
	v_mov_b32_e32 v0, 0
	global_store_b32 v[3:4], v0, off offset:4
.LBB803_15:
	s_nop 0
	s_sendmsg sendmsg(MSG_DEALLOC_VGPRS)
	s_endpgm
	.section	.rodata,"a",@progbits
	.p2align	6, 0x0
	.amdhsa_kernel _ZL37rocblas_syrkx_herkx_restricted_kernelIi19rocblas_complex_numIfELi16ELi32ELi8ELb0ELb1ELc67ELc76EKPKS1_KPS1_EviT_T0_PT8_S7_lSA_S7_lS8_PT9_S7_li
		.amdhsa_group_segment_fixed_size 4096
		.amdhsa_private_segment_fixed_size 0
		.amdhsa_kernarg_size 100
		.amdhsa_user_sgpr_count 13
		.amdhsa_user_sgpr_dispatch_ptr 0
		.amdhsa_user_sgpr_queue_ptr 0
		.amdhsa_user_sgpr_kernarg_segment_ptr 1
		.amdhsa_user_sgpr_dispatch_id 0
		.amdhsa_user_sgpr_private_segment_size 0
		.amdhsa_wavefront_size32 1
		.amdhsa_uses_dynamic_stack 0
		.amdhsa_enable_private_segment 0
		.amdhsa_system_sgpr_workgroup_id_x 1
		.amdhsa_system_sgpr_workgroup_id_y 1
		.amdhsa_system_sgpr_workgroup_id_z 1
		.amdhsa_system_sgpr_workgroup_info 0
		.amdhsa_system_vgpr_workitem_id 1
		.amdhsa_next_free_vgpr 91
		.amdhsa_next_free_sgpr 22
		.amdhsa_reserve_vcc 1
		.amdhsa_float_round_mode_32 0
		.amdhsa_float_round_mode_16_64 0
		.amdhsa_float_denorm_mode_32 3
		.amdhsa_float_denorm_mode_16_64 3
		.amdhsa_dx10_clamp 1
		.amdhsa_ieee_mode 1
		.amdhsa_fp16_overflow 0
		.amdhsa_workgroup_processor_mode 1
		.amdhsa_memory_ordered 1
		.amdhsa_forward_progress 0
		.amdhsa_shared_vgpr_count 0
		.amdhsa_exception_fp_ieee_invalid_op 0
		.amdhsa_exception_fp_denorm_src 0
		.amdhsa_exception_fp_ieee_div_zero 0
		.amdhsa_exception_fp_ieee_overflow 0
		.amdhsa_exception_fp_ieee_underflow 0
		.amdhsa_exception_fp_ieee_inexact 0
		.amdhsa_exception_int_div_zero 0
	.end_amdhsa_kernel
	.section	.text._ZL37rocblas_syrkx_herkx_restricted_kernelIi19rocblas_complex_numIfELi16ELi32ELi8ELb0ELb1ELc67ELc76EKPKS1_KPS1_EviT_T0_PT8_S7_lSA_S7_lS8_PT9_S7_li,"axG",@progbits,_ZL37rocblas_syrkx_herkx_restricted_kernelIi19rocblas_complex_numIfELi16ELi32ELi8ELb0ELb1ELc67ELc76EKPKS1_KPS1_EviT_T0_PT8_S7_lSA_S7_lS8_PT9_S7_li,comdat
.Lfunc_end803:
	.size	_ZL37rocblas_syrkx_herkx_restricted_kernelIi19rocblas_complex_numIfELi16ELi32ELi8ELb0ELb1ELc67ELc76EKPKS1_KPS1_EviT_T0_PT8_S7_lSA_S7_lS8_PT9_S7_li, .Lfunc_end803-_ZL37rocblas_syrkx_herkx_restricted_kernelIi19rocblas_complex_numIfELi16ELi32ELi8ELb0ELb1ELc67ELc76EKPKS1_KPS1_EviT_T0_PT8_S7_lSA_S7_lS8_PT9_S7_li
                                        ; -- End function
	.section	.AMDGPU.csdata,"",@progbits
; Kernel info:
; codeLenInByte = 2400
; NumSgprs: 24
; NumVgprs: 91
; ScratchSize: 0
; MemoryBound: 0
; FloatMode: 240
; IeeeMode: 1
; LDSByteSize: 4096 bytes/workgroup (compile time only)
; SGPRBlocks: 2
; VGPRBlocks: 11
; NumSGPRsForWavesPerEU: 24
; NumVGPRsForWavesPerEU: 91
; Occupancy: 16
; WaveLimiterHint : 1
; COMPUTE_PGM_RSRC2:SCRATCH_EN: 0
; COMPUTE_PGM_RSRC2:USER_SGPR: 13
; COMPUTE_PGM_RSRC2:TRAP_HANDLER: 0
; COMPUTE_PGM_RSRC2:TGID_X_EN: 1
; COMPUTE_PGM_RSRC2:TGID_Y_EN: 1
; COMPUTE_PGM_RSRC2:TGID_Z_EN: 1
; COMPUTE_PGM_RSRC2:TIDIG_COMP_CNT: 1
	.section	.text._ZL37rocblas_syrkx_herkx_restricted_kernelIi19rocblas_complex_numIfELi16ELi32ELi8ELb0ELb1ELc78ELc76EKPKS1_KPS1_EviT_T0_PT8_S7_lSA_S7_lS8_PT9_S7_li,"axG",@progbits,_ZL37rocblas_syrkx_herkx_restricted_kernelIi19rocblas_complex_numIfELi16ELi32ELi8ELb0ELb1ELc78ELc76EKPKS1_KPS1_EviT_T0_PT8_S7_lSA_S7_lS8_PT9_S7_li,comdat
	.globl	_ZL37rocblas_syrkx_herkx_restricted_kernelIi19rocblas_complex_numIfELi16ELi32ELi8ELb0ELb1ELc78ELc76EKPKS1_KPS1_EviT_T0_PT8_S7_lSA_S7_lS8_PT9_S7_li ; -- Begin function _ZL37rocblas_syrkx_herkx_restricted_kernelIi19rocblas_complex_numIfELi16ELi32ELi8ELb0ELb1ELc78ELc76EKPKS1_KPS1_EviT_T0_PT8_S7_lSA_S7_lS8_PT9_S7_li
	.p2align	8
	.type	_ZL37rocblas_syrkx_herkx_restricted_kernelIi19rocblas_complex_numIfELi16ELi32ELi8ELb0ELb1ELc78ELc76EKPKS1_KPS1_EviT_T0_PT8_S7_lSA_S7_lS8_PT9_S7_li,@function
_ZL37rocblas_syrkx_herkx_restricted_kernelIi19rocblas_complex_numIfELi16ELi32ELi8ELb0ELb1ELc78ELc76EKPKS1_KPS1_EviT_T0_PT8_S7_lSA_S7_lS8_PT9_S7_li: ; @_ZL37rocblas_syrkx_herkx_restricted_kernelIi19rocblas_complex_numIfELi16ELi32ELi8ELb0ELb1ELc78ELc76EKPKS1_KPS1_EviT_T0_PT8_S7_lSA_S7_lS8_PT9_S7_li
; %bb.0:
	s_clause 0x1
	s_load_b128 s[4:7], s[0:1], 0x40
	s_load_b64 s[16:17], s[0:1], 0x0
	s_mov_b32 s18, s15
	s_mov_b32 s19, 0
	v_dual_mov_b32 v17, 0 :: v_dual_and_b32 v4, 0x3ff, v0
	s_lshl_b64 s[20:21], s[18:19], 3
	v_bfe_u32 v7, v0, 10, 10
	v_dual_mov_b32 v14, 0 :: v_dual_mov_b32 v11, 0
	v_dual_mov_b32 v10, 0 :: v_dual_mov_b32 v9, 0
	;; [unrolled: 1-line block ×3, first 2 shown]
	v_mov_b32_e32 v6, 0
	s_waitcnt lgkmcnt(0)
	s_add_u32 s2, s6, s20
	s_addc_u32 s3, s7, s21
	s_load_b128 s[8:11], s[0:1], 0x8
	s_load_b64 s[2:3], s[2:3], 0x0
	s_lshl_b32 s12, s13, 5
	s_lshl_b32 s13, s14, 5
	s_cmp_lt_i32 s17, 1
	s_cbranch_scc1 .LBB804_3
; %bb.1:
	s_clause 0x2
	s_load_b32 s6, s[0:1], 0x18
	s_load_b32 s14, s[0:1], 0x30
	s_load_b64 s[22:23], s[0:1], 0x28
	v_lshl_add_u32 v0, v7, 4, v4
	v_dual_mov_b32 v5, 0 :: v_dual_and_b32 v6, 7, v4
	v_lshlrev_b32_e32 v12, 3, v4
	v_lshl_add_u32 v13, v7, 6, 0x800
	s_delay_alu instid0(VALU_DEP_4) | instskip(SKIP_3) | instid1(VALU_DEP_4)
	v_and_b32_e32 v11, 31, v0
	v_lshrrev_b32_e32 v10, 3, v0
	v_lshrrev_b32_e32 v14, 5, v0
	v_lshlrev_b32_e32 v15, 3, v6
	v_dual_mov_b32 v17, 0 :: v_dual_add_nc_u32 v2, s12, v11
	s_delay_alu instid0(VALU_DEP_4) | instskip(NEXT) | instid1(VALU_DEP_2)
	v_add_nc_u32_e32 v0, s13, v10
	v_ashrrev_i32_e32 v3, 31, v2
	s_delay_alu instid0(VALU_DEP_2)
	v_ashrrev_i32_e32 v1, 31, v0
	s_waitcnt lgkmcnt(0)
	s_ashr_i32 s7, s6, 31
	s_ashr_i32 s15, s14, 31
	s_add_u32 s10, s10, s20
	s_addc_u32 s11, s11, s21
	s_add_u32 s20, s22, s20
	s_load_b64 s[10:11], s[10:11], 0x0
	s_addc_u32 s21, s23, s21
	v_mad_i64_i32 v[8:9], null, s6, v14, v[2:3]
	s_load_b64 s[20:21], s[20:21], 0x0
	v_mad_i64_i32 v[2:3], null, s14, v6, v[0:1]
	v_dual_mov_b32 v6, 0 :: v_dual_lshlrev_b32 v11, 3, v11
	s_lshl_b64 s[6:7], s[6:7], 6
	s_delay_alu instid0(VALU_DEP_3) | instskip(SKIP_3) | instid1(VALU_DEP_2)
	v_lshlrev_b64 v[0:1], 3, v[8:9]
	v_mov_b32_e32 v8, 0
	v_lshl_or_b32 v10, v10, 6, v15
	v_lshlrev_b64 v[2:3], 3, v[2:3]
	v_dual_mov_b32 v9, 0 :: v_dual_add_nc_u32 v16, 0x800, v10
	v_mov_b32_e32 v10, 0
	v_lshl_or_b32 v15, v14, 8, v11
	s_waitcnt lgkmcnt(0)
	v_add_co_u32 v0, vcc_lo, v0, s10
	v_add_co_ci_u32_e32 v1, vcc_lo, s11, v1, vcc_lo
	v_add_co_u32 v2, vcc_lo, v2, s20
	v_add_co_ci_u32_e32 v3, vcc_lo, s21, v3, vcc_lo
	s_delay_alu instid0(VALU_DEP_4) | instskip(NEXT) | instid1(VALU_DEP_4)
	v_add_co_u32 v0, vcc_lo, v0, 4
	v_add_co_ci_u32_e32 v1, vcc_lo, 0, v1, vcc_lo
	s_delay_alu instid0(VALU_DEP_4) | instskip(NEXT) | instid1(VALU_DEP_4)
	v_add_co_u32 v2, vcc_lo, v2, 4
	v_add_co_ci_u32_e32 v3, vcc_lo, 0, v3, vcc_lo
	v_dual_mov_b32 v11, 0 :: v_dual_mov_b32 v14, 0
	s_lshl_b64 s[10:11], s[14:15], 6
.LBB804_2:                              ; =>This Inner Loop Header: Depth=1
	global_load_b64 v[18:19], v[2:3], off offset:-4
	global_load_b64 v[20:21], v[0:1], off offset:-4
	v_add_co_u32 v0, vcc_lo, v0, s6
	v_add_co_ci_u32_e32 v1, vcc_lo, s7, v1, vcc_lo
	v_add_co_u32 v2, vcc_lo, v2, s10
	v_add_co_ci_u32_e32 v3, vcc_lo, s11, v3, vcc_lo
	s_add_i32 s19, s19, 8
	s_delay_alu instid0(SALU_CYCLE_1)
	s_cmp_ge_i32 s19, s17
	s_waitcnt vmcnt(1)
	v_xor_b32_e32 v19, 0x80000000, v19
	s_waitcnt vmcnt(0)
	ds_store_b64 v15, v[20:21]
	ds_store_b64 v16, v[18:19]
	s_waitcnt lgkmcnt(0)
	s_barrier
	buffer_gl0_inv
	ds_load_2addr_b64 v[18:21], v12 offset1:16
	ds_load_b128 v[22:25], v13
	ds_load_b128 v[26:29], v13 offset:1024
	ds_load_b128 v[30:33], v13 offset:16
	ds_load_2addr_b64 v[34:37], v12 offset0:32 offset1:48
	ds_load_b128 v[38:41], v13 offset:32
	ds_load_b128 v[42:45], v13 offset:48
	ds_load_2addr_b64 v[46:49], v12 offset0:64 offset1:80
	ds_load_b128 v[50:53], v13 offset:1040
	ds_load_2addr_b64 v[54:57], v12 offset0:96 offset1:112
	ds_load_2addr_b64 v[58:61], v12 offset0:128 offset1:144
	;; [unrolled: 1-line block ×4, first 2 shown]
	ds_load_b128 v[70:73], v13 offset:1056
	ds_load_b128 v[74:77], v13 offset:1072
	ds_load_2addr_b64 v[78:81], v12 offset0:224 offset1:240
	s_waitcnt lgkmcnt(0)
	s_barrier
	buffer_gl0_inv
	v_dual_mul_f32 v82, v23, v19 :: v_dual_mul_f32 v85, v22, v21
	v_dual_mul_f32 v83, v22, v19 :: v_dual_mul_f32 v84, v23, v21
	v_mul_f32_e32 v86, v27, v19
	v_dual_mul_f32 v19, v26, v19 :: v_dual_mul_f32 v90, v25, v37
	v_dual_mul_f32 v87, v27, v21 :: v_dual_mul_f32 v88, v25, v35
	v_mul_f32_e32 v21, v26, v21
	v_mul_f32_e32 v89, v24, v35
	;; [unrolled: 1-line block ×3, first 2 shown]
	v_fma_f32 v82, v22, v18, -v82
	v_fmac_f32_e32 v83, v23, v18
	v_fma_f32 v22, v22, v20, -v84
	v_dual_fmac_f32 v85, v23, v20 :: v_dual_mul_f32 v84, v30, v47
	v_fma_f32 v23, v26, v18, -v86
	v_fmac_f32_e32 v19, v27, v18
	v_fma_f32 v18, v26, v20, -v87
	v_dual_mul_f32 v26, v28, v35 :: v_dual_fmac_f32 v21, v27, v20
	v_mul_f32_e32 v20, v29, v35
	v_mul_f32_e32 v27, v29, v37
	v_dual_mul_f32 v35, v28, v37 :: v_dual_fmac_f32 v84, v31, v46
	v_fma_f32 v37, v24, v34, -v88
	v_fma_f32 v24, v24, v36, -v90
	v_dual_fmac_f32 v91, v25, v36 :: v_dual_mul_f32 v90, v32, v57
	v_dual_mul_f32 v86, v31, v49 :: v_dual_fmac_f32 v89, v25, v34
	v_dual_mul_f32 v25, v31, v47 :: v_dual_mul_f32 v88, v33, v57
	v_fma_f32 v20, v28, v34, -v20
	v_fmac_f32_e32 v26, v29, v34
	v_fma_f32 v27, v28, v36, -v27
	v_dual_fmac_f32 v35, v29, v36 :: v_dual_mul_f32 v28, v51, v47
	v_dual_mul_f32 v29, v50, v47 :: v_dual_mul_f32 v34, v51, v49
	v_mul_f32_e32 v36, v50, v49
	v_mul_f32_e32 v87, v30, v49
	;; [unrolled: 1-line block ×3, first 2 shown]
	v_dual_mul_f32 v49, v32, v55 :: v_dual_fmac_f32 v90, v33, v56
	v_fma_f32 v25, v30, v46, -v25
	v_fma_f32 v30, v30, v48, -v86
	;; [unrolled: 1-line block ×3, first 2 shown]
	v_fmac_f32_e32 v36, v51, v48
	v_fmac_f32_e32 v87, v31, v48
	v_fma_f32 v31, v50, v48, -v34
	v_mul_f32_e32 v34, v53, v55
	v_mul_f32_e32 v48, v53, v57
	v_dual_mul_f32 v50, v52, v57 :: v_dual_fmac_f32 v29, v51, v46
	v_mul_f32_e32 v46, v52, v55
	v_fma_f32 v47, v32, v54, -v47
	v_fmac_f32_e32 v49, v33, v54
	v_fma_f32 v32, v32, v56, -v88
	s_delay_alu instid0(VALU_DEP_4)
	v_dual_mul_f32 v33, v39, v59 :: v_dual_fmac_f32 v46, v53, v54
	v_mul_f32_e32 v51, v38, v59
	v_mul_f32_e32 v55, v39, v61
	v_fma_f32 v34, v52, v54, -v34
	v_fma_f32 v48, v52, v56, -v48
	v_fmac_f32_e32 v50, v53, v56
	v_mul_f32_e32 v52, v71, v59
	v_dual_mul_f32 v53, v70, v59 :: v_dual_mul_f32 v86, v41, v65
	v_mul_f32_e32 v54, v71, v61
	v_dual_mul_f32 v56, v70, v61 :: v_dual_mul_f32 v59, v41, v63
	v_mul_f32_e32 v57, v38, v61
	v_mul_f32_e32 v61, v40, v63
	v_dual_mul_f32 v88, v40, v65 :: v_dual_fmac_f32 v51, v39, v58
	v_fma_f32 v33, v38, v58, -v33
	v_fmac_f32_e32 v53, v71, v58
	v_fmac_f32_e32 v56, v71, v60
	s_delay_alu instid0(VALU_DEP_4)
	v_fmac_f32_e32 v88, v41, v64
	v_fmac_f32_e32 v57, v39, v60
	v_fma_f32 v39, v70, v58, -v52
	v_fma_f32 v52, v70, v60, -v54
	v_mul_f32_e32 v54, v73, v63
	v_fma_f32 v38, v38, v60, -v55
	v_mul_f32_e32 v60, v72, v65
	v_dual_mul_f32 v55, v72, v63 :: v_dual_mul_f32 v70, v42, v69
	v_mul_f32_e32 v58, v73, v65
	v_fma_f32 v59, v40, v62, -v59
	v_fmac_f32_e32 v61, v41, v62
	v_fma_f32 v40, v40, v64, -v86
	v_dual_mul_f32 v41, v43, v67 :: v_dual_fmac_f32 v60, v73, v64
	v_dual_mul_f32 v63, v42, v67 :: v_dual_mul_f32 v86, v44, v81
	v_mul_f32_e32 v65, v43, v69
	v_fma_f32 v54, v72, v62, -v54
	v_fmac_f32_e32 v55, v73, v62
	v_fma_f32 v58, v72, v64, -v58
	v_mul_f32_e32 v72, v44, v79
	v_mul_f32_e32 v62, v75, v67
	v_dual_mul_f32 v64, v74, v67 :: v_dual_mul_f32 v67, v75, v69
	v_dual_mul_f32 v69, v74, v69 :: v_dual_fmac_f32 v70, v43, v68
	s_delay_alu instid0(VALU_DEP_2)
	v_dual_mul_f32 v71, v45, v79 :: v_dual_fmac_f32 v64, v75, v66
	v_dual_mul_f32 v73, v45, v81 :: v_dual_add_f32 v14, v14, v82
	v_fma_f32 v41, v42, v66, -v41
	v_fmac_f32_e32 v63, v43, v66
	v_fma_f32 v42, v42, v68, -v65
	v_fma_f32 v43, v74, v66, -v62
	v_dual_mul_f32 v65, v77, v79 :: v_dual_add_f32 v10, v10, v22
	v_mul_f32_e32 v66, v76, v79
	v_fma_f32 v62, v74, v68, -v67
	v_dual_mul_f32 v67, v77, v81 :: v_dual_add_f32 v8, v8, v19
	v_dual_fmac_f32 v86, v45, v80 :: v_dual_add_f32 v11, v11, v85
	v_dual_add_f32 v17, v17, v83 :: v_dual_add_f32 v6, v6, v18
	v_dual_add_f32 v9, v9, v23 :: v_dual_add_f32 v14, v14, v37
	;; [unrolled: 1-line block ×3, first 2 shown]
	v_dual_fmac_f32 v69, v75, v68 :: v_dual_fmac_f32 v72, v45, v78
	v_mul_f32_e32 v68, v76, v81
	v_dual_fmac_f32 v66, v77, v78 :: v_dual_add_f32 v11, v11, v91
	v_dual_add_f32 v17, v17, v89 :: v_dual_add_f32 v8, v8, v26
	v_dual_add_f32 v9, v9, v20 :: v_dual_add_f32 v6, v6, v27
	;; [unrolled: 1-line block ×3, first 2 shown]
	s_delay_alu instid0(VALU_DEP_4) | instskip(NEXT) | instid1(VALU_DEP_4)
	v_dual_fmac_f32 v68, v77, v80 :: v_dual_add_f32 v11, v11, v87
	v_dual_add_f32 v17, v17, v84 :: v_dual_add_f32 v10, v10, v30
	s_delay_alu instid0(VALU_DEP_4) | instskip(NEXT) | instid1(VALU_DEP_4)
	v_dual_add_f32 v9, v9, v28 :: v_dual_add_f32 v8, v8, v29
	v_dual_add_f32 v6, v6, v31 :: v_dual_add_f32 v5, v5, v36
	s_delay_alu instid0(VALU_DEP_3) | instskip(NEXT) | instid1(VALU_DEP_4)
	v_dual_add_f32 v14, v14, v47 :: v_dual_add_f32 v17, v17, v49
	v_dual_add_f32 v10, v10, v32 :: v_dual_add_f32 v11, v11, v90
	s_delay_alu instid0(VALU_DEP_3) | instskip(NEXT) | instid1(VALU_DEP_3)
	v_dual_add_f32 v9, v9, v34 :: v_dual_add_f32 v6, v6, v48
	v_dual_add_f32 v8, v8, v46 :: v_dual_add_f32 v17, v17, v51
	s_delay_alu instid0(VALU_DEP_4) | instskip(NEXT) | instid1(VALU_DEP_4)
	v_dual_add_f32 v5, v5, v50 :: v_dual_add_f32 v14, v14, v33
	v_dual_add_f32 v10, v10, v38 :: v_dual_add_f32 v11, v11, v57
	s_delay_alu instid0(VALU_DEP_3) | instskip(NEXT) | instid1(VALU_DEP_4)
	v_dual_add_f32 v9, v9, v39 :: v_dual_add_f32 v8, v8, v53
	v_dual_add_f32 v6, v6, v52 :: v_dual_add_f32 v17, v17, v61
	s_delay_alu instid0(VALU_DEP_4) | instskip(NEXT) | instid1(VALU_DEP_3)
	v_dual_add_f32 v5, v5, v56 :: v_dual_add_f32 v14, v14, v59
	v_dual_add_f32 v10, v10, v40 :: v_dual_add_f32 v9, v9, v54
	s_delay_alu instid0(VALU_DEP_4) | instskip(NEXT) | instid1(VALU_DEP_3)
	v_dual_add_f32 v11, v11, v88 :: v_dual_add_f32 v8, v8, v55
	v_dual_add_f32 v6, v6, v58 :: v_dual_add_f32 v5, v5, v60
	v_fma_f32 v71, v44, v78, -v71
	v_fma_f32 v44, v44, v80, -v73
	;; [unrolled: 1-line block ×4, first 2 shown]
	v_dual_add_f32 v14, v14, v41 :: v_dual_add_f32 v17, v17, v63
	v_dual_add_f32 v10, v10, v42 :: v_dual_add_f32 v9, v9, v43
	;; [unrolled: 1-line block ×4, first 2 shown]
	s_delay_alu instid0(VALU_DEP_4) | instskip(NEXT) | instid1(VALU_DEP_3)
	v_dual_add_f32 v14, v14, v71 :: v_dual_add_f32 v17, v17, v72
	v_dual_add_f32 v10, v10, v44 :: v_dual_add_f32 v11, v11, v86
	s_delay_alu instid0(VALU_DEP_4) | instskip(NEXT) | instid1(VALU_DEP_4)
	v_dual_add_f32 v9, v9, v45 :: v_dual_add_f32 v8, v8, v66
	v_dual_add_f32 v6, v6, v65 :: v_dual_add_f32 v5, v5, v68
	s_cbranch_scc0 .LBB804_2
.LBB804_3:
	s_load_b32 s6, s[0:1], 0x50
	v_add_nc_u32_e32 v7, s13, v7
	v_add_nc_u32_e32 v0, s12, v4
	s_delay_alu instid0(VALU_DEP_1) | instskip(SKIP_1) | instid1(VALU_DEP_2)
	v_cmp_le_i32_e64 s0, v7, v0
	v_cmp_gt_i32_e32 vcc_lo, s16, v0
	s_and_b32 s0, s0, vcc_lo
	s_waitcnt lgkmcnt(0)
	v_mad_i64_i32 v[1:2], null, v7, s6, 0
	s_delay_alu instid0(VALU_DEP_1) | instskip(NEXT) | instid1(VALU_DEP_1)
	v_lshlrev_b64 v[1:2], 3, v[1:2]
	v_add_co_u32 v4, s1, s2, v1
	s_delay_alu instid0(VALU_DEP_1)
	v_add_co_ci_u32_e64 v12, s1, s3, v2, s1
	s_and_saveexec_b32 s1, s0
	s_cbranch_execz .LBB804_6
; %bb.4:
	v_ashrrev_i32_e32 v1, 31, v0
	s_delay_alu instid0(VALU_DEP_1) | instskip(NEXT) | instid1(VALU_DEP_1)
	v_lshlrev_b64 v[1:2], 3, v[0:1]
	v_add_co_u32 v1, s0, v4, v1
	s_delay_alu instid0(VALU_DEP_1)
	v_add_co_ci_u32_e64 v2, s0, v12, v2, s0
	v_cmp_eq_u32_e64 s0, v7, v0
	global_load_b64 v[15:16], v[1:2], off
	v_mul_f32_e32 v3, s9, v17
	s_waitcnt vmcnt(0)
	v_mul_f32_e32 v13, s5, v16
	v_dual_mul_f32 v16, s4, v16 :: v_dual_mul_f32 v17, s8, v17
	s_delay_alu instid0(VALU_DEP_3) | instskip(NEXT) | instid1(VALU_DEP_3)
	v_fma_f32 v3, v14, s8, -v3
	v_fma_f32 v13, v15, s4, -v13
	s_delay_alu instid0(VALU_DEP_3) | instskip(NEXT) | instid1(VALU_DEP_1)
	v_dual_fmac_f32 v16, s5, v15 :: v_dual_fmac_f32 v17, s9, v14
	v_dual_add_f32 v13, v3, v13 :: v_dual_add_f32 v14, v17, v16
	global_store_b64 v[1:2], v[13:14], off
	s_and_b32 exec_lo, exec_lo, s0
	s_cbranch_execz .LBB804_6
; %bb.5:
	v_mov_b32_e32 v3, 0
	global_store_b32 v[1:2], v3, off offset:4
.LBB804_6:
	s_or_b32 exec_lo, exec_lo, s1
	v_add_nc_u32_e32 v2, 16, v0
	s_delay_alu instid0(VALU_DEP_1) | instskip(SKIP_1) | instid1(VALU_DEP_1)
	v_cmp_le_i32_e64 s1, v7, v2
	v_cmp_gt_i32_e64 s0, s16, v2
	s_and_b32 s1, s1, s0
	s_delay_alu instid0(SALU_CYCLE_1)
	s_and_saveexec_b32 s7, s1
	s_cbranch_execz .LBB804_9
; %bb.7:
	v_ashrrev_i32_e32 v3, 31, v2
	s_delay_alu instid0(VALU_DEP_1) | instskip(NEXT) | instid1(VALU_DEP_1)
	v_lshlrev_b64 v[13:14], 3, v[2:3]
	v_add_co_u32 v3, s1, v4, v13
	s_delay_alu instid0(VALU_DEP_1)
	v_add_co_ci_u32_e64 v4, s1, v12, v14, s1
	v_cmp_eq_u32_e64 s1, v7, v2
	global_load_b64 v[12:13], v[3:4], off
	s_waitcnt vmcnt(0)
	v_dual_mul_f32 v1, s9, v11 :: v_dual_mul_f32 v14, s5, v13
	v_mul_f32_e32 v13, s4, v13
	s_delay_alu instid0(VALU_DEP_2) | instskip(SKIP_1) | instid1(VALU_DEP_3)
	v_fma_f32 v1, v10, s8, -v1
	v_mul_f32_e32 v11, s8, v11
	v_fmac_f32_e32 v13, s5, v12
	s_delay_alu instid0(VALU_DEP_2) | instskip(SKIP_1) | instid1(VALU_DEP_1)
	v_fmac_f32_e32 v11, s9, v10
	v_fma_f32 v10, v12, s4, -v14
	v_dual_add_f32 v11, v11, v13 :: v_dual_add_f32 v10, v1, v10
	global_store_b64 v[3:4], v[10:11], off
	s_and_b32 exec_lo, exec_lo, s1
	s_cbranch_execz .LBB804_9
; %bb.8:
	v_mov_b32_e32 v1, 0
	global_store_b32 v[3:4], v1, off offset:4
.LBB804_9:
	s_or_b32 exec_lo, exec_lo, s7
	v_add_nc_u32_e32 v12, 16, v7
	s_delay_alu instid0(VALU_DEP_1) | instskip(SKIP_1) | instid1(VALU_DEP_2)
	v_mad_i64_i32 v[3:4], null, v12, s6, 0
	v_cmp_le_i32_e64 s1, v12, v0
	v_lshlrev_b64 v[3:4], 3, v[3:4]
	s_delay_alu instid0(VALU_DEP_1) | instskip(NEXT) | instid1(VALU_DEP_1)
	v_add_co_u32 v10, s2, s2, v3
	v_add_co_ci_u32_e64 v11, s2, s3, v4, s2
	s_delay_alu instid0(VALU_DEP_4) | instskip(NEXT) | instid1(SALU_CYCLE_1)
	s_and_b32 s2, s1, vcc_lo
	s_and_saveexec_b32 s1, s2
	s_cbranch_execz .LBB804_12
; %bb.10:
	v_ashrrev_i32_e32 v1, 31, v0
	s_delay_alu instid0(VALU_DEP_1) | instskip(NEXT) | instid1(VALU_DEP_1)
	v_lshlrev_b64 v[3:4], 3, v[0:1]
	v_add_co_u32 v3, vcc_lo, v10, v3
	s_delay_alu instid0(VALU_DEP_2)
	v_add_co_ci_u32_e32 v4, vcc_lo, v11, v4, vcc_lo
	v_cmp_eq_u32_e32 vcc_lo, v12, v0
	global_load_b64 v[13:14], v[3:4], off
	v_mul_f32_e32 v1, s9, v8
	s_waitcnt vmcnt(0)
	v_dual_mul_f32 v15, s8, v8 :: v_dual_mul_f32 v8, s5, v14
	v_mul_f32_e32 v14, s4, v14
	s_delay_alu instid0(VALU_DEP_3) | instskip(NEXT) | instid1(VALU_DEP_3)
	v_fma_f32 v1, v9, s8, -v1
	v_fma_f32 v8, v13, s4, -v8
	s_delay_alu instid0(VALU_DEP_4) | instskip(NEXT) | instid1(VALU_DEP_4)
	v_fmac_f32_e32 v15, s9, v9
	v_fmac_f32_e32 v14, s5, v13
	s_delay_alu instid0(VALU_DEP_1)
	v_dual_add_f32 v8, v1, v8 :: v_dual_add_f32 v9, v15, v14
	global_store_b64 v[3:4], v[8:9], off
	s_and_b32 exec_lo, exec_lo, vcc_lo
	s_cbranch_execz .LBB804_12
; %bb.11:
	v_mov_b32_e32 v1, 0
	global_store_b32 v[3:4], v1, off offset:4
.LBB804_12:
	s_or_b32 exec_lo, exec_lo, s1
	v_cmp_le_i32_e32 vcc_lo, v12, v2
	s_and_b32 s0, vcc_lo, s0
	s_delay_alu instid0(SALU_CYCLE_1)
	s_and_saveexec_b32 s1, s0
	s_cbranch_execz .LBB804_15
; %bb.13:
	v_ashrrev_i32_e32 v3, 31, v2
	s_delay_alu instid0(VALU_DEP_1) | instskip(NEXT) | instid1(VALU_DEP_1)
	v_lshlrev_b64 v[1:2], 3, v[2:3]
	v_add_co_u32 v1, vcc_lo, v10, v1
	s_delay_alu instid0(VALU_DEP_2)
	v_add_co_ci_u32_e32 v2, vcc_lo, v11, v2, vcc_lo
	v_cmp_eq_u32_e32 vcc_lo, v7, v0
	global_load_b64 v[3:4], v[1:2], off
	v_mul_f32_e32 v8, s9, v5
	v_mul_f32_e32 v5, s8, v5
	s_waitcnt vmcnt(0)
	v_mul_f32_e32 v9, s5, v4
	v_mul_f32_e32 v4, s4, v4
	v_fma_f32 v8, v6, s8, -v8
	v_fmac_f32_e32 v5, s9, v6
	s_delay_alu instid0(VALU_DEP_4) | instskip(NEXT) | instid1(VALU_DEP_1)
	v_fma_f32 v6, v3, s4, -v9
	v_dual_fmac_f32 v4, s5, v3 :: v_dual_add_f32 v3, v8, v6
	s_delay_alu instid0(VALU_DEP_1)
	v_add_f32_e32 v4, v5, v4
	global_store_b64 v[1:2], v[3:4], off
	s_and_b32 exec_lo, exec_lo, vcc_lo
	s_cbranch_execz .LBB804_15
; %bb.14:
	v_mov_b32_e32 v0, 0
	global_store_b32 v[1:2], v0, off offset:4
.LBB804_15:
	s_nop 0
	s_sendmsg sendmsg(MSG_DEALLOC_VGPRS)
	s_endpgm
	.section	.rodata,"a",@progbits
	.p2align	6, 0x0
	.amdhsa_kernel _ZL37rocblas_syrkx_herkx_restricted_kernelIi19rocblas_complex_numIfELi16ELi32ELi8ELb0ELb1ELc78ELc76EKPKS1_KPS1_EviT_T0_PT8_S7_lSA_S7_lS8_PT9_S7_li
		.amdhsa_group_segment_fixed_size 4096
		.amdhsa_private_segment_fixed_size 0
		.amdhsa_kernarg_size 100
		.amdhsa_user_sgpr_count 13
		.amdhsa_user_sgpr_dispatch_ptr 0
		.amdhsa_user_sgpr_queue_ptr 0
		.amdhsa_user_sgpr_kernarg_segment_ptr 1
		.amdhsa_user_sgpr_dispatch_id 0
		.amdhsa_user_sgpr_private_segment_size 0
		.amdhsa_wavefront_size32 1
		.amdhsa_uses_dynamic_stack 0
		.amdhsa_enable_private_segment 0
		.amdhsa_system_sgpr_workgroup_id_x 1
		.amdhsa_system_sgpr_workgroup_id_y 1
		.amdhsa_system_sgpr_workgroup_id_z 1
		.amdhsa_system_sgpr_workgroup_info 0
		.amdhsa_system_vgpr_workitem_id 1
		.amdhsa_next_free_vgpr 92
		.amdhsa_next_free_sgpr 24
		.amdhsa_reserve_vcc 1
		.amdhsa_float_round_mode_32 0
		.amdhsa_float_round_mode_16_64 0
		.amdhsa_float_denorm_mode_32 3
		.amdhsa_float_denorm_mode_16_64 3
		.amdhsa_dx10_clamp 1
		.amdhsa_ieee_mode 1
		.amdhsa_fp16_overflow 0
		.amdhsa_workgroup_processor_mode 1
		.amdhsa_memory_ordered 1
		.amdhsa_forward_progress 0
		.amdhsa_shared_vgpr_count 0
		.amdhsa_exception_fp_ieee_invalid_op 0
		.amdhsa_exception_fp_denorm_src 0
		.amdhsa_exception_fp_ieee_div_zero 0
		.amdhsa_exception_fp_ieee_overflow 0
		.amdhsa_exception_fp_ieee_underflow 0
		.amdhsa_exception_fp_ieee_inexact 0
		.amdhsa_exception_int_div_zero 0
	.end_amdhsa_kernel
	.section	.text._ZL37rocblas_syrkx_herkx_restricted_kernelIi19rocblas_complex_numIfELi16ELi32ELi8ELb0ELb1ELc78ELc76EKPKS1_KPS1_EviT_T0_PT8_S7_lSA_S7_lS8_PT9_S7_li,"axG",@progbits,_ZL37rocblas_syrkx_herkx_restricted_kernelIi19rocblas_complex_numIfELi16ELi32ELi8ELb0ELb1ELc78ELc76EKPKS1_KPS1_EviT_T0_PT8_S7_lSA_S7_lS8_PT9_S7_li,comdat
.Lfunc_end804:
	.size	_ZL37rocblas_syrkx_herkx_restricted_kernelIi19rocblas_complex_numIfELi16ELi32ELi8ELb0ELb1ELc78ELc76EKPKS1_KPS1_EviT_T0_PT8_S7_lSA_S7_lS8_PT9_S7_li, .Lfunc_end804-_ZL37rocblas_syrkx_herkx_restricted_kernelIi19rocblas_complex_numIfELi16ELi32ELi8ELb0ELb1ELc78ELc76EKPKS1_KPS1_EviT_T0_PT8_S7_lSA_S7_lS8_PT9_S7_li
                                        ; -- End function
	.section	.AMDGPU.csdata,"",@progbits
; Kernel info:
; codeLenInByte = 2416
; NumSgprs: 26
; NumVgprs: 92
; ScratchSize: 0
; MemoryBound: 0
; FloatMode: 240
; IeeeMode: 1
; LDSByteSize: 4096 bytes/workgroup (compile time only)
; SGPRBlocks: 3
; VGPRBlocks: 11
; NumSGPRsForWavesPerEU: 26
; NumVGPRsForWavesPerEU: 92
; Occupancy: 16
; WaveLimiterHint : 1
; COMPUTE_PGM_RSRC2:SCRATCH_EN: 0
; COMPUTE_PGM_RSRC2:USER_SGPR: 13
; COMPUTE_PGM_RSRC2:TRAP_HANDLER: 0
; COMPUTE_PGM_RSRC2:TGID_X_EN: 1
; COMPUTE_PGM_RSRC2:TGID_Y_EN: 1
; COMPUTE_PGM_RSRC2:TGID_Z_EN: 1
; COMPUTE_PGM_RSRC2:TIDIG_COMP_CNT: 1
	.section	.text._ZL37rocblas_syrkx_herkx_restricted_kernelIi19rocblas_complex_numIfELi16ELi32ELi8ELb0ELb1ELc84ELc85EKPKS1_KPS1_EviT_T0_PT8_S7_lSA_S7_lS8_PT9_S7_li,"axG",@progbits,_ZL37rocblas_syrkx_herkx_restricted_kernelIi19rocblas_complex_numIfELi16ELi32ELi8ELb0ELb1ELc84ELc85EKPKS1_KPS1_EviT_T0_PT8_S7_lSA_S7_lS8_PT9_S7_li,comdat
	.globl	_ZL37rocblas_syrkx_herkx_restricted_kernelIi19rocblas_complex_numIfELi16ELi32ELi8ELb0ELb1ELc84ELc85EKPKS1_KPS1_EviT_T0_PT8_S7_lSA_S7_lS8_PT9_S7_li ; -- Begin function _ZL37rocblas_syrkx_herkx_restricted_kernelIi19rocblas_complex_numIfELi16ELi32ELi8ELb0ELb1ELc84ELc85EKPKS1_KPS1_EviT_T0_PT8_S7_lSA_S7_lS8_PT9_S7_li
	.p2align	8
	.type	_ZL37rocblas_syrkx_herkx_restricted_kernelIi19rocblas_complex_numIfELi16ELi32ELi8ELb0ELb1ELc84ELc85EKPKS1_KPS1_EviT_T0_PT8_S7_lSA_S7_lS8_PT9_S7_li,@function
_ZL37rocblas_syrkx_herkx_restricted_kernelIi19rocblas_complex_numIfELi16ELi32ELi8ELb0ELb1ELc84ELc85EKPKS1_KPS1_EviT_T0_PT8_S7_lSA_S7_lS8_PT9_S7_li: ; @_ZL37rocblas_syrkx_herkx_restricted_kernelIi19rocblas_complex_numIfELi16ELi32ELi8ELb0ELb1ELc84ELc85EKPKS1_KPS1_EviT_T0_PT8_S7_lSA_S7_lS8_PT9_S7_li
; %bb.0:
	s_clause 0x1
	s_load_b128 s[4:7], s[0:1], 0x40
	s_load_b64 s[2:3], s[0:1], 0x0
	s_mov_b32 s16, s15
	s_mov_b32 s17, 0
	v_dual_mov_b32 v11, 0 :: v_dual_and_b32 v6, 0x3ff, v0
	s_lshl_b64 s[18:19], s[16:17], 3
	v_bfe_u32 v9, v0, 10, 10
	v_dual_mov_b32 v14, 0 :: v_dual_mov_b32 v7, 0
	v_dual_mov_b32 v16, 0 :: v_dual_mov_b32 v1, 0
	v_mov_b32_e32 v10, 0
	v_mov_b32_e32 v8, 0
	;; [unrolled: 1-line block ×3, first 2 shown]
	s_waitcnt lgkmcnt(0)
	s_add_u32 s6, s6, s18
	s_addc_u32 s7, s7, s19
	s_load_b128 s[8:11], s[0:1], 0x8
	s_load_b64 s[6:7], s[6:7], 0x0
	s_lshl_b32 s12, s13, 5
	s_lshl_b32 s13, s14, 5
	s_cmp_lt_i32 s3, 1
	s_cbranch_scc1 .LBB805_3
; %bb.1:
	s_clause 0x2
	s_load_b64 s[14:15], s[0:1], 0x28
	s_load_b32 s16, s[0:1], 0x18
	s_load_b32 s20, s[0:1], 0x30
	v_lshl_add_u32 v2, v9, 4, v6
	v_dual_mov_b32 v1, 0 :: v_dual_and_b32 v0, 7, v6
	s_waitcnt lgkmcnt(0)
	s_add_u32 s10, s10, s18
	s_addc_u32 s11, s11, s19
	v_and_b32_e32 v7, 31, v2
	v_lshrrev_b32_e32 v8, 3, v2
	s_load_b64 s[10:11], s[10:11], 0x0
	v_dual_mov_b32 v3, v1 :: v_dual_lshlrev_b32 v12, 3, v6
	v_lshrrev_b32_e32 v2, 5, v2
	v_add_nc_u32_e32 v10, s12, v7
	v_add_nc_u32_e32 v14, s13, v8
	v_lshl_add_u32 v13, v9, 6, 0x800
	v_mov_b32_e32 v16, v1
	s_add_u32 s14, s14, s18
	s_addc_u32 s15, s15, s19
	v_mad_i64_i32 v[4:5], null, s16, v10, v[2:3]
	s_load_b64 s[14:15], s[14:15], 0x0
	v_lshlrev_b32_e32 v3, 3, v0
	v_mad_i64_i32 v[10:11], null, s20, v14, v[0:1]
	v_mov_b32_e32 v0, v1
	v_lshlrev_b32_e32 v14, 3, v7
	s_delay_alu instid0(VALU_DEP_4)
	v_lshl_or_b32 v8, v8, 6, v3
	v_lshlrev_b64 v[3:4], 3, v[4:5]
	v_mov_b32_e32 v7, v1
	v_lshlrev_b64 v[10:11], 3, v[10:11]
	v_lshl_or_b32 v15, v2, 8, v14
	v_add_nc_u32_e32 v17, 0x800, v8
	s_waitcnt lgkmcnt(0)
	v_add_co_u32 v2, vcc_lo, v3, s10
	v_add_co_ci_u32_e32 v3, vcc_lo, s11, v4, vcc_lo
	v_mov_b32_e32 v8, v1
	v_mov_b32_e32 v14, v1
	v_add_co_u32 v4, vcc_lo, v10, s14
	v_mov_b32_e32 v10, v1
	v_add_co_ci_u32_e32 v5, vcc_lo, s15, v11, vcc_lo
	v_add_co_u32 v2, vcc_lo, v2, 4
	v_add_co_ci_u32_e32 v3, vcc_lo, 0, v3, vcc_lo
	v_add_co_u32 v4, vcc_lo, v4, 4
	s_delay_alu instid0(VALU_DEP_4)
	v_add_co_ci_u32_e32 v5, vcc_lo, 0, v5, vcc_lo
	v_mov_b32_e32 v11, v1
.LBB805_2:                              ; =>This Inner Loop Header: Depth=1
	global_load_b64 v[18:19], v[2:3], off offset:-4
	global_load_b64 v[20:21], v[4:5], off offset:-4
	v_add_co_u32 v2, vcc_lo, v2, 64
	v_add_co_ci_u32_e32 v3, vcc_lo, 0, v3, vcc_lo
	v_add_co_u32 v4, vcc_lo, v4, 64
	v_add_co_ci_u32_e32 v5, vcc_lo, 0, v5, vcc_lo
	s_add_i32 s17, s17, 8
	s_waitcnt vmcnt(1)
	ds_store_b64 v15, v[18:19]
	s_waitcnt vmcnt(0)
	ds_store_b64 v17, v[20:21]
	s_waitcnt lgkmcnt(0)
	s_barrier
	buffer_gl0_inv
	ds_load_2addr_b64 v[18:21], v12 offset1:16
	ds_load_b128 v[22:25], v13
	ds_load_b128 v[26:29], v13 offset:1024
	ds_load_b128 v[30:33], v13 offset:16
	ds_load_2addr_b64 v[34:37], v12 offset0:32 offset1:48
	ds_load_b128 v[38:41], v13 offset:32
	ds_load_b128 v[42:45], v13 offset:48
	ds_load_2addr_b64 v[46:49], v12 offset0:64 offset1:80
	ds_load_b128 v[50:53], v13 offset:1040
	ds_load_2addr_b64 v[54:57], v12 offset0:96 offset1:112
	ds_load_2addr_b64 v[58:61], v12 offset0:128 offset1:144
	;; [unrolled: 1-line block ×4, first 2 shown]
	ds_load_b128 v[70:73], v13 offset:1056
	ds_load_b128 v[74:77], v13 offset:1072
	ds_load_2addr_b64 v[78:81], v12 offset0:224 offset1:240
	s_cmp_ge_i32 s17, s3
	s_waitcnt lgkmcnt(0)
	s_barrier
	buffer_gl0_inv
	v_dual_mul_f32 v82, v23, v19 :: v_dual_mul_f32 v85, v22, v21
	v_dual_mul_f32 v83, v22, v19 :: v_dual_mul_f32 v84, v23, v21
	v_mul_f32_e32 v86, v27, v19
	v_dual_mul_f32 v19, v26, v19 :: v_dual_mul_f32 v90, v25, v37
	v_dual_mul_f32 v87, v27, v21 :: v_dual_mul_f32 v88, v25, v35
	v_mul_f32_e32 v21, v26, v21
	v_fma_f32 v82, v22, v18, -v82
	v_fmac_f32_e32 v83, v23, v18
	v_fma_f32 v22, v22, v20, -v84
	v_fmac_f32_e32 v85, v23, v20
	v_fma_f32 v23, v26, v18, -v86
	v_dual_fmac_f32 v19, v27, v18 :: v_dual_mul_f32 v86, v30, v47
	v_fma_f32 v18, v26, v20, -v87
	v_dual_fmac_f32 v21, v27, v20 :: v_dual_mul_f32 v20, v24, v37
	v_mul_f32_e32 v89, v24, v35
	v_mul_f32_e32 v26, v29, v35
	;; [unrolled: 1-line block ×4, first 2 shown]
	v_fmac_f32_e32 v20, v25, v36
	v_fmac_f32_e32 v89, v25, v34
	v_dual_mul_f32 v25, v28, v37 :: v_dual_fmac_f32 v86, v31, v46
	v_fma_f32 v84, v24, v34, -v88
	v_fma_f32 v24, v24, v36, -v90
	v_dual_mul_f32 v37, v31, v47 :: v_dual_mul_f32 v90, v33, v57
	v_fma_f32 v26, v28, v34, -v26
	v_fma_f32 v28, v28, v36, -v35
	v_fmac_f32_e32 v25, v29, v36
	v_dual_mul_f32 v35, v50, v47 :: v_dual_mul_f32 v36, v51, v49
	v_dual_fmac_f32 v27, v29, v34 :: v_dual_mul_f32 v34, v51, v47
	v_dual_mul_f32 v88, v32, v55 :: v_dual_mul_f32 v29, v30, v49
	v_mul_f32_e32 v87, v31, v49
	v_fma_f32 v37, v30, v46, -v37
	v_add_f32_e32 v14, v14, v82
	s_delay_alu instid0(VALU_DEP_4)
	v_dual_fmac_f32 v88, v33, v54 :: v_dual_fmac_f32 v29, v31, v48
	v_fma_f32 v31, v50, v46, -v34
	v_fma_f32 v34, v50, v48, -v36
	v_mul_f32_e32 v36, v32, v57
	v_mul_f32_e32 v47, v50, v49
	v_dual_mul_f32 v50, v53, v57 :: v_dual_fmac_f32 v35, v51, v46
	v_mul_f32_e32 v46, v53, v55
	v_mul_f32_e32 v49, v33, v55
	v_fma_f32 v30, v30, v48, -v87
	v_fmac_f32_e32 v36, v33, v56
	v_dual_fmac_f32 v47, v51, v48 :: v_dual_mul_f32 v48, v52, v55
	v_mul_f32_e32 v33, v52, v57
	v_fma_f32 v46, v52, v54, -v46
	v_fma_f32 v50, v52, v56, -v50
	v_mul_f32_e32 v52, v38, v61
	v_fma_f32 v49, v32, v54, -v49
	v_fma_f32 v32, v32, v56, -v90
	v_dual_mul_f32 v51, v39, v59 :: v_dual_fmac_f32 v48, v53, v54
	v_mul_f32_e32 v54, v70, v59
	v_dual_mul_f32 v55, v38, v59 :: v_dual_fmac_f32 v52, v39, v60
	v_fmac_f32_e32 v33, v53, v56
	v_mul_f32_e32 v53, v71, v59
	v_mul_f32_e32 v56, v71, v61
	;; [unrolled: 1-line block ×3, first 2 shown]
	v_fmac_f32_e32 v54, v71, v58
	v_fmac_f32_e32 v55, v39, v58
	v_fma_f32 v39, v70, v58, -v53
	v_fma_f32 v53, v70, v60, -v56
	v_mul_f32_e32 v56, v40, v65
	v_mul_f32_e32 v59, v70, v61
	v_fma_f32 v51, v38, v58, -v51
	v_mul_f32_e32 v58, v72, v63
	v_mul_f32_e32 v87, v40, v63
	v_mul_f32_e32 v61, v41, v63
	v_mul_f32_e32 v90, v41, v65
	v_fma_f32 v38, v38, v60, -v57
	v_mul_f32_e32 v57, v73, v63
	v_fmac_f32_e32 v56, v41, v64
	v_dual_fmac_f32 v59, v71, v60 :: v_dual_mul_f32 v60, v73, v65
	v_mul_f32_e32 v63, v43, v67
	v_mul_f32_e32 v70, v43, v69
	v_fmac_f32_e32 v58, v73, v62
	v_fmac_f32_e32 v87, v41, v62
	v_mul_f32_e32 v41, v72, v65
	v_fma_f32 v61, v40, v62, -v61
	v_fma_f32 v40, v40, v64, -v90
	v_mul_f32_e32 v65, v42, v67
	v_fma_f32 v57, v72, v62, -v57
	v_fma_f32 v60, v72, v64, -v60
	v_dual_fmac_f32 v41, v73, v64 :: v_dual_mul_f32 v62, v42, v69
	v_mul_f32_e32 v64, v75, v67
	v_fma_f32 v63, v42, v66, -v63
	v_fma_f32 v42, v42, v68, -v70
	v_mul_f32_e32 v70, v76, v79
	v_mul_f32_e32 v67, v74, v67
	;; [unrolled: 1-line block ×3, first 2 shown]
	v_dual_mul_f32 v69, v74, v69 :: v_dual_add_f32 v16, v16, v83
	v_dual_mul_f32 v73, v44, v79 :: v_dual_add_f32 v10, v10, v22
	v_dual_fmac_f32 v65, v43, v66 :: v_dual_add_f32 v8, v8, v23
	v_fmac_f32_e32 v62, v43, v68
	v_fma_f32 v43, v74, v66, -v64
	v_fmac_f32_e32 v70, v77, v78
	v_dual_fmac_f32 v67, v75, v66 :: v_dual_add_f32 v14, v14, v84
	v_mul_f32_e32 v66, v44, v81
	v_mul_f32_e32 v72, v45, v79
	;; [unrolled: 1-line block ×3, first 2 shown]
	v_fma_f32 v64, v74, v68, -v71
	v_dual_fmac_f32 v69, v75, v68 :: v_dual_add_f32 v0, v0, v18
	v_dual_mul_f32 v71, v77, v81 :: v_dual_add_f32 v10, v10, v24
	v_dual_fmac_f32 v73, v45, v78 :: v_dual_add_f32 v16, v16, v89
	v_dual_fmac_f32 v66, v45, v80 :: v_dual_mul_f32 v45, v76, v81
	s_delay_alu instid0(VALU_DEP_3)
	v_dual_add_f32 v10, v10, v30 :: v_dual_add_f32 v11, v11, v85
	v_dual_add_f32 v0, v0, v28 :: v_dual_add_f32 v7, v7, v19
	v_add_f32_e32 v14, v14, v37
	v_dual_add_f32 v1, v1, v21 :: v_dual_add_f32 v16, v16, v86
	v_dual_fmac_f32 v45, v77, v80 :: v_dual_add_f32 v8, v8, v26
	v_add_f32_e32 v11, v11, v20
	v_dual_add_f32 v7, v7, v27 :: v_dual_add_f32 v0, v0, v34
	s_delay_alu instid0(VALU_DEP_4) | instskip(NEXT) | instid1(VALU_DEP_3)
	v_dual_add_f32 v1, v1, v25 :: v_dual_add_f32 v16, v16, v88
	v_dual_add_f32 v8, v8, v31 :: v_dual_add_f32 v11, v11, v29
	s_delay_alu instid0(VALU_DEP_3) | instskip(NEXT) | instid1(VALU_DEP_3)
	v_dual_add_f32 v10, v10, v32 :: v_dual_add_f32 v7, v7, v35
	v_dual_add_f32 v14, v14, v49 :: v_dual_add_f32 v1, v1, v47
	s_delay_alu instid0(VALU_DEP_3) | instskip(NEXT) | instid1(VALU_DEP_3)
	v_dual_add_f32 v8, v8, v46 :: v_dual_add_f32 v11, v11, v36
	v_dual_add_f32 v0, v0, v50 :: v_dual_add_f32 v7, v7, v48
	s_delay_alu instid0(VALU_DEP_3) | instskip(SKIP_1) | instid1(VALU_DEP_4)
	v_dual_add_f32 v14, v14, v51 :: v_dual_add_f32 v1, v1, v33
	v_add_f32_e32 v16, v16, v55
	v_dual_add_f32 v10, v10, v38 :: v_dual_add_f32 v11, v11, v52
	s_delay_alu instid0(VALU_DEP_4) | instskip(NEXT) | instid1(VALU_DEP_4)
	v_dual_add_f32 v8, v8, v39 :: v_dual_add_f32 v7, v7, v54
	v_dual_add_f32 v0, v0, v53 :: v_dual_add_f32 v1, v1, v59
	v_mul_f32_e32 v68, v77, v79
	s_delay_alu instid0(VALU_DEP_4) | instskip(NEXT) | instid1(VALU_DEP_4)
	v_dual_add_f32 v14, v14, v61 :: v_dual_add_f32 v11, v11, v56
	v_dual_add_f32 v16, v16, v87 :: v_dual_add_f32 v7, v7, v58
	s_delay_alu instid0(VALU_DEP_4) | instskip(NEXT) | instid1(VALU_DEP_3)
	v_dual_add_f32 v10, v10, v40 :: v_dual_add_f32 v1, v1, v41
	v_dual_add_f32 v8, v8, v57 :: v_dual_add_f32 v11, v11, v62
	s_delay_alu instid0(VALU_DEP_3)
	v_dual_add_f32 v0, v0, v60 :: v_dual_add_f32 v7, v7, v67
	v_fma_f32 v72, v44, v78, -v72
	v_fma_f32 v44, v44, v80, -v90
	;; [unrolled: 1-line block ×4, first 2 shown]
	v_dual_add_f32 v14, v14, v63 :: v_dual_add_f32 v1, v1, v69
	v_dual_add_f32 v16, v16, v65 :: v_dual_add_f32 v11, v11, v66
	v_add_f32_e32 v10, v10, v42
	v_dual_add_f32 v8, v8, v43 :: v_dual_add_f32 v7, v7, v70
	v_add_f32_e32 v0, v0, v64
	v_add_f32_e32 v14, v14, v72
	v_add_f32_e32 v16, v16, v73
	s_delay_alu instid0(VALU_DEP_4)
	v_dual_add_f32 v8, v8, v68 :: v_dual_add_f32 v1, v1, v45
	v_add_f32_e32 v10, v10, v44
	v_add_f32_e32 v0, v0, v71
	s_cbranch_scc0 .LBB805_2
.LBB805_3:
	s_load_b32 s3, s[0:1], 0x50
	v_add_nc_u32_e32 v9, s13, v9
	v_add_nc_u32_e32 v2, s12, v6
	s_delay_alu instid0(VALU_DEP_2) | instskip(NEXT) | instid1(VALU_DEP_2)
	v_cmp_gt_i32_e32 vcc_lo, s2, v9
	v_cmp_le_i32_e64 s0, v2, v9
	s_delay_alu instid0(VALU_DEP_1) | instskip(SKIP_2) | instid1(VALU_DEP_1)
	s_and_b32 s0, vcc_lo, s0
	s_waitcnt lgkmcnt(0)
	v_mad_i64_i32 v[3:4], null, v9, s3, 0
	v_lshlrev_b64 v[3:4], 3, v[3:4]
	s_delay_alu instid0(VALU_DEP_1) | instskip(NEXT) | instid1(VALU_DEP_1)
	v_add_co_u32 v6, s1, s6, v3
	v_add_co_ci_u32_e64 v12, s1, s7, v4, s1
	s_and_saveexec_b32 s1, s0
	s_cbranch_execz .LBB805_6
; %bb.4:
	v_ashrrev_i32_e32 v3, 31, v2
	s_delay_alu instid0(VALU_DEP_1) | instskip(NEXT) | instid1(VALU_DEP_1)
	v_lshlrev_b64 v[3:4], 3, v[2:3]
	v_add_co_u32 v3, s0, v6, v3
	s_delay_alu instid0(VALU_DEP_1)
	v_add_co_ci_u32_e64 v4, s0, v12, v4, s0
	v_cmp_eq_u32_e64 s0, v9, v2
	global_load_b64 v[17:18], v[3:4], off
	v_mul_f32_e32 v5, s9, v16
	s_waitcnt vmcnt(0)
	v_dual_mul_f32 v15, s8, v16 :: v_dual_mul_f32 v16, s4, v18
	s_delay_alu instid0(VALU_DEP_2) | instskip(NEXT) | instid1(VALU_DEP_2)
	v_fma_f32 v5, v14, s8, -v5
	v_dual_fmac_f32 v16, s5, v17 :: v_dual_fmac_f32 v15, s9, v14
	s_delay_alu instid0(VALU_DEP_1) | instskip(NEXT) | instid1(VALU_DEP_1)
	v_dual_mul_f32 v13, s5, v18 :: v_dual_add_f32 v14, v15, v16
	v_fma_f32 v13, v17, s4, -v13
	s_delay_alu instid0(VALU_DEP_1)
	v_add_f32_e32 v13, v5, v13
	global_store_b64 v[3:4], v[13:14], off
	s_and_b32 exec_lo, exec_lo, s0
	s_cbranch_execz .LBB805_6
; %bb.5:
	v_mov_b32_e32 v5, 0
	global_store_b32 v[3:4], v5, off offset:4
.LBB805_6:
	s_or_b32 exec_lo, exec_lo, s1
	v_add_nc_u32_e32 v4, 16, v2
	s_delay_alu instid0(VALU_DEP_1) | instskip(NEXT) | instid1(VALU_DEP_1)
	v_cmp_le_i32_e64 s0, v4, v9
	s_and_b32 s1, vcc_lo, s0
	s_delay_alu instid0(SALU_CYCLE_1)
	s_and_saveexec_b32 s0, s1
	s_cbranch_execz .LBB805_9
; %bb.7:
	v_ashrrev_i32_e32 v5, 31, v4
	s_delay_alu instid0(VALU_DEP_1) | instskip(NEXT) | instid1(VALU_DEP_1)
	v_lshlrev_b64 v[13:14], 3, v[4:5]
	v_add_co_u32 v5, vcc_lo, v6, v13
	s_delay_alu instid0(VALU_DEP_2)
	v_add_co_ci_u32_e32 v6, vcc_lo, v12, v14, vcc_lo
	v_cmp_eq_u32_e32 vcc_lo, v9, v4
	global_load_b64 v[12:13], v[5:6], off
	s_waitcnt vmcnt(0)
	v_dual_mul_f32 v3, s9, v11 :: v_dual_mul_f32 v14, s5, v13
	v_mul_f32_e32 v13, s4, v13
	s_delay_alu instid0(VALU_DEP_2) | instskip(SKIP_1) | instid1(VALU_DEP_3)
	v_fma_f32 v3, v10, s8, -v3
	v_mul_f32_e32 v11, s8, v11
	v_fmac_f32_e32 v13, s5, v12
	s_delay_alu instid0(VALU_DEP_2) | instskip(SKIP_1) | instid1(VALU_DEP_2)
	v_fmac_f32_e32 v11, s9, v10
	v_fma_f32 v10, v12, s4, -v14
	v_add_f32_e32 v11, v11, v13
	s_delay_alu instid0(VALU_DEP_2)
	v_add_f32_e32 v10, v3, v10
	global_store_b64 v[5:6], v[10:11], off
	s_and_b32 exec_lo, exec_lo, vcc_lo
	s_cbranch_execz .LBB805_9
; %bb.8:
	v_mov_b32_e32 v3, 0
	global_store_b32 v[5:6], v3, off offset:4
.LBB805_9:
	s_or_b32 exec_lo, exec_lo, s0
	v_add_nc_u32_e32 v12, 16, v9
	s_delay_alu instid0(VALU_DEP_1) | instskip(SKIP_2) | instid1(VALU_DEP_1)
	v_mad_i64_i32 v[5:6], null, v12, s3, 0
	v_cmp_gt_i32_e32 vcc_lo, s2, v12
	v_cmp_le_i32_e64 s0, v2, v12
	s_and_b32 s0, vcc_lo, s0
	s_delay_alu instid0(VALU_DEP_3) | instskip(NEXT) | instid1(VALU_DEP_1)
	v_lshlrev_b64 v[5:6], 3, v[5:6]
	v_add_co_u32 v10, s1, s6, v5
	s_delay_alu instid0(VALU_DEP_1)
	v_add_co_ci_u32_e64 v11, s1, s7, v6, s1
	s_and_saveexec_b32 s1, s0
	s_cbranch_execz .LBB805_12
; %bb.10:
	v_ashrrev_i32_e32 v3, 31, v2
	s_delay_alu instid0(VALU_DEP_1) | instskip(NEXT) | instid1(VALU_DEP_1)
	v_lshlrev_b64 v[5:6], 3, v[2:3]
	v_add_co_u32 v5, s0, v10, v5
	s_delay_alu instid0(VALU_DEP_1)
	v_add_co_ci_u32_e64 v6, s0, v11, v6, s0
	v_cmp_eq_u32_e64 s0, v12, v2
	global_load_b64 v[13:14], v[5:6], off
	v_mul_f32_e32 v3, s9, v7
	v_mul_f32_e32 v15, s8, v7
	s_waitcnt vmcnt(0)
	v_mul_f32_e32 v7, s5, v14
	v_mul_f32_e32 v14, s4, v14
	v_fma_f32 v3, v8, s8, -v3
	s_delay_alu instid0(VALU_DEP_3) | instskip(NEXT) | instid1(VALU_DEP_3)
	v_fma_f32 v7, v13, s4, -v7
	v_dual_fmac_f32 v14, s5, v13 :: v_dual_fmac_f32 v15, s9, v8
	s_delay_alu instid0(VALU_DEP_2) | instskip(NEXT) | instid1(VALU_DEP_2)
	v_add_f32_e32 v7, v3, v7
	v_add_f32_e32 v8, v15, v14
	global_store_b64 v[5:6], v[7:8], off
	s_and_b32 exec_lo, exec_lo, s0
	s_cbranch_execz .LBB805_12
; %bb.11:
	v_mov_b32_e32 v3, 0
	global_store_b32 v[5:6], v3, off offset:4
.LBB805_12:
	s_or_b32 exec_lo, exec_lo, s1
	v_cmp_le_i32_e64 s0, v4, v12
	s_delay_alu instid0(VALU_DEP_1) | instskip(NEXT) | instid1(SALU_CYCLE_1)
	s_and_b32 s0, vcc_lo, s0
	s_and_saveexec_b32 s1, s0
	s_cbranch_execz .LBB805_15
; %bb.13:
	v_ashrrev_i32_e32 v5, 31, v4
	s_delay_alu instid0(VALU_DEP_1) | instskip(NEXT) | instid1(VALU_DEP_1)
	v_lshlrev_b64 v[3:4], 3, v[4:5]
	v_add_co_u32 v3, vcc_lo, v10, v3
	s_delay_alu instid0(VALU_DEP_2)
	v_add_co_ci_u32_e32 v4, vcc_lo, v11, v4, vcc_lo
	v_cmp_eq_u32_e32 vcc_lo, v9, v2
	global_load_b64 v[5:6], v[3:4], off
	v_mul_f32_e32 v7, s9, v1
	s_waitcnt vmcnt(0)
	v_dual_mul_f32 v1, s8, v1 :: v_dual_mul_f32 v8, s5, v6
	v_mul_f32_e32 v6, s4, v6
	s_delay_alu instid0(VALU_DEP_3) | instskip(NEXT) | instid1(VALU_DEP_3)
	v_fma_f32 v7, v0, s8, -v7
	v_fmac_f32_e32 v1, s9, v0
	s_delay_alu instid0(VALU_DEP_4) | instskip(NEXT) | instid1(VALU_DEP_4)
	v_fma_f32 v0, v5, s4, -v8
	v_fmac_f32_e32 v6, s5, v5
	s_delay_alu instid0(VALU_DEP_1)
	v_dual_add_f32 v0, v7, v0 :: v_dual_add_f32 v1, v1, v6
	global_store_b64 v[3:4], v[0:1], off
	s_and_b32 exec_lo, exec_lo, vcc_lo
	s_cbranch_execz .LBB805_15
; %bb.14:
	v_mov_b32_e32 v0, 0
	global_store_b32 v[3:4], v0, off offset:4
.LBB805_15:
	s_nop 0
	s_sendmsg sendmsg(MSG_DEALLOC_VGPRS)
	s_endpgm
	.section	.rodata,"a",@progbits
	.p2align	6, 0x0
	.amdhsa_kernel _ZL37rocblas_syrkx_herkx_restricted_kernelIi19rocblas_complex_numIfELi16ELi32ELi8ELb0ELb1ELc84ELc85EKPKS1_KPS1_EviT_T0_PT8_S7_lSA_S7_lS8_PT9_S7_li
		.amdhsa_group_segment_fixed_size 4096
		.amdhsa_private_segment_fixed_size 0
		.amdhsa_kernarg_size 100
		.amdhsa_user_sgpr_count 13
		.amdhsa_user_sgpr_dispatch_ptr 0
		.amdhsa_user_sgpr_queue_ptr 0
		.amdhsa_user_sgpr_kernarg_segment_ptr 1
		.amdhsa_user_sgpr_dispatch_id 0
		.amdhsa_user_sgpr_private_segment_size 0
		.amdhsa_wavefront_size32 1
		.amdhsa_uses_dynamic_stack 0
		.amdhsa_enable_private_segment 0
		.amdhsa_system_sgpr_workgroup_id_x 1
		.amdhsa_system_sgpr_workgroup_id_y 1
		.amdhsa_system_sgpr_workgroup_id_z 1
		.amdhsa_system_sgpr_workgroup_info 0
		.amdhsa_system_vgpr_workitem_id 1
		.amdhsa_next_free_vgpr 91
		.amdhsa_next_free_sgpr 21
		.amdhsa_reserve_vcc 1
		.amdhsa_float_round_mode_32 0
		.amdhsa_float_round_mode_16_64 0
		.amdhsa_float_denorm_mode_32 3
		.amdhsa_float_denorm_mode_16_64 3
		.amdhsa_dx10_clamp 1
		.amdhsa_ieee_mode 1
		.amdhsa_fp16_overflow 0
		.amdhsa_workgroup_processor_mode 1
		.amdhsa_memory_ordered 1
		.amdhsa_forward_progress 0
		.amdhsa_shared_vgpr_count 0
		.amdhsa_exception_fp_ieee_invalid_op 0
		.amdhsa_exception_fp_denorm_src 0
		.amdhsa_exception_fp_ieee_div_zero 0
		.amdhsa_exception_fp_ieee_overflow 0
		.amdhsa_exception_fp_ieee_underflow 0
		.amdhsa_exception_fp_ieee_inexact 0
		.amdhsa_exception_int_div_zero 0
	.end_amdhsa_kernel
	.section	.text._ZL37rocblas_syrkx_herkx_restricted_kernelIi19rocblas_complex_numIfELi16ELi32ELi8ELb0ELb1ELc84ELc85EKPKS1_KPS1_EviT_T0_PT8_S7_lSA_S7_lS8_PT9_S7_li,"axG",@progbits,_ZL37rocblas_syrkx_herkx_restricted_kernelIi19rocblas_complex_numIfELi16ELi32ELi8ELb0ELb1ELc84ELc85EKPKS1_KPS1_EviT_T0_PT8_S7_lSA_S7_lS8_PT9_S7_li,comdat
.Lfunc_end805:
	.size	_ZL37rocblas_syrkx_herkx_restricted_kernelIi19rocblas_complex_numIfELi16ELi32ELi8ELb0ELb1ELc84ELc85EKPKS1_KPS1_EviT_T0_PT8_S7_lSA_S7_lS8_PT9_S7_li, .Lfunc_end805-_ZL37rocblas_syrkx_herkx_restricted_kernelIi19rocblas_complex_numIfELi16ELi32ELi8ELb0ELb1ELc84ELc85EKPKS1_KPS1_EviT_T0_PT8_S7_lSA_S7_lS8_PT9_S7_li
                                        ; -- End function
	.section	.AMDGPU.csdata,"",@progbits
; Kernel info:
; codeLenInByte = 2368
; NumSgprs: 23
; NumVgprs: 91
; ScratchSize: 0
; MemoryBound: 0
; FloatMode: 240
; IeeeMode: 1
; LDSByteSize: 4096 bytes/workgroup (compile time only)
; SGPRBlocks: 2
; VGPRBlocks: 11
; NumSGPRsForWavesPerEU: 23
; NumVGPRsForWavesPerEU: 91
; Occupancy: 16
; WaveLimiterHint : 1
; COMPUTE_PGM_RSRC2:SCRATCH_EN: 0
; COMPUTE_PGM_RSRC2:USER_SGPR: 13
; COMPUTE_PGM_RSRC2:TRAP_HANDLER: 0
; COMPUTE_PGM_RSRC2:TGID_X_EN: 1
; COMPUTE_PGM_RSRC2:TGID_Y_EN: 1
; COMPUTE_PGM_RSRC2:TGID_Z_EN: 1
; COMPUTE_PGM_RSRC2:TIDIG_COMP_CNT: 1
	.section	.text._ZL37rocblas_syrkx_herkx_restricted_kernelIi19rocblas_complex_numIfELi16ELi32ELi8ELb0ELb1ELc67ELc85EKPKS1_KPS1_EviT_T0_PT8_S7_lSA_S7_lS8_PT9_S7_li,"axG",@progbits,_ZL37rocblas_syrkx_herkx_restricted_kernelIi19rocblas_complex_numIfELi16ELi32ELi8ELb0ELb1ELc67ELc85EKPKS1_KPS1_EviT_T0_PT8_S7_lSA_S7_lS8_PT9_S7_li,comdat
	.globl	_ZL37rocblas_syrkx_herkx_restricted_kernelIi19rocblas_complex_numIfELi16ELi32ELi8ELb0ELb1ELc67ELc85EKPKS1_KPS1_EviT_T0_PT8_S7_lSA_S7_lS8_PT9_S7_li ; -- Begin function _ZL37rocblas_syrkx_herkx_restricted_kernelIi19rocblas_complex_numIfELi16ELi32ELi8ELb0ELb1ELc67ELc85EKPKS1_KPS1_EviT_T0_PT8_S7_lSA_S7_lS8_PT9_S7_li
	.p2align	8
	.type	_ZL37rocblas_syrkx_herkx_restricted_kernelIi19rocblas_complex_numIfELi16ELi32ELi8ELb0ELb1ELc67ELc85EKPKS1_KPS1_EviT_T0_PT8_S7_lSA_S7_lS8_PT9_S7_li,@function
_ZL37rocblas_syrkx_herkx_restricted_kernelIi19rocblas_complex_numIfELi16ELi32ELi8ELb0ELb1ELc67ELc85EKPKS1_KPS1_EviT_T0_PT8_S7_lSA_S7_lS8_PT9_S7_li: ; @_ZL37rocblas_syrkx_herkx_restricted_kernelIi19rocblas_complex_numIfELi16ELi32ELi8ELb0ELb1ELc67ELc85EKPKS1_KPS1_EviT_T0_PT8_S7_lSA_S7_lS8_PT9_S7_li
; %bb.0:
	s_clause 0x1
	s_load_b128 s[4:7], s[0:1], 0x40
	s_load_b64 s[2:3], s[0:1], 0x0
	s_mov_b32 s16, s15
	s_mov_b32 s17, 0
	v_dual_mov_b32 v11, 0 :: v_dual_and_b32 v6, 0x3ff, v0
	s_lshl_b64 s[18:19], s[16:17], 3
	v_bfe_u32 v9, v0, 10, 10
	v_dual_mov_b32 v14, 0 :: v_dual_mov_b32 v7, 0
	v_dual_mov_b32 v16, 0 :: v_dual_mov_b32 v1, 0
	v_mov_b32_e32 v10, 0
	v_mov_b32_e32 v8, 0
	;; [unrolled: 1-line block ×3, first 2 shown]
	s_waitcnt lgkmcnt(0)
	s_add_u32 s6, s6, s18
	s_addc_u32 s7, s7, s19
	s_load_b128 s[8:11], s[0:1], 0x8
	s_load_b64 s[6:7], s[6:7], 0x0
	s_lshl_b32 s12, s13, 5
	s_lshl_b32 s13, s14, 5
	s_cmp_lt_i32 s3, 1
	s_cbranch_scc1 .LBB806_3
; %bb.1:
	s_clause 0x2
	s_load_b64 s[14:15], s[0:1], 0x28
	s_load_b32 s16, s[0:1], 0x18
	s_load_b32 s20, s[0:1], 0x30
	v_lshl_add_u32 v2, v9, 4, v6
	v_dual_mov_b32 v1, 0 :: v_dual_and_b32 v0, 7, v6
	s_waitcnt lgkmcnt(0)
	s_add_u32 s10, s10, s18
	s_addc_u32 s11, s11, s19
	v_and_b32_e32 v7, 31, v2
	v_lshrrev_b32_e32 v8, 3, v2
	s_load_b64 s[10:11], s[10:11], 0x0
	v_dual_mov_b32 v3, v1 :: v_dual_lshlrev_b32 v12, 3, v6
	v_lshrrev_b32_e32 v2, 5, v2
	v_add_nc_u32_e32 v10, s12, v7
	v_add_nc_u32_e32 v14, s13, v8
	v_lshl_add_u32 v13, v9, 6, 0x800
	v_mov_b32_e32 v16, v1
	s_add_u32 s14, s14, s18
	s_addc_u32 s15, s15, s19
	v_mad_i64_i32 v[4:5], null, s16, v10, v[2:3]
	s_load_b64 s[14:15], s[14:15], 0x0
	v_lshlrev_b32_e32 v3, 3, v0
	v_mad_i64_i32 v[10:11], null, s20, v14, v[0:1]
	v_mov_b32_e32 v0, v1
	v_lshlrev_b32_e32 v14, 3, v7
	s_delay_alu instid0(VALU_DEP_4)
	v_lshl_or_b32 v8, v8, 6, v3
	v_lshlrev_b64 v[3:4], 3, v[4:5]
	v_mov_b32_e32 v7, v1
	v_lshlrev_b64 v[10:11], 3, v[10:11]
	v_lshl_or_b32 v15, v2, 8, v14
	v_add_nc_u32_e32 v17, 0x800, v8
	s_waitcnt lgkmcnt(0)
	v_add_co_u32 v2, vcc_lo, v3, s10
	v_add_co_ci_u32_e32 v3, vcc_lo, s11, v4, vcc_lo
	v_mov_b32_e32 v8, v1
	v_mov_b32_e32 v14, v1
	v_add_co_u32 v4, vcc_lo, v10, s14
	v_mov_b32_e32 v10, v1
	v_add_co_ci_u32_e32 v5, vcc_lo, s15, v11, vcc_lo
	v_add_co_u32 v2, vcc_lo, v2, 4
	v_add_co_ci_u32_e32 v3, vcc_lo, 0, v3, vcc_lo
	v_add_co_u32 v4, vcc_lo, v4, 4
	s_delay_alu instid0(VALU_DEP_4)
	v_add_co_ci_u32_e32 v5, vcc_lo, 0, v5, vcc_lo
	v_mov_b32_e32 v11, v1
.LBB806_2:                              ; =>This Inner Loop Header: Depth=1
	global_load_b64 v[18:19], v[2:3], off offset:-4
	global_load_b64 v[20:21], v[4:5], off offset:-4
	v_add_co_u32 v2, vcc_lo, v2, 64
	v_add_co_ci_u32_e32 v3, vcc_lo, 0, v3, vcc_lo
	v_add_co_u32 v4, vcc_lo, v4, 64
	v_add_co_ci_u32_e32 v5, vcc_lo, 0, v5, vcc_lo
	s_add_i32 s17, s17, 8
	s_delay_alu instid0(SALU_CYCLE_1)
	s_cmp_ge_i32 s17, s3
	s_waitcnt vmcnt(1)
	v_xor_b32_e32 v19, 0x80000000, v19
	ds_store_b64 v15, v[18:19]
	s_waitcnt vmcnt(0)
	ds_store_b64 v17, v[20:21]
	s_waitcnt lgkmcnt(0)
	s_barrier
	buffer_gl0_inv
	ds_load_2addr_b64 v[18:21], v12 offset1:16
	ds_load_b128 v[22:25], v13
	ds_load_b128 v[26:29], v13 offset:1024
	ds_load_b128 v[30:33], v13 offset:16
	ds_load_2addr_b64 v[34:37], v12 offset0:32 offset1:48
	ds_load_b128 v[38:41], v13 offset:32
	ds_load_b128 v[42:45], v13 offset:48
	ds_load_2addr_b64 v[46:49], v12 offset0:64 offset1:80
	ds_load_b128 v[50:53], v13 offset:1040
	ds_load_2addr_b64 v[54:57], v12 offset0:96 offset1:112
	ds_load_2addr_b64 v[58:61], v12 offset0:128 offset1:144
	ds_load_2addr_b64 v[62:65], v12 offset0:160 offset1:176
	ds_load_2addr_b64 v[66:69], v12 offset0:192 offset1:208
	ds_load_b128 v[70:73], v13 offset:1056
	ds_load_b128 v[74:77], v13 offset:1072
	ds_load_2addr_b64 v[78:81], v12 offset0:224 offset1:240
	s_waitcnt lgkmcnt(0)
	s_barrier
	buffer_gl0_inv
	v_dual_mul_f32 v82, v23, v19 :: v_dual_mul_f32 v85, v22, v21
	v_dual_mul_f32 v83, v22, v19 :: v_dual_mul_f32 v84, v23, v21
	v_mul_f32_e32 v86, v27, v19
	v_dual_mul_f32 v19, v26, v19 :: v_dual_mul_f32 v90, v25, v37
	v_dual_mul_f32 v87, v27, v21 :: v_dual_mul_f32 v88, v25, v35
	v_mul_f32_e32 v21, v26, v21
	v_fma_f32 v82, v22, v18, -v82
	v_fmac_f32_e32 v83, v23, v18
	v_fma_f32 v22, v22, v20, -v84
	v_fmac_f32_e32 v85, v23, v20
	v_fma_f32 v23, v26, v18, -v86
	v_dual_fmac_f32 v19, v27, v18 :: v_dual_mul_f32 v86, v30, v47
	v_fma_f32 v18, v26, v20, -v87
	v_dual_fmac_f32 v21, v27, v20 :: v_dual_mul_f32 v20, v24, v37
	v_mul_f32_e32 v89, v24, v35
	v_mul_f32_e32 v26, v29, v35
	;; [unrolled: 1-line block ×4, first 2 shown]
	v_fmac_f32_e32 v20, v25, v36
	v_fmac_f32_e32 v89, v25, v34
	v_dual_mul_f32 v25, v28, v37 :: v_dual_fmac_f32 v86, v31, v46
	v_fma_f32 v84, v24, v34, -v88
	v_fma_f32 v24, v24, v36, -v90
	v_dual_mul_f32 v37, v31, v47 :: v_dual_mul_f32 v90, v33, v57
	v_fma_f32 v26, v28, v34, -v26
	v_fma_f32 v28, v28, v36, -v35
	v_fmac_f32_e32 v25, v29, v36
	v_dual_mul_f32 v35, v50, v47 :: v_dual_mul_f32 v36, v51, v49
	v_dual_fmac_f32 v27, v29, v34 :: v_dual_mul_f32 v34, v51, v47
	v_dual_mul_f32 v88, v32, v55 :: v_dual_mul_f32 v29, v30, v49
	v_mul_f32_e32 v87, v31, v49
	v_fma_f32 v37, v30, v46, -v37
	v_add_f32_e32 v14, v14, v82
	s_delay_alu instid0(VALU_DEP_4)
	v_dual_fmac_f32 v88, v33, v54 :: v_dual_fmac_f32 v29, v31, v48
	v_fma_f32 v31, v50, v46, -v34
	v_fma_f32 v34, v50, v48, -v36
	v_mul_f32_e32 v36, v32, v57
	v_mul_f32_e32 v47, v50, v49
	v_dual_mul_f32 v50, v53, v57 :: v_dual_fmac_f32 v35, v51, v46
	v_mul_f32_e32 v46, v53, v55
	v_mul_f32_e32 v49, v33, v55
	v_fma_f32 v30, v30, v48, -v87
	v_fmac_f32_e32 v36, v33, v56
	v_dual_fmac_f32 v47, v51, v48 :: v_dual_mul_f32 v48, v52, v55
	v_mul_f32_e32 v33, v52, v57
	v_fma_f32 v46, v52, v54, -v46
	v_fma_f32 v50, v52, v56, -v50
	v_mul_f32_e32 v52, v38, v61
	v_fma_f32 v49, v32, v54, -v49
	v_fma_f32 v32, v32, v56, -v90
	v_dual_mul_f32 v51, v39, v59 :: v_dual_fmac_f32 v48, v53, v54
	v_mul_f32_e32 v54, v70, v59
	v_dual_mul_f32 v55, v38, v59 :: v_dual_fmac_f32 v52, v39, v60
	v_fmac_f32_e32 v33, v53, v56
	v_mul_f32_e32 v53, v71, v59
	v_mul_f32_e32 v56, v71, v61
	;; [unrolled: 1-line block ×3, first 2 shown]
	v_fmac_f32_e32 v54, v71, v58
	v_fmac_f32_e32 v55, v39, v58
	v_fma_f32 v39, v70, v58, -v53
	v_fma_f32 v53, v70, v60, -v56
	v_mul_f32_e32 v56, v40, v65
	v_mul_f32_e32 v59, v70, v61
	v_fma_f32 v51, v38, v58, -v51
	v_mul_f32_e32 v58, v72, v63
	v_mul_f32_e32 v87, v40, v63
	;; [unrolled: 1-line block ×4, first 2 shown]
	v_fma_f32 v38, v38, v60, -v57
	v_mul_f32_e32 v57, v73, v63
	v_fmac_f32_e32 v56, v41, v64
	v_dual_fmac_f32 v59, v71, v60 :: v_dual_mul_f32 v60, v73, v65
	v_mul_f32_e32 v63, v43, v67
	v_mul_f32_e32 v70, v43, v69
	v_fmac_f32_e32 v58, v73, v62
	v_fmac_f32_e32 v87, v41, v62
	v_mul_f32_e32 v41, v72, v65
	v_fma_f32 v61, v40, v62, -v61
	v_fma_f32 v40, v40, v64, -v90
	v_mul_f32_e32 v65, v42, v67
	v_fma_f32 v57, v72, v62, -v57
	v_fma_f32 v60, v72, v64, -v60
	v_dual_fmac_f32 v41, v73, v64 :: v_dual_mul_f32 v62, v42, v69
	v_mul_f32_e32 v64, v75, v67
	v_fma_f32 v63, v42, v66, -v63
	v_fma_f32 v42, v42, v68, -v70
	v_mul_f32_e32 v70, v76, v79
	v_mul_f32_e32 v67, v74, v67
	v_mul_f32_e32 v71, v75, v69
	v_dual_mul_f32 v69, v74, v69 :: v_dual_add_f32 v16, v16, v83
	v_dual_mul_f32 v73, v44, v79 :: v_dual_add_f32 v10, v10, v22
	v_dual_fmac_f32 v65, v43, v66 :: v_dual_add_f32 v8, v8, v23
	v_fmac_f32_e32 v62, v43, v68
	v_fma_f32 v43, v74, v66, -v64
	v_fmac_f32_e32 v70, v77, v78
	v_dual_fmac_f32 v67, v75, v66 :: v_dual_add_f32 v14, v14, v84
	v_mul_f32_e32 v66, v44, v81
	v_mul_f32_e32 v72, v45, v79
	;; [unrolled: 1-line block ×3, first 2 shown]
	v_fma_f32 v64, v74, v68, -v71
	v_dual_fmac_f32 v69, v75, v68 :: v_dual_add_f32 v0, v0, v18
	v_dual_mul_f32 v71, v77, v81 :: v_dual_add_f32 v10, v10, v24
	v_dual_fmac_f32 v73, v45, v78 :: v_dual_add_f32 v16, v16, v89
	v_dual_fmac_f32 v66, v45, v80 :: v_dual_mul_f32 v45, v76, v81
	s_delay_alu instid0(VALU_DEP_3)
	v_dual_add_f32 v10, v10, v30 :: v_dual_add_f32 v11, v11, v85
	v_dual_add_f32 v0, v0, v28 :: v_dual_add_f32 v7, v7, v19
	v_add_f32_e32 v14, v14, v37
	v_dual_add_f32 v1, v1, v21 :: v_dual_add_f32 v16, v16, v86
	v_dual_fmac_f32 v45, v77, v80 :: v_dual_add_f32 v8, v8, v26
	v_add_f32_e32 v11, v11, v20
	v_dual_add_f32 v7, v7, v27 :: v_dual_add_f32 v0, v0, v34
	s_delay_alu instid0(VALU_DEP_4) | instskip(NEXT) | instid1(VALU_DEP_3)
	v_dual_add_f32 v1, v1, v25 :: v_dual_add_f32 v16, v16, v88
	v_dual_add_f32 v8, v8, v31 :: v_dual_add_f32 v11, v11, v29
	s_delay_alu instid0(VALU_DEP_3) | instskip(NEXT) | instid1(VALU_DEP_3)
	v_dual_add_f32 v10, v10, v32 :: v_dual_add_f32 v7, v7, v35
	v_dual_add_f32 v14, v14, v49 :: v_dual_add_f32 v1, v1, v47
	s_delay_alu instid0(VALU_DEP_3) | instskip(NEXT) | instid1(VALU_DEP_3)
	v_dual_add_f32 v8, v8, v46 :: v_dual_add_f32 v11, v11, v36
	v_dual_add_f32 v0, v0, v50 :: v_dual_add_f32 v7, v7, v48
	s_delay_alu instid0(VALU_DEP_3) | instskip(SKIP_1) | instid1(VALU_DEP_4)
	v_dual_add_f32 v14, v14, v51 :: v_dual_add_f32 v1, v1, v33
	v_add_f32_e32 v16, v16, v55
	v_dual_add_f32 v10, v10, v38 :: v_dual_add_f32 v11, v11, v52
	s_delay_alu instid0(VALU_DEP_4) | instskip(NEXT) | instid1(VALU_DEP_4)
	v_dual_add_f32 v8, v8, v39 :: v_dual_add_f32 v7, v7, v54
	v_dual_add_f32 v0, v0, v53 :: v_dual_add_f32 v1, v1, v59
	v_mul_f32_e32 v68, v77, v79
	s_delay_alu instid0(VALU_DEP_4) | instskip(NEXT) | instid1(VALU_DEP_4)
	v_dual_add_f32 v14, v14, v61 :: v_dual_add_f32 v11, v11, v56
	v_dual_add_f32 v16, v16, v87 :: v_dual_add_f32 v7, v7, v58
	s_delay_alu instid0(VALU_DEP_4) | instskip(NEXT) | instid1(VALU_DEP_3)
	v_dual_add_f32 v10, v10, v40 :: v_dual_add_f32 v1, v1, v41
	v_dual_add_f32 v8, v8, v57 :: v_dual_add_f32 v11, v11, v62
	s_delay_alu instid0(VALU_DEP_3)
	v_dual_add_f32 v0, v0, v60 :: v_dual_add_f32 v7, v7, v67
	v_fma_f32 v72, v44, v78, -v72
	v_fma_f32 v44, v44, v80, -v90
	;; [unrolled: 1-line block ×4, first 2 shown]
	v_dual_add_f32 v14, v14, v63 :: v_dual_add_f32 v1, v1, v69
	v_dual_add_f32 v16, v16, v65 :: v_dual_add_f32 v11, v11, v66
	v_add_f32_e32 v10, v10, v42
	v_dual_add_f32 v8, v8, v43 :: v_dual_add_f32 v7, v7, v70
	v_add_f32_e32 v0, v0, v64
	v_add_f32_e32 v14, v14, v72
	;; [unrolled: 1-line block ×3, first 2 shown]
	s_delay_alu instid0(VALU_DEP_4)
	v_dual_add_f32 v8, v8, v68 :: v_dual_add_f32 v1, v1, v45
	v_add_f32_e32 v10, v10, v44
	v_add_f32_e32 v0, v0, v71
	s_cbranch_scc0 .LBB806_2
.LBB806_3:
	s_load_b32 s3, s[0:1], 0x50
	v_add_nc_u32_e32 v9, s13, v9
	v_add_nc_u32_e32 v2, s12, v6
	s_delay_alu instid0(VALU_DEP_2) | instskip(NEXT) | instid1(VALU_DEP_2)
	v_cmp_gt_i32_e32 vcc_lo, s2, v9
	v_cmp_le_i32_e64 s0, v2, v9
	s_delay_alu instid0(VALU_DEP_1) | instskip(SKIP_2) | instid1(VALU_DEP_1)
	s_and_b32 s0, vcc_lo, s0
	s_waitcnt lgkmcnt(0)
	v_mad_i64_i32 v[3:4], null, v9, s3, 0
	v_lshlrev_b64 v[3:4], 3, v[3:4]
	s_delay_alu instid0(VALU_DEP_1) | instskip(NEXT) | instid1(VALU_DEP_1)
	v_add_co_u32 v6, s1, s6, v3
	v_add_co_ci_u32_e64 v12, s1, s7, v4, s1
	s_and_saveexec_b32 s1, s0
	s_cbranch_execz .LBB806_6
; %bb.4:
	v_ashrrev_i32_e32 v3, 31, v2
	s_delay_alu instid0(VALU_DEP_1) | instskip(NEXT) | instid1(VALU_DEP_1)
	v_lshlrev_b64 v[3:4], 3, v[2:3]
	v_add_co_u32 v3, s0, v6, v3
	s_delay_alu instid0(VALU_DEP_1)
	v_add_co_ci_u32_e64 v4, s0, v12, v4, s0
	v_cmp_eq_u32_e64 s0, v9, v2
	global_load_b64 v[17:18], v[3:4], off
	v_mul_f32_e32 v5, s9, v16
	s_waitcnt vmcnt(0)
	v_dual_mul_f32 v15, s8, v16 :: v_dual_mul_f32 v16, s4, v18
	s_delay_alu instid0(VALU_DEP_2) | instskip(NEXT) | instid1(VALU_DEP_2)
	v_fma_f32 v5, v14, s8, -v5
	v_dual_fmac_f32 v16, s5, v17 :: v_dual_fmac_f32 v15, s9, v14
	s_delay_alu instid0(VALU_DEP_1) | instskip(NEXT) | instid1(VALU_DEP_1)
	v_dual_mul_f32 v13, s5, v18 :: v_dual_add_f32 v14, v15, v16
	v_fma_f32 v13, v17, s4, -v13
	s_delay_alu instid0(VALU_DEP_1)
	v_add_f32_e32 v13, v5, v13
	global_store_b64 v[3:4], v[13:14], off
	s_and_b32 exec_lo, exec_lo, s0
	s_cbranch_execz .LBB806_6
; %bb.5:
	v_mov_b32_e32 v5, 0
	global_store_b32 v[3:4], v5, off offset:4
.LBB806_6:
	s_or_b32 exec_lo, exec_lo, s1
	v_add_nc_u32_e32 v4, 16, v2
	s_delay_alu instid0(VALU_DEP_1) | instskip(NEXT) | instid1(VALU_DEP_1)
	v_cmp_le_i32_e64 s0, v4, v9
	s_and_b32 s1, vcc_lo, s0
	s_delay_alu instid0(SALU_CYCLE_1)
	s_and_saveexec_b32 s0, s1
	s_cbranch_execz .LBB806_9
; %bb.7:
	v_ashrrev_i32_e32 v5, 31, v4
	s_delay_alu instid0(VALU_DEP_1) | instskip(NEXT) | instid1(VALU_DEP_1)
	v_lshlrev_b64 v[13:14], 3, v[4:5]
	v_add_co_u32 v5, vcc_lo, v6, v13
	s_delay_alu instid0(VALU_DEP_2)
	v_add_co_ci_u32_e32 v6, vcc_lo, v12, v14, vcc_lo
	v_cmp_eq_u32_e32 vcc_lo, v9, v4
	global_load_b64 v[12:13], v[5:6], off
	s_waitcnt vmcnt(0)
	v_dual_mul_f32 v3, s9, v11 :: v_dual_mul_f32 v14, s5, v13
	v_mul_f32_e32 v13, s4, v13
	s_delay_alu instid0(VALU_DEP_2) | instskip(SKIP_1) | instid1(VALU_DEP_3)
	v_fma_f32 v3, v10, s8, -v3
	v_mul_f32_e32 v11, s8, v11
	v_fmac_f32_e32 v13, s5, v12
	s_delay_alu instid0(VALU_DEP_2) | instskip(SKIP_1) | instid1(VALU_DEP_2)
	v_fmac_f32_e32 v11, s9, v10
	v_fma_f32 v10, v12, s4, -v14
	v_add_f32_e32 v11, v11, v13
	s_delay_alu instid0(VALU_DEP_2)
	v_add_f32_e32 v10, v3, v10
	global_store_b64 v[5:6], v[10:11], off
	s_and_b32 exec_lo, exec_lo, vcc_lo
	s_cbranch_execz .LBB806_9
; %bb.8:
	v_mov_b32_e32 v3, 0
	global_store_b32 v[5:6], v3, off offset:4
.LBB806_9:
	s_or_b32 exec_lo, exec_lo, s0
	v_add_nc_u32_e32 v12, 16, v9
	s_delay_alu instid0(VALU_DEP_1) | instskip(SKIP_2) | instid1(VALU_DEP_1)
	v_mad_i64_i32 v[5:6], null, v12, s3, 0
	v_cmp_gt_i32_e32 vcc_lo, s2, v12
	v_cmp_le_i32_e64 s0, v2, v12
	s_and_b32 s0, vcc_lo, s0
	s_delay_alu instid0(VALU_DEP_3) | instskip(NEXT) | instid1(VALU_DEP_1)
	v_lshlrev_b64 v[5:6], 3, v[5:6]
	v_add_co_u32 v10, s1, s6, v5
	s_delay_alu instid0(VALU_DEP_1)
	v_add_co_ci_u32_e64 v11, s1, s7, v6, s1
	s_and_saveexec_b32 s1, s0
	s_cbranch_execz .LBB806_12
; %bb.10:
	v_ashrrev_i32_e32 v3, 31, v2
	s_delay_alu instid0(VALU_DEP_1) | instskip(NEXT) | instid1(VALU_DEP_1)
	v_lshlrev_b64 v[5:6], 3, v[2:3]
	v_add_co_u32 v5, s0, v10, v5
	s_delay_alu instid0(VALU_DEP_1)
	v_add_co_ci_u32_e64 v6, s0, v11, v6, s0
	v_cmp_eq_u32_e64 s0, v12, v2
	global_load_b64 v[13:14], v[5:6], off
	v_mul_f32_e32 v3, s9, v7
	v_mul_f32_e32 v15, s8, v7
	s_waitcnt vmcnt(0)
	v_mul_f32_e32 v7, s5, v14
	v_mul_f32_e32 v14, s4, v14
	v_fma_f32 v3, v8, s8, -v3
	s_delay_alu instid0(VALU_DEP_3) | instskip(NEXT) | instid1(VALU_DEP_3)
	v_fma_f32 v7, v13, s4, -v7
	v_dual_fmac_f32 v14, s5, v13 :: v_dual_fmac_f32 v15, s9, v8
	s_delay_alu instid0(VALU_DEP_2) | instskip(NEXT) | instid1(VALU_DEP_2)
	v_add_f32_e32 v7, v3, v7
	v_add_f32_e32 v8, v15, v14
	global_store_b64 v[5:6], v[7:8], off
	s_and_b32 exec_lo, exec_lo, s0
	s_cbranch_execz .LBB806_12
; %bb.11:
	v_mov_b32_e32 v3, 0
	global_store_b32 v[5:6], v3, off offset:4
.LBB806_12:
	s_or_b32 exec_lo, exec_lo, s1
	v_cmp_le_i32_e64 s0, v4, v12
	s_delay_alu instid0(VALU_DEP_1) | instskip(NEXT) | instid1(SALU_CYCLE_1)
	s_and_b32 s0, vcc_lo, s0
	s_and_saveexec_b32 s1, s0
	s_cbranch_execz .LBB806_15
; %bb.13:
	v_ashrrev_i32_e32 v5, 31, v4
	s_delay_alu instid0(VALU_DEP_1) | instskip(NEXT) | instid1(VALU_DEP_1)
	v_lshlrev_b64 v[3:4], 3, v[4:5]
	v_add_co_u32 v3, vcc_lo, v10, v3
	s_delay_alu instid0(VALU_DEP_2)
	v_add_co_ci_u32_e32 v4, vcc_lo, v11, v4, vcc_lo
	v_cmp_eq_u32_e32 vcc_lo, v9, v2
	global_load_b64 v[5:6], v[3:4], off
	v_mul_f32_e32 v7, s9, v1
	s_waitcnt vmcnt(0)
	v_dual_mul_f32 v1, s8, v1 :: v_dual_mul_f32 v8, s5, v6
	v_mul_f32_e32 v6, s4, v6
	s_delay_alu instid0(VALU_DEP_3) | instskip(NEXT) | instid1(VALU_DEP_3)
	v_fma_f32 v7, v0, s8, -v7
	v_fmac_f32_e32 v1, s9, v0
	s_delay_alu instid0(VALU_DEP_4) | instskip(NEXT) | instid1(VALU_DEP_4)
	v_fma_f32 v0, v5, s4, -v8
	v_fmac_f32_e32 v6, s5, v5
	s_delay_alu instid0(VALU_DEP_1)
	v_dual_add_f32 v0, v7, v0 :: v_dual_add_f32 v1, v1, v6
	global_store_b64 v[3:4], v[0:1], off
	s_and_b32 exec_lo, exec_lo, vcc_lo
	s_cbranch_execz .LBB806_15
; %bb.14:
	v_mov_b32_e32 v0, 0
	global_store_b32 v[3:4], v0, off offset:4
.LBB806_15:
	s_nop 0
	s_sendmsg sendmsg(MSG_DEALLOC_VGPRS)
	s_endpgm
	.section	.rodata,"a",@progbits
	.p2align	6, 0x0
	.amdhsa_kernel _ZL37rocblas_syrkx_herkx_restricted_kernelIi19rocblas_complex_numIfELi16ELi32ELi8ELb0ELb1ELc67ELc85EKPKS1_KPS1_EviT_T0_PT8_S7_lSA_S7_lS8_PT9_S7_li
		.amdhsa_group_segment_fixed_size 4096
		.amdhsa_private_segment_fixed_size 0
		.amdhsa_kernarg_size 100
		.amdhsa_user_sgpr_count 13
		.amdhsa_user_sgpr_dispatch_ptr 0
		.amdhsa_user_sgpr_queue_ptr 0
		.amdhsa_user_sgpr_kernarg_segment_ptr 1
		.amdhsa_user_sgpr_dispatch_id 0
		.amdhsa_user_sgpr_private_segment_size 0
		.amdhsa_wavefront_size32 1
		.amdhsa_uses_dynamic_stack 0
		.amdhsa_enable_private_segment 0
		.amdhsa_system_sgpr_workgroup_id_x 1
		.amdhsa_system_sgpr_workgroup_id_y 1
		.amdhsa_system_sgpr_workgroup_id_z 1
		.amdhsa_system_sgpr_workgroup_info 0
		.amdhsa_system_vgpr_workitem_id 1
		.amdhsa_next_free_vgpr 91
		.amdhsa_next_free_sgpr 21
		.amdhsa_reserve_vcc 1
		.amdhsa_float_round_mode_32 0
		.amdhsa_float_round_mode_16_64 0
		.amdhsa_float_denorm_mode_32 3
		.amdhsa_float_denorm_mode_16_64 3
		.amdhsa_dx10_clamp 1
		.amdhsa_ieee_mode 1
		.amdhsa_fp16_overflow 0
		.amdhsa_workgroup_processor_mode 1
		.amdhsa_memory_ordered 1
		.amdhsa_forward_progress 0
		.amdhsa_shared_vgpr_count 0
		.amdhsa_exception_fp_ieee_invalid_op 0
		.amdhsa_exception_fp_denorm_src 0
		.amdhsa_exception_fp_ieee_div_zero 0
		.amdhsa_exception_fp_ieee_overflow 0
		.amdhsa_exception_fp_ieee_underflow 0
		.amdhsa_exception_fp_ieee_inexact 0
		.amdhsa_exception_int_div_zero 0
	.end_amdhsa_kernel
	.section	.text._ZL37rocblas_syrkx_herkx_restricted_kernelIi19rocblas_complex_numIfELi16ELi32ELi8ELb0ELb1ELc67ELc85EKPKS1_KPS1_EviT_T0_PT8_S7_lSA_S7_lS8_PT9_S7_li,"axG",@progbits,_ZL37rocblas_syrkx_herkx_restricted_kernelIi19rocblas_complex_numIfELi16ELi32ELi8ELb0ELb1ELc67ELc85EKPKS1_KPS1_EviT_T0_PT8_S7_lSA_S7_lS8_PT9_S7_li,comdat
.Lfunc_end806:
	.size	_ZL37rocblas_syrkx_herkx_restricted_kernelIi19rocblas_complex_numIfELi16ELi32ELi8ELb0ELb1ELc67ELc85EKPKS1_KPS1_EviT_T0_PT8_S7_lSA_S7_lS8_PT9_S7_li, .Lfunc_end806-_ZL37rocblas_syrkx_herkx_restricted_kernelIi19rocblas_complex_numIfELi16ELi32ELi8ELb0ELb1ELc67ELc85EKPKS1_KPS1_EviT_T0_PT8_S7_lSA_S7_lS8_PT9_S7_li
                                        ; -- End function
	.section	.AMDGPU.csdata,"",@progbits
; Kernel info:
; codeLenInByte = 2380
; NumSgprs: 23
; NumVgprs: 91
; ScratchSize: 0
; MemoryBound: 0
; FloatMode: 240
; IeeeMode: 1
; LDSByteSize: 4096 bytes/workgroup (compile time only)
; SGPRBlocks: 2
; VGPRBlocks: 11
; NumSGPRsForWavesPerEU: 23
; NumVGPRsForWavesPerEU: 91
; Occupancy: 16
; WaveLimiterHint : 1
; COMPUTE_PGM_RSRC2:SCRATCH_EN: 0
; COMPUTE_PGM_RSRC2:USER_SGPR: 13
; COMPUTE_PGM_RSRC2:TRAP_HANDLER: 0
; COMPUTE_PGM_RSRC2:TGID_X_EN: 1
; COMPUTE_PGM_RSRC2:TGID_Y_EN: 1
; COMPUTE_PGM_RSRC2:TGID_Z_EN: 1
; COMPUTE_PGM_RSRC2:TIDIG_COMP_CNT: 1
	.section	.text._ZL37rocblas_syrkx_herkx_restricted_kernelIi19rocblas_complex_numIfELi16ELi32ELi8ELb0ELb1ELc78ELc85EKPKS1_KPS1_EviT_T0_PT8_S7_lSA_S7_lS8_PT9_S7_li,"axG",@progbits,_ZL37rocblas_syrkx_herkx_restricted_kernelIi19rocblas_complex_numIfELi16ELi32ELi8ELb0ELb1ELc78ELc85EKPKS1_KPS1_EviT_T0_PT8_S7_lSA_S7_lS8_PT9_S7_li,comdat
	.globl	_ZL37rocblas_syrkx_herkx_restricted_kernelIi19rocblas_complex_numIfELi16ELi32ELi8ELb0ELb1ELc78ELc85EKPKS1_KPS1_EviT_T0_PT8_S7_lSA_S7_lS8_PT9_S7_li ; -- Begin function _ZL37rocblas_syrkx_herkx_restricted_kernelIi19rocblas_complex_numIfELi16ELi32ELi8ELb0ELb1ELc78ELc85EKPKS1_KPS1_EviT_T0_PT8_S7_lSA_S7_lS8_PT9_S7_li
	.p2align	8
	.type	_ZL37rocblas_syrkx_herkx_restricted_kernelIi19rocblas_complex_numIfELi16ELi32ELi8ELb0ELb1ELc78ELc85EKPKS1_KPS1_EviT_T0_PT8_S7_lSA_S7_lS8_PT9_S7_li,@function
_ZL37rocblas_syrkx_herkx_restricted_kernelIi19rocblas_complex_numIfELi16ELi32ELi8ELb0ELb1ELc78ELc85EKPKS1_KPS1_EviT_T0_PT8_S7_lSA_S7_lS8_PT9_S7_li: ; @_ZL37rocblas_syrkx_herkx_restricted_kernelIi19rocblas_complex_numIfELi16ELi32ELi8ELb0ELb1ELc78ELc85EKPKS1_KPS1_EviT_T0_PT8_S7_lSA_S7_lS8_PT9_S7_li
; %bb.0:
	s_clause 0x1
	s_load_b128 s[4:7], s[0:1], 0x40
	s_load_b64 s[2:3], s[0:1], 0x0
	s_mov_b32 s16, s15
	s_mov_b32 s17, 0
	v_dual_mov_b32 v11, 0 :: v_dual_and_b32 v4, 0x3ff, v0
	s_lshl_b64 s[18:19], s[16:17], 3
	v_bfe_u32 v7, v0, 10, 10
	v_dual_mov_b32 v14, 0 :: v_dual_mov_b32 v9, 0
	v_dual_mov_b32 v16, 0 :: v_dual_mov_b32 v5, 0
	v_mov_b32_e32 v10, 0
	v_mov_b32_e32 v8, 0
	;; [unrolled: 1-line block ×3, first 2 shown]
	s_waitcnt lgkmcnt(0)
	s_add_u32 s6, s6, s18
	s_addc_u32 s7, s7, s19
	s_load_b128 s[8:11], s[0:1], 0x8
	s_load_b64 s[6:7], s[6:7], 0x0
	s_lshl_b32 s15, s13, 5
	s_lshl_b32 s14, s14, 5
	s_cmp_lt_i32 s3, 1
	s_cbranch_scc1 .LBB807_3
; %bb.1:
	s_clause 0x2
	s_load_b32 s12, s[0:1], 0x18
	s_load_b32 s20, s[0:1], 0x30
	s_load_b64 s[22:23], s[0:1], 0x28
	v_lshl_add_u32 v0, v7, 4, v4
	v_dual_mov_b32 v5, 0 :: v_dual_and_b32 v6, 7, v4
	v_lshlrev_b32_e32 v12, 3, v4
	v_lshl_add_u32 v13, v7, 6, 0x800
	s_delay_alu instid0(VALU_DEP_4) | instskip(SKIP_3) | instid1(VALU_DEP_4)
	v_and_b32_e32 v11, 31, v0
	v_lshrrev_b32_e32 v10, 3, v0
	v_lshrrev_b32_e32 v14, 5, v0
	v_dual_mov_b32 v16, 0 :: v_dual_lshlrev_b32 v15, 3, v6
	v_add_nc_u32_e32 v2, s15, v11
	s_delay_alu instid0(VALU_DEP_4) | instskip(NEXT) | instid1(VALU_DEP_2)
	v_add_nc_u32_e32 v0, s14, v10
	v_ashrrev_i32_e32 v3, 31, v2
	s_delay_alu instid0(VALU_DEP_2)
	v_ashrrev_i32_e32 v1, 31, v0
	s_waitcnt lgkmcnt(0)
	s_ashr_i32 s13, s12, 31
	s_ashr_i32 s21, s20, 31
	s_add_u32 s10, s10, s18
	s_addc_u32 s11, s11, s19
	s_add_u32 s18, s22, s18
	s_load_b64 s[10:11], s[10:11], 0x0
	s_addc_u32 s19, s23, s19
	v_mad_i64_i32 v[8:9], null, s12, v14, v[2:3]
	s_load_b64 s[18:19], s[18:19], 0x0
	v_mad_i64_i32 v[2:3], null, s20, v6, v[0:1]
	v_dual_mov_b32 v6, 0 :: v_dual_lshlrev_b32 v11, 3, v11
	s_delay_alu instid0(VALU_DEP_3) | instskip(SKIP_4) | instid1(VALU_DEP_3)
	v_lshlrev_b64 v[0:1], 3, v[8:9]
	v_mov_b32_e32 v8, 0
	v_lshl_or_b32 v10, v10, 6, v15
	v_lshlrev_b64 v[2:3], 3, v[2:3]
	v_mov_b32_e32 v9, 0
	v_dual_mov_b32 v10, 0 :: v_dual_add_nc_u32 v17, 0x800, v10
	v_lshl_or_b32 v15, v14, 8, v11
	s_waitcnt lgkmcnt(0)
	v_add_co_u32 v0, vcc_lo, v0, s10
	v_add_co_ci_u32_e32 v1, vcc_lo, s11, v1, vcc_lo
	v_add_co_u32 v2, vcc_lo, v2, s18
	v_add_co_ci_u32_e32 v3, vcc_lo, s19, v3, vcc_lo
	s_delay_alu instid0(VALU_DEP_4) | instskip(NEXT) | instid1(VALU_DEP_4)
	v_add_co_u32 v0, vcc_lo, v0, 4
	v_add_co_ci_u32_e32 v1, vcc_lo, 0, v1, vcc_lo
	s_delay_alu instid0(VALU_DEP_4) | instskip(NEXT) | instid1(VALU_DEP_4)
	v_add_co_u32 v2, vcc_lo, v2, 4
	v_add_co_ci_u32_e32 v3, vcc_lo, 0, v3, vcc_lo
	v_dual_mov_b32 v11, 0 :: v_dual_mov_b32 v14, 0
	s_lshl_b64 s[10:11], s[12:13], 6
	s_lshl_b64 s[12:13], s[20:21], 6
.LBB807_2:                              ; =>This Inner Loop Header: Depth=1
	global_load_b64 v[18:19], v[2:3], off offset:-4
	global_load_b64 v[20:21], v[0:1], off offset:-4
	v_add_co_u32 v0, vcc_lo, v0, s10
	v_add_co_ci_u32_e32 v1, vcc_lo, s11, v1, vcc_lo
	v_add_co_u32 v2, vcc_lo, v2, s12
	v_add_co_ci_u32_e32 v3, vcc_lo, s13, v3, vcc_lo
	s_add_i32 s17, s17, 8
	s_delay_alu instid0(SALU_CYCLE_1)
	s_cmp_ge_i32 s17, s3
	s_waitcnt vmcnt(1)
	v_xor_b32_e32 v19, 0x80000000, v19
	s_waitcnt vmcnt(0)
	ds_store_b64 v15, v[20:21]
	ds_store_b64 v17, v[18:19]
	s_waitcnt lgkmcnt(0)
	s_barrier
	buffer_gl0_inv
	ds_load_2addr_b64 v[18:21], v12 offset1:16
	ds_load_b128 v[22:25], v13
	ds_load_b128 v[26:29], v13 offset:1024
	ds_load_b128 v[30:33], v13 offset:16
	ds_load_2addr_b64 v[34:37], v12 offset0:32 offset1:48
	ds_load_b128 v[38:41], v13 offset:32
	ds_load_b128 v[42:45], v13 offset:48
	ds_load_2addr_b64 v[46:49], v12 offset0:64 offset1:80
	ds_load_b128 v[50:53], v13 offset:1040
	ds_load_2addr_b64 v[54:57], v12 offset0:96 offset1:112
	ds_load_2addr_b64 v[58:61], v12 offset0:128 offset1:144
	;; [unrolled: 1-line block ×4, first 2 shown]
	ds_load_b128 v[70:73], v13 offset:1056
	ds_load_b128 v[74:77], v13 offset:1072
	ds_load_2addr_b64 v[78:81], v12 offset0:224 offset1:240
	s_waitcnt lgkmcnt(0)
	s_barrier
	buffer_gl0_inv
	v_dual_mul_f32 v82, v23, v19 :: v_dual_mul_f32 v85, v22, v21
	v_dual_mul_f32 v83, v22, v19 :: v_dual_mul_f32 v84, v23, v21
	v_mul_f32_e32 v86, v27, v19
	v_dual_mul_f32 v19, v26, v19 :: v_dual_mul_f32 v90, v25, v37
	v_dual_mul_f32 v87, v27, v21 :: v_dual_mul_f32 v88, v25, v35
	v_mul_f32_e32 v21, v26, v21
	v_mul_f32_e32 v89, v24, v35
	;; [unrolled: 1-line block ×3, first 2 shown]
	v_fma_f32 v82, v22, v18, -v82
	v_fmac_f32_e32 v83, v23, v18
	v_fma_f32 v22, v22, v20, -v84
	v_dual_fmac_f32 v85, v23, v20 :: v_dual_mul_f32 v84, v30, v47
	v_fma_f32 v23, v26, v18, -v86
	v_fmac_f32_e32 v19, v27, v18
	v_fma_f32 v18, v26, v20, -v87
	v_dual_mul_f32 v26, v28, v35 :: v_dual_fmac_f32 v21, v27, v20
	v_mul_f32_e32 v20, v29, v35
	v_mul_f32_e32 v27, v29, v37
	v_dual_mul_f32 v35, v28, v37 :: v_dual_fmac_f32 v84, v31, v46
	v_fma_f32 v37, v24, v34, -v88
	v_fma_f32 v24, v24, v36, -v90
	v_dual_fmac_f32 v91, v25, v36 :: v_dual_mul_f32 v90, v32, v57
	v_dual_mul_f32 v86, v31, v49 :: v_dual_fmac_f32 v89, v25, v34
	v_dual_mul_f32 v25, v31, v47 :: v_dual_mul_f32 v88, v33, v57
	v_fma_f32 v20, v28, v34, -v20
	v_fmac_f32_e32 v26, v29, v34
	v_fma_f32 v27, v28, v36, -v27
	v_dual_fmac_f32 v35, v29, v36 :: v_dual_mul_f32 v28, v51, v47
	v_dual_mul_f32 v29, v50, v47 :: v_dual_mul_f32 v34, v51, v49
	v_mul_f32_e32 v36, v50, v49
	v_mul_f32_e32 v87, v30, v49
	;; [unrolled: 1-line block ×3, first 2 shown]
	v_dual_mul_f32 v49, v32, v55 :: v_dual_fmac_f32 v90, v33, v56
	v_fma_f32 v25, v30, v46, -v25
	v_fma_f32 v30, v30, v48, -v86
	;; [unrolled: 1-line block ×3, first 2 shown]
	v_fmac_f32_e32 v36, v51, v48
	v_fmac_f32_e32 v87, v31, v48
	v_fma_f32 v31, v50, v48, -v34
	v_mul_f32_e32 v34, v53, v55
	v_mul_f32_e32 v48, v53, v57
	v_dual_mul_f32 v50, v52, v57 :: v_dual_fmac_f32 v29, v51, v46
	v_mul_f32_e32 v46, v52, v55
	v_fma_f32 v47, v32, v54, -v47
	v_fmac_f32_e32 v49, v33, v54
	v_fma_f32 v32, v32, v56, -v88
	s_delay_alu instid0(VALU_DEP_4)
	v_dual_mul_f32 v33, v39, v59 :: v_dual_fmac_f32 v46, v53, v54
	v_mul_f32_e32 v51, v38, v59
	v_mul_f32_e32 v55, v39, v61
	v_fma_f32 v34, v52, v54, -v34
	v_fma_f32 v48, v52, v56, -v48
	v_fmac_f32_e32 v50, v53, v56
	v_mul_f32_e32 v52, v71, v59
	v_dual_mul_f32 v53, v70, v59 :: v_dual_mul_f32 v86, v41, v65
	v_mul_f32_e32 v54, v71, v61
	v_dual_mul_f32 v56, v70, v61 :: v_dual_mul_f32 v59, v41, v63
	v_mul_f32_e32 v57, v38, v61
	v_mul_f32_e32 v61, v40, v63
	v_dual_mul_f32 v88, v40, v65 :: v_dual_fmac_f32 v51, v39, v58
	v_fma_f32 v33, v38, v58, -v33
	v_fmac_f32_e32 v53, v71, v58
	v_fmac_f32_e32 v56, v71, v60
	s_delay_alu instid0(VALU_DEP_4)
	v_fmac_f32_e32 v88, v41, v64
	v_fmac_f32_e32 v57, v39, v60
	v_fma_f32 v39, v70, v58, -v52
	v_fma_f32 v52, v70, v60, -v54
	v_mul_f32_e32 v54, v73, v63
	v_fma_f32 v38, v38, v60, -v55
	v_mul_f32_e32 v60, v72, v65
	v_dual_mul_f32 v55, v72, v63 :: v_dual_mul_f32 v70, v42, v69
	v_mul_f32_e32 v58, v73, v65
	v_fma_f32 v59, v40, v62, -v59
	v_fmac_f32_e32 v61, v41, v62
	v_fma_f32 v40, v40, v64, -v86
	v_dual_mul_f32 v41, v43, v67 :: v_dual_fmac_f32 v60, v73, v64
	v_dual_mul_f32 v63, v42, v67 :: v_dual_mul_f32 v86, v44, v81
	v_mul_f32_e32 v65, v43, v69
	v_fma_f32 v54, v72, v62, -v54
	v_fmac_f32_e32 v55, v73, v62
	v_fma_f32 v58, v72, v64, -v58
	v_mul_f32_e32 v72, v44, v79
	v_mul_f32_e32 v62, v75, v67
	v_dual_mul_f32 v64, v74, v67 :: v_dual_mul_f32 v67, v75, v69
	v_dual_mul_f32 v69, v74, v69 :: v_dual_fmac_f32 v70, v43, v68
	s_delay_alu instid0(VALU_DEP_2)
	v_dual_mul_f32 v71, v45, v79 :: v_dual_fmac_f32 v64, v75, v66
	v_dual_mul_f32 v73, v45, v81 :: v_dual_add_f32 v14, v14, v82
	v_fma_f32 v41, v42, v66, -v41
	v_fmac_f32_e32 v63, v43, v66
	v_fma_f32 v43, v74, v66, -v62
	v_mul_f32_e32 v66, v76, v79
	v_fma_f32 v62, v74, v68, -v67
	v_dual_mul_f32 v67, v77, v81 :: v_dual_add_f32 v16, v16, v83
	v_dual_fmac_f32 v86, v45, v80 :: v_dual_add_f32 v11, v11, v85
	v_dual_add_f32 v9, v9, v23 :: v_dual_add_f32 v6, v6, v18
	v_dual_add_f32 v8, v8, v19 :: v_dual_add_f32 v5, v5, v21
	v_fma_f32 v42, v42, v68, -v65
	v_dual_fmac_f32 v69, v75, v68 :: v_dual_fmac_f32 v72, v45, v78
	v_mul_f32_e32 v68, v76, v81
	v_dual_fmac_f32 v66, v77, v78 :: v_dual_add_f32 v11, v11, v91
	v_dual_add_f32 v14, v14, v37 :: v_dual_add_f32 v9, v9, v20
	v_dual_add_f32 v16, v16, v89 :: v_dual_add_f32 v5, v5, v35
	v_dual_mul_f32 v65, v77, v79 :: v_dual_add_f32 v10, v10, v22
	s_delay_alu instid0(VALU_DEP_4) | instskip(NEXT) | instid1(VALU_DEP_4)
	v_dual_fmac_f32 v68, v77, v80 :: v_dual_add_f32 v11, v11, v87
	v_dual_add_f32 v8, v8, v26 :: v_dual_add_f32 v9, v9, v28
	s_delay_alu instid0(VALU_DEP_4) | instskip(NEXT) | instid1(VALU_DEP_3)
	v_dual_add_f32 v6, v6, v27 :: v_dual_add_f32 v5, v5, v36
	v_dual_add_f32 v10, v10, v24 :: v_dual_add_f32 v11, v11, v90
	s_delay_alu instid0(VALU_DEP_3) | instskip(NEXT) | instid1(VALU_DEP_3)
	v_dual_add_f32 v14, v14, v25 :: v_dual_add_f32 v9, v9, v34
	v_dual_add_f32 v16, v16, v84 :: v_dual_add_f32 v5, v5, v50
	s_delay_alu instid0(VALU_DEP_3) | instskip(NEXT) | instid1(VALU_DEP_3)
	;; [unrolled: 3-line block ×3, first 2 shown]
	v_dual_add_f32 v6, v6, v31 :: v_dual_add_f32 v5, v5, v56
	v_dual_add_f32 v14, v14, v47 :: v_dual_add_f32 v11, v11, v88
	s_delay_alu instid0(VALU_DEP_3) | instskip(SKIP_1) | instid1(VALU_DEP_4)
	v_dual_add_f32 v16, v16, v49 :: v_dual_add_f32 v9, v9, v54
	v_add_f32_e32 v10, v10, v32
	v_dual_add_f32 v8, v8, v46 :: v_dual_add_f32 v5, v5, v60
	s_delay_alu instid0(VALU_DEP_3) | instskip(SKIP_1) | instid1(VALU_DEP_3)
	v_dual_add_f32 v6, v6, v48 :: v_dual_add_f32 v9, v9, v43
	v_fma_f32 v45, v76, v78, -v65
	v_dual_add_f32 v16, v16, v51 :: v_dual_add_f32 v5, v5, v69
	s_delay_alu instid0(VALU_DEP_4) | instskip(NEXT) | instid1(VALU_DEP_4)
	v_add_f32_e32 v8, v8, v53
	v_dual_add_f32 v6, v6, v52 :: v_dual_add_f32 v11, v11, v70
	v_add_f32_e32 v14, v14, v33
	v_dual_add_f32 v10, v10, v38 :: v_dual_add_f32 v9, v9, v45
	v_add_f32_e32 v16, v16, v61
	s_delay_alu instid0(VALU_DEP_4) | instskip(NEXT) | instid1(VALU_DEP_4)
	v_add_f32_e32 v6, v6, v58
	v_dual_add_f32 v11, v11, v86 :: v_dual_add_f32 v14, v14, v59
	s_delay_alu instid0(VALU_DEP_4)
	v_add_f32_e32 v10, v10, v40
	v_dual_add_f32 v5, v5, v68 :: v_dual_add_f32 v8, v8, v55
	v_fma_f32 v71, v44, v78, -v71
	v_fma_f32 v44, v44, v80, -v73
	;; [unrolled: 1-line block ×3, first 2 shown]
	v_add_f32_e32 v14, v14, v41
	v_add_f32_e32 v16, v16, v63
	;; [unrolled: 1-line block ×10, first 2 shown]
	s_cbranch_scc0 .LBB807_2
.LBB807_3:
	s_load_b32 s3, s[0:1], 0x50
	v_add_nc_u32_e32 v7, s14, v7
	v_add_nc_u32_e32 v0, s15, v4
	s_delay_alu instid0(VALU_DEP_2) | instskip(NEXT) | instid1(VALU_DEP_2)
	v_cmp_gt_i32_e32 vcc_lo, s2, v7
	v_cmp_le_i32_e64 s0, v0, v7
	s_delay_alu instid0(VALU_DEP_1) | instskip(SKIP_2) | instid1(VALU_DEP_1)
	s_and_b32 s0, vcc_lo, s0
	s_waitcnt lgkmcnt(0)
	v_mad_i64_i32 v[1:2], null, v7, s3, 0
	v_lshlrev_b64 v[1:2], 3, v[1:2]
	s_delay_alu instid0(VALU_DEP_1) | instskip(NEXT) | instid1(VALU_DEP_1)
	v_add_co_u32 v4, s1, s6, v1
	v_add_co_ci_u32_e64 v12, s1, s7, v2, s1
	s_and_saveexec_b32 s1, s0
	s_cbranch_execz .LBB807_6
; %bb.4:
	v_ashrrev_i32_e32 v1, 31, v0
	s_delay_alu instid0(VALU_DEP_1) | instskip(NEXT) | instid1(VALU_DEP_1)
	v_lshlrev_b64 v[1:2], 3, v[0:1]
	v_add_co_u32 v1, s0, v4, v1
	s_delay_alu instid0(VALU_DEP_1)
	v_add_co_ci_u32_e64 v2, s0, v12, v2, s0
	v_cmp_eq_u32_e64 s0, v7, v0
	global_load_b64 v[17:18], v[1:2], off
	v_mul_f32_e32 v3, s9, v16
	s_waitcnt vmcnt(0)
	v_dual_mul_f32 v15, s8, v16 :: v_dual_mul_f32 v16, s4, v18
	s_delay_alu instid0(VALU_DEP_2) | instskip(NEXT) | instid1(VALU_DEP_2)
	v_fma_f32 v3, v14, s8, -v3
	v_dual_fmac_f32 v16, s5, v17 :: v_dual_fmac_f32 v15, s9, v14
	s_delay_alu instid0(VALU_DEP_1) | instskip(NEXT) | instid1(VALU_DEP_1)
	v_dual_mul_f32 v13, s5, v18 :: v_dual_add_f32 v14, v15, v16
	v_fma_f32 v13, v17, s4, -v13
	s_delay_alu instid0(VALU_DEP_1)
	v_add_f32_e32 v13, v3, v13
	global_store_b64 v[1:2], v[13:14], off
	s_and_b32 exec_lo, exec_lo, s0
	s_cbranch_execz .LBB807_6
; %bb.5:
	v_mov_b32_e32 v3, 0
	global_store_b32 v[1:2], v3, off offset:4
.LBB807_6:
	s_or_b32 exec_lo, exec_lo, s1
	v_add_nc_u32_e32 v2, 16, v0
	s_delay_alu instid0(VALU_DEP_1) | instskip(NEXT) | instid1(VALU_DEP_1)
	v_cmp_le_i32_e64 s0, v2, v7
	s_and_b32 s1, vcc_lo, s0
	s_delay_alu instid0(SALU_CYCLE_1)
	s_and_saveexec_b32 s0, s1
	s_cbranch_execz .LBB807_9
; %bb.7:
	v_ashrrev_i32_e32 v3, 31, v2
	s_delay_alu instid0(VALU_DEP_1) | instskip(NEXT) | instid1(VALU_DEP_1)
	v_lshlrev_b64 v[13:14], 3, v[2:3]
	v_add_co_u32 v3, vcc_lo, v4, v13
	s_delay_alu instid0(VALU_DEP_2)
	v_add_co_ci_u32_e32 v4, vcc_lo, v12, v14, vcc_lo
	v_cmp_eq_u32_e32 vcc_lo, v7, v2
	global_load_b64 v[12:13], v[3:4], off
	s_waitcnt vmcnt(0)
	v_dual_mul_f32 v1, s9, v11 :: v_dual_mul_f32 v14, s5, v13
	v_mul_f32_e32 v13, s4, v13
	s_delay_alu instid0(VALU_DEP_2) | instskip(SKIP_1) | instid1(VALU_DEP_3)
	v_fma_f32 v1, v10, s8, -v1
	v_mul_f32_e32 v11, s8, v11
	v_fmac_f32_e32 v13, s5, v12
	s_delay_alu instid0(VALU_DEP_2) | instskip(SKIP_1) | instid1(VALU_DEP_1)
	v_fmac_f32_e32 v11, s9, v10
	v_fma_f32 v10, v12, s4, -v14
	v_dual_add_f32 v11, v11, v13 :: v_dual_add_f32 v10, v1, v10
	global_store_b64 v[3:4], v[10:11], off
	s_and_b32 exec_lo, exec_lo, vcc_lo
	s_cbranch_execz .LBB807_9
; %bb.8:
	v_mov_b32_e32 v1, 0
	global_store_b32 v[3:4], v1, off offset:4
.LBB807_9:
	s_or_b32 exec_lo, exec_lo, s0
	v_add_nc_u32_e32 v12, 16, v7
	s_delay_alu instid0(VALU_DEP_1) | instskip(SKIP_2) | instid1(VALU_DEP_1)
	v_mad_i64_i32 v[3:4], null, v12, s3, 0
	v_cmp_gt_i32_e32 vcc_lo, s2, v12
	v_cmp_le_i32_e64 s0, v0, v12
	s_and_b32 s0, vcc_lo, s0
	s_delay_alu instid0(VALU_DEP_3) | instskip(NEXT) | instid1(VALU_DEP_1)
	v_lshlrev_b64 v[3:4], 3, v[3:4]
	v_add_co_u32 v10, s1, s6, v3
	s_delay_alu instid0(VALU_DEP_1)
	v_add_co_ci_u32_e64 v11, s1, s7, v4, s1
	s_and_saveexec_b32 s1, s0
	s_cbranch_execz .LBB807_12
; %bb.10:
	v_ashrrev_i32_e32 v1, 31, v0
	s_delay_alu instid0(VALU_DEP_1) | instskip(NEXT) | instid1(VALU_DEP_1)
	v_lshlrev_b64 v[3:4], 3, v[0:1]
	v_add_co_u32 v3, s0, v10, v3
	s_delay_alu instid0(VALU_DEP_1)
	v_add_co_ci_u32_e64 v4, s0, v11, v4, s0
	v_cmp_eq_u32_e64 s0, v12, v0
	global_load_b64 v[13:14], v[3:4], off
	v_mul_f32_e32 v1, s9, v8
	s_waitcnt vmcnt(0)
	v_dual_mul_f32 v15, s8, v8 :: v_dual_mul_f32 v8, s5, v14
	v_mul_f32_e32 v14, s4, v14
	s_delay_alu instid0(VALU_DEP_3) | instskip(NEXT) | instid1(VALU_DEP_3)
	v_fma_f32 v1, v9, s8, -v1
	v_fma_f32 v8, v13, s4, -v8
	s_delay_alu instid0(VALU_DEP_4) | instskip(NEXT) | instid1(VALU_DEP_4)
	v_fmac_f32_e32 v15, s9, v9
	v_fmac_f32_e32 v14, s5, v13
	s_delay_alu instid0(VALU_DEP_1)
	v_dual_add_f32 v8, v1, v8 :: v_dual_add_f32 v9, v15, v14
	global_store_b64 v[3:4], v[8:9], off
	s_and_b32 exec_lo, exec_lo, s0
	s_cbranch_execz .LBB807_12
; %bb.11:
	v_mov_b32_e32 v1, 0
	global_store_b32 v[3:4], v1, off offset:4
.LBB807_12:
	s_or_b32 exec_lo, exec_lo, s1
	v_cmp_le_i32_e64 s0, v2, v12
	s_delay_alu instid0(VALU_DEP_1) | instskip(NEXT) | instid1(SALU_CYCLE_1)
	s_and_b32 s0, vcc_lo, s0
	s_and_saveexec_b32 s1, s0
	s_cbranch_execz .LBB807_15
; %bb.13:
	v_ashrrev_i32_e32 v3, 31, v2
	s_delay_alu instid0(VALU_DEP_1) | instskip(NEXT) | instid1(VALU_DEP_1)
	v_lshlrev_b64 v[1:2], 3, v[2:3]
	v_add_co_u32 v1, vcc_lo, v10, v1
	s_delay_alu instid0(VALU_DEP_2)
	v_add_co_ci_u32_e32 v2, vcc_lo, v11, v2, vcc_lo
	v_cmp_eq_u32_e32 vcc_lo, v7, v0
	global_load_b64 v[3:4], v[1:2], off
	v_mul_f32_e32 v8, s9, v5
	v_mul_f32_e32 v5, s8, v5
	s_waitcnt vmcnt(0)
	v_mul_f32_e32 v9, s5, v4
	v_mul_f32_e32 v4, s4, v4
	v_fma_f32 v8, v6, s8, -v8
	v_fmac_f32_e32 v5, s9, v6
	s_delay_alu instid0(VALU_DEP_4) | instskip(NEXT) | instid1(VALU_DEP_1)
	v_fma_f32 v6, v3, s4, -v9
	v_dual_fmac_f32 v4, s5, v3 :: v_dual_add_f32 v3, v8, v6
	s_delay_alu instid0(VALU_DEP_1)
	v_add_f32_e32 v4, v5, v4
	global_store_b64 v[1:2], v[3:4], off
	s_and_b32 exec_lo, exec_lo, vcc_lo
	s_cbranch_execz .LBB807_15
; %bb.14:
	v_mov_b32_e32 v0, 0
	global_store_b32 v[1:2], v0, off offset:4
.LBB807_15:
	s_nop 0
	s_sendmsg sendmsg(MSG_DEALLOC_VGPRS)
	s_endpgm
	.section	.rodata,"a",@progbits
	.p2align	6, 0x0
	.amdhsa_kernel _ZL37rocblas_syrkx_herkx_restricted_kernelIi19rocblas_complex_numIfELi16ELi32ELi8ELb0ELb1ELc78ELc85EKPKS1_KPS1_EviT_T0_PT8_S7_lSA_S7_lS8_PT9_S7_li
		.amdhsa_group_segment_fixed_size 4096
		.amdhsa_private_segment_fixed_size 0
		.amdhsa_kernarg_size 100
		.amdhsa_user_sgpr_count 13
		.amdhsa_user_sgpr_dispatch_ptr 0
		.amdhsa_user_sgpr_queue_ptr 0
		.amdhsa_user_sgpr_kernarg_segment_ptr 1
		.amdhsa_user_sgpr_dispatch_id 0
		.amdhsa_user_sgpr_private_segment_size 0
		.amdhsa_wavefront_size32 1
		.amdhsa_uses_dynamic_stack 0
		.amdhsa_enable_private_segment 0
		.amdhsa_system_sgpr_workgroup_id_x 1
		.amdhsa_system_sgpr_workgroup_id_y 1
		.amdhsa_system_sgpr_workgroup_id_z 1
		.amdhsa_system_sgpr_workgroup_info 0
		.amdhsa_system_vgpr_workitem_id 1
		.amdhsa_next_free_vgpr 92
		.amdhsa_next_free_sgpr 24
		.amdhsa_reserve_vcc 1
		.amdhsa_float_round_mode_32 0
		.amdhsa_float_round_mode_16_64 0
		.amdhsa_float_denorm_mode_32 3
		.amdhsa_float_denorm_mode_16_64 3
		.amdhsa_dx10_clamp 1
		.amdhsa_ieee_mode 1
		.amdhsa_fp16_overflow 0
		.amdhsa_workgroup_processor_mode 1
		.amdhsa_memory_ordered 1
		.amdhsa_forward_progress 0
		.amdhsa_shared_vgpr_count 0
		.amdhsa_exception_fp_ieee_invalid_op 0
		.amdhsa_exception_fp_denorm_src 0
		.amdhsa_exception_fp_ieee_div_zero 0
		.amdhsa_exception_fp_ieee_overflow 0
		.amdhsa_exception_fp_ieee_underflow 0
		.amdhsa_exception_fp_ieee_inexact 0
		.amdhsa_exception_int_div_zero 0
	.end_amdhsa_kernel
	.section	.text._ZL37rocblas_syrkx_herkx_restricted_kernelIi19rocblas_complex_numIfELi16ELi32ELi8ELb0ELb1ELc78ELc85EKPKS1_KPS1_EviT_T0_PT8_S7_lSA_S7_lS8_PT9_S7_li,"axG",@progbits,_ZL37rocblas_syrkx_herkx_restricted_kernelIi19rocblas_complex_numIfELi16ELi32ELi8ELb0ELb1ELc78ELc85EKPKS1_KPS1_EviT_T0_PT8_S7_lSA_S7_lS8_PT9_S7_li,comdat
.Lfunc_end807:
	.size	_ZL37rocblas_syrkx_herkx_restricted_kernelIi19rocblas_complex_numIfELi16ELi32ELi8ELb0ELb1ELc78ELc85EKPKS1_KPS1_EviT_T0_PT8_S7_lSA_S7_lS8_PT9_S7_li, .Lfunc_end807-_ZL37rocblas_syrkx_herkx_restricted_kernelIi19rocblas_complex_numIfELi16ELi32ELi8ELb0ELb1ELc78ELc85EKPKS1_KPS1_EviT_T0_PT8_S7_lSA_S7_lS8_PT9_S7_li
                                        ; -- End function
	.section	.AMDGPU.csdata,"",@progbits
; Kernel info:
; codeLenInByte = 2420
; NumSgprs: 26
; NumVgprs: 92
; ScratchSize: 0
; MemoryBound: 0
; FloatMode: 240
; IeeeMode: 1
; LDSByteSize: 4096 bytes/workgroup (compile time only)
; SGPRBlocks: 3
; VGPRBlocks: 11
; NumSGPRsForWavesPerEU: 26
; NumVGPRsForWavesPerEU: 92
; Occupancy: 16
; WaveLimiterHint : 1
; COMPUTE_PGM_RSRC2:SCRATCH_EN: 0
; COMPUTE_PGM_RSRC2:USER_SGPR: 13
; COMPUTE_PGM_RSRC2:TRAP_HANDLER: 0
; COMPUTE_PGM_RSRC2:TGID_X_EN: 1
; COMPUTE_PGM_RSRC2:TGID_Y_EN: 1
; COMPUTE_PGM_RSRC2:TGID_Z_EN: 1
; COMPUTE_PGM_RSRC2:TIDIG_COMP_CNT: 1
	.section	.text._ZL41rocblas_syrkx_herkx_small_restrict_kernelIi19rocblas_complex_numIfELi16ELb1ELb1ELc84ELc76EKPKS1_KPS1_EviT_T0_PT6_S7_lSA_S7_lS8_PT7_S7_li,"axG",@progbits,_ZL41rocblas_syrkx_herkx_small_restrict_kernelIi19rocblas_complex_numIfELi16ELb1ELb1ELc84ELc76EKPKS1_KPS1_EviT_T0_PT6_S7_lSA_S7_lS8_PT7_S7_li,comdat
	.globl	_ZL41rocblas_syrkx_herkx_small_restrict_kernelIi19rocblas_complex_numIfELi16ELb1ELb1ELc84ELc76EKPKS1_KPS1_EviT_T0_PT6_S7_lSA_S7_lS8_PT7_S7_li ; -- Begin function _ZL41rocblas_syrkx_herkx_small_restrict_kernelIi19rocblas_complex_numIfELi16ELb1ELb1ELc84ELc76EKPKS1_KPS1_EviT_T0_PT6_S7_lSA_S7_lS8_PT7_S7_li
	.p2align	8
	.type	_ZL41rocblas_syrkx_herkx_small_restrict_kernelIi19rocblas_complex_numIfELi16ELb1ELb1ELc84ELc76EKPKS1_KPS1_EviT_T0_PT6_S7_lSA_S7_lS8_PT7_S7_li,@function
_ZL41rocblas_syrkx_herkx_small_restrict_kernelIi19rocblas_complex_numIfELi16ELb1ELb1ELc84ELc76EKPKS1_KPS1_EviT_T0_PT6_S7_lSA_S7_lS8_PT7_S7_li: ; @_ZL41rocblas_syrkx_herkx_small_restrict_kernelIi19rocblas_complex_numIfELi16ELb1ELb1ELc84ELc76EKPKS1_KPS1_EviT_T0_PT6_S7_lSA_S7_lS8_PT7_S7_li
; %bb.0:
	s_load_b64 s[2:3], s[0:1], 0x48
	s_mov_b32 s8, s15
	s_mov_b32 s9, 0
	v_dual_mov_b32 v11, 0 :: v_dual_and_b32 v2, 0x3ff, v0
	s_lshl_b64 s[10:11], s[8:9], 3
	s_load_b32 s8, s[0:1], 0x4
	v_bfe_u32 v1, v0, 10, 10
	s_delay_alu instid0(VALU_DEP_2) | instskip(SKIP_1) | instid1(VALU_DEP_3)
	v_lshl_add_u32 v0, s13, 4, v2
	v_mov_b32_e32 v10, 0
	v_lshl_add_u32 v5, s14, 4, v1
	s_waitcnt lgkmcnt(0)
	s_add_u32 s2, s2, s10
	s_addc_u32 s3, s3, s11
	s_load_b128 s[4:7], s[0:1], 0x8
	s_load_b64 s[2:3], s[2:3], 0x0
	s_cmp_lt_i32 s8, 1
	s_cbranch_scc1 .LBB808_3
; %bb.1:
	s_clause 0x2
	s_load_b64 s[12:13], s[0:1], 0x28
	s_load_b32 s14, s[0:1], 0x30
	s_load_b32 s15, s[0:1], 0x18
	v_lshlrev_b32_e32 v6, 3, v2
	v_lshlrev_b32_e32 v4, 7, v1
	v_dual_mov_b32 v10, 0 :: v_dual_lshlrev_b32 v13, 3, v1
	s_delay_alu instid0(VALU_DEP_2) | instskip(NEXT) | instid1(VALU_DEP_4)
	v_add_nc_u32_e32 v7, 0x800, v4
	v_add_nc_u32_e32 v8, v6, v4
	s_delay_alu instid0(VALU_DEP_2)
	v_add_nc_u32_e32 v9, v7, v6
	s_waitcnt lgkmcnt(0)
	s_add_u32 s12, s12, s10
	s_addc_u32 s13, s13, s11
	v_mad_i64_i32 v[2:3], null, s14, v5, 0
	s_load_b64 s[12:13], s[12:13], 0x0
	s_add_u32 s6, s6, s10
	s_addc_u32 s7, s7, s11
	v_mad_i64_i32 v[11:12], null, s15, v0, 0
	s_load_b64 s[6:7], s[6:7], 0x0
	s_delay_alu instid0(VALU_DEP_2) | instskip(NEXT) | instid1(VALU_DEP_2)
	v_lshlrev_b64 v[1:2], 3, v[2:3]
	v_lshlrev_b64 v[3:4], 3, v[11:12]
	s_delay_alu instid0(VALU_DEP_2) | instskip(NEXT) | instid1(VALU_DEP_3)
	v_add_co_u32 v1, vcc_lo, v1, v6
	v_add_co_ci_u32_e32 v2, vcc_lo, 0, v2, vcc_lo
	v_mov_b32_e32 v11, 0
	s_delay_alu instid0(VALU_DEP_4)
	v_add_co_u32 v3, vcc_lo, v3, v13
	v_add_co_ci_u32_e32 v4, vcc_lo, 0, v4, vcc_lo
	s_waitcnt lgkmcnt(0)
	v_add_co_u32 v1, vcc_lo, s12, v1
	v_add_co_ci_u32_e32 v2, vcc_lo, s13, v2, vcc_lo
	v_add_co_u32 v3, vcc_lo, s6, v3
	v_add_co_ci_u32_e32 v4, vcc_lo, s7, v4, vcc_lo
.LBB808_2:                              ; =>This Inner Loop Header: Depth=1
	global_load_b64 v[12:13], v[3:4], off
	global_load_b64 v[14:15], v[1:2], off
	v_add_co_u32 v1, vcc_lo, 0x80, v1
	v_add_co_ci_u32_e32 v2, vcc_lo, 0, v2, vcc_lo
	v_add_co_u32 v3, vcc_lo, 0x80, v3
	v_add_co_ci_u32_e32 v4, vcc_lo, 0, v4, vcc_lo
	s_add_i32 s9, s9, 16
	s_waitcnt vmcnt(1)
	ds_store_b64 v8, v[12:13]
	s_waitcnt vmcnt(0)
	ds_store_b64 v9, v[14:15]
	s_waitcnt lgkmcnt(0)
	s_barrier
	buffer_gl0_inv
	ds_load_2addr_b64 v[12:15], v6 offset1:16
	ds_load_b128 v[16:19], v7
	ds_load_b128 v[20:23], v7 offset:16
	ds_load_2addr_b64 v[24:27], v6 offset0:32 offset1:48
	ds_load_2addr_b64 v[28:31], v6 offset0:64 offset1:80
	ds_load_b128 v[32:35], v7 offset:32
	ds_load_b128 v[36:39], v7 offset:48
	ds_load_2addr_b64 v[40:43], v6 offset0:96 offset1:112
	ds_load_2addr_b64 v[44:47], v6 offset0:128 offset1:144
	;; [unrolled: 1-line block ×3, first 2 shown]
	ds_load_b128 v[52:55], v7 offset:64
	ds_load_b128 v[56:59], v7 offset:80
	ds_load_2addr_b64 v[60:63], v6 offset0:192 offset1:208
	ds_load_2addr_b64 v[64:67], v6 offset0:224 offset1:240
	ds_load_b128 v[68:71], v7 offset:96
	ds_load_b128 v[72:75], v7 offset:112
	s_cmp_lt_i32 s9, s8
	s_waitcnt lgkmcnt(0)
	s_barrier
	buffer_gl0_inv
	v_dual_mul_f32 v76, v17, v13 :: v_dual_mul_f32 v77, v19, v15
	v_mul_f32_e32 v13, v16, v13
	v_dual_mul_f32 v15, v18, v15 :: v_dual_mul_f32 v78, v21, v25
	v_mul_f32_e32 v25, v20, v25
	s_delay_alu instid0(VALU_DEP_4) | instskip(SKIP_1) | instid1(VALU_DEP_4)
	v_fma_f32 v16, v16, v12, -v76
	v_dual_mul_f32 v79, v23, v27 :: v_dual_mul_f32 v80, v33, v29
	v_fmac_f32_e32 v15, v19, v14
	s_delay_alu instid0(VALU_DEP_4) | instskip(SKIP_4) | instid1(VALU_DEP_4)
	v_fmac_f32_e32 v25, v21, v24
	v_fmac_f32_e32 v13, v17, v12
	v_mul_f32_e32 v83, v39, v43
	v_dual_mul_f32 v27, v22, v27 :: v_dual_mul_f32 v82, v37, v41
	v_mul_f32_e32 v43, v38, v43
	v_add_f32_e32 v10, v10, v13
	v_mul_f32_e32 v29, v32, v29
	v_dual_add_f32 v11, v11, v16 :: v_dual_mul_f32 v16, v72, v65
	v_mul_f32_e32 v17, v54, v47
	s_delay_alu instid0(VALU_DEP_4) | instskip(SKIP_1) | instid1(VALU_DEP_3)
	v_add_f32_e32 v10, v10, v15
	v_dual_mul_f32 v81, v35, v31 :: v_dual_mul_f32 v84, v53, v45
	v_dual_fmac_f32 v16, v73, v64 :: v_dual_fmac_f32 v17, v55, v46
	s_delay_alu instid0(VALU_DEP_3) | instskip(SKIP_3) | instid1(VALU_DEP_4)
	v_dual_fmac_f32 v27, v23, v26 :: v_dual_add_f32 v10, v10, v25
	v_mul_f32_e32 v31, v34, v31
	v_mul_f32_e32 v45, v52, v45
	v_fmac_f32_e32 v29, v33, v28
	v_dual_mul_f32 v41, v36, v41 :: v_dual_add_f32 v10, v10, v27
	v_fma_f32 v12, v18, v14, -v77
	v_dual_mul_f32 v18, v57, v49 :: v_dual_fmac_f32 v31, v35, v30
	v_mul_f32_e32 v14, v55, v47
	s_delay_alu instid0(VALU_DEP_4) | instskip(SKIP_3) | instid1(VALU_DEP_4)
	v_add_f32_e32 v10, v10, v29
	v_mul_f32_e32 v19, v56, v49
	v_add_f32_e32 v11, v11, v12
	v_dual_mul_f32 v12, v75, v67 :: v_dual_fmac_f32 v41, v37, v40
	v_add_f32_e32 v10, v10, v31
	v_mul_f32_e32 v47, v59, v51
	v_fmac_f32_e32 v43, v39, v42
	v_mul_f32_e32 v49, v58, v51
	s_delay_alu instid0(VALU_DEP_4) | instskip(SKIP_2) | instid1(VALU_DEP_4)
	v_dual_fmac_f32 v45, v53, v44 :: v_dual_add_f32 v10, v10, v41
	v_mul_f32_e32 v51, v69, v61
	v_fmac_f32_e32 v19, v57, v48
	v_fmac_f32_e32 v49, v59, v50
	v_mul_f32_e32 v23, v70, v63
	v_add_f32_e32 v10, v10, v43
	v_fma_f32 v20, v20, v24, -v78
	v_mul_f32_e32 v15, v74, v67
	v_fma_f32 v21, v22, v26, -v79
	s_delay_alu instid0(VALU_DEP_4) | instskip(SKIP_1) | instid1(VALU_DEP_4)
	v_dual_fmac_f32 v23, v71, v62 :: v_dual_add_f32 v10, v10, v45
	v_fma_f32 v14, v54, v46, -v14
	v_fmac_f32_e32 v15, v75, v66
	v_fma_f32 v18, v56, v48, -v18
	v_mul_f32_e32 v22, v71, v63
	v_add_f32_e32 v10, v10, v17
	v_mul_f32_e32 v61, v68, v61
	v_fma_f32 v17, v68, v60, -v51
	v_fma_f32 v12, v74, v66, -v12
	s_delay_alu instid0(VALU_DEP_3) | instskip(NEXT) | instid1(VALU_DEP_1)
	v_dual_add_f32 v10, v10, v19 :: v_dual_fmac_f32 v61, v69, v60
	v_add_f32_e32 v10, v10, v49
	s_delay_alu instid0(VALU_DEP_1) | instskip(NEXT) | instid1(VALU_DEP_1)
	v_add_f32_e32 v10, v10, v61
	v_dual_mul_f32 v13, v73, v65 :: v_dual_add_f32 v10, v10, v23
	s_delay_alu instid0(VALU_DEP_1) | instskip(NEXT) | instid1(VALU_DEP_2)
	v_fma_f32 v13, v72, v64, -v13
	v_add_f32_e32 v10, v10, v16
	v_add_f32_e32 v11, v11, v20
	v_fma_f32 v20, v32, v28, -v80
	s_delay_alu instid0(VALU_DEP_2) | instskip(SKIP_1) | instid1(VALU_DEP_2)
	v_dual_add_f32 v10, v10, v15 :: v_dual_add_f32 v11, v11, v21
	v_fma_f32 v21, v34, v30, -v81
	v_add_f32_e32 v11, v11, v20
	v_fma_f32 v20, v36, v40, -v82
	s_delay_alu instid0(VALU_DEP_2) | instskip(SKIP_1) | instid1(VALU_DEP_2)
	v_add_f32_e32 v11, v11, v21
	v_fma_f32 v21, v38, v42, -v83
	v_add_f32_e32 v11, v11, v20
	v_fma_f32 v20, v52, v44, -v84
	s_delay_alu instid0(VALU_DEP_2) | instskip(NEXT) | instid1(VALU_DEP_1)
	v_add_f32_e32 v11, v11, v21
	v_add_f32_e32 v11, v11, v20
	s_delay_alu instid0(VALU_DEP_1) | instskip(SKIP_1) | instid1(VALU_DEP_2)
	v_add_f32_e32 v11, v11, v14
	v_fma_f32 v14, v58, v50, -v47
	v_add_f32_e32 v11, v11, v18
	s_delay_alu instid0(VALU_DEP_1) | instskip(SKIP_1) | instid1(VALU_DEP_2)
	v_add_f32_e32 v11, v11, v14
	v_fma_f32 v14, v70, v62, -v22
	v_add_f32_e32 v11, v11, v17
	s_delay_alu instid0(VALU_DEP_1) | instskip(NEXT) | instid1(VALU_DEP_1)
	v_add_f32_e32 v11, v11, v14
	v_add_f32_e32 v11, v11, v13
	s_delay_alu instid0(VALU_DEP_1)
	v_add_f32_e32 v11, v11, v12
	s_cbranch_scc1 .LBB808_2
.LBB808_3:
	s_waitcnt lgkmcnt(0)
	s_mov_b32 s6, exec_lo
	v_cmpx_le_i32_e64 v5, v0
	s_cbranch_execz .LBB808_6
; %bb.4:
	s_load_b32 s0, s[0:1], 0x50
	v_ashrrev_i32_e32 v1, 31, v0
	v_mul_f32_e32 v7, s4, v10
	v_mul_f32_e32 v4, s5, v10
	s_delay_alu instid0(VALU_DEP_3) | instskip(NEXT) | instid1(VALU_DEP_3)
	v_lshlrev_b64 v[8:9], 3, v[0:1]
	v_fmac_f32_e32 v7, s5, v11
	s_delay_alu instid0(VALU_DEP_3) | instskip(SKIP_2) | instid1(VALU_DEP_1)
	v_fma_f32 v6, v11, s4, -v4
	s_waitcnt lgkmcnt(0)
	v_mad_i64_i32 v[2:3], null, s0, v5, 0
	v_lshlrev_b64 v[2:3], 3, v[2:3]
	s_delay_alu instid0(VALU_DEP_1) | instskip(NEXT) | instid1(VALU_DEP_2)
	v_add_co_u32 v1, vcc_lo, s2, v2
	v_add_co_ci_u32_e32 v2, vcc_lo, s3, v3, vcc_lo
	s_delay_alu instid0(VALU_DEP_2) | instskip(NEXT) | instid1(VALU_DEP_2)
	v_add_co_u32 v1, vcc_lo, v1, v8
	v_add_co_ci_u32_e32 v2, vcc_lo, v2, v9, vcc_lo
	v_cmp_eq_u32_e32 vcc_lo, v0, v5
	global_store_b64 v[1:2], v[6:7], off
	s_and_b32 exec_lo, exec_lo, vcc_lo
	s_cbranch_execz .LBB808_6
; %bb.5:
	v_mov_b32_e32 v0, 0
	global_store_b32 v[1:2], v0, off offset:4
.LBB808_6:
	s_nop 0
	s_sendmsg sendmsg(MSG_DEALLOC_VGPRS)
	s_endpgm
	.section	.rodata,"a",@progbits
	.p2align	6, 0x0
	.amdhsa_kernel _ZL41rocblas_syrkx_herkx_small_restrict_kernelIi19rocblas_complex_numIfELi16ELb1ELb1ELc84ELc76EKPKS1_KPS1_EviT_T0_PT6_S7_lSA_S7_lS8_PT7_S7_li
		.amdhsa_group_segment_fixed_size 4096
		.amdhsa_private_segment_fixed_size 0
		.amdhsa_kernarg_size 100
		.amdhsa_user_sgpr_count 13
		.amdhsa_user_sgpr_dispatch_ptr 0
		.amdhsa_user_sgpr_queue_ptr 0
		.amdhsa_user_sgpr_kernarg_segment_ptr 1
		.amdhsa_user_sgpr_dispatch_id 0
		.amdhsa_user_sgpr_private_segment_size 0
		.amdhsa_wavefront_size32 1
		.amdhsa_uses_dynamic_stack 0
		.amdhsa_enable_private_segment 0
		.amdhsa_system_sgpr_workgroup_id_x 1
		.amdhsa_system_sgpr_workgroup_id_y 1
		.amdhsa_system_sgpr_workgroup_id_z 1
		.amdhsa_system_sgpr_workgroup_info 0
		.amdhsa_system_vgpr_workitem_id 1
		.amdhsa_next_free_vgpr 85
		.amdhsa_next_free_sgpr 16
		.amdhsa_reserve_vcc 1
		.amdhsa_float_round_mode_32 0
		.amdhsa_float_round_mode_16_64 0
		.amdhsa_float_denorm_mode_32 3
		.amdhsa_float_denorm_mode_16_64 3
		.amdhsa_dx10_clamp 1
		.amdhsa_ieee_mode 1
		.amdhsa_fp16_overflow 0
		.amdhsa_workgroup_processor_mode 1
		.amdhsa_memory_ordered 1
		.amdhsa_forward_progress 0
		.amdhsa_shared_vgpr_count 0
		.amdhsa_exception_fp_ieee_invalid_op 0
		.amdhsa_exception_fp_denorm_src 0
		.amdhsa_exception_fp_ieee_div_zero 0
		.amdhsa_exception_fp_ieee_overflow 0
		.amdhsa_exception_fp_ieee_underflow 0
		.amdhsa_exception_fp_ieee_inexact 0
		.amdhsa_exception_int_div_zero 0
	.end_amdhsa_kernel
	.section	.text._ZL41rocblas_syrkx_herkx_small_restrict_kernelIi19rocblas_complex_numIfELi16ELb1ELb1ELc84ELc76EKPKS1_KPS1_EviT_T0_PT6_S7_lSA_S7_lS8_PT7_S7_li,"axG",@progbits,_ZL41rocblas_syrkx_herkx_small_restrict_kernelIi19rocblas_complex_numIfELi16ELb1ELb1ELc84ELc76EKPKS1_KPS1_EviT_T0_PT6_S7_lSA_S7_lS8_PT7_S7_li,comdat
.Lfunc_end808:
	.size	_ZL41rocblas_syrkx_herkx_small_restrict_kernelIi19rocblas_complex_numIfELi16ELb1ELb1ELc84ELc76EKPKS1_KPS1_EviT_T0_PT6_S7_lSA_S7_lS8_PT7_S7_li, .Lfunc_end808-_ZL41rocblas_syrkx_herkx_small_restrict_kernelIi19rocblas_complex_numIfELi16ELb1ELb1ELc84ELc76EKPKS1_KPS1_EviT_T0_PT6_S7_lSA_S7_lS8_PT7_S7_li
                                        ; -- End function
	.section	.AMDGPU.csdata,"",@progbits
; Kernel info:
; codeLenInByte = 1236
; NumSgprs: 18
; NumVgprs: 85
; ScratchSize: 0
; MemoryBound: 0
; FloatMode: 240
; IeeeMode: 1
; LDSByteSize: 4096 bytes/workgroup (compile time only)
; SGPRBlocks: 2
; VGPRBlocks: 10
; NumSGPRsForWavesPerEU: 18
; NumVGPRsForWavesPerEU: 85
; Occupancy: 16
; WaveLimiterHint : 1
; COMPUTE_PGM_RSRC2:SCRATCH_EN: 0
; COMPUTE_PGM_RSRC2:USER_SGPR: 13
; COMPUTE_PGM_RSRC2:TRAP_HANDLER: 0
; COMPUTE_PGM_RSRC2:TGID_X_EN: 1
; COMPUTE_PGM_RSRC2:TGID_Y_EN: 1
; COMPUTE_PGM_RSRC2:TGID_Z_EN: 1
; COMPUTE_PGM_RSRC2:TIDIG_COMP_CNT: 1
	.section	.text._ZL41rocblas_syrkx_herkx_small_restrict_kernelIi19rocblas_complex_numIfELi16ELb1ELb1ELc67ELc76EKPKS1_KPS1_EviT_T0_PT6_S7_lSA_S7_lS8_PT7_S7_li,"axG",@progbits,_ZL41rocblas_syrkx_herkx_small_restrict_kernelIi19rocblas_complex_numIfELi16ELb1ELb1ELc67ELc76EKPKS1_KPS1_EviT_T0_PT6_S7_lSA_S7_lS8_PT7_S7_li,comdat
	.globl	_ZL41rocblas_syrkx_herkx_small_restrict_kernelIi19rocblas_complex_numIfELi16ELb1ELb1ELc67ELc76EKPKS1_KPS1_EviT_T0_PT6_S7_lSA_S7_lS8_PT7_S7_li ; -- Begin function _ZL41rocblas_syrkx_herkx_small_restrict_kernelIi19rocblas_complex_numIfELi16ELb1ELb1ELc67ELc76EKPKS1_KPS1_EviT_T0_PT6_S7_lSA_S7_lS8_PT7_S7_li
	.p2align	8
	.type	_ZL41rocblas_syrkx_herkx_small_restrict_kernelIi19rocblas_complex_numIfELi16ELb1ELb1ELc67ELc76EKPKS1_KPS1_EviT_T0_PT6_S7_lSA_S7_lS8_PT7_S7_li,@function
_ZL41rocblas_syrkx_herkx_small_restrict_kernelIi19rocblas_complex_numIfELi16ELb1ELb1ELc67ELc76EKPKS1_KPS1_EviT_T0_PT6_S7_lSA_S7_lS8_PT7_S7_li: ; @_ZL41rocblas_syrkx_herkx_small_restrict_kernelIi19rocblas_complex_numIfELi16ELb1ELb1ELc67ELc76EKPKS1_KPS1_EviT_T0_PT6_S7_lSA_S7_lS8_PT7_S7_li
; %bb.0:
	s_load_b64 s[2:3], s[0:1], 0x48
	s_mov_b32 s8, s15
	s_mov_b32 s9, 0
	v_dual_mov_b32 v11, 0 :: v_dual_and_b32 v2, 0x3ff, v0
	s_lshl_b64 s[10:11], s[8:9], 3
	s_load_b32 s8, s[0:1], 0x4
	v_bfe_u32 v1, v0, 10, 10
	s_delay_alu instid0(VALU_DEP_2) | instskip(SKIP_1) | instid1(VALU_DEP_3)
	v_lshl_add_u32 v0, s13, 4, v2
	v_mov_b32_e32 v10, 0
	v_lshl_add_u32 v5, s14, 4, v1
	s_waitcnt lgkmcnt(0)
	s_add_u32 s2, s2, s10
	s_addc_u32 s3, s3, s11
	s_load_b128 s[4:7], s[0:1], 0x8
	s_load_b64 s[2:3], s[2:3], 0x0
	s_cmp_lt_i32 s8, 1
	s_cbranch_scc1 .LBB809_3
; %bb.1:
	s_clause 0x2
	s_load_b64 s[12:13], s[0:1], 0x28
	s_load_b32 s14, s[0:1], 0x18
	s_load_b32 s15, s[0:1], 0x30
	v_lshlrev_b32_e32 v8, 7, v1
	v_lshlrev_b32_e32 v6, 3, v2
	v_dual_mov_b32 v10, 0 :: v_dual_lshlrev_b32 v13, 3, v1
	s_waitcnt lgkmcnt(0)
	s_add_u32 s12, s12, s10
	s_addc_u32 s13, s13, s11
	s_add_u32 s6, s6, s10
	s_addc_u32 s7, s7, s11
	v_mad_i64_i32 v[3:4], null, s14, v0, 0
	s_load_b64 s[6:7], s[6:7], 0x0
	v_mad_i64_i32 v[11:12], null, s15, v5, 0
	s_load_b64 s[10:11], s[12:13], 0x0
	s_delay_alu instid0(VALU_DEP_2) | instskip(NEXT) | instid1(VALU_DEP_2)
	v_lshlrev_b64 v[1:2], 3, v[3:4]
	v_lshlrev_b64 v[3:4], 3, v[11:12]
	s_delay_alu instid0(VALU_DEP_2) | instskip(NEXT) | instid1(VALU_DEP_3)
	v_add_co_u32 v1, vcc_lo, v1, v13
	v_add_co_ci_u32_e32 v2, vcc_lo, 0, v2, vcc_lo
	s_delay_alu instid0(VALU_DEP_3) | instskip(NEXT) | instid1(VALU_DEP_4)
	v_add_co_u32 v3, vcc_lo, v3, v6
	v_add_co_ci_u32_e32 v4, vcc_lo, 0, v4, vcc_lo
	s_waitcnt lgkmcnt(0)
	v_add_co_u32 v11, vcc_lo, v1, s6
	v_add_co_ci_u32_e32 v12, vcc_lo, s7, v2, vcc_lo
	v_add_co_u32 v1, vcc_lo, s10, v3
	v_add_co_ci_u32_e32 v2, vcc_lo, s11, v4, vcc_lo
	s_delay_alu instid0(VALU_DEP_4) | instskip(SKIP_4) | instid1(VALU_DEP_3)
	v_add_co_u32 v3, vcc_lo, v11, 4
	v_mov_b32_e32 v11, 0
	v_add_nc_u32_e32 v7, 0x800, v8
	v_add_nc_u32_e32 v8, v6, v8
	v_add_co_ci_u32_e32 v4, vcc_lo, 0, v12, vcc_lo
	v_add_nc_u32_e32 v9, v7, v6
.LBB809_2:                              ; =>This Inner Loop Header: Depth=1
	global_load_b64 v[12:13], v[3:4], off offset:-4
	global_load_b64 v[14:15], v[1:2], off
	v_add_co_u32 v1, vcc_lo, 0x80, v1
	v_add_co_ci_u32_e32 v2, vcc_lo, 0, v2, vcc_lo
	v_add_co_u32 v3, vcc_lo, 0x80, v3
	v_add_co_ci_u32_e32 v4, vcc_lo, 0, v4, vcc_lo
	s_add_i32 s9, s9, 16
	s_delay_alu instid0(SALU_CYCLE_1)
	s_cmp_lt_i32 s9, s8
	s_waitcnt vmcnt(1)
	v_xor_b32_e32 v13, 0x80000000, v13
	ds_store_b64 v8, v[12:13]
	s_waitcnt vmcnt(0)
	ds_store_b64 v9, v[14:15]
	s_waitcnt lgkmcnt(0)
	s_barrier
	buffer_gl0_inv
	ds_load_2addr_b64 v[12:15], v6 offset1:16
	ds_load_b128 v[16:19], v7
	ds_load_b128 v[20:23], v7 offset:16
	ds_load_2addr_b64 v[24:27], v6 offset0:32 offset1:48
	ds_load_2addr_b64 v[28:31], v6 offset0:64 offset1:80
	ds_load_b128 v[32:35], v7 offset:32
	ds_load_b128 v[36:39], v7 offset:48
	ds_load_2addr_b64 v[40:43], v6 offset0:96 offset1:112
	ds_load_2addr_b64 v[44:47], v6 offset0:128 offset1:144
	;; [unrolled: 1-line block ×3, first 2 shown]
	ds_load_b128 v[52:55], v7 offset:64
	ds_load_b128 v[56:59], v7 offset:80
	ds_load_2addr_b64 v[60:63], v6 offset0:192 offset1:208
	ds_load_2addr_b64 v[64:67], v6 offset0:224 offset1:240
	ds_load_b128 v[68:71], v7 offset:96
	ds_load_b128 v[72:75], v7 offset:112
	s_waitcnt lgkmcnt(0)
	s_barrier
	buffer_gl0_inv
	v_dual_mul_f32 v76, v17, v13 :: v_dual_mul_f32 v77, v19, v15
	v_mul_f32_e32 v13, v16, v13
	v_dual_mul_f32 v15, v18, v15 :: v_dual_mul_f32 v78, v21, v25
	v_mul_f32_e32 v25, v20, v25
	s_delay_alu instid0(VALU_DEP_4) | instskip(SKIP_1) | instid1(VALU_DEP_4)
	v_fma_f32 v16, v16, v12, -v76
	v_dual_mul_f32 v79, v23, v27 :: v_dual_mul_f32 v80, v33, v29
	v_fmac_f32_e32 v15, v19, v14
	s_delay_alu instid0(VALU_DEP_4) | instskip(SKIP_4) | instid1(VALU_DEP_4)
	v_fmac_f32_e32 v25, v21, v24
	v_fmac_f32_e32 v13, v17, v12
	v_mul_f32_e32 v83, v39, v43
	v_dual_mul_f32 v27, v22, v27 :: v_dual_mul_f32 v82, v37, v41
	v_mul_f32_e32 v43, v38, v43
	v_add_f32_e32 v10, v10, v13
	v_mul_f32_e32 v29, v32, v29
	v_dual_add_f32 v11, v11, v16 :: v_dual_mul_f32 v16, v72, v65
	v_mul_f32_e32 v17, v54, v47
	s_delay_alu instid0(VALU_DEP_4) | instskip(SKIP_1) | instid1(VALU_DEP_3)
	v_add_f32_e32 v10, v10, v15
	v_dual_mul_f32 v81, v35, v31 :: v_dual_mul_f32 v84, v53, v45
	v_dual_fmac_f32 v16, v73, v64 :: v_dual_fmac_f32 v17, v55, v46
	s_delay_alu instid0(VALU_DEP_3) | instskip(SKIP_3) | instid1(VALU_DEP_4)
	v_dual_fmac_f32 v27, v23, v26 :: v_dual_add_f32 v10, v10, v25
	v_mul_f32_e32 v31, v34, v31
	v_mul_f32_e32 v45, v52, v45
	v_fmac_f32_e32 v29, v33, v28
	v_dual_mul_f32 v41, v36, v41 :: v_dual_add_f32 v10, v10, v27
	v_fma_f32 v12, v18, v14, -v77
	v_dual_mul_f32 v18, v57, v49 :: v_dual_fmac_f32 v31, v35, v30
	v_mul_f32_e32 v14, v55, v47
	s_delay_alu instid0(VALU_DEP_4) | instskip(SKIP_3) | instid1(VALU_DEP_4)
	v_add_f32_e32 v10, v10, v29
	v_mul_f32_e32 v19, v56, v49
	v_add_f32_e32 v11, v11, v12
	v_dual_mul_f32 v12, v75, v67 :: v_dual_fmac_f32 v41, v37, v40
	v_add_f32_e32 v10, v10, v31
	v_mul_f32_e32 v47, v59, v51
	v_fmac_f32_e32 v43, v39, v42
	v_mul_f32_e32 v49, v58, v51
	s_delay_alu instid0(VALU_DEP_4) | instskip(SKIP_2) | instid1(VALU_DEP_4)
	v_dual_fmac_f32 v45, v53, v44 :: v_dual_add_f32 v10, v10, v41
	v_mul_f32_e32 v51, v69, v61
	v_fmac_f32_e32 v19, v57, v48
	v_fmac_f32_e32 v49, v59, v50
	v_mul_f32_e32 v23, v70, v63
	v_add_f32_e32 v10, v10, v43
	v_fma_f32 v20, v20, v24, -v78
	v_mul_f32_e32 v15, v74, v67
	v_fma_f32 v21, v22, v26, -v79
	s_delay_alu instid0(VALU_DEP_4) | instskip(SKIP_1) | instid1(VALU_DEP_4)
	v_dual_fmac_f32 v23, v71, v62 :: v_dual_add_f32 v10, v10, v45
	v_fma_f32 v14, v54, v46, -v14
	v_fmac_f32_e32 v15, v75, v66
	v_fma_f32 v18, v56, v48, -v18
	v_mul_f32_e32 v22, v71, v63
	v_add_f32_e32 v10, v10, v17
	v_mul_f32_e32 v61, v68, v61
	v_fma_f32 v17, v68, v60, -v51
	v_fma_f32 v12, v74, v66, -v12
	s_delay_alu instid0(VALU_DEP_3) | instskip(NEXT) | instid1(VALU_DEP_1)
	v_dual_add_f32 v10, v10, v19 :: v_dual_fmac_f32 v61, v69, v60
	v_add_f32_e32 v10, v10, v49
	s_delay_alu instid0(VALU_DEP_1) | instskip(NEXT) | instid1(VALU_DEP_1)
	v_add_f32_e32 v10, v10, v61
	v_dual_mul_f32 v13, v73, v65 :: v_dual_add_f32 v10, v10, v23
	s_delay_alu instid0(VALU_DEP_1) | instskip(NEXT) | instid1(VALU_DEP_2)
	v_fma_f32 v13, v72, v64, -v13
	v_add_f32_e32 v10, v10, v16
	v_add_f32_e32 v11, v11, v20
	v_fma_f32 v20, v32, v28, -v80
	s_delay_alu instid0(VALU_DEP_2) | instskip(SKIP_1) | instid1(VALU_DEP_2)
	v_dual_add_f32 v10, v10, v15 :: v_dual_add_f32 v11, v11, v21
	v_fma_f32 v21, v34, v30, -v81
	v_add_f32_e32 v11, v11, v20
	v_fma_f32 v20, v36, v40, -v82
	s_delay_alu instid0(VALU_DEP_2) | instskip(SKIP_1) | instid1(VALU_DEP_2)
	v_add_f32_e32 v11, v11, v21
	v_fma_f32 v21, v38, v42, -v83
	v_add_f32_e32 v11, v11, v20
	v_fma_f32 v20, v52, v44, -v84
	s_delay_alu instid0(VALU_DEP_2) | instskip(NEXT) | instid1(VALU_DEP_1)
	v_add_f32_e32 v11, v11, v21
	v_add_f32_e32 v11, v11, v20
	s_delay_alu instid0(VALU_DEP_1) | instskip(SKIP_1) | instid1(VALU_DEP_2)
	v_add_f32_e32 v11, v11, v14
	v_fma_f32 v14, v58, v50, -v47
	v_add_f32_e32 v11, v11, v18
	s_delay_alu instid0(VALU_DEP_1) | instskip(SKIP_1) | instid1(VALU_DEP_2)
	v_add_f32_e32 v11, v11, v14
	v_fma_f32 v14, v70, v62, -v22
	v_add_f32_e32 v11, v11, v17
	s_delay_alu instid0(VALU_DEP_1) | instskip(NEXT) | instid1(VALU_DEP_1)
	v_add_f32_e32 v11, v11, v14
	v_add_f32_e32 v11, v11, v13
	s_delay_alu instid0(VALU_DEP_1)
	v_add_f32_e32 v11, v11, v12
	s_cbranch_scc1 .LBB809_2
.LBB809_3:
	s_waitcnt lgkmcnt(0)
	s_mov_b32 s6, exec_lo
	v_cmpx_le_i32_e64 v5, v0
	s_cbranch_execz .LBB809_6
; %bb.4:
	s_load_b32 s0, s[0:1], 0x50
	v_ashrrev_i32_e32 v1, 31, v0
	v_mul_f32_e32 v7, s4, v10
	v_mul_f32_e32 v4, s5, v10
	s_delay_alu instid0(VALU_DEP_3) | instskip(NEXT) | instid1(VALU_DEP_3)
	v_lshlrev_b64 v[8:9], 3, v[0:1]
	v_fmac_f32_e32 v7, s5, v11
	s_delay_alu instid0(VALU_DEP_3) | instskip(SKIP_2) | instid1(VALU_DEP_1)
	v_fma_f32 v6, v11, s4, -v4
	s_waitcnt lgkmcnt(0)
	v_mad_i64_i32 v[2:3], null, s0, v5, 0
	v_lshlrev_b64 v[2:3], 3, v[2:3]
	s_delay_alu instid0(VALU_DEP_1) | instskip(NEXT) | instid1(VALU_DEP_2)
	v_add_co_u32 v1, vcc_lo, s2, v2
	v_add_co_ci_u32_e32 v2, vcc_lo, s3, v3, vcc_lo
	s_delay_alu instid0(VALU_DEP_2) | instskip(NEXT) | instid1(VALU_DEP_2)
	v_add_co_u32 v1, vcc_lo, v1, v8
	v_add_co_ci_u32_e32 v2, vcc_lo, v2, v9, vcc_lo
	v_cmp_eq_u32_e32 vcc_lo, v0, v5
	global_store_b64 v[1:2], v[6:7], off
	s_and_b32 exec_lo, exec_lo, vcc_lo
	s_cbranch_execz .LBB809_6
; %bb.5:
	v_mov_b32_e32 v0, 0
	global_store_b32 v[1:2], v0, off offset:4
.LBB809_6:
	s_nop 0
	s_sendmsg sendmsg(MSG_DEALLOC_VGPRS)
	s_endpgm
	.section	.rodata,"a",@progbits
	.p2align	6, 0x0
	.amdhsa_kernel _ZL41rocblas_syrkx_herkx_small_restrict_kernelIi19rocblas_complex_numIfELi16ELb1ELb1ELc67ELc76EKPKS1_KPS1_EviT_T0_PT6_S7_lSA_S7_lS8_PT7_S7_li
		.amdhsa_group_segment_fixed_size 4096
		.amdhsa_private_segment_fixed_size 0
		.amdhsa_kernarg_size 100
		.amdhsa_user_sgpr_count 13
		.amdhsa_user_sgpr_dispatch_ptr 0
		.amdhsa_user_sgpr_queue_ptr 0
		.amdhsa_user_sgpr_kernarg_segment_ptr 1
		.amdhsa_user_sgpr_dispatch_id 0
		.amdhsa_user_sgpr_private_segment_size 0
		.amdhsa_wavefront_size32 1
		.amdhsa_uses_dynamic_stack 0
		.amdhsa_enable_private_segment 0
		.amdhsa_system_sgpr_workgroup_id_x 1
		.amdhsa_system_sgpr_workgroup_id_y 1
		.amdhsa_system_sgpr_workgroup_id_z 1
		.amdhsa_system_sgpr_workgroup_info 0
		.amdhsa_system_vgpr_workitem_id 1
		.amdhsa_next_free_vgpr 85
		.amdhsa_next_free_sgpr 16
		.amdhsa_reserve_vcc 1
		.amdhsa_float_round_mode_32 0
		.amdhsa_float_round_mode_16_64 0
		.amdhsa_float_denorm_mode_32 3
		.amdhsa_float_denorm_mode_16_64 3
		.amdhsa_dx10_clamp 1
		.amdhsa_ieee_mode 1
		.amdhsa_fp16_overflow 0
		.amdhsa_workgroup_processor_mode 1
		.amdhsa_memory_ordered 1
		.amdhsa_forward_progress 0
		.amdhsa_shared_vgpr_count 0
		.amdhsa_exception_fp_ieee_invalid_op 0
		.amdhsa_exception_fp_denorm_src 0
		.amdhsa_exception_fp_ieee_div_zero 0
		.amdhsa_exception_fp_ieee_overflow 0
		.amdhsa_exception_fp_ieee_underflow 0
		.amdhsa_exception_fp_ieee_inexact 0
		.amdhsa_exception_int_div_zero 0
	.end_amdhsa_kernel
	.section	.text._ZL41rocblas_syrkx_herkx_small_restrict_kernelIi19rocblas_complex_numIfELi16ELb1ELb1ELc67ELc76EKPKS1_KPS1_EviT_T0_PT6_S7_lSA_S7_lS8_PT7_S7_li,"axG",@progbits,_ZL41rocblas_syrkx_herkx_small_restrict_kernelIi19rocblas_complex_numIfELi16ELb1ELb1ELc67ELc76EKPKS1_KPS1_EviT_T0_PT6_S7_lSA_S7_lS8_PT7_S7_li,comdat
.Lfunc_end809:
	.size	_ZL41rocblas_syrkx_herkx_small_restrict_kernelIi19rocblas_complex_numIfELi16ELb1ELb1ELc67ELc76EKPKS1_KPS1_EviT_T0_PT6_S7_lSA_S7_lS8_PT7_S7_li, .Lfunc_end809-_ZL41rocblas_syrkx_herkx_small_restrict_kernelIi19rocblas_complex_numIfELi16ELb1ELb1ELc67ELc76EKPKS1_KPS1_EviT_T0_PT6_S7_lSA_S7_lS8_PT7_S7_li
                                        ; -- End function
	.section	.AMDGPU.csdata,"",@progbits
; Kernel info:
; codeLenInByte = 1256
; NumSgprs: 18
; NumVgprs: 85
; ScratchSize: 0
; MemoryBound: 0
; FloatMode: 240
; IeeeMode: 1
; LDSByteSize: 4096 bytes/workgroup (compile time only)
; SGPRBlocks: 2
; VGPRBlocks: 10
; NumSGPRsForWavesPerEU: 18
; NumVGPRsForWavesPerEU: 85
; Occupancy: 16
; WaveLimiterHint : 1
; COMPUTE_PGM_RSRC2:SCRATCH_EN: 0
; COMPUTE_PGM_RSRC2:USER_SGPR: 13
; COMPUTE_PGM_RSRC2:TRAP_HANDLER: 0
; COMPUTE_PGM_RSRC2:TGID_X_EN: 1
; COMPUTE_PGM_RSRC2:TGID_Y_EN: 1
; COMPUTE_PGM_RSRC2:TGID_Z_EN: 1
; COMPUTE_PGM_RSRC2:TIDIG_COMP_CNT: 1
	.section	.text._ZL41rocblas_syrkx_herkx_small_restrict_kernelIi19rocblas_complex_numIfELi16ELb1ELb1ELc78ELc76EKPKS1_KPS1_EviT_T0_PT6_S7_lSA_S7_lS8_PT7_S7_li,"axG",@progbits,_ZL41rocblas_syrkx_herkx_small_restrict_kernelIi19rocblas_complex_numIfELi16ELb1ELb1ELc78ELc76EKPKS1_KPS1_EviT_T0_PT6_S7_lSA_S7_lS8_PT7_S7_li,comdat
	.globl	_ZL41rocblas_syrkx_herkx_small_restrict_kernelIi19rocblas_complex_numIfELi16ELb1ELb1ELc78ELc76EKPKS1_KPS1_EviT_T0_PT6_S7_lSA_S7_lS8_PT7_S7_li ; -- Begin function _ZL41rocblas_syrkx_herkx_small_restrict_kernelIi19rocblas_complex_numIfELi16ELb1ELb1ELc78ELc76EKPKS1_KPS1_EviT_T0_PT6_S7_lSA_S7_lS8_PT7_S7_li
	.p2align	8
	.type	_ZL41rocblas_syrkx_herkx_small_restrict_kernelIi19rocblas_complex_numIfELi16ELb1ELb1ELc78ELc76EKPKS1_KPS1_EviT_T0_PT6_S7_lSA_S7_lS8_PT7_S7_li,@function
_ZL41rocblas_syrkx_herkx_small_restrict_kernelIi19rocblas_complex_numIfELi16ELb1ELb1ELc78ELc76EKPKS1_KPS1_EviT_T0_PT6_S7_lSA_S7_lS8_PT7_S7_li: ; @_ZL41rocblas_syrkx_herkx_small_restrict_kernelIi19rocblas_complex_numIfELi16ELb1ELb1ELc78ELc76EKPKS1_KPS1_EviT_T0_PT6_S7_lSA_S7_lS8_PT7_S7_li
; %bb.0:
	s_load_b64 s[2:3], s[0:1], 0x48
	s_mov_b32 s8, s15
	s_mov_b32 s9, 0
	v_dual_mov_b32 v12, 0 :: v_dual_and_b32 v5, 0x3ff, v0
	s_lshl_b64 s[10:11], s[8:9], 3
	s_load_b32 s8, s[0:1], 0x4
	v_bfe_u32 v4, v0, 10, 10
	s_delay_alu instid0(VALU_DEP_2) | instskip(SKIP_1) | instid1(VALU_DEP_3)
	v_lshl_add_u32 v0, s13, 4, v5
	v_mov_b32_e32 v11, 0
	v_lshl_add_u32 v2, s14, 4, v4
	s_delay_alu instid0(VALU_DEP_3)
	v_ashrrev_i32_e32 v1, 31, v0
	s_waitcnt lgkmcnt(0)
	s_add_u32 s2, s2, s10
	s_addc_u32 s3, s3, s11
	s_load_b128 s[4:7], s[0:1], 0x8
	s_load_b64 s[2:3], s[2:3], 0x0
	s_cmp_lt_i32 s8, 1
	s_cbranch_scc1 .LBB810_3
; %bb.1:
	s_clause 0x2
	s_load_b32 s12, s[0:1], 0x18
	s_load_b32 s14, s[0:1], 0x30
	s_load_b64 s[16:17], s[0:1], 0x28
	v_lshlrev_b32_e32 v7, 3, v5
	v_ashrrev_i32_e32 v3, 31, v2
	v_dual_mov_b32 v11, 0 :: v_dual_lshlrev_b32 v16, 7, v4
	v_lshlrev_b64 v[12:13], 3, v[0:1]
	s_delay_alu instid0(VALU_DEP_2)
	v_add_nc_u32_e32 v8, 0x800, v16
	s_waitcnt lgkmcnt(0)
	s_ashr_i32 s13, s12, 31
	s_ashr_i32 s15, s14, 31
	s_add_u32 s16, s16, s10
	s_addc_u32 s17, s17, s11
	v_mad_i64_i32 v[9:10], null, s14, v5, 0
	s_load_b64 s[16:17], s[16:17], 0x0
	s_add_u32 s6, s6, s10
	s_addc_u32 s7, s7, s11
	v_mad_i64_i32 v[5:6], null, s12, v4, 0
	s_load_b64 s[6:7], s[6:7], 0x0
	v_lshlrev_b64 v[3:4], 3, v[2:3]
	s_delay_alu instid0(VALU_DEP_3) | instskip(SKIP_1) | instid1(VALU_DEP_3)
	v_lshlrev_b64 v[14:15], 3, v[9:10]
	s_lshl_b64 s[10:11], s[12:13], 7
	v_lshlrev_b64 v[5:6], 3, v[5:6]
	s_delay_alu instid0(VALU_DEP_2) | instskip(NEXT) | instid1(VALU_DEP_3)
	v_add_co_u32 v3, vcc_lo, v14, v3
	v_add_co_ci_u32_e32 v4, vcc_lo, v15, v4, vcc_lo
	s_delay_alu instid0(VALU_DEP_3) | instskip(NEXT) | instid1(VALU_DEP_4)
	v_add_co_u32 v5, vcc_lo, v5, v12
	v_add_co_ci_u32_e32 v6, vcc_lo, v6, v13, vcc_lo
	s_waitcnt lgkmcnt(0)
	v_add_co_u32 v12, vcc_lo, v3, s16
	v_add_co_ci_u32_e32 v13, vcc_lo, s17, v4, vcc_lo
	v_add_co_u32 v3, vcc_lo, s6, v5
	v_add_co_ci_u32_e32 v4, vcc_lo, s7, v6, vcc_lo
	s_delay_alu instid0(VALU_DEP_4) | instskip(NEXT) | instid1(VALU_DEP_4)
	v_add_co_u32 v5, vcc_lo, v12, 4
	v_add_co_ci_u32_e32 v6, vcc_lo, 0, v13, vcc_lo
	v_dual_mov_b32 v12, 0 :: v_dual_add_nc_u32 v9, v7, v16
	v_add_nc_u32_e32 v10, v8, v7
	s_lshl_b64 s[6:7], s[14:15], 7
.LBB810_2:                              ; =>This Inner Loop Header: Depth=1
	global_load_b64 v[13:14], v[5:6], off offset:-4
	global_load_b64 v[15:16], v[3:4], off
	v_add_co_u32 v5, vcc_lo, v5, s6
	v_add_co_ci_u32_e32 v6, vcc_lo, s7, v6, vcc_lo
	v_add_co_u32 v3, vcc_lo, v3, s10
	v_add_co_ci_u32_e32 v4, vcc_lo, s11, v4, vcc_lo
	s_add_i32 s9, s9, 16
	s_delay_alu instid0(SALU_CYCLE_1)
	s_cmp_lt_i32 s9, s8
	s_waitcnt vmcnt(1)
	v_xor_b32_e32 v14, 0x80000000, v14
	s_waitcnt vmcnt(0)
	ds_store_b64 v9, v[15:16]
	ds_store_b64 v10, v[13:14]
	s_waitcnt lgkmcnt(0)
	s_barrier
	buffer_gl0_inv
	ds_load_2addr_b64 v[13:16], v7 offset1:16
	ds_load_b128 v[17:20], v8
	ds_load_b128 v[21:24], v8 offset:16
	ds_load_2addr_b64 v[25:28], v7 offset0:32 offset1:48
	ds_load_2addr_b64 v[29:32], v7 offset0:64 offset1:80
	ds_load_b128 v[33:36], v8 offset:32
	ds_load_b128 v[37:40], v8 offset:48
	ds_load_2addr_b64 v[41:44], v7 offset0:96 offset1:112
	ds_load_2addr_b64 v[45:48], v7 offset0:128 offset1:144
	;; [unrolled: 1-line block ×3, first 2 shown]
	ds_load_b128 v[53:56], v8 offset:64
	ds_load_b128 v[57:60], v8 offset:80
	ds_load_2addr_b64 v[61:64], v7 offset0:192 offset1:208
	ds_load_2addr_b64 v[65:68], v7 offset0:224 offset1:240
	ds_load_b128 v[69:72], v8 offset:96
	ds_load_b128 v[73:76], v8 offset:112
	s_waitcnt lgkmcnt(0)
	s_barrier
	buffer_gl0_inv
	v_dual_mul_f32 v77, v18, v14 :: v_dual_mul_f32 v78, v20, v16
	v_mul_f32_e32 v14, v17, v14
	v_dual_mul_f32 v16, v19, v16 :: v_dual_mul_f32 v79, v22, v26
	v_mul_f32_e32 v26, v21, v26
	s_delay_alu instid0(VALU_DEP_4) | instskip(SKIP_1) | instid1(VALU_DEP_4)
	v_fma_f32 v17, v17, v13, -v77
	v_dual_mul_f32 v80, v24, v28 :: v_dual_mul_f32 v81, v34, v30
	v_fmac_f32_e32 v16, v20, v15
	s_delay_alu instid0(VALU_DEP_4) | instskip(SKIP_4) | instid1(VALU_DEP_4)
	v_fmac_f32_e32 v26, v22, v25
	v_fmac_f32_e32 v14, v18, v13
	v_mul_f32_e32 v84, v40, v44
	v_dual_mul_f32 v28, v23, v28 :: v_dual_mul_f32 v83, v38, v42
	v_mul_f32_e32 v44, v39, v44
	v_add_f32_e32 v11, v11, v14
	v_mul_f32_e32 v30, v33, v30
	v_dual_add_f32 v12, v12, v17 :: v_dual_mul_f32 v17, v73, v66
	v_mul_f32_e32 v18, v55, v48
	s_delay_alu instid0(VALU_DEP_4) | instskip(SKIP_1) | instid1(VALU_DEP_3)
	v_add_f32_e32 v11, v11, v16
	v_dual_mul_f32 v82, v36, v32 :: v_dual_mul_f32 v85, v54, v46
	v_dual_fmac_f32 v17, v74, v65 :: v_dual_fmac_f32 v18, v56, v47
	s_delay_alu instid0(VALU_DEP_3) | instskip(SKIP_3) | instid1(VALU_DEP_4)
	v_dual_fmac_f32 v28, v24, v27 :: v_dual_add_f32 v11, v11, v26
	v_mul_f32_e32 v32, v35, v32
	v_mul_f32_e32 v46, v53, v46
	v_fmac_f32_e32 v30, v34, v29
	v_dual_mul_f32 v42, v37, v42 :: v_dual_add_f32 v11, v11, v28
	v_fma_f32 v13, v19, v15, -v78
	v_dual_mul_f32 v19, v58, v50 :: v_dual_fmac_f32 v32, v36, v31
	v_mul_f32_e32 v15, v56, v48
	s_delay_alu instid0(VALU_DEP_4) | instskip(SKIP_3) | instid1(VALU_DEP_4)
	v_add_f32_e32 v11, v11, v30
	v_mul_f32_e32 v20, v57, v50
	v_add_f32_e32 v12, v12, v13
	v_dual_mul_f32 v13, v76, v68 :: v_dual_fmac_f32 v42, v38, v41
	v_add_f32_e32 v11, v11, v32
	v_mul_f32_e32 v48, v60, v52
	v_fmac_f32_e32 v44, v40, v43
	v_mul_f32_e32 v50, v59, v52
	s_delay_alu instid0(VALU_DEP_4) | instskip(SKIP_2) | instid1(VALU_DEP_4)
	v_dual_fmac_f32 v46, v54, v45 :: v_dual_add_f32 v11, v11, v42
	v_mul_f32_e32 v52, v70, v62
	v_fmac_f32_e32 v20, v58, v49
	v_fmac_f32_e32 v50, v60, v51
	v_mul_f32_e32 v24, v71, v64
	v_add_f32_e32 v11, v11, v44
	v_fma_f32 v21, v21, v25, -v79
	v_mul_f32_e32 v16, v75, v68
	v_fma_f32 v22, v23, v27, -v80
	s_delay_alu instid0(VALU_DEP_4) | instskip(SKIP_1) | instid1(VALU_DEP_4)
	v_dual_fmac_f32 v24, v72, v63 :: v_dual_add_f32 v11, v11, v46
	v_fma_f32 v15, v55, v47, -v15
	v_fmac_f32_e32 v16, v76, v67
	v_fma_f32 v19, v57, v49, -v19
	v_mul_f32_e32 v23, v72, v64
	v_add_f32_e32 v11, v11, v18
	v_mul_f32_e32 v62, v69, v62
	v_fma_f32 v18, v69, v61, -v52
	v_fma_f32 v13, v75, v67, -v13
	s_delay_alu instid0(VALU_DEP_3) | instskip(NEXT) | instid1(VALU_DEP_1)
	v_dual_add_f32 v11, v11, v20 :: v_dual_fmac_f32 v62, v70, v61
	v_add_f32_e32 v11, v11, v50
	s_delay_alu instid0(VALU_DEP_1) | instskip(NEXT) | instid1(VALU_DEP_1)
	v_add_f32_e32 v11, v11, v62
	v_dual_mul_f32 v14, v74, v66 :: v_dual_add_f32 v11, v11, v24
	s_delay_alu instid0(VALU_DEP_1) | instskip(NEXT) | instid1(VALU_DEP_2)
	v_fma_f32 v14, v73, v65, -v14
	v_add_f32_e32 v11, v11, v17
	v_add_f32_e32 v12, v12, v21
	v_fma_f32 v21, v33, v29, -v81
	s_delay_alu instid0(VALU_DEP_2) | instskip(SKIP_1) | instid1(VALU_DEP_2)
	v_dual_add_f32 v11, v11, v16 :: v_dual_add_f32 v12, v12, v22
	v_fma_f32 v22, v35, v31, -v82
	v_add_f32_e32 v12, v12, v21
	v_fma_f32 v21, v37, v41, -v83
	s_delay_alu instid0(VALU_DEP_2) | instskip(SKIP_1) | instid1(VALU_DEP_2)
	v_add_f32_e32 v12, v12, v22
	v_fma_f32 v22, v39, v43, -v84
	v_add_f32_e32 v12, v12, v21
	v_fma_f32 v21, v53, v45, -v85
	s_delay_alu instid0(VALU_DEP_2) | instskip(NEXT) | instid1(VALU_DEP_1)
	v_add_f32_e32 v12, v12, v22
	v_add_f32_e32 v12, v12, v21
	s_delay_alu instid0(VALU_DEP_1) | instskip(SKIP_1) | instid1(VALU_DEP_2)
	v_add_f32_e32 v12, v12, v15
	v_fma_f32 v15, v59, v51, -v48
	v_add_f32_e32 v12, v12, v19
	s_delay_alu instid0(VALU_DEP_1) | instskip(SKIP_1) | instid1(VALU_DEP_2)
	v_add_f32_e32 v12, v12, v15
	v_fma_f32 v15, v71, v63, -v23
	v_add_f32_e32 v12, v12, v18
	s_delay_alu instid0(VALU_DEP_1) | instskip(NEXT) | instid1(VALU_DEP_1)
	v_add_f32_e32 v12, v12, v15
	v_add_f32_e32 v12, v12, v14
	s_delay_alu instid0(VALU_DEP_1)
	v_add_f32_e32 v12, v12, v13
	s_cbranch_scc1 .LBB810_2
.LBB810_3:
	s_waitcnt lgkmcnt(0)
	s_mov_b32 s6, exec_lo
	v_cmpx_le_i32_e64 v2, v0
	s_cbranch_execz .LBB810_6
; %bb.4:
	s_load_b32 s0, s[0:1], 0x50
	v_lshlrev_b64 v[7:8], 3, v[0:1]
	v_mul_f32_e32 v6, s4, v11
	s_delay_alu instid0(VALU_DEP_1) | instskip(NEXT) | instid1(VALU_DEP_1)
	v_dual_mul_f32 v5, s5, v11 :: v_dual_fmac_f32 v6, s5, v12
	v_fma_f32 v5, v12, s4, -v5
	s_waitcnt lgkmcnt(0)
	v_mad_i64_i32 v[3:4], null, s0, v2, 0
	s_delay_alu instid0(VALU_DEP_1) | instskip(NEXT) | instid1(VALU_DEP_1)
	v_lshlrev_b64 v[3:4], 3, v[3:4]
	v_add_co_u32 v1, vcc_lo, s2, v3
	s_delay_alu instid0(VALU_DEP_2) | instskip(NEXT) | instid1(VALU_DEP_2)
	v_add_co_ci_u32_e32 v4, vcc_lo, s3, v4, vcc_lo
	v_add_co_u32 v3, vcc_lo, v1, v7
	s_delay_alu instid0(VALU_DEP_2)
	v_add_co_ci_u32_e32 v4, vcc_lo, v4, v8, vcc_lo
	v_cmp_eq_u32_e32 vcc_lo, v0, v2
	global_store_b64 v[3:4], v[5:6], off
	s_and_b32 exec_lo, exec_lo, vcc_lo
	s_cbranch_execz .LBB810_6
; %bb.5:
	v_mov_b32_e32 v0, 0
	global_store_b32 v[3:4], v0, off offset:4
.LBB810_6:
	s_nop 0
	s_sendmsg sendmsg(MSG_DEALLOC_VGPRS)
	s_endpgm
	.section	.rodata,"a",@progbits
	.p2align	6, 0x0
	.amdhsa_kernel _ZL41rocblas_syrkx_herkx_small_restrict_kernelIi19rocblas_complex_numIfELi16ELb1ELb1ELc78ELc76EKPKS1_KPS1_EviT_T0_PT6_S7_lSA_S7_lS8_PT7_S7_li
		.amdhsa_group_segment_fixed_size 4096
		.amdhsa_private_segment_fixed_size 0
		.amdhsa_kernarg_size 100
		.amdhsa_user_sgpr_count 13
		.amdhsa_user_sgpr_dispatch_ptr 0
		.amdhsa_user_sgpr_queue_ptr 0
		.amdhsa_user_sgpr_kernarg_segment_ptr 1
		.amdhsa_user_sgpr_dispatch_id 0
		.amdhsa_user_sgpr_private_segment_size 0
		.amdhsa_wavefront_size32 1
		.amdhsa_uses_dynamic_stack 0
		.amdhsa_enable_private_segment 0
		.amdhsa_system_sgpr_workgroup_id_x 1
		.amdhsa_system_sgpr_workgroup_id_y 1
		.amdhsa_system_sgpr_workgroup_id_z 1
		.amdhsa_system_sgpr_workgroup_info 0
		.amdhsa_system_vgpr_workitem_id 1
		.amdhsa_next_free_vgpr 86
		.amdhsa_next_free_sgpr 18
		.amdhsa_reserve_vcc 1
		.amdhsa_float_round_mode_32 0
		.amdhsa_float_round_mode_16_64 0
		.amdhsa_float_denorm_mode_32 3
		.amdhsa_float_denorm_mode_16_64 3
		.amdhsa_dx10_clamp 1
		.amdhsa_ieee_mode 1
		.amdhsa_fp16_overflow 0
		.amdhsa_workgroup_processor_mode 1
		.amdhsa_memory_ordered 1
		.amdhsa_forward_progress 0
		.amdhsa_shared_vgpr_count 0
		.amdhsa_exception_fp_ieee_invalid_op 0
		.amdhsa_exception_fp_denorm_src 0
		.amdhsa_exception_fp_ieee_div_zero 0
		.amdhsa_exception_fp_ieee_overflow 0
		.amdhsa_exception_fp_ieee_underflow 0
		.amdhsa_exception_fp_ieee_inexact 0
		.amdhsa_exception_int_div_zero 0
	.end_amdhsa_kernel
	.section	.text._ZL41rocblas_syrkx_herkx_small_restrict_kernelIi19rocblas_complex_numIfELi16ELb1ELb1ELc78ELc76EKPKS1_KPS1_EviT_T0_PT6_S7_lSA_S7_lS8_PT7_S7_li,"axG",@progbits,_ZL41rocblas_syrkx_herkx_small_restrict_kernelIi19rocblas_complex_numIfELi16ELb1ELb1ELc78ELc76EKPKS1_KPS1_EviT_T0_PT6_S7_lSA_S7_lS8_PT7_S7_li,comdat
.Lfunc_end810:
	.size	_ZL41rocblas_syrkx_herkx_small_restrict_kernelIi19rocblas_complex_numIfELi16ELb1ELb1ELc78ELc76EKPKS1_KPS1_EviT_T0_PT6_S7_lSA_S7_lS8_PT7_S7_li, .Lfunc_end810-_ZL41rocblas_syrkx_herkx_small_restrict_kernelIi19rocblas_complex_numIfELi16ELb1ELb1ELc78ELc76EKPKS1_KPS1_EviT_T0_PT6_S7_lSA_S7_lS8_PT7_S7_li
                                        ; -- End function
	.section	.AMDGPU.csdata,"",@progbits
; Kernel info:
; codeLenInByte = 1288
; NumSgprs: 20
; NumVgprs: 86
; ScratchSize: 0
; MemoryBound: 0
; FloatMode: 240
; IeeeMode: 1
; LDSByteSize: 4096 bytes/workgroup (compile time only)
; SGPRBlocks: 2
; VGPRBlocks: 10
; NumSGPRsForWavesPerEU: 20
; NumVGPRsForWavesPerEU: 86
; Occupancy: 16
; WaveLimiterHint : 1
; COMPUTE_PGM_RSRC2:SCRATCH_EN: 0
; COMPUTE_PGM_RSRC2:USER_SGPR: 13
; COMPUTE_PGM_RSRC2:TRAP_HANDLER: 0
; COMPUTE_PGM_RSRC2:TGID_X_EN: 1
; COMPUTE_PGM_RSRC2:TGID_Y_EN: 1
; COMPUTE_PGM_RSRC2:TGID_Z_EN: 1
; COMPUTE_PGM_RSRC2:TIDIG_COMP_CNT: 1
	.section	.text._ZL41rocblas_syrkx_herkx_small_restrict_kernelIi19rocblas_complex_numIfELi16ELb1ELb1ELc84ELc85EKPKS1_KPS1_EviT_T0_PT6_S7_lSA_S7_lS8_PT7_S7_li,"axG",@progbits,_ZL41rocblas_syrkx_herkx_small_restrict_kernelIi19rocblas_complex_numIfELi16ELb1ELb1ELc84ELc85EKPKS1_KPS1_EviT_T0_PT6_S7_lSA_S7_lS8_PT7_S7_li,comdat
	.globl	_ZL41rocblas_syrkx_herkx_small_restrict_kernelIi19rocblas_complex_numIfELi16ELb1ELb1ELc84ELc85EKPKS1_KPS1_EviT_T0_PT6_S7_lSA_S7_lS8_PT7_S7_li ; -- Begin function _ZL41rocblas_syrkx_herkx_small_restrict_kernelIi19rocblas_complex_numIfELi16ELb1ELb1ELc84ELc85EKPKS1_KPS1_EviT_T0_PT6_S7_lSA_S7_lS8_PT7_S7_li
	.p2align	8
	.type	_ZL41rocblas_syrkx_herkx_small_restrict_kernelIi19rocblas_complex_numIfELi16ELb1ELb1ELc84ELc85EKPKS1_KPS1_EviT_T0_PT6_S7_lSA_S7_lS8_PT7_S7_li,@function
_ZL41rocblas_syrkx_herkx_small_restrict_kernelIi19rocblas_complex_numIfELi16ELb1ELb1ELc84ELc85EKPKS1_KPS1_EviT_T0_PT6_S7_lSA_S7_lS8_PT7_S7_li: ; @_ZL41rocblas_syrkx_herkx_small_restrict_kernelIi19rocblas_complex_numIfELi16ELb1ELb1ELc84ELc85EKPKS1_KPS1_EviT_T0_PT6_S7_lSA_S7_lS8_PT7_S7_li
; %bb.0:
	s_load_b64 s[2:3], s[0:1], 0x48
	s_mov_b32 s8, s15
	s_mov_b32 s9, 0
	v_dual_mov_b32 v11, 0 :: v_dual_and_b32 v2, 0x3ff, v0
	s_lshl_b64 s[10:11], s[8:9], 3
	s_load_b32 s8, s[0:1], 0x4
	v_bfe_u32 v1, v0, 10, 10
	s_delay_alu instid0(VALU_DEP_2) | instskip(SKIP_1) | instid1(VALU_DEP_3)
	v_lshl_add_u32 v0, s13, 4, v2
	v_mov_b32_e32 v10, 0
	v_lshl_add_u32 v5, s14, 4, v1
	s_waitcnt lgkmcnt(0)
	s_add_u32 s2, s2, s10
	s_addc_u32 s3, s3, s11
	s_load_b128 s[4:7], s[0:1], 0x8
	s_load_b64 s[2:3], s[2:3], 0x0
	s_cmp_lt_i32 s8, 1
	s_cbranch_scc1 .LBB811_3
; %bb.1:
	s_clause 0x2
	s_load_b64 s[12:13], s[0:1], 0x28
	s_load_b32 s14, s[0:1], 0x30
	s_load_b32 s15, s[0:1], 0x18
	v_lshlrev_b32_e32 v6, 3, v2
	v_lshlrev_b32_e32 v4, 7, v1
	v_dual_mov_b32 v10, 0 :: v_dual_lshlrev_b32 v13, 3, v1
	s_delay_alu instid0(VALU_DEP_2) | instskip(NEXT) | instid1(VALU_DEP_4)
	v_add_nc_u32_e32 v7, 0x800, v4
	v_add_nc_u32_e32 v8, v6, v4
	s_delay_alu instid0(VALU_DEP_2)
	v_add_nc_u32_e32 v9, v7, v6
	s_waitcnt lgkmcnt(0)
	s_add_u32 s12, s12, s10
	s_addc_u32 s13, s13, s11
	v_mad_i64_i32 v[2:3], null, s14, v5, 0
	s_load_b64 s[12:13], s[12:13], 0x0
	s_add_u32 s6, s6, s10
	s_addc_u32 s7, s7, s11
	v_mad_i64_i32 v[11:12], null, s15, v0, 0
	s_load_b64 s[6:7], s[6:7], 0x0
	s_delay_alu instid0(VALU_DEP_2) | instskip(NEXT) | instid1(VALU_DEP_2)
	v_lshlrev_b64 v[1:2], 3, v[2:3]
	v_lshlrev_b64 v[3:4], 3, v[11:12]
	s_delay_alu instid0(VALU_DEP_2) | instskip(NEXT) | instid1(VALU_DEP_3)
	v_add_co_u32 v1, vcc_lo, v1, v6
	v_add_co_ci_u32_e32 v2, vcc_lo, 0, v2, vcc_lo
	v_mov_b32_e32 v11, 0
	s_delay_alu instid0(VALU_DEP_4)
	v_add_co_u32 v3, vcc_lo, v3, v13
	v_add_co_ci_u32_e32 v4, vcc_lo, 0, v4, vcc_lo
	s_waitcnt lgkmcnt(0)
	v_add_co_u32 v1, vcc_lo, s12, v1
	v_add_co_ci_u32_e32 v2, vcc_lo, s13, v2, vcc_lo
	v_add_co_u32 v3, vcc_lo, s6, v3
	v_add_co_ci_u32_e32 v4, vcc_lo, s7, v4, vcc_lo
.LBB811_2:                              ; =>This Inner Loop Header: Depth=1
	global_load_b64 v[12:13], v[3:4], off
	global_load_b64 v[14:15], v[1:2], off
	v_add_co_u32 v1, vcc_lo, 0x80, v1
	v_add_co_ci_u32_e32 v2, vcc_lo, 0, v2, vcc_lo
	v_add_co_u32 v3, vcc_lo, 0x80, v3
	v_add_co_ci_u32_e32 v4, vcc_lo, 0, v4, vcc_lo
	s_add_i32 s9, s9, 16
	s_waitcnt vmcnt(1)
	ds_store_b64 v8, v[12:13]
	s_waitcnt vmcnt(0)
	ds_store_b64 v9, v[14:15]
	s_waitcnt lgkmcnt(0)
	s_barrier
	buffer_gl0_inv
	ds_load_2addr_b64 v[12:15], v6 offset1:16
	ds_load_b128 v[16:19], v7
	ds_load_b128 v[20:23], v7 offset:16
	ds_load_2addr_b64 v[24:27], v6 offset0:32 offset1:48
	ds_load_2addr_b64 v[28:31], v6 offset0:64 offset1:80
	ds_load_b128 v[32:35], v7 offset:32
	ds_load_b128 v[36:39], v7 offset:48
	ds_load_2addr_b64 v[40:43], v6 offset0:96 offset1:112
	ds_load_2addr_b64 v[44:47], v6 offset0:128 offset1:144
	;; [unrolled: 1-line block ×3, first 2 shown]
	ds_load_b128 v[52:55], v7 offset:64
	ds_load_b128 v[56:59], v7 offset:80
	ds_load_2addr_b64 v[60:63], v6 offset0:192 offset1:208
	ds_load_2addr_b64 v[64:67], v6 offset0:224 offset1:240
	ds_load_b128 v[68:71], v7 offset:96
	ds_load_b128 v[72:75], v7 offset:112
	s_cmp_lt_i32 s9, s8
	s_waitcnt lgkmcnt(0)
	s_barrier
	buffer_gl0_inv
	v_dual_mul_f32 v76, v17, v13 :: v_dual_mul_f32 v77, v19, v15
	v_mul_f32_e32 v13, v16, v13
	v_dual_mul_f32 v15, v18, v15 :: v_dual_mul_f32 v78, v21, v25
	v_mul_f32_e32 v25, v20, v25
	s_delay_alu instid0(VALU_DEP_4) | instskip(SKIP_1) | instid1(VALU_DEP_4)
	v_fma_f32 v16, v16, v12, -v76
	v_dual_mul_f32 v79, v23, v27 :: v_dual_mul_f32 v80, v33, v29
	v_fmac_f32_e32 v15, v19, v14
	s_delay_alu instid0(VALU_DEP_4) | instskip(SKIP_4) | instid1(VALU_DEP_4)
	v_fmac_f32_e32 v25, v21, v24
	v_fmac_f32_e32 v13, v17, v12
	v_mul_f32_e32 v83, v39, v43
	v_dual_mul_f32 v27, v22, v27 :: v_dual_mul_f32 v82, v37, v41
	v_mul_f32_e32 v43, v38, v43
	v_add_f32_e32 v10, v10, v13
	v_mul_f32_e32 v29, v32, v29
	v_dual_add_f32 v11, v11, v16 :: v_dual_mul_f32 v16, v72, v65
	v_mul_f32_e32 v17, v54, v47
	s_delay_alu instid0(VALU_DEP_4) | instskip(SKIP_1) | instid1(VALU_DEP_3)
	v_add_f32_e32 v10, v10, v15
	v_dual_mul_f32 v81, v35, v31 :: v_dual_mul_f32 v84, v53, v45
	v_dual_fmac_f32 v16, v73, v64 :: v_dual_fmac_f32 v17, v55, v46
	s_delay_alu instid0(VALU_DEP_3) | instskip(SKIP_3) | instid1(VALU_DEP_4)
	v_dual_fmac_f32 v27, v23, v26 :: v_dual_add_f32 v10, v10, v25
	v_mul_f32_e32 v31, v34, v31
	v_mul_f32_e32 v45, v52, v45
	v_fmac_f32_e32 v29, v33, v28
	v_dual_mul_f32 v41, v36, v41 :: v_dual_add_f32 v10, v10, v27
	v_fma_f32 v12, v18, v14, -v77
	v_dual_mul_f32 v18, v57, v49 :: v_dual_fmac_f32 v31, v35, v30
	v_mul_f32_e32 v14, v55, v47
	s_delay_alu instid0(VALU_DEP_4) | instskip(SKIP_3) | instid1(VALU_DEP_4)
	v_add_f32_e32 v10, v10, v29
	v_mul_f32_e32 v19, v56, v49
	v_add_f32_e32 v11, v11, v12
	v_dual_mul_f32 v12, v75, v67 :: v_dual_fmac_f32 v41, v37, v40
	v_add_f32_e32 v10, v10, v31
	v_mul_f32_e32 v47, v59, v51
	v_fmac_f32_e32 v43, v39, v42
	v_mul_f32_e32 v49, v58, v51
	s_delay_alu instid0(VALU_DEP_4) | instskip(SKIP_2) | instid1(VALU_DEP_4)
	v_dual_fmac_f32 v45, v53, v44 :: v_dual_add_f32 v10, v10, v41
	v_mul_f32_e32 v51, v69, v61
	v_fmac_f32_e32 v19, v57, v48
	v_fmac_f32_e32 v49, v59, v50
	v_mul_f32_e32 v23, v70, v63
	v_add_f32_e32 v10, v10, v43
	v_fma_f32 v20, v20, v24, -v78
	v_mul_f32_e32 v15, v74, v67
	v_fma_f32 v21, v22, v26, -v79
	s_delay_alu instid0(VALU_DEP_4) | instskip(SKIP_1) | instid1(VALU_DEP_4)
	v_dual_fmac_f32 v23, v71, v62 :: v_dual_add_f32 v10, v10, v45
	v_fma_f32 v14, v54, v46, -v14
	v_fmac_f32_e32 v15, v75, v66
	v_fma_f32 v18, v56, v48, -v18
	v_mul_f32_e32 v22, v71, v63
	v_add_f32_e32 v10, v10, v17
	v_mul_f32_e32 v61, v68, v61
	v_fma_f32 v17, v68, v60, -v51
	v_fma_f32 v12, v74, v66, -v12
	s_delay_alu instid0(VALU_DEP_3) | instskip(NEXT) | instid1(VALU_DEP_1)
	v_dual_add_f32 v10, v10, v19 :: v_dual_fmac_f32 v61, v69, v60
	v_add_f32_e32 v10, v10, v49
	s_delay_alu instid0(VALU_DEP_1) | instskip(NEXT) | instid1(VALU_DEP_1)
	v_add_f32_e32 v10, v10, v61
	v_dual_mul_f32 v13, v73, v65 :: v_dual_add_f32 v10, v10, v23
	s_delay_alu instid0(VALU_DEP_1) | instskip(NEXT) | instid1(VALU_DEP_2)
	v_fma_f32 v13, v72, v64, -v13
	v_add_f32_e32 v10, v10, v16
	v_add_f32_e32 v11, v11, v20
	v_fma_f32 v20, v32, v28, -v80
	s_delay_alu instid0(VALU_DEP_2) | instskip(SKIP_1) | instid1(VALU_DEP_2)
	v_dual_add_f32 v10, v10, v15 :: v_dual_add_f32 v11, v11, v21
	v_fma_f32 v21, v34, v30, -v81
	v_add_f32_e32 v11, v11, v20
	v_fma_f32 v20, v36, v40, -v82
	s_delay_alu instid0(VALU_DEP_2) | instskip(SKIP_1) | instid1(VALU_DEP_2)
	v_add_f32_e32 v11, v11, v21
	v_fma_f32 v21, v38, v42, -v83
	v_add_f32_e32 v11, v11, v20
	v_fma_f32 v20, v52, v44, -v84
	s_delay_alu instid0(VALU_DEP_2) | instskip(NEXT) | instid1(VALU_DEP_1)
	v_add_f32_e32 v11, v11, v21
	v_add_f32_e32 v11, v11, v20
	s_delay_alu instid0(VALU_DEP_1) | instskip(SKIP_1) | instid1(VALU_DEP_2)
	v_add_f32_e32 v11, v11, v14
	v_fma_f32 v14, v58, v50, -v47
	v_add_f32_e32 v11, v11, v18
	s_delay_alu instid0(VALU_DEP_1) | instskip(SKIP_1) | instid1(VALU_DEP_2)
	v_add_f32_e32 v11, v11, v14
	v_fma_f32 v14, v70, v62, -v22
	v_add_f32_e32 v11, v11, v17
	s_delay_alu instid0(VALU_DEP_1) | instskip(NEXT) | instid1(VALU_DEP_1)
	v_add_f32_e32 v11, v11, v14
	v_add_f32_e32 v11, v11, v13
	s_delay_alu instid0(VALU_DEP_1)
	v_add_f32_e32 v11, v11, v12
	s_cbranch_scc1 .LBB811_2
.LBB811_3:
	s_waitcnt lgkmcnt(0)
	s_mov_b32 s6, exec_lo
	v_cmpx_le_i32_e64 v0, v5
	s_cbranch_execz .LBB811_6
; %bb.4:
	s_load_b32 s0, s[0:1], 0x50
	v_ashrrev_i32_e32 v1, 31, v0
	v_mul_f32_e32 v7, s4, v10
	v_mul_f32_e32 v4, s5, v10
	s_delay_alu instid0(VALU_DEP_3) | instskip(NEXT) | instid1(VALU_DEP_3)
	v_lshlrev_b64 v[8:9], 3, v[0:1]
	v_fmac_f32_e32 v7, s5, v11
	s_delay_alu instid0(VALU_DEP_3) | instskip(SKIP_2) | instid1(VALU_DEP_1)
	v_fma_f32 v6, v11, s4, -v4
	s_waitcnt lgkmcnt(0)
	v_mad_i64_i32 v[2:3], null, s0, v5, 0
	v_lshlrev_b64 v[2:3], 3, v[2:3]
	s_delay_alu instid0(VALU_DEP_1) | instskip(NEXT) | instid1(VALU_DEP_2)
	v_add_co_u32 v1, vcc_lo, s2, v2
	v_add_co_ci_u32_e32 v2, vcc_lo, s3, v3, vcc_lo
	s_delay_alu instid0(VALU_DEP_2) | instskip(NEXT) | instid1(VALU_DEP_2)
	v_add_co_u32 v1, vcc_lo, v1, v8
	v_add_co_ci_u32_e32 v2, vcc_lo, v2, v9, vcc_lo
	v_cmp_eq_u32_e32 vcc_lo, v0, v5
	global_store_b64 v[1:2], v[6:7], off
	s_and_b32 exec_lo, exec_lo, vcc_lo
	s_cbranch_execz .LBB811_6
; %bb.5:
	v_mov_b32_e32 v0, 0
	global_store_b32 v[1:2], v0, off offset:4
.LBB811_6:
	s_nop 0
	s_sendmsg sendmsg(MSG_DEALLOC_VGPRS)
	s_endpgm
	.section	.rodata,"a",@progbits
	.p2align	6, 0x0
	.amdhsa_kernel _ZL41rocblas_syrkx_herkx_small_restrict_kernelIi19rocblas_complex_numIfELi16ELb1ELb1ELc84ELc85EKPKS1_KPS1_EviT_T0_PT6_S7_lSA_S7_lS8_PT7_S7_li
		.amdhsa_group_segment_fixed_size 4096
		.amdhsa_private_segment_fixed_size 0
		.amdhsa_kernarg_size 100
		.amdhsa_user_sgpr_count 13
		.amdhsa_user_sgpr_dispatch_ptr 0
		.amdhsa_user_sgpr_queue_ptr 0
		.amdhsa_user_sgpr_kernarg_segment_ptr 1
		.amdhsa_user_sgpr_dispatch_id 0
		.amdhsa_user_sgpr_private_segment_size 0
		.amdhsa_wavefront_size32 1
		.amdhsa_uses_dynamic_stack 0
		.amdhsa_enable_private_segment 0
		.amdhsa_system_sgpr_workgroup_id_x 1
		.amdhsa_system_sgpr_workgroup_id_y 1
		.amdhsa_system_sgpr_workgroup_id_z 1
		.amdhsa_system_sgpr_workgroup_info 0
		.amdhsa_system_vgpr_workitem_id 1
		.amdhsa_next_free_vgpr 85
		.amdhsa_next_free_sgpr 16
		.amdhsa_reserve_vcc 1
		.amdhsa_float_round_mode_32 0
		.amdhsa_float_round_mode_16_64 0
		.amdhsa_float_denorm_mode_32 3
		.amdhsa_float_denorm_mode_16_64 3
		.amdhsa_dx10_clamp 1
		.amdhsa_ieee_mode 1
		.amdhsa_fp16_overflow 0
		.amdhsa_workgroup_processor_mode 1
		.amdhsa_memory_ordered 1
		.amdhsa_forward_progress 0
		.amdhsa_shared_vgpr_count 0
		.amdhsa_exception_fp_ieee_invalid_op 0
		.amdhsa_exception_fp_denorm_src 0
		.amdhsa_exception_fp_ieee_div_zero 0
		.amdhsa_exception_fp_ieee_overflow 0
		.amdhsa_exception_fp_ieee_underflow 0
		.amdhsa_exception_fp_ieee_inexact 0
		.amdhsa_exception_int_div_zero 0
	.end_amdhsa_kernel
	.section	.text._ZL41rocblas_syrkx_herkx_small_restrict_kernelIi19rocblas_complex_numIfELi16ELb1ELb1ELc84ELc85EKPKS1_KPS1_EviT_T0_PT6_S7_lSA_S7_lS8_PT7_S7_li,"axG",@progbits,_ZL41rocblas_syrkx_herkx_small_restrict_kernelIi19rocblas_complex_numIfELi16ELb1ELb1ELc84ELc85EKPKS1_KPS1_EviT_T0_PT6_S7_lSA_S7_lS8_PT7_S7_li,comdat
.Lfunc_end811:
	.size	_ZL41rocblas_syrkx_herkx_small_restrict_kernelIi19rocblas_complex_numIfELi16ELb1ELb1ELc84ELc85EKPKS1_KPS1_EviT_T0_PT6_S7_lSA_S7_lS8_PT7_S7_li, .Lfunc_end811-_ZL41rocblas_syrkx_herkx_small_restrict_kernelIi19rocblas_complex_numIfELi16ELb1ELb1ELc84ELc85EKPKS1_KPS1_EviT_T0_PT6_S7_lSA_S7_lS8_PT7_S7_li
                                        ; -- End function
	.section	.AMDGPU.csdata,"",@progbits
; Kernel info:
; codeLenInByte = 1236
; NumSgprs: 18
; NumVgprs: 85
; ScratchSize: 0
; MemoryBound: 0
; FloatMode: 240
; IeeeMode: 1
; LDSByteSize: 4096 bytes/workgroup (compile time only)
; SGPRBlocks: 2
; VGPRBlocks: 10
; NumSGPRsForWavesPerEU: 18
; NumVGPRsForWavesPerEU: 85
; Occupancy: 16
; WaveLimiterHint : 1
; COMPUTE_PGM_RSRC2:SCRATCH_EN: 0
; COMPUTE_PGM_RSRC2:USER_SGPR: 13
; COMPUTE_PGM_RSRC2:TRAP_HANDLER: 0
; COMPUTE_PGM_RSRC2:TGID_X_EN: 1
; COMPUTE_PGM_RSRC2:TGID_Y_EN: 1
; COMPUTE_PGM_RSRC2:TGID_Z_EN: 1
; COMPUTE_PGM_RSRC2:TIDIG_COMP_CNT: 1
	.section	.text._ZL41rocblas_syrkx_herkx_small_restrict_kernelIi19rocblas_complex_numIfELi16ELb1ELb1ELc67ELc85EKPKS1_KPS1_EviT_T0_PT6_S7_lSA_S7_lS8_PT7_S7_li,"axG",@progbits,_ZL41rocblas_syrkx_herkx_small_restrict_kernelIi19rocblas_complex_numIfELi16ELb1ELb1ELc67ELc85EKPKS1_KPS1_EviT_T0_PT6_S7_lSA_S7_lS8_PT7_S7_li,comdat
	.globl	_ZL41rocblas_syrkx_herkx_small_restrict_kernelIi19rocblas_complex_numIfELi16ELb1ELb1ELc67ELc85EKPKS1_KPS1_EviT_T0_PT6_S7_lSA_S7_lS8_PT7_S7_li ; -- Begin function _ZL41rocblas_syrkx_herkx_small_restrict_kernelIi19rocblas_complex_numIfELi16ELb1ELb1ELc67ELc85EKPKS1_KPS1_EviT_T0_PT6_S7_lSA_S7_lS8_PT7_S7_li
	.p2align	8
	.type	_ZL41rocblas_syrkx_herkx_small_restrict_kernelIi19rocblas_complex_numIfELi16ELb1ELb1ELc67ELc85EKPKS1_KPS1_EviT_T0_PT6_S7_lSA_S7_lS8_PT7_S7_li,@function
_ZL41rocblas_syrkx_herkx_small_restrict_kernelIi19rocblas_complex_numIfELi16ELb1ELb1ELc67ELc85EKPKS1_KPS1_EviT_T0_PT6_S7_lSA_S7_lS8_PT7_S7_li: ; @_ZL41rocblas_syrkx_herkx_small_restrict_kernelIi19rocblas_complex_numIfELi16ELb1ELb1ELc67ELc85EKPKS1_KPS1_EviT_T0_PT6_S7_lSA_S7_lS8_PT7_S7_li
; %bb.0:
	s_load_b64 s[2:3], s[0:1], 0x48
	s_mov_b32 s8, s15
	s_mov_b32 s9, 0
	v_dual_mov_b32 v11, 0 :: v_dual_and_b32 v2, 0x3ff, v0
	s_lshl_b64 s[10:11], s[8:9], 3
	s_load_b32 s8, s[0:1], 0x4
	v_bfe_u32 v1, v0, 10, 10
	s_delay_alu instid0(VALU_DEP_2) | instskip(SKIP_1) | instid1(VALU_DEP_3)
	v_lshl_add_u32 v0, s13, 4, v2
	v_mov_b32_e32 v10, 0
	v_lshl_add_u32 v5, s14, 4, v1
	s_waitcnt lgkmcnt(0)
	s_add_u32 s2, s2, s10
	s_addc_u32 s3, s3, s11
	s_load_b128 s[4:7], s[0:1], 0x8
	s_load_b64 s[2:3], s[2:3], 0x0
	s_cmp_lt_i32 s8, 1
	s_cbranch_scc1 .LBB812_3
; %bb.1:
	s_clause 0x2
	s_load_b64 s[12:13], s[0:1], 0x28
	s_load_b32 s14, s[0:1], 0x18
	s_load_b32 s15, s[0:1], 0x30
	v_lshlrev_b32_e32 v8, 7, v1
	v_lshlrev_b32_e32 v6, 3, v2
	v_dual_mov_b32 v10, 0 :: v_dual_lshlrev_b32 v13, 3, v1
	s_waitcnt lgkmcnt(0)
	s_add_u32 s12, s12, s10
	s_addc_u32 s13, s13, s11
	s_add_u32 s6, s6, s10
	s_addc_u32 s7, s7, s11
	v_mad_i64_i32 v[3:4], null, s14, v0, 0
	s_load_b64 s[6:7], s[6:7], 0x0
	v_mad_i64_i32 v[11:12], null, s15, v5, 0
	s_load_b64 s[10:11], s[12:13], 0x0
	s_delay_alu instid0(VALU_DEP_2) | instskip(NEXT) | instid1(VALU_DEP_2)
	v_lshlrev_b64 v[1:2], 3, v[3:4]
	v_lshlrev_b64 v[3:4], 3, v[11:12]
	s_delay_alu instid0(VALU_DEP_2) | instskip(NEXT) | instid1(VALU_DEP_3)
	v_add_co_u32 v1, vcc_lo, v1, v13
	v_add_co_ci_u32_e32 v2, vcc_lo, 0, v2, vcc_lo
	s_delay_alu instid0(VALU_DEP_3) | instskip(NEXT) | instid1(VALU_DEP_4)
	v_add_co_u32 v3, vcc_lo, v3, v6
	v_add_co_ci_u32_e32 v4, vcc_lo, 0, v4, vcc_lo
	s_waitcnt lgkmcnt(0)
	v_add_co_u32 v11, vcc_lo, v1, s6
	v_add_co_ci_u32_e32 v12, vcc_lo, s7, v2, vcc_lo
	v_add_co_u32 v1, vcc_lo, s10, v3
	v_add_co_ci_u32_e32 v2, vcc_lo, s11, v4, vcc_lo
	s_delay_alu instid0(VALU_DEP_4) | instskip(SKIP_4) | instid1(VALU_DEP_3)
	v_add_co_u32 v3, vcc_lo, v11, 4
	v_mov_b32_e32 v11, 0
	v_add_nc_u32_e32 v7, 0x800, v8
	v_add_nc_u32_e32 v8, v6, v8
	v_add_co_ci_u32_e32 v4, vcc_lo, 0, v12, vcc_lo
	v_add_nc_u32_e32 v9, v7, v6
.LBB812_2:                              ; =>This Inner Loop Header: Depth=1
	global_load_b64 v[12:13], v[3:4], off offset:-4
	global_load_b64 v[14:15], v[1:2], off
	v_add_co_u32 v1, vcc_lo, 0x80, v1
	v_add_co_ci_u32_e32 v2, vcc_lo, 0, v2, vcc_lo
	v_add_co_u32 v3, vcc_lo, 0x80, v3
	v_add_co_ci_u32_e32 v4, vcc_lo, 0, v4, vcc_lo
	s_add_i32 s9, s9, 16
	s_delay_alu instid0(SALU_CYCLE_1)
	s_cmp_lt_i32 s9, s8
	s_waitcnt vmcnt(1)
	v_xor_b32_e32 v13, 0x80000000, v13
	ds_store_b64 v8, v[12:13]
	s_waitcnt vmcnt(0)
	ds_store_b64 v9, v[14:15]
	s_waitcnt lgkmcnt(0)
	s_barrier
	buffer_gl0_inv
	ds_load_2addr_b64 v[12:15], v6 offset1:16
	ds_load_b128 v[16:19], v7
	ds_load_b128 v[20:23], v7 offset:16
	ds_load_2addr_b64 v[24:27], v6 offset0:32 offset1:48
	ds_load_2addr_b64 v[28:31], v6 offset0:64 offset1:80
	ds_load_b128 v[32:35], v7 offset:32
	ds_load_b128 v[36:39], v7 offset:48
	ds_load_2addr_b64 v[40:43], v6 offset0:96 offset1:112
	ds_load_2addr_b64 v[44:47], v6 offset0:128 offset1:144
	;; [unrolled: 1-line block ×3, first 2 shown]
	ds_load_b128 v[52:55], v7 offset:64
	ds_load_b128 v[56:59], v7 offset:80
	ds_load_2addr_b64 v[60:63], v6 offset0:192 offset1:208
	ds_load_2addr_b64 v[64:67], v6 offset0:224 offset1:240
	ds_load_b128 v[68:71], v7 offset:96
	ds_load_b128 v[72:75], v7 offset:112
	s_waitcnt lgkmcnt(0)
	s_barrier
	buffer_gl0_inv
	v_dual_mul_f32 v76, v17, v13 :: v_dual_mul_f32 v77, v19, v15
	v_mul_f32_e32 v13, v16, v13
	v_dual_mul_f32 v15, v18, v15 :: v_dual_mul_f32 v78, v21, v25
	v_mul_f32_e32 v25, v20, v25
	s_delay_alu instid0(VALU_DEP_4) | instskip(SKIP_1) | instid1(VALU_DEP_4)
	v_fma_f32 v16, v16, v12, -v76
	v_dual_mul_f32 v79, v23, v27 :: v_dual_mul_f32 v80, v33, v29
	v_fmac_f32_e32 v15, v19, v14
	s_delay_alu instid0(VALU_DEP_4) | instskip(SKIP_4) | instid1(VALU_DEP_4)
	v_fmac_f32_e32 v25, v21, v24
	v_fmac_f32_e32 v13, v17, v12
	v_mul_f32_e32 v83, v39, v43
	v_dual_mul_f32 v27, v22, v27 :: v_dual_mul_f32 v82, v37, v41
	v_mul_f32_e32 v43, v38, v43
	v_add_f32_e32 v10, v10, v13
	v_mul_f32_e32 v29, v32, v29
	v_dual_add_f32 v11, v11, v16 :: v_dual_mul_f32 v16, v72, v65
	v_mul_f32_e32 v17, v54, v47
	s_delay_alu instid0(VALU_DEP_4) | instskip(SKIP_1) | instid1(VALU_DEP_3)
	v_add_f32_e32 v10, v10, v15
	v_dual_mul_f32 v81, v35, v31 :: v_dual_mul_f32 v84, v53, v45
	v_dual_fmac_f32 v16, v73, v64 :: v_dual_fmac_f32 v17, v55, v46
	s_delay_alu instid0(VALU_DEP_3) | instskip(SKIP_3) | instid1(VALU_DEP_4)
	v_dual_fmac_f32 v27, v23, v26 :: v_dual_add_f32 v10, v10, v25
	v_mul_f32_e32 v31, v34, v31
	v_mul_f32_e32 v45, v52, v45
	v_fmac_f32_e32 v29, v33, v28
	v_dual_mul_f32 v41, v36, v41 :: v_dual_add_f32 v10, v10, v27
	v_fma_f32 v12, v18, v14, -v77
	v_dual_mul_f32 v18, v57, v49 :: v_dual_fmac_f32 v31, v35, v30
	v_mul_f32_e32 v14, v55, v47
	s_delay_alu instid0(VALU_DEP_4) | instskip(SKIP_3) | instid1(VALU_DEP_4)
	v_add_f32_e32 v10, v10, v29
	v_mul_f32_e32 v19, v56, v49
	v_add_f32_e32 v11, v11, v12
	v_dual_mul_f32 v12, v75, v67 :: v_dual_fmac_f32 v41, v37, v40
	v_add_f32_e32 v10, v10, v31
	v_mul_f32_e32 v47, v59, v51
	v_fmac_f32_e32 v43, v39, v42
	v_mul_f32_e32 v49, v58, v51
	s_delay_alu instid0(VALU_DEP_4) | instskip(SKIP_2) | instid1(VALU_DEP_4)
	v_dual_fmac_f32 v45, v53, v44 :: v_dual_add_f32 v10, v10, v41
	v_mul_f32_e32 v51, v69, v61
	v_fmac_f32_e32 v19, v57, v48
	v_fmac_f32_e32 v49, v59, v50
	v_mul_f32_e32 v23, v70, v63
	v_add_f32_e32 v10, v10, v43
	v_fma_f32 v20, v20, v24, -v78
	v_mul_f32_e32 v15, v74, v67
	v_fma_f32 v21, v22, v26, -v79
	s_delay_alu instid0(VALU_DEP_4) | instskip(SKIP_1) | instid1(VALU_DEP_4)
	v_dual_fmac_f32 v23, v71, v62 :: v_dual_add_f32 v10, v10, v45
	v_fma_f32 v14, v54, v46, -v14
	v_fmac_f32_e32 v15, v75, v66
	v_fma_f32 v18, v56, v48, -v18
	v_mul_f32_e32 v22, v71, v63
	v_add_f32_e32 v10, v10, v17
	v_mul_f32_e32 v61, v68, v61
	v_fma_f32 v17, v68, v60, -v51
	v_fma_f32 v12, v74, v66, -v12
	s_delay_alu instid0(VALU_DEP_3) | instskip(NEXT) | instid1(VALU_DEP_1)
	v_dual_add_f32 v10, v10, v19 :: v_dual_fmac_f32 v61, v69, v60
	v_add_f32_e32 v10, v10, v49
	s_delay_alu instid0(VALU_DEP_1) | instskip(NEXT) | instid1(VALU_DEP_1)
	v_add_f32_e32 v10, v10, v61
	v_dual_mul_f32 v13, v73, v65 :: v_dual_add_f32 v10, v10, v23
	s_delay_alu instid0(VALU_DEP_1) | instskip(NEXT) | instid1(VALU_DEP_2)
	v_fma_f32 v13, v72, v64, -v13
	v_add_f32_e32 v10, v10, v16
	v_add_f32_e32 v11, v11, v20
	v_fma_f32 v20, v32, v28, -v80
	s_delay_alu instid0(VALU_DEP_2) | instskip(SKIP_1) | instid1(VALU_DEP_2)
	v_dual_add_f32 v10, v10, v15 :: v_dual_add_f32 v11, v11, v21
	v_fma_f32 v21, v34, v30, -v81
	v_add_f32_e32 v11, v11, v20
	v_fma_f32 v20, v36, v40, -v82
	s_delay_alu instid0(VALU_DEP_2) | instskip(SKIP_1) | instid1(VALU_DEP_2)
	v_add_f32_e32 v11, v11, v21
	v_fma_f32 v21, v38, v42, -v83
	v_add_f32_e32 v11, v11, v20
	v_fma_f32 v20, v52, v44, -v84
	s_delay_alu instid0(VALU_DEP_2) | instskip(NEXT) | instid1(VALU_DEP_1)
	v_add_f32_e32 v11, v11, v21
	v_add_f32_e32 v11, v11, v20
	s_delay_alu instid0(VALU_DEP_1) | instskip(SKIP_1) | instid1(VALU_DEP_2)
	v_add_f32_e32 v11, v11, v14
	v_fma_f32 v14, v58, v50, -v47
	v_add_f32_e32 v11, v11, v18
	s_delay_alu instid0(VALU_DEP_1) | instskip(SKIP_1) | instid1(VALU_DEP_2)
	v_add_f32_e32 v11, v11, v14
	v_fma_f32 v14, v70, v62, -v22
	v_add_f32_e32 v11, v11, v17
	s_delay_alu instid0(VALU_DEP_1) | instskip(NEXT) | instid1(VALU_DEP_1)
	v_add_f32_e32 v11, v11, v14
	v_add_f32_e32 v11, v11, v13
	s_delay_alu instid0(VALU_DEP_1)
	v_add_f32_e32 v11, v11, v12
	s_cbranch_scc1 .LBB812_2
.LBB812_3:
	s_waitcnt lgkmcnt(0)
	s_mov_b32 s6, exec_lo
	v_cmpx_le_i32_e64 v0, v5
	s_cbranch_execz .LBB812_6
; %bb.4:
	s_load_b32 s0, s[0:1], 0x50
	v_ashrrev_i32_e32 v1, 31, v0
	v_mul_f32_e32 v7, s4, v10
	v_mul_f32_e32 v4, s5, v10
	s_delay_alu instid0(VALU_DEP_3) | instskip(NEXT) | instid1(VALU_DEP_3)
	v_lshlrev_b64 v[8:9], 3, v[0:1]
	v_fmac_f32_e32 v7, s5, v11
	s_delay_alu instid0(VALU_DEP_3) | instskip(SKIP_2) | instid1(VALU_DEP_1)
	v_fma_f32 v6, v11, s4, -v4
	s_waitcnt lgkmcnt(0)
	v_mad_i64_i32 v[2:3], null, s0, v5, 0
	v_lshlrev_b64 v[2:3], 3, v[2:3]
	s_delay_alu instid0(VALU_DEP_1) | instskip(NEXT) | instid1(VALU_DEP_2)
	v_add_co_u32 v1, vcc_lo, s2, v2
	v_add_co_ci_u32_e32 v2, vcc_lo, s3, v3, vcc_lo
	s_delay_alu instid0(VALU_DEP_2) | instskip(NEXT) | instid1(VALU_DEP_2)
	v_add_co_u32 v1, vcc_lo, v1, v8
	v_add_co_ci_u32_e32 v2, vcc_lo, v2, v9, vcc_lo
	v_cmp_eq_u32_e32 vcc_lo, v0, v5
	global_store_b64 v[1:2], v[6:7], off
	s_and_b32 exec_lo, exec_lo, vcc_lo
	s_cbranch_execz .LBB812_6
; %bb.5:
	v_mov_b32_e32 v0, 0
	global_store_b32 v[1:2], v0, off offset:4
.LBB812_6:
	s_nop 0
	s_sendmsg sendmsg(MSG_DEALLOC_VGPRS)
	s_endpgm
	.section	.rodata,"a",@progbits
	.p2align	6, 0x0
	.amdhsa_kernel _ZL41rocblas_syrkx_herkx_small_restrict_kernelIi19rocblas_complex_numIfELi16ELb1ELb1ELc67ELc85EKPKS1_KPS1_EviT_T0_PT6_S7_lSA_S7_lS8_PT7_S7_li
		.amdhsa_group_segment_fixed_size 4096
		.amdhsa_private_segment_fixed_size 0
		.amdhsa_kernarg_size 100
		.amdhsa_user_sgpr_count 13
		.amdhsa_user_sgpr_dispatch_ptr 0
		.amdhsa_user_sgpr_queue_ptr 0
		.amdhsa_user_sgpr_kernarg_segment_ptr 1
		.amdhsa_user_sgpr_dispatch_id 0
		.amdhsa_user_sgpr_private_segment_size 0
		.amdhsa_wavefront_size32 1
		.amdhsa_uses_dynamic_stack 0
		.amdhsa_enable_private_segment 0
		.amdhsa_system_sgpr_workgroup_id_x 1
		.amdhsa_system_sgpr_workgroup_id_y 1
		.amdhsa_system_sgpr_workgroup_id_z 1
		.amdhsa_system_sgpr_workgroup_info 0
		.amdhsa_system_vgpr_workitem_id 1
		.amdhsa_next_free_vgpr 85
		.amdhsa_next_free_sgpr 16
		.amdhsa_reserve_vcc 1
		.amdhsa_float_round_mode_32 0
		.amdhsa_float_round_mode_16_64 0
		.amdhsa_float_denorm_mode_32 3
		.amdhsa_float_denorm_mode_16_64 3
		.amdhsa_dx10_clamp 1
		.amdhsa_ieee_mode 1
		.amdhsa_fp16_overflow 0
		.amdhsa_workgroup_processor_mode 1
		.amdhsa_memory_ordered 1
		.amdhsa_forward_progress 0
		.amdhsa_shared_vgpr_count 0
		.amdhsa_exception_fp_ieee_invalid_op 0
		.amdhsa_exception_fp_denorm_src 0
		.amdhsa_exception_fp_ieee_div_zero 0
		.amdhsa_exception_fp_ieee_overflow 0
		.amdhsa_exception_fp_ieee_underflow 0
		.amdhsa_exception_fp_ieee_inexact 0
		.amdhsa_exception_int_div_zero 0
	.end_amdhsa_kernel
	.section	.text._ZL41rocblas_syrkx_herkx_small_restrict_kernelIi19rocblas_complex_numIfELi16ELb1ELb1ELc67ELc85EKPKS1_KPS1_EviT_T0_PT6_S7_lSA_S7_lS8_PT7_S7_li,"axG",@progbits,_ZL41rocblas_syrkx_herkx_small_restrict_kernelIi19rocblas_complex_numIfELi16ELb1ELb1ELc67ELc85EKPKS1_KPS1_EviT_T0_PT6_S7_lSA_S7_lS8_PT7_S7_li,comdat
.Lfunc_end812:
	.size	_ZL41rocblas_syrkx_herkx_small_restrict_kernelIi19rocblas_complex_numIfELi16ELb1ELb1ELc67ELc85EKPKS1_KPS1_EviT_T0_PT6_S7_lSA_S7_lS8_PT7_S7_li, .Lfunc_end812-_ZL41rocblas_syrkx_herkx_small_restrict_kernelIi19rocblas_complex_numIfELi16ELb1ELb1ELc67ELc85EKPKS1_KPS1_EviT_T0_PT6_S7_lSA_S7_lS8_PT7_S7_li
                                        ; -- End function
	.section	.AMDGPU.csdata,"",@progbits
; Kernel info:
; codeLenInByte = 1256
; NumSgprs: 18
; NumVgprs: 85
; ScratchSize: 0
; MemoryBound: 0
; FloatMode: 240
; IeeeMode: 1
; LDSByteSize: 4096 bytes/workgroup (compile time only)
; SGPRBlocks: 2
; VGPRBlocks: 10
; NumSGPRsForWavesPerEU: 18
; NumVGPRsForWavesPerEU: 85
; Occupancy: 16
; WaveLimiterHint : 1
; COMPUTE_PGM_RSRC2:SCRATCH_EN: 0
; COMPUTE_PGM_RSRC2:USER_SGPR: 13
; COMPUTE_PGM_RSRC2:TRAP_HANDLER: 0
; COMPUTE_PGM_RSRC2:TGID_X_EN: 1
; COMPUTE_PGM_RSRC2:TGID_Y_EN: 1
; COMPUTE_PGM_RSRC2:TGID_Z_EN: 1
; COMPUTE_PGM_RSRC2:TIDIG_COMP_CNT: 1
	.section	.text._ZL41rocblas_syrkx_herkx_small_restrict_kernelIi19rocblas_complex_numIfELi16ELb1ELb1ELc78ELc85EKPKS1_KPS1_EviT_T0_PT6_S7_lSA_S7_lS8_PT7_S7_li,"axG",@progbits,_ZL41rocblas_syrkx_herkx_small_restrict_kernelIi19rocblas_complex_numIfELi16ELb1ELb1ELc78ELc85EKPKS1_KPS1_EviT_T0_PT6_S7_lSA_S7_lS8_PT7_S7_li,comdat
	.globl	_ZL41rocblas_syrkx_herkx_small_restrict_kernelIi19rocblas_complex_numIfELi16ELb1ELb1ELc78ELc85EKPKS1_KPS1_EviT_T0_PT6_S7_lSA_S7_lS8_PT7_S7_li ; -- Begin function _ZL41rocblas_syrkx_herkx_small_restrict_kernelIi19rocblas_complex_numIfELi16ELb1ELb1ELc78ELc85EKPKS1_KPS1_EviT_T0_PT6_S7_lSA_S7_lS8_PT7_S7_li
	.p2align	8
	.type	_ZL41rocblas_syrkx_herkx_small_restrict_kernelIi19rocblas_complex_numIfELi16ELb1ELb1ELc78ELc85EKPKS1_KPS1_EviT_T0_PT6_S7_lSA_S7_lS8_PT7_S7_li,@function
_ZL41rocblas_syrkx_herkx_small_restrict_kernelIi19rocblas_complex_numIfELi16ELb1ELb1ELc78ELc85EKPKS1_KPS1_EviT_T0_PT6_S7_lSA_S7_lS8_PT7_S7_li: ; @_ZL41rocblas_syrkx_herkx_small_restrict_kernelIi19rocblas_complex_numIfELi16ELb1ELb1ELc78ELc85EKPKS1_KPS1_EviT_T0_PT6_S7_lSA_S7_lS8_PT7_S7_li
; %bb.0:
	s_load_b64 s[2:3], s[0:1], 0x48
	s_mov_b32 s8, s15
	s_mov_b32 s9, 0
	v_dual_mov_b32 v12, 0 :: v_dual_and_b32 v5, 0x3ff, v0
	s_lshl_b64 s[10:11], s[8:9], 3
	s_load_b32 s8, s[0:1], 0x4
	v_bfe_u32 v4, v0, 10, 10
	s_delay_alu instid0(VALU_DEP_2) | instskip(SKIP_1) | instid1(VALU_DEP_3)
	v_lshl_add_u32 v0, s13, 4, v5
	v_mov_b32_e32 v11, 0
	v_lshl_add_u32 v2, s14, 4, v4
	s_delay_alu instid0(VALU_DEP_3)
	v_ashrrev_i32_e32 v1, 31, v0
	s_waitcnt lgkmcnt(0)
	s_add_u32 s2, s2, s10
	s_addc_u32 s3, s3, s11
	s_load_b128 s[4:7], s[0:1], 0x8
	s_load_b64 s[2:3], s[2:3], 0x0
	s_cmp_lt_i32 s8, 1
	s_cbranch_scc1 .LBB813_3
; %bb.1:
	s_clause 0x2
	s_load_b32 s12, s[0:1], 0x18
	s_load_b32 s14, s[0:1], 0x30
	s_load_b64 s[16:17], s[0:1], 0x28
	v_lshlrev_b32_e32 v7, 3, v5
	v_ashrrev_i32_e32 v3, 31, v2
	v_dual_mov_b32 v11, 0 :: v_dual_lshlrev_b32 v16, 7, v4
	v_lshlrev_b64 v[12:13], 3, v[0:1]
	s_delay_alu instid0(VALU_DEP_2)
	v_add_nc_u32_e32 v8, 0x800, v16
	s_waitcnt lgkmcnt(0)
	s_ashr_i32 s13, s12, 31
	s_ashr_i32 s15, s14, 31
	s_add_u32 s16, s16, s10
	s_addc_u32 s17, s17, s11
	v_mad_i64_i32 v[9:10], null, s14, v5, 0
	s_load_b64 s[16:17], s[16:17], 0x0
	s_add_u32 s6, s6, s10
	s_addc_u32 s7, s7, s11
	v_mad_i64_i32 v[5:6], null, s12, v4, 0
	s_load_b64 s[6:7], s[6:7], 0x0
	v_lshlrev_b64 v[3:4], 3, v[2:3]
	s_delay_alu instid0(VALU_DEP_3) | instskip(SKIP_1) | instid1(VALU_DEP_3)
	v_lshlrev_b64 v[14:15], 3, v[9:10]
	s_lshl_b64 s[10:11], s[12:13], 7
	v_lshlrev_b64 v[5:6], 3, v[5:6]
	s_delay_alu instid0(VALU_DEP_2) | instskip(NEXT) | instid1(VALU_DEP_3)
	v_add_co_u32 v3, vcc_lo, v14, v3
	v_add_co_ci_u32_e32 v4, vcc_lo, v15, v4, vcc_lo
	s_delay_alu instid0(VALU_DEP_3) | instskip(NEXT) | instid1(VALU_DEP_4)
	v_add_co_u32 v5, vcc_lo, v5, v12
	v_add_co_ci_u32_e32 v6, vcc_lo, v6, v13, vcc_lo
	s_waitcnt lgkmcnt(0)
	v_add_co_u32 v12, vcc_lo, v3, s16
	v_add_co_ci_u32_e32 v13, vcc_lo, s17, v4, vcc_lo
	v_add_co_u32 v3, vcc_lo, s6, v5
	v_add_co_ci_u32_e32 v4, vcc_lo, s7, v6, vcc_lo
	s_delay_alu instid0(VALU_DEP_4) | instskip(NEXT) | instid1(VALU_DEP_4)
	v_add_co_u32 v5, vcc_lo, v12, 4
	v_add_co_ci_u32_e32 v6, vcc_lo, 0, v13, vcc_lo
	v_dual_mov_b32 v12, 0 :: v_dual_add_nc_u32 v9, v7, v16
	v_add_nc_u32_e32 v10, v8, v7
	s_lshl_b64 s[6:7], s[14:15], 7
.LBB813_2:                              ; =>This Inner Loop Header: Depth=1
	global_load_b64 v[13:14], v[5:6], off offset:-4
	global_load_b64 v[15:16], v[3:4], off
	v_add_co_u32 v5, vcc_lo, v5, s6
	v_add_co_ci_u32_e32 v6, vcc_lo, s7, v6, vcc_lo
	v_add_co_u32 v3, vcc_lo, v3, s10
	v_add_co_ci_u32_e32 v4, vcc_lo, s11, v4, vcc_lo
	s_add_i32 s9, s9, 16
	s_delay_alu instid0(SALU_CYCLE_1)
	s_cmp_lt_i32 s9, s8
	s_waitcnt vmcnt(1)
	v_xor_b32_e32 v14, 0x80000000, v14
	s_waitcnt vmcnt(0)
	ds_store_b64 v9, v[15:16]
	ds_store_b64 v10, v[13:14]
	s_waitcnt lgkmcnt(0)
	s_barrier
	buffer_gl0_inv
	ds_load_2addr_b64 v[13:16], v7 offset1:16
	ds_load_b128 v[17:20], v8
	ds_load_b128 v[21:24], v8 offset:16
	ds_load_2addr_b64 v[25:28], v7 offset0:32 offset1:48
	ds_load_2addr_b64 v[29:32], v7 offset0:64 offset1:80
	ds_load_b128 v[33:36], v8 offset:32
	ds_load_b128 v[37:40], v8 offset:48
	ds_load_2addr_b64 v[41:44], v7 offset0:96 offset1:112
	ds_load_2addr_b64 v[45:48], v7 offset0:128 offset1:144
	;; [unrolled: 1-line block ×3, first 2 shown]
	ds_load_b128 v[53:56], v8 offset:64
	ds_load_b128 v[57:60], v8 offset:80
	ds_load_2addr_b64 v[61:64], v7 offset0:192 offset1:208
	ds_load_2addr_b64 v[65:68], v7 offset0:224 offset1:240
	ds_load_b128 v[69:72], v8 offset:96
	ds_load_b128 v[73:76], v8 offset:112
	s_waitcnt lgkmcnt(0)
	s_barrier
	buffer_gl0_inv
	v_dual_mul_f32 v77, v18, v14 :: v_dual_mul_f32 v78, v20, v16
	v_mul_f32_e32 v14, v17, v14
	v_dual_mul_f32 v16, v19, v16 :: v_dual_mul_f32 v79, v22, v26
	v_mul_f32_e32 v26, v21, v26
	s_delay_alu instid0(VALU_DEP_4) | instskip(SKIP_1) | instid1(VALU_DEP_4)
	v_fma_f32 v17, v17, v13, -v77
	v_dual_mul_f32 v80, v24, v28 :: v_dual_mul_f32 v81, v34, v30
	v_fmac_f32_e32 v16, v20, v15
	s_delay_alu instid0(VALU_DEP_4) | instskip(SKIP_4) | instid1(VALU_DEP_4)
	v_fmac_f32_e32 v26, v22, v25
	v_fmac_f32_e32 v14, v18, v13
	v_mul_f32_e32 v84, v40, v44
	v_dual_mul_f32 v28, v23, v28 :: v_dual_mul_f32 v83, v38, v42
	v_mul_f32_e32 v44, v39, v44
	v_add_f32_e32 v11, v11, v14
	v_mul_f32_e32 v30, v33, v30
	v_dual_add_f32 v12, v12, v17 :: v_dual_mul_f32 v17, v73, v66
	v_mul_f32_e32 v18, v55, v48
	s_delay_alu instid0(VALU_DEP_4) | instskip(SKIP_1) | instid1(VALU_DEP_3)
	v_add_f32_e32 v11, v11, v16
	v_dual_mul_f32 v82, v36, v32 :: v_dual_mul_f32 v85, v54, v46
	v_dual_fmac_f32 v17, v74, v65 :: v_dual_fmac_f32 v18, v56, v47
	s_delay_alu instid0(VALU_DEP_3) | instskip(SKIP_3) | instid1(VALU_DEP_4)
	v_dual_fmac_f32 v28, v24, v27 :: v_dual_add_f32 v11, v11, v26
	v_mul_f32_e32 v32, v35, v32
	v_mul_f32_e32 v46, v53, v46
	v_fmac_f32_e32 v30, v34, v29
	v_dual_mul_f32 v42, v37, v42 :: v_dual_add_f32 v11, v11, v28
	v_fma_f32 v13, v19, v15, -v78
	v_dual_mul_f32 v19, v58, v50 :: v_dual_fmac_f32 v32, v36, v31
	v_mul_f32_e32 v15, v56, v48
	s_delay_alu instid0(VALU_DEP_4) | instskip(SKIP_3) | instid1(VALU_DEP_4)
	v_add_f32_e32 v11, v11, v30
	v_mul_f32_e32 v20, v57, v50
	v_add_f32_e32 v12, v12, v13
	v_dual_mul_f32 v13, v76, v68 :: v_dual_fmac_f32 v42, v38, v41
	v_add_f32_e32 v11, v11, v32
	v_mul_f32_e32 v48, v60, v52
	v_fmac_f32_e32 v44, v40, v43
	v_mul_f32_e32 v50, v59, v52
	s_delay_alu instid0(VALU_DEP_4) | instskip(SKIP_2) | instid1(VALU_DEP_4)
	v_dual_fmac_f32 v46, v54, v45 :: v_dual_add_f32 v11, v11, v42
	v_mul_f32_e32 v52, v70, v62
	v_fmac_f32_e32 v20, v58, v49
	v_fmac_f32_e32 v50, v60, v51
	v_mul_f32_e32 v24, v71, v64
	v_add_f32_e32 v11, v11, v44
	v_fma_f32 v21, v21, v25, -v79
	v_mul_f32_e32 v16, v75, v68
	v_fma_f32 v22, v23, v27, -v80
	s_delay_alu instid0(VALU_DEP_4) | instskip(SKIP_1) | instid1(VALU_DEP_4)
	v_dual_fmac_f32 v24, v72, v63 :: v_dual_add_f32 v11, v11, v46
	v_fma_f32 v15, v55, v47, -v15
	v_fmac_f32_e32 v16, v76, v67
	v_fma_f32 v19, v57, v49, -v19
	v_mul_f32_e32 v23, v72, v64
	v_add_f32_e32 v11, v11, v18
	v_mul_f32_e32 v62, v69, v62
	v_fma_f32 v18, v69, v61, -v52
	v_fma_f32 v13, v75, v67, -v13
	s_delay_alu instid0(VALU_DEP_3) | instskip(NEXT) | instid1(VALU_DEP_1)
	v_dual_add_f32 v11, v11, v20 :: v_dual_fmac_f32 v62, v70, v61
	v_add_f32_e32 v11, v11, v50
	s_delay_alu instid0(VALU_DEP_1) | instskip(NEXT) | instid1(VALU_DEP_1)
	v_add_f32_e32 v11, v11, v62
	v_dual_mul_f32 v14, v74, v66 :: v_dual_add_f32 v11, v11, v24
	s_delay_alu instid0(VALU_DEP_1) | instskip(NEXT) | instid1(VALU_DEP_2)
	v_fma_f32 v14, v73, v65, -v14
	v_add_f32_e32 v11, v11, v17
	v_add_f32_e32 v12, v12, v21
	v_fma_f32 v21, v33, v29, -v81
	s_delay_alu instid0(VALU_DEP_2) | instskip(SKIP_1) | instid1(VALU_DEP_2)
	v_dual_add_f32 v11, v11, v16 :: v_dual_add_f32 v12, v12, v22
	v_fma_f32 v22, v35, v31, -v82
	v_add_f32_e32 v12, v12, v21
	v_fma_f32 v21, v37, v41, -v83
	s_delay_alu instid0(VALU_DEP_2) | instskip(SKIP_1) | instid1(VALU_DEP_2)
	v_add_f32_e32 v12, v12, v22
	v_fma_f32 v22, v39, v43, -v84
	v_add_f32_e32 v12, v12, v21
	v_fma_f32 v21, v53, v45, -v85
	s_delay_alu instid0(VALU_DEP_2) | instskip(NEXT) | instid1(VALU_DEP_1)
	v_add_f32_e32 v12, v12, v22
	v_add_f32_e32 v12, v12, v21
	s_delay_alu instid0(VALU_DEP_1) | instskip(SKIP_1) | instid1(VALU_DEP_2)
	v_add_f32_e32 v12, v12, v15
	v_fma_f32 v15, v59, v51, -v48
	v_add_f32_e32 v12, v12, v19
	s_delay_alu instid0(VALU_DEP_1) | instskip(SKIP_1) | instid1(VALU_DEP_2)
	v_add_f32_e32 v12, v12, v15
	v_fma_f32 v15, v71, v63, -v23
	v_add_f32_e32 v12, v12, v18
	s_delay_alu instid0(VALU_DEP_1) | instskip(NEXT) | instid1(VALU_DEP_1)
	v_add_f32_e32 v12, v12, v15
	v_add_f32_e32 v12, v12, v14
	s_delay_alu instid0(VALU_DEP_1)
	v_add_f32_e32 v12, v12, v13
	s_cbranch_scc1 .LBB813_2
.LBB813_3:
	s_waitcnt lgkmcnt(0)
	s_mov_b32 s6, exec_lo
	v_cmpx_le_i32_e64 v0, v2
	s_cbranch_execz .LBB813_6
; %bb.4:
	s_load_b32 s0, s[0:1], 0x50
	v_lshlrev_b64 v[7:8], 3, v[0:1]
	v_mul_f32_e32 v6, s4, v11
	s_delay_alu instid0(VALU_DEP_1) | instskip(NEXT) | instid1(VALU_DEP_1)
	v_dual_mul_f32 v5, s5, v11 :: v_dual_fmac_f32 v6, s5, v12
	v_fma_f32 v5, v12, s4, -v5
	s_waitcnt lgkmcnt(0)
	v_mad_i64_i32 v[3:4], null, s0, v2, 0
	s_delay_alu instid0(VALU_DEP_1) | instskip(NEXT) | instid1(VALU_DEP_1)
	v_lshlrev_b64 v[3:4], 3, v[3:4]
	v_add_co_u32 v1, vcc_lo, s2, v3
	s_delay_alu instid0(VALU_DEP_2) | instskip(NEXT) | instid1(VALU_DEP_2)
	v_add_co_ci_u32_e32 v4, vcc_lo, s3, v4, vcc_lo
	v_add_co_u32 v3, vcc_lo, v1, v7
	s_delay_alu instid0(VALU_DEP_2)
	v_add_co_ci_u32_e32 v4, vcc_lo, v4, v8, vcc_lo
	v_cmp_eq_u32_e32 vcc_lo, v0, v2
	global_store_b64 v[3:4], v[5:6], off
	s_and_b32 exec_lo, exec_lo, vcc_lo
	s_cbranch_execz .LBB813_6
; %bb.5:
	v_mov_b32_e32 v0, 0
	global_store_b32 v[3:4], v0, off offset:4
.LBB813_6:
	s_nop 0
	s_sendmsg sendmsg(MSG_DEALLOC_VGPRS)
	s_endpgm
	.section	.rodata,"a",@progbits
	.p2align	6, 0x0
	.amdhsa_kernel _ZL41rocblas_syrkx_herkx_small_restrict_kernelIi19rocblas_complex_numIfELi16ELb1ELb1ELc78ELc85EKPKS1_KPS1_EviT_T0_PT6_S7_lSA_S7_lS8_PT7_S7_li
		.amdhsa_group_segment_fixed_size 4096
		.amdhsa_private_segment_fixed_size 0
		.amdhsa_kernarg_size 100
		.amdhsa_user_sgpr_count 13
		.amdhsa_user_sgpr_dispatch_ptr 0
		.amdhsa_user_sgpr_queue_ptr 0
		.amdhsa_user_sgpr_kernarg_segment_ptr 1
		.amdhsa_user_sgpr_dispatch_id 0
		.amdhsa_user_sgpr_private_segment_size 0
		.amdhsa_wavefront_size32 1
		.amdhsa_uses_dynamic_stack 0
		.amdhsa_enable_private_segment 0
		.amdhsa_system_sgpr_workgroup_id_x 1
		.amdhsa_system_sgpr_workgroup_id_y 1
		.amdhsa_system_sgpr_workgroup_id_z 1
		.amdhsa_system_sgpr_workgroup_info 0
		.amdhsa_system_vgpr_workitem_id 1
		.amdhsa_next_free_vgpr 86
		.amdhsa_next_free_sgpr 18
		.amdhsa_reserve_vcc 1
		.amdhsa_float_round_mode_32 0
		.amdhsa_float_round_mode_16_64 0
		.amdhsa_float_denorm_mode_32 3
		.amdhsa_float_denorm_mode_16_64 3
		.amdhsa_dx10_clamp 1
		.amdhsa_ieee_mode 1
		.amdhsa_fp16_overflow 0
		.amdhsa_workgroup_processor_mode 1
		.amdhsa_memory_ordered 1
		.amdhsa_forward_progress 0
		.amdhsa_shared_vgpr_count 0
		.amdhsa_exception_fp_ieee_invalid_op 0
		.amdhsa_exception_fp_denorm_src 0
		.amdhsa_exception_fp_ieee_div_zero 0
		.amdhsa_exception_fp_ieee_overflow 0
		.amdhsa_exception_fp_ieee_underflow 0
		.amdhsa_exception_fp_ieee_inexact 0
		.amdhsa_exception_int_div_zero 0
	.end_amdhsa_kernel
	.section	.text._ZL41rocblas_syrkx_herkx_small_restrict_kernelIi19rocblas_complex_numIfELi16ELb1ELb1ELc78ELc85EKPKS1_KPS1_EviT_T0_PT6_S7_lSA_S7_lS8_PT7_S7_li,"axG",@progbits,_ZL41rocblas_syrkx_herkx_small_restrict_kernelIi19rocblas_complex_numIfELi16ELb1ELb1ELc78ELc85EKPKS1_KPS1_EviT_T0_PT6_S7_lSA_S7_lS8_PT7_S7_li,comdat
.Lfunc_end813:
	.size	_ZL41rocblas_syrkx_herkx_small_restrict_kernelIi19rocblas_complex_numIfELi16ELb1ELb1ELc78ELc85EKPKS1_KPS1_EviT_T0_PT6_S7_lSA_S7_lS8_PT7_S7_li, .Lfunc_end813-_ZL41rocblas_syrkx_herkx_small_restrict_kernelIi19rocblas_complex_numIfELi16ELb1ELb1ELc78ELc85EKPKS1_KPS1_EviT_T0_PT6_S7_lSA_S7_lS8_PT7_S7_li
                                        ; -- End function
	.section	.AMDGPU.csdata,"",@progbits
; Kernel info:
; codeLenInByte = 1288
; NumSgprs: 20
; NumVgprs: 86
; ScratchSize: 0
; MemoryBound: 0
; FloatMode: 240
; IeeeMode: 1
; LDSByteSize: 4096 bytes/workgroup (compile time only)
; SGPRBlocks: 2
; VGPRBlocks: 10
; NumSGPRsForWavesPerEU: 20
; NumVGPRsForWavesPerEU: 86
; Occupancy: 16
; WaveLimiterHint : 1
; COMPUTE_PGM_RSRC2:SCRATCH_EN: 0
; COMPUTE_PGM_RSRC2:USER_SGPR: 13
; COMPUTE_PGM_RSRC2:TRAP_HANDLER: 0
; COMPUTE_PGM_RSRC2:TGID_X_EN: 1
; COMPUTE_PGM_RSRC2:TGID_Y_EN: 1
; COMPUTE_PGM_RSRC2:TGID_Z_EN: 1
; COMPUTE_PGM_RSRC2:TIDIG_COMP_CNT: 1
	.section	.text._ZL41rocblas_syrkx_herkx_small_restrict_kernelIi19rocblas_complex_numIfELi16ELb0ELb1ELc84ELc76EKPKS1_KPS1_EviT_T0_PT6_S7_lSA_S7_lS8_PT7_S7_li,"axG",@progbits,_ZL41rocblas_syrkx_herkx_small_restrict_kernelIi19rocblas_complex_numIfELi16ELb0ELb1ELc84ELc76EKPKS1_KPS1_EviT_T0_PT6_S7_lSA_S7_lS8_PT7_S7_li,comdat
	.globl	_ZL41rocblas_syrkx_herkx_small_restrict_kernelIi19rocblas_complex_numIfELi16ELb0ELb1ELc84ELc76EKPKS1_KPS1_EviT_T0_PT6_S7_lSA_S7_lS8_PT7_S7_li ; -- Begin function _ZL41rocblas_syrkx_herkx_small_restrict_kernelIi19rocblas_complex_numIfELi16ELb0ELb1ELc84ELc76EKPKS1_KPS1_EviT_T0_PT6_S7_lSA_S7_lS8_PT7_S7_li
	.p2align	8
	.type	_ZL41rocblas_syrkx_herkx_small_restrict_kernelIi19rocblas_complex_numIfELi16ELb0ELb1ELc84ELc76EKPKS1_KPS1_EviT_T0_PT6_S7_lSA_S7_lS8_PT7_S7_li,@function
_ZL41rocblas_syrkx_herkx_small_restrict_kernelIi19rocblas_complex_numIfELi16ELb0ELb1ELc84ELc76EKPKS1_KPS1_EviT_T0_PT6_S7_lSA_S7_lS8_PT7_S7_li: ; @_ZL41rocblas_syrkx_herkx_small_restrict_kernelIi19rocblas_complex_numIfELi16ELb0ELb1ELc84ELc76EKPKS1_KPS1_EviT_T0_PT6_S7_lSA_S7_lS8_PT7_S7_li
; %bb.0:
	s_load_b128 s[4:7], s[0:1], 0x40
	s_mov_b32 s16, s15
	s_mov_b32 s17, 0
	v_dual_mov_b32 v11, 0 :: v_dual_and_b32 v2, 0x3ff, v0
	s_lshl_b64 s[18:19], s[16:17], 3
	v_bfe_u32 v1, v0, 10, 10
	v_mov_b32_e32 v10, 0
	s_delay_alu instid0(VALU_DEP_3) | instskip(NEXT) | instid1(VALU_DEP_3)
	v_lshl_add_u32 v0, s13, 4, v2
	v_lshl_add_u32 v5, s14, 4, v1
	s_waitcnt lgkmcnt(0)
	s_add_u32 s2, s6, s18
	s_load_b32 s6, s[0:1], 0x4
	s_addc_u32 s3, s7, s19
	s_load_b128 s[8:11], s[0:1], 0x8
	s_load_b64 s[2:3], s[2:3], 0x0
	s_waitcnt lgkmcnt(0)
	s_cmp_lt_i32 s6, 1
	s_cbranch_scc1 .LBB814_3
; %bb.1:
	s_clause 0x2
	s_load_b64 s[12:13], s[0:1], 0x28
	s_load_b32 s7, s[0:1], 0x30
	s_load_b32 s14, s[0:1], 0x18
	v_lshlrev_b32_e32 v6, 3, v2
	v_lshlrev_b32_e32 v4, 7, v1
	v_dual_mov_b32 v10, 0 :: v_dual_lshlrev_b32 v13, 3, v1
	s_delay_alu instid0(VALU_DEP_2) | instskip(NEXT) | instid1(VALU_DEP_4)
	v_add_nc_u32_e32 v7, 0x800, v4
	v_add_nc_u32_e32 v8, v6, v4
	s_delay_alu instid0(VALU_DEP_2)
	v_add_nc_u32_e32 v9, v7, v6
	s_waitcnt lgkmcnt(0)
	s_add_u32 s12, s12, s18
	s_addc_u32 s13, s13, s19
	v_mad_i64_i32 v[2:3], null, s7, v5, 0
	s_load_b64 s[12:13], s[12:13], 0x0
	s_add_u32 s10, s10, s18
	s_addc_u32 s11, s11, s19
	v_mad_i64_i32 v[11:12], null, s14, v0, 0
	s_load_b64 s[10:11], s[10:11], 0x0
	s_delay_alu instid0(VALU_DEP_2) | instskip(NEXT) | instid1(VALU_DEP_2)
	v_lshlrev_b64 v[1:2], 3, v[2:3]
	v_lshlrev_b64 v[3:4], 3, v[11:12]
	s_delay_alu instid0(VALU_DEP_2) | instskip(NEXT) | instid1(VALU_DEP_3)
	v_add_co_u32 v1, vcc_lo, v1, v6
	v_add_co_ci_u32_e32 v2, vcc_lo, 0, v2, vcc_lo
	v_mov_b32_e32 v11, 0
	s_delay_alu instid0(VALU_DEP_4)
	v_add_co_u32 v3, vcc_lo, v3, v13
	v_add_co_ci_u32_e32 v4, vcc_lo, 0, v4, vcc_lo
	s_waitcnt lgkmcnt(0)
	v_add_co_u32 v1, vcc_lo, s12, v1
	v_add_co_ci_u32_e32 v2, vcc_lo, s13, v2, vcc_lo
	v_add_co_u32 v3, vcc_lo, s10, v3
	v_add_co_ci_u32_e32 v4, vcc_lo, s11, v4, vcc_lo
.LBB814_2:                              ; =>This Inner Loop Header: Depth=1
	global_load_b64 v[12:13], v[3:4], off
	global_load_b64 v[14:15], v[1:2], off
	v_add_co_u32 v1, vcc_lo, 0x80, v1
	v_add_co_ci_u32_e32 v2, vcc_lo, 0, v2, vcc_lo
	v_add_co_u32 v3, vcc_lo, 0x80, v3
	v_add_co_ci_u32_e32 v4, vcc_lo, 0, v4, vcc_lo
	s_add_i32 s17, s17, 16
	s_waitcnt vmcnt(1)
	ds_store_b64 v8, v[12:13]
	s_waitcnt vmcnt(0)
	ds_store_b64 v9, v[14:15]
	s_waitcnt lgkmcnt(0)
	s_barrier
	buffer_gl0_inv
	ds_load_2addr_b64 v[12:15], v6 offset1:16
	ds_load_b128 v[16:19], v7
	ds_load_b128 v[20:23], v7 offset:16
	ds_load_2addr_b64 v[24:27], v6 offset0:32 offset1:48
	ds_load_2addr_b64 v[28:31], v6 offset0:64 offset1:80
	ds_load_b128 v[32:35], v7 offset:32
	ds_load_b128 v[36:39], v7 offset:48
	ds_load_2addr_b64 v[40:43], v6 offset0:96 offset1:112
	ds_load_2addr_b64 v[44:47], v6 offset0:128 offset1:144
	;; [unrolled: 1-line block ×3, first 2 shown]
	ds_load_b128 v[52:55], v7 offset:64
	ds_load_b128 v[56:59], v7 offset:80
	ds_load_2addr_b64 v[60:63], v6 offset0:192 offset1:208
	ds_load_2addr_b64 v[64:67], v6 offset0:224 offset1:240
	ds_load_b128 v[68:71], v7 offset:96
	ds_load_b128 v[72:75], v7 offset:112
	s_cmp_lt_i32 s17, s6
	s_waitcnt lgkmcnt(0)
	s_barrier
	buffer_gl0_inv
	v_dual_mul_f32 v76, v17, v13 :: v_dual_mul_f32 v77, v19, v15
	v_mul_f32_e32 v13, v16, v13
	v_dual_mul_f32 v15, v18, v15 :: v_dual_mul_f32 v78, v21, v25
	v_mul_f32_e32 v25, v20, v25
	s_delay_alu instid0(VALU_DEP_4) | instskip(SKIP_1) | instid1(VALU_DEP_4)
	v_fma_f32 v16, v16, v12, -v76
	v_dual_mul_f32 v79, v23, v27 :: v_dual_mul_f32 v80, v33, v29
	v_fmac_f32_e32 v15, v19, v14
	s_delay_alu instid0(VALU_DEP_4) | instskip(SKIP_4) | instid1(VALU_DEP_4)
	v_fmac_f32_e32 v25, v21, v24
	v_fmac_f32_e32 v13, v17, v12
	v_mul_f32_e32 v83, v39, v43
	v_dual_mul_f32 v27, v22, v27 :: v_dual_mul_f32 v82, v37, v41
	v_mul_f32_e32 v43, v38, v43
	v_add_f32_e32 v10, v10, v13
	v_mul_f32_e32 v29, v32, v29
	v_dual_add_f32 v11, v11, v16 :: v_dual_mul_f32 v16, v72, v65
	v_mul_f32_e32 v17, v54, v47
	s_delay_alu instid0(VALU_DEP_4) | instskip(SKIP_1) | instid1(VALU_DEP_3)
	v_add_f32_e32 v10, v10, v15
	v_dual_mul_f32 v81, v35, v31 :: v_dual_mul_f32 v84, v53, v45
	v_dual_fmac_f32 v16, v73, v64 :: v_dual_fmac_f32 v17, v55, v46
	s_delay_alu instid0(VALU_DEP_3) | instskip(SKIP_3) | instid1(VALU_DEP_4)
	v_dual_fmac_f32 v27, v23, v26 :: v_dual_add_f32 v10, v10, v25
	v_mul_f32_e32 v31, v34, v31
	v_mul_f32_e32 v45, v52, v45
	v_fmac_f32_e32 v29, v33, v28
	v_dual_mul_f32 v41, v36, v41 :: v_dual_add_f32 v10, v10, v27
	v_fma_f32 v12, v18, v14, -v77
	v_dual_mul_f32 v18, v57, v49 :: v_dual_fmac_f32 v31, v35, v30
	v_mul_f32_e32 v14, v55, v47
	s_delay_alu instid0(VALU_DEP_4) | instskip(SKIP_3) | instid1(VALU_DEP_4)
	v_add_f32_e32 v10, v10, v29
	v_mul_f32_e32 v19, v56, v49
	v_add_f32_e32 v11, v11, v12
	v_dual_mul_f32 v12, v75, v67 :: v_dual_fmac_f32 v41, v37, v40
	v_add_f32_e32 v10, v10, v31
	v_mul_f32_e32 v47, v59, v51
	v_fmac_f32_e32 v43, v39, v42
	v_mul_f32_e32 v49, v58, v51
	s_delay_alu instid0(VALU_DEP_4) | instskip(SKIP_2) | instid1(VALU_DEP_4)
	v_dual_fmac_f32 v45, v53, v44 :: v_dual_add_f32 v10, v10, v41
	v_mul_f32_e32 v51, v69, v61
	v_fmac_f32_e32 v19, v57, v48
	v_fmac_f32_e32 v49, v59, v50
	v_mul_f32_e32 v23, v70, v63
	v_add_f32_e32 v10, v10, v43
	v_fma_f32 v20, v20, v24, -v78
	v_mul_f32_e32 v15, v74, v67
	v_fma_f32 v21, v22, v26, -v79
	s_delay_alu instid0(VALU_DEP_4) | instskip(SKIP_1) | instid1(VALU_DEP_4)
	v_dual_fmac_f32 v23, v71, v62 :: v_dual_add_f32 v10, v10, v45
	v_fma_f32 v14, v54, v46, -v14
	v_fmac_f32_e32 v15, v75, v66
	v_fma_f32 v18, v56, v48, -v18
	v_mul_f32_e32 v22, v71, v63
	v_add_f32_e32 v10, v10, v17
	v_mul_f32_e32 v61, v68, v61
	v_fma_f32 v17, v68, v60, -v51
	v_fma_f32 v12, v74, v66, -v12
	s_delay_alu instid0(VALU_DEP_3) | instskip(NEXT) | instid1(VALU_DEP_1)
	v_dual_add_f32 v10, v10, v19 :: v_dual_fmac_f32 v61, v69, v60
	v_add_f32_e32 v10, v10, v49
	s_delay_alu instid0(VALU_DEP_1) | instskip(NEXT) | instid1(VALU_DEP_1)
	v_add_f32_e32 v10, v10, v61
	v_dual_mul_f32 v13, v73, v65 :: v_dual_add_f32 v10, v10, v23
	s_delay_alu instid0(VALU_DEP_1) | instskip(NEXT) | instid1(VALU_DEP_2)
	v_fma_f32 v13, v72, v64, -v13
	v_add_f32_e32 v10, v10, v16
	v_add_f32_e32 v11, v11, v20
	v_fma_f32 v20, v32, v28, -v80
	s_delay_alu instid0(VALU_DEP_2) | instskip(SKIP_1) | instid1(VALU_DEP_2)
	v_dual_add_f32 v10, v10, v15 :: v_dual_add_f32 v11, v11, v21
	v_fma_f32 v21, v34, v30, -v81
	v_add_f32_e32 v11, v11, v20
	v_fma_f32 v20, v36, v40, -v82
	s_delay_alu instid0(VALU_DEP_2) | instskip(SKIP_1) | instid1(VALU_DEP_2)
	v_add_f32_e32 v11, v11, v21
	v_fma_f32 v21, v38, v42, -v83
	v_add_f32_e32 v11, v11, v20
	v_fma_f32 v20, v52, v44, -v84
	s_delay_alu instid0(VALU_DEP_2) | instskip(NEXT) | instid1(VALU_DEP_1)
	v_add_f32_e32 v11, v11, v21
	v_add_f32_e32 v11, v11, v20
	s_delay_alu instid0(VALU_DEP_1) | instskip(SKIP_1) | instid1(VALU_DEP_2)
	v_add_f32_e32 v11, v11, v14
	v_fma_f32 v14, v58, v50, -v47
	v_add_f32_e32 v11, v11, v18
	s_delay_alu instid0(VALU_DEP_1) | instskip(SKIP_1) | instid1(VALU_DEP_2)
	v_add_f32_e32 v11, v11, v14
	v_fma_f32 v14, v70, v62, -v22
	v_add_f32_e32 v11, v11, v17
	s_delay_alu instid0(VALU_DEP_1) | instskip(NEXT) | instid1(VALU_DEP_1)
	v_add_f32_e32 v11, v11, v14
	v_add_f32_e32 v11, v11, v13
	s_delay_alu instid0(VALU_DEP_1)
	v_add_f32_e32 v11, v11, v12
	s_cbranch_scc1 .LBB814_2
.LBB814_3:
	s_mov_b32 s6, exec_lo
	v_cmpx_le_i32_e64 v5, v0
	s_cbranch_execz .LBB814_6
; %bb.4:
	s_load_b32 s0, s[0:1], 0x50
	v_ashrrev_i32_e32 v1, 31, v0
	s_delay_alu instid0(VALU_DEP_1) | instskip(SKIP_2) | instid1(VALU_DEP_1)
	v_lshlrev_b64 v[6:7], 3, v[0:1]
	s_waitcnt lgkmcnt(0)
	v_mad_i64_i32 v[2:3], null, s0, v5, 0
	v_lshlrev_b64 v[2:3], 3, v[2:3]
	s_delay_alu instid0(VALU_DEP_1) | instskip(NEXT) | instid1(VALU_DEP_2)
	v_add_co_u32 v1, vcc_lo, s2, v2
	v_add_co_ci_u32_e32 v2, vcc_lo, s3, v3, vcc_lo
	s_delay_alu instid0(VALU_DEP_2) | instskip(NEXT) | instid1(VALU_DEP_2)
	v_add_co_u32 v1, vcc_lo, v1, v6
	v_add_co_ci_u32_e32 v2, vcc_lo, v2, v7, vcc_lo
	v_cmp_eq_u32_e32 vcc_lo, v0, v5
	global_load_b64 v[3:4], v[1:2], off
	s_waitcnt vmcnt(0)
	v_dual_mul_f32 v7, s8, v10 :: v_dual_mul_f32 v8, s5, v4
	s_delay_alu instid0(VALU_DEP_1) | instskip(SKIP_1) | instid1(VALU_DEP_3)
	v_dual_mul_f32 v6, s9, v10 :: v_dual_fmac_f32 v7, s9, v11
	v_mul_f32_e32 v4, s4, v4
	v_fma_f32 v8, v3, s4, -v8
	s_delay_alu instid0(VALU_DEP_3) | instskip(NEXT) | instid1(VALU_DEP_1)
	v_fma_f32 v6, v11, s8, -v6
	v_dual_fmac_f32 v4, s5, v3 :: v_dual_add_f32 v3, v6, v8
	s_delay_alu instid0(VALU_DEP_1)
	v_add_f32_e32 v4, v7, v4
	global_store_b64 v[1:2], v[3:4], off
	s_and_b32 exec_lo, exec_lo, vcc_lo
	s_cbranch_execz .LBB814_6
; %bb.5:
	v_mov_b32_e32 v0, 0
	global_store_b32 v[1:2], v0, off offset:4
.LBB814_6:
	s_nop 0
	s_sendmsg sendmsg(MSG_DEALLOC_VGPRS)
	s_endpgm
	.section	.rodata,"a",@progbits
	.p2align	6, 0x0
	.amdhsa_kernel _ZL41rocblas_syrkx_herkx_small_restrict_kernelIi19rocblas_complex_numIfELi16ELb0ELb1ELc84ELc76EKPKS1_KPS1_EviT_T0_PT6_S7_lSA_S7_lS8_PT7_S7_li
		.amdhsa_group_segment_fixed_size 4096
		.amdhsa_private_segment_fixed_size 0
		.amdhsa_kernarg_size 100
		.amdhsa_user_sgpr_count 13
		.amdhsa_user_sgpr_dispatch_ptr 0
		.amdhsa_user_sgpr_queue_ptr 0
		.amdhsa_user_sgpr_kernarg_segment_ptr 1
		.amdhsa_user_sgpr_dispatch_id 0
		.amdhsa_user_sgpr_private_segment_size 0
		.amdhsa_wavefront_size32 1
		.amdhsa_uses_dynamic_stack 0
		.amdhsa_enable_private_segment 0
		.amdhsa_system_sgpr_workgroup_id_x 1
		.amdhsa_system_sgpr_workgroup_id_y 1
		.amdhsa_system_sgpr_workgroup_id_z 1
		.amdhsa_system_sgpr_workgroup_info 0
		.amdhsa_system_vgpr_workitem_id 1
		.amdhsa_next_free_vgpr 85
		.amdhsa_next_free_sgpr 20
		.amdhsa_reserve_vcc 1
		.amdhsa_float_round_mode_32 0
		.amdhsa_float_round_mode_16_64 0
		.amdhsa_float_denorm_mode_32 3
		.amdhsa_float_denorm_mode_16_64 3
		.amdhsa_dx10_clamp 1
		.amdhsa_ieee_mode 1
		.amdhsa_fp16_overflow 0
		.amdhsa_workgroup_processor_mode 1
		.amdhsa_memory_ordered 1
		.amdhsa_forward_progress 0
		.amdhsa_shared_vgpr_count 0
		.amdhsa_exception_fp_ieee_invalid_op 0
		.amdhsa_exception_fp_denorm_src 0
		.amdhsa_exception_fp_ieee_div_zero 0
		.amdhsa_exception_fp_ieee_overflow 0
		.amdhsa_exception_fp_ieee_underflow 0
		.amdhsa_exception_fp_ieee_inexact 0
		.amdhsa_exception_int_div_zero 0
	.end_amdhsa_kernel
	.section	.text._ZL41rocblas_syrkx_herkx_small_restrict_kernelIi19rocblas_complex_numIfELi16ELb0ELb1ELc84ELc76EKPKS1_KPS1_EviT_T0_PT6_S7_lSA_S7_lS8_PT7_S7_li,"axG",@progbits,_ZL41rocblas_syrkx_herkx_small_restrict_kernelIi19rocblas_complex_numIfELi16ELb0ELb1ELc84ELc76EKPKS1_KPS1_EviT_T0_PT6_S7_lSA_S7_lS8_PT7_S7_li,comdat
.Lfunc_end814:
	.size	_ZL41rocblas_syrkx_herkx_small_restrict_kernelIi19rocblas_complex_numIfELi16ELb0ELb1ELc84ELc76EKPKS1_KPS1_EviT_T0_PT6_S7_lSA_S7_lS8_PT7_S7_li, .Lfunc_end814-_ZL41rocblas_syrkx_herkx_small_restrict_kernelIi19rocblas_complex_numIfELi16ELb0ELb1ELc84ELc76EKPKS1_KPS1_EviT_T0_PT6_S7_lSA_S7_lS8_PT7_S7_li
                                        ; -- End function
	.section	.AMDGPU.csdata,"",@progbits
; Kernel info:
; codeLenInByte = 1284
; NumSgprs: 22
; NumVgprs: 85
; ScratchSize: 0
; MemoryBound: 0
; FloatMode: 240
; IeeeMode: 1
; LDSByteSize: 4096 bytes/workgroup (compile time only)
; SGPRBlocks: 2
; VGPRBlocks: 10
; NumSGPRsForWavesPerEU: 22
; NumVGPRsForWavesPerEU: 85
; Occupancy: 16
; WaveLimiterHint : 1
; COMPUTE_PGM_RSRC2:SCRATCH_EN: 0
; COMPUTE_PGM_RSRC2:USER_SGPR: 13
; COMPUTE_PGM_RSRC2:TRAP_HANDLER: 0
; COMPUTE_PGM_RSRC2:TGID_X_EN: 1
; COMPUTE_PGM_RSRC2:TGID_Y_EN: 1
; COMPUTE_PGM_RSRC2:TGID_Z_EN: 1
; COMPUTE_PGM_RSRC2:TIDIG_COMP_CNT: 1
	.section	.text._ZL41rocblas_syrkx_herkx_small_restrict_kernelIi19rocblas_complex_numIfELi16ELb0ELb1ELc67ELc76EKPKS1_KPS1_EviT_T0_PT6_S7_lSA_S7_lS8_PT7_S7_li,"axG",@progbits,_ZL41rocblas_syrkx_herkx_small_restrict_kernelIi19rocblas_complex_numIfELi16ELb0ELb1ELc67ELc76EKPKS1_KPS1_EviT_T0_PT6_S7_lSA_S7_lS8_PT7_S7_li,comdat
	.globl	_ZL41rocblas_syrkx_herkx_small_restrict_kernelIi19rocblas_complex_numIfELi16ELb0ELb1ELc67ELc76EKPKS1_KPS1_EviT_T0_PT6_S7_lSA_S7_lS8_PT7_S7_li ; -- Begin function _ZL41rocblas_syrkx_herkx_small_restrict_kernelIi19rocblas_complex_numIfELi16ELb0ELb1ELc67ELc76EKPKS1_KPS1_EviT_T0_PT6_S7_lSA_S7_lS8_PT7_S7_li
	.p2align	8
	.type	_ZL41rocblas_syrkx_herkx_small_restrict_kernelIi19rocblas_complex_numIfELi16ELb0ELb1ELc67ELc76EKPKS1_KPS1_EviT_T0_PT6_S7_lSA_S7_lS8_PT7_S7_li,@function
_ZL41rocblas_syrkx_herkx_small_restrict_kernelIi19rocblas_complex_numIfELi16ELb0ELb1ELc67ELc76EKPKS1_KPS1_EviT_T0_PT6_S7_lSA_S7_lS8_PT7_S7_li: ; @_ZL41rocblas_syrkx_herkx_small_restrict_kernelIi19rocblas_complex_numIfELi16ELb0ELb1ELc67ELc76EKPKS1_KPS1_EviT_T0_PT6_S7_lSA_S7_lS8_PT7_S7_li
; %bb.0:
	s_load_b128 s[4:7], s[0:1], 0x40
	s_mov_b32 s16, s15
	s_mov_b32 s17, 0
	v_dual_mov_b32 v11, 0 :: v_dual_and_b32 v2, 0x3ff, v0
	s_lshl_b64 s[18:19], s[16:17], 3
	v_bfe_u32 v1, v0, 10, 10
	v_mov_b32_e32 v10, 0
	s_delay_alu instid0(VALU_DEP_3) | instskip(NEXT) | instid1(VALU_DEP_3)
	v_lshl_add_u32 v0, s13, 4, v2
	v_lshl_add_u32 v5, s14, 4, v1
	s_waitcnt lgkmcnt(0)
	s_add_u32 s2, s6, s18
	s_load_b32 s6, s[0:1], 0x4
	s_addc_u32 s3, s7, s19
	s_load_b128 s[8:11], s[0:1], 0x8
	s_load_b64 s[2:3], s[2:3], 0x0
	s_waitcnt lgkmcnt(0)
	s_cmp_lt_i32 s6, 1
	s_cbranch_scc1 .LBB815_3
; %bb.1:
	s_clause 0x2
	s_load_b64 s[12:13], s[0:1], 0x28
	s_load_b32 s7, s[0:1], 0x18
	s_load_b32 s14, s[0:1], 0x30
	v_lshlrev_b32_e32 v8, 7, v1
	v_lshlrev_b32_e32 v6, 3, v2
	v_dual_mov_b32 v10, 0 :: v_dual_lshlrev_b32 v13, 3, v1
	s_waitcnt lgkmcnt(0)
	s_add_u32 s12, s12, s18
	s_addc_u32 s13, s13, s19
	s_add_u32 s10, s10, s18
	s_addc_u32 s11, s11, s19
	v_mad_i64_i32 v[3:4], null, s7, v0, 0
	s_load_b64 s[10:11], s[10:11], 0x0
	v_mad_i64_i32 v[11:12], null, s14, v5, 0
	s_load_b64 s[12:13], s[12:13], 0x0
	s_delay_alu instid0(VALU_DEP_2) | instskip(NEXT) | instid1(VALU_DEP_2)
	v_lshlrev_b64 v[1:2], 3, v[3:4]
	v_lshlrev_b64 v[3:4], 3, v[11:12]
	s_delay_alu instid0(VALU_DEP_2) | instskip(NEXT) | instid1(VALU_DEP_3)
	v_add_co_u32 v1, vcc_lo, v1, v13
	v_add_co_ci_u32_e32 v2, vcc_lo, 0, v2, vcc_lo
	s_delay_alu instid0(VALU_DEP_3) | instskip(NEXT) | instid1(VALU_DEP_4)
	v_add_co_u32 v3, vcc_lo, v3, v6
	v_add_co_ci_u32_e32 v4, vcc_lo, 0, v4, vcc_lo
	s_waitcnt lgkmcnt(0)
	v_add_co_u32 v11, vcc_lo, v1, s10
	v_add_co_ci_u32_e32 v12, vcc_lo, s11, v2, vcc_lo
	v_add_co_u32 v1, vcc_lo, s12, v3
	v_add_co_ci_u32_e32 v2, vcc_lo, s13, v4, vcc_lo
	s_delay_alu instid0(VALU_DEP_4) | instskip(SKIP_4) | instid1(VALU_DEP_3)
	v_add_co_u32 v3, vcc_lo, v11, 4
	v_mov_b32_e32 v11, 0
	v_add_nc_u32_e32 v7, 0x800, v8
	v_add_nc_u32_e32 v8, v6, v8
	v_add_co_ci_u32_e32 v4, vcc_lo, 0, v12, vcc_lo
	v_add_nc_u32_e32 v9, v7, v6
.LBB815_2:                              ; =>This Inner Loop Header: Depth=1
	global_load_b64 v[12:13], v[3:4], off offset:-4
	global_load_b64 v[14:15], v[1:2], off
	v_add_co_u32 v1, vcc_lo, 0x80, v1
	v_add_co_ci_u32_e32 v2, vcc_lo, 0, v2, vcc_lo
	v_add_co_u32 v3, vcc_lo, 0x80, v3
	v_add_co_ci_u32_e32 v4, vcc_lo, 0, v4, vcc_lo
	s_add_i32 s17, s17, 16
	s_delay_alu instid0(SALU_CYCLE_1)
	s_cmp_lt_i32 s17, s6
	s_waitcnt vmcnt(1)
	v_xor_b32_e32 v13, 0x80000000, v13
	ds_store_b64 v8, v[12:13]
	s_waitcnt vmcnt(0)
	ds_store_b64 v9, v[14:15]
	s_waitcnt lgkmcnt(0)
	s_barrier
	buffer_gl0_inv
	ds_load_2addr_b64 v[12:15], v6 offset1:16
	ds_load_b128 v[16:19], v7
	ds_load_b128 v[20:23], v7 offset:16
	ds_load_2addr_b64 v[24:27], v6 offset0:32 offset1:48
	ds_load_2addr_b64 v[28:31], v6 offset0:64 offset1:80
	ds_load_b128 v[32:35], v7 offset:32
	ds_load_b128 v[36:39], v7 offset:48
	ds_load_2addr_b64 v[40:43], v6 offset0:96 offset1:112
	ds_load_2addr_b64 v[44:47], v6 offset0:128 offset1:144
	ds_load_2addr_b64 v[48:51], v6 offset0:160 offset1:176
	ds_load_b128 v[52:55], v7 offset:64
	ds_load_b128 v[56:59], v7 offset:80
	ds_load_2addr_b64 v[60:63], v6 offset0:192 offset1:208
	ds_load_2addr_b64 v[64:67], v6 offset0:224 offset1:240
	ds_load_b128 v[68:71], v7 offset:96
	ds_load_b128 v[72:75], v7 offset:112
	s_waitcnt lgkmcnt(0)
	s_barrier
	buffer_gl0_inv
	v_dual_mul_f32 v76, v17, v13 :: v_dual_mul_f32 v77, v19, v15
	v_mul_f32_e32 v13, v16, v13
	v_dual_mul_f32 v15, v18, v15 :: v_dual_mul_f32 v78, v21, v25
	v_mul_f32_e32 v25, v20, v25
	s_delay_alu instid0(VALU_DEP_4) | instskip(SKIP_1) | instid1(VALU_DEP_4)
	v_fma_f32 v16, v16, v12, -v76
	v_dual_mul_f32 v79, v23, v27 :: v_dual_mul_f32 v80, v33, v29
	v_fmac_f32_e32 v15, v19, v14
	s_delay_alu instid0(VALU_DEP_4) | instskip(SKIP_4) | instid1(VALU_DEP_4)
	v_fmac_f32_e32 v25, v21, v24
	v_fmac_f32_e32 v13, v17, v12
	v_mul_f32_e32 v83, v39, v43
	v_dual_mul_f32 v27, v22, v27 :: v_dual_mul_f32 v82, v37, v41
	v_mul_f32_e32 v43, v38, v43
	v_add_f32_e32 v10, v10, v13
	v_mul_f32_e32 v29, v32, v29
	v_dual_add_f32 v11, v11, v16 :: v_dual_mul_f32 v16, v72, v65
	v_mul_f32_e32 v17, v54, v47
	s_delay_alu instid0(VALU_DEP_4) | instskip(SKIP_1) | instid1(VALU_DEP_3)
	v_add_f32_e32 v10, v10, v15
	v_dual_mul_f32 v81, v35, v31 :: v_dual_mul_f32 v84, v53, v45
	v_dual_fmac_f32 v16, v73, v64 :: v_dual_fmac_f32 v17, v55, v46
	s_delay_alu instid0(VALU_DEP_3) | instskip(SKIP_3) | instid1(VALU_DEP_4)
	v_dual_fmac_f32 v27, v23, v26 :: v_dual_add_f32 v10, v10, v25
	v_mul_f32_e32 v31, v34, v31
	v_mul_f32_e32 v45, v52, v45
	v_fmac_f32_e32 v29, v33, v28
	v_dual_mul_f32 v41, v36, v41 :: v_dual_add_f32 v10, v10, v27
	v_fma_f32 v12, v18, v14, -v77
	v_dual_mul_f32 v18, v57, v49 :: v_dual_fmac_f32 v31, v35, v30
	v_mul_f32_e32 v14, v55, v47
	s_delay_alu instid0(VALU_DEP_4) | instskip(SKIP_3) | instid1(VALU_DEP_4)
	v_add_f32_e32 v10, v10, v29
	v_mul_f32_e32 v19, v56, v49
	v_add_f32_e32 v11, v11, v12
	v_dual_mul_f32 v12, v75, v67 :: v_dual_fmac_f32 v41, v37, v40
	v_add_f32_e32 v10, v10, v31
	v_mul_f32_e32 v47, v59, v51
	v_fmac_f32_e32 v43, v39, v42
	v_mul_f32_e32 v49, v58, v51
	s_delay_alu instid0(VALU_DEP_4) | instskip(SKIP_2) | instid1(VALU_DEP_4)
	v_dual_fmac_f32 v45, v53, v44 :: v_dual_add_f32 v10, v10, v41
	v_mul_f32_e32 v51, v69, v61
	v_fmac_f32_e32 v19, v57, v48
	v_fmac_f32_e32 v49, v59, v50
	v_mul_f32_e32 v23, v70, v63
	v_add_f32_e32 v10, v10, v43
	v_fma_f32 v20, v20, v24, -v78
	v_mul_f32_e32 v15, v74, v67
	v_fma_f32 v21, v22, v26, -v79
	s_delay_alu instid0(VALU_DEP_4) | instskip(SKIP_1) | instid1(VALU_DEP_4)
	v_dual_fmac_f32 v23, v71, v62 :: v_dual_add_f32 v10, v10, v45
	v_fma_f32 v14, v54, v46, -v14
	v_fmac_f32_e32 v15, v75, v66
	v_fma_f32 v18, v56, v48, -v18
	v_mul_f32_e32 v22, v71, v63
	v_add_f32_e32 v10, v10, v17
	v_mul_f32_e32 v61, v68, v61
	v_fma_f32 v17, v68, v60, -v51
	v_fma_f32 v12, v74, v66, -v12
	s_delay_alu instid0(VALU_DEP_3) | instskip(NEXT) | instid1(VALU_DEP_1)
	v_dual_add_f32 v10, v10, v19 :: v_dual_fmac_f32 v61, v69, v60
	v_add_f32_e32 v10, v10, v49
	s_delay_alu instid0(VALU_DEP_1) | instskip(NEXT) | instid1(VALU_DEP_1)
	v_add_f32_e32 v10, v10, v61
	v_dual_mul_f32 v13, v73, v65 :: v_dual_add_f32 v10, v10, v23
	s_delay_alu instid0(VALU_DEP_1) | instskip(NEXT) | instid1(VALU_DEP_2)
	v_fma_f32 v13, v72, v64, -v13
	v_add_f32_e32 v10, v10, v16
	v_add_f32_e32 v11, v11, v20
	v_fma_f32 v20, v32, v28, -v80
	s_delay_alu instid0(VALU_DEP_2) | instskip(SKIP_1) | instid1(VALU_DEP_2)
	v_dual_add_f32 v10, v10, v15 :: v_dual_add_f32 v11, v11, v21
	v_fma_f32 v21, v34, v30, -v81
	v_add_f32_e32 v11, v11, v20
	v_fma_f32 v20, v36, v40, -v82
	s_delay_alu instid0(VALU_DEP_2) | instskip(SKIP_1) | instid1(VALU_DEP_2)
	v_add_f32_e32 v11, v11, v21
	v_fma_f32 v21, v38, v42, -v83
	v_add_f32_e32 v11, v11, v20
	v_fma_f32 v20, v52, v44, -v84
	s_delay_alu instid0(VALU_DEP_2) | instskip(NEXT) | instid1(VALU_DEP_1)
	v_add_f32_e32 v11, v11, v21
	v_add_f32_e32 v11, v11, v20
	s_delay_alu instid0(VALU_DEP_1) | instskip(SKIP_1) | instid1(VALU_DEP_2)
	v_add_f32_e32 v11, v11, v14
	v_fma_f32 v14, v58, v50, -v47
	v_add_f32_e32 v11, v11, v18
	s_delay_alu instid0(VALU_DEP_1) | instskip(SKIP_1) | instid1(VALU_DEP_2)
	v_add_f32_e32 v11, v11, v14
	v_fma_f32 v14, v70, v62, -v22
	v_add_f32_e32 v11, v11, v17
	s_delay_alu instid0(VALU_DEP_1) | instskip(NEXT) | instid1(VALU_DEP_1)
	v_add_f32_e32 v11, v11, v14
	v_add_f32_e32 v11, v11, v13
	s_delay_alu instid0(VALU_DEP_1)
	v_add_f32_e32 v11, v11, v12
	s_cbranch_scc1 .LBB815_2
.LBB815_3:
	s_mov_b32 s6, exec_lo
	v_cmpx_le_i32_e64 v5, v0
	s_cbranch_execz .LBB815_6
; %bb.4:
	s_load_b32 s0, s[0:1], 0x50
	v_ashrrev_i32_e32 v1, 31, v0
	s_delay_alu instid0(VALU_DEP_1) | instskip(SKIP_2) | instid1(VALU_DEP_1)
	v_lshlrev_b64 v[6:7], 3, v[0:1]
	s_waitcnt lgkmcnt(0)
	v_mad_i64_i32 v[2:3], null, s0, v5, 0
	v_lshlrev_b64 v[2:3], 3, v[2:3]
	s_delay_alu instid0(VALU_DEP_1) | instskip(NEXT) | instid1(VALU_DEP_2)
	v_add_co_u32 v1, vcc_lo, s2, v2
	v_add_co_ci_u32_e32 v2, vcc_lo, s3, v3, vcc_lo
	s_delay_alu instid0(VALU_DEP_2) | instskip(NEXT) | instid1(VALU_DEP_2)
	v_add_co_u32 v1, vcc_lo, v1, v6
	v_add_co_ci_u32_e32 v2, vcc_lo, v2, v7, vcc_lo
	v_cmp_eq_u32_e32 vcc_lo, v0, v5
	global_load_b64 v[3:4], v[1:2], off
	s_waitcnt vmcnt(0)
	v_dual_mul_f32 v7, s8, v10 :: v_dual_mul_f32 v8, s5, v4
	s_delay_alu instid0(VALU_DEP_1) | instskip(SKIP_1) | instid1(VALU_DEP_3)
	v_dual_mul_f32 v6, s9, v10 :: v_dual_fmac_f32 v7, s9, v11
	v_mul_f32_e32 v4, s4, v4
	v_fma_f32 v8, v3, s4, -v8
	s_delay_alu instid0(VALU_DEP_3) | instskip(NEXT) | instid1(VALU_DEP_1)
	v_fma_f32 v6, v11, s8, -v6
	v_dual_fmac_f32 v4, s5, v3 :: v_dual_add_f32 v3, v6, v8
	s_delay_alu instid0(VALU_DEP_1)
	v_add_f32_e32 v4, v7, v4
	global_store_b64 v[1:2], v[3:4], off
	s_and_b32 exec_lo, exec_lo, vcc_lo
	s_cbranch_execz .LBB815_6
; %bb.5:
	v_mov_b32_e32 v0, 0
	global_store_b32 v[1:2], v0, off offset:4
.LBB815_6:
	s_nop 0
	s_sendmsg sendmsg(MSG_DEALLOC_VGPRS)
	s_endpgm
	.section	.rodata,"a",@progbits
	.p2align	6, 0x0
	.amdhsa_kernel _ZL41rocblas_syrkx_herkx_small_restrict_kernelIi19rocblas_complex_numIfELi16ELb0ELb1ELc67ELc76EKPKS1_KPS1_EviT_T0_PT6_S7_lSA_S7_lS8_PT7_S7_li
		.amdhsa_group_segment_fixed_size 4096
		.amdhsa_private_segment_fixed_size 0
		.amdhsa_kernarg_size 100
		.amdhsa_user_sgpr_count 13
		.amdhsa_user_sgpr_dispatch_ptr 0
		.amdhsa_user_sgpr_queue_ptr 0
		.amdhsa_user_sgpr_kernarg_segment_ptr 1
		.amdhsa_user_sgpr_dispatch_id 0
		.amdhsa_user_sgpr_private_segment_size 0
		.amdhsa_wavefront_size32 1
		.amdhsa_uses_dynamic_stack 0
		.amdhsa_enable_private_segment 0
		.amdhsa_system_sgpr_workgroup_id_x 1
		.amdhsa_system_sgpr_workgroup_id_y 1
		.amdhsa_system_sgpr_workgroup_id_z 1
		.amdhsa_system_sgpr_workgroup_info 0
		.amdhsa_system_vgpr_workitem_id 1
		.amdhsa_next_free_vgpr 85
		.amdhsa_next_free_sgpr 20
		.amdhsa_reserve_vcc 1
		.amdhsa_float_round_mode_32 0
		.amdhsa_float_round_mode_16_64 0
		.amdhsa_float_denorm_mode_32 3
		.amdhsa_float_denorm_mode_16_64 3
		.amdhsa_dx10_clamp 1
		.amdhsa_ieee_mode 1
		.amdhsa_fp16_overflow 0
		.amdhsa_workgroup_processor_mode 1
		.amdhsa_memory_ordered 1
		.amdhsa_forward_progress 0
		.amdhsa_shared_vgpr_count 0
		.amdhsa_exception_fp_ieee_invalid_op 0
		.amdhsa_exception_fp_denorm_src 0
		.amdhsa_exception_fp_ieee_div_zero 0
		.amdhsa_exception_fp_ieee_overflow 0
		.amdhsa_exception_fp_ieee_underflow 0
		.amdhsa_exception_fp_ieee_inexact 0
		.amdhsa_exception_int_div_zero 0
	.end_amdhsa_kernel
	.section	.text._ZL41rocblas_syrkx_herkx_small_restrict_kernelIi19rocblas_complex_numIfELi16ELb0ELb1ELc67ELc76EKPKS1_KPS1_EviT_T0_PT6_S7_lSA_S7_lS8_PT7_S7_li,"axG",@progbits,_ZL41rocblas_syrkx_herkx_small_restrict_kernelIi19rocblas_complex_numIfELi16ELb0ELb1ELc67ELc76EKPKS1_KPS1_EviT_T0_PT6_S7_lSA_S7_lS8_PT7_S7_li,comdat
.Lfunc_end815:
	.size	_ZL41rocblas_syrkx_herkx_small_restrict_kernelIi19rocblas_complex_numIfELi16ELb0ELb1ELc67ELc76EKPKS1_KPS1_EviT_T0_PT6_S7_lSA_S7_lS8_PT7_S7_li, .Lfunc_end815-_ZL41rocblas_syrkx_herkx_small_restrict_kernelIi19rocblas_complex_numIfELi16ELb0ELb1ELc67ELc76EKPKS1_KPS1_EviT_T0_PT6_S7_lSA_S7_lS8_PT7_S7_li
                                        ; -- End function
	.section	.AMDGPU.csdata,"",@progbits
; Kernel info:
; codeLenInByte = 1304
; NumSgprs: 22
; NumVgprs: 85
; ScratchSize: 0
; MemoryBound: 0
; FloatMode: 240
; IeeeMode: 1
; LDSByteSize: 4096 bytes/workgroup (compile time only)
; SGPRBlocks: 2
; VGPRBlocks: 10
; NumSGPRsForWavesPerEU: 22
; NumVGPRsForWavesPerEU: 85
; Occupancy: 16
; WaveLimiterHint : 1
; COMPUTE_PGM_RSRC2:SCRATCH_EN: 0
; COMPUTE_PGM_RSRC2:USER_SGPR: 13
; COMPUTE_PGM_RSRC2:TRAP_HANDLER: 0
; COMPUTE_PGM_RSRC2:TGID_X_EN: 1
; COMPUTE_PGM_RSRC2:TGID_Y_EN: 1
; COMPUTE_PGM_RSRC2:TGID_Z_EN: 1
; COMPUTE_PGM_RSRC2:TIDIG_COMP_CNT: 1
	.section	.text._ZL41rocblas_syrkx_herkx_small_restrict_kernelIi19rocblas_complex_numIfELi16ELb0ELb1ELc78ELc76EKPKS1_KPS1_EviT_T0_PT6_S7_lSA_S7_lS8_PT7_S7_li,"axG",@progbits,_ZL41rocblas_syrkx_herkx_small_restrict_kernelIi19rocblas_complex_numIfELi16ELb0ELb1ELc78ELc76EKPKS1_KPS1_EviT_T0_PT6_S7_lSA_S7_lS8_PT7_S7_li,comdat
	.globl	_ZL41rocblas_syrkx_herkx_small_restrict_kernelIi19rocblas_complex_numIfELi16ELb0ELb1ELc78ELc76EKPKS1_KPS1_EviT_T0_PT6_S7_lSA_S7_lS8_PT7_S7_li ; -- Begin function _ZL41rocblas_syrkx_herkx_small_restrict_kernelIi19rocblas_complex_numIfELi16ELb0ELb1ELc78ELc76EKPKS1_KPS1_EviT_T0_PT6_S7_lSA_S7_lS8_PT7_S7_li
	.p2align	8
	.type	_ZL41rocblas_syrkx_herkx_small_restrict_kernelIi19rocblas_complex_numIfELi16ELb0ELb1ELc78ELc76EKPKS1_KPS1_EviT_T0_PT6_S7_lSA_S7_lS8_PT7_S7_li,@function
_ZL41rocblas_syrkx_herkx_small_restrict_kernelIi19rocblas_complex_numIfELi16ELb0ELb1ELc78ELc76EKPKS1_KPS1_EviT_T0_PT6_S7_lSA_S7_lS8_PT7_S7_li: ; @_ZL41rocblas_syrkx_herkx_small_restrict_kernelIi19rocblas_complex_numIfELi16ELb0ELb1ELc78ELc76EKPKS1_KPS1_EviT_T0_PT6_S7_lSA_S7_lS8_PT7_S7_li
; %bb.0:
	s_clause 0x1
	s_load_b128 s[4:7], s[0:1], 0x40
	s_load_b32 s12, s[0:1], 0x4
	s_mov_b32 s16, s15
	s_mov_b32 s17, 0
	v_dual_mov_b32 v12, 0 :: v_dual_and_b32 v5, 0x3ff, v0
	s_lshl_b64 s[18:19], s[16:17], 3
	v_bfe_u32 v4, v0, 10, 10
	v_mov_b32_e32 v11, 0
	s_delay_alu instid0(VALU_DEP_3) | instskip(NEXT) | instid1(VALU_DEP_3)
	v_lshl_add_u32 v0, s13, 4, v5
	v_lshl_add_u32 v2, s14, 4, v4
	s_delay_alu instid0(VALU_DEP_2)
	v_ashrrev_i32_e32 v1, 31, v0
	s_waitcnt lgkmcnt(0)
	s_add_u32 s2, s6, s18
	s_addc_u32 s3, s7, s19
	s_load_b128 s[8:11], s[0:1], 0x8
	s_load_b64 s[2:3], s[2:3], 0x0
	s_cmp_lt_i32 s12, 1
	s_cbranch_scc1 .LBB816_3
; %bb.1:
	s_clause 0x2
	s_load_b32 s14, s[0:1], 0x18
	s_load_b32 s6, s[0:1], 0x30
	s_load_b64 s[20:21], s[0:1], 0x28
	v_lshlrev_b32_e32 v7, 3, v5
	v_ashrrev_i32_e32 v3, 31, v2
	v_dual_mov_b32 v11, 0 :: v_dual_lshlrev_b32 v16, 7, v4
	v_lshlrev_b64 v[12:13], 3, v[0:1]
	s_delay_alu instid0(VALU_DEP_2)
	v_add_nc_u32_e32 v8, 0x800, v16
	s_waitcnt lgkmcnt(0)
	s_ashr_i32 s15, s14, 31
	s_ashr_i32 s7, s6, 31
	s_add_u32 s20, s20, s18
	s_addc_u32 s21, s21, s19
	v_mad_i64_i32 v[9:10], null, s6, v5, 0
	s_load_b64 s[20:21], s[20:21], 0x0
	s_add_u32 s10, s10, s18
	s_addc_u32 s11, s11, s19
	v_mad_i64_i32 v[5:6], null, s14, v4, 0
	s_load_b64 s[10:11], s[10:11], 0x0
	v_lshlrev_b64 v[3:4], 3, v[2:3]
	s_delay_alu instid0(VALU_DEP_3) | instskip(SKIP_1) | instid1(VALU_DEP_3)
	v_lshlrev_b64 v[14:15], 3, v[9:10]
	s_lshl_b64 s[6:7], s[6:7], 7
	v_lshlrev_b64 v[5:6], 3, v[5:6]
	s_delay_alu instid0(VALU_DEP_2) | instskip(NEXT) | instid1(VALU_DEP_3)
	v_add_co_u32 v3, vcc_lo, v14, v3
	v_add_co_ci_u32_e32 v4, vcc_lo, v15, v4, vcc_lo
	s_delay_alu instid0(VALU_DEP_3) | instskip(NEXT) | instid1(VALU_DEP_4)
	v_add_co_u32 v5, vcc_lo, v5, v12
	v_add_co_ci_u32_e32 v6, vcc_lo, v6, v13, vcc_lo
	s_waitcnt lgkmcnt(0)
	v_add_co_u32 v12, vcc_lo, v3, s20
	v_add_co_ci_u32_e32 v13, vcc_lo, s21, v4, vcc_lo
	v_add_co_u32 v3, vcc_lo, s10, v5
	v_add_co_ci_u32_e32 v4, vcc_lo, s11, v6, vcc_lo
	s_delay_alu instid0(VALU_DEP_4) | instskip(NEXT) | instid1(VALU_DEP_4)
	v_add_co_u32 v5, vcc_lo, v12, 4
	v_add_co_ci_u32_e32 v6, vcc_lo, 0, v13, vcc_lo
	v_dual_mov_b32 v12, 0 :: v_dual_add_nc_u32 v9, v7, v16
	v_add_nc_u32_e32 v10, v8, v7
	s_lshl_b64 s[10:11], s[14:15], 7
.LBB816_2:                              ; =>This Inner Loop Header: Depth=1
	global_load_b64 v[13:14], v[5:6], off offset:-4
	global_load_b64 v[15:16], v[3:4], off
	v_add_co_u32 v5, vcc_lo, v5, s6
	v_add_co_ci_u32_e32 v6, vcc_lo, s7, v6, vcc_lo
	v_add_co_u32 v3, vcc_lo, v3, s10
	v_add_co_ci_u32_e32 v4, vcc_lo, s11, v4, vcc_lo
	s_add_i32 s17, s17, 16
	s_delay_alu instid0(SALU_CYCLE_1)
	s_cmp_lt_i32 s17, s12
	s_waitcnt vmcnt(1)
	v_xor_b32_e32 v14, 0x80000000, v14
	s_waitcnt vmcnt(0)
	ds_store_b64 v9, v[15:16]
	ds_store_b64 v10, v[13:14]
	s_waitcnt lgkmcnt(0)
	s_barrier
	buffer_gl0_inv
	ds_load_2addr_b64 v[13:16], v7 offset1:16
	ds_load_b128 v[17:20], v8
	ds_load_b128 v[21:24], v8 offset:16
	ds_load_2addr_b64 v[25:28], v7 offset0:32 offset1:48
	ds_load_2addr_b64 v[29:32], v7 offset0:64 offset1:80
	ds_load_b128 v[33:36], v8 offset:32
	ds_load_b128 v[37:40], v8 offset:48
	ds_load_2addr_b64 v[41:44], v7 offset0:96 offset1:112
	ds_load_2addr_b64 v[45:48], v7 offset0:128 offset1:144
	;; [unrolled: 1-line block ×3, first 2 shown]
	ds_load_b128 v[53:56], v8 offset:64
	ds_load_b128 v[57:60], v8 offset:80
	ds_load_2addr_b64 v[61:64], v7 offset0:192 offset1:208
	ds_load_2addr_b64 v[65:68], v7 offset0:224 offset1:240
	ds_load_b128 v[69:72], v8 offset:96
	ds_load_b128 v[73:76], v8 offset:112
	s_waitcnt lgkmcnt(0)
	s_barrier
	buffer_gl0_inv
	v_dual_mul_f32 v77, v18, v14 :: v_dual_mul_f32 v78, v20, v16
	v_mul_f32_e32 v14, v17, v14
	v_dual_mul_f32 v16, v19, v16 :: v_dual_mul_f32 v79, v22, v26
	v_mul_f32_e32 v26, v21, v26
	s_delay_alu instid0(VALU_DEP_4) | instskip(SKIP_1) | instid1(VALU_DEP_4)
	v_fma_f32 v17, v17, v13, -v77
	v_dual_mul_f32 v80, v24, v28 :: v_dual_mul_f32 v81, v34, v30
	v_fmac_f32_e32 v16, v20, v15
	s_delay_alu instid0(VALU_DEP_4) | instskip(SKIP_4) | instid1(VALU_DEP_4)
	v_fmac_f32_e32 v26, v22, v25
	v_fmac_f32_e32 v14, v18, v13
	v_mul_f32_e32 v84, v40, v44
	v_dual_mul_f32 v28, v23, v28 :: v_dual_mul_f32 v83, v38, v42
	v_mul_f32_e32 v44, v39, v44
	v_add_f32_e32 v11, v11, v14
	v_mul_f32_e32 v30, v33, v30
	v_dual_add_f32 v12, v12, v17 :: v_dual_mul_f32 v17, v73, v66
	v_mul_f32_e32 v18, v55, v48
	s_delay_alu instid0(VALU_DEP_4) | instskip(SKIP_1) | instid1(VALU_DEP_3)
	v_add_f32_e32 v11, v11, v16
	v_dual_mul_f32 v82, v36, v32 :: v_dual_mul_f32 v85, v54, v46
	v_dual_fmac_f32 v17, v74, v65 :: v_dual_fmac_f32 v18, v56, v47
	s_delay_alu instid0(VALU_DEP_3) | instskip(SKIP_3) | instid1(VALU_DEP_4)
	v_dual_fmac_f32 v28, v24, v27 :: v_dual_add_f32 v11, v11, v26
	v_mul_f32_e32 v32, v35, v32
	v_mul_f32_e32 v46, v53, v46
	v_fmac_f32_e32 v30, v34, v29
	v_dual_mul_f32 v42, v37, v42 :: v_dual_add_f32 v11, v11, v28
	v_fma_f32 v13, v19, v15, -v78
	v_dual_mul_f32 v19, v58, v50 :: v_dual_fmac_f32 v32, v36, v31
	v_mul_f32_e32 v15, v56, v48
	s_delay_alu instid0(VALU_DEP_4) | instskip(SKIP_3) | instid1(VALU_DEP_4)
	v_add_f32_e32 v11, v11, v30
	v_mul_f32_e32 v20, v57, v50
	v_add_f32_e32 v12, v12, v13
	v_dual_mul_f32 v13, v76, v68 :: v_dual_fmac_f32 v42, v38, v41
	v_add_f32_e32 v11, v11, v32
	v_mul_f32_e32 v48, v60, v52
	v_fmac_f32_e32 v44, v40, v43
	v_mul_f32_e32 v50, v59, v52
	s_delay_alu instid0(VALU_DEP_4) | instskip(SKIP_2) | instid1(VALU_DEP_4)
	v_dual_fmac_f32 v46, v54, v45 :: v_dual_add_f32 v11, v11, v42
	v_mul_f32_e32 v52, v70, v62
	v_fmac_f32_e32 v20, v58, v49
	v_fmac_f32_e32 v50, v60, v51
	v_mul_f32_e32 v24, v71, v64
	v_add_f32_e32 v11, v11, v44
	v_fma_f32 v21, v21, v25, -v79
	v_mul_f32_e32 v16, v75, v68
	v_fma_f32 v22, v23, v27, -v80
	s_delay_alu instid0(VALU_DEP_4) | instskip(SKIP_1) | instid1(VALU_DEP_4)
	v_dual_fmac_f32 v24, v72, v63 :: v_dual_add_f32 v11, v11, v46
	v_fma_f32 v15, v55, v47, -v15
	v_fmac_f32_e32 v16, v76, v67
	v_fma_f32 v19, v57, v49, -v19
	v_mul_f32_e32 v23, v72, v64
	v_add_f32_e32 v11, v11, v18
	v_mul_f32_e32 v62, v69, v62
	v_fma_f32 v18, v69, v61, -v52
	v_fma_f32 v13, v75, v67, -v13
	s_delay_alu instid0(VALU_DEP_3) | instskip(NEXT) | instid1(VALU_DEP_1)
	v_dual_add_f32 v11, v11, v20 :: v_dual_fmac_f32 v62, v70, v61
	v_add_f32_e32 v11, v11, v50
	s_delay_alu instid0(VALU_DEP_1) | instskip(NEXT) | instid1(VALU_DEP_1)
	v_add_f32_e32 v11, v11, v62
	v_dual_mul_f32 v14, v74, v66 :: v_dual_add_f32 v11, v11, v24
	s_delay_alu instid0(VALU_DEP_1) | instskip(NEXT) | instid1(VALU_DEP_2)
	v_fma_f32 v14, v73, v65, -v14
	v_add_f32_e32 v11, v11, v17
	v_add_f32_e32 v12, v12, v21
	v_fma_f32 v21, v33, v29, -v81
	s_delay_alu instid0(VALU_DEP_2) | instskip(SKIP_1) | instid1(VALU_DEP_2)
	v_dual_add_f32 v11, v11, v16 :: v_dual_add_f32 v12, v12, v22
	v_fma_f32 v22, v35, v31, -v82
	v_add_f32_e32 v12, v12, v21
	v_fma_f32 v21, v37, v41, -v83
	s_delay_alu instid0(VALU_DEP_2) | instskip(SKIP_1) | instid1(VALU_DEP_2)
	v_add_f32_e32 v12, v12, v22
	v_fma_f32 v22, v39, v43, -v84
	v_add_f32_e32 v12, v12, v21
	v_fma_f32 v21, v53, v45, -v85
	s_delay_alu instid0(VALU_DEP_2) | instskip(NEXT) | instid1(VALU_DEP_1)
	v_add_f32_e32 v12, v12, v22
	v_add_f32_e32 v12, v12, v21
	s_delay_alu instid0(VALU_DEP_1) | instskip(SKIP_1) | instid1(VALU_DEP_2)
	v_add_f32_e32 v12, v12, v15
	v_fma_f32 v15, v59, v51, -v48
	v_add_f32_e32 v12, v12, v19
	s_delay_alu instid0(VALU_DEP_1) | instskip(SKIP_1) | instid1(VALU_DEP_2)
	v_add_f32_e32 v12, v12, v15
	v_fma_f32 v15, v71, v63, -v23
	v_add_f32_e32 v12, v12, v18
	s_delay_alu instid0(VALU_DEP_1) | instskip(NEXT) | instid1(VALU_DEP_1)
	v_add_f32_e32 v12, v12, v15
	v_add_f32_e32 v12, v12, v14
	s_delay_alu instid0(VALU_DEP_1)
	v_add_f32_e32 v12, v12, v13
	s_cbranch_scc1 .LBB816_2
.LBB816_3:
	s_mov_b32 s6, exec_lo
	v_cmpx_le_i32_e64 v2, v0
	s_cbranch_execz .LBB816_6
; %bb.4:
	s_load_b32 s0, s[0:1], 0x50
	v_lshlrev_b64 v[5:6], 3, v[0:1]
	s_waitcnt lgkmcnt(0)
	v_mad_i64_i32 v[3:4], null, s0, v2, 0
	s_delay_alu instid0(VALU_DEP_1) | instskip(NEXT) | instid1(VALU_DEP_1)
	v_lshlrev_b64 v[3:4], 3, v[3:4]
	v_add_co_u32 v1, vcc_lo, s2, v3
	s_delay_alu instid0(VALU_DEP_2) | instskip(NEXT) | instid1(VALU_DEP_2)
	v_add_co_ci_u32_e32 v4, vcc_lo, s3, v4, vcc_lo
	v_add_co_u32 v3, vcc_lo, v1, v5
	s_delay_alu instid0(VALU_DEP_2)
	v_add_co_ci_u32_e32 v4, vcc_lo, v4, v6, vcc_lo
	v_cmp_eq_u32_e32 vcc_lo, v0, v2
	global_load_b64 v[5:6], v[3:4], off
	v_mul_f32_e32 v1, s9, v11
	s_waitcnt vmcnt(0)
	v_dual_mul_f32 v7, s8, v11 :: v_dual_mul_f32 v8, s5, v6
	v_mul_f32_e32 v6, s4, v6
	s_delay_alu instid0(VALU_DEP_3) | instskip(NEXT) | instid1(VALU_DEP_3)
	v_fma_f32 v1, v12, s8, -v1
	v_fmac_f32_e32 v7, s9, v12
	s_delay_alu instid0(VALU_DEP_4) | instskip(NEXT) | instid1(VALU_DEP_1)
	v_fma_f32 v8, v5, s4, -v8
	v_dual_fmac_f32 v6, s5, v5 :: v_dual_add_f32 v5, v1, v8
	s_delay_alu instid0(VALU_DEP_1)
	v_add_f32_e32 v6, v7, v6
	global_store_b64 v[3:4], v[5:6], off
	s_and_b32 exec_lo, exec_lo, vcc_lo
	s_cbranch_execz .LBB816_6
; %bb.5:
	v_mov_b32_e32 v0, 0
	global_store_b32 v[3:4], v0, off offset:4
.LBB816_6:
	s_nop 0
	s_sendmsg sendmsg(MSG_DEALLOC_VGPRS)
	s_endpgm
	.section	.rodata,"a",@progbits
	.p2align	6, 0x0
	.amdhsa_kernel _ZL41rocblas_syrkx_herkx_small_restrict_kernelIi19rocblas_complex_numIfELi16ELb0ELb1ELc78ELc76EKPKS1_KPS1_EviT_T0_PT6_S7_lSA_S7_lS8_PT7_S7_li
		.amdhsa_group_segment_fixed_size 4096
		.amdhsa_private_segment_fixed_size 0
		.amdhsa_kernarg_size 100
		.amdhsa_user_sgpr_count 13
		.amdhsa_user_sgpr_dispatch_ptr 0
		.amdhsa_user_sgpr_queue_ptr 0
		.amdhsa_user_sgpr_kernarg_segment_ptr 1
		.amdhsa_user_sgpr_dispatch_id 0
		.amdhsa_user_sgpr_private_segment_size 0
		.amdhsa_wavefront_size32 1
		.amdhsa_uses_dynamic_stack 0
		.amdhsa_enable_private_segment 0
		.amdhsa_system_sgpr_workgroup_id_x 1
		.amdhsa_system_sgpr_workgroup_id_y 1
		.amdhsa_system_sgpr_workgroup_id_z 1
		.amdhsa_system_sgpr_workgroup_info 0
		.amdhsa_system_vgpr_workitem_id 1
		.amdhsa_next_free_vgpr 86
		.amdhsa_next_free_sgpr 22
		.amdhsa_reserve_vcc 1
		.amdhsa_float_round_mode_32 0
		.amdhsa_float_round_mode_16_64 0
		.amdhsa_float_denorm_mode_32 3
		.amdhsa_float_denorm_mode_16_64 3
		.amdhsa_dx10_clamp 1
		.amdhsa_ieee_mode 1
		.amdhsa_fp16_overflow 0
		.amdhsa_workgroup_processor_mode 1
		.amdhsa_memory_ordered 1
		.amdhsa_forward_progress 0
		.amdhsa_shared_vgpr_count 0
		.amdhsa_exception_fp_ieee_invalid_op 0
		.amdhsa_exception_fp_denorm_src 0
		.amdhsa_exception_fp_ieee_div_zero 0
		.amdhsa_exception_fp_ieee_overflow 0
		.amdhsa_exception_fp_ieee_underflow 0
		.amdhsa_exception_fp_ieee_inexact 0
		.amdhsa_exception_int_div_zero 0
	.end_amdhsa_kernel
	.section	.text._ZL41rocblas_syrkx_herkx_small_restrict_kernelIi19rocblas_complex_numIfELi16ELb0ELb1ELc78ELc76EKPKS1_KPS1_EviT_T0_PT6_S7_lSA_S7_lS8_PT7_S7_li,"axG",@progbits,_ZL41rocblas_syrkx_herkx_small_restrict_kernelIi19rocblas_complex_numIfELi16ELb0ELb1ELc78ELc76EKPKS1_KPS1_EviT_T0_PT6_S7_lSA_S7_lS8_PT7_S7_li,comdat
.Lfunc_end816:
	.size	_ZL41rocblas_syrkx_herkx_small_restrict_kernelIi19rocblas_complex_numIfELi16ELb0ELb1ELc78ELc76EKPKS1_KPS1_EviT_T0_PT6_S7_lSA_S7_lS8_PT7_S7_li, .Lfunc_end816-_ZL41rocblas_syrkx_herkx_small_restrict_kernelIi19rocblas_complex_numIfELi16ELb0ELb1ELc78ELc76EKPKS1_KPS1_EviT_T0_PT6_S7_lSA_S7_lS8_PT7_S7_li
                                        ; -- End function
	.section	.AMDGPU.csdata,"",@progbits
; Kernel info:
; codeLenInByte = 1336
; NumSgprs: 24
; NumVgprs: 86
; ScratchSize: 0
; MemoryBound: 0
; FloatMode: 240
; IeeeMode: 1
; LDSByteSize: 4096 bytes/workgroup (compile time only)
; SGPRBlocks: 2
; VGPRBlocks: 10
; NumSGPRsForWavesPerEU: 24
; NumVGPRsForWavesPerEU: 86
; Occupancy: 16
; WaveLimiterHint : 1
; COMPUTE_PGM_RSRC2:SCRATCH_EN: 0
; COMPUTE_PGM_RSRC2:USER_SGPR: 13
; COMPUTE_PGM_RSRC2:TRAP_HANDLER: 0
; COMPUTE_PGM_RSRC2:TGID_X_EN: 1
; COMPUTE_PGM_RSRC2:TGID_Y_EN: 1
; COMPUTE_PGM_RSRC2:TGID_Z_EN: 1
; COMPUTE_PGM_RSRC2:TIDIG_COMP_CNT: 1
	.section	.text._ZL41rocblas_syrkx_herkx_small_restrict_kernelIi19rocblas_complex_numIfELi16ELb0ELb1ELc84ELc85EKPKS1_KPS1_EviT_T0_PT6_S7_lSA_S7_lS8_PT7_S7_li,"axG",@progbits,_ZL41rocblas_syrkx_herkx_small_restrict_kernelIi19rocblas_complex_numIfELi16ELb0ELb1ELc84ELc85EKPKS1_KPS1_EviT_T0_PT6_S7_lSA_S7_lS8_PT7_S7_li,comdat
	.globl	_ZL41rocblas_syrkx_herkx_small_restrict_kernelIi19rocblas_complex_numIfELi16ELb0ELb1ELc84ELc85EKPKS1_KPS1_EviT_T0_PT6_S7_lSA_S7_lS8_PT7_S7_li ; -- Begin function _ZL41rocblas_syrkx_herkx_small_restrict_kernelIi19rocblas_complex_numIfELi16ELb0ELb1ELc84ELc85EKPKS1_KPS1_EviT_T0_PT6_S7_lSA_S7_lS8_PT7_S7_li
	.p2align	8
	.type	_ZL41rocblas_syrkx_herkx_small_restrict_kernelIi19rocblas_complex_numIfELi16ELb0ELb1ELc84ELc85EKPKS1_KPS1_EviT_T0_PT6_S7_lSA_S7_lS8_PT7_S7_li,@function
_ZL41rocblas_syrkx_herkx_small_restrict_kernelIi19rocblas_complex_numIfELi16ELb0ELb1ELc84ELc85EKPKS1_KPS1_EviT_T0_PT6_S7_lSA_S7_lS8_PT7_S7_li: ; @_ZL41rocblas_syrkx_herkx_small_restrict_kernelIi19rocblas_complex_numIfELi16ELb0ELb1ELc84ELc85EKPKS1_KPS1_EviT_T0_PT6_S7_lSA_S7_lS8_PT7_S7_li
; %bb.0:
	s_load_b128 s[4:7], s[0:1], 0x40
	s_mov_b32 s16, s15
	s_mov_b32 s17, 0
	v_dual_mov_b32 v11, 0 :: v_dual_and_b32 v2, 0x3ff, v0
	s_lshl_b64 s[18:19], s[16:17], 3
	v_bfe_u32 v1, v0, 10, 10
	v_mov_b32_e32 v10, 0
	s_delay_alu instid0(VALU_DEP_3) | instskip(NEXT) | instid1(VALU_DEP_3)
	v_lshl_add_u32 v0, s13, 4, v2
	v_lshl_add_u32 v5, s14, 4, v1
	s_waitcnt lgkmcnt(0)
	s_add_u32 s2, s6, s18
	s_load_b32 s6, s[0:1], 0x4
	s_addc_u32 s3, s7, s19
	s_load_b128 s[8:11], s[0:1], 0x8
	s_load_b64 s[2:3], s[2:3], 0x0
	s_waitcnt lgkmcnt(0)
	s_cmp_lt_i32 s6, 1
	s_cbranch_scc1 .LBB817_3
; %bb.1:
	s_clause 0x2
	s_load_b64 s[12:13], s[0:1], 0x28
	s_load_b32 s7, s[0:1], 0x30
	s_load_b32 s14, s[0:1], 0x18
	v_lshlrev_b32_e32 v6, 3, v2
	v_lshlrev_b32_e32 v4, 7, v1
	v_dual_mov_b32 v10, 0 :: v_dual_lshlrev_b32 v13, 3, v1
	s_delay_alu instid0(VALU_DEP_2) | instskip(NEXT) | instid1(VALU_DEP_4)
	v_add_nc_u32_e32 v7, 0x800, v4
	v_add_nc_u32_e32 v8, v6, v4
	s_delay_alu instid0(VALU_DEP_2)
	v_add_nc_u32_e32 v9, v7, v6
	s_waitcnt lgkmcnt(0)
	s_add_u32 s12, s12, s18
	s_addc_u32 s13, s13, s19
	v_mad_i64_i32 v[2:3], null, s7, v5, 0
	s_load_b64 s[12:13], s[12:13], 0x0
	s_add_u32 s10, s10, s18
	s_addc_u32 s11, s11, s19
	v_mad_i64_i32 v[11:12], null, s14, v0, 0
	s_load_b64 s[10:11], s[10:11], 0x0
	s_delay_alu instid0(VALU_DEP_2) | instskip(NEXT) | instid1(VALU_DEP_2)
	v_lshlrev_b64 v[1:2], 3, v[2:3]
	v_lshlrev_b64 v[3:4], 3, v[11:12]
	s_delay_alu instid0(VALU_DEP_2) | instskip(NEXT) | instid1(VALU_DEP_3)
	v_add_co_u32 v1, vcc_lo, v1, v6
	v_add_co_ci_u32_e32 v2, vcc_lo, 0, v2, vcc_lo
	v_mov_b32_e32 v11, 0
	s_delay_alu instid0(VALU_DEP_4)
	v_add_co_u32 v3, vcc_lo, v3, v13
	v_add_co_ci_u32_e32 v4, vcc_lo, 0, v4, vcc_lo
	s_waitcnt lgkmcnt(0)
	v_add_co_u32 v1, vcc_lo, s12, v1
	v_add_co_ci_u32_e32 v2, vcc_lo, s13, v2, vcc_lo
	v_add_co_u32 v3, vcc_lo, s10, v3
	v_add_co_ci_u32_e32 v4, vcc_lo, s11, v4, vcc_lo
.LBB817_2:                              ; =>This Inner Loop Header: Depth=1
	global_load_b64 v[12:13], v[3:4], off
	global_load_b64 v[14:15], v[1:2], off
	v_add_co_u32 v1, vcc_lo, 0x80, v1
	v_add_co_ci_u32_e32 v2, vcc_lo, 0, v2, vcc_lo
	v_add_co_u32 v3, vcc_lo, 0x80, v3
	v_add_co_ci_u32_e32 v4, vcc_lo, 0, v4, vcc_lo
	s_add_i32 s17, s17, 16
	s_waitcnt vmcnt(1)
	ds_store_b64 v8, v[12:13]
	s_waitcnt vmcnt(0)
	ds_store_b64 v9, v[14:15]
	s_waitcnt lgkmcnt(0)
	s_barrier
	buffer_gl0_inv
	ds_load_2addr_b64 v[12:15], v6 offset1:16
	ds_load_b128 v[16:19], v7
	ds_load_b128 v[20:23], v7 offset:16
	ds_load_2addr_b64 v[24:27], v6 offset0:32 offset1:48
	ds_load_2addr_b64 v[28:31], v6 offset0:64 offset1:80
	ds_load_b128 v[32:35], v7 offset:32
	ds_load_b128 v[36:39], v7 offset:48
	ds_load_2addr_b64 v[40:43], v6 offset0:96 offset1:112
	ds_load_2addr_b64 v[44:47], v6 offset0:128 offset1:144
	;; [unrolled: 1-line block ×3, first 2 shown]
	ds_load_b128 v[52:55], v7 offset:64
	ds_load_b128 v[56:59], v7 offset:80
	ds_load_2addr_b64 v[60:63], v6 offset0:192 offset1:208
	ds_load_2addr_b64 v[64:67], v6 offset0:224 offset1:240
	ds_load_b128 v[68:71], v7 offset:96
	ds_load_b128 v[72:75], v7 offset:112
	s_cmp_lt_i32 s17, s6
	s_waitcnt lgkmcnt(0)
	s_barrier
	buffer_gl0_inv
	v_dual_mul_f32 v76, v17, v13 :: v_dual_mul_f32 v77, v19, v15
	v_mul_f32_e32 v13, v16, v13
	v_dual_mul_f32 v15, v18, v15 :: v_dual_mul_f32 v78, v21, v25
	v_mul_f32_e32 v25, v20, v25
	s_delay_alu instid0(VALU_DEP_4) | instskip(SKIP_1) | instid1(VALU_DEP_4)
	v_fma_f32 v16, v16, v12, -v76
	v_dual_mul_f32 v79, v23, v27 :: v_dual_mul_f32 v80, v33, v29
	v_fmac_f32_e32 v15, v19, v14
	s_delay_alu instid0(VALU_DEP_4) | instskip(SKIP_4) | instid1(VALU_DEP_4)
	v_fmac_f32_e32 v25, v21, v24
	v_fmac_f32_e32 v13, v17, v12
	v_mul_f32_e32 v83, v39, v43
	v_dual_mul_f32 v27, v22, v27 :: v_dual_mul_f32 v82, v37, v41
	v_mul_f32_e32 v43, v38, v43
	v_add_f32_e32 v10, v10, v13
	v_mul_f32_e32 v29, v32, v29
	v_dual_add_f32 v11, v11, v16 :: v_dual_mul_f32 v16, v72, v65
	v_mul_f32_e32 v17, v54, v47
	s_delay_alu instid0(VALU_DEP_4) | instskip(SKIP_1) | instid1(VALU_DEP_3)
	v_add_f32_e32 v10, v10, v15
	v_dual_mul_f32 v81, v35, v31 :: v_dual_mul_f32 v84, v53, v45
	v_dual_fmac_f32 v16, v73, v64 :: v_dual_fmac_f32 v17, v55, v46
	s_delay_alu instid0(VALU_DEP_3) | instskip(SKIP_3) | instid1(VALU_DEP_4)
	v_dual_fmac_f32 v27, v23, v26 :: v_dual_add_f32 v10, v10, v25
	v_mul_f32_e32 v31, v34, v31
	v_mul_f32_e32 v45, v52, v45
	v_fmac_f32_e32 v29, v33, v28
	v_dual_mul_f32 v41, v36, v41 :: v_dual_add_f32 v10, v10, v27
	v_fma_f32 v12, v18, v14, -v77
	v_dual_mul_f32 v18, v57, v49 :: v_dual_fmac_f32 v31, v35, v30
	v_mul_f32_e32 v14, v55, v47
	s_delay_alu instid0(VALU_DEP_4) | instskip(SKIP_3) | instid1(VALU_DEP_4)
	v_add_f32_e32 v10, v10, v29
	v_mul_f32_e32 v19, v56, v49
	v_add_f32_e32 v11, v11, v12
	v_dual_mul_f32 v12, v75, v67 :: v_dual_fmac_f32 v41, v37, v40
	v_add_f32_e32 v10, v10, v31
	v_mul_f32_e32 v47, v59, v51
	v_fmac_f32_e32 v43, v39, v42
	v_mul_f32_e32 v49, v58, v51
	s_delay_alu instid0(VALU_DEP_4) | instskip(SKIP_2) | instid1(VALU_DEP_4)
	v_dual_fmac_f32 v45, v53, v44 :: v_dual_add_f32 v10, v10, v41
	v_mul_f32_e32 v51, v69, v61
	v_fmac_f32_e32 v19, v57, v48
	v_fmac_f32_e32 v49, v59, v50
	v_mul_f32_e32 v23, v70, v63
	v_add_f32_e32 v10, v10, v43
	v_fma_f32 v20, v20, v24, -v78
	v_mul_f32_e32 v15, v74, v67
	v_fma_f32 v21, v22, v26, -v79
	s_delay_alu instid0(VALU_DEP_4) | instskip(SKIP_1) | instid1(VALU_DEP_4)
	v_dual_fmac_f32 v23, v71, v62 :: v_dual_add_f32 v10, v10, v45
	v_fma_f32 v14, v54, v46, -v14
	v_fmac_f32_e32 v15, v75, v66
	v_fma_f32 v18, v56, v48, -v18
	v_mul_f32_e32 v22, v71, v63
	v_add_f32_e32 v10, v10, v17
	v_mul_f32_e32 v61, v68, v61
	v_fma_f32 v17, v68, v60, -v51
	v_fma_f32 v12, v74, v66, -v12
	s_delay_alu instid0(VALU_DEP_3) | instskip(NEXT) | instid1(VALU_DEP_1)
	v_dual_add_f32 v10, v10, v19 :: v_dual_fmac_f32 v61, v69, v60
	v_add_f32_e32 v10, v10, v49
	s_delay_alu instid0(VALU_DEP_1) | instskip(NEXT) | instid1(VALU_DEP_1)
	v_add_f32_e32 v10, v10, v61
	v_dual_mul_f32 v13, v73, v65 :: v_dual_add_f32 v10, v10, v23
	s_delay_alu instid0(VALU_DEP_1) | instskip(NEXT) | instid1(VALU_DEP_2)
	v_fma_f32 v13, v72, v64, -v13
	v_add_f32_e32 v10, v10, v16
	v_add_f32_e32 v11, v11, v20
	v_fma_f32 v20, v32, v28, -v80
	s_delay_alu instid0(VALU_DEP_2) | instskip(SKIP_1) | instid1(VALU_DEP_2)
	v_dual_add_f32 v10, v10, v15 :: v_dual_add_f32 v11, v11, v21
	v_fma_f32 v21, v34, v30, -v81
	v_add_f32_e32 v11, v11, v20
	v_fma_f32 v20, v36, v40, -v82
	s_delay_alu instid0(VALU_DEP_2) | instskip(SKIP_1) | instid1(VALU_DEP_2)
	v_add_f32_e32 v11, v11, v21
	v_fma_f32 v21, v38, v42, -v83
	v_add_f32_e32 v11, v11, v20
	v_fma_f32 v20, v52, v44, -v84
	s_delay_alu instid0(VALU_DEP_2) | instskip(NEXT) | instid1(VALU_DEP_1)
	v_add_f32_e32 v11, v11, v21
	v_add_f32_e32 v11, v11, v20
	s_delay_alu instid0(VALU_DEP_1) | instskip(SKIP_1) | instid1(VALU_DEP_2)
	v_add_f32_e32 v11, v11, v14
	v_fma_f32 v14, v58, v50, -v47
	v_add_f32_e32 v11, v11, v18
	s_delay_alu instid0(VALU_DEP_1) | instskip(SKIP_1) | instid1(VALU_DEP_2)
	v_add_f32_e32 v11, v11, v14
	v_fma_f32 v14, v70, v62, -v22
	v_add_f32_e32 v11, v11, v17
	s_delay_alu instid0(VALU_DEP_1) | instskip(NEXT) | instid1(VALU_DEP_1)
	v_add_f32_e32 v11, v11, v14
	v_add_f32_e32 v11, v11, v13
	s_delay_alu instid0(VALU_DEP_1)
	v_add_f32_e32 v11, v11, v12
	s_cbranch_scc1 .LBB817_2
.LBB817_3:
	s_mov_b32 s6, exec_lo
	v_cmpx_le_i32_e64 v0, v5
	s_cbranch_execz .LBB817_6
; %bb.4:
	s_load_b32 s0, s[0:1], 0x50
	v_ashrrev_i32_e32 v1, 31, v0
	s_delay_alu instid0(VALU_DEP_1) | instskip(SKIP_2) | instid1(VALU_DEP_1)
	v_lshlrev_b64 v[6:7], 3, v[0:1]
	s_waitcnt lgkmcnt(0)
	v_mad_i64_i32 v[2:3], null, s0, v5, 0
	v_lshlrev_b64 v[2:3], 3, v[2:3]
	s_delay_alu instid0(VALU_DEP_1) | instskip(NEXT) | instid1(VALU_DEP_2)
	v_add_co_u32 v1, vcc_lo, s2, v2
	v_add_co_ci_u32_e32 v2, vcc_lo, s3, v3, vcc_lo
	s_delay_alu instid0(VALU_DEP_2) | instskip(NEXT) | instid1(VALU_DEP_2)
	v_add_co_u32 v1, vcc_lo, v1, v6
	v_add_co_ci_u32_e32 v2, vcc_lo, v2, v7, vcc_lo
	v_cmp_eq_u32_e32 vcc_lo, v0, v5
	global_load_b64 v[3:4], v[1:2], off
	s_waitcnt vmcnt(0)
	v_dual_mul_f32 v7, s8, v10 :: v_dual_mul_f32 v8, s5, v4
	s_delay_alu instid0(VALU_DEP_1) | instskip(SKIP_1) | instid1(VALU_DEP_3)
	v_dual_mul_f32 v6, s9, v10 :: v_dual_fmac_f32 v7, s9, v11
	v_mul_f32_e32 v4, s4, v4
	v_fma_f32 v8, v3, s4, -v8
	s_delay_alu instid0(VALU_DEP_3) | instskip(NEXT) | instid1(VALU_DEP_1)
	v_fma_f32 v6, v11, s8, -v6
	v_dual_fmac_f32 v4, s5, v3 :: v_dual_add_f32 v3, v6, v8
	s_delay_alu instid0(VALU_DEP_1)
	v_add_f32_e32 v4, v7, v4
	global_store_b64 v[1:2], v[3:4], off
	s_and_b32 exec_lo, exec_lo, vcc_lo
	s_cbranch_execz .LBB817_6
; %bb.5:
	v_mov_b32_e32 v0, 0
	global_store_b32 v[1:2], v0, off offset:4
.LBB817_6:
	s_nop 0
	s_sendmsg sendmsg(MSG_DEALLOC_VGPRS)
	s_endpgm
	.section	.rodata,"a",@progbits
	.p2align	6, 0x0
	.amdhsa_kernel _ZL41rocblas_syrkx_herkx_small_restrict_kernelIi19rocblas_complex_numIfELi16ELb0ELb1ELc84ELc85EKPKS1_KPS1_EviT_T0_PT6_S7_lSA_S7_lS8_PT7_S7_li
		.amdhsa_group_segment_fixed_size 4096
		.amdhsa_private_segment_fixed_size 0
		.amdhsa_kernarg_size 100
		.amdhsa_user_sgpr_count 13
		.amdhsa_user_sgpr_dispatch_ptr 0
		.amdhsa_user_sgpr_queue_ptr 0
		.amdhsa_user_sgpr_kernarg_segment_ptr 1
		.amdhsa_user_sgpr_dispatch_id 0
		.amdhsa_user_sgpr_private_segment_size 0
		.amdhsa_wavefront_size32 1
		.amdhsa_uses_dynamic_stack 0
		.amdhsa_enable_private_segment 0
		.amdhsa_system_sgpr_workgroup_id_x 1
		.amdhsa_system_sgpr_workgroup_id_y 1
		.amdhsa_system_sgpr_workgroup_id_z 1
		.amdhsa_system_sgpr_workgroup_info 0
		.amdhsa_system_vgpr_workitem_id 1
		.amdhsa_next_free_vgpr 85
		.amdhsa_next_free_sgpr 20
		.amdhsa_reserve_vcc 1
		.amdhsa_float_round_mode_32 0
		.amdhsa_float_round_mode_16_64 0
		.amdhsa_float_denorm_mode_32 3
		.amdhsa_float_denorm_mode_16_64 3
		.amdhsa_dx10_clamp 1
		.amdhsa_ieee_mode 1
		.amdhsa_fp16_overflow 0
		.amdhsa_workgroup_processor_mode 1
		.amdhsa_memory_ordered 1
		.amdhsa_forward_progress 0
		.amdhsa_shared_vgpr_count 0
		.amdhsa_exception_fp_ieee_invalid_op 0
		.amdhsa_exception_fp_denorm_src 0
		.amdhsa_exception_fp_ieee_div_zero 0
		.amdhsa_exception_fp_ieee_overflow 0
		.amdhsa_exception_fp_ieee_underflow 0
		.amdhsa_exception_fp_ieee_inexact 0
		.amdhsa_exception_int_div_zero 0
	.end_amdhsa_kernel
	.section	.text._ZL41rocblas_syrkx_herkx_small_restrict_kernelIi19rocblas_complex_numIfELi16ELb0ELb1ELc84ELc85EKPKS1_KPS1_EviT_T0_PT6_S7_lSA_S7_lS8_PT7_S7_li,"axG",@progbits,_ZL41rocblas_syrkx_herkx_small_restrict_kernelIi19rocblas_complex_numIfELi16ELb0ELb1ELc84ELc85EKPKS1_KPS1_EviT_T0_PT6_S7_lSA_S7_lS8_PT7_S7_li,comdat
.Lfunc_end817:
	.size	_ZL41rocblas_syrkx_herkx_small_restrict_kernelIi19rocblas_complex_numIfELi16ELb0ELb1ELc84ELc85EKPKS1_KPS1_EviT_T0_PT6_S7_lSA_S7_lS8_PT7_S7_li, .Lfunc_end817-_ZL41rocblas_syrkx_herkx_small_restrict_kernelIi19rocblas_complex_numIfELi16ELb0ELb1ELc84ELc85EKPKS1_KPS1_EviT_T0_PT6_S7_lSA_S7_lS8_PT7_S7_li
                                        ; -- End function
	.section	.AMDGPU.csdata,"",@progbits
; Kernel info:
; codeLenInByte = 1284
; NumSgprs: 22
; NumVgprs: 85
; ScratchSize: 0
; MemoryBound: 0
; FloatMode: 240
; IeeeMode: 1
; LDSByteSize: 4096 bytes/workgroup (compile time only)
; SGPRBlocks: 2
; VGPRBlocks: 10
; NumSGPRsForWavesPerEU: 22
; NumVGPRsForWavesPerEU: 85
; Occupancy: 16
; WaveLimiterHint : 1
; COMPUTE_PGM_RSRC2:SCRATCH_EN: 0
; COMPUTE_PGM_RSRC2:USER_SGPR: 13
; COMPUTE_PGM_RSRC2:TRAP_HANDLER: 0
; COMPUTE_PGM_RSRC2:TGID_X_EN: 1
; COMPUTE_PGM_RSRC2:TGID_Y_EN: 1
; COMPUTE_PGM_RSRC2:TGID_Z_EN: 1
; COMPUTE_PGM_RSRC2:TIDIG_COMP_CNT: 1
	.section	.text._ZL41rocblas_syrkx_herkx_small_restrict_kernelIi19rocblas_complex_numIfELi16ELb0ELb1ELc67ELc85EKPKS1_KPS1_EviT_T0_PT6_S7_lSA_S7_lS8_PT7_S7_li,"axG",@progbits,_ZL41rocblas_syrkx_herkx_small_restrict_kernelIi19rocblas_complex_numIfELi16ELb0ELb1ELc67ELc85EKPKS1_KPS1_EviT_T0_PT6_S7_lSA_S7_lS8_PT7_S7_li,comdat
	.globl	_ZL41rocblas_syrkx_herkx_small_restrict_kernelIi19rocblas_complex_numIfELi16ELb0ELb1ELc67ELc85EKPKS1_KPS1_EviT_T0_PT6_S7_lSA_S7_lS8_PT7_S7_li ; -- Begin function _ZL41rocblas_syrkx_herkx_small_restrict_kernelIi19rocblas_complex_numIfELi16ELb0ELb1ELc67ELc85EKPKS1_KPS1_EviT_T0_PT6_S7_lSA_S7_lS8_PT7_S7_li
	.p2align	8
	.type	_ZL41rocblas_syrkx_herkx_small_restrict_kernelIi19rocblas_complex_numIfELi16ELb0ELb1ELc67ELc85EKPKS1_KPS1_EviT_T0_PT6_S7_lSA_S7_lS8_PT7_S7_li,@function
_ZL41rocblas_syrkx_herkx_small_restrict_kernelIi19rocblas_complex_numIfELi16ELb0ELb1ELc67ELc85EKPKS1_KPS1_EviT_T0_PT6_S7_lSA_S7_lS8_PT7_S7_li: ; @_ZL41rocblas_syrkx_herkx_small_restrict_kernelIi19rocblas_complex_numIfELi16ELb0ELb1ELc67ELc85EKPKS1_KPS1_EviT_T0_PT6_S7_lSA_S7_lS8_PT7_S7_li
; %bb.0:
	s_load_b128 s[4:7], s[0:1], 0x40
	s_mov_b32 s16, s15
	s_mov_b32 s17, 0
	v_dual_mov_b32 v11, 0 :: v_dual_and_b32 v2, 0x3ff, v0
	s_lshl_b64 s[18:19], s[16:17], 3
	v_bfe_u32 v1, v0, 10, 10
	v_mov_b32_e32 v10, 0
	s_delay_alu instid0(VALU_DEP_3) | instskip(NEXT) | instid1(VALU_DEP_3)
	v_lshl_add_u32 v0, s13, 4, v2
	v_lshl_add_u32 v5, s14, 4, v1
	s_waitcnt lgkmcnt(0)
	s_add_u32 s2, s6, s18
	s_load_b32 s6, s[0:1], 0x4
	s_addc_u32 s3, s7, s19
	s_load_b128 s[8:11], s[0:1], 0x8
	s_load_b64 s[2:3], s[2:3], 0x0
	s_waitcnt lgkmcnt(0)
	s_cmp_lt_i32 s6, 1
	s_cbranch_scc1 .LBB818_3
; %bb.1:
	s_clause 0x2
	s_load_b64 s[12:13], s[0:1], 0x28
	s_load_b32 s7, s[0:1], 0x18
	s_load_b32 s14, s[0:1], 0x30
	v_lshlrev_b32_e32 v8, 7, v1
	v_lshlrev_b32_e32 v6, 3, v2
	v_dual_mov_b32 v10, 0 :: v_dual_lshlrev_b32 v13, 3, v1
	s_waitcnt lgkmcnt(0)
	s_add_u32 s12, s12, s18
	s_addc_u32 s13, s13, s19
	s_add_u32 s10, s10, s18
	s_addc_u32 s11, s11, s19
	v_mad_i64_i32 v[3:4], null, s7, v0, 0
	s_load_b64 s[10:11], s[10:11], 0x0
	v_mad_i64_i32 v[11:12], null, s14, v5, 0
	s_load_b64 s[12:13], s[12:13], 0x0
	s_delay_alu instid0(VALU_DEP_2) | instskip(NEXT) | instid1(VALU_DEP_2)
	v_lshlrev_b64 v[1:2], 3, v[3:4]
	v_lshlrev_b64 v[3:4], 3, v[11:12]
	s_delay_alu instid0(VALU_DEP_2) | instskip(NEXT) | instid1(VALU_DEP_3)
	v_add_co_u32 v1, vcc_lo, v1, v13
	v_add_co_ci_u32_e32 v2, vcc_lo, 0, v2, vcc_lo
	s_delay_alu instid0(VALU_DEP_3) | instskip(NEXT) | instid1(VALU_DEP_4)
	v_add_co_u32 v3, vcc_lo, v3, v6
	v_add_co_ci_u32_e32 v4, vcc_lo, 0, v4, vcc_lo
	s_waitcnt lgkmcnt(0)
	v_add_co_u32 v11, vcc_lo, v1, s10
	v_add_co_ci_u32_e32 v12, vcc_lo, s11, v2, vcc_lo
	v_add_co_u32 v1, vcc_lo, s12, v3
	v_add_co_ci_u32_e32 v2, vcc_lo, s13, v4, vcc_lo
	s_delay_alu instid0(VALU_DEP_4) | instskip(SKIP_4) | instid1(VALU_DEP_3)
	v_add_co_u32 v3, vcc_lo, v11, 4
	v_mov_b32_e32 v11, 0
	v_add_nc_u32_e32 v7, 0x800, v8
	v_add_nc_u32_e32 v8, v6, v8
	v_add_co_ci_u32_e32 v4, vcc_lo, 0, v12, vcc_lo
	v_add_nc_u32_e32 v9, v7, v6
.LBB818_2:                              ; =>This Inner Loop Header: Depth=1
	global_load_b64 v[12:13], v[3:4], off offset:-4
	global_load_b64 v[14:15], v[1:2], off
	v_add_co_u32 v1, vcc_lo, 0x80, v1
	v_add_co_ci_u32_e32 v2, vcc_lo, 0, v2, vcc_lo
	v_add_co_u32 v3, vcc_lo, 0x80, v3
	v_add_co_ci_u32_e32 v4, vcc_lo, 0, v4, vcc_lo
	s_add_i32 s17, s17, 16
	s_delay_alu instid0(SALU_CYCLE_1)
	s_cmp_lt_i32 s17, s6
	s_waitcnt vmcnt(1)
	v_xor_b32_e32 v13, 0x80000000, v13
	ds_store_b64 v8, v[12:13]
	s_waitcnt vmcnt(0)
	ds_store_b64 v9, v[14:15]
	s_waitcnt lgkmcnt(0)
	s_barrier
	buffer_gl0_inv
	ds_load_2addr_b64 v[12:15], v6 offset1:16
	ds_load_b128 v[16:19], v7
	ds_load_b128 v[20:23], v7 offset:16
	ds_load_2addr_b64 v[24:27], v6 offset0:32 offset1:48
	ds_load_2addr_b64 v[28:31], v6 offset0:64 offset1:80
	ds_load_b128 v[32:35], v7 offset:32
	ds_load_b128 v[36:39], v7 offset:48
	ds_load_2addr_b64 v[40:43], v6 offset0:96 offset1:112
	ds_load_2addr_b64 v[44:47], v6 offset0:128 offset1:144
	;; [unrolled: 1-line block ×3, first 2 shown]
	ds_load_b128 v[52:55], v7 offset:64
	ds_load_b128 v[56:59], v7 offset:80
	ds_load_2addr_b64 v[60:63], v6 offset0:192 offset1:208
	ds_load_2addr_b64 v[64:67], v6 offset0:224 offset1:240
	ds_load_b128 v[68:71], v7 offset:96
	ds_load_b128 v[72:75], v7 offset:112
	s_waitcnt lgkmcnt(0)
	s_barrier
	buffer_gl0_inv
	v_dual_mul_f32 v76, v17, v13 :: v_dual_mul_f32 v77, v19, v15
	v_mul_f32_e32 v13, v16, v13
	v_dual_mul_f32 v15, v18, v15 :: v_dual_mul_f32 v78, v21, v25
	v_mul_f32_e32 v25, v20, v25
	s_delay_alu instid0(VALU_DEP_4) | instskip(SKIP_1) | instid1(VALU_DEP_4)
	v_fma_f32 v16, v16, v12, -v76
	v_dual_mul_f32 v79, v23, v27 :: v_dual_mul_f32 v80, v33, v29
	v_fmac_f32_e32 v15, v19, v14
	s_delay_alu instid0(VALU_DEP_4) | instskip(SKIP_4) | instid1(VALU_DEP_4)
	v_fmac_f32_e32 v25, v21, v24
	v_fmac_f32_e32 v13, v17, v12
	v_mul_f32_e32 v83, v39, v43
	v_dual_mul_f32 v27, v22, v27 :: v_dual_mul_f32 v82, v37, v41
	v_mul_f32_e32 v43, v38, v43
	v_add_f32_e32 v10, v10, v13
	v_mul_f32_e32 v29, v32, v29
	v_dual_add_f32 v11, v11, v16 :: v_dual_mul_f32 v16, v72, v65
	v_mul_f32_e32 v17, v54, v47
	s_delay_alu instid0(VALU_DEP_4) | instskip(SKIP_1) | instid1(VALU_DEP_3)
	v_add_f32_e32 v10, v10, v15
	v_dual_mul_f32 v81, v35, v31 :: v_dual_mul_f32 v84, v53, v45
	v_dual_fmac_f32 v16, v73, v64 :: v_dual_fmac_f32 v17, v55, v46
	s_delay_alu instid0(VALU_DEP_3) | instskip(SKIP_3) | instid1(VALU_DEP_4)
	v_dual_fmac_f32 v27, v23, v26 :: v_dual_add_f32 v10, v10, v25
	v_mul_f32_e32 v31, v34, v31
	v_mul_f32_e32 v45, v52, v45
	v_fmac_f32_e32 v29, v33, v28
	v_dual_mul_f32 v41, v36, v41 :: v_dual_add_f32 v10, v10, v27
	v_fma_f32 v12, v18, v14, -v77
	v_dual_mul_f32 v18, v57, v49 :: v_dual_fmac_f32 v31, v35, v30
	v_mul_f32_e32 v14, v55, v47
	s_delay_alu instid0(VALU_DEP_4) | instskip(SKIP_3) | instid1(VALU_DEP_4)
	v_add_f32_e32 v10, v10, v29
	v_mul_f32_e32 v19, v56, v49
	v_add_f32_e32 v11, v11, v12
	v_dual_mul_f32 v12, v75, v67 :: v_dual_fmac_f32 v41, v37, v40
	v_add_f32_e32 v10, v10, v31
	v_mul_f32_e32 v47, v59, v51
	v_fmac_f32_e32 v43, v39, v42
	v_mul_f32_e32 v49, v58, v51
	s_delay_alu instid0(VALU_DEP_4) | instskip(SKIP_2) | instid1(VALU_DEP_4)
	v_dual_fmac_f32 v45, v53, v44 :: v_dual_add_f32 v10, v10, v41
	v_mul_f32_e32 v51, v69, v61
	v_fmac_f32_e32 v19, v57, v48
	v_fmac_f32_e32 v49, v59, v50
	v_mul_f32_e32 v23, v70, v63
	v_add_f32_e32 v10, v10, v43
	v_fma_f32 v20, v20, v24, -v78
	v_mul_f32_e32 v15, v74, v67
	v_fma_f32 v21, v22, v26, -v79
	s_delay_alu instid0(VALU_DEP_4) | instskip(SKIP_1) | instid1(VALU_DEP_4)
	v_dual_fmac_f32 v23, v71, v62 :: v_dual_add_f32 v10, v10, v45
	v_fma_f32 v14, v54, v46, -v14
	v_fmac_f32_e32 v15, v75, v66
	v_fma_f32 v18, v56, v48, -v18
	v_mul_f32_e32 v22, v71, v63
	v_add_f32_e32 v10, v10, v17
	v_mul_f32_e32 v61, v68, v61
	v_fma_f32 v17, v68, v60, -v51
	v_fma_f32 v12, v74, v66, -v12
	s_delay_alu instid0(VALU_DEP_3) | instskip(NEXT) | instid1(VALU_DEP_1)
	v_dual_add_f32 v10, v10, v19 :: v_dual_fmac_f32 v61, v69, v60
	v_add_f32_e32 v10, v10, v49
	s_delay_alu instid0(VALU_DEP_1) | instskip(NEXT) | instid1(VALU_DEP_1)
	v_add_f32_e32 v10, v10, v61
	v_dual_mul_f32 v13, v73, v65 :: v_dual_add_f32 v10, v10, v23
	s_delay_alu instid0(VALU_DEP_1) | instskip(NEXT) | instid1(VALU_DEP_2)
	v_fma_f32 v13, v72, v64, -v13
	v_add_f32_e32 v10, v10, v16
	v_add_f32_e32 v11, v11, v20
	v_fma_f32 v20, v32, v28, -v80
	s_delay_alu instid0(VALU_DEP_2) | instskip(SKIP_1) | instid1(VALU_DEP_2)
	v_dual_add_f32 v10, v10, v15 :: v_dual_add_f32 v11, v11, v21
	v_fma_f32 v21, v34, v30, -v81
	v_add_f32_e32 v11, v11, v20
	v_fma_f32 v20, v36, v40, -v82
	s_delay_alu instid0(VALU_DEP_2) | instskip(SKIP_1) | instid1(VALU_DEP_2)
	v_add_f32_e32 v11, v11, v21
	v_fma_f32 v21, v38, v42, -v83
	v_add_f32_e32 v11, v11, v20
	v_fma_f32 v20, v52, v44, -v84
	s_delay_alu instid0(VALU_DEP_2) | instskip(NEXT) | instid1(VALU_DEP_1)
	v_add_f32_e32 v11, v11, v21
	v_add_f32_e32 v11, v11, v20
	s_delay_alu instid0(VALU_DEP_1) | instskip(SKIP_1) | instid1(VALU_DEP_2)
	v_add_f32_e32 v11, v11, v14
	v_fma_f32 v14, v58, v50, -v47
	v_add_f32_e32 v11, v11, v18
	s_delay_alu instid0(VALU_DEP_1) | instskip(SKIP_1) | instid1(VALU_DEP_2)
	v_add_f32_e32 v11, v11, v14
	v_fma_f32 v14, v70, v62, -v22
	v_add_f32_e32 v11, v11, v17
	s_delay_alu instid0(VALU_DEP_1) | instskip(NEXT) | instid1(VALU_DEP_1)
	v_add_f32_e32 v11, v11, v14
	v_add_f32_e32 v11, v11, v13
	s_delay_alu instid0(VALU_DEP_1)
	v_add_f32_e32 v11, v11, v12
	s_cbranch_scc1 .LBB818_2
.LBB818_3:
	s_mov_b32 s6, exec_lo
	v_cmpx_le_i32_e64 v0, v5
	s_cbranch_execz .LBB818_6
; %bb.4:
	s_load_b32 s0, s[0:1], 0x50
	v_ashrrev_i32_e32 v1, 31, v0
	s_delay_alu instid0(VALU_DEP_1) | instskip(SKIP_2) | instid1(VALU_DEP_1)
	v_lshlrev_b64 v[6:7], 3, v[0:1]
	s_waitcnt lgkmcnt(0)
	v_mad_i64_i32 v[2:3], null, s0, v5, 0
	v_lshlrev_b64 v[2:3], 3, v[2:3]
	s_delay_alu instid0(VALU_DEP_1) | instskip(NEXT) | instid1(VALU_DEP_2)
	v_add_co_u32 v1, vcc_lo, s2, v2
	v_add_co_ci_u32_e32 v2, vcc_lo, s3, v3, vcc_lo
	s_delay_alu instid0(VALU_DEP_2) | instskip(NEXT) | instid1(VALU_DEP_2)
	v_add_co_u32 v1, vcc_lo, v1, v6
	v_add_co_ci_u32_e32 v2, vcc_lo, v2, v7, vcc_lo
	v_cmp_eq_u32_e32 vcc_lo, v0, v5
	global_load_b64 v[3:4], v[1:2], off
	s_waitcnt vmcnt(0)
	v_dual_mul_f32 v7, s8, v10 :: v_dual_mul_f32 v8, s5, v4
	s_delay_alu instid0(VALU_DEP_1) | instskip(SKIP_1) | instid1(VALU_DEP_3)
	v_dual_mul_f32 v6, s9, v10 :: v_dual_fmac_f32 v7, s9, v11
	v_mul_f32_e32 v4, s4, v4
	v_fma_f32 v8, v3, s4, -v8
	s_delay_alu instid0(VALU_DEP_3) | instskip(NEXT) | instid1(VALU_DEP_1)
	v_fma_f32 v6, v11, s8, -v6
	v_dual_fmac_f32 v4, s5, v3 :: v_dual_add_f32 v3, v6, v8
	s_delay_alu instid0(VALU_DEP_1)
	v_add_f32_e32 v4, v7, v4
	global_store_b64 v[1:2], v[3:4], off
	s_and_b32 exec_lo, exec_lo, vcc_lo
	s_cbranch_execz .LBB818_6
; %bb.5:
	v_mov_b32_e32 v0, 0
	global_store_b32 v[1:2], v0, off offset:4
.LBB818_6:
	s_nop 0
	s_sendmsg sendmsg(MSG_DEALLOC_VGPRS)
	s_endpgm
	.section	.rodata,"a",@progbits
	.p2align	6, 0x0
	.amdhsa_kernel _ZL41rocblas_syrkx_herkx_small_restrict_kernelIi19rocblas_complex_numIfELi16ELb0ELb1ELc67ELc85EKPKS1_KPS1_EviT_T0_PT6_S7_lSA_S7_lS8_PT7_S7_li
		.amdhsa_group_segment_fixed_size 4096
		.amdhsa_private_segment_fixed_size 0
		.amdhsa_kernarg_size 100
		.amdhsa_user_sgpr_count 13
		.amdhsa_user_sgpr_dispatch_ptr 0
		.amdhsa_user_sgpr_queue_ptr 0
		.amdhsa_user_sgpr_kernarg_segment_ptr 1
		.amdhsa_user_sgpr_dispatch_id 0
		.amdhsa_user_sgpr_private_segment_size 0
		.amdhsa_wavefront_size32 1
		.amdhsa_uses_dynamic_stack 0
		.amdhsa_enable_private_segment 0
		.amdhsa_system_sgpr_workgroup_id_x 1
		.amdhsa_system_sgpr_workgroup_id_y 1
		.amdhsa_system_sgpr_workgroup_id_z 1
		.amdhsa_system_sgpr_workgroup_info 0
		.amdhsa_system_vgpr_workitem_id 1
		.amdhsa_next_free_vgpr 85
		.amdhsa_next_free_sgpr 20
		.amdhsa_reserve_vcc 1
		.amdhsa_float_round_mode_32 0
		.amdhsa_float_round_mode_16_64 0
		.amdhsa_float_denorm_mode_32 3
		.amdhsa_float_denorm_mode_16_64 3
		.amdhsa_dx10_clamp 1
		.amdhsa_ieee_mode 1
		.amdhsa_fp16_overflow 0
		.amdhsa_workgroup_processor_mode 1
		.amdhsa_memory_ordered 1
		.amdhsa_forward_progress 0
		.amdhsa_shared_vgpr_count 0
		.amdhsa_exception_fp_ieee_invalid_op 0
		.amdhsa_exception_fp_denorm_src 0
		.amdhsa_exception_fp_ieee_div_zero 0
		.amdhsa_exception_fp_ieee_overflow 0
		.amdhsa_exception_fp_ieee_underflow 0
		.amdhsa_exception_fp_ieee_inexact 0
		.amdhsa_exception_int_div_zero 0
	.end_amdhsa_kernel
	.section	.text._ZL41rocblas_syrkx_herkx_small_restrict_kernelIi19rocblas_complex_numIfELi16ELb0ELb1ELc67ELc85EKPKS1_KPS1_EviT_T0_PT6_S7_lSA_S7_lS8_PT7_S7_li,"axG",@progbits,_ZL41rocblas_syrkx_herkx_small_restrict_kernelIi19rocblas_complex_numIfELi16ELb0ELb1ELc67ELc85EKPKS1_KPS1_EviT_T0_PT6_S7_lSA_S7_lS8_PT7_S7_li,comdat
.Lfunc_end818:
	.size	_ZL41rocblas_syrkx_herkx_small_restrict_kernelIi19rocblas_complex_numIfELi16ELb0ELb1ELc67ELc85EKPKS1_KPS1_EviT_T0_PT6_S7_lSA_S7_lS8_PT7_S7_li, .Lfunc_end818-_ZL41rocblas_syrkx_herkx_small_restrict_kernelIi19rocblas_complex_numIfELi16ELb0ELb1ELc67ELc85EKPKS1_KPS1_EviT_T0_PT6_S7_lSA_S7_lS8_PT7_S7_li
                                        ; -- End function
	.section	.AMDGPU.csdata,"",@progbits
; Kernel info:
; codeLenInByte = 1304
; NumSgprs: 22
; NumVgprs: 85
; ScratchSize: 0
; MemoryBound: 0
; FloatMode: 240
; IeeeMode: 1
; LDSByteSize: 4096 bytes/workgroup (compile time only)
; SGPRBlocks: 2
; VGPRBlocks: 10
; NumSGPRsForWavesPerEU: 22
; NumVGPRsForWavesPerEU: 85
; Occupancy: 16
; WaveLimiterHint : 1
; COMPUTE_PGM_RSRC2:SCRATCH_EN: 0
; COMPUTE_PGM_RSRC2:USER_SGPR: 13
; COMPUTE_PGM_RSRC2:TRAP_HANDLER: 0
; COMPUTE_PGM_RSRC2:TGID_X_EN: 1
; COMPUTE_PGM_RSRC2:TGID_Y_EN: 1
; COMPUTE_PGM_RSRC2:TGID_Z_EN: 1
; COMPUTE_PGM_RSRC2:TIDIG_COMP_CNT: 1
	.section	.text._ZL41rocblas_syrkx_herkx_small_restrict_kernelIi19rocblas_complex_numIfELi16ELb0ELb1ELc78ELc85EKPKS1_KPS1_EviT_T0_PT6_S7_lSA_S7_lS8_PT7_S7_li,"axG",@progbits,_ZL41rocblas_syrkx_herkx_small_restrict_kernelIi19rocblas_complex_numIfELi16ELb0ELb1ELc78ELc85EKPKS1_KPS1_EviT_T0_PT6_S7_lSA_S7_lS8_PT7_S7_li,comdat
	.globl	_ZL41rocblas_syrkx_herkx_small_restrict_kernelIi19rocblas_complex_numIfELi16ELb0ELb1ELc78ELc85EKPKS1_KPS1_EviT_T0_PT6_S7_lSA_S7_lS8_PT7_S7_li ; -- Begin function _ZL41rocblas_syrkx_herkx_small_restrict_kernelIi19rocblas_complex_numIfELi16ELb0ELb1ELc78ELc85EKPKS1_KPS1_EviT_T0_PT6_S7_lSA_S7_lS8_PT7_S7_li
	.p2align	8
	.type	_ZL41rocblas_syrkx_herkx_small_restrict_kernelIi19rocblas_complex_numIfELi16ELb0ELb1ELc78ELc85EKPKS1_KPS1_EviT_T0_PT6_S7_lSA_S7_lS8_PT7_S7_li,@function
_ZL41rocblas_syrkx_herkx_small_restrict_kernelIi19rocblas_complex_numIfELi16ELb0ELb1ELc78ELc85EKPKS1_KPS1_EviT_T0_PT6_S7_lSA_S7_lS8_PT7_S7_li: ; @_ZL41rocblas_syrkx_herkx_small_restrict_kernelIi19rocblas_complex_numIfELi16ELb0ELb1ELc78ELc85EKPKS1_KPS1_EviT_T0_PT6_S7_lSA_S7_lS8_PT7_S7_li
; %bb.0:
	s_clause 0x1
	s_load_b128 s[4:7], s[0:1], 0x40
	s_load_b32 s12, s[0:1], 0x4
	s_mov_b32 s16, s15
	s_mov_b32 s17, 0
	v_dual_mov_b32 v12, 0 :: v_dual_and_b32 v5, 0x3ff, v0
	s_lshl_b64 s[18:19], s[16:17], 3
	v_bfe_u32 v4, v0, 10, 10
	v_mov_b32_e32 v11, 0
	s_delay_alu instid0(VALU_DEP_3) | instskip(NEXT) | instid1(VALU_DEP_3)
	v_lshl_add_u32 v0, s13, 4, v5
	v_lshl_add_u32 v2, s14, 4, v4
	s_delay_alu instid0(VALU_DEP_2)
	v_ashrrev_i32_e32 v1, 31, v0
	s_waitcnt lgkmcnt(0)
	s_add_u32 s2, s6, s18
	s_addc_u32 s3, s7, s19
	s_load_b128 s[8:11], s[0:1], 0x8
	s_load_b64 s[2:3], s[2:3], 0x0
	s_cmp_lt_i32 s12, 1
	s_cbranch_scc1 .LBB819_3
; %bb.1:
	s_clause 0x2
	s_load_b32 s14, s[0:1], 0x18
	s_load_b32 s6, s[0:1], 0x30
	s_load_b64 s[20:21], s[0:1], 0x28
	v_lshlrev_b32_e32 v7, 3, v5
	v_ashrrev_i32_e32 v3, 31, v2
	v_dual_mov_b32 v11, 0 :: v_dual_lshlrev_b32 v16, 7, v4
	v_lshlrev_b64 v[12:13], 3, v[0:1]
	s_delay_alu instid0(VALU_DEP_2)
	v_add_nc_u32_e32 v8, 0x800, v16
	s_waitcnt lgkmcnt(0)
	s_ashr_i32 s15, s14, 31
	s_ashr_i32 s7, s6, 31
	s_add_u32 s20, s20, s18
	s_addc_u32 s21, s21, s19
	v_mad_i64_i32 v[9:10], null, s6, v5, 0
	s_load_b64 s[20:21], s[20:21], 0x0
	s_add_u32 s10, s10, s18
	s_addc_u32 s11, s11, s19
	v_mad_i64_i32 v[5:6], null, s14, v4, 0
	s_load_b64 s[10:11], s[10:11], 0x0
	v_lshlrev_b64 v[3:4], 3, v[2:3]
	s_delay_alu instid0(VALU_DEP_3) | instskip(SKIP_1) | instid1(VALU_DEP_3)
	v_lshlrev_b64 v[14:15], 3, v[9:10]
	s_lshl_b64 s[6:7], s[6:7], 7
	v_lshlrev_b64 v[5:6], 3, v[5:6]
	s_delay_alu instid0(VALU_DEP_2) | instskip(NEXT) | instid1(VALU_DEP_3)
	v_add_co_u32 v3, vcc_lo, v14, v3
	v_add_co_ci_u32_e32 v4, vcc_lo, v15, v4, vcc_lo
	s_delay_alu instid0(VALU_DEP_3) | instskip(NEXT) | instid1(VALU_DEP_4)
	v_add_co_u32 v5, vcc_lo, v5, v12
	v_add_co_ci_u32_e32 v6, vcc_lo, v6, v13, vcc_lo
	s_waitcnt lgkmcnt(0)
	v_add_co_u32 v12, vcc_lo, v3, s20
	v_add_co_ci_u32_e32 v13, vcc_lo, s21, v4, vcc_lo
	v_add_co_u32 v3, vcc_lo, s10, v5
	v_add_co_ci_u32_e32 v4, vcc_lo, s11, v6, vcc_lo
	s_delay_alu instid0(VALU_DEP_4) | instskip(NEXT) | instid1(VALU_DEP_4)
	v_add_co_u32 v5, vcc_lo, v12, 4
	v_add_co_ci_u32_e32 v6, vcc_lo, 0, v13, vcc_lo
	v_dual_mov_b32 v12, 0 :: v_dual_add_nc_u32 v9, v7, v16
	v_add_nc_u32_e32 v10, v8, v7
	s_lshl_b64 s[10:11], s[14:15], 7
.LBB819_2:                              ; =>This Inner Loop Header: Depth=1
	global_load_b64 v[13:14], v[5:6], off offset:-4
	global_load_b64 v[15:16], v[3:4], off
	v_add_co_u32 v5, vcc_lo, v5, s6
	v_add_co_ci_u32_e32 v6, vcc_lo, s7, v6, vcc_lo
	v_add_co_u32 v3, vcc_lo, v3, s10
	v_add_co_ci_u32_e32 v4, vcc_lo, s11, v4, vcc_lo
	s_add_i32 s17, s17, 16
	s_delay_alu instid0(SALU_CYCLE_1)
	s_cmp_lt_i32 s17, s12
	s_waitcnt vmcnt(1)
	v_xor_b32_e32 v14, 0x80000000, v14
	s_waitcnt vmcnt(0)
	ds_store_b64 v9, v[15:16]
	ds_store_b64 v10, v[13:14]
	s_waitcnt lgkmcnt(0)
	s_barrier
	buffer_gl0_inv
	ds_load_2addr_b64 v[13:16], v7 offset1:16
	ds_load_b128 v[17:20], v8
	ds_load_b128 v[21:24], v8 offset:16
	ds_load_2addr_b64 v[25:28], v7 offset0:32 offset1:48
	ds_load_2addr_b64 v[29:32], v7 offset0:64 offset1:80
	ds_load_b128 v[33:36], v8 offset:32
	ds_load_b128 v[37:40], v8 offset:48
	ds_load_2addr_b64 v[41:44], v7 offset0:96 offset1:112
	ds_load_2addr_b64 v[45:48], v7 offset0:128 offset1:144
	;; [unrolled: 1-line block ×3, first 2 shown]
	ds_load_b128 v[53:56], v8 offset:64
	ds_load_b128 v[57:60], v8 offset:80
	ds_load_2addr_b64 v[61:64], v7 offset0:192 offset1:208
	ds_load_2addr_b64 v[65:68], v7 offset0:224 offset1:240
	ds_load_b128 v[69:72], v8 offset:96
	ds_load_b128 v[73:76], v8 offset:112
	s_waitcnt lgkmcnt(0)
	s_barrier
	buffer_gl0_inv
	v_dual_mul_f32 v77, v18, v14 :: v_dual_mul_f32 v78, v20, v16
	v_mul_f32_e32 v14, v17, v14
	v_dual_mul_f32 v16, v19, v16 :: v_dual_mul_f32 v79, v22, v26
	v_mul_f32_e32 v26, v21, v26
	s_delay_alu instid0(VALU_DEP_4) | instskip(SKIP_1) | instid1(VALU_DEP_4)
	v_fma_f32 v17, v17, v13, -v77
	v_dual_mul_f32 v80, v24, v28 :: v_dual_mul_f32 v81, v34, v30
	v_fmac_f32_e32 v16, v20, v15
	s_delay_alu instid0(VALU_DEP_4) | instskip(SKIP_4) | instid1(VALU_DEP_4)
	v_fmac_f32_e32 v26, v22, v25
	v_fmac_f32_e32 v14, v18, v13
	v_mul_f32_e32 v84, v40, v44
	v_dual_mul_f32 v28, v23, v28 :: v_dual_mul_f32 v83, v38, v42
	v_mul_f32_e32 v44, v39, v44
	v_add_f32_e32 v11, v11, v14
	v_mul_f32_e32 v30, v33, v30
	v_dual_add_f32 v12, v12, v17 :: v_dual_mul_f32 v17, v73, v66
	v_mul_f32_e32 v18, v55, v48
	s_delay_alu instid0(VALU_DEP_4) | instskip(SKIP_1) | instid1(VALU_DEP_3)
	v_add_f32_e32 v11, v11, v16
	v_dual_mul_f32 v82, v36, v32 :: v_dual_mul_f32 v85, v54, v46
	v_dual_fmac_f32 v17, v74, v65 :: v_dual_fmac_f32 v18, v56, v47
	s_delay_alu instid0(VALU_DEP_3) | instskip(SKIP_3) | instid1(VALU_DEP_4)
	v_dual_fmac_f32 v28, v24, v27 :: v_dual_add_f32 v11, v11, v26
	v_mul_f32_e32 v32, v35, v32
	v_mul_f32_e32 v46, v53, v46
	v_fmac_f32_e32 v30, v34, v29
	v_dual_mul_f32 v42, v37, v42 :: v_dual_add_f32 v11, v11, v28
	v_fma_f32 v13, v19, v15, -v78
	v_dual_mul_f32 v19, v58, v50 :: v_dual_fmac_f32 v32, v36, v31
	v_mul_f32_e32 v15, v56, v48
	s_delay_alu instid0(VALU_DEP_4) | instskip(SKIP_3) | instid1(VALU_DEP_4)
	v_add_f32_e32 v11, v11, v30
	v_mul_f32_e32 v20, v57, v50
	v_add_f32_e32 v12, v12, v13
	v_dual_mul_f32 v13, v76, v68 :: v_dual_fmac_f32 v42, v38, v41
	v_add_f32_e32 v11, v11, v32
	v_mul_f32_e32 v48, v60, v52
	v_fmac_f32_e32 v44, v40, v43
	v_mul_f32_e32 v50, v59, v52
	s_delay_alu instid0(VALU_DEP_4) | instskip(SKIP_2) | instid1(VALU_DEP_4)
	v_dual_fmac_f32 v46, v54, v45 :: v_dual_add_f32 v11, v11, v42
	v_mul_f32_e32 v52, v70, v62
	v_fmac_f32_e32 v20, v58, v49
	v_fmac_f32_e32 v50, v60, v51
	v_mul_f32_e32 v24, v71, v64
	v_add_f32_e32 v11, v11, v44
	v_fma_f32 v21, v21, v25, -v79
	v_mul_f32_e32 v16, v75, v68
	v_fma_f32 v22, v23, v27, -v80
	s_delay_alu instid0(VALU_DEP_4) | instskip(SKIP_1) | instid1(VALU_DEP_4)
	v_dual_fmac_f32 v24, v72, v63 :: v_dual_add_f32 v11, v11, v46
	v_fma_f32 v15, v55, v47, -v15
	v_fmac_f32_e32 v16, v76, v67
	v_fma_f32 v19, v57, v49, -v19
	v_mul_f32_e32 v23, v72, v64
	v_add_f32_e32 v11, v11, v18
	v_mul_f32_e32 v62, v69, v62
	v_fma_f32 v18, v69, v61, -v52
	v_fma_f32 v13, v75, v67, -v13
	s_delay_alu instid0(VALU_DEP_3) | instskip(NEXT) | instid1(VALU_DEP_1)
	v_dual_add_f32 v11, v11, v20 :: v_dual_fmac_f32 v62, v70, v61
	v_add_f32_e32 v11, v11, v50
	s_delay_alu instid0(VALU_DEP_1) | instskip(NEXT) | instid1(VALU_DEP_1)
	v_add_f32_e32 v11, v11, v62
	v_dual_mul_f32 v14, v74, v66 :: v_dual_add_f32 v11, v11, v24
	s_delay_alu instid0(VALU_DEP_1) | instskip(NEXT) | instid1(VALU_DEP_2)
	v_fma_f32 v14, v73, v65, -v14
	v_add_f32_e32 v11, v11, v17
	v_add_f32_e32 v12, v12, v21
	v_fma_f32 v21, v33, v29, -v81
	s_delay_alu instid0(VALU_DEP_2) | instskip(SKIP_1) | instid1(VALU_DEP_2)
	v_dual_add_f32 v11, v11, v16 :: v_dual_add_f32 v12, v12, v22
	v_fma_f32 v22, v35, v31, -v82
	v_add_f32_e32 v12, v12, v21
	v_fma_f32 v21, v37, v41, -v83
	s_delay_alu instid0(VALU_DEP_2) | instskip(SKIP_1) | instid1(VALU_DEP_2)
	v_add_f32_e32 v12, v12, v22
	v_fma_f32 v22, v39, v43, -v84
	v_add_f32_e32 v12, v12, v21
	v_fma_f32 v21, v53, v45, -v85
	s_delay_alu instid0(VALU_DEP_2) | instskip(NEXT) | instid1(VALU_DEP_1)
	v_add_f32_e32 v12, v12, v22
	v_add_f32_e32 v12, v12, v21
	s_delay_alu instid0(VALU_DEP_1) | instskip(SKIP_1) | instid1(VALU_DEP_2)
	v_add_f32_e32 v12, v12, v15
	v_fma_f32 v15, v59, v51, -v48
	v_add_f32_e32 v12, v12, v19
	s_delay_alu instid0(VALU_DEP_1) | instskip(SKIP_1) | instid1(VALU_DEP_2)
	v_add_f32_e32 v12, v12, v15
	v_fma_f32 v15, v71, v63, -v23
	v_add_f32_e32 v12, v12, v18
	s_delay_alu instid0(VALU_DEP_1) | instskip(NEXT) | instid1(VALU_DEP_1)
	v_add_f32_e32 v12, v12, v15
	v_add_f32_e32 v12, v12, v14
	s_delay_alu instid0(VALU_DEP_1)
	v_add_f32_e32 v12, v12, v13
	s_cbranch_scc1 .LBB819_2
.LBB819_3:
	s_mov_b32 s6, exec_lo
	v_cmpx_le_i32_e64 v0, v2
	s_cbranch_execz .LBB819_6
; %bb.4:
	s_load_b32 s0, s[0:1], 0x50
	v_lshlrev_b64 v[5:6], 3, v[0:1]
	s_waitcnt lgkmcnt(0)
	v_mad_i64_i32 v[3:4], null, s0, v2, 0
	s_delay_alu instid0(VALU_DEP_1) | instskip(NEXT) | instid1(VALU_DEP_1)
	v_lshlrev_b64 v[3:4], 3, v[3:4]
	v_add_co_u32 v1, vcc_lo, s2, v3
	s_delay_alu instid0(VALU_DEP_2) | instskip(NEXT) | instid1(VALU_DEP_2)
	v_add_co_ci_u32_e32 v4, vcc_lo, s3, v4, vcc_lo
	v_add_co_u32 v3, vcc_lo, v1, v5
	s_delay_alu instid0(VALU_DEP_2)
	v_add_co_ci_u32_e32 v4, vcc_lo, v4, v6, vcc_lo
	v_cmp_eq_u32_e32 vcc_lo, v0, v2
	global_load_b64 v[5:6], v[3:4], off
	v_mul_f32_e32 v1, s9, v11
	s_waitcnt vmcnt(0)
	v_dual_mul_f32 v7, s8, v11 :: v_dual_mul_f32 v8, s5, v6
	v_mul_f32_e32 v6, s4, v6
	s_delay_alu instid0(VALU_DEP_3) | instskip(NEXT) | instid1(VALU_DEP_3)
	v_fma_f32 v1, v12, s8, -v1
	v_fmac_f32_e32 v7, s9, v12
	s_delay_alu instid0(VALU_DEP_4) | instskip(NEXT) | instid1(VALU_DEP_1)
	v_fma_f32 v8, v5, s4, -v8
	v_dual_fmac_f32 v6, s5, v5 :: v_dual_add_f32 v5, v1, v8
	s_delay_alu instid0(VALU_DEP_1)
	v_add_f32_e32 v6, v7, v6
	global_store_b64 v[3:4], v[5:6], off
	s_and_b32 exec_lo, exec_lo, vcc_lo
	s_cbranch_execz .LBB819_6
; %bb.5:
	v_mov_b32_e32 v0, 0
	global_store_b32 v[3:4], v0, off offset:4
.LBB819_6:
	s_nop 0
	s_sendmsg sendmsg(MSG_DEALLOC_VGPRS)
	s_endpgm
	.section	.rodata,"a",@progbits
	.p2align	6, 0x0
	.amdhsa_kernel _ZL41rocblas_syrkx_herkx_small_restrict_kernelIi19rocblas_complex_numIfELi16ELb0ELb1ELc78ELc85EKPKS1_KPS1_EviT_T0_PT6_S7_lSA_S7_lS8_PT7_S7_li
		.amdhsa_group_segment_fixed_size 4096
		.amdhsa_private_segment_fixed_size 0
		.amdhsa_kernarg_size 100
		.amdhsa_user_sgpr_count 13
		.amdhsa_user_sgpr_dispatch_ptr 0
		.amdhsa_user_sgpr_queue_ptr 0
		.amdhsa_user_sgpr_kernarg_segment_ptr 1
		.amdhsa_user_sgpr_dispatch_id 0
		.amdhsa_user_sgpr_private_segment_size 0
		.amdhsa_wavefront_size32 1
		.amdhsa_uses_dynamic_stack 0
		.amdhsa_enable_private_segment 0
		.amdhsa_system_sgpr_workgroup_id_x 1
		.amdhsa_system_sgpr_workgroup_id_y 1
		.amdhsa_system_sgpr_workgroup_id_z 1
		.amdhsa_system_sgpr_workgroup_info 0
		.amdhsa_system_vgpr_workitem_id 1
		.amdhsa_next_free_vgpr 86
		.amdhsa_next_free_sgpr 22
		.amdhsa_reserve_vcc 1
		.amdhsa_float_round_mode_32 0
		.amdhsa_float_round_mode_16_64 0
		.amdhsa_float_denorm_mode_32 3
		.amdhsa_float_denorm_mode_16_64 3
		.amdhsa_dx10_clamp 1
		.amdhsa_ieee_mode 1
		.amdhsa_fp16_overflow 0
		.amdhsa_workgroup_processor_mode 1
		.amdhsa_memory_ordered 1
		.amdhsa_forward_progress 0
		.amdhsa_shared_vgpr_count 0
		.amdhsa_exception_fp_ieee_invalid_op 0
		.amdhsa_exception_fp_denorm_src 0
		.amdhsa_exception_fp_ieee_div_zero 0
		.amdhsa_exception_fp_ieee_overflow 0
		.amdhsa_exception_fp_ieee_underflow 0
		.amdhsa_exception_fp_ieee_inexact 0
		.amdhsa_exception_int_div_zero 0
	.end_amdhsa_kernel
	.section	.text._ZL41rocblas_syrkx_herkx_small_restrict_kernelIi19rocblas_complex_numIfELi16ELb0ELb1ELc78ELc85EKPKS1_KPS1_EviT_T0_PT6_S7_lSA_S7_lS8_PT7_S7_li,"axG",@progbits,_ZL41rocblas_syrkx_herkx_small_restrict_kernelIi19rocblas_complex_numIfELi16ELb0ELb1ELc78ELc85EKPKS1_KPS1_EviT_T0_PT6_S7_lSA_S7_lS8_PT7_S7_li,comdat
.Lfunc_end819:
	.size	_ZL41rocblas_syrkx_herkx_small_restrict_kernelIi19rocblas_complex_numIfELi16ELb0ELb1ELc78ELc85EKPKS1_KPS1_EviT_T0_PT6_S7_lSA_S7_lS8_PT7_S7_li, .Lfunc_end819-_ZL41rocblas_syrkx_herkx_small_restrict_kernelIi19rocblas_complex_numIfELi16ELb0ELb1ELc78ELc85EKPKS1_KPS1_EviT_T0_PT6_S7_lSA_S7_lS8_PT7_S7_li
                                        ; -- End function
	.section	.AMDGPU.csdata,"",@progbits
; Kernel info:
; codeLenInByte = 1336
; NumSgprs: 24
; NumVgprs: 86
; ScratchSize: 0
; MemoryBound: 0
; FloatMode: 240
; IeeeMode: 1
; LDSByteSize: 4096 bytes/workgroup (compile time only)
; SGPRBlocks: 2
; VGPRBlocks: 10
; NumSGPRsForWavesPerEU: 24
; NumVGPRsForWavesPerEU: 86
; Occupancy: 16
; WaveLimiterHint : 1
; COMPUTE_PGM_RSRC2:SCRATCH_EN: 0
; COMPUTE_PGM_RSRC2:USER_SGPR: 13
; COMPUTE_PGM_RSRC2:TRAP_HANDLER: 0
; COMPUTE_PGM_RSRC2:TGID_X_EN: 1
; COMPUTE_PGM_RSRC2:TGID_Y_EN: 1
; COMPUTE_PGM_RSRC2:TGID_Z_EN: 1
; COMPUTE_PGM_RSRC2:TIDIG_COMP_CNT: 1
	.section	.text._ZL32rocblas_syrkx_herkx_small_kernelIi19rocblas_complex_numIfELi16ELb1ELb1ELc84ELc76EKPKS1_KPS1_EviT_T0_PT6_S7_lSA_S7_lS8_PT7_S7_li,"axG",@progbits,_ZL32rocblas_syrkx_herkx_small_kernelIi19rocblas_complex_numIfELi16ELb1ELb1ELc84ELc76EKPKS1_KPS1_EviT_T0_PT6_S7_lSA_S7_lS8_PT7_S7_li,comdat
	.globl	_ZL32rocblas_syrkx_herkx_small_kernelIi19rocblas_complex_numIfELi16ELb1ELb1ELc84ELc76EKPKS1_KPS1_EviT_T0_PT6_S7_lSA_S7_lS8_PT7_S7_li ; -- Begin function _ZL32rocblas_syrkx_herkx_small_kernelIi19rocblas_complex_numIfELi16ELb1ELb1ELc84ELc76EKPKS1_KPS1_EviT_T0_PT6_S7_lSA_S7_lS8_PT7_S7_li
	.p2align	8
	.type	_ZL32rocblas_syrkx_herkx_small_kernelIi19rocblas_complex_numIfELi16ELb1ELb1ELc84ELc76EKPKS1_KPS1_EviT_T0_PT6_S7_lSA_S7_lS8_PT7_S7_li,@function
_ZL32rocblas_syrkx_herkx_small_kernelIi19rocblas_complex_numIfELi16ELb1ELb1ELc84ELc76EKPKS1_KPS1_EviT_T0_PT6_S7_lSA_S7_lS8_PT7_S7_li: ; @_ZL32rocblas_syrkx_herkx_small_kernelIi19rocblas_complex_numIfELi16ELb1ELb1ELc84ELc76EKPKS1_KPS1_EviT_T0_PT6_S7_lSA_S7_lS8_PT7_S7_li
; %bb.0:
	s_clause 0x1
	s_load_b64 s[2:3], s[0:1], 0x48
	s_load_b64 s[16:17], s[0:1], 0x0
	s_mov_b32 s10, s15
	s_mov_b32 s11, 0
	v_dual_mov_b32 v15, 0 :: v_dual_and_b32 v8, 0x3ff, v0
	s_lshl_b64 s[18:19], s[10:11], 3
	v_bfe_u32 v9, v0, 10, 10
	v_mov_b32_e32 v14, 0
	s_delay_alu instid0(VALU_DEP_3) | instskip(NEXT) | instid1(VALU_DEP_3)
	v_lshl_add_u32 v0, s13, 4, v8
	v_lshl_add_u32 v7, s14, 4, v9
	s_waitcnt lgkmcnt(0)
	s_add_u32 s2, s2, s18
	s_addc_u32 s3, s3, s19
	s_load_b128 s[4:7], s[0:1], 0x8
	s_load_b64 s[8:9], s[2:3], 0x0
	v_cmp_gt_i32_e32 vcc_lo, s16, v0
	s_cmp_lt_i32 s17, 1
	s_cbranch_scc1 .LBB820_11
; %bb.1:
	s_clause 0x2
	s_load_b64 s[12:13], s[0:1], 0x28
	s_load_b32 s3, s[0:1], 0x30
	s_load_b32 s10, s[0:1], 0x18
	v_lshlrev_b32_e32 v10, 3, v8
	v_dual_mov_b32 v1, 0 :: v_dual_lshlrev_b32 v6, 7, v9
	v_dual_mov_b32 v14, 0 :: v_dual_lshlrev_b32 v15, 3, v9
	v_cmp_gt_i32_e64 s2, s16, v7
	s_delay_alu instid0(VALU_DEP_3)
	v_add_nc_u32_e32 v11, 0x800, v6
	v_add_nc_u32_e32 v12, v10, v6
	s_waitcnt lgkmcnt(0)
	s_add_u32 s12, s12, s18
	s_addc_u32 s13, s13, s19
	v_mad_i64_i32 v[2:3], null, s3, v7, 0
	s_load_b64 s[12:13], s[12:13], 0x0
	s_add_u32 s6, s6, s18
	s_addc_u32 s7, s7, s19
	v_mad_i64_i32 v[4:5], null, s10, v0, 0
	s_load_b64 s[6:7], s[6:7], 0x0
	s_delay_alu instid0(VALU_DEP_2) | instskip(SKIP_1) | instid1(VALU_DEP_2)
	v_lshlrev_b64 v[2:3], 3, v[2:3]
	s_xor_b32 s2, s2, -1
	v_lshlrev_b64 v[4:5], 3, v[4:5]
	s_delay_alu instid0(VALU_DEP_2) | instskip(NEXT) | instid1(VALU_DEP_1)
	v_add_co_u32 v2, s3, v2, v10
	v_add_co_ci_u32_e64 v6, s3, 0, v3, s3
	s_delay_alu instid0(VALU_DEP_3) | instskip(NEXT) | instid1(VALU_DEP_1)
	v_add_co_u32 v15, s3, v4, v15
	v_add_co_ci_u32_e64 v16, s3, 0, v5, s3
	s_waitcnt lgkmcnt(0)
	v_add_co_u32 v3, s3, s12, v2
	s_delay_alu instid0(VALU_DEP_1) | instskip(SKIP_1) | instid1(VALU_DEP_1)
	v_add_co_ci_u32_e64 v4, s3, s13, v6, s3
	v_add_co_u32 v5, s3, s6, v15
	v_add_co_ci_u32_e64 v6, s3, s7, v16, s3
	v_mov_b32_e32 v15, 0
	v_add_nc_u32_e32 v13, v11, v10
	s_xor_b32 s3, vcc_lo, -1
	s_branch .LBB820_3
.LBB820_2:                              ;   in Loop: Header=BB820_3 Depth=1
	s_or_b32 exec_lo, exec_lo, s6
	s_waitcnt lgkmcnt(0)
	s_barrier
	buffer_gl0_inv
	ds_load_2addr_b64 v[16:19], v10 offset1:16
	ds_load_b128 v[20:23], v11
	ds_load_b128 v[24:27], v11 offset:16
	ds_load_2addr_b64 v[28:31], v10 offset0:32 offset1:48
	ds_load_2addr_b64 v[32:35], v10 offset0:64 offset1:80
	ds_load_b128 v[36:39], v11 offset:32
	ds_load_b128 v[40:43], v11 offset:48
	ds_load_2addr_b64 v[44:47], v10 offset0:96 offset1:112
	ds_load_2addr_b64 v[48:51], v10 offset0:128 offset1:144
	;; [unrolled: 1-line block ×3, first 2 shown]
	ds_load_b128 v[56:59], v11 offset:64
	ds_load_b128 v[60:63], v11 offset:80
	v_add_co_u32 v3, vcc_lo, 0x80, v3
	v_add_co_ci_u32_e32 v4, vcc_lo, 0, v4, vcc_lo
	v_add_co_u32 v5, vcc_lo, 0x80, v5
	v_add_co_ci_u32_e32 v6, vcc_lo, 0, v6, vcc_lo
	s_add_i32 s11, s11, 16
	s_waitcnt lgkmcnt(10)
	v_mul_f32_e32 v2, v21, v17
	v_dual_mul_f32 v17, v20, v17 :: v_dual_mul_f32 v64, v23, v19
	v_mul_f32_e32 v19, v22, v19
	s_waitcnt lgkmcnt(8)
	v_dual_mul_f32 v65, v25, v29 :: v_dual_mul_f32 v66, v27, v31
	v_fma_f32 v2, v20, v16, -v2
	v_mul_f32_e32 v31, v26, v31
	s_waitcnt lgkmcnt(6)
	v_dual_mul_f32 v29, v24, v29 :: v_dual_mul_f32 v20, v39, v35
	s_delay_alu instid0(VALU_DEP_3) | instskip(SKIP_2) | instid1(VALU_DEP_4)
	v_dual_mul_f32 v67, v37, v33 :: v_dual_add_f32 v2, v15, v2
	v_fmac_f32_e32 v17, v21, v16
	v_fma_f32 v21, v22, v18, -v64
	v_dual_fmac_f32 v29, v25, v28 :: v_dual_mul_f32 v16, v38, v35
	v_fma_f32 v20, v38, v34, -v20
	s_delay_alu instid0(VALU_DEP_3)
	v_dual_fmac_f32 v31, v27, v30 :: v_dual_add_f32 v2, v2, v21
	v_dual_fmac_f32 v19, v23, v18 :: v_dual_add_f32 v14, v14, v17
	v_fma_f32 v17, v24, v28, -v65
	v_mul_f32_e32 v33, v36, v33
	s_waitcnt lgkmcnt(4)
	v_mul_f32_e32 v18, v40, v45
	v_fma_f32 v21, v36, v32, -v67
	v_add_f32_e32 v14, v14, v19
	v_fma_f32 v19, v26, v30, -v66
	v_add_f32_e32 v2, v2, v17
	v_mul_f32_e32 v15, v41, v45
	s_delay_alu instid0(VALU_DEP_4) | instskip(NEXT) | instid1(VALU_DEP_3)
	v_dual_mul_f32 v17, v43, v47 :: v_dual_add_f32 v14, v14, v29
	v_dual_fmac_f32 v33, v37, v32 :: v_dual_add_f32 v2, v2, v19
	v_dual_mul_f32 v19, v42, v47 :: v_dual_fmac_f32 v16, v39, v34
	s_delay_alu instid0(VALU_DEP_3) | instskip(SKIP_1) | instid1(VALU_DEP_3)
	v_add_f32_e32 v14, v14, v31
	v_fma_f32 v15, v40, v44, -v15
	v_dual_add_f32 v2, v2, v21 :: v_dual_fmac_f32 v19, v43, v46
	s_waitcnt lgkmcnt(1)
	v_mul_f32_e32 v21, v57, v49
	v_dual_fmac_f32 v18, v41, v44 :: v_dual_mul_f32 v25, v58, v51
	v_add_f32_e32 v14, v14, v33
	v_add_f32_e32 v2, v2, v20
	v_fma_f32 v20, v42, v46, -v17
	v_fma_f32 v21, v56, v48, -v21
	s_delay_alu instid0(VALU_DEP_4)
	v_dual_fmac_f32 v25, v59, v50 :: v_dual_add_f32 v14, v14, v16
	s_waitcnt lgkmcnt(0)
	v_mul_f32_e32 v33, v63, v55
	v_add_f32_e32 v2, v2, v15
	v_mul_f32_e32 v34, v62, v55
	s_cmp_ge_i32 s11, s17
	v_add_f32_e32 v18, v14, v18
	v_mul_f32_e32 v22, v56, v49
	v_add_f32_e32 v2, v2, v20
	ds_load_2addr_b64 v[14:17], v10 offset0:192 offset1:208
	v_dual_fmac_f32 v34, v63, v54 :: v_dual_add_f32 v23, v18, v19
	v_add_f32_e32 v2, v2, v21
	ds_load_b128 v[18:21], v11 offset:96
	v_fmac_f32_e32 v22, v57, v48
	s_delay_alu instid0(VALU_DEP_1) | instskip(NEXT) | instid1(VALU_DEP_1)
	v_add_f32_e32 v22, v23, v22
	v_dual_mul_f32 v24, v59, v51 :: v_dual_add_f32 v31, v22, v25
	s_delay_alu instid0(VALU_DEP_1) | instskip(SKIP_1) | instid1(VALU_DEP_2)
	v_fma_f32 v23, v58, v50, -v24
	v_mul_f32_e32 v24, v61, v53
	v_add_f32_e32 v2, v2, v23
	s_delay_alu instid0(VALU_DEP_2)
	v_fma_f32 v32, v60, v52, -v24
	ds_load_2addr_b64 v[22:25], v10 offset0:224 offset1:240
	ds_load_b128 v[26:29], v11 offset:112
	v_mul_f32_e32 v30, v60, v53
	s_waitcnt lgkmcnt(0)
	s_barrier
	v_add_f32_e32 v2, v2, v32
	v_mul_f32_e32 v32, v19, v15
	v_dual_fmac_f32 v30, v61, v52 :: v_dual_mul_f32 v15, v18, v15
	buffer_gl0_inv
	v_fma_f32 v18, v18, v14, -v32
	v_add_f32_e32 v30, v31, v30
	v_fma_f32 v31, v62, v54, -v33
	v_dual_fmac_f32 v15, v19, v14 :: v_dual_mul_f32 v14, v21, v17
	s_delay_alu instid0(VALU_DEP_3) | instskip(NEXT) | instid1(VALU_DEP_3)
	v_dual_mul_f32 v17, v20, v17 :: v_dual_add_f32 v30, v30, v34
	v_add_f32_e32 v2, v2, v31
	s_delay_alu instid0(VALU_DEP_3) | instskip(NEXT) | instid1(VALU_DEP_3)
	v_fma_f32 v14, v20, v16, -v14
	v_fmac_f32_e32 v17, v21, v16
	s_delay_alu instid0(VALU_DEP_4) | instskip(NEXT) | instid1(VALU_DEP_4)
	v_add_f32_e32 v15, v30, v15
	v_add_f32_e32 v2, v2, v18
	v_mul_f32_e32 v16, v27, v23
	v_mul_f32_e32 v18, v26, v23
	s_delay_alu instid0(VALU_DEP_3) | instskip(SKIP_1) | instid1(VALU_DEP_4)
	v_add_f32_e32 v2, v2, v14
	v_add_f32_e32 v14, v15, v17
	v_fma_f32 v15, v26, v22, -v16
	s_delay_alu instid0(VALU_DEP_4) | instskip(SKIP_1) | instid1(VALU_DEP_3)
	v_fmac_f32_e32 v18, v27, v22
	v_mul_f32_e32 v16, v29, v25
	v_dual_mul_f32 v17, v28, v25 :: v_dual_add_f32 v2, v2, v15
	s_delay_alu instid0(VALU_DEP_3) | instskip(NEXT) | instid1(VALU_DEP_3)
	v_add_f32_e32 v14, v14, v18
	v_fma_f32 v15, v28, v24, -v16
	s_delay_alu instid0(VALU_DEP_3) | instskip(NEXT) | instid1(VALU_DEP_2)
	v_fmac_f32_e32 v17, v29, v24
	v_add_f32_e32 v15, v2, v15
	s_delay_alu instid0(VALU_DEP_2)
	v_add_f32_e32 v14, v14, v17
	s_cbranch_scc1 .LBB820_11
.LBB820_3:                              ; =>This Inner Loop Header: Depth=1
	v_add_nc_u32_e32 v2, s11, v9
	s_delay_alu instid0(VALU_DEP_1) | instskip(SKIP_1) | instid1(SALU_CYCLE_1)
	v_cmp_le_i32_e32 vcc_lo, s17, v2
	s_or_b32 s6, s3, vcc_lo
	s_and_saveexec_b32 s7, s6
	s_delay_alu instid0(SALU_CYCLE_1)
	s_xor_b32 s6, exec_lo, s7
	s_cbranch_execz .LBB820_5
; %bb.4:                                ;   in Loop: Header=BB820_3 Depth=1
	v_mov_b32_e32 v2, v1
	ds_store_b64 v12, v[1:2]
.LBB820_5:                              ;   in Loop: Header=BB820_3 Depth=1
	s_and_not1_saveexec_b32 s6, s6
	s_cbranch_execz .LBB820_7
; %bb.6:                                ;   in Loop: Header=BB820_3 Depth=1
	global_load_b64 v[16:17], v[5:6], off
	s_waitcnt vmcnt(0)
	ds_store_b64 v12, v[16:17]
.LBB820_7:                              ;   in Loop: Header=BB820_3 Depth=1
	s_or_b32 exec_lo, exec_lo, s6
	v_add_nc_u32_e32 v2, s11, v8
	s_delay_alu instid0(VALU_DEP_1) | instskip(SKIP_1) | instid1(SALU_CYCLE_1)
	v_cmp_le_i32_e32 vcc_lo, s17, v2
	s_or_b32 s6, s2, vcc_lo
	s_and_saveexec_b32 s7, s6
	s_delay_alu instid0(SALU_CYCLE_1)
	s_xor_b32 s6, exec_lo, s7
	s_cbranch_execz .LBB820_9
; %bb.8:                                ;   in Loop: Header=BB820_3 Depth=1
	v_mov_b32_e32 v2, v1
	ds_store_b64 v13, v[1:2]
.LBB820_9:                              ;   in Loop: Header=BB820_3 Depth=1
	s_and_not1_saveexec_b32 s6, s6
	s_cbranch_execz .LBB820_2
; %bb.10:                               ;   in Loop: Header=BB820_3 Depth=1
	global_load_b64 v[16:17], v[3:4], off
	s_waitcnt vmcnt(0)
	ds_store_b64 v13, v[16:17]
	s_branch .LBB820_2
.LBB820_11:
	v_cmp_le_i32_e32 vcc_lo, v7, v0
	v_cmp_gt_i32_e64 s2, s16, v0
	s_delay_alu instid0(VALU_DEP_1) | instskip(NEXT) | instid1(SALU_CYCLE_1)
	s_and_b32 s2, vcc_lo, s2
	s_and_saveexec_b32 s3, s2
	s_cbranch_execz .LBB820_14
; %bb.12:
	s_load_b32 s0, s[0:1], 0x50
	v_ashrrev_i32_e32 v1, 31, v0
	s_waitcnt lgkmcnt(0)
	v_mul_f32_e32 v5, s4, v14
	v_mul_f32_e32 v4, s5, v14
	s_delay_alu instid0(VALU_DEP_3) | instskip(NEXT) | instid1(VALU_DEP_3)
	v_lshlrev_b64 v[8:9], 3, v[0:1]
	v_fmac_f32_e32 v5, s5, v15
	s_delay_alu instid0(VALU_DEP_3) | instskip(SKIP_1) | instid1(VALU_DEP_1)
	v_fma_f32 v4, v15, s4, -v4
	v_mad_i64_i32 v[2:3], null, s0, v7, 0
	v_lshlrev_b64 v[2:3], 3, v[2:3]
	s_delay_alu instid0(VALU_DEP_1) | instskip(NEXT) | instid1(VALU_DEP_2)
	v_add_co_u32 v1, vcc_lo, s8, v2
	v_add_co_ci_u32_e32 v2, vcc_lo, s9, v3, vcc_lo
	s_delay_alu instid0(VALU_DEP_2) | instskip(NEXT) | instid1(VALU_DEP_2)
	v_add_co_u32 v1, vcc_lo, v1, v8
	v_add_co_ci_u32_e32 v2, vcc_lo, v2, v9, vcc_lo
	v_cmp_eq_u32_e32 vcc_lo, v0, v7
	global_store_b64 v[1:2], v[4:5], off
	s_and_b32 exec_lo, exec_lo, vcc_lo
	s_cbranch_execz .LBB820_14
; %bb.13:
	v_mov_b32_e32 v0, 0
	global_store_b32 v[1:2], v0, off offset:4
.LBB820_14:
	s_nop 0
	s_sendmsg sendmsg(MSG_DEALLOC_VGPRS)
	s_endpgm
	.section	.rodata,"a",@progbits
	.p2align	6, 0x0
	.amdhsa_kernel _ZL32rocblas_syrkx_herkx_small_kernelIi19rocblas_complex_numIfELi16ELb1ELb1ELc84ELc76EKPKS1_KPS1_EviT_T0_PT6_S7_lSA_S7_lS8_PT7_S7_li
		.amdhsa_group_segment_fixed_size 4096
		.amdhsa_private_segment_fixed_size 0
		.amdhsa_kernarg_size 100
		.amdhsa_user_sgpr_count 13
		.amdhsa_user_sgpr_dispatch_ptr 0
		.amdhsa_user_sgpr_queue_ptr 0
		.amdhsa_user_sgpr_kernarg_segment_ptr 1
		.amdhsa_user_sgpr_dispatch_id 0
		.amdhsa_user_sgpr_private_segment_size 0
		.amdhsa_wavefront_size32 1
		.amdhsa_uses_dynamic_stack 0
		.amdhsa_enable_private_segment 0
		.amdhsa_system_sgpr_workgroup_id_x 1
		.amdhsa_system_sgpr_workgroup_id_y 1
		.amdhsa_system_sgpr_workgroup_id_z 1
		.amdhsa_system_sgpr_workgroup_info 0
		.amdhsa_system_vgpr_workitem_id 1
		.amdhsa_next_free_vgpr 68
		.amdhsa_next_free_sgpr 20
		.amdhsa_reserve_vcc 1
		.amdhsa_float_round_mode_32 0
		.amdhsa_float_round_mode_16_64 0
		.amdhsa_float_denorm_mode_32 3
		.amdhsa_float_denorm_mode_16_64 3
		.amdhsa_dx10_clamp 1
		.amdhsa_ieee_mode 1
		.amdhsa_fp16_overflow 0
		.amdhsa_workgroup_processor_mode 1
		.amdhsa_memory_ordered 1
		.amdhsa_forward_progress 0
		.amdhsa_shared_vgpr_count 0
		.amdhsa_exception_fp_ieee_invalid_op 0
		.amdhsa_exception_fp_denorm_src 0
		.amdhsa_exception_fp_ieee_div_zero 0
		.amdhsa_exception_fp_ieee_overflow 0
		.amdhsa_exception_fp_ieee_underflow 0
		.amdhsa_exception_fp_ieee_inexact 0
		.amdhsa_exception_int_div_zero 0
	.end_amdhsa_kernel
	.section	.text._ZL32rocblas_syrkx_herkx_small_kernelIi19rocblas_complex_numIfELi16ELb1ELb1ELc84ELc76EKPKS1_KPS1_EviT_T0_PT6_S7_lSA_S7_lS8_PT7_S7_li,"axG",@progbits,_ZL32rocblas_syrkx_herkx_small_kernelIi19rocblas_complex_numIfELi16ELb1ELb1ELc84ELc76EKPKS1_KPS1_EviT_T0_PT6_S7_lSA_S7_lS8_PT7_S7_li,comdat
.Lfunc_end820:
	.size	_ZL32rocblas_syrkx_herkx_small_kernelIi19rocblas_complex_numIfELi16ELb1ELb1ELc84ELc76EKPKS1_KPS1_EviT_T0_PT6_S7_lSA_S7_lS8_PT7_S7_li, .Lfunc_end820-_ZL32rocblas_syrkx_herkx_small_kernelIi19rocblas_complex_numIfELi16ELb1ELb1ELc84ELc76EKPKS1_KPS1_EviT_T0_PT6_S7_lSA_S7_lS8_PT7_S7_li
                                        ; -- End function
	.section	.AMDGPU.csdata,"",@progbits
; Kernel info:
; codeLenInByte = 1428
; NumSgprs: 22
; NumVgprs: 68
; ScratchSize: 0
; MemoryBound: 1
; FloatMode: 240
; IeeeMode: 1
; LDSByteSize: 4096 bytes/workgroup (compile time only)
; SGPRBlocks: 2
; VGPRBlocks: 8
; NumSGPRsForWavesPerEU: 22
; NumVGPRsForWavesPerEU: 68
; Occupancy: 16
; WaveLimiterHint : 1
; COMPUTE_PGM_RSRC2:SCRATCH_EN: 0
; COMPUTE_PGM_RSRC2:USER_SGPR: 13
; COMPUTE_PGM_RSRC2:TRAP_HANDLER: 0
; COMPUTE_PGM_RSRC2:TGID_X_EN: 1
; COMPUTE_PGM_RSRC2:TGID_Y_EN: 1
; COMPUTE_PGM_RSRC2:TGID_Z_EN: 1
; COMPUTE_PGM_RSRC2:TIDIG_COMP_CNT: 1
	.section	.text._ZL32rocblas_syrkx_herkx_small_kernelIi19rocblas_complex_numIfELi16ELb1ELb1ELc67ELc76EKPKS1_KPS1_EviT_T0_PT6_S7_lSA_S7_lS8_PT7_S7_li,"axG",@progbits,_ZL32rocblas_syrkx_herkx_small_kernelIi19rocblas_complex_numIfELi16ELb1ELb1ELc67ELc76EKPKS1_KPS1_EviT_T0_PT6_S7_lSA_S7_lS8_PT7_S7_li,comdat
	.globl	_ZL32rocblas_syrkx_herkx_small_kernelIi19rocblas_complex_numIfELi16ELb1ELb1ELc67ELc76EKPKS1_KPS1_EviT_T0_PT6_S7_lSA_S7_lS8_PT7_S7_li ; -- Begin function _ZL32rocblas_syrkx_herkx_small_kernelIi19rocblas_complex_numIfELi16ELb1ELb1ELc67ELc76EKPKS1_KPS1_EviT_T0_PT6_S7_lSA_S7_lS8_PT7_S7_li
	.p2align	8
	.type	_ZL32rocblas_syrkx_herkx_small_kernelIi19rocblas_complex_numIfELi16ELb1ELb1ELc67ELc76EKPKS1_KPS1_EviT_T0_PT6_S7_lSA_S7_lS8_PT7_S7_li,@function
_ZL32rocblas_syrkx_herkx_small_kernelIi19rocblas_complex_numIfELi16ELb1ELb1ELc67ELc76EKPKS1_KPS1_EviT_T0_PT6_S7_lSA_S7_lS8_PT7_S7_li: ; @_ZL32rocblas_syrkx_herkx_small_kernelIi19rocblas_complex_numIfELi16ELb1ELb1ELc67ELc76EKPKS1_KPS1_EviT_T0_PT6_S7_lSA_S7_lS8_PT7_S7_li
; %bb.0:
	s_clause 0x1
	s_load_b64 s[2:3], s[0:1], 0x48
	s_load_b64 s[16:17], s[0:1], 0x0
	s_mov_b32 s10, s15
	s_mov_b32 s11, 0
	v_dual_mov_b32 v15, 0 :: v_dual_and_b32 v8, 0x3ff, v0
	s_lshl_b64 s[18:19], s[10:11], 3
	v_bfe_u32 v9, v0, 10, 10
	v_mov_b32_e32 v16, 0
	s_delay_alu instid0(VALU_DEP_3) | instskip(NEXT) | instid1(VALU_DEP_3)
	v_lshl_add_u32 v0, s13, 4, v8
	v_lshl_add_u32 v7, s14, 4, v9
	s_waitcnt lgkmcnt(0)
	s_add_u32 s2, s2, s18
	s_addc_u32 s3, s3, s19
	s_load_b128 s[4:7], s[0:1], 0x8
	s_load_b64 s[8:9], s[2:3], 0x0
	v_cmp_gt_i32_e32 vcc_lo, s16, v0
	s_cmp_lt_i32 s17, 1
	s_cbranch_scc1 .LBB821_11
; %bb.1:
	s_clause 0x2
	s_load_b64 s[12:13], s[0:1], 0x28
	s_load_b32 s3, s[0:1], 0x18
	s_load_b32 s10, s[0:1], 0x30
	v_lshlrev_b32_e32 v16, 3, v9
	v_dual_mov_b32 v15, 0 :: v_dual_lshlrev_b32 v10, 3, v8
	v_dual_mov_b32 v1, 0 :: v_dual_lshlrev_b32 v6, 7, v9
	v_cmp_gt_i32_e64 s2, s16, v7
	s_delay_alu instid0(VALU_DEP_2) | instskip(NEXT) | instid1(VALU_DEP_4)
	v_dual_mov_b32 v12, 0 :: v_dual_add_nc_u32 v11, 0x800, v6
	v_add_nc_u32_e32 v13, v10, v6
	s_delay_alu instid0(VALU_DEP_2)
	v_add_nc_u32_e32 v14, v11, v10
	s_waitcnt lgkmcnt(0)
	s_add_u32 s12, s12, s18
	s_addc_u32 s13, s13, s19
	s_add_u32 s6, s6, s18
	s_addc_u32 s7, s7, s19
	v_mad_i64_i32 v[2:3], null, s3, v0, 0
	s_load_b64 s[6:7], s[6:7], 0x0
	v_mad_i64_i32 v[4:5], null, s10, v7, 0
	s_load_b64 s[12:13], s[12:13], 0x0
	s_xor_b32 s2, s2, -1
	s_delay_alu instid0(VALU_DEP_2) | instskip(NEXT) | instid1(VALU_DEP_2)
	v_lshlrev_b64 v[2:3], 3, v[2:3]
	v_lshlrev_b64 v[4:5], 3, v[4:5]
	s_delay_alu instid0(VALU_DEP_2) | instskip(SKIP_1) | instid1(VALU_DEP_4)
	v_add_co_u32 v2, s3, v2, v16
	v_mov_b32_e32 v16, 0
	v_add_co_ci_u32_e64 v3, s3, 0, v3, s3
	s_delay_alu instid0(VALU_DEP_4) | instskip(NEXT) | instid1(VALU_DEP_1)
	v_add_co_u32 v4, s3, v4, v10
	v_add_co_ci_u32_e64 v5, s3, 0, v5, s3
	s_waitcnt lgkmcnt(0)
	v_add_co_u32 v2, s3, v2, s6
	s_delay_alu instid0(VALU_DEP_1) | instskip(SKIP_1) | instid1(VALU_DEP_1)
	v_add_co_ci_u32_e64 v6, s3, s7, v3, s3
	v_add_co_u32 v3, s3, s12, v4
	v_add_co_ci_u32_e64 v4, s3, s13, v5, s3
	s_delay_alu instid0(VALU_DEP_4) | instskip(NEXT) | instid1(VALU_DEP_1)
	v_add_co_u32 v5, s3, v2, 4
	v_add_co_ci_u32_e64 v6, s3, 0, v6, s3
	s_xor_b32 s3, vcc_lo, -1
	s_branch .LBB821_3
.LBB821_2:                              ;   in Loop: Header=BB821_3 Depth=1
	s_or_b32 exec_lo, exec_lo, s6
	s_waitcnt lgkmcnt(0)
	s_barrier
	buffer_gl0_inv
	ds_load_2addr_b64 v[17:20], v10 offset1:16
	ds_load_b128 v[21:24], v11
	ds_load_b128 v[25:28], v11 offset:16
	ds_load_2addr_b64 v[29:32], v10 offset0:32 offset1:48
	ds_load_2addr_b64 v[33:36], v10 offset0:64 offset1:80
	ds_load_b128 v[37:40], v11 offset:32
	ds_load_b128 v[41:44], v11 offset:48
	ds_load_2addr_b64 v[45:48], v10 offset0:96 offset1:112
	ds_load_2addr_b64 v[49:52], v10 offset0:128 offset1:144
	;; [unrolled: 1-line block ×3, first 2 shown]
	ds_load_b128 v[57:60], v11 offset:64
	ds_load_b128 v[61:64], v11 offset:80
	v_add_co_u32 v3, vcc_lo, 0x80, v3
	v_add_co_ci_u32_e32 v4, vcc_lo, 0, v4, vcc_lo
	v_add_co_u32 v5, vcc_lo, 0x80, v5
	v_add_co_ci_u32_e32 v6, vcc_lo, 0, v6, vcc_lo
	s_add_i32 s11, s11, 16
	s_waitcnt lgkmcnt(10)
	v_dual_mul_f32 v2, v22, v18 :: v_dual_mul_f32 v65, v24, v20
	s_waitcnt lgkmcnt(8)
	v_dual_mul_f32 v18, v21, v18 :: v_dual_mul_f32 v67, v28, v32
	v_mul_f32_e32 v20, v23, v20
	v_mul_f32_e32 v66, v26, v30
	v_mul_f32_e32 v30, v25, v30
	s_delay_alu instid0(VALU_DEP_4)
	v_fmac_f32_e32 v18, v22, v17
	v_fma_f32 v2, v21, v17, -v2
	s_waitcnt lgkmcnt(6)
	v_dual_fmac_f32 v20, v24, v19 :: v_dual_mul_f32 v17, v39, v36
	v_mul_f32_e32 v32, v27, v32
	v_add_f32_e32 v15, v15, v18
	v_mul_f32_e32 v68, v38, v34
	v_fmac_f32_e32 v30, v26, v29
	v_fma_f32 v22, v23, v19, -v65
	v_fmac_f32_e32 v17, v40, v35
	v_dual_add_f32 v15, v15, v20 :: v_dual_fmac_f32 v32, v28, v31
	s_waitcnt lgkmcnt(1)
	v_mul_f32_e32 v23, v57, v50
	v_mul_f32_e32 v19, v41, v46
	v_add_f32_e32 v2, v16, v2
	v_add_f32_e32 v15, v15, v30
	v_mul_f32_e32 v34, v37, v34
	v_fma_f32 v20, v27, v31, -v67
	s_waitcnt lgkmcnt(0)
	v_mul_f32_e32 v31, v61, v54
	v_mul_f32_e32 v21, v40, v36
	v_dual_add_f32 v15, v15, v32 :: v_dual_fmac_f32 v34, v38, v33
	v_fma_f32 v18, v25, v29, -v66
	v_dual_fmac_f32 v19, v42, v45 :: v_dual_mul_f32 v26, v59, v52
	s_delay_alu instid0(VALU_DEP_4) | instskip(NEXT) | instid1(VALU_DEP_4)
	v_fma_f32 v21, v39, v35, -v21
	v_add_f32_e32 v15, v15, v34
	v_mul_f32_e32 v16, v42, v46
	s_cmp_ge_i32 s11, s17
	v_dual_fmac_f32 v26, v60, v51 :: v_dual_fmac_f32 v23, v58, v49
	s_delay_alu instid0(VALU_DEP_3) | instskip(SKIP_3) | instid1(VALU_DEP_4)
	v_dual_add_f32 v15, v15, v17 :: v_dual_add_f32 v2, v2, v22
	v_mul_f32_e32 v25, v60, v52
	v_fma_f32 v22, v37, v33, -v68
	v_fma_f32 v16, v41, v45, -v16
	v_dual_add_f32 v19, v15, v19 :: v_dual_add_f32 v2, v2, v18
	v_dual_mul_f32 v18, v44, v48 :: v_dual_fmac_f32 v31, v62, v53
	v_mul_f32_e32 v35, v63, v56
	s_delay_alu instid0(VALU_DEP_3) | instskip(NEXT) | instid1(VALU_DEP_2)
	v_add_f32_e32 v2, v2, v20
	v_dual_mul_f32 v20, v43, v48 :: v_dual_fmac_f32 v35, v64, v55
	s_delay_alu instid0(VALU_DEP_1) | instskip(NEXT) | instid1(VALU_DEP_1)
	v_fmac_f32_e32 v20, v44, v47
	v_add_f32_e32 v24, v19, v20
	s_delay_alu instid0(VALU_DEP_1) | instskip(SKIP_2) | instid1(VALU_DEP_3)
	v_dual_add_f32 v23, v24, v23 :: v_dual_add_f32 v2, v2, v22
	v_fma_f32 v24, v59, v51, -v25
	v_mul_f32_e32 v25, v62, v54
	v_add_f32_e32 v32, v23, v26
	s_delay_alu instid0(VALU_DEP_4) | instskip(SKIP_3) | instid1(VALU_DEP_4)
	v_add_f32_e32 v2, v2, v21
	v_mul_f32_e32 v22, v58, v50
	v_fma_f32 v21, v43, v47, -v18
	v_fma_f32 v33, v61, v53, -v25
	v_dual_add_f32 v31, v32, v31 :: v_dual_add_f32 v2, v2, v16
	ds_load_2addr_b64 v[15:18], v10 offset0:192 offset1:208
	v_fma_f32 v22, v57, v49, -v22
	v_dual_add_f32 v31, v31, v35 :: v_dual_add_f32 v2, v2, v21
	s_delay_alu instid0(VALU_DEP_1)
	v_add_f32_e32 v2, v2, v22
	ds_load_b128 v[19:22], v11 offset:96
	v_add_f32_e32 v2, v2, v24
	ds_load_2addr_b64 v[23:26], v10 offset0:224 offset1:240
	ds_load_b128 v[27:30], v11 offset:112
	v_mul_f32_e32 v34, v64, v56
	s_waitcnt lgkmcnt(0)
	s_barrier
	v_add_f32_e32 v2, v2, v33
	buffer_gl0_inv
	v_fma_f32 v32, v63, v55, -v34
	s_delay_alu instid0(VALU_DEP_1) | instskip(SKIP_2) | instid1(VALU_DEP_2)
	v_add_f32_e32 v2, v2, v32
	v_mul_f32_e32 v33, v20, v16
	v_mul_f32_e32 v16, v19, v16
	v_fma_f32 v19, v19, v15, -v33
	s_delay_alu instid0(VALU_DEP_2) | instskip(SKIP_1) | instid1(VALU_DEP_3)
	v_dual_fmac_f32 v16, v20, v15 :: v_dual_mul_f32 v15, v22, v18
	v_mul_f32_e32 v18, v21, v18
	v_add_f32_e32 v2, v2, v19
	s_delay_alu instid0(VALU_DEP_3) | instskip(NEXT) | instid1(VALU_DEP_4)
	v_add_f32_e32 v16, v31, v16
	v_fma_f32 v15, v21, v17, -v15
	s_delay_alu instid0(VALU_DEP_4) | instskip(NEXT) | instid1(VALU_DEP_2)
	v_dual_fmac_f32 v18, v22, v17 :: v_dual_mul_f32 v17, v28, v24
	v_dual_mul_f32 v19, v27, v24 :: v_dual_add_f32 v2, v2, v15
	s_delay_alu instid0(VALU_DEP_2) | instskip(NEXT) | instid1(VALU_DEP_3)
	v_add_f32_e32 v15, v16, v18
	v_fma_f32 v16, v27, v23, -v17
	s_delay_alu instid0(VALU_DEP_3) | instskip(SKIP_2) | instid1(VALU_DEP_3)
	v_fmac_f32_e32 v19, v28, v23
	v_mul_f32_e32 v17, v30, v26
	v_mul_f32_e32 v18, v29, v26
	v_dual_add_f32 v2, v2, v16 :: v_dual_add_f32 v15, v15, v19
	s_delay_alu instid0(VALU_DEP_3) | instskip(NEXT) | instid1(VALU_DEP_3)
	v_fma_f32 v16, v29, v25, -v17
	v_fmac_f32_e32 v18, v30, v25
	s_delay_alu instid0(VALU_DEP_1)
	v_dual_add_f32 v16, v2, v16 :: v_dual_add_f32 v15, v15, v18
	s_cbranch_scc1 .LBB821_11
.LBB821_3:                              ; =>This Inner Loop Header: Depth=1
	v_add_nc_u32_e32 v2, s11, v9
                                        ; implicit-def: $sgpr7
	s_delay_alu instid0(VALU_DEP_1) | instskip(SKIP_1) | instid1(SALU_CYCLE_1)
	v_cmp_le_i32_e32 vcc_lo, s17, v2
	s_or_b32 s6, s3, vcc_lo
	s_and_saveexec_b32 s10, s6
	s_delay_alu instid0(SALU_CYCLE_1)
	s_xor_b32 s6, exec_lo, s10
	s_cbranch_execz .LBB821_5
; %bb.4:                                ;   in Loop: Header=BB821_3 Depth=1
	s_mov_b32 s7, 0
	ds_store_b32 v13, v12
.LBB821_5:                              ;   in Loop: Header=BB821_3 Depth=1
	s_or_saveexec_b32 s6, s6
	v_mov_b32_e32 v2, s7
	s_xor_b32 exec_lo, exec_lo, s6
	s_cbranch_execz .LBB821_7
; %bb.6:                                ;   in Loop: Header=BB821_3 Depth=1
	global_load_b64 v[17:18], v[5:6], off offset:-4
	s_waitcnt vmcnt(0)
	v_xor_b32_e32 v2, 0x80000000, v18
	ds_store_b32 v13, v17
.LBB821_7:                              ;   in Loop: Header=BB821_3 Depth=1
	s_or_b32 exec_lo, exec_lo, s6
	v_add_nc_u32_e32 v17, s11, v8
	ds_store_b32 v13, v2 offset:4
	v_cmp_le_i32_e32 vcc_lo, s17, v17
	s_or_b32 s6, s2, vcc_lo
	s_delay_alu instid0(SALU_CYCLE_1) | instskip(NEXT) | instid1(SALU_CYCLE_1)
	s_and_saveexec_b32 s7, s6
	s_xor_b32 s6, exec_lo, s7
	s_cbranch_execz .LBB821_9
; %bb.8:                                ;   in Loop: Header=BB821_3 Depth=1
	v_mov_b32_e32 v2, v1
	ds_store_b64 v14, v[1:2]
.LBB821_9:                              ;   in Loop: Header=BB821_3 Depth=1
	s_and_not1_saveexec_b32 s6, s6
	s_cbranch_execz .LBB821_2
; %bb.10:                               ;   in Loop: Header=BB821_3 Depth=1
	global_load_b64 v[17:18], v[3:4], off
	s_waitcnt vmcnt(0)
	ds_store_b64 v14, v[17:18]
	s_branch .LBB821_2
.LBB821_11:
	v_cmp_le_i32_e32 vcc_lo, v7, v0
	v_cmp_gt_i32_e64 s2, s16, v0
	s_delay_alu instid0(VALU_DEP_1) | instskip(NEXT) | instid1(SALU_CYCLE_1)
	s_and_b32 s2, vcc_lo, s2
	s_and_saveexec_b32 s3, s2
	s_cbranch_execz .LBB821_14
; %bb.12:
	s_load_b32 s0, s[0:1], 0x50
	v_ashrrev_i32_e32 v1, 31, v0
	s_waitcnt lgkmcnt(0)
	v_mul_f32_e32 v5, s4, v15
	v_mul_f32_e32 v4, s5, v15
	s_delay_alu instid0(VALU_DEP_3) | instskip(NEXT) | instid1(VALU_DEP_3)
	v_lshlrev_b64 v[8:9], 3, v[0:1]
	v_fmac_f32_e32 v5, s5, v16
	s_delay_alu instid0(VALU_DEP_3) | instskip(SKIP_1) | instid1(VALU_DEP_1)
	v_fma_f32 v4, v16, s4, -v4
	v_mad_i64_i32 v[2:3], null, s0, v7, 0
	v_lshlrev_b64 v[2:3], 3, v[2:3]
	s_delay_alu instid0(VALU_DEP_1) | instskip(NEXT) | instid1(VALU_DEP_2)
	v_add_co_u32 v1, vcc_lo, s8, v2
	v_add_co_ci_u32_e32 v2, vcc_lo, s9, v3, vcc_lo
	s_delay_alu instid0(VALU_DEP_2) | instskip(NEXT) | instid1(VALU_DEP_2)
	v_add_co_u32 v1, vcc_lo, v1, v8
	v_add_co_ci_u32_e32 v2, vcc_lo, v2, v9, vcc_lo
	v_cmp_eq_u32_e32 vcc_lo, v0, v7
	global_store_b64 v[1:2], v[4:5], off
	s_and_b32 exec_lo, exec_lo, vcc_lo
	s_cbranch_execz .LBB821_14
; %bb.13:
	v_mov_b32_e32 v0, 0
	global_store_b32 v[1:2], v0, off offset:4
.LBB821_14:
	s_nop 0
	s_sendmsg sendmsg(MSG_DEALLOC_VGPRS)
	s_endpgm
	.section	.rodata,"a",@progbits
	.p2align	6, 0x0
	.amdhsa_kernel _ZL32rocblas_syrkx_herkx_small_kernelIi19rocblas_complex_numIfELi16ELb1ELb1ELc67ELc76EKPKS1_KPS1_EviT_T0_PT6_S7_lSA_S7_lS8_PT7_S7_li
		.amdhsa_group_segment_fixed_size 4096
		.amdhsa_private_segment_fixed_size 0
		.amdhsa_kernarg_size 100
		.amdhsa_user_sgpr_count 13
		.amdhsa_user_sgpr_dispatch_ptr 0
		.amdhsa_user_sgpr_queue_ptr 0
		.amdhsa_user_sgpr_kernarg_segment_ptr 1
		.amdhsa_user_sgpr_dispatch_id 0
		.amdhsa_user_sgpr_private_segment_size 0
		.amdhsa_wavefront_size32 1
		.amdhsa_uses_dynamic_stack 0
		.amdhsa_enable_private_segment 0
		.amdhsa_system_sgpr_workgroup_id_x 1
		.amdhsa_system_sgpr_workgroup_id_y 1
		.amdhsa_system_sgpr_workgroup_id_z 1
		.amdhsa_system_sgpr_workgroup_info 0
		.amdhsa_system_vgpr_workitem_id 1
		.amdhsa_next_free_vgpr 69
		.amdhsa_next_free_sgpr 20
		.amdhsa_reserve_vcc 1
		.amdhsa_float_round_mode_32 0
		.amdhsa_float_round_mode_16_64 0
		.amdhsa_float_denorm_mode_32 3
		.amdhsa_float_denorm_mode_16_64 3
		.amdhsa_dx10_clamp 1
		.amdhsa_ieee_mode 1
		.amdhsa_fp16_overflow 0
		.amdhsa_workgroup_processor_mode 1
		.amdhsa_memory_ordered 1
		.amdhsa_forward_progress 0
		.amdhsa_shared_vgpr_count 0
		.amdhsa_exception_fp_ieee_invalid_op 0
		.amdhsa_exception_fp_denorm_src 0
		.amdhsa_exception_fp_ieee_div_zero 0
		.amdhsa_exception_fp_ieee_overflow 0
		.amdhsa_exception_fp_ieee_underflow 0
		.amdhsa_exception_fp_ieee_inexact 0
		.amdhsa_exception_int_div_zero 0
	.end_amdhsa_kernel
	.section	.text._ZL32rocblas_syrkx_herkx_small_kernelIi19rocblas_complex_numIfELi16ELb1ELb1ELc67ELc76EKPKS1_KPS1_EviT_T0_PT6_S7_lSA_S7_lS8_PT7_S7_li,"axG",@progbits,_ZL32rocblas_syrkx_herkx_small_kernelIi19rocblas_complex_numIfELi16ELb1ELb1ELc67ELc76EKPKS1_KPS1_EviT_T0_PT6_S7_lSA_S7_lS8_PT7_S7_li,comdat
.Lfunc_end821:
	.size	_ZL32rocblas_syrkx_herkx_small_kernelIi19rocblas_complex_numIfELi16ELb1ELb1ELc67ELc76EKPKS1_KPS1_EviT_T0_PT6_S7_lSA_S7_lS8_PT7_S7_li, .Lfunc_end821-_ZL32rocblas_syrkx_herkx_small_kernelIi19rocblas_complex_numIfELi16ELb1ELb1ELc67ELc76EKPKS1_KPS1_EviT_T0_PT6_S7_lSA_S7_lS8_PT7_S7_li
                                        ; -- End function
	.section	.AMDGPU.csdata,"",@progbits
; Kernel info:
; codeLenInByte = 1472
; NumSgprs: 22
; NumVgprs: 69
; ScratchSize: 0
; MemoryBound: 1
; FloatMode: 240
; IeeeMode: 1
; LDSByteSize: 4096 bytes/workgroup (compile time only)
; SGPRBlocks: 2
; VGPRBlocks: 8
; NumSGPRsForWavesPerEU: 22
; NumVGPRsForWavesPerEU: 69
; Occupancy: 16
; WaveLimiterHint : 1
; COMPUTE_PGM_RSRC2:SCRATCH_EN: 0
; COMPUTE_PGM_RSRC2:USER_SGPR: 13
; COMPUTE_PGM_RSRC2:TRAP_HANDLER: 0
; COMPUTE_PGM_RSRC2:TGID_X_EN: 1
; COMPUTE_PGM_RSRC2:TGID_Y_EN: 1
; COMPUTE_PGM_RSRC2:TGID_Z_EN: 1
; COMPUTE_PGM_RSRC2:TIDIG_COMP_CNT: 1
	.section	.text._ZL32rocblas_syrkx_herkx_small_kernelIi19rocblas_complex_numIfELi16ELb1ELb1ELc78ELc76EKPKS1_KPS1_EviT_T0_PT6_S7_lSA_S7_lS8_PT7_S7_li,"axG",@progbits,_ZL32rocblas_syrkx_herkx_small_kernelIi19rocblas_complex_numIfELi16ELb1ELb1ELc78ELc76EKPKS1_KPS1_EviT_T0_PT6_S7_lSA_S7_lS8_PT7_S7_li,comdat
	.globl	_ZL32rocblas_syrkx_herkx_small_kernelIi19rocblas_complex_numIfELi16ELb1ELb1ELc78ELc76EKPKS1_KPS1_EviT_T0_PT6_S7_lSA_S7_lS8_PT7_S7_li ; -- Begin function _ZL32rocblas_syrkx_herkx_small_kernelIi19rocblas_complex_numIfELi16ELb1ELb1ELc78ELc76EKPKS1_KPS1_EviT_T0_PT6_S7_lSA_S7_lS8_PT7_S7_li
	.p2align	8
	.type	_ZL32rocblas_syrkx_herkx_small_kernelIi19rocblas_complex_numIfELi16ELb1ELb1ELc78ELc76EKPKS1_KPS1_EviT_T0_PT6_S7_lSA_S7_lS8_PT7_S7_li,@function
_ZL32rocblas_syrkx_herkx_small_kernelIi19rocblas_complex_numIfELi16ELb1ELb1ELc78ELc76EKPKS1_KPS1_EviT_T0_PT6_S7_lSA_S7_lS8_PT7_S7_li: ; @_ZL32rocblas_syrkx_herkx_small_kernelIi19rocblas_complex_numIfELi16ELb1ELb1ELc78ELc76EKPKS1_KPS1_EviT_T0_PT6_S7_lSA_S7_lS8_PT7_S7_li
; %bb.0:
	s_clause 0x1
	s_load_b64 s[2:3], s[0:1], 0x48
	s_load_b64 s[16:17], s[0:1], 0x0
	s_mov_b32 s10, s15
	s_mov_b32 s11, 0
	v_dual_mov_b32 v17, 0 :: v_dual_and_b32 v10, 0x3ff, v0
	s_lshl_b64 s[18:19], s[10:11], 3
	v_bfe_u32 v11, v0, 10, 10
	v_mov_b32_e32 v16, 0
	s_delay_alu instid0(VALU_DEP_3) | instskip(NEXT) | instid1(VALU_DEP_3)
	v_lshl_add_u32 v0, s13, 4, v10
	v_lshl_add_u32 v2, s14, 4, v11
	s_delay_alu instid0(VALU_DEP_2)
	v_ashrrev_i32_e32 v1, 31, v0
	s_waitcnt lgkmcnt(0)
	s_add_u32 s2, s2, s18
	s_addc_u32 s3, s3, s19
	s_load_b128 s[4:7], s[0:1], 0x8
	s_load_b64 s[8:9], s[2:3], 0x0
	v_cmp_gt_i32_e32 vcc_lo, s16, v0
	s_cmp_lt_i32 s17, 1
	s_cbranch_scc1 .LBB822_11
; %bb.1:
	s_clause 0x2
	s_load_b32 s12, s[0:1], 0x18
	s_load_b32 s14, s[0:1], 0x30
	s_load_b64 s[20:21], s[0:1], 0x28
	v_ashrrev_i32_e32 v3, 31, v2
	v_lshlrev_b64 v[5:6], 3, v[0:1]
	v_dual_mov_b32 v4, 0 :: v_dual_lshlrev_b32 v9, 7, v11
	v_dual_mov_b32 v13, 0 :: v_dual_lshlrev_b32 v12, 3, v10
	s_delay_alu instid0(VALU_DEP_4) | instskip(SKIP_1) | instid1(VALU_DEP_4)
	v_lshlrev_b64 v[19:20], 3, v[2:3]
	v_mov_b32_e32 v16, 0
	v_add_nc_u32_e32 v14, 0x800, v9
	s_delay_alu instid0(VALU_DEP_4)
	v_add_nc_u32_e32 v3, v12, v9
	v_cmp_gt_i32_e64 s2, s16, v2
	s_waitcnt lgkmcnt(0)
	s_ashr_i32 s13, s12, 31
	s_ashr_i32 s15, s14, 31
	s_add_u32 s20, s20, s18
	s_addc_u32 s21, s21, s19
	v_mad_i64_i32 v[7:8], null, s14, v10, 0
	s_load_b64 s[20:21], s[20:21], 0x0
	s_add_u32 s6, s6, s18
	s_addc_u32 s7, s7, s19
	v_mad_i64_i32 v[17:18], null, s12, v11, 0
	s_load_b64 s[18:19], s[6:7], 0x0
	s_delay_alu instid0(VALU_DEP_2) | instskip(SKIP_3) | instid1(VALU_DEP_2)
	v_lshlrev_b64 v[7:8], 3, v[7:8]
	s_lshl_b64 s[6:7], s[14:15], 7
	s_lshl_b64 s[12:13], s[12:13], 7
	s_xor_b32 s2, s2, -1
	v_lshlrev_b64 v[17:18], 3, v[17:18]
	s_delay_alu instid0(VALU_DEP_2) | instskip(NEXT) | instid1(VALU_DEP_1)
	v_add_co_u32 v7, s3, v7, v19
	v_add_co_ci_u32_e64 v8, s3, v8, v20, s3
	s_delay_alu instid0(VALU_DEP_3) | instskip(NEXT) | instid1(VALU_DEP_1)
	v_add_co_u32 v5, s3, v17, v5
	v_add_co_ci_u32_e64 v9, s3, v18, v6, s3
	s_waitcnt lgkmcnt(0)
	v_add_co_u32 v17, s3, v7, s20
	s_delay_alu instid0(VALU_DEP_1) | instskip(SKIP_1) | instid1(VALU_DEP_1)
	v_add_co_ci_u32_e64 v18, s3, s21, v8, s3
	v_add_co_u32 v6, s3, s18, v5
	v_add_co_ci_u32_e64 v7, s3, s19, v9, s3
	s_delay_alu instid0(VALU_DEP_4)
	v_add_co_u32 v8, s3, v17, 4
	v_mov_b32_e32 v17, 0
	v_add_nc_u32_e32 v15, v14, v12
	v_add_co_ci_u32_e64 v9, s3, 0, v18, s3
	s_xor_b32 s3, vcc_lo, -1
	s_branch .LBB822_3
.LBB822_2:                              ;   in Loop: Header=BB822_3 Depth=1
	s_or_b32 exec_lo, exec_lo, s10
	ds_store_b32 v15, v5 offset:4
	s_waitcnt lgkmcnt(0)
	s_barrier
	buffer_gl0_inv
	ds_load_2addr_b64 v[18:21], v12 offset1:16
	ds_load_b128 v[22:25], v14
	ds_load_b128 v[26:29], v14 offset:16
	ds_load_2addr_b64 v[30:33], v12 offset0:32 offset1:48
	ds_load_2addr_b64 v[34:37], v12 offset0:64 offset1:80
	ds_load_b128 v[38:41], v14 offset:32
	ds_load_b128 v[42:45], v14 offset:48
	ds_load_2addr_b64 v[46:49], v12 offset0:96 offset1:112
	ds_load_2addr_b64 v[50:53], v12 offset0:128 offset1:144
	;; [unrolled: 1-line block ×3, first 2 shown]
	ds_load_b128 v[58:61], v14 offset:64
	ds_load_b128 v[62:65], v14 offset:80
	v_add_co_u32 v8, vcc_lo, v8, s6
	v_add_co_ci_u32_e32 v9, vcc_lo, s7, v9, vcc_lo
	v_add_co_u32 v6, vcc_lo, v6, s12
	v_add_co_ci_u32_e32 v7, vcc_lo, s13, v7, vcc_lo
	s_add_i32 s11, s11, 16
	s_waitcnt lgkmcnt(10)
	v_dual_mul_f32 v5, v23, v19 :: v_dual_mul_f32 v66, v25, v21
	s_waitcnt lgkmcnt(8)
	v_dual_mul_f32 v19, v22, v19 :: v_dual_mul_f32 v68, v29, v33
	v_mul_f32_e32 v21, v24, v21
	s_delay_alu instid0(VALU_DEP_3) | instskip(SKIP_1) | instid1(VALU_DEP_3)
	v_fma_f32 v5, v22, v18, -v5
	s_waitcnt lgkmcnt(6)
	v_dual_mul_f32 v22, v38, v35 :: v_dual_fmac_f32 v19, v23, v18
	v_fma_f32 v18, v24, v20, -v66
	v_fmac_f32_e32 v21, v25, v20
	v_add_f32_e32 v5, v17, v5
	v_fma_f32 v20, v28, v32, -v68
	v_add_f32_e32 v16, v16, v19
	v_mul_f32_e32 v67, v27, v31
	v_mul_f32_e32 v31, v26, v31
	v_add_f32_e32 v5, v5, v18
	s_waitcnt lgkmcnt(4)
	v_dual_mul_f32 v33, v28, v33 :: v_dual_mul_f32 v18, v43, v47
	v_add_f32_e32 v16, v16, v21
	v_fma_f32 v19, v26, v30, -v67
	v_mul_f32_e32 v17, v40, v37
	s_waitcnt lgkmcnt(1)
	v_dual_fmac_f32 v33, v29, v32 :: v_dual_mul_f32 v24, v58, v51
	v_fma_f32 v18, v42, v46, -v18
	v_add_f32_e32 v5, v5, v19
	v_dual_mul_f32 v25, v61, v53 :: v_dual_fmac_f32 v22, v39, v34
	s_delay_alu instid0(VALU_DEP_4) | instskip(SKIP_1) | instid1(VALU_DEP_3)
	v_fmac_f32_e32 v24, v59, v50
	s_cmp_ge_i32 s11, s17
	v_add_f32_e32 v5, v5, v20
	v_dual_mul_f32 v20, v45, v49 :: v_dual_fmac_f32 v31, v27, v30
	v_fma_f32 v25, v60, v52, -v25
	s_waitcnt lgkmcnt(0)
	v_mul_f32_e32 v32, v62, v55
	s_delay_alu instid0(VALU_DEP_3) | instskip(SKIP_1) | instid1(VALU_DEP_3)
	v_add_f32_e32 v16, v16, v31
	v_mul_f32_e32 v69, v39, v35
	v_dual_mul_f32 v35, v41, v37 :: v_dual_fmac_f32 v32, v63, v54
	s_delay_alu instid0(VALU_DEP_3) | instskip(NEXT) | instid1(VALU_DEP_3)
	v_add_f32_e32 v16, v16, v33
	v_fma_f32 v21, v38, v34, -v69
	s_delay_alu instid0(VALU_DEP_3) | instskip(NEXT) | instid1(VALU_DEP_3)
	v_fma_f32 v23, v40, v36, -v35
	v_dual_mul_f32 v35, v65, v57 :: v_dual_add_f32 v16, v16, v22
	s_delay_alu instid0(VALU_DEP_3) | instskip(SKIP_3) | instid1(VALU_DEP_3)
	v_add_f32_e32 v5, v5, v21
	v_dual_mul_f32 v21, v44, v49 :: v_dual_mul_f32 v22, v59, v51
	v_dual_fmac_f32 v17, v41, v36 :: v_dual_mul_f32 v36, v64, v57
	v_mul_f32_e32 v27, v60, v53
	v_fmac_f32_e32 v21, v45, v48
	s_delay_alu instid0(VALU_DEP_3) | instskip(SKIP_3) | instid1(VALU_DEP_4)
	v_dual_mul_f32 v19, v42, v47 :: v_dual_add_f32 v16, v16, v17
	v_fma_f32 v17, v44, v48, -v20
	v_fmac_f32_e32 v36, v65, v56
	v_fmac_f32_e32 v27, v61, v52
	;; [unrolled: 1-line block ×3, first 2 shown]
	s_delay_alu instid0(VALU_DEP_1) | instskip(NEXT) | instid1(VALU_DEP_1)
	v_add_f32_e32 v16, v16, v19
	v_add_f32_e32 v26, v16, v21
	s_delay_alu instid0(VALU_DEP_1) | instskip(SKIP_1) | instid1(VALU_DEP_2)
	v_dual_add_f32 v24, v26, v24 :: v_dual_add_f32 v5, v5, v23
	v_mul_f32_e32 v26, v63, v55
	v_add_f32_e32 v33, v24, v27
	s_delay_alu instid0(VALU_DEP_2) | instskip(NEXT) | instid1(VALU_DEP_2)
	v_fma_f32 v34, v62, v54, -v26
	v_add_f32_e32 v32, v33, v32
	v_add_f32_e32 v5, v5, v18
	v_fma_f32 v18, v58, v50, -v22
	v_fma_f32 v33, v64, v56, -v35
	s_delay_alu instid0(VALU_DEP_3) | instskip(NEXT) | instid1(VALU_DEP_1)
	v_dual_add_f32 v32, v32, v36 :: v_dual_add_f32 v5, v5, v17
	v_add_f32_e32 v5, v5, v18
	ds_load_2addr_b64 v[16:19], v12 offset0:192 offset1:208
	ds_load_b128 v[20:23], v14 offset:96
	v_add_f32_e32 v5, v5, v25
	ds_load_2addr_b64 v[24:27], v12 offset0:224 offset1:240
	ds_load_b128 v[28:31], v14 offset:112
	s_waitcnt lgkmcnt(0)
	s_barrier
	buffer_gl0_inv
	v_add_f32_e32 v5, v5, v34
	s_delay_alu instid0(VALU_DEP_1) | instskip(SKIP_2) | instid1(VALU_DEP_2)
	v_add_f32_e32 v5, v5, v33
	v_mul_f32_e32 v34, v21, v17
	v_mul_f32_e32 v17, v20, v17
	v_fma_f32 v20, v20, v16, -v34
	s_delay_alu instid0(VALU_DEP_1) | instskip(NEXT) | instid1(VALU_DEP_1)
	v_dual_add_f32 v5, v5, v20 :: v_dual_mul_f32 v20, v28, v25
	v_fmac_f32_e32 v20, v29, v24
	s_delay_alu instid0(VALU_DEP_4) | instskip(SKIP_1) | instid1(VALU_DEP_2)
	v_dual_fmac_f32 v17, v21, v16 :: v_dual_mul_f32 v16, v23, v19
	v_mul_f32_e32 v19, v22, v19
	v_add_f32_e32 v17, v32, v17
	s_delay_alu instid0(VALU_DEP_3) | instskip(NEXT) | instid1(VALU_DEP_3)
	v_fma_f32 v16, v22, v18, -v16
	v_dual_fmac_f32 v19, v23, v18 :: v_dual_mul_f32 v18, v29, v25
	s_delay_alu instid0(VALU_DEP_2) | instskip(NEXT) | instid1(VALU_DEP_2)
	v_add_f32_e32 v5, v5, v16
	v_add_f32_e32 v16, v17, v19
	s_delay_alu instid0(VALU_DEP_3) | instskip(SKIP_2) | instid1(VALU_DEP_3)
	v_fma_f32 v17, v28, v24, -v18
	v_mul_f32_e32 v18, v31, v27
	v_mul_f32_e32 v19, v30, v27
	v_add_f32_e32 v5, v5, v17
	s_delay_alu instid0(VALU_DEP_3) | instskip(NEXT) | instid1(VALU_DEP_3)
	v_fma_f32 v17, v30, v26, -v18
	v_dual_fmac_f32 v19, v31, v26 :: v_dual_add_f32 v16, v16, v20
	s_delay_alu instid0(VALU_DEP_1)
	v_dual_add_f32 v17, v5, v17 :: v_dual_add_f32 v16, v16, v19
	s_cbranch_scc1 .LBB822_11
.LBB822_3:                              ; =>This Inner Loop Header: Depth=1
	v_add_nc_u32_e32 v5, s11, v11
	s_delay_alu instid0(VALU_DEP_1) | instskip(SKIP_1) | instid1(SALU_CYCLE_1)
	v_cmp_le_i32_e32 vcc_lo, s17, v5
	s_or_b32 s10, s3, vcc_lo
	s_and_saveexec_b32 s14, s10
	s_delay_alu instid0(SALU_CYCLE_1)
	s_xor_b32 s10, exec_lo, s14
	s_cbranch_execz .LBB822_5
; %bb.4:                                ;   in Loop: Header=BB822_3 Depth=1
	v_mov_b32_e32 v5, v4
	ds_store_b64 v3, v[4:5]
.LBB822_5:                              ;   in Loop: Header=BB822_3 Depth=1
	s_and_not1_saveexec_b32 s10, s10
	s_cbranch_execz .LBB822_7
; %bb.6:                                ;   in Loop: Header=BB822_3 Depth=1
	global_load_b64 v[18:19], v[6:7], off
	s_waitcnt vmcnt(0)
	ds_store_b64 v3, v[18:19]
.LBB822_7:                              ;   in Loop: Header=BB822_3 Depth=1
	s_or_b32 exec_lo, exec_lo, s10
	v_add_nc_u32_e32 v5, s11, v10
                                        ; implicit-def: $sgpr14
	s_delay_alu instid0(VALU_DEP_1) | instskip(SKIP_1) | instid1(SALU_CYCLE_1)
	v_cmp_le_i32_e32 vcc_lo, s17, v5
	s_or_b32 s10, s2, vcc_lo
	s_and_saveexec_b32 s15, s10
	s_delay_alu instid0(SALU_CYCLE_1)
	s_xor_b32 s10, exec_lo, s15
	s_cbranch_execz .LBB822_9
; %bb.8:                                ;   in Loop: Header=BB822_3 Depth=1
	s_mov_b32 s14, 0
	ds_store_b32 v15, v13
.LBB822_9:                              ;   in Loop: Header=BB822_3 Depth=1
	s_or_saveexec_b32 s10, s10
	v_mov_b32_e32 v5, s14
	s_xor_b32 exec_lo, exec_lo, s10
	s_cbranch_execz .LBB822_2
; %bb.10:                               ;   in Loop: Header=BB822_3 Depth=1
	global_load_b64 v[18:19], v[8:9], off offset:-4
	s_waitcnt vmcnt(0)
	v_xor_b32_e32 v5, 0x80000000, v19
	ds_store_b32 v15, v18
	s_branch .LBB822_2
.LBB822_11:
	v_cmp_le_i32_e32 vcc_lo, v2, v0
	v_cmp_gt_i32_e64 s2, s16, v0
	s_delay_alu instid0(VALU_DEP_1) | instskip(NEXT) | instid1(SALU_CYCLE_1)
	s_and_b32 s2, vcc_lo, s2
	s_and_saveexec_b32 s3, s2
	s_cbranch_execz .LBB822_14
; %bb.12:
	s_load_b32 s0, s[0:1], 0x50
	v_lshlrev_b64 v[7:8], 3, v[0:1]
	s_waitcnt lgkmcnt(0)
	v_mul_f32_e32 v6, s4, v16
	s_delay_alu instid0(VALU_DEP_1) | instskip(NEXT) | instid1(VALU_DEP_1)
	v_dual_mul_f32 v5, s5, v16 :: v_dual_fmac_f32 v6, s5, v17
	v_fma_f32 v5, v17, s4, -v5
	v_mad_i64_i32 v[3:4], null, s0, v2, 0
	s_delay_alu instid0(VALU_DEP_1) | instskip(NEXT) | instid1(VALU_DEP_1)
	v_lshlrev_b64 v[3:4], 3, v[3:4]
	v_add_co_u32 v1, vcc_lo, s8, v3
	s_delay_alu instid0(VALU_DEP_2) | instskip(NEXT) | instid1(VALU_DEP_2)
	v_add_co_ci_u32_e32 v4, vcc_lo, s9, v4, vcc_lo
	v_add_co_u32 v3, vcc_lo, v1, v7
	s_delay_alu instid0(VALU_DEP_2)
	v_add_co_ci_u32_e32 v4, vcc_lo, v4, v8, vcc_lo
	v_cmp_eq_u32_e32 vcc_lo, v0, v2
	global_store_b64 v[3:4], v[5:6], off
	s_and_b32 exec_lo, exec_lo, vcc_lo
	s_cbranch_execz .LBB822_14
; %bb.13:
	v_mov_b32_e32 v0, 0
	global_store_b32 v[3:4], v0, off offset:4
.LBB822_14:
	s_nop 0
	s_sendmsg sendmsg(MSG_DEALLOC_VGPRS)
	s_endpgm
	.section	.rodata,"a",@progbits
	.p2align	6, 0x0
	.amdhsa_kernel _ZL32rocblas_syrkx_herkx_small_kernelIi19rocblas_complex_numIfELi16ELb1ELb1ELc78ELc76EKPKS1_KPS1_EviT_T0_PT6_S7_lSA_S7_lS8_PT7_S7_li
		.amdhsa_group_segment_fixed_size 4096
		.amdhsa_private_segment_fixed_size 0
		.amdhsa_kernarg_size 100
		.amdhsa_user_sgpr_count 13
		.amdhsa_user_sgpr_dispatch_ptr 0
		.amdhsa_user_sgpr_queue_ptr 0
		.amdhsa_user_sgpr_kernarg_segment_ptr 1
		.amdhsa_user_sgpr_dispatch_id 0
		.amdhsa_user_sgpr_private_segment_size 0
		.amdhsa_wavefront_size32 1
		.amdhsa_uses_dynamic_stack 0
		.amdhsa_enable_private_segment 0
		.amdhsa_system_sgpr_workgroup_id_x 1
		.amdhsa_system_sgpr_workgroup_id_y 1
		.amdhsa_system_sgpr_workgroup_id_z 1
		.amdhsa_system_sgpr_workgroup_info 0
		.amdhsa_system_vgpr_workitem_id 1
		.amdhsa_next_free_vgpr 70
		.amdhsa_next_free_sgpr 22
		.amdhsa_reserve_vcc 1
		.amdhsa_float_round_mode_32 0
		.amdhsa_float_round_mode_16_64 0
		.amdhsa_float_denorm_mode_32 3
		.amdhsa_float_denorm_mode_16_64 3
		.amdhsa_dx10_clamp 1
		.amdhsa_ieee_mode 1
		.amdhsa_fp16_overflow 0
		.amdhsa_workgroup_processor_mode 1
		.amdhsa_memory_ordered 1
		.amdhsa_forward_progress 0
		.amdhsa_shared_vgpr_count 0
		.amdhsa_exception_fp_ieee_invalid_op 0
		.amdhsa_exception_fp_denorm_src 0
		.amdhsa_exception_fp_ieee_div_zero 0
		.amdhsa_exception_fp_ieee_overflow 0
		.amdhsa_exception_fp_ieee_underflow 0
		.amdhsa_exception_fp_ieee_inexact 0
		.amdhsa_exception_int_div_zero 0
	.end_amdhsa_kernel
	.section	.text._ZL32rocblas_syrkx_herkx_small_kernelIi19rocblas_complex_numIfELi16ELb1ELb1ELc78ELc76EKPKS1_KPS1_EviT_T0_PT6_S7_lSA_S7_lS8_PT7_S7_li,"axG",@progbits,_ZL32rocblas_syrkx_herkx_small_kernelIi19rocblas_complex_numIfELi16ELb1ELb1ELc78ELc76EKPKS1_KPS1_EviT_T0_PT6_S7_lSA_S7_lS8_PT7_S7_li,comdat
.Lfunc_end822:
	.size	_ZL32rocblas_syrkx_herkx_small_kernelIi19rocblas_complex_numIfELi16ELb1ELb1ELc78ELc76EKPKS1_KPS1_EviT_T0_PT6_S7_lSA_S7_lS8_PT7_S7_li, .Lfunc_end822-_ZL32rocblas_syrkx_herkx_small_kernelIi19rocblas_complex_numIfELi16ELb1ELb1ELc78ELc76EKPKS1_KPS1_EviT_T0_PT6_S7_lSA_S7_lS8_PT7_S7_li
                                        ; -- End function
	.section	.AMDGPU.csdata,"",@progbits
; Kernel info:
; codeLenInByte = 1520
; NumSgprs: 24
; NumVgprs: 70
; ScratchSize: 0
; MemoryBound: 1
; FloatMode: 240
; IeeeMode: 1
; LDSByteSize: 4096 bytes/workgroup (compile time only)
; SGPRBlocks: 2
; VGPRBlocks: 8
; NumSGPRsForWavesPerEU: 24
; NumVGPRsForWavesPerEU: 70
; Occupancy: 16
; WaveLimiterHint : 1
; COMPUTE_PGM_RSRC2:SCRATCH_EN: 0
; COMPUTE_PGM_RSRC2:USER_SGPR: 13
; COMPUTE_PGM_RSRC2:TRAP_HANDLER: 0
; COMPUTE_PGM_RSRC2:TGID_X_EN: 1
; COMPUTE_PGM_RSRC2:TGID_Y_EN: 1
; COMPUTE_PGM_RSRC2:TGID_Z_EN: 1
; COMPUTE_PGM_RSRC2:TIDIG_COMP_CNT: 1
	.section	.text._ZL32rocblas_syrkx_herkx_small_kernelIi19rocblas_complex_numIfELi16ELb1ELb1ELc84ELc85EKPKS1_KPS1_EviT_T0_PT6_S7_lSA_S7_lS8_PT7_S7_li,"axG",@progbits,_ZL32rocblas_syrkx_herkx_small_kernelIi19rocblas_complex_numIfELi16ELb1ELb1ELc84ELc85EKPKS1_KPS1_EviT_T0_PT6_S7_lSA_S7_lS8_PT7_S7_li,comdat
	.globl	_ZL32rocblas_syrkx_herkx_small_kernelIi19rocblas_complex_numIfELi16ELb1ELb1ELc84ELc85EKPKS1_KPS1_EviT_T0_PT6_S7_lSA_S7_lS8_PT7_S7_li ; -- Begin function _ZL32rocblas_syrkx_herkx_small_kernelIi19rocblas_complex_numIfELi16ELb1ELb1ELc84ELc85EKPKS1_KPS1_EviT_T0_PT6_S7_lSA_S7_lS8_PT7_S7_li
	.p2align	8
	.type	_ZL32rocblas_syrkx_herkx_small_kernelIi19rocblas_complex_numIfELi16ELb1ELb1ELc84ELc85EKPKS1_KPS1_EviT_T0_PT6_S7_lSA_S7_lS8_PT7_S7_li,@function
_ZL32rocblas_syrkx_herkx_small_kernelIi19rocblas_complex_numIfELi16ELb1ELb1ELc84ELc85EKPKS1_KPS1_EviT_T0_PT6_S7_lSA_S7_lS8_PT7_S7_li: ; @_ZL32rocblas_syrkx_herkx_small_kernelIi19rocblas_complex_numIfELi16ELb1ELb1ELc84ELc85EKPKS1_KPS1_EviT_T0_PT6_S7_lSA_S7_lS8_PT7_S7_li
; %bb.0:
	s_clause 0x1
	s_load_b64 s[2:3], s[0:1], 0x48
	s_load_b64 s[16:17], s[0:1], 0x0
	s_mov_b32 s10, s15
	s_mov_b32 s11, 0
	v_bfe_u32 v8, v0, 10, 10
	s_lshl_b64 s[18:19], s[10:11], 3
	v_dual_mov_b32 v14, 0 :: v_dual_and_b32 v9, 0x3ff, v0
	v_mov_b32_e32 v15, 0
	s_delay_alu instid0(VALU_DEP_3) | instskip(NEXT) | instid1(VALU_DEP_3)
	v_lshl_add_u32 v7, s14, 4, v8
	v_lshl_add_u32 v0, s13, 4, v9
	s_waitcnt lgkmcnt(0)
	s_add_u32 s2, s2, s18
	s_addc_u32 s3, s3, s19
	s_load_b128 s[4:7], s[0:1], 0x8
	s_load_b64 s[8:9], s[2:3], 0x0
	v_cmp_gt_i32_e32 vcc_lo, s16, v7
	s_cmp_lt_i32 s17, 1
	s_cbranch_scc1 .LBB823_11
; %bb.1:
	s_clause 0x2
	s_load_b64 s[12:13], s[0:1], 0x28
	s_load_b32 s3, s[0:1], 0x30
	s_load_b32 s10, s[0:1], 0x18
	v_lshlrev_b32_e32 v10, 3, v9
	v_dual_mov_b32 v1, 0 :: v_dual_lshlrev_b32 v6, 7, v8
	v_dual_mov_b32 v14, 0 :: v_dual_lshlrev_b32 v15, 3, v8
	v_cmp_gt_i32_e64 s2, s16, v0
	s_delay_alu instid0(VALU_DEP_3)
	v_add_nc_u32_e32 v11, 0x800, v6
	v_add_nc_u32_e32 v12, v10, v6
	s_waitcnt lgkmcnt(0)
	s_add_u32 s12, s12, s18
	s_addc_u32 s13, s13, s19
	v_mad_i64_i32 v[2:3], null, s3, v7, 0
	s_load_b64 s[12:13], s[12:13], 0x0
	s_add_u32 s6, s6, s18
	s_addc_u32 s7, s7, s19
	v_mad_i64_i32 v[4:5], null, s10, v0, 0
	s_load_b64 s[6:7], s[6:7], 0x0
	s_delay_alu instid0(VALU_DEP_2) | instskip(SKIP_1) | instid1(VALU_DEP_2)
	v_lshlrev_b64 v[2:3], 3, v[2:3]
	s_xor_b32 s2, s2, -1
	v_lshlrev_b64 v[4:5], 3, v[4:5]
	s_delay_alu instid0(VALU_DEP_2) | instskip(NEXT) | instid1(VALU_DEP_1)
	v_add_co_u32 v2, s3, v2, v10
	v_add_co_ci_u32_e64 v6, s3, 0, v3, s3
	s_delay_alu instid0(VALU_DEP_3) | instskip(NEXT) | instid1(VALU_DEP_1)
	v_add_co_u32 v15, s3, v4, v15
	v_add_co_ci_u32_e64 v16, s3, 0, v5, s3
	s_waitcnt lgkmcnt(0)
	v_add_co_u32 v3, s3, s12, v2
	s_delay_alu instid0(VALU_DEP_1) | instskip(SKIP_1) | instid1(VALU_DEP_1)
	v_add_co_ci_u32_e64 v4, s3, s13, v6, s3
	v_add_co_u32 v5, s3, s6, v15
	v_add_co_ci_u32_e64 v6, s3, s7, v16, s3
	v_mov_b32_e32 v15, 0
	v_add_nc_u32_e32 v13, v11, v10
	s_xor_b32 s3, vcc_lo, -1
	s_branch .LBB823_3
.LBB823_2:                              ;   in Loop: Header=BB823_3 Depth=1
	s_or_b32 exec_lo, exec_lo, s6
	s_waitcnt lgkmcnt(0)
	s_barrier
	buffer_gl0_inv
	ds_load_2addr_b64 v[16:19], v10 offset1:16
	ds_load_b128 v[20:23], v11
	ds_load_b128 v[24:27], v11 offset:16
	ds_load_2addr_b64 v[28:31], v10 offset0:32 offset1:48
	ds_load_2addr_b64 v[32:35], v10 offset0:64 offset1:80
	ds_load_b128 v[36:39], v11 offset:32
	ds_load_b128 v[40:43], v11 offset:48
	ds_load_2addr_b64 v[44:47], v10 offset0:96 offset1:112
	ds_load_2addr_b64 v[48:51], v10 offset0:128 offset1:144
	ds_load_2addr_b64 v[52:55], v10 offset0:160 offset1:176
	ds_load_b128 v[56:59], v11 offset:64
	ds_load_b128 v[60:63], v11 offset:80
	v_add_co_u32 v3, vcc_lo, 0x80, v3
	v_add_co_ci_u32_e32 v4, vcc_lo, 0, v4, vcc_lo
	v_add_co_u32 v5, vcc_lo, 0x80, v5
	v_add_co_ci_u32_e32 v6, vcc_lo, 0, v6, vcc_lo
	s_add_i32 s11, s11, 16
	s_waitcnt lgkmcnt(10)
	v_mul_f32_e32 v2, v21, v17
	v_dual_mul_f32 v17, v20, v17 :: v_dual_mul_f32 v64, v23, v19
	v_mul_f32_e32 v19, v22, v19
	s_waitcnt lgkmcnt(8)
	v_dual_mul_f32 v65, v25, v29 :: v_dual_mul_f32 v66, v27, v31
	v_fma_f32 v2, v20, v16, -v2
	v_mul_f32_e32 v31, v26, v31
	s_waitcnt lgkmcnt(6)
	v_dual_mul_f32 v29, v24, v29 :: v_dual_mul_f32 v20, v39, v35
	s_delay_alu instid0(VALU_DEP_3) | instskip(SKIP_2) | instid1(VALU_DEP_4)
	v_dual_mul_f32 v67, v37, v33 :: v_dual_add_f32 v2, v15, v2
	v_fmac_f32_e32 v17, v21, v16
	v_fma_f32 v21, v22, v18, -v64
	v_dual_fmac_f32 v29, v25, v28 :: v_dual_mul_f32 v16, v38, v35
	v_fma_f32 v20, v38, v34, -v20
	s_delay_alu instid0(VALU_DEP_3)
	v_dual_fmac_f32 v31, v27, v30 :: v_dual_add_f32 v2, v2, v21
	v_dual_fmac_f32 v19, v23, v18 :: v_dual_add_f32 v14, v14, v17
	v_fma_f32 v17, v24, v28, -v65
	v_mul_f32_e32 v33, v36, v33
	s_waitcnt lgkmcnt(4)
	v_mul_f32_e32 v18, v40, v45
	v_fma_f32 v21, v36, v32, -v67
	v_add_f32_e32 v14, v14, v19
	v_fma_f32 v19, v26, v30, -v66
	v_add_f32_e32 v2, v2, v17
	v_mul_f32_e32 v15, v41, v45
	s_delay_alu instid0(VALU_DEP_4) | instskip(NEXT) | instid1(VALU_DEP_3)
	v_dual_mul_f32 v17, v43, v47 :: v_dual_add_f32 v14, v14, v29
	v_dual_fmac_f32 v33, v37, v32 :: v_dual_add_f32 v2, v2, v19
	v_dual_mul_f32 v19, v42, v47 :: v_dual_fmac_f32 v16, v39, v34
	s_delay_alu instid0(VALU_DEP_3) | instskip(SKIP_1) | instid1(VALU_DEP_3)
	v_add_f32_e32 v14, v14, v31
	v_fma_f32 v15, v40, v44, -v15
	v_dual_add_f32 v2, v2, v21 :: v_dual_fmac_f32 v19, v43, v46
	s_waitcnt lgkmcnt(1)
	v_mul_f32_e32 v21, v57, v49
	v_dual_fmac_f32 v18, v41, v44 :: v_dual_mul_f32 v25, v58, v51
	v_add_f32_e32 v14, v14, v33
	v_add_f32_e32 v2, v2, v20
	v_fma_f32 v20, v42, v46, -v17
	v_fma_f32 v21, v56, v48, -v21
	s_delay_alu instid0(VALU_DEP_4)
	v_dual_fmac_f32 v25, v59, v50 :: v_dual_add_f32 v14, v14, v16
	s_waitcnt lgkmcnt(0)
	v_mul_f32_e32 v33, v63, v55
	v_add_f32_e32 v2, v2, v15
	v_mul_f32_e32 v34, v62, v55
	s_cmp_ge_i32 s11, s17
	v_add_f32_e32 v18, v14, v18
	v_mul_f32_e32 v22, v56, v49
	v_add_f32_e32 v2, v2, v20
	ds_load_2addr_b64 v[14:17], v10 offset0:192 offset1:208
	v_dual_fmac_f32 v34, v63, v54 :: v_dual_add_f32 v23, v18, v19
	v_add_f32_e32 v2, v2, v21
	ds_load_b128 v[18:21], v11 offset:96
	v_fmac_f32_e32 v22, v57, v48
	s_delay_alu instid0(VALU_DEP_1) | instskip(NEXT) | instid1(VALU_DEP_1)
	v_add_f32_e32 v22, v23, v22
	v_dual_mul_f32 v24, v59, v51 :: v_dual_add_f32 v31, v22, v25
	s_delay_alu instid0(VALU_DEP_1) | instskip(SKIP_1) | instid1(VALU_DEP_2)
	v_fma_f32 v23, v58, v50, -v24
	v_mul_f32_e32 v24, v61, v53
	v_add_f32_e32 v2, v2, v23
	s_delay_alu instid0(VALU_DEP_2)
	v_fma_f32 v32, v60, v52, -v24
	ds_load_2addr_b64 v[22:25], v10 offset0:224 offset1:240
	ds_load_b128 v[26:29], v11 offset:112
	v_mul_f32_e32 v30, v60, v53
	s_waitcnt lgkmcnt(0)
	s_barrier
	v_add_f32_e32 v2, v2, v32
	v_mul_f32_e32 v32, v19, v15
	v_dual_fmac_f32 v30, v61, v52 :: v_dual_mul_f32 v15, v18, v15
	buffer_gl0_inv
	v_fma_f32 v18, v18, v14, -v32
	v_add_f32_e32 v30, v31, v30
	v_fma_f32 v31, v62, v54, -v33
	v_dual_fmac_f32 v15, v19, v14 :: v_dual_mul_f32 v14, v21, v17
	s_delay_alu instid0(VALU_DEP_3) | instskip(NEXT) | instid1(VALU_DEP_3)
	v_dual_mul_f32 v17, v20, v17 :: v_dual_add_f32 v30, v30, v34
	v_add_f32_e32 v2, v2, v31
	s_delay_alu instid0(VALU_DEP_3) | instskip(NEXT) | instid1(VALU_DEP_3)
	v_fma_f32 v14, v20, v16, -v14
	v_fmac_f32_e32 v17, v21, v16
	s_delay_alu instid0(VALU_DEP_4) | instskip(NEXT) | instid1(VALU_DEP_4)
	v_add_f32_e32 v15, v30, v15
	v_add_f32_e32 v2, v2, v18
	v_mul_f32_e32 v16, v27, v23
	v_mul_f32_e32 v18, v26, v23
	s_delay_alu instid0(VALU_DEP_3) | instskip(SKIP_1) | instid1(VALU_DEP_4)
	v_add_f32_e32 v2, v2, v14
	v_add_f32_e32 v14, v15, v17
	v_fma_f32 v15, v26, v22, -v16
	s_delay_alu instid0(VALU_DEP_4) | instskip(SKIP_1) | instid1(VALU_DEP_3)
	v_fmac_f32_e32 v18, v27, v22
	v_mul_f32_e32 v16, v29, v25
	v_dual_mul_f32 v17, v28, v25 :: v_dual_add_f32 v2, v2, v15
	s_delay_alu instid0(VALU_DEP_3) | instskip(NEXT) | instid1(VALU_DEP_3)
	v_add_f32_e32 v14, v14, v18
	v_fma_f32 v15, v28, v24, -v16
	s_delay_alu instid0(VALU_DEP_3) | instskip(NEXT) | instid1(VALU_DEP_2)
	v_fmac_f32_e32 v17, v29, v24
	v_add_f32_e32 v15, v2, v15
	s_delay_alu instid0(VALU_DEP_2)
	v_add_f32_e32 v14, v14, v17
	s_cbranch_scc1 .LBB823_11
.LBB823_3:                              ; =>This Inner Loop Header: Depth=1
	v_add_nc_u32_e32 v2, s11, v8
	s_delay_alu instid0(VALU_DEP_1) | instskip(SKIP_1) | instid1(SALU_CYCLE_1)
	v_cmp_le_i32_e32 vcc_lo, s17, v2
	s_or_b32 s6, s2, vcc_lo
	s_and_saveexec_b32 s7, s6
	s_delay_alu instid0(SALU_CYCLE_1)
	s_xor_b32 s6, exec_lo, s7
	s_cbranch_execz .LBB823_5
; %bb.4:                                ;   in Loop: Header=BB823_3 Depth=1
	v_mov_b32_e32 v2, v1
	ds_store_b64 v12, v[1:2]
.LBB823_5:                              ;   in Loop: Header=BB823_3 Depth=1
	s_and_not1_saveexec_b32 s6, s6
	s_cbranch_execz .LBB823_7
; %bb.6:                                ;   in Loop: Header=BB823_3 Depth=1
	global_load_b64 v[16:17], v[5:6], off
	s_waitcnt vmcnt(0)
	ds_store_b64 v12, v[16:17]
.LBB823_7:                              ;   in Loop: Header=BB823_3 Depth=1
	s_or_b32 exec_lo, exec_lo, s6
	v_add_nc_u32_e32 v2, s11, v9
	s_delay_alu instid0(VALU_DEP_1) | instskip(SKIP_1) | instid1(SALU_CYCLE_1)
	v_cmp_le_i32_e32 vcc_lo, s17, v2
	s_or_b32 s6, s3, vcc_lo
	s_and_saveexec_b32 s7, s6
	s_delay_alu instid0(SALU_CYCLE_1)
	s_xor_b32 s6, exec_lo, s7
	s_cbranch_execz .LBB823_9
; %bb.8:                                ;   in Loop: Header=BB823_3 Depth=1
	v_mov_b32_e32 v2, v1
	ds_store_b64 v13, v[1:2]
.LBB823_9:                              ;   in Loop: Header=BB823_3 Depth=1
	s_and_not1_saveexec_b32 s6, s6
	s_cbranch_execz .LBB823_2
; %bb.10:                               ;   in Loop: Header=BB823_3 Depth=1
	global_load_b64 v[16:17], v[3:4], off
	s_waitcnt vmcnt(0)
	ds_store_b64 v13, v[16:17]
	s_branch .LBB823_2
.LBB823_11:
	v_cmp_le_i32_e32 vcc_lo, v0, v7
	v_cmp_gt_i32_e64 s2, s16, v7
	s_delay_alu instid0(VALU_DEP_1) | instskip(NEXT) | instid1(SALU_CYCLE_1)
	s_and_b32 s2, vcc_lo, s2
	s_and_saveexec_b32 s3, s2
	s_cbranch_execz .LBB823_14
; %bb.12:
	s_load_b32 s0, s[0:1], 0x50
	v_ashrrev_i32_e32 v1, 31, v0
	s_waitcnt lgkmcnt(0)
	v_mul_f32_e32 v5, s4, v14
	v_mul_f32_e32 v4, s5, v14
	s_delay_alu instid0(VALU_DEP_3) | instskip(NEXT) | instid1(VALU_DEP_3)
	v_lshlrev_b64 v[8:9], 3, v[0:1]
	v_fmac_f32_e32 v5, s5, v15
	s_delay_alu instid0(VALU_DEP_3) | instskip(SKIP_1) | instid1(VALU_DEP_1)
	v_fma_f32 v4, v15, s4, -v4
	v_mad_i64_i32 v[2:3], null, s0, v7, 0
	v_lshlrev_b64 v[2:3], 3, v[2:3]
	s_delay_alu instid0(VALU_DEP_1) | instskip(NEXT) | instid1(VALU_DEP_2)
	v_add_co_u32 v1, vcc_lo, s8, v2
	v_add_co_ci_u32_e32 v2, vcc_lo, s9, v3, vcc_lo
	s_delay_alu instid0(VALU_DEP_2) | instskip(NEXT) | instid1(VALU_DEP_2)
	v_add_co_u32 v1, vcc_lo, v1, v8
	v_add_co_ci_u32_e32 v2, vcc_lo, v2, v9, vcc_lo
	v_cmp_eq_u32_e32 vcc_lo, v0, v7
	global_store_b64 v[1:2], v[4:5], off
	s_and_b32 exec_lo, exec_lo, vcc_lo
	s_cbranch_execz .LBB823_14
; %bb.13:
	v_mov_b32_e32 v0, 0
	global_store_b32 v[1:2], v0, off offset:4
.LBB823_14:
	s_nop 0
	s_sendmsg sendmsg(MSG_DEALLOC_VGPRS)
	s_endpgm
	.section	.rodata,"a",@progbits
	.p2align	6, 0x0
	.amdhsa_kernel _ZL32rocblas_syrkx_herkx_small_kernelIi19rocblas_complex_numIfELi16ELb1ELb1ELc84ELc85EKPKS1_KPS1_EviT_T0_PT6_S7_lSA_S7_lS8_PT7_S7_li
		.amdhsa_group_segment_fixed_size 4096
		.amdhsa_private_segment_fixed_size 0
		.amdhsa_kernarg_size 100
		.amdhsa_user_sgpr_count 13
		.amdhsa_user_sgpr_dispatch_ptr 0
		.amdhsa_user_sgpr_queue_ptr 0
		.amdhsa_user_sgpr_kernarg_segment_ptr 1
		.amdhsa_user_sgpr_dispatch_id 0
		.amdhsa_user_sgpr_private_segment_size 0
		.amdhsa_wavefront_size32 1
		.amdhsa_uses_dynamic_stack 0
		.amdhsa_enable_private_segment 0
		.amdhsa_system_sgpr_workgroup_id_x 1
		.amdhsa_system_sgpr_workgroup_id_y 1
		.amdhsa_system_sgpr_workgroup_id_z 1
		.amdhsa_system_sgpr_workgroup_info 0
		.amdhsa_system_vgpr_workitem_id 1
		.amdhsa_next_free_vgpr 68
		.amdhsa_next_free_sgpr 20
		.amdhsa_reserve_vcc 1
		.amdhsa_float_round_mode_32 0
		.amdhsa_float_round_mode_16_64 0
		.amdhsa_float_denorm_mode_32 3
		.amdhsa_float_denorm_mode_16_64 3
		.amdhsa_dx10_clamp 1
		.amdhsa_ieee_mode 1
		.amdhsa_fp16_overflow 0
		.amdhsa_workgroup_processor_mode 1
		.amdhsa_memory_ordered 1
		.amdhsa_forward_progress 0
		.amdhsa_shared_vgpr_count 0
		.amdhsa_exception_fp_ieee_invalid_op 0
		.amdhsa_exception_fp_denorm_src 0
		.amdhsa_exception_fp_ieee_div_zero 0
		.amdhsa_exception_fp_ieee_overflow 0
		.amdhsa_exception_fp_ieee_underflow 0
		.amdhsa_exception_fp_ieee_inexact 0
		.amdhsa_exception_int_div_zero 0
	.end_amdhsa_kernel
	.section	.text._ZL32rocblas_syrkx_herkx_small_kernelIi19rocblas_complex_numIfELi16ELb1ELb1ELc84ELc85EKPKS1_KPS1_EviT_T0_PT6_S7_lSA_S7_lS8_PT7_S7_li,"axG",@progbits,_ZL32rocblas_syrkx_herkx_small_kernelIi19rocblas_complex_numIfELi16ELb1ELb1ELc84ELc85EKPKS1_KPS1_EviT_T0_PT6_S7_lSA_S7_lS8_PT7_S7_li,comdat
.Lfunc_end823:
	.size	_ZL32rocblas_syrkx_herkx_small_kernelIi19rocblas_complex_numIfELi16ELb1ELb1ELc84ELc85EKPKS1_KPS1_EviT_T0_PT6_S7_lSA_S7_lS8_PT7_S7_li, .Lfunc_end823-_ZL32rocblas_syrkx_herkx_small_kernelIi19rocblas_complex_numIfELi16ELb1ELb1ELc84ELc85EKPKS1_KPS1_EviT_T0_PT6_S7_lSA_S7_lS8_PT7_S7_li
                                        ; -- End function
	.section	.AMDGPU.csdata,"",@progbits
; Kernel info:
; codeLenInByte = 1428
; NumSgprs: 22
; NumVgprs: 68
; ScratchSize: 0
; MemoryBound: 1
; FloatMode: 240
; IeeeMode: 1
; LDSByteSize: 4096 bytes/workgroup (compile time only)
; SGPRBlocks: 2
; VGPRBlocks: 8
; NumSGPRsForWavesPerEU: 22
; NumVGPRsForWavesPerEU: 68
; Occupancy: 16
; WaveLimiterHint : 1
; COMPUTE_PGM_RSRC2:SCRATCH_EN: 0
; COMPUTE_PGM_RSRC2:USER_SGPR: 13
; COMPUTE_PGM_RSRC2:TRAP_HANDLER: 0
; COMPUTE_PGM_RSRC2:TGID_X_EN: 1
; COMPUTE_PGM_RSRC2:TGID_Y_EN: 1
; COMPUTE_PGM_RSRC2:TGID_Z_EN: 1
; COMPUTE_PGM_RSRC2:TIDIG_COMP_CNT: 1
	.section	.text._ZL32rocblas_syrkx_herkx_small_kernelIi19rocblas_complex_numIfELi16ELb1ELb1ELc67ELc85EKPKS1_KPS1_EviT_T0_PT6_S7_lSA_S7_lS8_PT7_S7_li,"axG",@progbits,_ZL32rocblas_syrkx_herkx_small_kernelIi19rocblas_complex_numIfELi16ELb1ELb1ELc67ELc85EKPKS1_KPS1_EviT_T0_PT6_S7_lSA_S7_lS8_PT7_S7_li,comdat
	.globl	_ZL32rocblas_syrkx_herkx_small_kernelIi19rocblas_complex_numIfELi16ELb1ELb1ELc67ELc85EKPKS1_KPS1_EviT_T0_PT6_S7_lSA_S7_lS8_PT7_S7_li ; -- Begin function _ZL32rocblas_syrkx_herkx_small_kernelIi19rocblas_complex_numIfELi16ELb1ELb1ELc67ELc85EKPKS1_KPS1_EviT_T0_PT6_S7_lSA_S7_lS8_PT7_S7_li
	.p2align	8
	.type	_ZL32rocblas_syrkx_herkx_small_kernelIi19rocblas_complex_numIfELi16ELb1ELb1ELc67ELc85EKPKS1_KPS1_EviT_T0_PT6_S7_lSA_S7_lS8_PT7_S7_li,@function
_ZL32rocblas_syrkx_herkx_small_kernelIi19rocblas_complex_numIfELi16ELb1ELb1ELc67ELc85EKPKS1_KPS1_EviT_T0_PT6_S7_lSA_S7_lS8_PT7_S7_li: ; @_ZL32rocblas_syrkx_herkx_small_kernelIi19rocblas_complex_numIfELi16ELb1ELb1ELc67ELc85EKPKS1_KPS1_EviT_T0_PT6_S7_lSA_S7_lS8_PT7_S7_li
; %bb.0:
	s_clause 0x1
	s_load_b64 s[2:3], s[0:1], 0x48
	s_load_b64 s[16:17], s[0:1], 0x0
	s_mov_b32 s10, s15
	s_mov_b32 s11, 0
	v_bfe_u32 v8, v0, 10, 10
	s_lshl_b64 s[18:19], s[10:11], 3
	v_dual_mov_b32 v16, 0 :: v_dual_and_b32 v9, 0x3ff, v0
	v_mov_b32_e32 v15, 0
	s_delay_alu instid0(VALU_DEP_3) | instskip(NEXT) | instid1(VALU_DEP_3)
	v_lshl_add_u32 v7, s14, 4, v8
	v_lshl_add_u32 v0, s13, 4, v9
	s_waitcnt lgkmcnt(0)
	s_add_u32 s2, s2, s18
	s_addc_u32 s3, s3, s19
	s_load_b128 s[4:7], s[0:1], 0x8
	s_load_b64 s[8:9], s[2:3], 0x0
	v_cmp_gt_i32_e32 vcc_lo, s16, v7
	s_cmp_lt_i32 s17, 1
	s_cbranch_scc1 .LBB824_11
; %bb.1:
	s_clause 0x2
	s_load_b64 s[12:13], s[0:1], 0x28
	s_load_b32 s3, s[0:1], 0x18
	s_load_b32 s10, s[0:1], 0x30
	v_lshlrev_b32_e32 v16, 3, v8
	v_dual_mov_b32 v15, 0 :: v_dual_lshlrev_b32 v10, 3, v9
	v_dual_mov_b32 v1, 0 :: v_dual_lshlrev_b32 v6, 7, v8
	v_cmp_gt_i32_e64 s2, s16, v0
	s_delay_alu instid0(VALU_DEP_2) | instskip(NEXT) | instid1(VALU_DEP_4)
	v_dual_mov_b32 v12, 0 :: v_dual_add_nc_u32 v11, 0x800, v6
	v_add_nc_u32_e32 v13, v10, v6
	s_delay_alu instid0(VALU_DEP_2)
	v_add_nc_u32_e32 v14, v11, v10
	s_waitcnt lgkmcnt(0)
	s_add_u32 s12, s12, s18
	s_addc_u32 s13, s13, s19
	s_add_u32 s6, s6, s18
	s_addc_u32 s7, s7, s19
	v_mad_i64_i32 v[2:3], null, s3, v0, 0
	s_load_b64 s[6:7], s[6:7], 0x0
	v_mad_i64_i32 v[4:5], null, s10, v7, 0
	s_load_b64 s[12:13], s[12:13], 0x0
	s_xor_b32 s2, s2, -1
	s_delay_alu instid0(VALU_DEP_2) | instskip(NEXT) | instid1(VALU_DEP_2)
	v_lshlrev_b64 v[2:3], 3, v[2:3]
	v_lshlrev_b64 v[4:5], 3, v[4:5]
	s_delay_alu instid0(VALU_DEP_2) | instskip(SKIP_1) | instid1(VALU_DEP_4)
	v_add_co_u32 v2, s3, v2, v16
	v_mov_b32_e32 v16, 0
	v_add_co_ci_u32_e64 v3, s3, 0, v3, s3
	s_delay_alu instid0(VALU_DEP_4) | instskip(NEXT) | instid1(VALU_DEP_1)
	v_add_co_u32 v4, s3, v4, v10
	v_add_co_ci_u32_e64 v5, s3, 0, v5, s3
	s_waitcnt lgkmcnt(0)
	v_add_co_u32 v2, s3, v2, s6
	s_delay_alu instid0(VALU_DEP_1) | instskip(SKIP_1) | instid1(VALU_DEP_1)
	v_add_co_ci_u32_e64 v6, s3, s7, v3, s3
	v_add_co_u32 v3, s3, s12, v4
	v_add_co_ci_u32_e64 v4, s3, s13, v5, s3
	s_delay_alu instid0(VALU_DEP_4) | instskip(NEXT) | instid1(VALU_DEP_1)
	v_add_co_u32 v5, s3, v2, 4
	v_add_co_ci_u32_e64 v6, s3, 0, v6, s3
	s_xor_b32 s3, vcc_lo, -1
	s_branch .LBB824_3
.LBB824_2:                              ;   in Loop: Header=BB824_3 Depth=1
	s_or_b32 exec_lo, exec_lo, s6
	s_waitcnt lgkmcnt(0)
	s_barrier
	buffer_gl0_inv
	ds_load_2addr_b64 v[17:20], v10 offset1:16
	ds_load_b128 v[21:24], v11
	ds_load_b128 v[25:28], v11 offset:16
	ds_load_2addr_b64 v[29:32], v10 offset0:32 offset1:48
	ds_load_2addr_b64 v[33:36], v10 offset0:64 offset1:80
	ds_load_b128 v[37:40], v11 offset:32
	ds_load_b128 v[41:44], v11 offset:48
	ds_load_2addr_b64 v[45:48], v10 offset0:96 offset1:112
	ds_load_2addr_b64 v[49:52], v10 offset0:128 offset1:144
	;; [unrolled: 1-line block ×3, first 2 shown]
	ds_load_b128 v[57:60], v11 offset:64
	ds_load_b128 v[61:64], v11 offset:80
	v_add_co_u32 v3, vcc_lo, 0x80, v3
	v_add_co_ci_u32_e32 v4, vcc_lo, 0, v4, vcc_lo
	v_add_co_u32 v5, vcc_lo, 0x80, v5
	v_add_co_ci_u32_e32 v6, vcc_lo, 0, v6, vcc_lo
	s_add_i32 s11, s11, 16
	s_waitcnt lgkmcnt(10)
	v_dual_mul_f32 v2, v22, v18 :: v_dual_mul_f32 v65, v24, v20
	s_waitcnt lgkmcnt(8)
	v_dual_mul_f32 v18, v21, v18 :: v_dual_mul_f32 v67, v28, v32
	v_mul_f32_e32 v20, v23, v20
	v_mul_f32_e32 v66, v26, v30
	;; [unrolled: 1-line block ×3, first 2 shown]
	s_delay_alu instid0(VALU_DEP_4)
	v_fmac_f32_e32 v18, v22, v17
	v_fma_f32 v2, v21, v17, -v2
	s_waitcnt lgkmcnt(6)
	v_dual_fmac_f32 v20, v24, v19 :: v_dual_mul_f32 v17, v39, v36
	v_mul_f32_e32 v32, v27, v32
	v_add_f32_e32 v15, v15, v18
	v_mul_f32_e32 v68, v38, v34
	v_fmac_f32_e32 v30, v26, v29
	v_fma_f32 v22, v23, v19, -v65
	v_fmac_f32_e32 v17, v40, v35
	v_dual_add_f32 v15, v15, v20 :: v_dual_fmac_f32 v32, v28, v31
	s_waitcnt lgkmcnt(1)
	v_mul_f32_e32 v23, v57, v50
	v_mul_f32_e32 v19, v41, v46
	v_add_f32_e32 v2, v16, v2
	v_add_f32_e32 v15, v15, v30
	v_mul_f32_e32 v34, v37, v34
	v_fma_f32 v20, v27, v31, -v67
	s_waitcnt lgkmcnt(0)
	v_mul_f32_e32 v31, v61, v54
	v_mul_f32_e32 v21, v40, v36
	v_dual_add_f32 v15, v15, v32 :: v_dual_fmac_f32 v34, v38, v33
	v_fma_f32 v18, v25, v29, -v66
	v_dual_fmac_f32 v19, v42, v45 :: v_dual_mul_f32 v26, v59, v52
	s_delay_alu instid0(VALU_DEP_4) | instskip(NEXT) | instid1(VALU_DEP_4)
	v_fma_f32 v21, v39, v35, -v21
	v_add_f32_e32 v15, v15, v34
	v_mul_f32_e32 v16, v42, v46
	s_cmp_ge_i32 s11, s17
	v_dual_fmac_f32 v26, v60, v51 :: v_dual_fmac_f32 v23, v58, v49
	s_delay_alu instid0(VALU_DEP_3) | instskip(SKIP_3) | instid1(VALU_DEP_4)
	v_dual_add_f32 v15, v15, v17 :: v_dual_add_f32 v2, v2, v22
	v_mul_f32_e32 v25, v60, v52
	v_fma_f32 v22, v37, v33, -v68
	v_fma_f32 v16, v41, v45, -v16
	v_dual_add_f32 v19, v15, v19 :: v_dual_add_f32 v2, v2, v18
	v_dual_mul_f32 v18, v44, v48 :: v_dual_fmac_f32 v31, v62, v53
	v_mul_f32_e32 v35, v63, v56
	s_delay_alu instid0(VALU_DEP_3) | instskip(NEXT) | instid1(VALU_DEP_2)
	v_add_f32_e32 v2, v2, v20
	v_dual_mul_f32 v20, v43, v48 :: v_dual_fmac_f32 v35, v64, v55
	s_delay_alu instid0(VALU_DEP_1) | instskip(NEXT) | instid1(VALU_DEP_1)
	v_fmac_f32_e32 v20, v44, v47
	v_add_f32_e32 v24, v19, v20
	s_delay_alu instid0(VALU_DEP_1) | instskip(SKIP_2) | instid1(VALU_DEP_3)
	v_dual_add_f32 v23, v24, v23 :: v_dual_add_f32 v2, v2, v22
	v_fma_f32 v24, v59, v51, -v25
	v_mul_f32_e32 v25, v62, v54
	v_add_f32_e32 v32, v23, v26
	s_delay_alu instid0(VALU_DEP_4) | instskip(SKIP_3) | instid1(VALU_DEP_4)
	v_add_f32_e32 v2, v2, v21
	v_mul_f32_e32 v22, v58, v50
	v_fma_f32 v21, v43, v47, -v18
	v_fma_f32 v33, v61, v53, -v25
	v_dual_add_f32 v31, v32, v31 :: v_dual_add_f32 v2, v2, v16
	ds_load_2addr_b64 v[15:18], v10 offset0:192 offset1:208
	v_fma_f32 v22, v57, v49, -v22
	v_dual_add_f32 v31, v31, v35 :: v_dual_add_f32 v2, v2, v21
	s_delay_alu instid0(VALU_DEP_1)
	v_add_f32_e32 v2, v2, v22
	ds_load_b128 v[19:22], v11 offset:96
	v_add_f32_e32 v2, v2, v24
	ds_load_2addr_b64 v[23:26], v10 offset0:224 offset1:240
	ds_load_b128 v[27:30], v11 offset:112
	v_mul_f32_e32 v34, v64, v56
	s_waitcnt lgkmcnt(0)
	s_barrier
	v_add_f32_e32 v2, v2, v33
	buffer_gl0_inv
	v_fma_f32 v32, v63, v55, -v34
	s_delay_alu instid0(VALU_DEP_1) | instskip(SKIP_2) | instid1(VALU_DEP_2)
	v_add_f32_e32 v2, v2, v32
	v_mul_f32_e32 v33, v20, v16
	v_mul_f32_e32 v16, v19, v16
	v_fma_f32 v19, v19, v15, -v33
	s_delay_alu instid0(VALU_DEP_2) | instskip(SKIP_1) | instid1(VALU_DEP_3)
	v_dual_fmac_f32 v16, v20, v15 :: v_dual_mul_f32 v15, v22, v18
	v_mul_f32_e32 v18, v21, v18
	v_add_f32_e32 v2, v2, v19
	s_delay_alu instid0(VALU_DEP_3) | instskip(NEXT) | instid1(VALU_DEP_4)
	v_add_f32_e32 v16, v31, v16
	v_fma_f32 v15, v21, v17, -v15
	s_delay_alu instid0(VALU_DEP_4) | instskip(NEXT) | instid1(VALU_DEP_2)
	v_dual_fmac_f32 v18, v22, v17 :: v_dual_mul_f32 v17, v28, v24
	v_dual_mul_f32 v19, v27, v24 :: v_dual_add_f32 v2, v2, v15
	s_delay_alu instid0(VALU_DEP_2) | instskip(NEXT) | instid1(VALU_DEP_3)
	v_add_f32_e32 v15, v16, v18
	v_fma_f32 v16, v27, v23, -v17
	s_delay_alu instid0(VALU_DEP_3) | instskip(SKIP_2) | instid1(VALU_DEP_3)
	v_fmac_f32_e32 v19, v28, v23
	v_mul_f32_e32 v17, v30, v26
	v_mul_f32_e32 v18, v29, v26
	v_dual_add_f32 v2, v2, v16 :: v_dual_add_f32 v15, v15, v19
	s_delay_alu instid0(VALU_DEP_3) | instskip(NEXT) | instid1(VALU_DEP_3)
	v_fma_f32 v16, v29, v25, -v17
	v_fmac_f32_e32 v18, v30, v25
	s_delay_alu instid0(VALU_DEP_1)
	v_dual_add_f32 v16, v2, v16 :: v_dual_add_f32 v15, v15, v18
	s_cbranch_scc1 .LBB824_11
.LBB824_3:                              ; =>This Inner Loop Header: Depth=1
	v_add_nc_u32_e32 v2, s11, v8
                                        ; implicit-def: $sgpr7
	s_delay_alu instid0(VALU_DEP_1) | instskip(SKIP_1) | instid1(SALU_CYCLE_1)
	v_cmp_le_i32_e32 vcc_lo, s17, v2
	s_or_b32 s6, s2, vcc_lo
	s_and_saveexec_b32 s10, s6
	s_delay_alu instid0(SALU_CYCLE_1)
	s_xor_b32 s6, exec_lo, s10
	s_cbranch_execz .LBB824_5
; %bb.4:                                ;   in Loop: Header=BB824_3 Depth=1
	s_mov_b32 s7, 0
	ds_store_b32 v13, v12
.LBB824_5:                              ;   in Loop: Header=BB824_3 Depth=1
	s_or_saveexec_b32 s6, s6
	v_mov_b32_e32 v2, s7
	s_xor_b32 exec_lo, exec_lo, s6
	s_cbranch_execz .LBB824_7
; %bb.6:                                ;   in Loop: Header=BB824_3 Depth=1
	global_load_b64 v[17:18], v[5:6], off offset:-4
	s_waitcnt vmcnt(0)
	v_xor_b32_e32 v2, 0x80000000, v18
	ds_store_b32 v13, v17
.LBB824_7:                              ;   in Loop: Header=BB824_3 Depth=1
	s_or_b32 exec_lo, exec_lo, s6
	v_add_nc_u32_e32 v17, s11, v9
	ds_store_b32 v13, v2 offset:4
	v_cmp_le_i32_e32 vcc_lo, s17, v17
	s_or_b32 s6, s3, vcc_lo
	s_delay_alu instid0(SALU_CYCLE_1) | instskip(NEXT) | instid1(SALU_CYCLE_1)
	s_and_saveexec_b32 s7, s6
	s_xor_b32 s6, exec_lo, s7
	s_cbranch_execz .LBB824_9
; %bb.8:                                ;   in Loop: Header=BB824_3 Depth=1
	v_mov_b32_e32 v2, v1
	ds_store_b64 v14, v[1:2]
.LBB824_9:                              ;   in Loop: Header=BB824_3 Depth=1
	s_and_not1_saveexec_b32 s6, s6
	s_cbranch_execz .LBB824_2
; %bb.10:                               ;   in Loop: Header=BB824_3 Depth=1
	global_load_b64 v[17:18], v[3:4], off
	s_waitcnt vmcnt(0)
	ds_store_b64 v14, v[17:18]
	s_branch .LBB824_2
.LBB824_11:
	v_cmp_le_i32_e32 vcc_lo, v0, v7
	v_cmp_gt_i32_e64 s2, s16, v7
	s_delay_alu instid0(VALU_DEP_1) | instskip(NEXT) | instid1(SALU_CYCLE_1)
	s_and_b32 s2, vcc_lo, s2
	s_and_saveexec_b32 s3, s2
	s_cbranch_execz .LBB824_14
; %bb.12:
	s_load_b32 s0, s[0:1], 0x50
	v_ashrrev_i32_e32 v1, 31, v0
	s_waitcnt lgkmcnt(0)
	v_mul_f32_e32 v5, s4, v15
	v_mul_f32_e32 v4, s5, v15
	s_delay_alu instid0(VALU_DEP_3) | instskip(NEXT) | instid1(VALU_DEP_3)
	v_lshlrev_b64 v[8:9], 3, v[0:1]
	v_fmac_f32_e32 v5, s5, v16
	s_delay_alu instid0(VALU_DEP_3) | instskip(SKIP_1) | instid1(VALU_DEP_1)
	v_fma_f32 v4, v16, s4, -v4
	v_mad_i64_i32 v[2:3], null, s0, v7, 0
	v_lshlrev_b64 v[2:3], 3, v[2:3]
	s_delay_alu instid0(VALU_DEP_1) | instskip(NEXT) | instid1(VALU_DEP_2)
	v_add_co_u32 v1, vcc_lo, s8, v2
	v_add_co_ci_u32_e32 v2, vcc_lo, s9, v3, vcc_lo
	s_delay_alu instid0(VALU_DEP_2) | instskip(NEXT) | instid1(VALU_DEP_2)
	v_add_co_u32 v1, vcc_lo, v1, v8
	v_add_co_ci_u32_e32 v2, vcc_lo, v2, v9, vcc_lo
	v_cmp_eq_u32_e32 vcc_lo, v0, v7
	global_store_b64 v[1:2], v[4:5], off
	s_and_b32 exec_lo, exec_lo, vcc_lo
	s_cbranch_execz .LBB824_14
; %bb.13:
	v_mov_b32_e32 v0, 0
	global_store_b32 v[1:2], v0, off offset:4
.LBB824_14:
	s_nop 0
	s_sendmsg sendmsg(MSG_DEALLOC_VGPRS)
	s_endpgm
	.section	.rodata,"a",@progbits
	.p2align	6, 0x0
	.amdhsa_kernel _ZL32rocblas_syrkx_herkx_small_kernelIi19rocblas_complex_numIfELi16ELb1ELb1ELc67ELc85EKPKS1_KPS1_EviT_T0_PT6_S7_lSA_S7_lS8_PT7_S7_li
		.amdhsa_group_segment_fixed_size 4096
		.amdhsa_private_segment_fixed_size 0
		.amdhsa_kernarg_size 100
		.amdhsa_user_sgpr_count 13
		.amdhsa_user_sgpr_dispatch_ptr 0
		.amdhsa_user_sgpr_queue_ptr 0
		.amdhsa_user_sgpr_kernarg_segment_ptr 1
		.amdhsa_user_sgpr_dispatch_id 0
		.amdhsa_user_sgpr_private_segment_size 0
		.amdhsa_wavefront_size32 1
		.amdhsa_uses_dynamic_stack 0
		.amdhsa_enable_private_segment 0
		.amdhsa_system_sgpr_workgroup_id_x 1
		.amdhsa_system_sgpr_workgroup_id_y 1
		.amdhsa_system_sgpr_workgroup_id_z 1
		.amdhsa_system_sgpr_workgroup_info 0
		.amdhsa_system_vgpr_workitem_id 1
		.amdhsa_next_free_vgpr 69
		.amdhsa_next_free_sgpr 20
		.amdhsa_reserve_vcc 1
		.amdhsa_float_round_mode_32 0
		.amdhsa_float_round_mode_16_64 0
		.amdhsa_float_denorm_mode_32 3
		.amdhsa_float_denorm_mode_16_64 3
		.amdhsa_dx10_clamp 1
		.amdhsa_ieee_mode 1
		.amdhsa_fp16_overflow 0
		.amdhsa_workgroup_processor_mode 1
		.amdhsa_memory_ordered 1
		.amdhsa_forward_progress 0
		.amdhsa_shared_vgpr_count 0
		.amdhsa_exception_fp_ieee_invalid_op 0
		.amdhsa_exception_fp_denorm_src 0
		.amdhsa_exception_fp_ieee_div_zero 0
		.amdhsa_exception_fp_ieee_overflow 0
		.amdhsa_exception_fp_ieee_underflow 0
		.amdhsa_exception_fp_ieee_inexact 0
		.amdhsa_exception_int_div_zero 0
	.end_amdhsa_kernel
	.section	.text._ZL32rocblas_syrkx_herkx_small_kernelIi19rocblas_complex_numIfELi16ELb1ELb1ELc67ELc85EKPKS1_KPS1_EviT_T0_PT6_S7_lSA_S7_lS8_PT7_S7_li,"axG",@progbits,_ZL32rocblas_syrkx_herkx_small_kernelIi19rocblas_complex_numIfELi16ELb1ELb1ELc67ELc85EKPKS1_KPS1_EviT_T0_PT6_S7_lSA_S7_lS8_PT7_S7_li,comdat
.Lfunc_end824:
	.size	_ZL32rocblas_syrkx_herkx_small_kernelIi19rocblas_complex_numIfELi16ELb1ELb1ELc67ELc85EKPKS1_KPS1_EviT_T0_PT6_S7_lSA_S7_lS8_PT7_S7_li, .Lfunc_end824-_ZL32rocblas_syrkx_herkx_small_kernelIi19rocblas_complex_numIfELi16ELb1ELb1ELc67ELc85EKPKS1_KPS1_EviT_T0_PT6_S7_lSA_S7_lS8_PT7_S7_li
                                        ; -- End function
	.section	.AMDGPU.csdata,"",@progbits
; Kernel info:
; codeLenInByte = 1472
; NumSgprs: 22
; NumVgprs: 69
; ScratchSize: 0
; MemoryBound: 1
; FloatMode: 240
; IeeeMode: 1
; LDSByteSize: 4096 bytes/workgroup (compile time only)
; SGPRBlocks: 2
; VGPRBlocks: 8
; NumSGPRsForWavesPerEU: 22
; NumVGPRsForWavesPerEU: 69
; Occupancy: 16
; WaveLimiterHint : 1
; COMPUTE_PGM_RSRC2:SCRATCH_EN: 0
; COMPUTE_PGM_RSRC2:USER_SGPR: 13
; COMPUTE_PGM_RSRC2:TRAP_HANDLER: 0
; COMPUTE_PGM_RSRC2:TGID_X_EN: 1
; COMPUTE_PGM_RSRC2:TGID_Y_EN: 1
; COMPUTE_PGM_RSRC2:TGID_Z_EN: 1
; COMPUTE_PGM_RSRC2:TIDIG_COMP_CNT: 1
	.section	.text._ZL32rocblas_syrkx_herkx_small_kernelIi19rocblas_complex_numIfELi16ELb1ELb1ELc78ELc85EKPKS1_KPS1_EviT_T0_PT6_S7_lSA_S7_lS8_PT7_S7_li,"axG",@progbits,_ZL32rocblas_syrkx_herkx_small_kernelIi19rocblas_complex_numIfELi16ELb1ELb1ELc78ELc85EKPKS1_KPS1_EviT_T0_PT6_S7_lSA_S7_lS8_PT7_S7_li,comdat
	.globl	_ZL32rocblas_syrkx_herkx_small_kernelIi19rocblas_complex_numIfELi16ELb1ELb1ELc78ELc85EKPKS1_KPS1_EviT_T0_PT6_S7_lSA_S7_lS8_PT7_S7_li ; -- Begin function _ZL32rocblas_syrkx_herkx_small_kernelIi19rocblas_complex_numIfELi16ELb1ELb1ELc78ELc85EKPKS1_KPS1_EviT_T0_PT6_S7_lSA_S7_lS8_PT7_S7_li
	.p2align	8
	.type	_ZL32rocblas_syrkx_herkx_small_kernelIi19rocblas_complex_numIfELi16ELb1ELb1ELc78ELc85EKPKS1_KPS1_EviT_T0_PT6_S7_lSA_S7_lS8_PT7_S7_li,@function
_ZL32rocblas_syrkx_herkx_small_kernelIi19rocblas_complex_numIfELi16ELb1ELb1ELc78ELc85EKPKS1_KPS1_EviT_T0_PT6_S7_lSA_S7_lS8_PT7_S7_li: ; @_ZL32rocblas_syrkx_herkx_small_kernelIi19rocblas_complex_numIfELi16ELb1ELb1ELc78ELc85EKPKS1_KPS1_EviT_T0_PT6_S7_lSA_S7_lS8_PT7_S7_li
; %bb.0:
	s_clause 0x1
	s_load_b64 s[2:3], s[0:1], 0x48
	s_load_b64 s[16:17], s[0:1], 0x0
	s_mov_b32 s10, s15
	s_mov_b32 s11, 0
	v_dual_mov_b32 v17, 0 :: v_dual_and_b32 v10, 0x3ff, v0
	s_lshl_b64 s[18:19], s[10:11], 3
	v_bfe_u32 v11, v0, 10, 10
	v_mov_b32_e32 v16, 0
	s_delay_alu instid0(VALU_DEP_3) | instskip(NEXT) | instid1(VALU_DEP_3)
	v_lshl_add_u32 v0, s13, 4, v10
	v_lshl_add_u32 v2, s14, 4, v11
	s_delay_alu instid0(VALU_DEP_2)
	v_ashrrev_i32_e32 v1, 31, v0
	s_waitcnt lgkmcnt(0)
	s_add_u32 s2, s2, s18
	s_addc_u32 s3, s3, s19
	s_load_b128 s[4:7], s[0:1], 0x8
	s_load_b64 s[8:9], s[2:3], 0x0
	v_cmp_gt_i32_e32 vcc_lo, s16, v2
	s_cmp_lt_i32 s17, 1
	s_cbranch_scc1 .LBB825_11
; %bb.1:
	s_clause 0x2
	s_load_b32 s12, s[0:1], 0x18
	s_load_b32 s14, s[0:1], 0x30
	s_load_b64 s[20:21], s[0:1], 0x28
	v_ashrrev_i32_e32 v3, 31, v2
	v_lshlrev_b64 v[5:6], 3, v[0:1]
	v_dual_mov_b32 v4, 0 :: v_dual_lshlrev_b32 v9, 7, v11
	v_dual_mov_b32 v13, 0 :: v_dual_lshlrev_b32 v12, 3, v10
	s_delay_alu instid0(VALU_DEP_4) | instskip(SKIP_1) | instid1(VALU_DEP_4)
	v_lshlrev_b64 v[19:20], 3, v[2:3]
	v_mov_b32_e32 v16, 0
	v_add_nc_u32_e32 v14, 0x800, v9
	s_delay_alu instid0(VALU_DEP_4)
	v_add_nc_u32_e32 v3, v12, v9
	v_cmp_gt_i32_e64 s2, s16, v0
	s_waitcnt lgkmcnt(0)
	s_ashr_i32 s13, s12, 31
	s_ashr_i32 s15, s14, 31
	s_add_u32 s20, s20, s18
	s_addc_u32 s21, s21, s19
	v_mad_i64_i32 v[7:8], null, s14, v10, 0
	s_load_b64 s[20:21], s[20:21], 0x0
	s_add_u32 s6, s6, s18
	s_addc_u32 s7, s7, s19
	v_mad_i64_i32 v[17:18], null, s12, v11, 0
	s_load_b64 s[18:19], s[6:7], 0x0
	s_delay_alu instid0(VALU_DEP_2) | instskip(SKIP_3) | instid1(VALU_DEP_2)
	v_lshlrev_b64 v[7:8], 3, v[7:8]
	s_lshl_b64 s[6:7], s[14:15], 7
	s_lshl_b64 s[12:13], s[12:13], 7
	s_xor_b32 s2, s2, -1
	v_lshlrev_b64 v[17:18], 3, v[17:18]
	s_delay_alu instid0(VALU_DEP_2) | instskip(NEXT) | instid1(VALU_DEP_1)
	v_add_co_u32 v7, s3, v7, v19
	v_add_co_ci_u32_e64 v8, s3, v8, v20, s3
	s_delay_alu instid0(VALU_DEP_3) | instskip(NEXT) | instid1(VALU_DEP_1)
	v_add_co_u32 v5, s3, v17, v5
	v_add_co_ci_u32_e64 v9, s3, v18, v6, s3
	s_waitcnt lgkmcnt(0)
	v_add_co_u32 v17, s3, v7, s20
	s_delay_alu instid0(VALU_DEP_1) | instskip(SKIP_1) | instid1(VALU_DEP_1)
	v_add_co_ci_u32_e64 v18, s3, s21, v8, s3
	v_add_co_u32 v6, s3, s18, v5
	v_add_co_ci_u32_e64 v7, s3, s19, v9, s3
	s_delay_alu instid0(VALU_DEP_4)
	v_add_co_u32 v8, s3, v17, 4
	v_mov_b32_e32 v17, 0
	v_add_nc_u32_e32 v15, v14, v12
	v_add_co_ci_u32_e64 v9, s3, 0, v18, s3
	s_xor_b32 s3, vcc_lo, -1
	s_branch .LBB825_3
.LBB825_2:                              ;   in Loop: Header=BB825_3 Depth=1
	s_or_b32 exec_lo, exec_lo, s10
	ds_store_b32 v15, v5 offset:4
	s_waitcnt lgkmcnt(0)
	s_barrier
	buffer_gl0_inv
	ds_load_2addr_b64 v[18:21], v12 offset1:16
	ds_load_b128 v[22:25], v14
	ds_load_b128 v[26:29], v14 offset:16
	ds_load_2addr_b64 v[30:33], v12 offset0:32 offset1:48
	ds_load_2addr_b64 v[34:37], v12 offset0:64 offset1:80
	ds_load_b128 v[38:41], v14 offset:32
	ds_load_b128 v[42:45], v14 offset:48
	ds_load_2addr_b64 v[46:49], v12 offset0:96 offset1:112
	ds_load_2addr_b64 v[50:53], v12 offset0:128 offset1:144
	;; [unrolled: 1-line block ×3, first 2 shown]
	ds_load_b128 v[58:61], v14 offset:64
	ds_load_b128 v[62:65], v14 offset:80
	v_add_co_u32 v8, vcc_lo, v8, s6
	v_add_co_ci_u32_e32 v9, vcc_lo, s7, v9, vcc_lo
	v_add_co_u32 v6, vcc_lo, v6, s12
	v_add_co_ci_u32_e32 v7, vcc_lo, s13, v7, vcc_lo
	s_add_i32 s11, s11, 16
	s_waitcnt lgkmcnt(10)
	v_dual_mul_f32 v5, v23, v19 :: v_dual_mul_f32 v66, v25, v21
	s_waitcnt lgkmcnt(8)
	v_dual_mul_f32 v19, v22, v19 :: v_dual_mul_f32 v68, v29, v33
	v_mul_f32_e32 v21, v24, v21
	s_delay_alu instid0(VALU_DEP_3) | instskip(SKIP_1) | instid1(VALU_DEP_3)
	v_fma_f32 v5, v22, v18, -v5
	s_waitcnt lgkmcnt(6)
	v_dual_mul_f32 v22, v38, v35 :: v_dual_fmac_f32 v19, v23, v18
	v_fma_f32 v18, v24, v20, -v66
	v_fmac_f32_e32 v21, v25, v20
	v_add_f32_e32 v5, v17, v5
	v_fma_f32 v20, v28, v32, -v68
	v_add_f32_e32 v16, v16, v19
	v_mul_f32_e32 v67, v27, v31
	v_mul_f32_e32 v31, v26, v31
	v_add_f32_e32 v5, v5, v18
	s_waitcnt lgkmcnt(4)
	v_dual_mul_f32 v33, v28, v33 :: v_dual_mul_f32 v18, v43, v47
	v_add_f32_e32 v16, v16, v21
	v_fma_f32 v19, v26, v30, -v67
	v_mul_f32_e32 v17, v40, v37
	s_waitcnt lgkmcnt(1)
	v_dual_fmac_f32 v33, v29, v32 :: v_dual_mul_f32 v24, v58, v51
	v_fma_f32 v18, v42, v46, -v18
	v_add_f32_e32 v5, v5, v19
	v_dual_mul_f32 v25, v61, v53 :: v_dual_fmac_f32 v22, v39, v34
	s_delay_alu instid0(VALU_DEP_4) | instskip(SKIP_1) | instid1(VALU_DEP_3)
	v_fmac_f32_e32 v24, v59, v50
	s_cmp_ge_i32 s11, s17
	v_add_f32_e32 v5, v5, v20
	v_dual_mul_f32 v20, v45, v49 :: v_dual_fmac_f32 v31, v27, v30
	v_fma_f32 v25, v60, v52, -v25
	s_waitcnt lgkmcnt(0)
	v_mul_f32_e32 v32, v62, v55
	s_delay_alu instid0(VALU_DEP_3) | instskip(SKIP_1) | instid1(VALU_DEP_3)
	v_add_f32_e32 v16, v16, v31
	v_mul_f32_e32 v69, v39, v35
	v_dual_mul_f32 v35, v41, v37 :: v_dual_fmac_f32 v32, v63, v54
	s_delay_alu instid0(VALU_DEP_3) | instskip(NEXT) | instid1(VALU_DEP_3)
	v_add_f32_e32 v16, v16, v33
	v_fma_f32 v21, v38, v34, -v69
	s_delay_alu instid0(VALU_DEP_3) | instskip(NEXT) | instid1(VALU_DEP_3)
	v_fma_f32 v23, v40, v36, -v35
	v_dual_mul_f32 v35, v65, v57 :: v_dual_add_f32 v16, v16, v22
	s_delay_alu instid0(VALU_DEP_3) | instskip(SKIP_3) | instid1(VALU_DEP_3)
	v_add_f32_e32 v5, v5, v21
	v_dual_mul_f32 v21, v44, v49 :: v_dual_mul_f32 v22, v59, v51
	v_dual_fmac_f32 v17, v41, v36 :: v_dual_mul_f32 v36, v64, v57
	v_mul_f32_e32 v27, v60, v53
	v_fmac_f32_e32 v21, v45, v48
	s_delay_alu instid0(VALU_DEP_3) | instskip(SKIP_3) | instid1(VALU_DEP_4)
	v_dual_mul_f32 v19, v42, v47 :: v_dual_add_f32 v16, v16, v17
	v_fma_f32 v17, v44, v48, -v20
	v_fmac_f32_e32 v36, v65, v56
	v_fmac_f32_e32 v27, v61, v52
	;; [unrolled: 1-line block ×3, first 2 shown]
	s_delay_alu instid0(VALU_DEP_1) | instskip(NEXT) | instid1(VALU_DEP_1)
	v_add_f32_e32 v16, v16, v19
	v_add_f32_e32 v26, v16, v21
	s_delay_alu instid0(VALU_DEP_1) | instskip(SKIP_1) | instid1(VALU_DEP_2)
	v_dual_add_f32 v24, v26, v24 :: v_dual_add_f32 v5, v5, v23
	v_mul_f32_e32 v26, v63, v55
	v_add_f32_e32 v33, v24, v27
	s_delay_alu instid0(VALU_DEP_2) | instskip(NEXT) | instid1(VALU_DEP_2)
	v_fma_f32 v34, v62, v54, -v26
	v_add_f32_e32 v32, v33, v32
	v_add_f32_e32 v5, v5, v18
	v_fma_f32 v18, v58, v50, -v22
	v_fma_f32 v33, v64, v56, -v35
	s_delay_alu instid0(VALU_DEP_3) | instskip(NEXT) | instid1(VALU_DEP_1)
	v_dual_add_f32 v32, v32, v36 :: v_dual_add_f32 v5, v5, v17
	v_add_f32_e32 v5, v5, v18
	ds_load_2addr_b64 v[16:19], v12 offset0:192 offset1:208
	ds_load_b128 v[20:23], v14 offset:96
	v_add_f32_e32 v5, v5, v25
	ds_load_2addr_b64 v[24:27], v12 offset0:224 offset1:240
	ds_load_b128 v[28:31], v14 offset:112
	s_waitcnt lgkmcnt(0)
	s_barrier
	buffer_gl0_inv
	v_add_f32_e32 v5, v5, v34
	s_delay_alu instid0(VALU_DEP_1) | instskip(SKIP_2) | instid1(VALU_DEP_2)
	v_add_f32_e32 v5, v5, v33
	v_mul_f32_e32 v34, v21, v17
	v_mul_f32_e32 v17, v20, v17
	v_fma_f32 v20, v20, v16, -v34
	s_delay_alu instid0(VALU_DEP_1) | instskip(NEXT) | instid1(VALU_DEP_1)
	v_dual_add_f32 v5, v5, v20 :: v_dual_mul_f32 v20, v28, v25
	v_fmac_f32_e32 v20, v29, v24
	s_delay_alu instid0(VALU_DEP_4) | instskip(SKIP_1) | instid1(VALU_DEP_2)
	v_dual_fmac_f32 v17, v21, v16 :: v_dual_mul_f32 v16, v23, v19
	v_mul_f32_e32 v19, v22, v19
	v_add_f32_e32 v17, v32, v17
	s_delay_alu instid0(VALU_DEP_3) | instskip(NEXT) | instid1(VALU_DEP_3)
	v_fma_f32 v16, v22, v18, -v16
	v_dual_fmac_f32 v19, v23, v18 :: v_dual_mul_f32 v18, v29, v25
	s_delay_alu instid0(VALU_DEP_2) | instskip(NEXT) | instid1(VALU_DEP_2)
	v_add_f32_e32 v5, v5, v16
	v_add_f32_e32 v16, v17, v19
	s_delay_alu instid0(VALU_DEP_3) | instskip(SKIP_2) | instid1(VALU_DEP_3)
	v_fma_f32 v17, v28, v24, -v18
	v_mul_f32_e32 v18, v31, v27
	v_mul_f32_e32 v19, v30, v27
	v_add_f32_e32 v5, v5, v17
	s_delay_alu instid0(VALU_DEP_3) | instskip(NEXT) | instid1(VALU_DEP_3)
	v_fma_f32 v17, v30, v26, -v18
	v_dual_fmac_f32 v19, v31, v26 :: v_dual_add_f32 v16, v16, v20
	s_delay_alu instid0(VALU_DEP_1)
	v_dual_add_f32 v17, v5, v17 :: v_dual_add_f32 v16, v16, v19
	s_cbranch_scc1 .LBB825_11
.LBB825_3:                              ; =>This Inner Loop Header: Depth=1
	v_add_nc_u32_e32 v5, s11, v11
	s_delay_alu instid0(VALU_DEP_1) | instskip(SKIP_1) | instid1(SALU_CYCLE_1)
	v_cmp_le_i32_e32 vcc_lo, s17, v5
	s_or_b32 s10, s2, vcc_lo
	s_and_saveexec_b32 s14, s10
	s_delay_alu instid0(SALU_CYCLE_1)
	s_xor_b32 s10, exec_lo, s14
	s_cbranch_execz .LBB825_5
; %bb.4:                                ;   in Loop: Header=BB825_3 Depth=1
	v_mov_b32_e32 v5, v4
	ds_store_b64 v3, v[4:5]
.LBB825_5:                              ;   in Loop: Header=BB825_3 Depth=1
	s_and_not1_saveexec_b32 s10, s10
	s_cbranch_execz .LBB825_7
; %bb.6:                                ;   in Loop: Header=BB825_3 Depth=1
	global_load_b64 v[18:19], v[6:7], off
	s_waitcnt vmcnt(0)
	ds_store_b64 v3, v[18:19]
.LBB825_7:                              ;   in Loop: Header=BB825_3 Depth=1
	s_or_b32 exec_lo, exec_lo, s10
	v_add_nc_u32_e32 v5, s11, v10
                                        ; implicit-def: $sgpr14
	s_delay_alu instid0(VALU_DEP_1) | instskip(SKIP_1) | instid1(SALU_CYCLE_1)
	v_cmp_le_i32_e32 vcc_lo, s17, v5
	s_or_b32 s10, s3, vcc_lo
	s_and_saveexec_b32 s15, s10
	s_delay_alu instid0(SALU_CYCLE_1)
	s_xor_b32 s10, exec_lo, s15
	s_cbranch_execz .LBB825_9
; %bb.8:                                ;   in Loop: Header=BB825_3 Depth=1
	s_mov_b32 s14, 0
	ds_store_b32 v15, v13
.LBB825_9:                              ;   in Loop: Header=BB825_3 Depth=1
	s_or_saveexec_b32 s10, s10
	v_mov_b32_e32 v5, s14
	s_xor_b32 exec_lo, exec_lo, s10
	s_cbranch_execz .LBB825_2
; %bb.10:                               ;   in Loop: Header=BB825_3 Depth=1
	global_load_b64 v[18:19], v[8:9], off offset:-4
	s_waitcnt vmcnt(0)
	v_xor_b32_e32 v5, 0x80000000, v19
	ds_store_b32 v15, v18
	s_branch .LBB825_2
.LBB825_11:
	v_cmp_le_i32_e32 vcc_lo, v0, v2
	v_cmp_gt_i32_e64 s2, s16, v2
	s_delay_alu instid0(VALU_DEP_1) | instskip(NEXT) | instid1(SALU_CYCLE_1)
	s_and_b32 s2, vcc_lo, s2
	s_and_saveexec_b32 s3, s2
	s_cbranch_execz .LBB825_14
; %bb.12:
	s_load_b32 s0, s[0:1], 0x50
	v_lshlrev_b64 v[7:8], 3, v[0:1]
	s_waitcnt lgkmcnt(0)
	v_mul_f32_e32 v6, s4, v16
	s_delay_alu instid0(VALU_DEP_1) | instskip(NEXT) | instid1(VALU_DEP_1)
	v_dual_mul_f32 v5, s5, v16 :: v_dual_fmac_f32 v6, s5, v17
	v_fma_f32 v5, v17, s4, -v5
	v_mad_i64_i32 v[3:4], null, s0, v2, 0
	s_delay_alu instid0(VALU_DEP_1) | instskip(NEXT) | instid1(VALU_DEP_1)
	v_lshlrev_b64 v[3:4], 3, v[3:4]
	v_add_co_u32 v1, vcc_lo, s8, v3
	s_delay_alu instid0(VALU_DEP_2) | instskip(NEXT) | instid1(VALU_DEP_2)
	v_add_co_ci_u32_e32 v4, vcc_lo, s9, v4, vcc_lo
	v_add_co_u32 v3, vcc_lo, v1, v7
	s_delay_alu instid0(VALU_DEP_2)
	v_add_co_ci_u32_e32 v4, vcc_lo, v4, v8, vcc_lo
	v_cmp_eq_u32_e32 vcc_lo, v0, v2
	global_store_b64 v[3:4], v[5:6], off
	s_and_b32 exec_lo, exec_lo, vcc_lo
	s_cbranch_execz .LBB825_14
; %bb.13:
	v_mov_b32_e32 v0, 0
	global_store_b32 v[3:4], v0, off offset:4
.LBB825_14:
	s_nop 0
	s_sendmsg sendmsg(MSG_DEALLOC_VGPRS)
	s_endpgm
	.section	.rodata,"a",@progbits
	.p2align	6, 0x0
	.amdhsa_kernel _ZL32rocblas_syrkx_herkx_small_kernelIi19rocblas_complex_numIfELi16ELb1ELb1ELc78ELc85EKPKS1_KPS1_EviT_T0_PT6_S7_lSA_S7_lS8_PT7_S7_li
		.amdhsa_group_segment_fixed_size 4096
		.amdhsa_private_segment_fixed_size 0
		.amdhsa_kernarg_size 100
		.amdhsa_user_sgpr_count 13
		.amdhsa_user_sgpr_dispatch_ptr 0
		.amdhsa_user_sgpr_queue_ptr 0
		.amdhsa_user_sgpr_kernarg_segment_ptr 1
		.amdhsa_user_sgpr_dispatch_id 0
		.amdhsa_user_sgpr_private_segment_size 0
		.amdhsa_wavefront_size32 1
		.amdhsa_uses_dynamic_stack 0
		.amdhsa_enable_private_segment 0
		.amdhsa_system_sgpr_workgroup_id_x 1
		.amdhsa_system_sgpr_workgroup_id_y 1
		.amdhsa_system_sgpr_workgroup_id_z 1
		.amdhsa_system_sgpr_workgroup_info 0
		.amdhsa_system_vgpr_workitem_id 1
		.amdhsa_next_free_vgpr 70
		.amdhsa_next_free_sgpr 22
		.amdhsa_reserve_vcc 1
		.amdhsa_float_round_mode_32 0
		.amdhsa_float_round_mode_16_64 0
		.amdhsa_float_denorm_mode_32 3
		.amdhsa_float_denorm_mode_16_64 3
		.amdhsa_dx10_clamp 1
		.amdhsa_ieee_mode 1
		.amdhsa_fp16_overflow 0
		.amdhsa_workgroup_processor_mode 1
		.amdhsa_memory_ordered 1
		.amdhsa_forward_progress 0
		.amdhsa_shared_vgpr_count 0
		.amdhsa_exception_fp_ieee_invalid_op 0
		.amdhsa_exception_fp_denorm_src 0
		.amdhsa_exception_fp_ieee_div_zero 0
		.amdhsa_exception_fp_ieee_overflow 0
		.amdhsa_exception_fp_ieee_underflow 0
		.amdhsa_exception_fp_ieee_inexact 0
		.amdhsa_exception_int_div_zero 0
	.end_amdhsa_kernel
	.section	.text._ZL32rocblas_syrkx_herkx_small_kernelIi19rocblas_complex_numIfELi16ELb1ELb1ELc78ELc85EKPKS1_KPS1_EviT_T0_PT6_S7_lSA_S7_lS8_PT7_S7_li,"axG",@progbits,_ZL32rocblas_syrkx_herkx_small_kernelIi19rocblas_complex_numIfELi16ELb1ELb1ELc78ELc85EKPKS1_KPS1_EviT_T0_PT6_S7_lSA_S7_lS8_PT7_S7_li,comdat
.Lfunc_end825:
	.size	_ZL32rocblas_syrkx_herkx_small_kernelIi19rocblas_complex_numIfELi16ELb1ELb1ELc78ELc85EKPKS1_KPS1_EviT_T0_PT6_S7_lSA_S7_lS8_PT7_S7_li, .Lfunc_end825-_ZL32rocblas_syrkx_herkx_small_kernelIi19rocblas_complex_numIfELi16ELb1ELb1ELc78ELc85EKPKS1_KPS1_EviT_T0_PT6_S7_lSA_S7_lS8_PT7_S7_li
                                        ; -- End function
	.section	.AMDGPU.csdata,"",@progbits
; Kernel info:
; codeLenInByte = 1520
; NumSgprs: 24
; NumVgprs: 70
; ScratchSize: 0
; MemoryBound: 1
; FloatMode: 240
; IeeeMode: 1
; LDSByteSize: 4096 bytes/workgroup (compile time only)
; SGPRBlocks: 2
; VGPRBlocks: 8
; NumSGPRsForWavesPerEU: 24
; NumVGPRsForWavesPerEU: 70
; Occupancy: 16
; WaveLimiterHint : 1
; COMPUTE_PGM_RSRC2:SCRATCH_EN: 0
; COMPUTE_PGM_RSRC2:USER_SGPR: 13
; COMPUTE_PGM_RSRC2:TRAP_HANDLER: 0
; COMPUTE_PGM_RSRC2:TGID_X_EN: 1
; COMPUTE_PGM_RSRC2:TGID_Y_EN: 1
; COMPUTE_PGM_RSRC2:TGID_Z_EN: 1
; COMPUTE_PGM_RSRC2:TIDIG_COMP_CNT: 1
	.section	.text._ZL32rocblas_syrkx_herkx_small_kernelIi19rocblas_complex_numIfELi16ELb0ELb1ELc84ELc76EKPKS1_KPS1_EviT_T0_PT6_S7_lSA_S7_lS8_PT7_S7_li,"axG",@progbits,_ZL32rocblas_syrkx_herkx_small_kernelIi19rocblas_complex_numIfELi16ELb0ELb1ELc84ELc76EKPKS1_KPS1_EviT_T0_PT6_S7_lSA_S7_lS8_PT7_S7_li,comdat
	.globl	_ZL32rocblas_syrkx_herkx_small_kernelIi19rocblas_complex_numIfELi16ELb0ELb1ELc84ELc76EKPKS1_KPS1_EviT_T0_PT6_S7_lSA_S7_lS8_PT7_S7_li ; -- Begin function _ZL32rocblas_syrkx_herkx_small_kernelIi19rocblas_complex_numIfELi16ELb0ELb1ELc84ELc76EKPKS1_KPS1_EviT_T0_PT6_S7_lSA_S7_lS8_PT7_S7_li
	.p2align	8
	.type	_ZL32rocblas_syrkx_herkx_small_kernelIi19rocblas_complex_numIfELi16ELb0ELb1ELc84ELc76EKPKS1_KPS1_EviT_T0_PT6_S7_lSA_S7_lS8_PT7_S7_li,@function
_ZL32rocblas_syrkx_herkx_small_kernelIi19rocblas_complex_numIfELi16ELb0ELb1ELc84ELc76EKPKS1_KPS1_EviT_T0_PT6_S7_lSA_S7_lS8_PT7_S7_li: ; @_ZL32rocblas_syrkx_herkx_small_kernelIi19rocblas_complex_numIfELi16ELb0ELb1ELc84ELc76EKPKS1_KPS1_EviT_T0_PT6_S7_lSA_S7_lS8_PT7_S7_li
; %bb.0:
	s_clause 0x1
	s_load_b128 s[4:7], s[0:1], 0x40
	s_load_b64 s[18:19], s[0:1], 0x0
	s_mov_b32 s16, s15
	s_mov_b32 s17, 0
	v_dual_mov_b32 v15, 0 :: v_dual_and_b32 v8, 0x3ff, v0
	s_lshl_b64 s[20:21], s[16:17], 3
	v_bfe_u32 v9, v0, 10, 10
	v_mov_b32_e32 v14, 0
	s_delay_alu instid0(VALU_DEP_3) | instskip(NEXT) | instid1(VALU_DEP_3)
	v_lshl_add_u32 v0, s13, 4, v8
	v_lshl_add_u32 v7, s14, 4, v9
	s_waitcnt lgkmcnt(0)
	s_add_u32 s2, s6, s20
	s_addc_u32 s3, s7, s21
	s_load_b128 s[8:11], s[0:1], 0x8
	s_load_b64 s[6:7], s[2:3], 0x0
	v_cmp_gt_i32_e32 vcc_lo, s18, v0
	s_cmp_lt_i32 s19, 1
	s_cbranch_scc1 .LBB826_11
; %bb.1:
	s_clause 0x2
	s_load_b64 s[12:13], s[0:1], 0x28
	s_load_b32 s3, s[0:1], 0x30
	s_load_b32 s14, s[0:1], 0x18
	v_lshlrev_b32_e32 v10, 3, v8
	v_dual_mov_b32 v1, 0 :: v_dual_lshlrev_b32 v6, 7, v9
	v_dual_mov_b32 v14, 0 :: v_dual_lshlrev_b32 v15, 3, v9
	v_cmp_gt_i32_e64 s2, s18, v7
	s_delay_alu instid0(VALU_DEP_3)
	v_add_nc_u32_e32 v11, 0x800, v6
	v_add_nc_u32_e32 v12, v10, v6
	s_waitcnt lgkmcnt(0)
	s_add_u32 s12, s12, s20
	s_addc_u32 s13, s13, s21
	v_mad_i64_i32 v[2:3], null, s3, v7, 0
	s_load_b64 s[12:13], s[12:13], 0x0
	s_add_u32 s10, s10, s20
	s_addc_u32 s11, s11, s21
	v_mad_i64_i32 v[4:5], null, s14, v0, 0
	s_load_b64 s[10:11], s[10:11], 0x0
	s_delay_alu instid0(VALU_DEP_2) | instskip(SKIP_1) | instid1(VALU_DEP_2)
	v_lshlrev_b64 v[2:3], 3, v[2:3]
	s_xor_b32 s2, s2, -1
	v_lshlrev_b64 v[4:5], 3, v[4:5]
	s_delay_alu instid0(VALU_DEP_2) | instskip(NEXT) | instid1(VALU_DEP_1)
	v_add_co_u32 v2, s3, v2, v10
	v_add_co_ci_u32_e64 v6, s3, 0, v3, s3
	s_delay_alu instid0(VALU_DEP_3) | instskip(NEXT) | instid1(VALU_DEP_1)
	v_add_co_u32 v15, s3, v4, v15
	v_add_co_ci_u32_e64 v16, s3, 0, v5, s3
	s_waitcnt lgkmcnt(0)
	v_add_co_u32 v3, s3, s12, v2
	s_delay_alu instid0(VALU_DEP_1) | instskip(SKIP_1) | instid1(VALU_DEP_1)
	v_add_co_ci_u32_e64 v4, s3, s13, v6, s3
	v_add_co_u32 v5, s3, s10, v15
	v_add_co_ci_u32_e64 v6, s3, s11, v16, s3
	v_mov_b32_e32 v15, 0
	v_add_nc_u32_e32 v13, v11, v10
	s_xor_b32 s3, vcc_lo, -1
	s_branch .LBB826_3
.LBB826_2:                              ;   in Loop: Header=BB826_3 Depth=1
	s_or_b32 exec_lo, exec_lo, s10
	s_waitcnt lgkmcnt(0)
	s_barrier
	buffer_gl0_inv
	ds_load_2addr_b64 v[16:19], v10 offset1:16
	ds_load_b128 v[20:23], v11
	ds_load_b128 v[24:27], v11 offset:16
	ds_load_2addr_b64 v[28:31], v10 offset0:32 offset1:48
	ds_load_2addr_b64 v[32:35], v10 offset0:64 offset1:80
	ds_load_b128 v[36:39], v11 offset:32
	ds_load_b128 v[40:43], v11 offset:48
	ds_load_2addr_b64 v[44:47], v10 offset0:96 offset1:112
	ds_load_2addr_b64 v[48:51], v10 offset0:128 offset1:144
	;; [unrolled: 1-line block ×3, first 2 shown]
	ds_load_b128 v[56:59], v11 offset:64
	ds_load_b128 v[60:63], v11 offset:80
	v_add_co_u32 v3, vcc_lo, 0x80, v3
	v_add_co_ci_u32_e32 v4, vcc_lo, 0, v4, vcc_lo
	v_add_co_u32 v5, vcc_lo, 0x80, v5
	v_add_co_ci_u32_e32 v6, vcc_lo, 0, v6, vcc_lo
	s_add_i32 s17, s17, 16
	s_waitcnt lgkmcnt(10)
	v_mul_f32_e32 v2, v21, v17
	v_dual_mul_f32 v17, v20, v17 :: v_dual_mul_f32 v64, v23, v19
	v_mul_f32_e32 v19, v22, v19
	s_waitcnt lgkmcnt(8)
	v_dual_mul_f32 v65, v25, v29 :: v_dual_mul_f32 v66, v27, v31
	v_fma_f32 v2, v20, v16, -v2
	v_mul_f32_e32 v31, v26, v31
	s_waitcnt lgkmcnt(6)
	v_dual_mul_f32 v29, v24, v29 :: v_dual_mul_f32 v20, v39, v35
	s_delay_alu instid0(VALU_DEP_3) | instskip(SKIP_2) | instid1(VALU_DEP_4)
	v_dual_mul_f32 v67, v37, v33 :: v_dual_add_f32 v2, v15, v2
	v_fmac_f32_e32 v17, v21, v16
	v_fma_f32 v21, v22, v18, -v64
	v_dual_fmac_f32 v29, v25, v28 :: v_dual_mul_f32 v16, v38, v35
	v_fma_f32 v20, v38, v34, -v20
	s_delay_alu instid0(VALU_DEP_3)
	v_dual_fmac_f32 v31, v27, v30 :: v_dual_add_f32 v2, v2, v21
	v_dual_fmac_f32 v19, v23, v18 :: v_dual_add_f32 v14, v14, v17
	v_fma_f32 v17, v24, v28, -v65
	v_mul_f32_e32 v33, v36, v33
	s_waitcnt lgkmcnt(4)
	v_mul_f32_e32 v18, v40, v45
	v_fma_f32 v21, v36, v32, -v67
	v_add_f32_e32 v14, v14, v19
	v_fma_f32 v19, v26, v30, -v66
	v_add_f32_e32 v2, v2, v17
	v_mul_f32_e32 v15, v41, v45
	s_delay_alu instid0(VALU_DEP_4) | instskip(NEXT) | instid1(VALU_DEP_3)
	v_dual_mul_f32 v17, v43, v47 :: v_dual_add_f32 v14, v14, v29
	v_dual_fmac_f32 v33, v37, v32 :: v_dual_add_f32 v2, v2, v19
	v_dual_mul_f32 v19, v42, v47 :: v_dual_fmac_f32 v16, v39, v34
	s_delay_alu instid0(VALU_DEP_3) | instskip(SKIP_1) | instid1(VALU_DEP_3)
	v_add_f32_e32 v14, v14, v31
	v_fma_f32 v15, v40, v44, -v15
	v_dual_add_f32 v2, v2, v21 :: v_dual_fmac_f32 v19, v43, v46
	s_waitcnt lgkmcnt(1)
	v_mul_f32_e32 v21, v57, v49
	v_dual_fmac_f32 v18, v41, v44 :: v_dual_mul_f32 v25, v58, v51
	v_add_f32_e32 v14, v14, v33
	v_add_f32_e32 v2, v2, v20
	v_fma_f32 v20, v42, v46, -v17
	v_fma_f32 v21, v56, v48, -v21
	s_delay_alu instid0(VALU_DEP_4)
	v_dual_fmac_f32 v25, v59, v50 :: v_dual_add_f32 v14, v14, v16
	s_waitcnt lgkmcnt(0)
	v_mul_f32_e32 v33, v63, v55
	v_add_f32_e32 v2, v2, v15
	v_mul_f32_e32 v34, v62, v55
	s_cmp_ge_i32 s17, s19
	v_add_f32_e32 v18, v14, v18
	v_mul_f32_e32 v22, v56, v49
	v_add_f32_e32 v2, v2, v20
	ds_load_2addr_b64 v[14:17], v10 offset0:192 offset1:208
	v_dual_fmac_f32 v34, v63, v54 :: v_dual_add_f32 v23, v18, v19
	v_add_f32_e32 v2, v2, v21
	ds_load_b128 v[18:21], v11 offset:96
	v_fmac_f32_e32 v22, v57, v48
	s_delay_alu instid0(VALU_DEP_1) | instskip(NEXT) | instid1(VALU_DEP_1)
	v_add_f32_e32 v22, v23, v22
	v_dual_mul_f32 v24, v59, v51 :: v_dual_add_f32 v31, v22, v25
	s_delay_alu instid0(VALU_DEP_1) | instskip(SKIP_1) | instid1(VALU_DEP_2)
	v_fma_f32 v23, v58, v50, -v24
	v_mul_f32_e32 v24, v61, v53
	v_add_f32_e32 v2, v2, v23
	s_delay_alu instid0(VALU_DEP_2)
	v_fma_f32 v32, v60, v52, -v24
	ds_load_2addr_b64 v[22:25], v10 offset0:224 offset1:240
	ds_load_b128 v[26:29], v11 offset:112
	v_mul_f32_e32 v30, v60, v53
	s_waitcnt lgkmcnt(0)
	s_barrier
	v_add_f32_e32 v2, v2, v32
	v_mul_f32_e32 v32, v19, v15
	v_dual_fmac_f32 v30, v61, v52 :: v_dual_mul_f32 v15, v18, v15
	buffer_gl0_inv
	v_fma_f32 v18, v18, v14, -v32
	v_add_f32_e32 v30, v31, v30
	v_fma_f32 v31, v62, v54, -v33
	v_dual_fmac_f32 v15, v19, v14 :: v_dual_mul_f32 v14, v21, v17
	s_delay_alu instid0(VALU_DEP_3) | instskip(NEXT) | instid1(VALU_DEP_3)
	v_dual_mul_f32 v17, v20, v17 :: v_dual_add_f32 v30, v30, v34
	v_add_f32_e32 v2, v2, v31
	s_delay_alu instid0(VALU_DEP_3) | instskip(NEXT) | instid1(VALU_DEP_3)
	v_fma_f32 v14, v20, v16, -v14
	v_fmac_f32_e32 v17, v21, v16
	s_delay_alu instid0(VALU_DEP_4) | instskip(NEXT) | instid1(VALU_DEP_4)
	v_add_f32_e32 v15, v30, v15
	v_add_f32_e32 v2, v2, v18
	v_mul_f32_e32 v16, v27, v23
	v_mul_f32_e32 v18, v26, v23
	s_delay_alu instid0(VALU_DEP_3) | instskip(SKIP_1) | instid1(VALU_DEP_4)
	v_add_f32_e32 v2, v2, v14
	v_add_f32_e32 v14, v15, v17
	v_fma_f32 v15, v26, v22, -v16
	s_delay_alu instid0(VALU_DEP_4) | instskip(SKIP_1) | instid1(VALU_DEP_3)
	v_fmac_f32_e32 v18, v27, v22
	v_mul_f32_e32 v16, v29, v25
	v_dual_mul_f32 v17, v28, v25 :: v_dual_add_f32 v2, v2, v15
	s_delay_alu instid0(VALU_DEP_3) | instskip(NEXT) | instid1(VALU_DEP_3)
	v_add_f32_e32 v14, v14, v18
	v_fma_f32 v15, v28, v24, -v16
	s_delay_alu instid0(VALU_DEP_3) | instskip(NEXT) | instid1(VALU_DEP_2)
	v_fmac_f32_e32 v17, v29, v24
	v_add_f32_e32 v15, v2, v15
	s_delay_alu instid0(VALU_DEP_2)
	v_add_f32_e32 v14, v14, v17
	s_cbranch_scc1 .LBB826_11
.LBB826_3:                              ; =>This Inner Loop Header: Depth=1
	v_add_nc_u32_e32 v2, s17, v9
	s_delay_alu instid0(VALU_DEP_1) | instskip(SKIP_1) | instid1(SALU_CYCLE_1)
	v_cmp_le_i32_e32 vcc_lo, s19, v2
	s_or_b32 s10, s3, vcc_lo
	s_and_saveexec_b32 s11, s10
	s_delay_alu instid0(SALU_CYCLE_1)
	s_xor_b32 s10, exec_lo, s11
	s_cbranch_execz .LBB826_5
; %bb.4:                                ;   in Loop: Header=BB826_3 Depth=1
	v_mov_b32_e32 v2, v1
	ds_store_b64 v12, v[1:2]
.LBB826_5:                              ;   in Loop: Header=BB826_3 Depth=1
	s_and_not1_saveexec_b32 s10, s10
	s_cbranch_execz .LBB826_7
; %bb.6:                                ;   in Loop: Header=BB826_3 Depth=1
	global_load_b64 v[16:17], v[5:6], off
	s_waitcnt vmcnt(0)
	ds_store_b64 v12, v[16:17]
.LBB826_7:                              ;   in Loop: Header=BB826_3 Depth=1
	s_or_b32 exec_lo, exec_lo, s10
	v_add_nc_u32_e32 v2, s17, v8
	s_delay_alu instid0(VALU_DEP_1) | instskip(SKIP_1) | instid1(SALU_CYCLE_1)
	v_cmp_le_i32_e32 vcc_lo, s19, v2
	s_or_b32 s10, s2, vcc_lo
	s_and_saveexec_b32 s11, s10
	s_delay_alu instid0(SALU_CYCLE_1)
	s_xor_b32 s10, exec_lo, s11
	s_cbranch_execz .LBB826_9
; %bb.8:                                ;   in Loop: Header=BB826_3 Depth=1
	v_mov_b32_e32 v2, v1
	ds_store_b64 v13, v[1:2]
.LBB826_9:                              ;   in Loop: Header=BB826_3 Depth=1
	s_and_not1_saveexec_b32 s10, s10
	s_cbranch_execz .LBB826_2
; %bb.10:                               ;   in Loop: Header=BB826_3 Depth=1
	global_load_b64 v[16:17], v[3:4], off
	s_waitcnt vmcnt(0)
	ds_store_b64 v13, v[16:17]
	s_branch .LBB826_2
.LBB826_11:
	v_cmp_le_i32_e32 vcc_lo, v7, v0
	v_cmp_gt_i32_e64 s2, s18, v0
	s_delay_alu instid0(VALU_DEP_1) | instskip(NEXT) | instid1(SALU_CYCLE_1)
	s_and_b32 s2, vcc_lo, s2
	s_and_saveexec_b32 s3, s2
	s_cbranch_execz .LBB826_14
; %bb.12:
	s_load_b32 s0, s[0:1], 0x50
	v_ashrrev_i32_e32 v1, 31, v0
	s_delay_alu instid0(VALU_DEP_1) | instskip(SKIP_2) | instid1(VALU_DEP_1)
	v_lshlrev_b64 v[4:5], 3, v[0:1]
	s_waitcnt lgkmcnt(0)
	v_mad_i64_i32 v[2:3], null, s0, v7, 0
	v_lshlrev_b64 v[2:3], 3, v[2:3]
	s_delay_alu instid0(VALU_DEP_1) | instskip(NEXT) | instid1(VALU_DEP_2)
	v_add_co_u32 v1, vcc_lo, s6, v2
	v_add_co_ci_u32_e32 v2, vcc_lo, s7, v3, vcc_lo
	s_delay_alu instid0(VALU_DEP_2) | instskip(NEXT) | instid1(VALU_DEP_2)
	v_add_co_u32 v1, vcc_lo, v1, v4
	v_add_co_ci_u32_e32 v2, vcc_lo, v2, v5, vcc_lo
	v_cmp_eq_u32_e32 vcc_lo, v0, v7
	global_load_b64 v[3:4], v[1:2], off
	s_waitcnt vmcnt(0)
	v_dual_mul_f32 v5, s9, v14 :: v_dual_mul_f32 v8, s5, v4
	v_mul_f32_e32 v4, s4, v4
	s_delay_alu instid0(VALU_DEP_2) | instskip(NEXT) | instid1(VALU_DEP_3)
	v_fma_f32 v5, v15, s8, -v5
	v_fma_f32 v8, v3, s4, -v8
	v_mul_f32_e32 v6, s8, v14
	s_delay_alu instid0(VALU_DEP_2) | instskip(NEXT) | instid1(VALU_DEP_2)
	v_dual_fmac_f32 v4, s5, v3 :: v_dual_add_f32 v3, v5, v8
	v_fmac_f32_e32 v6, s9, v15
	s_delay_alu instid0(VALU_DEP_1)
	v_add_f32_e32 v4, v6, v4
	global_store_b64 v[1:2], v[3:4], off
	s_and_b32 exec_lo, exec_lo, vcc_lo
	s_cbranch_execz .LBB826_14
; %bb.13:
	v_mov_b32_e32 v0, 0
	global_store_b32 v[1:2], v0, off offset:4
.LBB826_14:
	s_nop 0
	s_sendmsg sendmsg(MSG_DEALLOC_VGPRS)
	s_endpgm
	.section	.rodata,"a",@progbits
	.p2align	6, 0x0
	.amdhsa_kernel _ZL32rocblas_syrkx_herkx_small_kernelIi19rocblas_complex_numIfELi16ELb0ELb1ELc84ELc76EKPKS1_KPS1_EviT_T0_PT6_S7_lSA_S7_lS8_PT7_S7_li
		.amdhsa_group_segment_fixed_size 4096
		.amdhsa_private_segment_fixed_size 0
		.amdhsa_kernarg_size 100
		.amdhsa_user_sgpr_count 13
		.amdhsa_user_sgpr_dispatch_ptr 0
		.amdhsa_user_sgpr_queue_ptr 0
		.amdhsa_user_sgpr_kernarg_segment_ptr 1
		.amdhsa_user_sgpr_dispatch_id 0
		.amdhsa_user_sgpr_private_segment_size 0
		.amdhsa_wavefront_size32 1
		.amdhsa_uses_dynamic_stack 0
		.amdhsa_enable_private_segment 0
		.amdhsa_system_sgpr_workgroup_id_x 1
		.amdhsa_system_sgpr_workgroup_id_y 1
		.amdhsa_system_sgpr_workgroup_id_z 1
		.amdhsa_system_sgpr_workgroup_info 0
		.amdhsa_system_vgpr_workitem_id 1
		.amdhsa_next_free_vgpr 68
		.amdhsa_next_free_sgpr 22
		.amdhsa_reserve_vcc 1
		.amdhsa_float_round_mode_32 0
		.amdhsa_float_round_mode_16_64 0
		.amdhsa_float_denorm_mode_32 3
		.amdhsa_float_denorm_mode_16_64 3
		.amdhsa_dx10_clamp 1
		.amdhsa_ieee_mode 1
		.amdhsa_fp16_overflow 0
		.amdhsa_workgroup_processor_mode 1
		.amdhsa_memory_ordered 1
		.amdhsa_forward_progress 0
		.amdhsa_shared_vgpr_count 0
		.amdhsa_exception_fp_ieee_invalid_op 0
		.amdhsa_exception_fp_denorm_src 0
		.amdhsa_exception_fp_ieee_div_zero 0
		.amdhsa_exception_fp_ieee_overflow 0
		.amdhsa_exception_fp_ieee_underflow 0
		.amdhsa_exception_fp_ieee_inexact 0
		.amdhsa_exception_int_div_zero 0
	.end_amdhsa_kernel
	.section	.text._ZL32rocblas_syrkx_herkx_small_kernelIi19rocblas_complex_numIfELi16ELb0ELb1ELc84ELc76EKPKS1_KPS1_EviT_T0_PT6_S7_lSA_S7_lS8_PT7_S7_li,"axG",@progbits,_ZL32rocblas_syrkx_herkx_small_kernelIi19rocblas_complex_numIfELi16ELb0ELb1ELc84ELc76EKPKS1_KPS1_EviT_T0_PT6_S7_lSA_S7_lS8_PT7_S7_li,comdat
.Lfunc_end826:
	.size	_ZL32rocblas_syrkx_herkx_small_kernelIi19rocblas_complex_numIfELi16ELb0ELb1ELc84ELc76EKPKS1_KPS1_EviT_T0_PT6_S7_lSA_S7_lS8_PT7_S7_li, .Lfunc_end826-_ZL32rocblas_syrkx_herkx_small_kernelIi19rocblas_complex_numIfELi16ELb0ELb1ELc84ELc76EKPKS1_KPS1_EviT_T0_PT6_S7_lSA_S7_lS8_PT7_S7_li
                                        ; -- End function
	.section	.AMDGPU.csdata,"",@progbits
; Kernel info:
; codeLenInByte = 1476
; NumSgprs: 24
; NumVgprs: 68
; ScratchSize: 0
; MemoryBound: 1
; FloatMode: 240
; IeeeMode: 1
; LDSByteSize: 4096 bytes/workgroup (compile time only)
; SGPRBlocks: 2
; VGPRBlocks: 8
; NumSGPRsForWavesPerEU: 24
; NumVGPRsForWavesPerEU: 68
; Occupancy: 16
; WaveLimiterHint : 1
; COMPUTE_PGM_RSRC2:SCRATCH_EN: 0
; COMPUTE_PGM_RSRC2:USER_SGPR: 13
; COMPUTE_PGM_RSRC2:TRAP_HANDLER: 0
; COMPUTE_PGM_RSRC2:TGID_X_EN: 1
; COMPUTE_PGM_RSRC2:TGID_Y_EN: 1
; COMPUTE_PGM_RSRC2:TGID_Z_EN: 1
; COMPUTE_PGM_RSRC2:TIDIG_COMP_CNT: 1
	.section	.text._ZL32rocblas_syrkx_herkx_small_kernelIi19rocblas_complex_numIfELi16ELb0ELb1ELc67ELc76EKPKS1_KPS1_EviT_T0_PT6_S7_lSA_S7_lS8_PT7_S7_li,"axG",@progbits,_ZL32rocblas_syrkx_herkx_small_kernelIi19rocblas_complex_numIfELi16ELb0ELb1ELc67ELc76EKPKS1_KPS1_EviT_T0_PT6_S7_lSA_S7_lS8_PT7_S7_li,comdat
	.globl	_ZL32rocblas_syrkx_herkx_small_kernelIi19rocblas_complex_numIfELi16ELb0ELb1ELc67ELc76EKPKS1_KPS1_EviT_T0_PT6_S7_lSA_S7_lS8_PT7_S7_li ; -- Begin function _ZL32rocblas_syrkx_herkx_small_kernelIi19rocblas_complex_numIfELi16ELb0ELb1ELc67ELc76EKPKS1_KPS1_EviT_T0_PT6_S7_lSA_S7_lS8_PT7_S7_li
	.p2align	8
	.type	_ZL32rocblas_syrkx_herkx_small_kernelIi19rocblas_complex_numIfELi16ELb0ELb1ELc67ELc76EKPKS1_KPS1_EviT_T0_PT6_S7_lSA_S7_lS8_PT7_S7_li,@function
_ZL32rocblas_syrkx_herkx_small_kernelIi19rocblas_complex_numIfELi16ELb0ELb1ELc67ELc76EKPKS1_KPS1_EviT_T0_PT6_S7_lSA_S7_lS8_PT7_S7_li: ; @_ZL32rocblas_syrkx_herkx_small_kernelIi19rocblas_complex_numIfELi16ELb0ELb1ELc67ELc76EKPKS1_KPS1_EviT_T0_PT6_S7_lSA_S7_lS8_PT7_S7_li
; %bb.0:
	s_clause 0x1
	s_load_b128 s[4:7], s[0:1], 0x40
	s_load_b64 s[18:19], s[0:1], 0x0
	s_mov_b32 s16, s15
	s_mov_b32 s17, 0
	v_dual_mov_b32 v15, 0 :: v_dual_and_b32 v8, 0x3ff, v0
	s_lshl_b64 s[20:21], s[16:17], 3
	v_bfe_u32 v9, v0, 10, 10
	v_mov_b32_e32 v16, 0
	s_delay_alu instid0(VALU_DEP_3) | instskip(NEXT) | instid1(VALU_DEP_3)
	v_lshl_add_u32 v0, s13, 4, v8
	v_lshl_add_u32 v7, s14, 4, v9
	s_waitcnt lgkmcnt(0)
	s_add_u32 s2, s6, s20
	s_addc_u32 s3, s7, s21
	s_load_b128 s[8:11], s[0:1], 0x8
	s_load_b64 s[6:7], s[2:3], 0x0
	v_cmp_gt_i32_e32 vcc_lo, s18, v0
	s_cmp_lt_i32 s19, 1
	s_cbranch_scc1 .LBB827_11
; %bb.1:
	s_clause 0x2
	s_load_b64 s[12:13], s[0:1], 0x28
	s_load_b32 s3, s[0:1], 0x18
	s_load_b32 s14, s[0:1], 0x30
	v_lshlrev_b32_e32 v16, 3, v9
	v_dual_mov_b32 v15, 0 :: v_dual_lshlrev_b32 v10, 3, v8
	v_dual_mov_b32 v1, 0 :: v_dual_lshlrev_b32 v6, 7, v9
	v_cmp_gt_i32_e64 s2, s18, v7
	s_delay_alu instid0(VALU_DEP_2) | instskip(NEXT) | instid1(VALU_DEP_4)
	v_dual_mov_b32 v12, 0 :: v_dual_add_nc_u32 v11, 0x800, v6
	v_add_nc_u32_e32 v13, v10, v6
	s_delay_alu instid0(VALU_DEP_2)
	v_add_nc_u32_e32 v14, v11, v10
	s_waitcnt lgkmcnt(0)
	s_add_u32 s12, s12, s20
	s_addc_u32 s13, s13, s21
	s_add_u32 s10, s10, s20
	s_addc_u32 s11, s11, s21
	v_mad_i64_i32 v[2:3], null, s3, v0, 0
	s_load_b64 s[10:11], s[10:11], 0x0
	v_mad_i64_i32 v[4:5], null, s14, v7, 0
	s_load_b64 s[12:13], s[12:13], 0x0
	s_xor_b32 s2, s2, -1
	s_delay_alu instid0(VALU_DEP_2) | instskip(NEXT) | instid1(VALU_DEP_2)
	v_lshlrev_b64 v[2:3], 3, v[2:3]
	v_lshlrev_b64 v[4:5], 3, v[4:5]
	s_delay_alu instid0(VALU_DEP_2) | instskip(SKIP_1) | instid1(VALU_DEP_4)
	v_add_co_u32 v2, s3, v2, v16
	v_mov_b32_e32 v16, 0
	v_add_co_ci_u32_e64 v3, s3, 0, v3, s3
	s_delay_alu instid0(VALU_DEP_4) | instskip(NEXT) | instid1(VALU_DEP_1)
	v_add_co_u32 v4, s3, v4, v10
	v_add_co_ci_u32_e64 v5, s3, 0, v5, s3
	s_waitcnt lgkmcnt(0)
	v_add_co_u32 v2, s3, v2, s10
	s_delay_alu instid0(VALU_DEP_1) | instskip(SKIP_1) | instid1(VALU_DEP_1)
	v_add_co_ci_u32_e64 v6, s3, s11, v3, s3
	v_add_co_u32 v3, s3, s12, v4
	v_add_co_ci_u32_e64 v4, s3, s13, v5, s3
	s_delay_alu instid0(VALU_DEP_4) | instskip(NEXT) | instid1(VALU_DEP_1)
	v_add_co_u32 v5, s3, v2, 4
	v_add_co_ci_u32_e64 v6, s3, 0, v6, s3
	s_xor_b32 s3, vcc_lo, -1
	s_branch .LBB827_3
.LBB827_2:                              ;   in Loop: Header=BB827_3 Depth=1
	s_or_b32 exec_lo, exec_lo, s10
	s_waitcnt lgkmcnt(0)
	s_barrier
	buffer_gl0_inv
	ds_load_2addr_b64 v[17:20], v10 offset1:16
	ds_load_b128 v[21:24], v11
	ds_load_b128 v[25:28], v11 offset:16
	ds_load_2addr_b64 v[29:32], v10 offset0:32 offset1:48
	ds_load_2addr_b64 v[33:36], v10 offset0:64 offset1:80
	ds_load_b128 v[37:40], v11 offset:32
	ds_load_b128 v[41:44], v11 offset:48
	ds_load_2addr_b64 v[45:48], v10 offset0:96 offset1:112
	ds_load_2addr_b64 v[49:52], v10 offset0:128 offset1:144
	;; [unrolled: 1-line block ×3, first 2 shown]
	ds_load_b128 v[57:60], v11 offset:64
	ds_load_b128 v[61:64], v11 offset:80
	v_add_co_u32 v3, vcc_lo, 0x80, v3
	v_add_co_ci_u32_e32 v4, vcc_lo, 0, v4, vcc_lo
	v_add_co_u32 v5, vcc_lo, 0x80, v5
	v_add_co_ci_u32_e32 v6, vcc_lo, 0, v6, vcc_lo
	s_add_i32 s17, s17, 16
	s_waitcnt lgkmcnt(10)
	v_dual_mul_f32 v2, v22, v18 :: v_dual_mul_f32 v65, v24, v20
	s_waitcnt lgkmcnt(8)
	v_dual_mul_f32 v18, v21, v18 :: v_dual_mul_f32 v67, v28, v32
	v_mul_f32_e32 v20, v23, v20
	v_mul_f32_e32 v66, v26, v30
	;; [unrolled: 1-line block ×3, first 2 shown]
	s_delay_alu instid0(VALU_DEP_4)
	v_fmac_f32_e32 v18, v22, v17
	v_fma_f32 v2, v21, v17, -v2
	s_waitcnt lgkmcnt(6)
	v_dual_fmac_f32 v20, v24, v19 :: v_dual_mul_f32 v17, v39, v36
	v_mul_f32_e32 v32, v27, v32
	v_add_f32_e32 v15, v15, v18
	v_mul_f32_e32 v68, v38, v34
	v_fmac_f32_e32 v30, v26, v29
	v_fma_f32 v22, v23, v19, -v65
	v_fmac_f32_e32 v17, v40, v35
	v_dual_add_f32 v15, v15, v20 :: v_dual_fmac_f32 v32, v28, v31
	s_waitcnt lgkmcnt(1)
	v_mul_f32_e32 v23, v57, v50
	v_mul_f32_e32 v19, v41, v46
	v_add_f32_e32 v2, v16, v2
	v_add_f32_e32 v15, v15, v30
	v_mul_f32_e32 v34, v37, v34
	v_fma_f32 v20, v27, v31, -v67
	s_waitcnt lgkmcnt(0)
	v_mul_f32_e32 v31, v61, v54
	v_mul_f32_e32 v21, v40, v36
	v_dual_add_f32 v15, v15, v32 :: v_dual_fmac_f32 v34, v38, v33
	v_fma_f32 v18, v25, v29, -v66
	v_dual_fmac_f32 v19, v42, v45 :: v_dual_mul_f32 v26, v59, v52
	s_delay_alu instid0(VALU_DEP_4) | instskip(NEXT) | instid1(VALU_DEP_4)
	v_fma_f32 v21, v39, v35, -v21
	v_add_f32_e32 v15, v15, v34
	v_mul_f32_e32 v16, v42, v46
	s_cmp_ge_i32 s17, s19
	v_dual_fmac_f32 v26, v60, v51 :: v_dual_fmac_f32 v23, v58, v49
	s_delay_alu instid0(VALU_DEP_3) | instskip(SKIP_3) | instid1(VALU_DEP_4)
	v_dual_add_f32 v15, v15, v17 :: v_dual_add_f32 v2, v2, v22
	v_mul_f32_e32 v25, v60, v52
	v_fma_f32 v22, v37, v33, -v68
	v_fma_f32 v16, v41, v45, -v16
	v_dual_add_f32 v19, v15, v19 :: v_dual_add_f32 v2, v2, v18
	v_dual_mul_f32 v18, v44, v48 :: v_dual_fmac_f32 v31, v62, v53
	v_mul_f32_e32 v35, v63, v56
	s_delay_alu instid0(VALU_DEP_3) | instskip(NEXT) | instid1(VALU_DEP_2)
	v_add_f32_e32 v2, v2, v20
	v_dual_mul_f32 v20, v43, v48 :: v_dual_fmac_f32 v35, v64, v55
	s_delay_alu instid0(VALU_DEP_1) | instskip(NEXT) | instid1(VALU_DEP_1)
	v_fmac_f32_e32 v20, v44, v47
	v_add_f32_e32 v24, v19, v20
	s_delay_alu instid0(VALU_DEP_1) | instskip(SKIP_2) | instid1(VALU_DEP_3)
	v_dual_add_f32 v23, v24, v23 :: v_dual_add_f32 v2, v2, v22
	v_fma_f32 v24, v59, v51, -v25
	v_mul_f32_e32 v25, v62, v54
	v_add_f32_e32 v32, v23, v26
	s_delay_alu instid0(VALU_DEP_4) | instskip(SKIP_3) | instid1(VALU_DEP_4)
	v_add_f32_e32 v2, v2, v21
	v_mul_f32_e32 v22, v58, v50
	v_fma_f32 v21, v43, v47, -v18
	v_fma_f32 v33, v61, v53, -v25
	v_dual_add_f32 v31, v32, v31 :: v_dual_add_f32 v2, v2, v16
	ds_load_2addr_b64 v[15:18], v10 offset0:192 offset1:208
	v_fma_f32 v22, v57, v49, -v22
	v_dual_add_f32 v31, v31, v35 :: v_dual_add_f32 v2, v2, v21
	s_delay_alu instid0(VALU_DEP_1)
	v_add_f32_e32 v2, v2, v22
	ds_load_b128 v[19:22], v11 offset:96
	v_add_f32_e32 v2, v2, v24
	ds_load_2addr_b64 v[23:26], v10 offset0:224 offset1:240
	ds_load_b128 v[27:30], v11 offset:112
	v_mul_f32_e32 v34, v64, v56
	s_waitcnt lgkmcnt(0)
	s_barrier
	v_add_f32_e32 v2, v2, v33
	buffer_gl0_inv
	v_fma_f32 v32, v63, v55, -v34
	s_delay_alu instid0(VALU_DEP_1) | instskip(SKIP_2) | instid1(VALU_DEP_2)
	v_add_f32_e32 v2, v2, v32
	v_mul_f32_e32 v33, v20, v16
	v_mul_f32_e32 v16, v19, v16
	v_fma_f32 v19, v19, v15, -v33
	s_delay_alu instid0(VALU_DEP_2) | instskip(SKIP_1) | instid1(VALU_DEP_3)
	v_dual_fmac_f32 v16, v20, v15 :: v_dual_mul_f32 v15, v22, v18
	v_mul_f32_e32 v18, v21, v18
	v_add_f32_e32 v2, v2, v19
	s_delay_alu instid0(VALU_DEP_3) | instskip(NEXT) | instid1(VALU_DEP_4)
	v_add_f32_e32 v16, v31, v16
	v_fma_f32 v15, v21, v17, -v15
	s_delay_alu instid0(VALU_DEP_4) | instskip(NEXT) | instid1(VALU_DEP_2)
	v_dual_fmac_f32 v18, v22, v17 :: v_dual_mul_f32 v17, v28, v24
	v_dual_mul_f32 v19, v27, v24 :: v_dual_add_f32 v2, v2, v15
	s_delay_alu instid0(VALU_DEP_2) | instskip(NEXT) | instid1(VALU_DEP_3)
	v_add_f32_e32 v15, v16, v18
	v_fma_f32 v16, v27, v23, -v17
	s_delay_alu instid0(VALU_DEP_3) | instskip(SKIP_2) | instid1(VALU_DEP_3)
	v_fmac_f32_e32 v19, v28, v23
	v_mul_f32_e32 v17, v30, v26
	v_mul_f32_e32 v18, v29, v26
	v_dual_add_f32 v2, v2, v16 :: v_dual_add_f32 v15, v15, v19
	s_delay_alu instid0(VALU_DEP_3) | instskip(NEXT) | instid1(VALU_DEP_3)
	v_fma_f32 v16, v29, v25, -v17
	v_fmac_f32_e32 v18, v30, v25
	s_delay_alu instid0(VALU_DEP_1)
	v_dual_add_f32 v16, v2, v16 :: v_dual_add_f32 v15, v15, v18
	s_cbranch_scc1 .LBB827_11
.LBB827_3:                              ; =>This Inner Loop Header: Depth=1
	v_add_nc_u32_e32 v2, s17, v9
                                        ; implicit-def: $sgpr11
	s_delay_alu instid0(VALU_DEP_1) | instskip(SKIP_1) | instid1(SALU_CYCLE_1)
	v_cmp_le_i32_e32 vcc_lo, s19, v2
	s_or_b32 s10, s3, vcc_lo
	s_and_saveexec_b32 s12, s10
	s_delay_alu instid0(SALU_CYCLE_1)
	s_xor_b32 s10, exec_lo, s12
	s_cbranch_execz .LBB827_5
; %bb.4:                                ;   in Loop: Header=BB827_3 Depth=1
	s_mov_b32 s11, 0
	ds_store_b32 v13, v12
.LBB827_5:                              ;   in Loop: Header=BB827_3 Depth=1
	s_or_saveexec_b32 s10, s10
	v_mov_b32_e32 v2, s11
	s_xor_b32 exec_lo, exec_lo, s10
	s_cbranch_execz .LBB827_7
; %bb.6:                                ;   in Loop: Header=BB827_3 Depth=1
	global_load_b64 v[17:18], v[5:6], off offset:-4
	s_waitcnt vmcnt(0)
	v_xor_b32_e32 v2, 0x80000000, v18
	ds_store_b32 v13, v17
.LBB827_7:                              ;   in Loop: Header=BB827_3 Depth=1
	s_or_b32 exec_lo, exec_lo, s10
	v_add_nc_u32_e32 v17, s17, v8
	ds_store_b32 v13, v2 offset:4
	v_cmp_le_i32_e32 vcc_lo, s19, v17
	s_or_b32 s10, s2, vcc_lo
	s_delay_alu instid0(SALU_CYCLE_1) | instskip(NEXT) | instid1(SALU_CYCLE_1)
	s_and_saveexec_b32 s11, s10
	s_xor_b32 s10, exec_lo, s11
	s_cbranch_execz .LBB827_9
; %bb.8:                                ;   in Loop: Header=BB827_3 Depth=1
	v_mov_b32_e32 v2, v1
	ds_store_b64 v14, v[1:2]
.LBB827_9:                              ;   in Loop: Header=BB827_3 Depth=1
	s_and_not1_saveexec_b32 s10, s10
	s_cbranch_execz .LBB827_2
; %bb.10:                               ;   in Loop: Header=BB827_3 Depth=1
	global_load_b64 v[17:18], v[3:4], off
	s_waitcnt vmcnt(0)
	ds_store_b64 v14, v[17:18]
	s_branch .LBB827_2
.LBB827_11:
	v_cmp_le_i32_e32 vcc_lo, v7, v0
	v_cmp_gt_i32_e64 s2, s18, v0
	s_delay_alu instid0(VALU_DEP_1) | instskip(NEXT) | instid1(SALU_CYCLE_1)
	s_and_b32 s2, vcc_lo, s2
	s_and_saveexec_b32 s3, s2
	s_cbranch_execz .LBB827_14
; %bb.12:
	s_load_b32 s0, s[0:1], 0x50
	v_ashrrev_i32_e32 v1, 31, v0
	s_delay_alu instid0(VALU_DEP_1) | instskip(SKIP_2) | instid1(VALU_DEP_1)
	v_lshlrev_b64 v[4:5], 3, v[0:1]
	s_waitcnt lgkmcnt(0)
	v_mad_i64_i32 v[2:3], null, s0, v7, 0
	v_lshlrev_b64 v[2:3], 3, v[2:3]
	s_delay_alu instid0(VALU_DEP_1) | instskip(NEXT) | instid1(VALU_DEP_2)
	v_add_co_u32 v1, vcc_lo, s6, v2
	v_add_co_ci_u32_e32 v2, vcc_lo, s7, v3, vcc_lo
	s_delay_alu instid0(VALU_DEP_2) | instskip(NEXT) | instid1(VALU_DEP_2)
	v_add_co_u32 v1, vcc_lo, v1, v4
	v_add_co_ci_u32_e32 v2, vcc_lo, v2, v5, vcc_lo
	v_cmp_eq_u32_e32 vcc_lo, v0, v7
	global_load_b64 v[3:4], v[1:2], off
	s_waitcnt vmcnt(0)
	v_dual_mul_f32 v5, s9, v15 :: v_dual_mul_f32 v8, s5, v4
	v_mul_f32_e32 v4, s4, v4
	s_delay_alu instid0(VALU_DEP_2) | instskip(NEXT) | instid1(VALU_DEP_3)
	v_fma_f32 v5, v16, s8, -v5
	v_fma_f32 v8, v3, s4, -v8
	v_mul_f32_e32 v6, s8, v15
	s_delay_alu instid0(VALU_DEP_2) | instskip(NEXT) | instid1(VALU_DEP_2)
	v_dual_fmac_f32 v4, s5, v3 :: v_dual_add_f32 v3, v5, v8
	v_fmac_f32_e32 v6, s9, v16
	s_delay_alu instid0(VALU_DEP_1)
	v_add_f32_e32 v4, v6, v4
	global_store_b64 v[1:2], v[3:4], off
	s_and_b32 exec_lo, exec_lo, vcc_lo
	s_cbranch_execz .LBB827_14
; %bb.13:
	v_mov_b32_e32 v0, 0
	global_store_b32 v[1:2], v0, off offset:4
.LBB827_14:
	s_nop 0
	s_sendmsg sendmsg(MSG_DEALLOC_VGPRS)
	s_endpgm
	.section	.rodata,"a",@progbits
	.p2align	6, 0x0
	.amdhsa_kernel _ZL32rocblas_syrkx_herkx_small_kernelIi19rocblas_complex_numIfELi16ELb0ELb1ELc67ELc76EKPKS1_KPS1_EviT_T0_PT6_S7_lSA_S7_lS8_PT7_S7_li
		.amdhsa_group_segment_fixed_size 4096
		.amdhsa_private_segment_fixed_size 0
		.amdhsa_kernarg_size 100
		.amdhsa_user_sgpr_count 13
		.amdhsa_user_sgpr_dispatch_ptr 0
		.amdhsa_user_sgpr_queue_ptr 0
		.amdhsa_user_sgpr_kernarg_segment_ptr 1
		.amdhsa_user_sgpr_dispatch_id 0
		.amdhsa_user_sgpr_private_segment_size 0
		.amdhsa_wavefront_size32 1
		.amdhsa_uses_dynamic_stack 0
		.amdhsa_enable_private_segment 0
		.amdhsa_system_sgpr_workgroup_id_x 1
		.amdhsa_system_sgpr_workgroup_id_y 1
		.amdhsa_system_sgpr_workgroup_id_z 1
		.amdhsa_system_sgpr_workgroup_info 0
		.amdhsa_system_vgpr_workitem_id 1
		.amdhsa_next_free_vgpr 69
		.amdhsa_next_free_sgpr 22
		.amdhsa_reserve_vcc 1
		.amdhsa_float_round_mode_32 0
		.amdhsa_float_round_mode_16_64 0
		.amdhsa_float_denorm_mode_32 3
		.amdhsa_float_denorm_mode_16_64 3
		.amdhsa_dx10_clamp 1
		.amdhsa_ieee_mode 1
		.amdhsa_fp16_overflow 0
		.amdhsa_workgroup_processor_mode 1
		.amdhsa_memory_ordered 1
		.amdhsa_forward_progress 0
		.amdhsa_shared_vgpr_count 0
		.amdhsa_exception_fp_ieee_invalid_op 0
		.amdhsa_exception_fp_denorm_src 0
		.amdhsa_exception_fp_ieee_div_zero 0
		.amdhsa_exception_fp_ieee_overflow 0
		.amdhsa_exception_fp_ieee_underflow 0
		.amdhsa_exception_fp_ieee_inexact 0
		.amdhsa_exception_int_div_zero 0
	.end_amdhsa_kernel
	.section	.text._ZL32rocblas_syrkx_herkx_small_kernelIi19rocblas_complex_numIfELi16ELb0ELb1ELc67ELc76EKPKS1_KPS1_EviT_T0_PT6_S7_lSA_S7_lS8_PT7_S7_li,"axG",@progbits,_ZL32rocblas_syrkx_herkx_small_kernelIi19rocblas_complex_numIfELi16ELb0ELb1ELc67ELc76EKPKS1_KPS1_EviT_T0_PT6_S7_lSA_S7_lS8_PT7_S7_li,comdat
.Lfunc_end827:
	.size	_ZL32rocblas_syrkx_herkx_small_kernelIi19rocblas_complex_numIfELi16ELb0ELb1ELc67ELc76EKPKS1_KPS1_EviT_T0_PT6_S7_lSA_S7_lS8_PT7_S7_li, .Lfunc_end827-_ZL32rocblas_syrkx_herkx_small_kernelIi19rocblas_complex_numIfELi16ELb0ELb1ELc67ELc76EKPKS1_KPS1_EviT_T0_PT6_S7_lSA_S7_lS8_PT7_S7_li
                                        ; -- End function
	.section	.AMDGPU.csdata,"",@progbits
; Kernel info:
; codeLenInByte = 1520
; NumSgprs: 24
; NumVgprs: 69
; ScratchSize: 0
; MemoryBound: 1
; FloatMode: 240
; IeeeMode: 1
; LDSByteSize: 4096 bytes/workgroup (compile time only)
; SGPRBlocks: 2
; VGPRBlocks: 8
; NumSGPRsForWavesPerEU: 24
; NumVGPRsForWavesPerEU: 69
; Occupancy: 16
; WaveLimiterHint : 1
; COMPUTE_PGM_RSRC2:SCRATCH_EN: 0
; COMPUTE_PGM_RSRC2:USER_SGPR: 13
; COMPUTE_PGM_RSRC2:TRAP_HANDLER: 0
; COMPUTE_PGM_RSRC2:TGID_X_EN: 1
; COMPUTE_PGM_RSRC2:TGID_Y_EN: 1
; COMPUTE_PGM_RSRC2:TGID_Z_EN: 1
; COMPUTE_PGM_RSRC2:TIDIG_COMP_CNT: 1
	.section	.text._ZL32rocblas_syrkx_herkx_small_kernelIi19rocblas_complex_numIfELi16ELb0ELb1ELc78ELc76EKPKS1_KPS1_EviT_T0_PT6_S7_lSA_S7_lS8_PT7_S7_li,"axG",@progbits,_ZL32rocblas_syrkx_herkx_small_kernelIi19rocblas_complex_numIfELi16ELb0ELb1ELc78ELc76EKPKS1_KPS1_EviT_T0_PT6_S7_lSA_S7_lS8_PT7_S7_li,comdat
	.globl	_ZL32rocblas_syrkx_herkx_small_kernelIi19rocblas_complex_numIfELi16ELb0ELb1ELc78ELc76EKPKS1_KPS1_EviT_T0_PT6_S7_lSA_S7_lS8_PT7_S7_li ; -- Begin function _ZL32rocblas_syrkx_herkx_small_kernelIi19rocblas_complex_numIfELi16ELb0ELb1ELc78ELc76EKPKS1_KPS1_EviT_T0_PT6_S7_lSA_S7_lS8_PT7_S7_li
	.p2align	8
	.type	_ZL32rocblas_syrkx_herkx_small_kernelIi19rocblas_complex_numIfELi16ELb0ELb1ELc78ELc76EKPKS1_KPS1_EviT_T0_PT6_S7_lSA_S7_lS8_PT7_S7_li,@function
_ZL32rocblas_syrkx_herkx_small_kernelIi19rocblas_complex_numIfELi16ELb0ELb1ELc78ELc76EKPKS1_KPS1_EviT_T0_PT6_S7_lSA_S7_lS8_PT7_S7_li: ; @_ZL32rocblas_syrkx_herkx_small_kernelIi19rocblas_complex_numIfELi16ELb0ELb1ELc78ELc76EKPKS1_KPS1_EviT_T0_PT6_S7_lSA_S7_lS8_PT7_S7_li
; %bb.0:
	s_clause 0x1
	s_load_b128 s[4:7], s[0:1], 0x40
	s_load_b64 s[18:19], s[0:1], 0x0
	s_mov_b32 s16, s15
	s_mov_b32 s17, 0
	v_dual_mov_b32 v17, 0 :: v_dual_and_b32 v10, 0x3ff, v0
	s_lshl_b64 s[20:21], s[16:17], 3
	v_bfe_u32 v11, v0, 10, 10
	v_mov_b32_e32 v16, 0
	s_delay_alu instid0(VALU_DEP_3) | instskip(NEXT) | instid1(VALU_DEP_3)
	v_lshl_add_u32 v0, s13, 4, v10
	v_lshl_add_u32 v2, s14, 4, v11
	s_delay_alu instid0(VALU_DEP_2)
	v_ashrrev_i32_e32 v1, 31, v0
	s_waitcnt lgkmcnt(0)
	s_add_u32 s2, s6, s20
	s_addc_u32 s3, s7, s21
	s_load_b128 s[8:11], s[0:1], 0x8
	s_load_b64 s[6:7], s[2:3], 0x0
	v_cmp_gt_i32_e32 vcc_lo, s18, v0
	s_cmp_lt_i32 s19, 1
	s_cbranch_scc1 .LBB828_11
; %bb.1:
	s_clause 0x2
	s_load_b32 s12, s[0:1], 0x18
	s_load_b32 s14, s[0:1], 0x30
	s_load_b64 s[22:23], s[0:1], 0x28
	v_ashrrev_i32_e32 v3, 31, v2
	v_lshlrev_b64 v[5:6], 3, v[0:1]
	v_dual_mov_b32 v4, 0 :: v_dual_lshlrev_b32 v9, 7, v11
	v_dual_mov_b32 v13, 0 :: v_dual_lshlrev_b32 v12, 3, v10
	s_delay_alu instid0(VALU_DEP_4) | instskip(SKIP_1) | instid1(VALU_DEP_4)
	v_lshlrev_b64 v[19:20], 3, v[2:3]
	v_mov_b32_e32 v16, 0
	v_add_nc_u32_e32 v14, 0x800, v9
	s_delay_alu instid0(VALU_DEP_4)
	v_add_nc_u32_e32 v3, v12, v9
	v_cmp_gt_i32_e64 s2, s18, v2
	s_waitcnt lgkmcnt(0)
	s_ashr_i32 s13, s12, 31
	s_ashr_i32 s15, s14, 31
	s_add_u32 s22, s22, s20
	s_addc_u32 s23, s23, s21
	v_mad_i64_i32 v[7:8], null, s14, v10, 0
	s_load_b64 s[22:23], s[22:23], 0x0
	s_add_u32 s10, s10, s20
	s_addc_u32 s11, s11, s21
	v_mad_i64_i32 v[17:18], null, s12, v11, 0
	s_load_b64 s[20:21], s[10:11], 0x0
	s_delay_alu instid0(VALU_DEP_2) | instskip(SKIP_3) | instid1(VALU_DEP_2)
	v_lshlrev_b64 v[7:8], 3, v[7:8]
	s_lshl_b64 s[10:11], s[14:15], 7
	s_lshl_b64 s[12:13], s[12:13], 7
	s_xor_b32 s2, s2, -1
	v_lshlrev_b64 v[17:18], 3, v[17:18]
	s_delay_alu instid0(VALU_DEP_2) | instskip(NEXT) | instid1(VALU_DEP_1)
	v_add_co_u32 v7, s3, v7, v19
	v_add_co_ci_u32_e64 v8, s3, v8, v20, s3
	s_delay_alu instid0(VALU_DEP_3) | instskip(NEXT) | instid1(VALU_DEP_1)
	v_add_co_u32 v5, s3, v17, v5
	v_add_co_ci_u32_e64 v9, s3, v18, v6, s3
	s_waitcnt lgkmcnt(0)
	v_add_co_u32 v17, s3, v7, s22
	s_delay_alu instid0(VALU_DEP_1) | instskip(SKIP_1) | instid1(VALU_DEP_1)
	v_add_co_ci_u32_e64 v18, s3, s23, v8, s3
	v_add_co_u32 v6, s3, s20, v5
	v_add_co_ci_u32_e64 v7, s3, s21, v9, s3
	s_delay_alu instid0(VALU_DEP_4)
	v_add_co_u32 v8, s3, v17, 4
	v_mov_b32_e32 v17, 0
	v_add_nc_u32_e32 v15, v14, v12
	v_add_co_ci_u32_e64 v9, s3, 0, v18, s3
	s_xor_b32 s3, vcc_lo, -1
	s_branch .LBB828_3
.LBB828_2:                              ;   in Loop: Header=BB828_3 Depth=1
	s_or_b32 exec_lo, exec_lo, s14
	ds_store_b32 v15, v5 offset:4
	s_waitcnt lgkmcnt(0)
	s_barrier
	buffer_gl0_inv
	ds_load_2addr_b64 v[18:21], v12 offset1:16
	ds_load_b128 v[22:25], v14
	ds_load_b128 v[26:29], v14 offset:16
	ds_load_2addr_b64 v[30:33], v12 offset0:32 offset1:48
	ds_load_2addr_b64 v[34:37], v12 offset0:64 offset1:80
	ds_load_b128 v[38:41], v14 offset:32
	ds_load_b128 v[42:45], v14 offset:48
	ds_load_2addr_b64 v[46:49], v12 offset0:96 offset1:112
	ds_load_2addr_b64 v[50:53], v12 offset0:128 offset1:144
	;; [unrolled: 1-line block ×3, first 2 shown]
	ds_load_b128 v[58:61], v14 offset:64
	ds_load_b128 v[62:65], v14 offset:80
	v_add_co_u32 v8, vcc_lo, v8, s10
	v_add_co_ci_u32_e32 v9, vcc_lo, s11, v9, vcc_lo
	v_add_co_u32 v6, vcc_lo, v6, s12
	v_add_co_ci_u32_e32 v7, vcc_lo, s13, v7, vcc_lo
	s_add_i32 s17, s17, 16
	s_waitcnt lgkmcnt(10)
	v_dual_mul_f32 v5, v23, v19 :: v_dual_mul_f32 v66, v25, v21
	s_waitcnt lgkmcnt(8)
	v_dual_mul_f32 v19, v22, v19 :: v_dual_mul_f32 v68, v29, v33
	v_mul_f32_e32 v21, v24, v21
	s_delay_alu instid0(VALU_DEP_3) | instskip(SKIP_1) | instid1(VALU_DEP_3)
	v_fma_f32 v5, v22, v18, -v5
	s_waitcnt lgkmcnt(6)
	v_dual_mul_f32 v22, v38, v35 :: v_dual_fmac_f32 v19, v23, v18
	v_fma_f32 v18, v24, v20, -v66
	v_fmac_f32_e32 v21, v25, v20
	v_add_f32_e32 v5, v17, v5
	v_fma_f32 v20, v28, v32, -v68
	v_add_f32_e32 v16, v16, v19
	v_mul_f32_e32 v67, v27, v31
	v_mul_f32_e32 v31, v26, v31
	v_add_f32_e32 v5, v5, v18
	s_waitcnt lgkmcnt(4)
	v_dual_mul_f32 v33, v28, v33 :: v_dual_mul_f32 v18, v43, v47
	v_add_f32_e32 v16, v16, v21
	v_fma_f32 v19, v26, v30, -v67
	v_mul_f32_e32 v17, v40, v37
	s_waitcnt lgkmcnt(1)
	v_dual_fmac_f32 v33, v29, v32 :: v_dual_mul_f32 v24, v58, v51
	v_fma_f32 v18, v42, v46, -v18
	v_add_f32_e32 v5, v5, v19
	v_dual_mul_f32 v25, v61, v53 :: v_dual_fmac_f32 v22, v39, v34
	s_delay_alu instid0(VALU_DEP_4) | instskip(SKIP_1) | instid1(VALU_DEP_3)
	v_fmac_f32_e32 v24, v59, v50
	s_cmp_ge_i32 s17, s19
	v_add_f32_e32 v5, v5, v20
	v_dual_mul_f32 v20, v45, v49 :: v_dual_fmac_f32 v31, v27, v30
	v_fma_f32 v25, v60, v52, -v25
	s_waitcnt lgkmcnt(0)
	v_mul_f32_e32 v32, v62, v55
	s_delay_alu instid0(VALU_DEP_3) | instskip(SKIP_1) | instid1(VALU_DEP_3)
	v_add_f32_e32 v16, v16, v31
	v_mul_f32_e32 v69, v39, v35
	v_dual_mul_f32 v35, v41, v37 :: v_dual_fmac_f32 v32, v63, v54
	s_delay_alu instid0(VALU_DEP_3) | instskip(NEXT) | instid1(VALU_DEP_3)
	v_add_f32_e32 v16, v16, v33
	v_fma_f32 v21, v38, v34, -v69
	s_delay_alu instid0(VALU_DEP_3) | instskip(NEXT) | instid1(VALU_DEP_3)
	v_fma_f32 v23, v40, v36, -v35
	v_dual_mul_f32 v35, v65, v57 :: v_dual_add_f32 v16, v16, v22
	s_delay_alu instid0(VALU_DEP_3) | instskip(SKIP_3) | instid1(VALU_DEP_3)
	v_add_f32_e32 v5, v5, v21
	v_dual_mul_f32 v21, v44, v49 :: v_dual_mul_f32 v22, v59, v51
	v_dual_fmac_f32 v17, v41, v36 :: v_dual_mul_f32 v36, v64, v57
	v_mul_f32_e32 v27, v60, v53
	v_fmac_f32_e32 v21, v45, v48
	s_delay_alu instid0(VALU_DEP_3) | instskip(SKIP_3) | instid1(VALU_DEP_4)
	v_dual_mul_f32 v19, v42, v47 :: v_dual_add_f32 v16, v16, v17
	v_fma_f32 v17, v44, v48, -v20
	v_fmac_f32_e32 v36, v65, v56
	v_fmac_f32_e32 v27, v61, v52
	;; [unrolled: 1-line block ×3, first 2 shown]
	s_delay_alu instid0(VALU_DEP_1) | instskip(NEXT) | instid1(VALU_DEP_1)
	v_add_f32_e32 v16, v16, v19
	v_add_f32_e32 v26, v16, v21
	s_delay_alu instid0(VALU_DEP_1) | instskip(SKIP_1) | instid1(VALU_DEP_2)
	v_dual_add_f32 v24, v26, v24 :: v_dual_add_f32 v5, v5, v23
	v_mul_f32_e32 v26, v63, v55
	v_add_f32_e32 v33, v24, v27
	s_delay_alu instid0(VALU_DEP_2) | instskip(NEXT) | instid1(VALU_DEP_2)
	v_fma_f32 v34, v62, v54, -v26
	v_add_f32_e32 v32, v33, v32
	v_add_f32_e32 v5, v5, v18
	v_fma_f32 v18, v58, v50, -v22
	v_fma_f32 v33, v64, v56, -v35
	s_delay_alu instid0(VALU_DEP_3) | instskip(NEXT) | instid1(VALU_DEP_1)
	v_dual_add_f32 v32, v32, v36 :: v_dual_add_f32 v5, v5, v17
	v_add_f32_e32 v5, v5, v18
	ds_load_2addr_b64 v[16:19], v12 offset0:192 offset1:208
	ds_load_b128 v[20:23], v14 offset:96
	v_add_f32_e32 v5, v5, v25
	ds_load_2addr_b64 v[24:27], v12 offset0:224 offset1:240
	ds_load_b128 v[28:31], v14 offset:112
	s_waitcnt lgkmcnt(0)
	s_barrier
	buffer_gl0_inv
	v_add_f32_e32 v5, v5, v34
	s_delay_alu instid0(VALU_DEP_1) | instskip(SKIP_2) | instid1(VALU_DEP_2)
	v_add_f32_e32 v5, v5, v33
	v_mul_f32_e32 v34, v21, v17
	v_mul_f32_e32 v17, v20, v17
	v_fma_f32 v20, v20, v16, -v34
	s_delay_alu instid0(VALU_DEP_1) | instskip(NEXT) | instid1(VALU_DEP_1)
	v_dual_add_f32 v5, v5, v20 :: v_dual_mul_f32 v20, v28, v25
	v_fmac_f32_e32 v20, v29, v24
	s_delay_alu instid0(VALU_DEP_4) | instskip(SKIP_1) | instid1(VALU_DEP_2)
	v_dual_fmac_f32 v17, v21, v16 :: v_dual_mul_f32 v16, v23, v19
	v_mul_f32_e32 v19, v22, v19
	v_add_f32_e32 v17, v32, v17
	s_delay_alu instid0(VALU_DEP_3) | instskip(NEXT) | instid1(VALU_DEP_3)
	v_fma_f32 v16, v22, v18, -v16
	v_dual_fmac_f32 v19, v23, v18 :: v_dual_mul_f32 v18, v29, v25
	s_delay_alu instid0(VALU_DEP_2) | instskip(NEXT) | instid1(VALU_DEP_2)
	v_add_f32_e32 v5, v5, v16
	v_add_f32_e32 v16, v17, v19
	s_delay_alu instid0(VALU_DEP_3) | instskip(SKIP_2) | instid1(VALU_DEP_3)
	v_fma_f32 v17, v28, v24, -v18
	v_mul_f32_e32 v18, v31, v27
	v_mul_f32_e32 v19, v30, v27
	v_add_f32_e32 v5, v5, v17
	s_delay_alu instid0(VALU_DEP_3) | instskip(NEXT) | instid1(VALU_DEP_3)
	v_fma_f32 v17, v30, v26, -v18
	v_dual_fmac_f32 v19, v31, v26 :: v_dual_add_f32 v16, v16, v20
	s_delay_alu instid0(VALU_DEP_1)
	v_dual_add_f32 v17, v5, v17 :: v_dual_add_f32 v16, v16, v19
	s_cbranch_scc1 .LBB828_11
.LBB828_3:                              ; =>This Inner Loop Header: Depth=1
	v_add_nc_u32_e32 v5, s17, v11
	s_delay_alu instid0(VALU_DEP_1) | instskip(SKIP_1) | instid1(SALU_CYCLE_1)
	v_cmp_le_i32_e32 vcc_lo, s19, v5
	s_or_b32 s14, s3, vcc_lo
	s_and_saveexec_b32 s15, s14
	s_delay_alu instid0(SALU_CYCLE_1)
	s_xor_b32 s14, exec_lo, s15
	s_cbranch_execz .LBB828_5
; %bb.4:                                ;   in Loop: Header=BB828_3 Depth=1
	v_mov_b32_e32 v5, v4
	ds_store_b64 v3, v[4:5]
.LBB828_5:                              ;   in Loop: Header=BB828_3 Depth=1
	s_and_not1_saveexec_b32 s14, s14
	s_cbranch_execz .LBB828_7
; %bb.6:                                ;   in Loop: Header=BB828_3 Depth=1
	global_load_b64 v[18:19], v[6:7], off
	s_waitcnt vmcnt(0)
	ds_store_b64 v3, v[18:19]
.LBB828_7:                              ;   in Loop: Header=BB828_3 Depth=1
	s_or_b32 exec_lo, exec_lo, s14
	v_add_nc_u32_e32 v5, s17, v10
                                        ; implicit-def: $sgpr15
	s_delay_alu instid0(VALU_DEP_1) | instskip(SKIP_1) | instid1(SALU_CYCLE_1)
	v_cmp_le_i32_e32 vcc_lo, s19, v5
	s_or_b32 s14, s2, vcc_lo
	s_and_saveexec_b32 s16, s14
	s_delay_alu instid0(SALU_CYCLE_1)
	s_xor_b32 s14, exec_lo, s16
	s_cbranch_execz .LBB828_9
; %bb.8:                                ;   in Loop: Header=BB828_3 Depth=1
	s_mov_b32 s15, 0
	ds_store_b32 v15, v13
.LBB828_9:                              ;   in Loop: Header=BB828_3 Depth=1
	s_or_saveexec_b32 s14, s14
	v_mov_b32_e32 v5, s15
	s_xor_b32 exec_lo, exec_lo, s14
	s_cbranch_execz .LBB828_2
; %bb.10:                               ;   in Loop: Header=BB828_3 Depth=1
	global_load_b64 v[18:19], v[8:9], off offset:-4
	s_waitcnt vmcnt(0)
	v_xor_b32_e32 v5, 0x80000000, v19
	ds_store_b32 v15, v18
	s_branch .LBB828_2
.LBB828_11:
	v_cmp_le_i32_e32 vcc_lo, v2, v0
	v_cmp_gt_i32_e64 s2, s18, v0
	s_delay_alu instid0(VALU_DEP_1) | instskip(NEXT) | instid1(SALU_CYCLE_1)
	s_and_b32 s2, vcc_lo, s2
	s_and_saveexec_b32 s3, s2
	s_cbranch_execz .LBB828_14
; %bb.12:
	s_load_b32 s0, s[0:1], 0x50
	v_lshlrev_b64 v[5:6], 3, v[0:1]
	s_waitcnt lgkmcnt(0)
	v_mad_i64_i32 v[3:4], null, s0, v2, 0
	s_delay_alu instid0(VALU_DEP_1) | instskip(NEXT) | instid1(VALU_DEP_1)
	v_lshlrev_b64 v[3:4], 3, v[3:4]
	v_add_co_u32 v1, vcc_lo, s6, v3
	s_delay_alu instid0(VALU_DEP_2) | instskip(NEXT) | instid1(VALU_DEP_2)
	v_add_co_ci_u32_e32 v4, vcc_lo, s7, v4, vcc_lo
	v_add_co_u32 v3, vcc_lo, v1, v5
	s_delay_alu instid0(VALU_DEP_2)
	v_add_co_ci_u32_e32 v4, vcc_lo, v4, v6, vcc_lo
	v_cmp_eq_u32_e32 vcc_lo, v0, v2
	global_load_b64 v[5:6], v[3:4], off
	v_mul_f32_e32 v1, s9, v16
	s_waitcnt vmcnt(0)
	v_dual_mul_f32 v7, s8, v16 :: v_dual_mul_f32 v8, s5, v6
	v_mul_f32_e32 v6, s4, v6
	s_delay_alu instid0(VALU_DEP_3) | instskip(NEXT) | instid1(VALU_DEP_3)
	v_fma_f32 v1, v17, s8, -v1
	v_fmac_f32_e32 v7, s9, v17
	s_delay_alu instid0(VALU_DEP_4) | instskip(NEXT) | instid1(VALU_DEP_1)
	v_fma_f32 v8, v5, s4, -v8
	v_dual_fmac_f32 v6, s5, v5 :: v_dual_add_f32 v5, v1, v8
	s_delay_alu instid0(VALU_DEP_1)
	v_add_f32_e32 v6, v7, v6
	global_store_b64 v[3:4], v[5:6], off
	s_and_b32 exec_lo, exec_lo, vcc_lo
	s_cbranch_execz .LBB828_14
; %bb.13:
	v_mov_b32_e32 v0, 0
	global_store_b32 v[3:4], v0, off offset:4
.LBB828_14:
	s_nop 0
	s_sendmsg sendmsg(MSG_DEALLOC_VGPRS)
	s_endpgm
	.section	.rodata,"a",@progbits
	.p2align	6, 0x0
	.amdhsa_kernel _ZL32rocblas_syrkx_herkx_small_kernelIi19rocblas_complex_numIfELi16ELb0ELb1ELc78ELc76EKPKS1_KPS1_EviT_T0_PT6_S7_lSA_S7_lS8_PT7_S7_li
		.amdhsa_group_segment_fixed_size 4096
		.amdhsa_private_segment_fixed_size 0
		.amdhsa_kernarg_size 100
		.amdhsa_user_sgpr_count 13
		.amdhsa_user_sgpr_dispatch_ptr 0
		.amdhsa_user_sgpr_queue_ptr 0
		.amdhsa_user_sgpr_kernarg_segment_ptr 1
		.amdhsa_user_sgpr_dispatch_id 0
		.amdhsa_user_sgpr_private_segment_size 0
		.amdhsa_wavefront_size32 1
		.amdhsa_uses_dynamic_stack 0
		.amdhsa_enable_private_segment 0
		.amdhsa_system_sgpr_workgroup_id_x 1
		.amdhsa_system_sgpr_workgroup_id_y 1
		.amdhsa_system_sgpr_workgroup_id_z 1
		.amdhsa_system_sgpr_workgroup_info 0
		.amdhsa_system_vgpr_workitem_id 1
		.amdhsa_next_free_vgpr 70
		.amdhsa_next_free_sgpr 24
		.amdhsa_reserve_vcc 1
		.amdhsa_float_round_mode_32 0
		.amdhsa_float_round_mode_16_64 0
		.amdhsa_float_denorm_mode_32 3
		.amdhsa_float_denorm_mode_16_64 3
		.amdhsa_dx10_clamp 1
		.amdhsa_ieee_mode 1
		.amdhsa_fp16_overflow 0
		.amdhsa_workgroup_processor_mode 1
		.amdhsa_memory_ordered 1
		.amdhsa_forward_progress 0
		.amdhsa_shared_vgpr_count 0
		.amdhsa_exception_fp_ieee_invalid_op 0
		.amdhsa_exception_fp_denorm_src 0
		.amdhsa_exception_fp_ieee_div_zero 0
		.amdhsa_exception_fp_ieee_overflow 0
		.amdhsa_exception_fp_ieee_underflow 0
		.amdhsa_exception_fp_ieee_inexact 0
		.amdhsa_exception_int_div_zero 0
	.end_amdhsa_kernel
	.section	.text._ZL32rocblas_syrkx_herkx_small_kernelIi19rocblas_complex_numIfELi16ELb0ELb1ELc78ELc76EKPKS1_KPS1_EviT_T0_PT6_S7_lSA_S7_lS8_PT7_S7_li,"axG",@progbits,_ZL32rocblas_syrkx_herkx_small_kernelIi19rocblas_complex_numIfELi16ELb0ELb1ELc78ELc76EKPKS1_KPS1_EviT_T0_PT6_S7_lSA_S7_lS8_PT7_S7_li,comdat
.Lfunc_end828:
	.size	_ZL32rocblas_syrkx_herkx_small_kernelIi19rocblas_complex_numIfELi16ELb0ELb1ELc78ELc76EKPKS1_KPS1_EviT_T0_PT6_S7_lSA_S7_lS8_PT7_S7_li, .Lfunc_end828-_ZL32rocblas_syrkx_herkx_small_kernelIi19rocblas_complex_numIfELi16ELb0ELb1ELc78ELc76EKPKS1_KPS1_EviT_T0_PT6_S7_lSA_S7_lS8_PT7_S7_li
                                        ; -- End function
	.section	.AMDGPU.csdata,"",@progbits
; Kernel info:
; codeLenInByte = 1568
; NumSgprs: 26
; NumVgprs: 70
; ScratchSize: 0
; MemoryBound: 1
; FloatMode: 240
; IeeeMode: 1
; LDSByteSize: 4096 bytes/workgroup (compile time only)
; SGPRBlocks: 3
; VGPRBlocks: 8
; NumSGPRsForWavesPerEU: 26
; NumVGPRsForWavesPerEU: 70
; Occupancy: 16
; WaveLimiterHint : 1
; COMPUTE_PGM_RSRC2:SCRATCH_EN: 0
; COMPUTE_PGM_RSRC2:USER_SGPR: 13
; COMPUTE_PGM_RSRC2:TRAP_HANDLER: 0
; COMPUTE_PGM_RSRC2:TGID_X_EN: 1
; COMPUTE_PGM_RSRC2:TGID_Y_EN: 1
; COMPUTE_PGM_RSRC2:TGID_Z_EN: 1
; COMPUTE_PGM_RSRC2:TIDIG_COMP_CNT: 1
	.section	.text._ZL32rocblas_syrkx_herkx_small_kernelIi19rocblas_complex_numIfELi16ELb0ELb1ELc84ELc85EKPKS1_KPS1_EviT_T0_PT6_S7_lSA_S7_lS8_PT7_S7_li,"axG",@progbits,_ZL32rocblas_syrkx_herkx_small_kernelIi19rocblas_complex_numIfELi16ELb0ELb1ELc84ELc85EKPKS1_KPS1_EviT_T0_PT6_S7_lSA_S7_lS8_PT7_S7_li,comdat
	.globl	_ZL32rocblas_syrkx_herkx_small_kernelIi19rocblas_complex_numIfELi16ELb0ELb1ELc84ELc85EKPKS1_KPS1_EviT_T0_PT6_S7_lSA_S7_lS8_PT7_S7_li ; -- Begin function _ZL32rocblas_syrkx_herkx_small_kernelIi19rocblas_complex_numIfELi16ELb0ELb1ELc84ELc85EKPKS1_KPS1_EviT_T0_PT6_S7_lSA_S7_lS8_PT7_S7_li
	.p2align	8
	.type	_ZL32rocblas_syrkx_herkx_small_kernelIi19rocblas_complex_numIfELi16ELb0ELb1ELc84ELc85EKPKS1_KPS1_EviT_T0_PT6_S7_lSA_S7_lS8_PT7_S7_li,@function
_ZL32rocblas_syrkx_herkx_small_kernelIi19rocblas_complex_numIfELi16ELb0ELb1ELc84ELc85EKPKS1_KPS1_EviT_T0_PT6_S7_lSA_S7_lS8_PT7_S7_li: ; @_ZL32rocblas_syrkx_herkx_small_kernelIi19rocblas_complex_numIfELi16ELb0ELb1ELc84ELc85EKPKS1_KPS1_EviT_T0_PT6_S7_lSA_S7_lS8_PT7_S7_li
; %bb.0:
	s_clause 0x1
	s_load_b128 s[4:7], s[0:1], 0x40
	s_load_b64 s[18:19], s[0:1], 0x0
	s_mov_b32 s16, s15
	s_mov_b32 s17, 0
	v_bfe_u32 v8, v0, 10, 10
	s_lshl_b64 s[20:21], s[16:17], 3
	v_dual_mov_b32 v14, 0 :: v_dual_and_b32 v9, 0x3ff, v0
	v_mov_b32_e32 v15, 0
	s_delay_alu instid0(VALU_DEP_3) | instskip(NEXT) | instid1(VALU_DEP_3)
	v_lshl_add_u32 v7, s14, 4, v8
	v_lshl_add_u32 v0, s13, 4, v9
	s_waitcnt lgkmcnt(0)
	s_add_u32 s2, s6, s20
	s_addc_u32 s3, s7, s21
	s_load_b128 s[8:11], s[0:1], 0x8
	s_load_b64 s[6:7], s[2:3], 0x0
	v_cmp_gt_i32_e32 vcc_lo, s18, v7
	s_cmp_lt_i32 s19, 1
	s_cbranch_scc1 .LBB829_11
; %bb.1:
	s_clause 0x2
	s_load_b64 s[12:13], s[0:1], 0x28
	s_load_b32 s3, s[0:1], 0x30
	s_load_b32 s14, s[0:1], 0x18
	v_lshlrev_b32_e32 v10, 3, v9
	v_dual_mov_b32 v1, 0 :: v_dual_lshlrev_b32 v6, 7, v8
	v_dual_mov_b32 v14, 0 :: v_dual_lshlrev_b32 v15, 3, v8
	v_cmp_gt_i32_e64 s2, s18, v0
	s_delay_alu instid0(VALU_DEP_3)
	v_add_nc_u32_e32 v11, 0x800, v6
	v_add_nc_u32_e32 v12, v10, v6
	s_waitcnt lgkmcnt(0)
	s_add_u32 s12, s12, s20
	s_addc_u32 s13, s13, s21
	v_mad_i64_i32 v[2:3], null, s3, v7, 0
	s_load_b64 s[12:13], s[12:13], 0x0
	s_add_u32 s10, s10, s20
	s_addc_u32 s11, s11, s21
	v_mad_i64_i32 v[4:5], null, s14, v0, 0
	s_load_b64 s[10:11], s[10:11], 0x0
	s_delay_alu instid0(VALU_DEP_2) | instskip(SKIP_1) | instid1(VALU_DEP_2)
	v_lshlrev_b64 v[2:3], 3, v[2:3]
	s_xor_b32 s2, s2, -1
	v_lshlrev_b64 v[4:5], 3, v[4:5]
	s_delay_alu instid0(VALU_DEP_2) | instskip(NEXT) | instid1(VALU_DEP_1)
	v_add_co_u32 v2, s3, v2, v10
	v_add_co_ci_u32_e64 v6, s3, 0, v3, s3
	s_delay_alu instid0(VALU_DEP_3) | instskip(NEXT) | instid1(VALU_DEP_1)
	v_add_co_u32 v15, s3, v4, v15
	v_add_co_ci_u32_e64 v16, s3, 0, v5, s3
	s_waitcnt lgkmcnt(0)
	v_add_co_u32 v3, s3, s12, v2
	s_delay_alu instid0(VALU_DEP_1) | instskip(SKIP_1) | instid1(VALU_DEP_1)
	v_add_co_ci_u32_e64 v4, s3, s13, v6, s3
	v_add_co_u32 v5, s3, s10, v15
	v_add_co_ci_u32_e64 v6, s3, s11, v16, s3
	v_mov_b32_e32 v15, 0
	v_add_nc_u32_e32 v13, v11, v10
	s_xor_b32 s3, vcc_lo, -1
	s_branch .LBB829_3
.LBB829_2:                              ;   in Loop: Header=BB829_3 Depth=1
	s_or_b32 exec_lo, exec_lo, s10
	s_waitcnt lgkmcnt(0)
	s_barrier
	buffer_gl0_inv
	ds_load_2addr_b64 v[16:19], v10 offset1:16
	ds_load_b128 v[20:23], v11
	ds_load_b128 v[24:27], v11 offset:16
	ds_load_2addr_b64 v[28:31], v10 offset0:32 offset1:48
	ds_load_2addr_b64 v[32:35], v10 offset0:64 offset1:80
	ds_load_b128 v[36:39], v11 offset:32
	ds_load_b128 v[40:43], v11 offset:48
	ds_load_2addr_b64 v[44:47], v10 offset0:96 offset1:112
	ds_load_2addr_b64 v[48:51], v10 offset0:128 offset1:144
	;; [unrolled: 1-line block ×3, first 2 shown]
	ds_load_b128 v[56:59], v11 offset:64
	ds_load_b128 v[60:63], v11 offset:80
	v_add_co_u32 v3, vcc_lo, 0x80, v3
	v_add_co_ci_u32_e32 v4, vcc_lo, 0, v4, vcc_lo
	v_add_co_u32 v5, vcc_lo, 0x80, v5
	v_add_co_ci_u32_e32 v6, vcc_lo, 0, v6, vcc_lo
	s_add_i32 s17, s17, 16
	s_waitcnt lgkmcnt(10)
	v_mul_f32_e32 v2, v21, v17
	v_dual_mul_f32 v17, v20, v17 :: v_dual_mul_f32 v64, v23, v19
	v_mul_f32_e32 v19, v22, v19
	s_waitcnt lgkmcnt(8)
	v_dual_mul_f32 v65, v25, v29 :: v_dual_mul_f32 v66, v27, v31
	v_fma_f32 v2, v20, v16, -v2
	v_mul_f32_e32 v31, v26, v31
	s_waitcnt lgkmcnt(6)
	v_dual_mul_f32 v29, v24, v29 :: v_dual_mul_f32 v20, v39, v35
	s_delay_alu instid0(VALU_DEP_3) | instskip(SKIP_2) | instid1(VALU_DEP_4)
	v_dual_mul_f32 v67, v37, v33 :: v_dual_add_f32 v2, v15, v2
	v_fmac_f32_e32 v17, v21, v16
	v_fma_f32 v21, v22, v18, -v64
	v_dual_fmac_f32 v29, v25, v28 :: v_dual_mul_f32 v16, v38, v35
	v_fma_f32 v20, v38, v34, -v20
	s_delay_alu instid0(VALU_DEP_3)
	v_dual_fmac_f32 v31, v27, v30 :: v_dual_add_f32 v2, v2, v21
	v_dual_fmac_f32 v19, v23, v18 :: v_dual_add_f32 v14, v14, v17
	v_fma_f32 v17, v24, v28, -v65
	v_mul_f32_e32 v33, v36, v33
	s_waitcnt lgkmcnt(4)
	v_mul_f32_e32 v18, v40, v45
	v_fma_f32 v21, v36, v32, -v67
	v_add_f32_e32 v14, v14, v19
	v_fma_f32 v19, v26, v30, -v66
	v_add_f32_e32 v2, v2, v17
	v_mul_f32_e32 v15, v41, v45
	s_delay_alu instid0(VALU_DEP_4) | instskip(NEXT) | instid1(VALU_DEP_3)
	v_dual_mul_f32 v17, v43, v47 :: v_dual_add_f32 v14, v14, v29
	v_dual_fmac_f32 v33, v37, v32 :: v_dual_add_f32 v2, v2, v19
	v_dual_mul_f32 v19, v42, v47 :: v_dual_fmac_f32 v16, v39, v34
	s_delay_alu instid0(VALU_DEP_3) | instskip(SKIP_1) | instid1(VALU_DEP_3)
	v_add_f32_e32 v14, v14, v31
	v_fma_f32 v15, v40, v44, -v15
	v_dual_add_f32 v2, v2, v21 :: v_dual_fmac_f32 v19, v43, v46
	s_waitcnt lgkmcnt(1)
	v_mul_f32_e32 v21, v57, v49
	v_dual_fmac_f32 v18, v41, v44 :: v_dual_mul_f32 v25, v58, v51
	v_add_f32_e32 v14, v14, v33
	v_add_f32_e32 v2, v2, v20
	v_fma_f32 v20, v42, v46, -v17
	v_fma_f32 v21, v56, v48, -v21
	s_delay_alu instid0(VALU_DEP_4)
	v_dual_fmac_f32 v25, v59, v50 :: v_dual_add_f32 v14, v14, v16
	s_waitcnt lgkmcnt(0)
	v_mul_f32_e32 v33, v63, v55
	v_add_f32_e32 v2, v2, v15
	v_mul_f32_e32 v34, v62, v55
	s_cmp_ge_i32 s17, s19
	v_add_f32_e32 v18, v14, v18
	v_mul_f32_e32 v22, v56, v49
	v_add_f32_e32 v2, v2, v20
	ds_load_2addr_b64 v[14:17], v10 offset0:192 offset1:208
	v_dual_fmac_f32 v34, v63, v54 :: v_dual_add_f32 v23, v18, v19
	v_add_f32_e32 v2, v2, v21
	ds_load_b128 v[18:21], v11 offset:96
	v_fmac_f32_e32 v22, v57, v48
	s_delay_alu instid0(VALU_DEP_1) | instskip(NEXT) | instid1(VALU_DEP_1)
	v_add_f32_e32 v22, v23, v22
	v_dual_mul_f32 v24, v59, v51 :: v_dual_add_f32 v31, v22, v25
	s_delay_alu instid0(VALU_DEP_1) | instskip(SKIP_1) | instid1(VALU_DEP_2)
	v_fma_f32 v23, v58, v50, -v24
	v_mul_f32_e32 v24, v61, v53
	v_add_f32_e32 v2, v2, v23
	s_delay_alu instid0(VALU_DEP_2)
	v_fma_f32 v32, v60, v52, -v24
	ds_load_2addr_b64 v[22:25], v10 offset0:224 offset1:240
	ds_load_b128 v[26:29], v11 offset:112
	v_mul_f32_e32 v30, v60, v53
	s_waitcnt lgkmcnt(0)
	s_barrier
	v_add_f32_e32 v2, v2, v32
	v_mul_f32_e32 v32, v19, v15
	v_dual_fmac_f32 v30, v61, v52 :: v_dual_mul_f32 v15, v18, v15
	buffer_gl0_inv
	v_fma_f32 v18, v18, v14, -v32
	v_add_f32_e32 v30, v31, v30
	v_fma_f32 v31, v62, v54, -v33
	v_dual_fmac_f32 v15, v19, v14 :: v_dual_mul_f32 v14, v21, v17
	s_delay_alu instid0(VALU_DEP_3) | instskip(NEXT) | instid1(VALU_DEP_3)
	v_dual_mul_f32 v17, v20, v17 :: v_dual_add_f32 v30, v30, v34
	v_add_f32_e32 v2, v2, v31
	s_delay_alu instid0(VALU_DEP_3) | instskip(NEXT) | instid1(VALU_DEP_3)
	v_fma_f32 v14, v20, v16, -v14
	v_fmac_f32_e32 v17, v21, v16
	s_delay_alu instid0(VALU_DEP_4) | instskip(NEXT) | instid1(VALU_DEP_4)
	v_add_f32_e32 v15, v30, v15
	v_add_f32_e32 v2, v2, v18
	v_mul_f32_e32 v16, v27, v23
	v_mul_f32_e32 v18, v26, v23
	s_delay_alu instid0(VALU_DEP_3) | instskip(SKIP_1) | instid1(VALU_DEP_4)
	v_add_f32_e32 v2, v2, v14
	v_add_f32_e32 v14, v15, v17
	v_fma_f32 v15, v26, v22, -v16
	s_delay_alu instid0(VALU_DEP_4) | instskip(SKIP_1) | instid1(VALU_DEP_3)
	v_fmac_f32_e32 v18, v27, v22
	v_mul_f32_e32 v16, v29, v25
	v_dual_mul_f32 v17, v28, v25 :: v_dual_add_f32 v2, v2, v15
	s_delay_alu instid0(VALU_DEP_3) | instskip(NEXT) | instid1(VALU_DEP_3)
	v_add_f32_e32 v14, v14, v18
	v_fma_f32 v15, v28, v24, -v16
	s_delay_alu instid0(VALU_DEP_3) | instskip(NEXT) | instid1(VALU_DEP_2)
	v_fmac_f32_e32 v17, v29, v24
	v_add_f32_e32 v15, v2, v15
	s_delay_alu instid0(VALU_DEP_2)
	v_add_f32_e32 v14, v14, v17
	s_cbranch_scc1 .LBB829_11
.LBB829_3:                              ; =>This Inner Loop Header: Depth=1
	v_add_nc_u32_e32 v2, s17, v8
	s_delay_alu instid0(VALU_DEP_1) | instskip(SKIP_1) | instid1(SALU_CYCLE_1)
	v_cmp_le_i32_e32 vcc_lo, s19, v2
	s_or_b32 s10, s2, vcc_lo
	s_and_saveexec_b32 s11, s10
	s_delay_alu instid0(SALU_CYCLE_1)
	s_xor_b32 s10, exec_lo, s11
	s_cbranch_execz .LBB829_5
; %bb.4:                                ;   in Loop: Header=BB829_3 Depth=1
	v_mov_b32_e32 v2, v1
	ds_store_b64 v12, v[1:2]
.LBB829_5:                              ;   in Loop: Header=BB829_3 Depth=1
	s_and_not1_saveexec_b32 s10, s10
	s_cbranch_execz .LBB829_7
; %bb.6:                                ;   in Loop: Header=BB829_3 Depth=1
	global_load_b64 v[16:17], v[5:6], off
	s_waitcnt vmcnt(0)
	ds_store_b64 v12, v[16:17]
.LBB829_7:                              ;   in Loop: Header=BB829_3 Depth=1
	s_or_b32 exec_lo, exec_lo, s10
	v_add_nc_u32_e32 v2, s17, v9
	s_delay_alu instid0(VALU_DEP_1) | instskip(SKIP_1) | instid1(SALU_CYCLE_1)
	v_cmp_le_i32_e32 vcc_lo, s19, v2
	s_or_b32 s10, s3, vcc_lo
	s_and_saveexec_b32 s11, s10
	s_delay_alu instid0(SALU_CYCLE_1)
	s_xor_b32 s10, exec_lo, s11
	s_cbranch_execz .LBB829_9
; %bb.8:                                ;   in Loop: Header=BB829_3 Depth=1
	v_mov_b32_e32 v2, v1
	ds_store_b64 v13, v[1:2]
.LBB829_9:                              ;   in Loop: Header=BB829_3 Depth=1
	s_and_not1_saveexec_b32 s10, s10
	s_cbranch_execz .LBB829_2
; %bb.10:                               ;   in Loop: Header=BB829_3 Depth=1
	global_load_b64 v[16:17], v[3:4], off
	s_waitcnt vmcnt(0)
	ds_store_b64 v13, v[16:17]
	s_branch .LBB829_2
.LBB829_11:
	v_cmp_le_i32_e32 vcc_lo, v0, v7
	v_cmp_gt_i32_e64 s2, s18, v7
	s_delay_alu instid0(VALU_DEP_1) | instskip(NEXT) | instid1(SALU_CYCLE_1)
	s_and_b32 s2, vcc_lo, s2
	s_and_saveexec_b32 s3, s2
	s_cbranch_execz .LBB829_14
; %bb.12:
	s_load_b32 s0, s[0:1], 0x50
	v_ashrrev_i32_e32 v1, 31, v0
	s_delay_alu instid0(VALU_DEP_1) | instskip(SKIP_2) | instid1(VALU_DEP_1)
	v_lshlrev_b64 v[4:5], 3, v[0:1]
	s_waitcnt lgkmcnt(0)
	v_mad_i64_i32 v[2:3], null, s0, v7, 0
	v_lshlrev_b64 v[2:3], 3, v[2:3]
	s_delay_alu instid0(VALU_DEP_1) | instskip(NEXT) | instid1(VALU_DEP_2)
	v_add_co_u32 v1, vcc_lo, s6, v2
	v_add_co_ci_u32_e32 v2, vcc_lo, s7, v3, vcc_lo
	s_delay_alu instid0(VALU_DEP_2) | instskip(NEXT) | instid1(VALU_DEP_2)
	v_add_co_u32 v1, vcc_lo, v1, v4
	v_add_co_ci_u32_e32 v2, vcc_lo, v2, v5, vcc_lo
	v_cmp_eq_u32_e32 vcc_lo, v0, v7
	global_load_b64 v[3:4], v[1:2], off
	s_waitcnt vmcnt(0)
	v_dual_mul_f32 v5, s9, v14 :: v_dual_mul_f32 v8, s5, v4
	v_mul_f32_e32 v4, s4, v4
	s_delay_alu instid0(VALU_DEP_2) | instskip(NEXT) | instid1(VALU_DEP_3)
	v_fma_f32 v5, v15, s8, -v5
	v_fma_f32 v8, v3, s4, -v8
	v_mul_f32_e32 v6, s8, v14
	s_delay_alu instid0(VALU_DEP_2) | instskip(NEXT) | instid1(VALU_DEP_2)
	v_dual_fmac_f32 v4, s5, v3 :: v_dual_add_f32 v3, v5, v8
	v_fmac_f32_e32 v6, s9, v15
	s_delay_alu instid0(VALU_DEP_1)
	v_add_f32_e32 v4, v6, v4
	global_store_b64 v[1:2], v[3:4], off
	s_and_b32 exec_lo, exec_lo, vcc_lo
	s_cbranch_execz .LBB829_14
; %bb.13:
	v_mov_b32_e32 v0, 0
	global_store_b32 v[1:2], v0, off offset:4
.LBB829_14:
	s_nop 0
	s_sendmsg sendmsg(MSG_DEALLOC_VGPRS)
	s_endpgm
	.section	.rodata,"a",@progbits
	.p2align	6, 0x0
	.amdhsa_kernel _ZL32rocblas_syrkx_herkx_small_kernelIi19rocblas_complex_numIfELi16ELb0ELb1ELc84ELc85EKPKS1_KPS1_EviT_T0_PT6_S7_lSA_S7_lS8_PT7_S7_li
		.amdhsa_group_segment_fixed_size 4096
		.amdhsa_private_segment_fixed_size 0
		.amdhsa_kernarg_size 100
		.amdhsa_user_sgpr_count 13
		.amdhsa_user_sgpr_dispatch_ptr 0
		.amdhsa_user_sgpr_queue_ptr 0
		.amdhsa_user_sgpr_kernarg_segment_ptr 1
		.amdhsa_user_sgpr_dispatch_id 0
		.amdhsa_user_sgpr_private_segment_size 0
		.amdhsa_wavefront_size32 1
		.amdhsa_uses_dynamic_stack 0
		.amdhsa_enable_private_segment 0
		.amdhsa_system_sgpr_workgroup_id_x 1
		.amdhsa_system_sgpr_workgroup_id_y 1
		.amdhsa_system_sgpr_workgroup_id_z 1
		.amdhsa_system_sgpr_workgroup_info 0
		.amdhsa_system_vgpr_workitem_id 1
		.amdhsa_next_free_vgpr 68
		.amdhsa_next_free_sgpr 22
		.amdhsa_reserve_vcc 1
		.amdhsa_float_round_mode_32 0
		.amdhsa_float_round_mode_16_64 0
		.amdhsa_float_denorm_mode_32 3
		.amdhsa_float_denorm_mode_16_64 3
		.amdhsa_dx10_clamp 1
		.amdhsa_ieee_mode 1
		.amdhsa_fp16_overflow 0
		.amdhsa_workgroup_processor_mode 1
		.amdhsa_memory_ordered 1
		.amdhsa_forward_progress 0
		.amdhsa_shared_vgpr_count 0
		.amdhsa_exception_fp_ieee_invalid_op 0
		.amdhsa_exception_fp_denorm_src 0
		.amdhsa_exception_fp_ieee_div_zero 0
		.amdhsa_exception_fp_ieee_overflow 0
		.amdhsa_exception_fp_ieee_underflow 0
		.amdhsa_exception_fp_ieee_inexact 0
		.amdhsa_exception_int_div_zero 0
	.end_amdhsa_kernel
	.section	.text._ZL32rocblas_syrkx_herkx_small_kernelIi19rocblas_complex_numIfELi16ELb0ELb1ELc84ELc85EKPKS1_KPS1_EviT_T0_PT6_S7_lSA_S7_lS8_PT7_S7_li,"axG",@progbits,_ZL32rocblas_syrkx_herkx_small_kernelIi19rocblas_complex_numIfELi16ELb0ELb1ELc84ELc85EKPKS1_KPS1_EviT_T0_PT6_S7_lSA_S7_lS8_PT7_S7_li,comdat
.Lfunc_end829:
	.size	_ZL32rocblas_syrkx_herkx_small_kernelIi19rocblas_complex_numIfELi16ELb0ELb1ELc84ELc85EKPKS1_KPS1_EviT_T0_PT6_S7_lSA_S7_lS8_PT7_S7_li, .Lfunc_end829-_ZL32rocblas_syrkx_herkx_small_kernelIi19rocblas_complex_numIfELi16ELb0ELb1ELc84ELc85EKPKS1_KPS1_EviT_T0_PT6_S7_lSA_S7_lS8_PT7_S7_li
                                        ; -- End function
	.section	.AMDGPU.csdata,"",@progbits
; Kernel info:
; codeLenInByte = 1476
; NumSgprs: 24
; NumVgprs: 68
; ScratchSize: 0
; MemoryBound: 1
; FloatMode: 240
; IeeeMode: 1
; LDSByteSize: 4096 bytes/workgroup (compile time only)
; SGPRBlocks: 2
; VGPRBlocks: 8
; NumSGPRsForWavesPerEU: 24
; NumVGPRsForWavesPerEU: 68
; Occupancy: 16
; WaveLimiterHint : 1
; COMPUTE_PGM_RSRC2:SCRATCH_EN: 0
; COMPUTE_PGM_RSRC2:USER_SGPR: 13
; COMPUTE_PGM_RSRC2:TRAP_HANDLER: 0
; COMPUTE_PGM_RSRC2:TGID_X_EN: 1
; COMPUTE_PGM_RSRC2:TGID_Y_EN: 1
; COMPUTE_PGM_RSRC2:TGID_Z_EN: 1
; COMPUTE_PGM_RSRC2:TIDIG_COMP_CNT: 1
	.section	.text._ZL32rocblas_syrkx_herkx_small_kernelIi19rocblas_complex_numIfELi16ELb0ELb1ELc67ELc85EKPKS1_KPS1_EviT_T0_PT6_S7_lSA_S7_lS8_PT7_S7_li,"axG",@progbits,_ZL32rocblas_syrkx_herkx_small_kernelIi19rocblas_complex_numIfELi16ELb0ELb1ELc67ELc85EKPKS1_KPS1_EviT_T0_PT6_S7_lSA_S7_lS8_PT7_S7_li,comdat
	.globl	_ZL32rocblas_syrkx_herkx_small_kernelIi19rocblas_complex_numIfELi16ELb0ELb1ELc67ELc85EKPKS1_KPS1_EviT_T0_PT6_S7_lSA_S7_lS8_PT7_S7_li ; -- Begin function _ZL32rocblas_syrkx_herkx_small_kernelIi19rocblas_complex_numIfELi16ELb0ELb1ELc67ELc85EKPKS1_KPS1_EviT_T0_PT6_S7_lSA_S7_lS8_PT7_S7_li
	.p2align	8
	.type	_ZL32rocblas_syrkx_herkx_small_kernelIi19rocblas_complex_numIfELi16ELb0ELb1ELc67ELc85EKPKS1_KPS1_EviT_T0_PT6_S7_lSA_S7_lS8_PT7_S7_li,@function
_ZL32rocblas_syrkx_herkx_small_kernelIi19rocblas_complex_numIfELi16ELb0ELb1ELc67ELc85EKPKS1_KPS1_EviT_T0_PT6_S7_lSA_S7_lS8_PT7_S7_li: ; @_ZL32rocblas_syrkx_herkx_small_kernelIi19rocblas_complex_numIfELi16ELb0ELb1ELc67ELc85EKPKS1_KPS1_EviT_T0_PT6_S7_lSA_S7_lS8_PT7_S7_li
; %bb.0:
	s_clause 0x1
	s_load_b128 s[4:7], s[0:1], 0x40
	s_load_b64 s[18:19], s[0:1], 0x0
	s_mov_b32 s16, s15
	s_mov_b32 s17, 0
	v_bfe_u32 v8, v0, 10, 10
	s_lshl_b64 s[20:21], s[16:17], 3
	v_dual_mov_b32 v16, 0 :: v_dual_and_b32 v9, 0x3ff, v0
	v_mov_b32_e32 v15, 0
	s_delay_alu instid0(VALU_DEP_3) | instskip(NEXT) | instid1(VALU_DEP_3)
	v_lshl_add_u32 v7, s14, 4, v8
	v_lshl_add_u32 v0, s13, 4, v9
	s_waitcnt lgkmcnt(0)
	s_add_u32 s2, s6, s20
	s_addc_u32 s3, s7, s21
	s_load_b128 s[8:11], s[0:1], 0x8
	s_load_b64 s[6:7], s[2:3], 0x0
	v_cmp_gt_i32_e32 vcc_lo, s18, v7
	s_cmp_lt_i32 s19, 1
	s_cbranch_scc1 .LBB830_11
; %bb.1:
	s_clause 0x2
	s_load_b64 s[12:13], s[0:1], 0x28
	s_load_b32 s3, s[0:1], 0x18
	s_load_b32 s14, s[0:1], 0x30
	v_lshlrev_b32_e32 v16, 3, v8
	v_dual_mov_b32 v15, 0 :: v_dual_lshlrev_b32 v10, 3, v9
	v_dual_mov_b32 v1, 0 :: v_dual_lshlrev_b32 v6, 7, v8
	v_cmp_gt_i32_e64 s2, s18, v0
	s_delay_alu instid0(VALU_DEP_2) | instskip(NEXT) | instid1(VALU_DEP_4)
	v_dual_mov_b32 v12, 0 :: v_dual_add_nc_u32 v11, 0x800, v6
	v_add_nc_u32_e32 v13, v10, v6
	s_delay_alu instid0(VALU_DEP_2)
	v_add_nc_u32_e32 v14, v11, v10
	s_waitcnt lgkmcnt(0)
	s_add_u32 s12, s12, s20
	s_addc_u32 s13, s13, s21
	s_add_u32 s10, s10, s20
	s_addc_u32 s11, s11, s21
	v_mad_i64_i32 v[2:3], null, s3, v0, 0
	s_load_b64 s[10:11], s[10:11], 0x0
	v_mad_i64_i32 v[4:5], null, s14, v7, 0
	s_load_b64 s[12:13], s[12:13], 0x0
	s_xor_b32 s2, s2, -1
	s_delay_alu instid0(VALU_DEP_2) | instskip(NEXT) | instid1(VALU_DEP_2)
	v_lshlrev_b64 v[2:3], 3, v[2:3]
	v_lshlrev_b64 v[4:5], 3, v[4:5]
	s_delay_alu instid0(VALU_DEP_2) | instskip(SKIP_1) | instid1(VALU_DEP_4)
	v_add_co_u32 v2, s3, v2, v16
	v_mov_b32_e32 v16, 0
	v_add_co_ci_u32_e64 v3, s3, 0, v3, s3
	s_delay_alu instid0(VALU_DEP_4) | instskip(NEXT) | instid1(VALU_DEP_1)
	v_add_co_u32 v4, s3, v4, v10
	v_add_co_ci_u32_e64 v5, s3, 0, v5, s3
	s_waitcnt lgkmcnt(0)
	v_add_co_u32 v2, s3, v2, s10
	s_delay_alu instid0(VALU_DEP_1) | instskip(SKIP_1) | instid1(VALU_DEP_1)
	v_add_co_ci_u32_e64 v6, s3, s11, v3, s3
	v_add_co_u32 v3, s3, s12, v4
	v_add_co_ci_u32_e64 v4, s3, s13, v5, s3
	s_delay_alu instid0(VALU_DEP_4) | instskip(NEXT) | instid1(VALU_DEP_1)
	v_add_co_u32 v5, s3, v2, 4
	v_add_co_ci_u32_e64 v6, s3, 0, v6, s3
	s_xor_b32 s3, vcc_lo, -1
	s_branch .LBB830_3
.LBB830_2:                              ;   in Loop: Header=BB830_3 Depth=1
	s_or_b32 exec_lo, exec_lo, s10
	s_waitcnt lgkmcnt(0)
	s_barrier
	buffer_gl0_inv
	ds_load_2addr_b64 v[17:20], v10 offset1:16
	ds_load_b128 v[21:24], v11
	ds_load_b128 v[25:28], v11 offset:16
	ds_load_2addr_b64 v[29:32], v10 offset0:32 offset1:48
	ds_load_2addr_b64 v[33:36], v10 offset0:64 offset1:80
	ds_load_b128 v[37:40], v11 offset:32
	ds_load_b128 v[41:44], v11 offset:48
	ds_load_2addr_b64 v[45:48], v10 offset0:96 offset1:112
	ds_load_2addr_b64 v[49:52], v10 offset0:128 offset1:144
	;; [unrolled: 1-line block ×3, first 2 shown]
	ds_load_b128 v[57:60], v11 offset:64
	ds_load_b128 v[61:64], v11 offset:80
	v_add_co_u32 v3, vcc_lo, 0x80, v3
	v_add_co_ci_u32_e32 v4, vcc_lo, 0, v4, vcc_lo
	v_add_co_u32 v5, vcc_lo, 0x80, v5
	v_add_co_ci_u32_e32 v6, vcc_lo, 0, v6, vcc_lo
	s_add_i32 s17, s17, 16
	s_waitcnt lgkmcnt(10)
	v_dual_mul_f32 v2, v22, v18 :: v_dual_mul_f32 v65, v24, v20
	s_waitcnt lgkmcnt(8)
	v_dual_mul_f32 v18, v21, v18 :: v_dual_mul_f32 v67, v28, v32
	v_mul_f32_e32 v20, v23, v20
	v_mul_f32_e32 v66, v26, v30
	;; [unrolled: 1-line block ×3, first 2 shown]
	s_delay_alu instid0(VALU_DEP_4)
	v_fmac_f32_e32 v18, v22, v17
	v_fma_f32 v2, v21, v17, -v2
	s_waitcnt lgkmcnt(6)
	v_dual_fmac_f32 v20, v24, v19 :: v_dual_mul_f32 v17, v39, v36
	v_mul_f32_e32 v32, v27, v32
	v_add_f32_e32 v15, v15, v18
	v_mul_f32_e32 v68, v38, v34
	v_fmac_f32_e32 v30, v26, v29
	v_fma_f32 v22, v23, v19, -v65
	v_fmac_f32_e32 v17, v40, v35
	v_dual_add_f32 v15, v15, v20 :: v_dual_fmac_f32 v32, v28, v31
	s_waitcnt lgkmcnt(1)
	v_mul_f32_e32 v23, v57, v50
	v_mul_f32_e32 v19, v41, v46
	v_add_f32_e32 v2, v16, v2
	v_add_f32_e32 v15, v15, v30
	v_mul_f32_e32 v34, v37, v34
	v_fma_f32 v20, v27, v31, -v67
	s_waitcnt lgkmcnt(0)
	v_mul_f32_e32 v31, v61, v54
	v_mul_f32_e32 v21, v40, v36
	v_dual_add_f32 v15, v15, v32 :: v_dual_fmac_f32 v34, v38, v33
	v_fma_f32 v18, v25, v29, -v66
	v_dual_fmac_f32 v19, v42, v45 :: v_dual_mul_f32 v26, v59, v52
	s_delay_alu instid0(VALU_DEP_4) | instskip(NEXT) | instid1(VALU_DEP_4)
	v_fma_f32 v21, v39, v35, -v21
	v_add_f32_e32 v15, v15, v34
	v_mul_f32_e32 v16, v42, v46
	s_cmp_ge_i32 s17, s19
	v_dual_fmac_f32 v26, v60, v51 :: v_dual_fmac_f32 v23, v58, v49
	s_delay_alu instid0(VALU_DEP_3) | instskip(SKIP_3) | instid1(VALU_DEP_4)
	v_dual_add_f32 v15, v15, v17 :: v_dual_add_f32 v2, v2, v22
	v_mul_f32_e32 v25, v60, v52
	v_fma_f32 v22, v37, v33, -v68
	v_fma_f32 v16, v41, v45, -v16
	v_dual_add_f32 v19, v15, v19 :: v_dual_add_f32 v2, v2, v18
	v_dual_mul_f32 v18, v44, v48 :: v_dual_fmac_f32 v31, v62, v53
	v_mul_f32_e32 v35, v63, v56
	s_delay_alu instid0(VALU_DEP_3) | instskip(NEXT) | instid1(VALU_DEP_2)
	v_add_f32_e32 v2, v2, v20
	v_dual_mul_f32 v20, v43, v48 :: v_dual_fmac_f32 v35, v64, v55
	s_delay_alu instid0(VALU_DEP_1) | instskip(NEXT) | instid1(VALU_DEP_1)
	v_fmac_f32_e32 v20, v44, v47
	v_add_f32_e32 v24, v19, v20
	s_delay_alu instid0(VALU_DEP_1) | instskip(SKIP_2) | instid1(VALU_DEP_3)
	v_dual_add_f32 v23, v24, v23 :: v_dual_add_f32 v2, v2, v22
	v_fma_f32 v24, v59, v51, -v25
	v_mul_f32_e32 v25, v62, v54
	v_add_f32_e32 v32, v23, v26
	s_delay_alu instid0(VALU_DEP_4) | instskip(SKIP_3) | instid1(VALU_DEP_4)
	v_add_f32_e32 v2, v2, v21
	v_mul_f32_e32 v22, v58, v50
	v_fma_f32 v21, v43, v47, -v18
	v_fma_f32 v33, v61, v53, -v25
	v_dual_add_f32 v31, v32, v31 :: v_dual_add_f32 v2, v2, v16
	ds_load_2addr_b64 v[15:18], v10 offset0:192 offset1:208
	v_fma_f32 v22, v57, v49, -v22
	v_dual_add_f32 v31, v31, v35 :: v_dual_add_f32 v2, v2, v21
	s_delay_alu instid0(VALU_DEP_1)
	v_add_f32_e32 v2, v2, v22
	ds_load_b128 v[19:22], v11 offset:96
	v_add_f32_e32 v2, v2, v24
	ds_load_2addr_b64 v[23:26], v10 offset0:224 offset1:240
	ds_load_b128 v[27:30], v11 offset:112
	v_mul_f32_e32 v34, v64, v56
	s_waitcnt lgkmcnt(0)
	s_barrier
	v_add_f32_e32 v2, v2, v33
	buffer_gl0_inv
	v_fma_f32 v32, v63, v55, -v34
	s_delay_alu instid0(VALU_DEP_1) | instskip(SKIP_2) | instid1(VALU_DEP_2)
	v_add_f32_e32 v2, v2, v32
	v_mul_f32_e32 v33, v20, v16
	v_mul_f32_e32 v16, v19, v16
	v_fma_f32 v19, v19, v15, -v33
	s_delay_alu instid0(VALU_DEP_2) | instskip(SKIP_1) | instid1(VALU_DEP_3)
	v_dual_fmac_f32 v16, v20, v15 :: v_dual_mul_f32 v15, v22, v18
	v_mul_f32_e32 v18, v21, v18
	v_add_f32_e32 v2, v2, v19
	s_delay_alu instid0(VALU_DEP_3) | instskip(NEXT) | instid1(VALU_DEP_4)
	v_add_f32_e32 v16, v31, v16
	v_fma_f32 v15, v21, v17, -v15
	s_delay_alu instid0(VALU_DEP_4) | instskip(NEXT) | instid1(VALU_DEP_2)
	v_dual_fmac_f32 v18, v22, v17 :: v_dual_mul_f32 v17, v28, v24
	v_dual_mul_f32 v19, v27, v24 :: v_dual_add_f32 v2, v2, v15
	s_delay_alu instid0(VALU_DEP_2) | instskip(NEXT) | instid1(VALU_DEP_3)
	v_add_f32_e32 v15, v16, v18
	v_fma_f32 v16, v27, v23, -v17
	s_delay_alu instid0(VALU_DEP_3) | instskip(SKIP_2) | instid1(VALU_DEP_3)
	v_fmac_f32_e32 v19, v28, v23
	v_mul_f32_e32 v17, v30, v26
	v_mul_f32_e32 v18, v29, v26
	v_dual_add_f32 v2, v2, v16 :: v_dual_add_f32 v15, v15, v19
	s_delay_alu instid0(VALU_DEP_3) | instskip(NEXT) | instid1(VALU_DEP_3)
	v_fma_f32 v16, v29, v25, -v17
	v_fmac_f32_e32 v18, v30, v25
	s_delay_alu instid0(VALU_DEP_1)
	v_dual_add_f32 v16, v2, v16 :: v_dual_add_f32 v15, v15, v18
	s_cbranch_scc1 .LBB830_11
.LBB830_3:                              ; =>This Inner Loop Header: Depth=1
	v_add_nc_u32_e32 v2, s17, v8
                                        ; implicit-def: $sgpr11
	s_delay_alu instid0(VALU_DEP_1) | instskip(SKIP_1) | instid1(SALU_CYCLE_1)
	v_cmp_le_i32_e32 vcc_lo, s19, v2
	s_or_b32 s10, s2, vcc_lo
	s_and_saveexec_b32 s12, s10
	s_delay_alu instid0(SALU_CYCLE_1)
	s_xor_b32 s10, exec_lo, s12
	s_cbranch_execz .LBB830_5
; %bb.4:                                ;   in Loop: Header=BB830_3 Depth=1
	s_mov_b32 s11, 0
	ds_store_b32 v13, v12
.LBB830_5:                              ;   in Loop: Header=BB830_3 Depth=1
	s_or_saveexec_b32 s10, s10
	v_mov_b32_e32 v2, s11
	s_xor_b32 exec_lo, exec_lo, s10
	s_cbranch_execz .LBB830_7
; %bb.6:                                ;   in Loop: Header=BB830_3 Depth=1
	global_load_b64 v[17:18], v[5:6], off offset:-4
	s_waitcnt vmcnt(0)
	v_xor_b32_e32 v2, 0x80000000, v18
	ds_store_b32 v13, v17
.LBB830_7:                              ;   in Loop: Header=BB830_3 Depth=1
	s_or_b32 exec_lo, exec_lo, s10
	v_add_nc_u32_e32 v17, s17, v9
	ds_store_b32 v13, v2 offset:4
	v_cmp_le_i32_e32 vcc_lo, s19, v17
	s_or_b32 s10, s3, vcc_lo
	s_delay_alu instid0(SALU_CYCLE_1) | instskip(NEXT) | instid1(SALU_CYCLE_1)
	s_and_saveexec_b32 s11, s10
	s_xor_b32 s10, exec_lo, s11
	s_cbranch_execz .LBB830_9
; %bb.8:                                ;   in Loop: Header=BB830_3 Depth=1
	v_mov_b32_e32 v2, v1
	ds_store_b64 v14, v[1:2]
.LBB830_9:                              ;   in Loop: Header=BB830_3 Depth=1
	s_and_not1_saveexec_b32 s10, s10
	s_cbranch_execz .LBB830_2
; %bb.10:                               ;   in Loop: Header=BB830_3 Depth=1
	global_load_b64 v[17:18], v[3:4], off
	s_waitcnt vmcnt(0)
	ds_store_b64 v14, v[17:18]
	s_branch .LBB830_2
.LBB830_11:
	v_cmp_le_i32_e32 vcc_lo, v0, v7
	v_cmp_gt_i32_e64 s2, s18, v7
	s_delay_alu instid0(VALU_DEP_1) | instskip(NEXT) | instid1(SALU_CYCLE_1)
	s_and_b32 s2, vcc_lo, s2
	s_and_saveexec_b32 s3, s2
	s_cbranch_execz .LBB830_14
; %bb.12:
	s_load_b32 s0, s[0:1], 0x50
	v_ashrrev_i32_e32 v1, 31, v0
	s_delay_alu instid0(VALU_DEP_1) | instskip(SKIP_2) | instid1(VALU_DEP_1)
	v_lshlrev_b64 v[4:5], 3, v[0:1]
	s_waitcnt lgkmcnt(0)
	v_mad_i64_i32 v[2:3], null, s0, v7, 0
	v_lshlrev_b64 v[2:3], 3, v[2:3]
	s_delay_alu instid0(VALU_DEP_1) | instskip(NEXT) | instid1(VALU_DEP_2)
	v_add_co_u32 v1, vcc_lo, s6, v2
	v_add_co_ci_u32_e32 v2, vcc_lo, s7, v3, vcc_lo
	s_delay_alu instid0(VALU_DEP_2) | instskip(NEXT) | instid1(VALU_DEP_2)
	v_add_co_u32 v1, vcc_lo, v1, v4
	v_add_co_ci_u32_e32 v2, vcc_lo, v2, v5, vcc_lo
	v_cmp_eq_u32_e32 vcc_lo, v0, v7
	global_load_b64 v[3:4], v[1:2], off
	s_waitcnt vmcnt(0)
	v_dual_mul_f32 v5, s9, v15 :: v_dual_mul_f32 v8, s5, v4
	v_mul_f32_e32 v4, s4, v4
	s_delay_alu instid0(VALU_DEP_2) | instskip(NEXT) | instid1(VALU_DEP_3)
	v_fma_f32 v5, v16, s8, -v5
	v_fma_f32 v8, v3, s4, -v8
	v_mul_f32_e32 v6, s8, v15
	s_delay_alu instid0(VALU_DEP_2) | instskip(NEXT) | instid1(VALU_DEP_2)
	v_dual_fmac_f32 v4, s5, v3 :: v_dual_add_f32 v3, v5, v8
	v_fmac_f32_e32 v6, s9, v16
	s_delay_alu instid0(VALU_DEP_1)
	v_add_f32_e32 v4, v6, v4
	global_store_b64 v[1:2], v[3:4], off
	s_and_b32 exec_lo, exec_lo, vcc_lo
	s_cbranch_execz .LBB830_14
; %bb.13:
	v_mov_b32_e32 v0, 0
	global_store_b32 v[1:2], v0, off offset:4
.LBB830_14:
	s_nop 0
	s_sendmsg sendmsg(MSG_DEALLOC_VGPRS)
	s_endpgm
	.section	.rodata,"a",@progbits
	.p2align	6, 0x0
	.amdhsa_kernel _ZL32rocblas_syrkx_herkx_small_kernelIi19rocblas_complex_numIfELi16ELb0ELb1ELc67ELc85EKPKS1_KPS1_EviT_T0_PT6_S7_lSA_S7_lS8_PT7_S7_li
		.amdhsa_group_segment_fixed_size 4096
		.amdhsa_private_segment_fixed_size 0
		.amdhsa_kernarg_size 100
		.amdhsa_user_sgpr_count 13
		.amdhsa_user_sgpr_dispatch_ptr 0
		.amdhsa_user_sgpr_queue_ptr 0
		.amdhsa_user_sgpr_kernarg_segment_ptr 1
		.amdhsa_user_sgpr_dispatch_id 0
		.amdhsa_user_sgpr_private_segment_size 0
		.amdhsa_wavefront_size32 1
		.amdhsa_uses_dynamic_stack 0
		.amdhsa_enable_private_segment 0
		.amdhsa_system_sgpr_workgroup_id_x 1
		.amdhsa_system_sgpr_workgroup_id_y 1
		.amdhsa_system_sgpr_workgroup_id_z 1
		.amdhsa_system_sgpr_workgroup_info 0
		.amdhsa_system_vgpr_workitem_id 1
		.amdhsa_next_free_vgpr 69
		.amdhsa_next_free_sgpr 22
		.amdhsa_reserve_vcc 1
		.amdhsa_float_round_mode_32 0
		.amdhsa_float_round_mode_16_64 0
		.amdhsa_float_denorm_mode_32 3
		.amdhsa_float_denorm_mode_16_64 3
		.amdhsa_dx10_clamp 1
		.amdhsa_ieee_mode 1
		.amdhsa_fp16_overflow 0
		.amdhsa_workgroup_processor_mode 1
		.amdhsa_memory_ordered 1
		.amdhsa_forward_progress 0
		.amdhsa_shared_vgpr_count 0
		.amdhsa_exception_fp_ieee_invalid_op 0
		.amdhsa_exception_fp_denorm_src 0
		.amdhsa_exception_fp_ieee_div_zero 0
		.amdhsa_exception_fp_ieee_overflow 0
		.amdhsa_exception_fp_ieee_underflow 0
		.amdhsa_exception_fp_ieee_inexact 0
		.amdhsa_exception_int_div_zero 0
	.end_amdhsa_kernel
	.section	.text._ZL32rocblas_syrkx_herkx_small_kernelIi19rocblas_complex_numIfELi16ELb0ELb1ELc67ELc85EKPKS1_KPS1_EviT_T0_PT6_S7_lSA_S7_lS8_PT7_S7_li,"axG",@progbits,_ZL32rocblas_syrkx_herkx_small_kernelIi19rocblas_complex_numIfELi16ELb0ELb1ELc67ELc85EKPKS1_KPS1_EviT_T0_PT6_S7_lSA_S7_lS8_PT7_S7_li,comdat
.Lfunc_end830:
	.size	_ZL32rocblas_syrkx_herkx_small_kernelIi19rocblas_complex_numIfELi16ELb0ELb1ELc67ELc85EKPKS1_KPS1_EviT_T0_PT6_S7_lSA_S7_lS8_PT7_S7_li, .Lfunc_end830-_ZL32rocblas_syrkx_herkx_small_kernelIi19rocblas_complex_numIfELi16ELb0ELb1ELc67ELc85EKPKS1_KPS1_EviT_T0_PT6_S7_lSA_S7_lS8_PT7_S7_li
                                        ; -- End function
	.section	.AMDGPU.csdata,"",@progbits
; Kernel info:
; codeLenInByte = 1520
; NumSgprs: 24
; NumVgprs: 69
; ScratchSize: 0
; MemoryBound: 1
; FloatMode: 240
; IeeeMode: 1
; LDSByteSize: 4096 bytes/workgroup (compile time only)
; SGPRBlocks: 2
; VGPRBlocks: 8
; NumSGPRsForWavesPerEU: 24
; NumVGPRsForWavesPerEU: 69
; Occupancy: 16
; WaveLimiterHint : 1
; COMPUTE_PGM_RSRC2:SCRATCH_EN: 0
; COMPUTE_PGM_RSRC2:USER_SGPR: 13
; COMPUTE_PGM_RSRC2:TRAP_HANDLER: 0
; COMPUTE_PGM_RSRC2:TGID_X_EN: 1
; COMPUTE_PGM_RSRC2:TGID_Y_EN: 1
; COMPUTE_PGM_RSRC2:TGID_Z_EN: 1
; COMPUTE_PGM_RSRC2:TIDIG_COMP_CNT: 1
	.section	.text._ZL32rocblas_syrkx_herkx_small_kernelIi19rocblas_complex_numIfELi16ELb0ELb1ELc78ELc85EKPKS1_KPS1_EviT_T0_PT6_S7_lSA_S7_lS8_PT7_S7_li,"axG",@progbits,_ZL32rocblas_syrkx_herkx_small_kernelIi19rocblas_complex_numIfELi16ELb0ELb1ELc78ELc85EKPKS1_KPS1_EviT_T0_PT6_S7_lSA_S7_lS8_PT7_S7_li,comdat
	.globl	_ZL32rocblas_syrkx_herkx_small_kernelIi19rocblas_complex_numIfELi16ELb0ELb1ELc78ELc85EKPKS1_KPS1_EviT_T0_PT6_S7_lSA_S7_lS8_PT7_S7_li ; -- Begin function _ZL32rocblas_syrkx_herkx_small_kernelIi19rocblas_complex_numIfELi16ELb0ELb1ELc78ELc85EKPKS1_KPS1_EviT_T0_PT6_S7_lSA_S7_lS8_PT7_S7_li
	.p2align	8
	.type	_ZL32rocblas_syrkx_herkx_small_kernelIi19rocblas_complex_numIfELi16ELb0ELb1ELc78ELc85EKPKS1_KPS1_EviT_T0_PT6_S7_lSA_S7_lS8_PT7_S7_li,@function
_ZL32rocblas_syrkx_herkx_small_kernelIi19rocblas_complex_numIfELi16ELb0ELb1ELc78ELc85EKPKS1_KPS1_EviT_T0_PT6_S7_lSA_S7_lS8_PT7_S7_li: ; @_ZL32rocblas_syrkx_herkx_small_kernelIi19rocblas_complex_numIfELi16ELb0ELb1ELc78ELc85EKPKS1_KPS1_EviT_T0_PT6_S7_lSA_S7_lS8_PT7_S7_li
; %bb.0:
	s_clause 0x1
	s_load_b128 s[4:7], s[0:1], 0x40
	s_load_b64 s[18:19], s[0:1], 0x0
	s_mov_b32 s16, s15
	s_mov_b32 s17, 0
	v_dual_mov_b32 v17, 0 :: v_dual_and_b32 v10, 0x3ff, v0
	s_lshl_b64 s[20:21], s[16:17], 3
	v_bfe_u32 v11, v0, 10, 10
	v_mov_b32_e32 v16, 0
	s_delay_alu instid0(VALU_DEP_3) | instskip(NEXT) | instid1(VALU_DEP_3)
	v_lshl_add_u32 v0, s13, 4, v10
	v_lshl_add_u32 v2, s14, 4, v11
	s_delay_alu instid0(VALU_DEP_2)
	v_ashrrev_i32_e32 v1, 31, v0
	s_waitcnt lgkmcnt(0)
	s_add_u32 s2, s6, s20
	s_addc_u32 s3, s7, s21
	s_load_b128 s[8:11], s[0:1], 0x8
	s_load_b64 s[6:7], s[2:3], 0x0
	v_cmp_gt_i32_e32 vcc_lo, s18, v2
	s_cmp_lt_i32 s19, 1
	s_cbranch_scc1 .LBB831_11
; %bb.1:
	s_clause 0x2
	s_load_b32 s12, s[0:1], 0x18
	s_load_b32 s14, s[0:1], 0x30
	s_load_b64 s[22:23], s[0:1], 0x28
	v_ashrrev_i32_e32 v3, 31, v2
	v_lshlrev_b64 v[5:6], 3, v[0:1]
	v_dual_mov_b32 v4, 0 :: v_dual_lshlrev_b32 v9, 7, v11
	v_dual_mov_b32 v13, 0 :: v_dual_lshlrev_b32 v12, 3, v10
	s_delay_alu instid0(VALU_DEP_4) | instskip(SKIP_1) | instid1(VALU_DEP_4)
	v_lshlrev_b64 v[19:20], 3, v[2:3]
	v_mov_b32_e32 v16, 0
	v_add_nc_u32_e32 v14, 0x800, v9
	s_delay_alu instid0(VALU_DEP_4)
	v_add_nc_u32_e32 v3, v12, v9
	v_cmp_gt_i32_e64 s2, s18, v0
	s_waitcnt lgkmcnt(0)
	s_ashr_i32 s13, s12, 31
	s_ashr_i32 s15, s14, 31
	s_add_u32 s22, s22, s20
	s_addc_u32 s23, s23, s21
	v_mad_i64_i32 v[7:8], null, s14, v10, 0
	s_load_b64 s[22:23], s[22:23], 0x0
	s_add_u32 s10, s10, s20
	s_addc_u32 s11, s11, s21
	v_mad_i64_i32 v[17:18], null, s12, v11, 0
	s_load_b64 s[20:21], s[10:11], 0x0
	s_delay_alu instid0(VALU_DEP_2) | instskip(SKIP_3) | instid1(VALU_DEP_2)
	v_lshlrev_b64 v[7:8], 3, v[7:8]
	s_lshl_b64 s[10:11], s[14:15], 7
	s_lshl_b64 s[12:13], s[12:13], 7
	s_xor_b32 s2, s2, -1
	v_lshlrev_b64 v[17:18], 3, v[17:18]
	s_delay_alu instid0(VALU_DEP_2) | instskip(NEXT) | instid1(VALU_DEP_1)
	v_add_co_u32 v7, s3, v7, v19
	v_add_co_ci_u32_e64 v8, s3, v8, v20, s3
	s_delay_alu instid0(VALU_DEP_3) | instskip(NEXT) | instid1(VALU_DEP_1)
	v_add_co_u32 v5, s3, v17, v5
	v_add_co_ci_u32_e64 v9, s3, v18, v6, s3
	s_waitcnt lgkmcnt(0)
	v_add_co_u32 v17, s3, v7, s22
	s_delay_alu instid0(VALU_DEP_1) | instskip(SKIP_1) | instid1(VALU_DEP_1)
	v_add_co_ci_u32_e64 v18, s3, s23, v8, s3
	v_add_co_u32 v6, s3, s20, v5
	v_add_co_ci_u32_e64 v7, s3, s21, v9, s3
	s_delay_alu instid0(VALU_DEP_4)
	v_add_co_u32 v8, s3, v17, 4
	v_mov_b32_e32 v17, 0
	v_add_nc_u32_e32 v15, v14, v12
	v_add_co_ci_u32_e64 v9, s3, 0, v18, s3
	s_xor_b32 s3, vcc_lo, -1
	s_branch .LBB831_3
.LBB831_2:                              ;   in Loop: Header=BB831_3 Depth=1
	s_or_b32 exec_lo, exec_lo, s14
	ds_store_b32 v15, v5 offset:4
	s_waitcnt lgkmcnt(0)
	s_barrier
	buffer_gl0_inv
	ds_load_2addr_b64 v[18:21], v12 offset1:16
	ds_load_b128 v[22:25], v14
	ds_load_b128 v[26:29], v14 offset:16
	ds_load_2addr_b64 v[30:33], v12 offset0:32 offset1:48
	ds_load_2addr_b64 v[34:37], v12 offset0:64 offset1:80
	ds_load_b128 v[38:41], v14 offset:32
	ds_load_b128 v[42:45], v14 offset:48
	ds_load_2addr_b64 v[46:49], v12 offset0:96 offset1:112
	ds_load_2addr_b64 v[50:53], v12 offset0:128 offset1:144
	;; [unrolled: 1-line block ×3, first 2 shown]
	ds_load_b128 v[58:61], v14 offset:64
	ds_load_b128 v[62:65], v14 offset:80
	v_add_co_u32 v8, vcc_lo, v8, s10
	v_add_co_ci_u32_e32 v9, vcc_lo, s11, v9, vcc_lo
	v_add_co_u32 v6, vcc_lo, v6, s12
	v_add_co_ci_u32_e32 v7, vcc_lo, s13, v7, vcc_lo
	s_add_i32 s17, s17, 16
	s_waitcnt lgkmcnt(10)
	v_dual_mul_f32 v5, v23, v19 :: v_dual_mul_f32 v66, v25, v21
	s_waitcnt lgkmcnt(8)
	v_dual_mul_f32 v19, v22, v19 :: v_dual_mul_f32 v68, v29, v33
	v_mul_f32_e32 v21, v24, v21
	s_delay_alu instid0(VALU_DEP_3) | instskip(SKIP_1) | instid1(VALU_DEP_3)
	v_fma_f32 v5, v22, v18, -v5
	s_waitcnt lgkmcnt(6)
	v_dual_mul_f32 v22, v38, v35 :: v_dual_fmac_f32 v19, v23, v18
	v_fma_f32 v18, v24, v20, -v66
	v_fmac_f32_e32 v21, v25, v20
	v_add_f32_e32 v5, v17, v5
	v_fma_f32 v20, v28, v32, -v68
	v_add_f32_e32 v16, v16, v19
	v_mul_f32_e32 v67, v27, v31
	v_mul_f32_e32 v31, v26, v31
	v_add_f32_e32 v5, v5, v18
	s_waitcnt lgkmcnt(4)
	v_dual_mul_f32 v33, v28, v33 :: v_dual_mul_f32 v18, v43, v47
	v_add_f32_e32 v16, v16, v21
	v_fma_f32 v19, v26, v30, -v67
	v_mul_f32_e32 v17, v40, v37
	s_waitcnt lgkmcnt(1)
	v_dual_fmac_f32 v33, v29, v32 :: v_dual_mul_f32 v24, v58, v51
	v_fma_f32 v18, v42, v46, -v18
	v_add_f32_e32 v5, v5, v19
	v_dual_mul_f32 v25, v61, v53 :: v_dual_fmac_f32 v22, v39, v34
	s_delay_alu instid0(VALU_DEP_4) | instskip(SKIP_1) | instid1(VALU_DEP_3)
	v_fmac_f32_e32 v24, v59, v50
	s_cmp_ge_i32 s17, s19
	v_add_f32_e32 v5, v5, v20
	v_dual_mul_f32 v20, v45, v49 :: v_dual_fmac_f32 v31, v27, v30
	v_fma_f32 v25, v60, v52, -v25
	s_waitcnt lgkmcnt(0)
	v_mul_f32_e32 v32, v62, v55
	s_delay_alu instid0(VALU_DEP_3) | instskip(SKIP_1) | instid1(VALU_DEP_3)
	v_add_f32_e32 v16, v16, v31
	v_mul_f32_e32 v69, v39, v35
	v_dual_mul_f32 v35, v41, v37 :: v_dual_fmac_f32 v32, v63, v54
	s_delay_alu instid0(VALU_DEP_3) | instskip(NEXT) | instid1(VALU_DEP_3)
	v_add_f32_e32 v16, v16, v33
	v_fma_f32 v21, v38, v34, -v69
	s_delay_alu instid0(VALU_DEP_3) | instskip(NEXT) | instid1(VALU_DEP_3)
	v_fma_f32 v23, v40, v36, -v35
	v_dual_mul_f32 v35, v65, v57 :: v_dual_add_f32 v16, v16, v22
	s_delay_alu instid0(VALU_DEP_3) | instskip(SKIP_3) | instid1(VALU_DEP_3)
	v_add_f32_e32 v5, v5, v21
	v_dual_mul_f32 v21, v44, v49 :: v_dual_mul_f32 v22, v59, v51
	v_dual_fmac_f32 v17, v41, v36 :: v_dual_mul_f32 v36, v64, v57
	v_mul_f32_e32 v27, v60, v53
	v_fmac_f32_e32 v21, v45, v48
	s_delay_alu instid0(VALU_DEP_3) | instskip(SKIP_3) | instid1(VALU_DEP_4)
	v_dual_mul_f32 v19, v42, v47 :: v_dual_add_f32 v16, v16, v17
	v_fma_f32 v17, v44, v48, -v20
	v_fmac_f32_e32 v36, v65, v56
	v_fmac_f32_e32 v27, v61, v52
	;; [unrolled: 1-line block ×3, first 2 shown]
	s_delay_alu instid0(VALU_DEP_1) | instskip(NEXT) | instid1(VALU_DEP_1)
	v_add_f32_e32 v16, v16, v19
	v_add_f32_e32 v26, v16, v21
	s_delay_alu instid0(VALU_DEP_1) | instskip(SKIP_1) | instid1(VALU_DEP_2)
	v_dual_add_f32 v24, v26, v24 :: v_dual_add_f32 v5, v5, v23
	v_mul_f32_e32 v26, v63, v55
	v_add_f32_e32 v33, v24, v27
	s_delay_alu instid0(VALU_DEP_2) | instskip(NEXT) | instid1(VALU_DEP_2)
	v_fma_f32 v34, v62, v54, -v26
	v_add_f32_e32 v32, v33, v32
	v_add_f32_e32 v5, v5, v18
	v_fma_f32 v18, v58, v50, -v22
	v_fma_f32 v33, v64, v56, -v35
	s_delay_alu instid0(VALU_DEP_3) | instskip(NEXT) | instid1(VALU_DEP_1)
	v_dual_add_f32 v32, v32, v36 :: v_dual_add_f32 v5, v5, v17
	v_add_f32_e32 v5, v5, v18
	ds_load_2addr_b64 v[16:19], v12 offset0:192 offset1:208
	ds_load_b128 v[20:23], v14 offset:96
	v_add_f32_e32 v5, v5, v25
	ds_load_2addr_b64 v[24:27], v12 offset0:224 offset1:240
	ds_load_b128 v[28:31], v14 offset:112
	s_waitcnt lgkmcnt(0)
	s_barrier
	buffer_gl0_inv
	v_add_f32_e32 v5, v5, v34
	s_delay_alu instid0(VALU_DEP_1) | instskip(SKIP_2) | instid1(VALU_DEP_2)
	v_add_f32_e32 v5, v5, v33
	v_mul_f32_e32 v34, v21, v17
	v_mul_f32_e32 v17, v20, v17
	v_fma_f32 v20, v20, v16, -v34
	s_delay_alu instid0(VALU_DEP_1) | instskip(NEXT) | instid1(VALU_DEP_1)
	v_dual_add_f32 v5, v5, v20 :: v_dual_mul_f32 v20, v28, v25
	v_fmac_f32_e32 v20, v29, v24
	s_delay_alu instid0(VALU_DEP_4) | instskip(SKIP_1) | instid1(VALU_DEP_2)
	v_dual_fmac_f32 v17, v21, v16 :: v_dual_mul_f32 v16, v23, v19
	v_mul_f32_e32 v19, v22, v19
	v_add_f32_e32 v17, v32, v17
	s_delay_alu instid0(VALU_DEP_3) | instskip(NEXT) | instid1(VALU_DEP_3)
	v_fma_f32 v16, v22, v18, -v16
	v_dual_fmac_f32 v19, v23, v18 :: v_dual_mul_f32 v18, v29, v25
	s_delay_alu instid0(VALU_DEP_2) | instskip(NEXT) | instid1(VALU_DEP_2)
	v_add_f32_e32 v5, v5, v16
	v_add_f32_e32 v16, v17, v19
	s_delay_alu instid0(VALU_DEP_3) | instskip(SKIP_2) | instid1(VALU_DEP_3)
	v_fma_f32 v17, v28, v24, -v18
	v_mul_f32_e32 v18, v31, v27
	v_mul_f32_e32 v19, v30, v27
	v_add_f32_e32 v5, v5, v17
	s_delay_alu instid0(VALU_DEP_3) | instskip(NEXT) | instid1(VALU_DEP_3)
	v_fma_f32 v17, v30, v26, -v18
	v_dual_fmac_f32 v19, v31, v26 :: v_dual_add_f32 v16, v16, v20
	s_delay_alu instid0(VALU_DEP_1)
	v_dual_add_f32 v17, v5, v17 :: v_dual_add_f32 v16, v16, v19
	s_cbranch_scc1 .LBB831_11
.LBB831_3:                              ; =>This Inner Loop Header: Depth=1
	v_add_nc_u32_e32 v5, s17, v11
	s_delay_alu instid0(VALU_DEP_1) | instskip(SKIP_1) | instid1(SALU_CYCLE_1)
	v_cmp_le_i32_e32 vcc_lo, s19, v5
	s_or_b32 s14, s2, vcc_lo
	s_and_saveexec_b32 s15, s14
	s_delay_alu instid0(SALU_CYCLE_1)
	s_xor_b32 s14, exec_lo, s15
	s_cbranch_execz .LBB831_5
; %bb.4:                                ;   in Loop: Header=BB831_3 Depth=1
	v_mov_b32_e32 v5, v4
	ds_store_b64 v3, v[4:5]
.LBB831_5:                              ;   in Loop: Header=BB831_3 Depth=1
	s_and_not1_saveexec_b32 s14, s14
	s_cbranch_execz .LBB831_7
; %bb.6:                                ;   in Loop: Header=BB831_3 Depth=1
	global_load_b64 v[18:19], v[6:7], off
	s_waitcnt vmcnt(0)
	ds_store_b64 v3, v[18:19]
.LBB831_7:                              ;   in Loop: Header=BB831_3 Depth=1
	s_or_b32 exec_lo, exec_lo, s14
	v_add_nc_u32_e32 v5, s17, v10
                                        ; implicit-def: $sgpr15
	s_delay_alu instid0(VALU_DEP_1) | instskip(SKIP_1) | instid1(SALU_CYCLE_1)
	v_cmp_le_i32_e32 vcc_lo, s19, v5
	s_or_b32 s14, s3, vcc_lo
	s_and_saveexec_b32 s16, s14
	s_delay_alu instid0(SALU_CYCLE_1)
	s_xor_b32 s14, exec_lo, s16
	s_cbranch_execz .LBB831_9
; %bb.8:                                ;   in Loop: Header=BB831_3 Depth=1
	s_mov_b32 s15, 0
	ds_store_b32 v15, v13
.LBB831_9:                              ;   in Loop: Header=BB831_3 Depth=1
	s_or_saveexec_b32 s14, s14
	v_mov_b32_e32 v5, s15
	s_xor_b32 exec_lo, exec_lo, s14
	s_cbranch_execz .LBB831_2
; %bb.10:                               ;   in Loop: Header=BB831_3 Depth=1
	global_load_b64 v[18:19], v[8:9], off offset:-4
	s_waitcnt vmcnt(0)
	v_xor_b32_e32 v5, 0x80000000, v19
	ds_store_b32 v15, v18
	s_branch .LBB831_2
.LBB831_11:
	v_cmp_le_i32_e32 vcc_lo, v0, v2
	v_cmp_gt_i32_e64 s2, s18, v2
	s_delay_alu instid0(VALU_DEP_1) | instskip(NEXT) | instid1(SALU_CYCLE_1)
	s_and_b32 s2, vcc_lo, s2
	s_and_saveexec_b32 s3, s2
	s_cbranch_execz .LBB831_14
; %bb.12:
	s_load_b32 s0, s[0:1], 0x50
	v_lshlrev_b64 v[5:6], 3, v[0:1]
	s_waitcnt lgkmcnt(0)
	v_mad_i64_i32 v[3:4], null, s0, v2, 0
	s_delay_alu instid0(VALU_DEP_1) | instskip(NEXT) | instid1(VALU_DEP_1)
	v_lshlrev_b64 v[3:4], 3, v[3:4]
	v_add_co_u32 v1, vcc_lo, s6, v3
	s_delay_alu instid0(VALU_DEP_2) | instskip(NEXT) | instid1(VALU_DEP_2)
	v_add_co_ci_u32_e32 v4, vcc_lo, s7, v4, vcc_lo
	v_add_co_u32 v3, vcc_lo, v1, v5
	s_delay_alu instid0(VALU_DEP_2)
	v_add_co_ci_u32_e32 v4, vcc_lo, v4, v6, vcc_lo
	v_cmp_eq_u32_e32 vcc_lo, v0, v2
	global_load_b64 v[5:6], v[3:4], off
	v_mul_f32_e32 v1, s9, v16
	s_waitcnt vmcnt(0)
	v_dual_mul_f32 v7, s8, v16 :: v_dual_mul_f32 v8, s5, v6
	v_mul_f32_e32 v6, s4, v6
	s_delay_alu instid0(VALU_DEP_3) | instskip(NEXT) | instid1(VALU_DEP_3)
	v_fma_f32 v1, v17, s8, -v1
	v_fmac_f32_e32 v7, s9, v17
	s_delay_alu instid0(VALU_DEP_4) | instskip(NEXT) | instid1(VALU_DEP_1)
	v_fma_f32 v8, v5, s4, -v8
	v_dual_fmac_f32 v6, s5, v5 :: v_dual_add_f32 v5, v1, v8
	s_delay_alu instid0(VALU_DEP_1)
	v_add_f32_e32 v6, v7, v6
	global_store_b64 v[3:4], v[5:6], off
	s_and_b32 exec_lo, exec_lo, vcc_lo
	s_cbranch_execz .LBB831_14
; %bb.13:
	v_mov_b32_e32 v0, 0
	global_store_b32 v[3:4], v0, off offset:4
.LBB831_14:
	s_nop 0
	s_sendmsg sendmsg(MSG_DEALLOC_VGPRS)
	s_endpgm
	.section	.rodata,"a",@progbits
	.p2align	6, 0x0
	.amdhsa_kernel _ZL32rocblas_syrkx_herkx_small_kernelIi19rocblas_complex_numIfELi16ELb0ELb1ELc78ELc85EKPKS1_KPS1_EviT_T0_PT6_S7_lSA_S7_lS8_PT7_S7_li
		.amdhsa_group_segment_fixed_size 4096
		.amdhsa_private_segment_fixed_size 0
		.amdhsa_kernarg_size 100
		.amdhsa_user_sgpr_count 13
		.amdhsa_user_sgpr_dispatch_ptr 0
		.amdhsa_user_sgpr_queue_ptr 0
		.amdhsa_user_sgpr_kernarg_segment_ptr 1
		.amdhsa_user_sgpr_dispatch_id 0
		.amdhsa_user_sgpr_private_segment_size 0
		.amdhsa_wavefront_size32 1
		.amdhsa_uses_dynamic_stack 0
		.amdhsa_enable_private_segment 0
		.amdhsa_system_sgpr_workgroup_id_x 1
		.amdhsa_system_sgpr_workgroup_id_y 1
		.amdhsa_system_sgpr_workgroup_id_z 1
		.amdhsa_system_sgpr_workgroup_info 0
		.amdhsa_system_vgpr_workitem_id 1
		.amdhsa_next_free_vgpr 70
		.amdhsa_next_free_sgpr 24
		.amdhsa_reserve_vcc 1
		.amdhsa_float_round_mode_32 0
		.amdhsa_float_round_mode_16_64 0
		.amdhsa_float_denorm_mode_32 3
		.amdhsa_float_denorm_mode_16_64 3
		.amdhsa_dx10_clamp 1
		.amdhsa_ieee_mode 1
		.amdhsa_fp16_overflow 0
		.amdhsa_workgroup_processor_mode 1
		.amdhsa_memory_ordered 1
		.amdhsa_forward_progress 0
		.amdhsa_shared_vgpr_count 0
		.amdhsa_exception_fp_ieee_invalid_op 0
		.amdhsa_exception_fp_denorm_src 0
		.amdhsa_exception_fp_ieee_div_zero 0
		.amdhsa_exception_fp_ieee_overflow 0
		.amdhsa_exception_fp_ieee_underflow 0
		.amdhsa_exception_fp_ieee_inexact 0
		.amdhsa_exception_int_div_zero 0
	.end_amdhsa_kernel
	.section	.text._ZL32rocblas_syrkx_herkx_small_kernelIi19rocblas_complex_numIfELi16ELb0ELb1ELc78ELc85EKPKS1_KPS1_EviT_T0_PT6_S7_lSA_S7_lS8_PT7_S7_li,"axG",@progbits,_ZL32rocblas_syrkx_herkx_small_kernelIi19rocblas_complex_numIfELi16ELb0ELb1ELc78ELc85EKPKS1_KPS1_EviT_T0_PT6_S7_lSA_S7_lS8_PT7_S7_li,comdat
.Lfunc_end831:
	.size	_ZL32rocblas_syrkx_herkx_small_kernelIi19rocblas_complex_numIfELi16ELb0ELb1ELc78ELc85EKPKS1_KPS1_EviT_T0_PT6_S7_lSA_S7_lS8_PT7_S7_li, .Lfunc_end831-_ZL32rocblas_syrkx_herkx_small_kernelIi19rocblas_complex_numIfELi16ELb0ELb1ELc78ELc85EKPKS1_KPS1_EviT_T0_PT6_S7_lSA_S7_lS8_PT7_S7_li
                                        ; -- End function
	.section	.AMDGPU.csdata,"",@progbits
; Kernel info:
; codeLenInByte = 1568
; NumSgprs: 26
; NumVgprs: 70
; ScratchSize: 0
; MemoryBound: 1
; FloatMode: 240
; IeeeMode: 1
; LDSByteSize: 4096 bytes/workgroup (compile time only)
; SGPRBlocks: 3
; VGPRBlocks: 8
; NumSGPRsForWavesPerEU: 26
; NumVGPRsForWavesPerEU: 70
; Occupancy: 16
; WaveLimiterHint : 1
; COMPUTE_PGM_RSRC2:SCRATCH_EN: 0
; COMPUTE_PGM_RSRC2:USER_SGPR: 13
; COMPUTE_PGM_RSRC2:TRAP_HANDLER: 0
; COMPUTE_PGM_RSRC2:TGID_X_EN: 1
; COMPUTE_PGM_RSRC2:TGID_Y_EN: 1
; COMPUTE_PGM_RSRC2:TGID_Z_EN: 1
; COMPUTE_PGM_RSRC2:TIDIG_COMP_CNT: 1
	.section	.text._ZL34rocblas_syrkx_herkx_general_kernelIi19rocblas_complex_numIfELi16ELi32ELi8ELb1ELb1ELc84ELc76EKPKS1_KPS1_EviT_T0_PT8_S7_lSA_S7_lS8_PT9_S7_li,"axG",@progbits,_ZL34rocblas_syrkx_herkx_general_kernelIi19rocblas_complex_numIfELi16ELi32ELi8ELb1ELb1ELc84ELc76EKPKS1_KPS1_EviT_T0_PT8_S7_lSA_S7_lS8_PT9_S7_li,comdat
	.globl	_ZL34rocblas_syrkx_herkx_general_kernelIi19rocblas_complex_numIfELi16ELi32ELi8ELb1ELb1ELc84ELc76EKPKS1_KPS1_EviT_T0_PT8_S7_lSA_S7_lS8_PT9_S7_li ; -- Begin function _ZL34rocblas_syrkx_herkx_general_kernelIi19rocblas_complex_numIfELi16ELi32ELi8ELb1ELb1ELc84ELc76EKPKS1_KPS1_EviT_T0_PT8_S7_lSA_S7_lS8_PT9_S7_li
	.p2align	8
	.type	_ZL34rocblas_syrkx_herkx_general_kernelIi19rocblas_complex_numIfELi16ELi32ELi8ELb1ELb1ELc84ELc76EKPKS1_KPS1_EviT_T0_PT8_S7_lSA_S7_lS8_PT9_S7_li,@function
_ZL34rocblas_syrkx_herkx_general_kernelIi19rocblas_complex_numIfELi16ELi32ELi8ELb1ELb1ELc84ELc76EKPKS1_KPS1_EviT_T0_PT8_S7_lSA_S7_lS8_PT9_S7_li: ; @_ZL34rocblas_syrkx_herkx_general_kernelIi19rocblas_complex_numIfELi16ELi32ELi8ELb1ELb1ELc84ELc76EKPKS1_KPS1_EviT_T0_PT8_S7_lSA_S7_lS8_PT9_S7_li
; %bb.0:
	s_clause 0x1
	s_load_b64 s[4:5], s[0:1], 0x48
	s_load_b64 s[10:11], s[0:1], 0x0
	s_mov_b32 s16, s15
	s_mov_b32 s17, 0
	v_dual_mov_b32 v21, 0 :: v_dual_and_b32 v6, 0x3ff, v0
	s_lshl_b64 s[2:3], s[16:17], 3
	v_bfe_u32 v7, v0, 10, 10
	v_dual_mov_b32 v20, 0 :: v_dual_mov_b32 v19, 0
	v_dual_mov_b32 v18, 0 :: v_dual_mov_b32 v17, 0
	;; [unrolled: 1-line block ×3, first 2 shown]
	v_mov_b32_e32 v14, 0
	s_waitcnt lgkmcnt(0)
	s_add_u32 s8, s4, s2
	s_addc_u32 s9, s5, s3
	s_load_b128 s[4:7], s[0:1], 0x8
	s_load_b64 s[8:9], s[8:9], 0x0
	s_lshl_b32 s12, s13, 5
	s_lshl_b32 s13, s14, 5
	s_cmp_lt_i32 s11, 1
	s_cbranch_scc1 .LBB832_11
; %bb.1:
	s_clause 0x1
	s_load_b64 s[14:15], s[0:1], 0x28
	s_load_b32 s16, s[0:1], 0x18
	v_lshl_add_u32 v0, v7, 4, v6
	s_load_b32 s18, s[0:1], 0x30
	v_and_b32_e32 v8, 7, v6
	v_lshlrev_b32_e32 v9, 3, v6
	v_lshl_add_u32 v10, v7, 6, 0x800
	v_and_b32_e32 v1, 31, v0
	v_lshrrev_b32_e32 v2, 3, v0
	v_lshrrev_b32_e32 v11, 5, v0
	v_dual_mov_b32 v19, 0 :: v_dual_mov_b32 v18, 0
	s_delay_alu instid0(VALU_DEP_4) | instskip(SKIP_4) | instid1(VALU_DEP_4)
	v_add_nc_u32_e32 v3, s12, v1
	v_or_b32_e32 v12, s12, v1
	v_dual_mov_b32 v20, 0 :: v_dual_lshlrev_b32 v13, 3, v1
	v_lshlrev_b32_e32 v15, 3, v11
	v_dual_mov_b32 v16, 0 :: v_dual_add_nc_u32 v5, s13, v2
	v_cmp_gt_i32_e32 vcc_lo, s10, v12
	s_waitcnt lgkmcnt(0)
	s_add_u32 s14, s14, s2
	v_mad_i64_i32 v[0:1], null, s16, v3, 0
	s_addc_u32 s15, s15, s3
	s_add_u32 s2, s6, s2
	s_addc_u32 s3, s7, s3
	s_load_b64 s[14:15], s[14:15], 0x0
	s_load_b64 s[6:7], s[2:3], 0x0
	v_cmp_gt_i32_e64 s2, s10, v5
	s_delay_alu instid0(VALU_DEP_2) | instskip(SKIP_4) | instid1(VALU_DEP_4)
	v_lshlrev_b64 v[0:1], 3, v[0:1]
	v_lshl_or_b32 v12, v11, 8, v13
	v_mov_b32_e32 v21, 0
	v_mov_b32_e32 v17, 0
	s_xor_b32 s2, s2, -1
	v_add_co_u32 v0, s3, v0, v15
	v_dual_mov_b32 v15, 0 :: v_dual_lshlrev_b32 v4, 3, v8
	v_add_co_ci_u32_e64 v1, s3, 0, v1, s3
	s_delay_alu instid0(VALU_DEP_2) | instskip(SKIP_1) | instid1(VALU_DEP_2)
	v_lshl_or_b32 v14, v2, 6, v4
	v_mad_i64_i32 v[2:3], null, s18, v5, 0
	v_dual_mov_b32 v14, 0 :: v_dual_add_nc_u32 v13, 0x800, v14
	s_delay_alu instid0(VALU_DEP_2) | instskip(NEXT) | instid1(VALU_DEP_1)
	v_lshlrev_b64 v[2:3], 3, v[2:3]
	v_add_co_u32 v2, s3, v2, v4
	s_delay_alu instid0(VALU_DEP_1) | instskip(SKIP_2) | instid1(VALU_DEP_1)
	v_add_co_ci_u32_e64 v3, s3, 0, v3, s3
	s_waitcnt lgkmcnt(0)
	v_add_co_u32 v0, s3, s6, v0
	v_add_co_ci_u32_e64 v1, s3, s7, v1, s3
	v_add_co_u32 v2, s3, s14, v2
	s_delay_alu instid0(VALU_DEP_1)
	v_add_co_ci_u32_e64 v3, s3, s15, v3, s3
	v_mov_b32_e32 v4, 0
	s_xor_b32 s3, vcc_lo, -1
	s_branch .LBB832_3
.LBB832_2:                              ;   in Loop: Header=BB832_3 Depth=1
	s_or_b32 exec_lo, exec_lo, s6
	s_waitcnt lgkmcnt(0)
	s_barrier
	buffer_gl0_inv
	ds_load_2addr_b64 v[22:25], v9 offset1:16
	ds_load_b128 v[26:29], v10
	ds_load_b128 v[30:33], v10 offset:1024
	ds_load_b128 v[34:37], v10 offset:16
	;; [unrolled: 1-line block ×4, first 2 shown]
	ds_load_2addr_b64 v[46:49], v9 offset0:32 offset1:48
	ds_load_b128 v[50:53], v10 offset:1040
	v_add_co_u32 v0, vcc_lo, v0, 64
	v_add_co_ci_u32_e32 v1, vcc_lo, 0, v1, vcc_lo
	v_add_co_u32 v2, vcc_lo, v2, 64
	v_add_co_ci_u32_e32 v3, vcc_lo, 0, v3, vcc_lo
	s_add_i32 s17, s17, 8
	s_delay_alu instid0(SALU_CYCLE_1)
	s_cmp_ge_i32 s17, s11
	s_waitcnt lgkmcnt(6)
	v_dual_mul_f32 v5, v27, v23 :: v_dual_mul_f32 v56, v26, v25
	v_dual_mul_f32 v54, v26, v23 :: v_dual_mul_f32 v55, v27, v25
	s_waitcnt lgkmcnt(5)
	v_mul_f32_e32 v58, v31, v25
	s_delay_alu instid0(VALU_DEP_3) | instskip(SKIP_3) | instid1(VALU_DEP_4)
	v_fma_f32 v5, v26, v22, -v5
	v_dual_mul_f32 v25, v30, v25 :: v_dual_fmac_f32 v56, v27, v24
	v_fmac_f32_e32 v54, v27, v22
	v_fma_f32 v26, v26, v24, -v55
	v_add_f32_e32 v5, v20, v5
	v_mul_f32_e32 v57, v31, v23
	s_delay_alu instid0(VALU_DEP_4) | instskip(SKIP_2) | instid1(VALU_DEP_4)
	v_dual_mul_f32 v23, v30, v23 :: v_dual_add_f32 v20, v21, v54
	v_fmac_f32_e32 v25, v31, v24
	v_dual_add_f32 v21, v18, v26 :: v_dual_add_f32 v26, v19, v56
	v_fma_f32 v27, v30, v22, -v57
	s_delay_alu instid0(VALU_DEP_4) | instskip(SKIP_3) | instid1(VALU_DEP_2)
	v_fmac_f32_e32 v23, v31, v22
	v_fma_f32 v22, v30, v24, -v58
	s_waitcnt lgkmcnt(1)
	v_mul_f32_e32 v30, v29, v47
	v_dual_add_f32 v27, v16, v27 :: v_dual_add_f32 v14, v14, v22
	v_dual_mul_f32 v22, v28, v47 :: v_dual_add_f32 v15, v15, v25
	v_mul_f32_e32 v25, v28, v49
	s_delay_alu instid0(VALU_DEP_4) | instskip(NEXT) | instid1(VALU_DEP_3)
	v_fma_f32 v24, v28, v46, -v30
	v_fmac_f32_e32 v22, v29, v46
	v_add_f32_e32 v23, v17, v23
	ds_load_2addr_b64 v[16:19], v9 offset0:64 offset1:80
	v_mul_f32_e32 v30, v29, v49
	v_fmac_f32_e32 v25, v29, v48
	v_add_f32_e32 v5, v5, v24
	s_delay_alu instid0(VALU_DEP_2) | instskip(SKIP_1) | instid1(VALU_DEP_1)
	v_add_f32_e32 v25, v26, v25
	v_mul_f32_e32 v26, v32, v49
	v_fmac_f32_e32 v26, v33, v48
	s_waitcnt lgkmcnt(0)
	s_delay_alu instid0(VALU_DEP_1) | instskip(SKIP_1) | instid1(VALU_DEP_2)
	v_dual_add_f32 v26, v15, v26 :: v_dual_mul_f32 v29, v34, v17
	v_mul_f32_e32 v15, v34, v19
	v_fmac_f32_e32 v29, v35, v16
	v_fma_f32 v24, v28, v48, -v30
	v_mul_f32_e32 v28, v33, v47
	v_add_f32_e32 v30, v20, v22
	v_mul_f32_e32 v20, v32, v47
	v_mul_f32_e32 v22, v33, v49
	v_add_f32_e32 v24, v21, v24
	v_fma_f32 v21, v32, v46, -v28
	s_delay_alu instid0(VALU_DEP_4) | instskip(SKIP_1) | instid1(VALU_DEP_3)
	v_dual_add_f32 v29, v30, v29 :: v_dual_fmac_f32 v20, v33, v46
	v_fmac_f32_e32 v15, v35, v18
	v_add_f32_e32 v27, v27, v21
	v_fma_f32 v21, v32, v48, -v22
	v_mul_f32_e32 v22, v35, v17
	v_mul_f32_e32 v32, v35, v19
	v_add_f32_e32 v28, v23, v20
	s_delay_alu instid0(VALU_DEP_4) | instskip(NEXT) | instid1(VALU_DEP_4)
	v_add_f32_e32 v14, v14, v21
	v_fma_f32 v31, v34, v16, -v22
	ds_load_2addr_b64 v[20:23], v9 offset0:96 offset1:112
	v_add_f32_e32 v5, v5, v31
	v_fma_f32 v31, v34, v18, -v32
	s_delay_alu instid0(VALU_DEP_1) | instskip(SKIP_3) | instid1(VALU_DEP_3)
	v_add_f32_e32 v24, v24, v31
	v_mul_f32_e32 v31, v51, v19
	v_mul_f32_e32 v19, v50, v19
	v_add_f32_e32 v32, v25, v15
	v_fma_f32 v15, v50, v18, -v31
	s_delay_alu instid0(VALU_DEP_3)
	v_fmac_f32_e32 v19, v51, v18
	v_mul_f32_e32 v30, v51, v17
	v_mul_f32_e32 v17, v50, v17
	s_waitcnt lgkmcnt(0)
	v_dual_mul_f32 v18, v37, v21 :: v_dual_add_f32 v31, v14, v15
	v_add_f32_e32 v33, v26, v19
	v_fma_f32 v30, v50, v16, -v30
	v_fmac_f32_e32 v17, v51, v16
	s_delay_alu instid0(VALU_DEP_4) | instskip(SKIP_1) | instid1(VALU_DEP_4)
	v_fma_f32 v18, v36, v20, -v18
	v_mul_f32_e32 v25, v36, v21
	v_dual_mul_f32 v19, v36, v23 :: v_dual_add_f32 v30, v27, v30
	s_delay_alu instid0(VALU_DEP_4) | instskip(SKIP_4) | instid1(VALU_DEP_2)
	v_add_f32_e32 v28, v28, v17
	ds_load_2addr_b64 v[14:17], v9 offset0:128 offset1:144
	v_add_f32_e32 v5, v5, v18
	v_mul_f32_e32 v18, v53, v21
	v_fmac_f32_e32 v19, v37, v22
	v_fma_f32 v18, v52, v20, -v18
	v_mul_f32_e32 v27, v37, v23
	s_delay_alu instid0(VALU_DEP_1) | instskip(NEXT) | instid1(VALU_DEP_3)
	v_fma_f32 v26, v36, v22, -v27
	v_add_f32_e32 v36, v30, v18
	s_waitcnt lgkmcnt(0)
	s_delay_alu instid0(VALU_DEP_2) | instskip(SKIP_2) | instid1(VALU_DEP_3)
	v_dual_add_f32 v35, v24, v26 :: v_dual_mul_f32 v46, v38, v15
	v_dual_fmac_f32 v25, v37, v20 :: v_dual_add_f32 v32, v32, v19
	v_mul_f32_e32 v18, v39, v15
	v_fmac_f32_e32 v46, v39, v14
	s_delay_alu instid0(VALU_DEP_3)
	v_add_f32_e32 v34, v29, v25
	v_mul_f32_e32 v29, v53, v23
	v_mul_f32_e32 v23, v52, v23
	ds_load_b128 v[24:27], v10 offset:1056
	v_add_f32_e32 v34, v34, v46
	v_fma_f32 v19, v52, v22, -v29
	v_mul_f32_e32 v21, v52, v21
	v_fmac_f32_e32 v23, v53, v22
	v_mul_f32_e32 v29, v39, v17
	s_delay_alu instid0(VALU_DEP_3) | instskip(NEXT) | instid1(VALU_DEP_3)
	v_dual_add_f32 v22, v31, v19 :: v_dual_fmac_f32 v21, v53, v20
	v_add_f32_e32 v23, v33, v23
	s_delay_alu instid0(VALU_DEP_2) | instskip(SKIP_4) | instid1(VALU_DEP_2)
	v_add_f32_e32 v37, v28, v21
	v_fma_f32 v28, v38, v14, -v18
	ds_load_2addr_b64 v[18:21], v9 offset0:160 offset1:176
	v_mul_f32_e32 v33, v38, v17
	v_fma_f32 v38, v38, v16, -v29
	v_fmac_f32_e32 v33, v39, v16
	s_delay_alu instid0(VALU_DEP_1)
	v_dual_add_f32 v35, v35, v38 :: v_dual_add_f32 v32, v32, v33
	v_add_f32_e32 v5, v5, v28
	ds_load_b128 v[28:31], v10 offset:1072
	s_waitcnt lgkmcnt(2)
	v_mul_f32_e32 v47, v25, v15
	v_mul_f32_e32 v15, v24, v15
	;; [unrolled: 1-line block ×4, first 2 shown]
	s_delay_alu instid0(VALU_DEP_4) | instskip(NEXT) | instid1(VALU_DEP_4)
	v_fma_f32 v38, v24, v14, -v47
	v_fmac_f32_e32 v15, v25, v14
	s_delay_alu instid0(VALU_DEP_4)
	v_fma_f32 v14, v24, v16, -v39
	s_waitcnt lgkmcnt(1)
	v_mul_f32_e32 v17, v41, v19
	v_dual_fmac_f32 v33, v25, v16 :: v_dual_add_f32 v36, v36, v38
	v_add_f32_e32 v24, v37, v15
	v_add_f32_e32 v22, v22, v14
	s_delay_alu instid0(VALU_DEP_4) | instskip(SKIP_2) | instid1(VALU_DEP_1)
	v_fma_f32 v37, v40, v18, -v17
	ds_load_2addr_b64 v[14:17], v9 offset0:192 offset1:208
	v_dual_mul_f32 v25, v40, v19 :: v_dual_mul_f32 v38, v41, v21
	v_fmac_f32_e32 v25, v41, v18
	s_delay_alu instid0(VALU_DEP_1) | instskip(SKIP_4) | instid1(VALU_DEP_3)
	v_add_f32_e32 v34, v34, v25
	v_add_f32_e32 v33, v23, v33
	v_mul_f32_e32 v23, v40, v21
	v_mul_f32_e32 v25, v27, v19
	;; [unrolled: 1-line block ×3, first 2 shown]
	v_fmac_f32_e32 v23, v41, v20
	s_delay_alu instid0(VALU_DEP_3) | instskip(NEXT) | instid1(VALU_DEP_2)
	v_fma_f32 v25, v26, v18, -v25
	v_dual_fmac_f32 v19, v27, v18 :: v_dual_add_f32 v18, v32, v23
	s_waitcnt lgkmcnt(0)
	v_dual_mul_f32 v32, v43, v15 :: v_dual_add_f32 v5, v5, v37
	v_fma_f32 v37, v40, v20, -v38
	s_delay_alu instid0(VALU_DEP_3) | instskip(NEXT) | instid1(VALU_DEP_3)
	v_add_f32_e32 v19, v24, v19
	v_fma_f32 v32, v42, v14, -v32
	s_delay_alu instid0(VALU_DEP_1) | instskip(NEXT) | instid1(VALU_DEP_4)
	v_add_f32_e32 v5, v5, v32
	v_add_f32_e32 v35, v35, v37
	v_mul_f32_e32 v37, v27, v21
	v_dual_mul_f32 v21, v26, v21 :: v_dual_mul_f32 v32, v29, v15
	s_delay_alu instid0(VALU_DEP_2) | instskip(NEXT) | instid1(VALU_DEP_2)
	v_fma_f32 v23, v26, v20, -v37
	v_dual_add_f32 v26, v36, v25 :: v_dual_fmac_f32 v21, v27, v20
	v_mul_f32_e32 v27, v42, v15
	v_mul_f32_e32 v15, v28, v15
	s_delay_alu instid0(VALU_DEP_4)
	v_add_f32_e32 v20, v22, v23
	ds_load_2addr_b64 v[22:25], v9 offset0:224 offset1:240
	v_fma_f32 v32, v28, v14, -v32
	v_dual_fmac_f32 v27, v43, v14 :: v_dual_mul_f32 v36, v42, v17
	v_fmac_f32_e32 v15, v29, v14
	s_waitcnt lgkmcnt(0)
	s_delay_alu instid0(VALU_DEP_3) | instskip(NEXT) | instid1(VALU_DEP_3)
	v_add_f32_e32 v14, v26, v32
	v_dual_add_f32 v27, v34, v27 :: v_dual_fmac_f32 v36, v43, v16
	s_delay_alu instid0(VALU_DEP_3)
	v_dual_mul_f32 v34, v29, v17 :: v_dual_add_f32 v15, v19, v15
	s_barrier
	buffer_gl0_inv
	v_mul_f32_e32 v26, v45, v23
	v_add_f32_e32 v21, v33, v21
	v_mul_f32_e32 v33, v43, v17
	v_mul_f32_e32 v17, v28, v17
	;; [unrolled: 1-line block ×3, first 2 shown]
	s_delay_alu instid0(VALU_DEP_3) | instskip(NEXT) | instid1(VALU_DEP_3)
	v_fma_f32 v33, v42, v16, -v33
	v_fmac_f32_e32 v17, v29, v16
	s_delay_alu instid0(VALU_DEP_3) | instskip(NEXT) | instid1(VALU_DEP_3)
	v_fmac_f32_e32 v19, v45, v24
	v_add_f32_e32 v33, v35, v33
	v_add_f32_e32 v35, v18, v36
	v_fma_f32 v18, v28, v16, -v34
	v_fma_f32 v16, v44, v22, -v26
	v_mul_f32_e32 v28, v44, v23
	v_dual_add_f32 v26, v21, v17 :: v_dual_mul_f32 v17, v30, v23
	s_delay_alu instid0(VALU_DEP_4) | instskip(NEXT) | instid1(VALU_DEP_4)
	v_dual_add_f32 v29, v20, v18 :: v_dual_mul_f32 v18, v45, v25
	v_add_f32_e32 v20, v5, v16
	v_mul_f32_e32 v16, v31, v23
	v_mul_f32_e32 v23, v31, v25
	;; [unrolled: 1-line block ×3, first 2 shown]
	v_fma_f32 v5, v44, v24, -v18
	v_fmac_f32_e32 v28, v45, v22
	v_fmac_f32_e32 v17, v31, v22
	v_add_f32_e32 v19, v35, v19
	s_delay_alu instid0(VALU_DEP_4)
	v_dual_fmac_f32 v25, v31, v24 :: v_dual_add_f32 v18, v33, v5
	v_fma_f32 v5, v30, v22, -v16
	v_fma_f32 v22, v30, v24, -v23
	v_add_f32_e32 v21, v27, v28
	v_add_f32_e32 v17, v15, v17
	v_add_f32_e32 v15, v26, v25
	v_add_f32_e32 v16, v14, v5
	v_add_f32_e32 v14, v29, v22
	s_cbranch_scc1 .LBB832_11
.LBB832_3:                              ; =>This Inner Loop Header: Depth=1
	v_add_nc_u32_e32 v5, s17, v11
	s_delay_alu instid0(VALU_DEP_1) | instskip(SKIP_1) | instid1(SALU_CYCLE_1)
	v_cmp_le_i32_e32 vcc_lo, s11, v5
	s_or_b32 s6, s3, vcc_lo
	s_and_saveexec_b32 s7, s6
	s_delay_alu instid0(SALU_CYCLE_1)
	s_xor_b32 s6, exec_lo, s7
	s_cbranch_execz .LBB832_5
; %bb.4:                                ;   in Loop: Header=BB832_3 Depth=1
	v_mov_b32_e32 v5, v4
	ds_store_b64 v12, v[4:5]
.LBB832_5:                              ;   in Loop: Header=BB832_3 Depth=1
	s_and_not1_saveexec_b32 s6, s6
	s_cbranch_execz .LBB832_7
; %bb.6:                                ;   in Loop: Header=BB832_3 Depth=1
	global_load_b64 v[22:23], v[0:1], off
	s_waitcnt vmcnt(0)
	ds_store_b64 v12, v[22:23]
.LBB832_7:                              ;   in Loop: Header=BB832_3 Depth=1
	s_or_b32 exec_lo, exec_lo, s6
	v_add_nc_u32_e32 v5, s17, v8
	s_delay_alu instid0(VALU_DEP_1) | instskip(SKIP_1) | instid1(SALU_CYCLE_1)
	v_cmp_le_i32_e32 vcc_lo, s11, v5
	s_or_b32 s6, vcc_lo, s2
	s_and_saveexec_b32 s7, s6
	s_delay_alu instid0(SALU_CYCLE_1)
	s_xor_b32 s6, exec_lo, s7
	s_cbranch_execz .LBB832_9
; %bb.8:                                ;   in Loop: Header=BB832_3 Depth=1
	v_mov_b32_e32 v5, v4
	ds_store_b64 v13, v[4:5]
.LBB832_9:                              ;   in Loop: Header=BB832_3 Depth=1
	s_and_not1_saveexec_b32 s6, s6
	s_cbranch_execz .LBB832_2
; %bb.10:                               ;   in Loop: Header=BB832_3 Depth=1
	global_load_b64 v[22:23], v[2:3], off
	s_waitcnt vmcnt(0)
	ds_store_b64 v13, v[22:23]
	s_branch .LBB832_2
.LBB832_11:
	s_load_b32 s2, s[0:1], 0x50
	v_add_nc_u32_e32 v5, s13, v7
	v_add_nc_u32_e32 v0, s12, v6
	s_delay_alu instid0(VALU_DEP_1) | instskip(SKIP_1) | instid1(VALU_DEP_2)
	v_cmp_le_i32_e64 s0, v5, v0
	v_cmp_gt_i32_e32 vcc_lo, s10, v0
	s_and_b32 s0, s0, vcc_lo
	s_waitcnt lgkmcnt(0)
	v_mad_i64_i32 v[1:2], null, v5, s2, 0
	s_delay_alu instid0(VALU_DEP_1) | instskip(NEXT) | instid1(VALU_DEP_1)
	v_lshlrev_b64 v[1:2], 3, v[1:2]
	v_add_co_u32 v4, s1, s8, v1
	s_delay_alu instid0(VALU_DEP_1)
	v_add_co_ci_u32_e64 v6, s1, s9, v2, s1
	s_and_saveexec_b32 s1, s0
	s_cbranch_execz .LBB832_14
; %bb.12:
	v_ashrrev_i32_e32 v1, 31, v0
	v_mul_f32_e32 v8, s4, v21
	v_mul_f32_e32 v3, s5, v21
	s_delay_alu instid0(VALU_DEP_3) | instskip(NEXT) | instid1(VALU_DEP_3)
	v_lshlrev_b64 v[1:2], 3, v[0:1]
	v_fmac_f32_e32 v8, s5, v20
	s_delay_alu instid0(VALU_DEP_3) | instskip(NEXT) | instid1(VALU_DEP_3)
	v_fma_f32 v7, v20, s4, -v3
	v_add_co_u32 v1, s0, v4, v1
	s_delay_alu instid0(VALU_DEP_1)
	v_add_co_ci_u32_e64 v2, s0, v6, v2, s0
	v_cmp_eq_u32_e64 s0, v5, v0
	global_store_b64 v[1:2], v[7:8], off
	s_and_b32 exec_lo, exec_lo, s0
	s_cbranch_execz .LBB832_14
; %bb.13:
	v_mov_b32_e32 v3, 0
	global_store_b32 v[1:2], v3, off offset:4
.LBB832_14:
	s_or_b32 exec_lo, exec_lo, s1
	v_add_nc_u32_e32 v2, 16, v0
	s_delay_alu instid0(VALU_DEP_1) | instskip(SKIP_1) | instid1(VALU_DEP_1)
	v_cmp_le_i32_e64 s1, v5, v2
	v_cmp_gt_i32_e64 s0, s10, v2
	s_and_b32 s1, s1, s0
	s_delay_alu instid0(SALU_CYCLE_1)
	s_and_saveexec_b32 s3, s1
	s_cbranch_execz .LBB832_17
; %bb.15:
	v_ashrrev_i32_e32 v3, 31, v2
	v_mul_f32_e32 v8, s4, v19
	v_mul_f32_e32 v1, s5, v19
	s_delay_alu instid0(VALU_DEP_3) | instskip(NEXT) | instid1(VALU_DEP_3)
	v_lshlrev_b64 v[9:10], 3, v[2:3]
	v_fmac_f32_e32 v8, s5, v18
	s_delay_alu instid0(VALU_DEP_3) | instskip(NEXT) | instid1(VALU_DEP_3)
	v_fma_f32 v7, v18, s4, -v1
	v_add_co_u32 v3, s1, v4, v9
	s_delay_alu instid0(VALU_DEP_1)
	v_add_co_ci_u32_e64 v4, s1, v6, v10, s1
	v_cmp_eq_u32_e64 s1, v5, v2
	global_store_b64 v[3:4], v[7:8], off
	s_and_b32 exec_lo, exec_lo, s1
	s_cbranch_execz .LBB832_17
; %bb.16:
	v_mov_b32_e32 v1, 0
	global_store_b32 v[3:4], v1, off offset:4
.LBB832_17:
	s_or_b32 exec_lo, exec_lo, s3
	v_add_nc_u32_e32 v8, 16, v5
	s_delay_alu instid0(VALU_DEP_1) | instskip(SKIP_1) | instid1(VALU_DEP_2)
	v_mad_i64_i32 v[3:4], null, v8, s2, 0
	v_cmp_le_i32_e64 s1, v8, v0
	v_lshlrev_b64 v[3:4], 3, v[3:4]
	s_delay_alu instid0(VALU_DEP_1) | instskip(NEXT) | instid1(VALU_DEP_1)
	v_add_co_u32 v6, s2, s8, v3
	v_add_co_ci_u32_e64 v7, s2, s9, v4, s2
	s_delay_alu instid0(VALU_DEP_4) | instskip(NEXT) | instid1(SALU_CYCLE_1)
	s_and_b32 s2, s1, vcc_lo
	s_and_saveexec_b32 s1, s2
	s_cbranch_execz .LBB832_20
; %bb.18:
	v_ashrrev_i32_e32 v1, 31, v0
	v_mul_f32_e32 v10, s4, v17
	v_mul_f32_e32 v9, s5, v17
	s_delay_alu instid0(VALU_DEP_3) | instskip(NEXT) | instid1(VALU_DEP_3)
	v_lshlrev_b64 v[3:4], 3, v[0:1]
	v_fmac_f32_e32 v10, s5, v16
	s_delay_alu instid0(VALU_DEP_3) | instskip(NEXT) | instid1(VALU_DEP_3)
	v_fma_f32 v9, v16, s4, -v9
	v_add_co_u32 v3, vcc_lo, v6, v3
	s_delay_alu instid0(VALU_DEP_4)
	v_add_co_ci_u32_e32 v4, vcc_lo, v7, v4, vcc_lo
	v_cmp_eq_u32_e32 vcc_lo, v8, v0
	global_store_b64 v[3:4], v[9:10], off
	s_and_b32 exec_lo, exec_lo, vcc_lo
	s_cbranch_execz .LBB832_20
; %bb.19:
	v_mov_b32_e32 v1, 0
	global_store_b32 v[3:4], v1, off offset:4
.LBB832_20:
	s_or_b32 exec_lo, exec_lo, s1
	v_cmp_le_i32_e32 vcc_lo, v8, v2
	s_and_b32 s0, vcc_lo, s0
	s_delay_alu instid0(SALU_CYCLE_1)
	s_and_saveexec_b32 s1, s0
	s_cbranch_execz .LBB832_23
; %bb.21:
	v_ashrrev_i32_e32 v3, 31, v2
	v_mul_f32_e32 v8, s5, v15
	v_mul_f32_e32 v4, s4, v15
	s_delay_alu instid0(VALU_DEP_3) | instskip(NEXT) | instid1(VALU_DEP_3)
	v_lshlrev_b64 v[1:2], 3, v[2:3]
	v_fma_f32 v3, v14, s4, -v8
	s_delay_alu instid0(VALU_DEP_3) | instskip(NEXT) | instid1(VALU_DEP_3)
	v_fmac_f32_e32 v4, s5, v14
	v_add_co_u32 v1, vcc_lo, v6, v1
	s_delay_alu instid0(VALU_DEP_4)
	v_add_co_ci_u32_e32 v2, vcc_lo, v7, v2, vcc_lo
	v_cmp_eq_u32_e32 vcc_lo, v5, v0
	global_store_b64 v[1:2], v[3:4], off
	s_and_b32 exec_lo, exec_lo, vcc_lo
	s_cbranch_execz .LBB832_23
; %bb.22:
	v_mov_b32_e32 v0, 0
	global_store_b32 v[1:2], v0, off offset:4
.LBB832_23:
	s_nop 0
	s_sendmsg sendmsg(MSG_DEALLOC_VGPRS)
	s_endpgm
	.section	.rodata,"a",@progbits
	.p2align	6, 0x0
	.amdhsa_kernel _ZL34rocblas_syrkx_herkx_general_kernelIi19rocblas_complex_numIfELi16ELi32ELi8ELb1ELb1ELc84ELc76EKPKS1_KPS1_EviT_T0_PT8_S7_lSA_S7_lS8_PT9_S7_li
		.amdhsa_group_segment_fixed_size 4096
		.amdhsa_private_segment_fixed_size 0
		.amdhsa_kernarg_size 100
		.amdhsa_user_sgpr_count 13
		.amdhsa_user_sgpr_dispatch_ptr 0
		.amdhsa_user_sgpr_queue_ptr 0
		.amdhsa_user_sgpr_kernarg_segment_ptr 1
		.amdhsa_user_sgpr_dispatch_id 0
		.amdhsa_user_sgpr_private_segment_size 0
		.amdhsa_wavefront_size32 1
		.amdhsa_uses_dynamic_stack 0
		.amdhsa_enable_private_segment 0
		.amdhsa_system_sgpr_workgroup_id_x 1
		.amdhsa_system_sgpr_workgroup_id_y 1
		.amdhsa_system_sgpr_workgroup_id_z 1
		.amdhsa_system_sgpr_workgroup_info 0
		.amdhsa_system_vgpr_workitem_id 1
		.amdhsa_next_free_vgpr 59
		.amdhsa_next_free_sgpr 19
		.amdhsa_reserve_vcc 1
		.amdhsa_float_round_mode_32 0
		.amdhsa_float_round_mode_16_64 0
		.amdhsa_float_denorm_mode_32 3
		.amdhsa_float_denorm_mode_16_64 3
		.amdhsa_dx10_clamp 1
		.amdhsa_ieee_mode 1
		.amdhsa_fp16_overflow 0
		.amdhsa_workgroup_processor_mode 1
		.amdhsa_memory_ordered 1
		.amdhsa_forward_progress 0
		.amdhsa_shared_vgpr_count 0
		.amdhsa_exception_fp_ieee_invalid_op 0
		.amdhsa_exception_fp_denorm_src 0
		.amdhsa_exception_fp_ieee_div_zero 0
		.amdhsa_exception_fp_ieee_overflow 0
		.amdhsa_exception_fp_ieee_underflow 0
		.amdhsa_exception_fp_ieee_inexact 0
		.amdhsa_exception_int_div_zero 0
	.end_amdhsa_kernel
	.section	.text._ZL34rocblas_syrkx_herkx_general_kernelIi19rocblas_complex_numIfELi16ELi32ELi8ELb1ELb1ELc84ELc76EKPKS1_KPS1_EviT_T0_PT8_S7_lSA_S7_lS8_PT9_S7_li,"axG",@progbits,_ZL34rocblas_syrkx_herkx_general_kernelIi19rocblas_complex_numIfELi16ELi32ELi8ELb1ELb1ELc84ELc76EKPKS1_KPS1_EviT_T0_PT8_S7_lSA_S7_lS8_PT9_S7_li,comdat
.Lfunc_end832:
	.size	_ZL34rocblas_syrkx_herkx_general_kernelIi19rocblas_complex_numIfELi16ELi32ELi8ELb1ELb1ELc84ELc76EKPKS1_KPS1_EviT_T0_PT8_S7_lSA_S7_lS8_PT9_S7_li, .Lfunc_end832-_ZL34rocblas_syrkx_herkx_general_kernelIi19rocblas_complex_numIfELi16ELi32ELi8ELb1ELb1ELc84ELc76EKPKS1_KPS1_EviT_T0_PT8_S7_lSA_S7_lS8_PT9_S7_li
                                        ; -- End function
	.section	.AMDGPU.csdata,"",@progbits
; Kernel info:
; codeLenInByte = 2488
; NumSgprs: 21
; NumVgprs: 59
; ScratchSize: 0
; MemoryBound: 1
; FloatMode: 240
; IeeeMode: 1
; LDSByteSize: 4096 bytes/workgroup (compile time only)
; SGPRBlocks: 2
; VGPRBlocks: 7
; NumSGPRsForWavesPerEU: 21
; NumVGPRsForWavesPerEU: 59
; Occupancy: 16
; WaveLimiterHint : 1
; COMPUTE_PGM_RSRC2:SCRATCH_EN: 0
; COMPUTE_PGM_RSRC2:USER_SGPR: 13
; COMPUTE_PGM_RSRC2:TRAP_HANDLER: 0
; COMPUTE_PGM_RSRC2:TGID_X_EN: 1
; COMPUTE_PGM_RSRC2:TGID_Y_EN: 1
; COMPUTE_PGM_RSRC2:TGID_Z_EN: 1
; COMPUTE_PGM_RSRC2:TIDIG_COMP_CNT: 1
	.section	.text._ZL34rocblas_syrkx_herkx_general_kernelIi19rocblas_complex_numIfELi16ELi32ELi8ELb1ELb1ELc67ELc76EKPKS1_KPS1_EviT_T0_PT8_S7_lSA_S7_lS8_PT9_S7_li,"axG",@progbits,_ZL34rocblas_syrkx_herkx_general_kernelIi19rocblas_complex_numIfELi16ELi32ELi8ELb1ELb1ELc67ELc76EKPKS1_KPS1_EviT_T0_PT8_S7_lSA_S7_lS8_PT9_S7_li,comdat
	.globl	_ZL34rocblas_syrkx_herkx_general_kernelIi19rocblas_complex_numIfELi16ELi32ELi8ELb1ELb1ELc67ELc76EKPKS1_KPS1_EviT_T0_PT8_S7_lSA_S7_lS8_PT9_S7_li ; -- Begin function _ZL34rocblas_syrkx_herkx_general_kernelIi19rocblas_complex_numIfELi16ELi32ELi8ELb1ELb1ELc67ELc76EKPKS1_KPS1_EviT_T0_PT8_S7_lSA_S7_lS8_PT9_S7_li
	.p2align	8
	.type	_ZL34rocblas_syrkx_herkx_general_kernelIi19rocblas_complex_numIfELi16ELi32ELi8ELb1ELb1ELc67ELc76EKPKS1_KPS1_EviT_T0_PT8_S7_lSA_S7_lS8_PT9_S7_li,@function
_ZL34rocblas_syrkx_herkx_general_kernelIi19rocblas_complex_numIfELi16ELi32ELi8ELb1ELb1ELc67ELc76EKPKS1_KPS1_EviT_T0_PT8_S7_lSA_S7_lS8_PT9_S7_li: ; @_ZL34rocblas_syrkx_herkx_general_kernelIi19rocblas_complex_numIfELi16ELi32ELi8ELb1ELb1ELc67ELc76EKPKS1_KPS1_EviT_T0_PT8_S7_lSA_S7_lS8_PT9_S7_li
; %bb.0:
	s_clause 0x1
	s_load_b64 s[4:5], s[0:1], 0x48
	s_load_b64 s[10:11], s[0:1], 0x0
	s_mov_b32 s16, s15
	s_mov_b32 s17, 0
	v_dual_mov_b32 v21, 0 :: v_dual_and_b32 v6, 0x3ff, v0
	s_lshl_b64 s[2:3], s[16:17], 3
	v_bfe_u32 v7, v0, 10, 10
	v_dual_mov_b32 v22, 0 :: v_dual_mov_b32 v19, 0
	v_dual_mov_b32 v20, 0 :: v_dual_mov_b32 v17, 0
	;; [unrolled: 1-line block ×3, first 2 shown]
	v_mov_b32_e32 v16, 0
	s_waitcnt lgkmcnt(0)
	s_add_u32 s8, s4, s2
	s_addc_u32 s9, s5, s3
	s_load_b128 s[4:7], s[0:1], 0x8
	s_load_b64 s[8:9], s[8:9], 0x0
	s_lshl_b32 s12, s13, 5
	s_lshl_b32 s13, s14, 5
	s_cmp_lt_i32 s11, 1
	s_cbranch_scc1 .LBB833_11
; %bb.1:
	s_clause 0x1
	s_load_b64 s[14:15], s[0:1], 0x28
	s_load_b32 s16, s[0:1], 0x18
	v_lshl_add_u32 v0, v7, 4, v6
	s_load_b32 s18, s[0:1], 0x30
	v_and_b32_e32 v8, 7, v6
	v_lshlrev_b32_e32 v9, 3, v6
	s_delay_alu instid0(VALU_DEP_3) | instskip(SKIP_3) | instid1(VALU_DEP_4)
	v_dual_mov_b32 v17, 0 :: v_dual_and_b32 v2, 31, v0
	v_lshrrev_b32_e32 v11, 5, v0
	v_lshrrev_b32_e32 v3, 3, v0
	v_lshl_add_u32 v10, v7, 6, 0x800
	v_dual_mov_b32 v18, 0 :: v_dual_add_nc_u32 v5, s12, v2
	s_delay_alu instid0(VALU_DEP_4) | instskip(NEXT) | instid1(VALU_DEP_4)
	v_lshlrev_b32_e32 v15, 3, v11
	v_dual_mov_b32 v16, 0 :: v_dual_add_nc_u32 v13, s13, v3
	v_dual_mov_b32 v22, 0 :: v_dual_mov_b32 v21, 0
	v_dual_mov_b32 v19, 0 :: v_dual_mov_b32 v20, 0
	s_waitcnt lgkmcnt(0)
	s_add_u32 s14, s14, s2
	v_mad_i64_i32 v[0:1], null, s16, v5, 0
	s_addc_u32 s15, s15, s3
	s_add_u32 s2, s6, s2
	s_addc_u32 s3, s7, s3
	v_or_b32_e32 v5, s12, v2
	s_load_b64 s[6:7], s[2:3], 0x0
	v_lshlrev_b32_e32 v2, 3, v2
	s_delay_alu instid0(VALU_DEP_3) | instskip(SKIP_4) | instid1(VALU_DEP_4)
	v_lshlrev_b64 v[0:1], 3, v[0:1]
	s_load_b64 s[14:15], s[14:15], 0x0
	v_cmp_gt_i32_e32 vcc_lo, s10, v5
	v_cmp_gt_i32_e64 s2, s10, v13
	v_lshl_or_b32 v12, v11, 8, v2
	v_add_co_u32 v5, s3, v0, v15
	v_dual_mov_b32 v15, 0 :: v_dual_lshlrev_b32 v4, 3, v8
	s_delay_alu instid0(VALU_DEP_4) | instskip(NEXT) | instid1(VALU_DEP_1)
	s_xor_b32 s2, s2, -1
	v_lshl_or_b32 v14, v3, 6, v4
	v_mad_i64_i32 v[2:3], null, s18, v13, 0
	s_delay_alu instid0(VALU_DEP_2) | instskip(SKIP_1) | instid1(VALU_DEP_3)
	v_add_nc_u32_e32 v13, 0x800, v14
	v_add_co_ci_u32_e64 v14, s3, 0, v1, s3
	v_lshlrev_b64 v[0:1], 3, v[2:3]
	s_waitcnt lgkmcnt(0)
	v_add_co_u32 v2, s3, v5, s6
	s_delay_alu instid0(VALU_DEP_1) | instskip(SKIP_1) | instid1(VALU_DEP_4)
	v_add_co_ci_u32_e64 v3, s3, s7, v14, s3
	v_mov_b32_e32 v14, 0
	v_add_co_u32 v4, s3, v0, v4
	s_delay_alu instid0(VALU_DEP_1) | instskip(SKIP_1) | instid1(VALU_DEP_1)
	v_add_co_ci_u32_e64 v5, s3, 0, v1, s3
	v_add_co_u32 v0, s3, v2, 4
	v_add_co_ci_u32_e64 v1, s3, 0, v3, s3
	s_delay_alu instid0(VALU_DEP_4) | instskip(NEXT) | instid1(VALU_DEP_1)
	v_add_co_u32 v2, s3, s14, v4
	v_add_co_ci_u32_e64 v3, s3, s15, v5, s3
	v_mov_b32_e32 v4, 0
	s_xor_b32 s3, vcc_lo, -1
	s_branch .LBB833_3
.LBB833_2:                              ;   in Loop: Header=BB833_3 Depth=1
	s_or_b32 exec_lo, exec_lo, s6
	s_waitcnt lgkmcnt(0)
	s_barrier
	buffer_gl0_inv
	ds_load_2addr_b64 v[23:26], v9 offset1:16
	ds_load_b128 v[27:30], v10
	ds_load_b128 v[31:34], v10 offset:1024
	ds_load_b128 v[35:38], v10 offset:16
	;; [unrolled: 1-line block ×4, first 2 shown]
	ds_load_2addr_b64 v[47:50], v9 offset0:32 offset1:48
	ds_load_b128 v[51:54], v10 offset:1040
	v_add_co_u32 v0, vcc_lo, v0, 64
	v_add_co_ci_u32_e32 v1, vcc_lo, 0, v1, vcc_lo
	v_add_co_u32 v2, vcc_lo, v2, 64
	v_add_co_ci_u32_e32 v3, vcc_lo, 0, v3, vcc_lo
	s_add_i32 s17, s17, 8
	s_delay_alu instid0(SALU_CYCLE_1)
	s_cmp_ge_i32 s17, s11
	s_waitcnt lgkmcnt(6)
	v_mul_f32_e32 v5, v28, v24
	v_dual_mul_f32 v55, v27, v24 :: v_dual_mul_f32 v56, v28, v26
	s_waitcnt lgkmcnt(5)
	v_dual_mul_f32 v57, v27, v26 :: v_dual_mul_f32 v58, v32, v24
	v_dual_mul_f32 v24, v31, v24 :: v_dual_mul_f32 v59, v32, v26
	v_mul_f32_e32 v26, v31, v26
	v_fma_f32 v5, v27, v23, -v5
	v_fmac_f32_e32 v55, v28, v23
	v_fma_f32 v27, v27, v25, -v56
	v_fmac_f32_e32 v57, v28, v25
	v_fma_f32 v28, v31, v23, -v58
	v_dual_fmac_f32 v24, v32, v23 :: v_dual_add_f32 v5, v21, v5
	v_fma_f32 v23, v31, v25, -v59
	v_fmac_f32_e32 v26, v32, v25
	s_delay_alu instid0(VALU_DEP_4)
	v_dual_add_f32 v28, v17, v28 :: v_dual_add_f32 v21, v22, v55
	v_dual_add_f32 v22, v19, v27 :: v_dual_add_f32 v27, v20, v57
	v_add_f32_e32 v24, v18, v24
	ds_load_2addr_b64 v[17:20], v9 offset0:64 offset1:80
	s_waitcnt lgkmcnt(2)
	v_dual_mul_f32 v31, v30, v48 :: v_dual_add_f32 v16, v16, v26
	v_dual_add_f32 v15, v15, v23 :: v_dual_mul_f32 v26, v29, v50
	v_mul_f32_e32 v23, v29, v48
	s_delay_alu instid0(VALU_DEP_3) | instskip(SKIP_1) | instid1(VALU_DEP_4)
	v_fma_f32 v25, v29, v47, -v31
	v_mul_f32_e32 v31, v30, v50
	v_fmac_f32_e32 v26, v30, v49
	s_delay_alu instid0(VALU_DEP_4) | instskip(NEXT) | instid1(VALU_DEP_2)
	v_fmac_f32_e32 v23, v30, v47
	v_dual_add_f32 v5, v5, v25 :: v_dual_add_f32 v26, v27, v26
	v_mul_f32_e32 v27, v33, v50
	s_waitcnt lgkmcnt(0)
	s_delay_alu instid0(VALU_DEP_1) | instskip(NEXT) | instid1(VALU_DEP_1)
	v_dual_fmac_f32 v27, v34, v49 :: v_dual_mul_f32 v30, v35, v18
	v_add_f32_e32 v27, v16, v27
	s_delay_alu instid0(VALU_DEP_2) | instskip(SKIP_4) | instid1(VALU_DEP_3)
	v_fmac_f32_e32 v30, v36, v17
	v_fma_f32 v25, v29, v49, -v31
	v_dual_add_f32 v31, v21, v23 :: v_dual_mul_f32 v16, v35, v20
	v_mul_f32_e32 v29, v34, v48
	v_mul_f32_e32 v23, v34, v50
	v_dual_add_f32 v25, v22, v25 :: v_dual_add_f32 v30, v31, v30
	s_delay_alu instid0(VALU_DEP_4) | instskip(NEXT) | instid1(VALU_DEP_4)
	v_fmac_f32_e32 v16, v36, v19
	v_fma_f32 v22, v33, v47, -v29
	v_mul_f32_e32 v21, v33, v48
	v_mul_f32_e32 v31, v52, v18
	s_delay_alu instid0(VALU_DEP_3) | instskip(SKIP_1) | instid1(VALU_DEP_3)
	v_add_f32_e32 v28, v28, v22
	v_fma_f32 v22, v33, v49, -v23
	v_fma_f32 v31, v51, v17, -v31
	s_delay_alu instid0(VALU_DEP_2) | instskip(SKIP_2) | instid1(VALU_DEP_2)
	v_add_f32_e32 v15, v15, v22
	v_mul_f32_e32 v23, v36, v18
	v_dual_mul_f32 v18, v51, v18 :: v_dual_fmac_f32 v21, v34, v47
	v_fma_f32 v32, v35, v17, -v23
	s_delay_alu instid0(VALU_DEP_2) | instskip(NEXT) | instid1(VALU_DEP_3)
	v_fmac_f32_e32 v18, v52, v17
	v_add_f32_e32 v29, v24, v21
	ds_load_2addr_b64 v[21:24], v9 offset0:96 offset1:112
	v_mul_f32_e32 v33, v36, v20
	v_add_f32_e32 v5, v5, v32
	v_add_f32_e32 v31, v28, v31
	s_delay_alu instid0(VALU_DEP_3) | instskip(NEXT) | instid1(VALU_DEP_1)
	v_fma_f32 v32, v35, v19, -v33
	v_add_f32_e32 v25, v25, v32
	v_mul_f32_e32 v32, v52, v20
	v_mul_f32_e32 v20, v51, v20
	s_delay_alu instid0(VALU_DEP_1) | instskip(SKIP_2) | instid1(VALU_DEP_2)
	v_fmac_f32_e32 v20, v52, v19
	s_waitcnt lgkmcnt(0)
	v_mul_f32_e32 v28, v38, v24
	v_add_f32_e32 v34, v27, v20
	v_mul_f32_e32 v20, v37, v24
	s_delay_alu instid0(VALU_DEP_3)
	v_fma_f32 v27, v37, v23, -v28
	v_add_f32_e32 v33, v26, v16
	v_fma_f32 v16, v51, v19, -v32
	v_mul_f32_e32 v26, v37, v22
	v_add_f32_e32 v29, v29, v18
	v_mul_f32_e32 v19, v38, v22
	v_fmac_f32_e32 v20, v38, v23
	v_add_f32_e32 v32, v15, v16
	ds_load_2addr_b64 v[15:18], v9 offset0:128 offset1:144
	v_fmac_f32_e32 v26, v38, v21
	s_delay_alu instid0(VALU_DEP_1) | instskip(SKIP_3) | instid1(VALU_DEP_2)
	v_add_f32_e32 v35, v30, v26
	v_mul_f32_e32 v30, v54, v24
	v_mul_f32_e32 v24, v53, v24
	v_fma_f32 v19, v37, v21, -v19
	v_fmac_f32_e32 v24, v54, v23
	s_delay_alu instid0(VALU_DEP_1) | instskip(SKIP_2) | instid1(VALU_DEP_1)
	v_dual_add_f32 v5, v5, v19 :: v_dual_add_f32 v24, v34, v24
	s_waitcnt lgkmcnt(0)
	v_mul_f32_e32 v34, v39, v18
	v_dual_mul_f32 v19, v54, v22 :: v_dual_fmac_f32 v34, v40, v17
	s_delay_alu instid0(VALU_DEP_1) | instskip(NEXT) | instid1(VALU_DEP_1)
	v_fma_f32 v19, v53, v21, -v19
	v_dual_mul_f32 v22, v53, v22 :: v_dual_add_f32 v37, v31, v19
	s_delay_alu instid0(VALU_DEP_1)
	v_fmac_f32_e32 v22, v54, v21
	v_add_f32_e32 v36, v25, v27
	ds_load_b128 v[25:28], v10 offset:1056
	v_add_f32_e32 v33, v33, v20
	v_fma_f32 v20, v53, v23, -v30
	v_dual_mul_f32 v19, v40, v16 :: v_dual_add_f32 v38, v29, v22
	v_dual_mul_f32 v47, v39, v16 :: v_dual_mul_f32 v30, v40, v18
	s_delay_alu instid0(VALU_DEP_3) | instskip(NEXT) | instid1(VALU_DEP_3)
	v_add_f32_e32 v23, v32, v20
	v_fma_f32 v29, v39, v15, -v19
	ds_load_2addr_b64 v[19:22], v9 offset0:160 offset1:176
	v_fmac_f32_e32 v47, v40, v15
	v_fma_f32 v39, v39, v17, -v30
	v_add_f32_e32 v5, v5, v29
	ds_load_b128 v[29:32], v10 offset:1072
	v_add_f32_e32 v36, v36, v39
	s_waitcnt lgkmcnt(2)
	v_mul_f32_e32 v48, v26, v16
	v_mul_f32_e32 v16, v25, v16
	v_dual_mul_f32 v40, v26, v18 :: v_dual_add_f32 v35, v35, v47
	v_add_f32_e32 v33, v33, v34
	s_delay_alu instid0(VALU_DEP_4) | instskip(NEXT) | instid1(VALU_DEP_4)
	v_fma_f32 v39, v25, v15, -v48
	v_fmac_f32_e32 v16, v26, v15
	v_mul_f32_e32 v34, v25, v18
	v_fma_f32 v15, v25, v17, -v40
	s_waitcnt lgkmcnt(1)
	v_dual_mul_f32 v18, v42, v20 :: v_dual_add_f32 v37, v37, v39
	v_mul_f32_e32 v39, v42, v22
	v_fmac_f32_e32 v34, v26, v17
	v_add_f32_e32 v25, v38, v16
	v_add_f32_e32 v23, v23, v15
	v_fma_f32 v38, v41, v19, -v18
	v_mul_f32_e32 v26, v41, v20
	ds_load_2addr_b64 v[15:18], v9 offset0:192 offset1:208
	v_add_f32_e32 v5, v5, v38
	v_add_f32_e32 v34, v24, v34
	v_mul_f32_e32 v24, v41, v22
	v_fma_f32 v38, v41, v21, -v39
	s_delay_alu instid0(VALU_DEP_2) | instskip(SKIP_1) | instid1(VALU_DEP_3)
	v_fmac_f32_e32 v24, v42, v21
	v_fmac_f32_e32 v26, v42, v19
	v_add_f32_e32 v36, v36, v38
	s_delay_alu instid0(VALU_DEP_2) | instskip(NEXT) | instid1(VALU_DEP_1)
	v_dual_add_f32 v35, v35, v26 :: v_dual_mul_f32 v26, v28, v20
	v_fma_f32 v26, v27, v19, -v26
	v_mul_f32_e32 v20, v27, v20
	s_delay_alu instid0(VALU_DEP_1) | instskip(SKIP_2) | instid1(VALU_DEP_1)
	v_dual_fmac_f32 v20, v28, v19 :: v_dual_add_f32 v19, v33, v24
	s_waitcnt lgkmcnt(0)
	v_mul_f32_e32 v33, v44, v16
	v_fma_f32 v33, v43, v15, -v33
	v_mul_f32_e32 v38, v28, v22
	s_delay_alu instid0(VALU_DEP_2) | instskip(NEXT) | instid1(VALU_DEP_2)
	v_dual_mul_f32 v22, v27, v22 :: v_dual_add_f32 v5, v5, v33
	v_fma_f32 v24, v27, v21, -v38
	v_add_f32_e32 v27, v37, v26
	v_mul_f32_e32 v37, v43, v18
	v_mul_f32_e32 v33, v30, v16
	s_delay_alu instid0(VALU_DEP_2)
	v_dual_add_f32 v20, v25, v20 :: v_dual_fmac_f32 v37, v44, v17
	v_dual_fmac_f32 v22, v28, v21 :: v_dual_add_f32 v21, v23, v24
	ds_load_2addr_b64 v[23:26], v9 offset0:224 offset1:240
	v_mul_f32_e32 v28, v43, v16
	v_mul_f32_e32 v16, v29, v16
	v_fma_f32 v33, v29, v15, -v33
	s_waitcnt lgkmcnt(0)
	s_barrier
	v_fmac_f32_e32 v28, v44, v15
	s_delay_alu instid0(VALU_DEP_2)
	v_dual_fmac_f32 v16, v30, v15 :: v_dual_add_f32 v15, v27, v33
	buffer_gl0_inv
	v_dual_add_f32 v28, v35, v28 :: v_dual_mul_f32 v35, v30, v18
	v_mul_f32_e32 v27, v46, v24
	v_add_f32_e32 v22, v34, v22
	v_mul_f32_e32 v34, v44, v18
	s_delay_alu instid0(VALU_DEP_1) | instskip(NEXT) | instid1(VALU_DEP_1)
	v_fma_f32 v34, v43, v17, -v34
	v_add_f32_e32 v34, v36, v34
	v_add_f32_e32 v36, v19, v37
	v_mul_f32_e32 v18, v29, v18
	v_fma_f32 v19, v29, v17, -v35
	s_delay_alu instid0(VALU_DEP_2) | instskip(NEXT) | instid1(VALU_DEP_2)
	v_dual_mul_f32 v29, v45, v24 :: v_dual_fmac_f32 v18, v30, v17
	v_add_f32_e32 v30, v21, v19
	v_fma_f32 v17, v45, v23, -v27
	v_mul_f32_e32 v19, v46, v26
	s_delay_alu instid0(VALU_DEP_4) | instskip(SKIP_1) | instid1(VALU_DEP_4)
	v_fmac_f32_e32 v29, v46, v23
	v_dual_add_f32 v27, v22, v18 :: v_dual_mul_f32 v18, v31, v24
	v_add_f32_e32 v21, v5, v17
	s_delay_alu instid0(VALU_DEP_4)
	v_fma_f32 v5, v45, v25, -v19
	v_mul_f32_e32 v17, v32, v24
	v_mul_f32_e32 v24, v32, v26
	v_fmac_f32_e32 v18, v32, v23
	v_add_f32_e32 v22, v28, v29
	v_add_f32_e32 v19, v34, v5
	v_fma_f32 v5, v31, v23, -v17
	v_fma_f32 v23, v31, v25, -v24
	v_add_f32_e32 v16, v20, v16
	v_mul_f32_e32 v20, v45, v26
	v_mul_f32_e32 v26, v31, v26
	v_add_f32_e32 v17, v15, v5
	s_delay_alu instid0(VALU_DEP_4) | instskip(NEXT) | instid1(VALU_DEP_4)
	v_dual_add_f32 v15, v30, v23 :: v_dual_add_f32 v18, v16, v18
	v_fmac_f32_e32 v20, v46, v25
	s_delay_alu instid0(VALU_DEP_4) | instskip(NEXT) | instid1(VALU_DEP_2)
	v_fmac_f32_e32 v26, v32, v25
	v_add_f32_e32 v20, v36, v20
	s_delay_alu instid0(VALU_DEP_2)
	v_add_f32_e32 v16, v27, v26
	s_cbranch_scc1 .LBB833_11
.LBB833_3:                              ; =>This Inner Loop Header: Depth=1
	v_add_nc_u32_e32 v5, s17, v11
                                        ; implicit-def: $sgpr7
	s_delay_alu instid0(VALU_DEP_1) | instskip(SKIP_1) | instid1(SALU_CYCLE_1)
	v_cmp_le_i32_e32 vcc_lo, s11, v5
	s_or_b32 s6, s3, vcc_lo
	s_and_saveexec_b32 s14, s6
	s_delay_alu instid0(SALU_CYCLE_1)
	s_xor_b32 s6, exec_lo, s14
	s_cbranch_execz .LBB833_5
; %bb.4:                                ;   in Loop: Header=BB833_3 Depth=1
	s_mov_b32 s7, 0
	ds_store_b32 v12, v14
.LBB833_5:                              ;   in Loop: Header=BB833_3 Depth=1
	s_or_saveexec_b32 s6, s6
	v_mov_b32_e32 v5, s7
	s_xor_b32 exec_lo, exec_lo, s6
	s_cbranch_execz .LBB833_7
; %bb.6:                                ;   in Loop: Header=BB833_3 Depth=1
	global_load_b64 v[23:24], v[0:1], off offset:-4
	s_waitcnt vmcnt(0)
	v_xor_b32_e32 v5, 0x80000000, v24
	ds_store_b32 v12, v23
.LBB833_7:                              ;   in Loop: Header=BB833_3 Depth=1
	s_or_b32 exec_lo, exec_lo, s6
	v_add_nc_u32_e32 v23, s17, v8
	ds_store_b32 v12, v5 offset:4
	v_cmp_le_i32_e32 vcc_lo, s11, v23
	s_or_b32 s6, vcc_lo, s2
	s_delay_alu instid0(SALU_CYCLE_1) | instskip(NEXT) | instid1(SALU_CYCLE_1)
	s_and_saveexec_b32 s7, s6
	s_xor_b32 s6, exec_lo, s7
	s_cbranch_execz .LBB833_9
; %bb.8:                                ;   in Loop: Header=BB833_3 Depth=1
	v_mov_b32_e32 v5, v4
	ds_store_b64 v13, v[4:5]
.LBB833_9:                              ;   in Loop: Header=BB833_3 Depth=1
	s_and_not1_saveexec_b32 s6, s6
	s_cbranch_execz .LBB833_2
; %bb.10:                               ;   in Loop: Header=BB833_3 Depth=1
	global_load_b64 v[23:24], v[2:3], off
	s_waitcnt vmcnt(0)
	ds_store_b64 v13, v[23:24]
	s_branch .LBB833_2
.LBB833_11:
	s_load_b32 s2, s[0:1], 0x50
	v_add_nc_u32_e32 v5, s13, v7
	v_add_nc_u32_e32 v0, s12, v6
	s_delay_alu instid0(VALU_DEP_1) | instskip(SKIP_1) | instid1(VALU_DEP_2)
	v_cmp_le_i32_e64 s0, v5, v0
	v_cmp_gt_i32_e32 vcc_lo, s10, v0
	s_and_b32 s0, s0, vcc_lo
	s_waitcnt lgkmcnt(0)
	v_mad_i64_i32 v[1:2], null, v5, s2, 0
	s_delay_alu instid0(VALU_DEP_1) | instskip(NEXT) | instid1(VALU_DEP_1)
	v_lshlrev_b64 v[1:2], 3, v[1:2]
	v_add_co_u32 v4, s1, s8, v1
	s_delay_alu instid0(VALU_DEP_1)
	v_add_co_ci_u32_e64 v6, s1, s9, v2, s1
	s_and_saveexec_b32 s1, s0
	s_cbranch_execz .LBB833_14
; %bb.12:
	v_ashrrev_i32_e32 v1, 31, v0
	v_mul_f32_e32 v8, s4, v22
	v_mul_f32_e32 v3, s5, v22
	s_delay_alu instid0(VALU_DEP_3) | instskip(NEXT) | instid1(VALU_DEP_3)
	v_lshlrev_b64 v[1:2], 3, v[0:1]
	v_fmac_f32_e32 v8, s5, v21
	s_delay_alu instid0(VALU_DEP_3) | instskip(NEXT) | instid1(VALU_DEP_3)
	v_fma_f32 v7, v21, s4, -v3
	v_add_co_u32 v1, s0, v4, v1
	s_delay_alu instid0(VALU_DEP_1)
	v_add_co_ci_u32_e64 v2, s0, v6, v2, s0
	v_cmp_eq_u32_e64 s0, v5, v0
	global_store_b64 v[1:2], v[7:8], off
	s_and_b32 exec_lo, exec_lo, s0
	s_cbranch_execz .LBB833_14
; %bb.13:
	v_mov_b32_e32 v3, 0
	global_store_b32 v[1:2], v3, off offset:4
.LBB833_14:
	s_or_b32 exec_lo, exec_lo, s1
	v_add_nc_u32_e32 v2, 16, v0
	s_delay_alu instid0(VALU_DEP_1) | instskip(SKIP_1) | instid1(VALU_DEP_1)
	v_cmp_le_i32_e64 s1, v5, v2
	v_cmp_gt_i32_e64 s0, s10, v2
	s_and_b32 s1, s1, s0
	s_delay_alu instid0(SALU_CYCLE_1)
	s_and_saveexec_b32 s3, s1
	s_cbranch_execz .LBB833_17
; %bb.15:
	v_ashrrev_i32_e32 v3, 31, v2
	v_mul_f32_e32 v8, s4, v20
	v_mul_f32_e32 v1, s5, v20
	s_delay_alu instid0(VALU_DEP_3) | instskip(NEXT) | instid1(VALU_DEP_3)
	v_lshlrev_b64 v[9:10], 3, v[2:3]
	v_fmac_f32_e32 v8, s5, v19
	s_delay_alu instid0(VALU_DEP_3) | instskip(NEXT) | instid1(VALU_DEP_3)
	v_fma_f32 v7, v19, s4, -v1
	v_add_co_u32 v3, s1, v4, v9
	s_delay_alu instid0(VALU_DEP_1)
	v_add_co_ci_u32_e64 v4, s1, v6, v10, s1
	v_cmp_eq_u32_e64 s1, v5, v2
	global_store_b64 v[3:4], v[7:8], off
	s_and_b32 exec_lo, exec_lo, s1
	s_cbranch_execz .LBB833_17
; %bb.16:
	v_mov_b32_e32 v1, 0
	global_store_b32 v[3:4], v1, off offset:4
.LBB833_17:
	s_or_b32 exec_lo, exec_lo, s3
	v_add_nc_u32_e32 v8, 16, v5
	s_delay_alu instid0(VALU_DEP_1) | instskip(SKIP_1) | instid1(VALU_DEP_2)
	v_mad_i64_i32 v[3:4], null, v8, s2, 0
	v_cmp_le_i32_e64 s1, v8, v0
	v_lshlrev_b64 v[3:4], 3, v[3:4]
	s_delay_alu instid0(VALU_DEP_1) | instskip(NEXT) | instid1(VALU_DEP_1)
	v_add_co_u32 v6, s2, s8, v3
	v_add_co_ci_u32_e64 v7, s2, s9, v4, s2
	s_delay_alu instid0(VALU_DEP_4) | instskip(NEXT) | instid1(SALU_CYCLE_1)
	s_and_b32 s2, s1, vcc_lo
	s_and_saveexec_b32 s1, s2
	s_cbranch_execz .LBB833_20
; %bb.18:
	v_ashrrev_i32_e32 v1, 31, v0
	v_mul_f32_e32 v10, s4, v18
	v_mul_f32_e32 v9, s5, v18
	s_delay_alu instid0(VALU_DEP_3) | instskip(NEXT) | instid1(VALU_DEP_3)
	v_lshlrev_b64 v[3:4], 3, v[0:1]
	v_fmac_f32_e32 v10, s5, v17
	s_delay_alu instid0(VALU_DEP_3) | instskip(NEXT) | instid1(VALU_DEP_3)
	v_fma_f32 v9, v17, s4, -v9
	v_add_co_u32 v3, vcc_lo, v6, v3
	s_delay_alu instid0(VALU_DEP_4)
	v_add_co_ci_u32_e32 v4, vcc_lo, v7, v4, vcc_lo
	v_cmp_eq_u32_e32 vcc_lo, v8, v0
	global_store_b64 v[3:4], v[9:10], off
	s_and_b32 exec_lo, exec_lo, vcc_lo
	s_cbranch_execz .LBB833_20
; %bb.19:
	v_mov_b32_e32 v1, 0
	global_store_b32 v[3:4], v1, off offset:4
.LBB833_20:
	s_or_b32 exec_lo, exec_lo, s1
	v_cmp_le_i32_e32 vcc_lo, v8, v2
	s_and_b32 s0, vcc_lo, s0
	s_delay_alu instid0(SALU_CYCLE_1)
	s_and_saveexec_b32 s1, s0
	s_cbranch_execz .LBB833_23
; %bb.21:
	v_ashrrev_i32_e32 v3, 31, v2
	v_mul_f32_e32 v8, s5, v16
	v_mul_f32_e32 v4, s4, v16
	s_delay_alu instid0(VALU_DEP_3) | instskip(NEXT) | instid1(VALU_DEP_3)
	v_lshlrev_b64 v[1:2], 3, v[2:3]
	v_fma_f32 v3, v15, s4, -v8
	s_delay_alu instid0(VALU_DEP_3) | instskip(NEXT) | instid1(VALU_DEP_3)
	v_fmac_f32_e32 v4, s5, v15
	v_add_co_u32 v1, vcc_lo, v6, v1
	s_delay_alu instid0(VALU_DEP_4)
	v_add_co_ci_u32_e32 v2, vcc_lo, v7, v2, vcc_lo
	v_cmp_eq_u32_e32 vcc_lo, v5, v0
	global_store_b64 v[1:2], v[3:4], off
	s_and_b32 exec_lo, exec_lo, vcc_lo
	s_cbranch_execz .LBB833_23
; %bb.22:
	v_mov_b32_e32 v0, 0
	global_store_b32 v[1:2], v0, off offset:4
.LBB833_23:
	s_nop 0
	s_sendmsg sendmsg(MSG_DEALLOC_VGPRS)
	s_endpgm
	.section	.rodata,"a",@progbits
	.p2align	6, 0x0
	.amdhsa_kernel _ZL34rocblas_syrkx_herkx_general_kernelIi19rocblas_complex_numIfELi16ELi32ELi8ELb1ELb1ELc67ELc76EKPKS1_KPS1_EviT_T0_PT8_S7_lSA_S7_lS8_PT9_S7_li
		.amdhsa_group_segment_fixed_size 4096
		.amdhsa_private_segment_fixed_size 0
		.amdhsa_kernarg_size 100
		.amdhsa_user_sgpr_count 13
		.amdhsa_user_sgpr_dispatch_ptr 0
		.amdhsa_user_sgpr_queue_ptr 0
		.amdhsa_user_sgpr_kernarg_segment_ptr 1
		.amdhsa_user_sgpr_dispatch_id 0
		.amdhsa_user_sgpr_private_segment_size 0
		.amdhsa_wavefront_size32 1
		.amdhsa_uses_dynamic_stack 0
		.amdhsa_enable_private_segment 0
		.amdhsa_system_sgpr_workgroup_id_x 1
		.amdhsa_system_sgpr_workgroup_id_y 1
		.amdhsa_system_sgpr_workgroup_id_z 1
		.amdhsa_system_sgpr_workgroup_info 0
		.amdhsa_system_vgpr_workitem_id 1
		.amdhsa_next_free_vgpr 60
		.amdhsa_next_free_sgpr 19
		.amdhsa_reserve_vcc 1
		.amdhsa_float_round_mode_32 0
		.amdhsa_float_round_mode_16_64 0
		.amdhsa_float_denorm_mode_32 3
		.amdhsa_float_denorm_mode_16_64 3
		.amdhsa_dx10_clamp 1
		.amdhsa_ieee_mode 1
		.amdhsa_fp16_overflow 0
		.amdhsa_workgroup_processor_mode 1
		.amdhsa_memory_ordered 1
		.amdhsa_forward_progress 0
		.amdhsa_shared_vgpr_count 0
		.amdhsa_exception_fp_ieee_invalid_op 0
		.amdhsa_exception_fp_denorm_src 0
		.amdhsa_exception_fp_ieee_div_zero 0
		.amdhsa_exception_fp_ieee_overflow 0
		.amdhsa_exception_fp_ieee_underflow 0
		.amdhsa_exception_fp_ieee_inexact 0
		.amdhsa_exception_int_div_zero 0
	.end_amdhsa_kernel
	.section	.text._ZL34rocblas_syrkx_herkx_general_kernelIi19rocblas_complex_numIfELi16ELi32ELi8ELb1ELb1ELc67ELc76EKPKS1_KPS1_EviT_T0_PT8_S7_lSA_S7_lS8_PT9_S7_li,"axG",@progbits,_ZL34rocblas_syrkx_herkx_general_kernelIi19rocblas_complex_numIfELi16ELi32ELi8ELb1ELb1ELc67ELc76EKPKS1_KPS1_EviT_T0_PT8_S7_lSA_S7_lS8_PT9_S7_li,comdat
.Lfunc_end833:
	.size	_ZL34rocblas_syrkx_herkx_general_kernelIi19rocblas_complex_numIfELi16ELi32ELi8ELb1ELb1ELc67ELc76EKPKS1_KPS1_EviT_T0_PT8_S7_lSA_S7_lS8_PT9_S7_li, .Lfunc_end833-_ZL34rocblas_syrkx_herkx_general_kernelIi19rocblas_complex_numIfELi16ELi32ELi8ELb1ELb1ELc67ELc76EKPKS1_KPS1_EviT_T0_PT8_S7_lSA_S7_lS8_PT9_S7_li
                                        ; -- End function
	.section	.AMDGPU.csdata,"",@progbits
; Kernel info:
; codeLenInByte = 2528
; NumSgprs: 21
; NumVgprs: 60
; ScratchSize: 0
; MemoryBound: 1
; FloatMode: 240
; IeeeMode: 1
; LDSByteSize: 4096 bytes/workgroup (compile time only)
; SGPRBlocks: 2
; VGPRBlocks: 7
; NumSGPRsForWavesPerEU: 21
; NumVGPRsForWavesPerEU: 60
; Occupancy: 16
; WaveLimiterHint : 1
; COMPUTE_PGM_RSRC2:SCRATCH_EN: 0
; COMPUTE_PGM_RSRC2:USER_SGPR: 13
; COMPUTE_PGM_RSRC2:TRAP_HANDLER: 0
; COMPUTE_PGM_RSRC2:TGID_X_EN: 1
; COMPUTE_PGM_RSRC2:TGID_Y_EN: 1
; COMPUTE_PGM_RSRC2:TGID_Z_EN: 1
; COMPUTE_PGM_RSRC2:TIDIG_COMP_CNT: 1
	.section	.text._ZL34rocblas_syrkx_herkx_general_kernelIi19rocblas_complex_numIfELi16ELi32ELi8ELb1ELb1ELc78ELc76EKPKS1_KPS1_EviT_T0_PT8_S7_lSA_S7_lS8_PT9_S7_li,"axG",@progbits,_ZL34rocblas_syrkx_herkx_general_kernelIi19rocblas_complex_numIfELi16ELi32ELi8ELb1ELb1ELc78ELc76EKPKS1_KPS1_EviT_T0_PT8_S7_lSA_S7_lS8_PT9_S7_li,comdat
	.globl	_ZL34rocblas_syrkx_herkx_general_kernelIi19rocblas_complex_numIfELi16ELi32ELi8ELb1ELb1ELc78ELc76EKPKS1_KPS1_EviT_T0_PT8_S7_lSA_S7_lS8_PT9_S7_li ; -- Begin function _ZL34rocblas_syrkx_herkx_general_kernelIi19rocblas_complex_numIfELi16ELi32ELi8ELb1ELb1ELc78ELc76EKPKS1_KPS1_EviT_T0_PT8_S7_lSA_S7_lS8_PT9_S7_li
	.p2align	8
	.type	_ZL34rocblas_syrkx_herkx_general_kernelIi19rocblas_complex_numIfELi16ELi32ELi8ELb1ELb1ELc78ELc76EKPKS1_KPS1_EviT_T0_PT8_S7_lSA_S7_lS8_PT9_S7_li,@function
_ZL34rocblas_syrkx_herkx_general_kernelIi19rocblas_complex_numIfELi16ELi32ELi8ELb1ELb1ELc78ELc76EKPKS1_KPS1_EviT_T0_PT8_S7_lSA_S7_lS8_PT9_S7_li: ; @_ZL34rocblas_syrkx_herkx_general_kernelIi19rocblas_complex_numIfELi16ELi32ELi8ELb1ELb1ELc78ELc76EKPKS1_KPS1_EviT_T0_PT8_S7_lSA_S7_lS8_PT9_S7_li
; %bb.0:
	s_clause 0x1
	s_load_b64 s[4:5], s[0:1], 0x48
	s_load_b64 s[10:11], s[0:1], 0x0
	s_mov_b32 s16, s15
	s_mov_b32 s17, 0
	v_dual_mov_b32 v21, 0 :: v_dual_and_b32 v6, 0x3ff, v0
	s_lshl_b64 s[2:3], s[16:17], 3
	v_bfe_u32 v7, v0, 10, 10
	v_dual_mov_b32 v22, 0 :: v_dual_mov_b32 v19, 0
	v_dual_mov_b32 v20, 0 :: v_dual_mov_b32 v17, 0
	;; [unrolled: 1-line block ×3, first 2 shown]
	v_mov_b32_e32 v16, 0
	s_waitcnt lgkmcnt(0)
	s_add_u32 s8, s4, s2
	s_addc_u32 s9, s5, s3
	s_load_b128 s[4:7], s[0:1], 0x8
	s_load_b64 s[8:9], s[8:9], 0x0
	s_lshl_b32 s15, s13, 5
	s_lshl_b32 s14, s14, 5
	s_cmp_lt_i32 s11, 1
	s_cbranch_scc1 .LBB834_11
; %bb.1:
	s_clause 0x2
	s_load_b32 s18, s[0:1], 0x18
	s_load_b32 s12, s[0:1], 0x30
	s_load_b64 s[20:21], s[0:1], 0x28
	v_lshl_add_u32 v0, v7, 4, v6
	v_and_b32_e32 v8, 7, v6
	v_dual_mov_b32 v17, 0 :: v_dual_lshlrev_b32 v12, 3, v6
	v_lshl_add_u32 v13, v7, 6, 0x800
	s_delay_alu instid0(VALU_DEP_4) | instskip(SKIP_3) | instid1(VALU_DEP_4)
	v_and_b32_e32 v1, 31, v0
	v_lshrrev_b32_e32 v9, 5, v0
	v_lshrrev_b32_e32 v3, 3, v0
	v_dual_mov_b32 v21, 0 :: v_dual_lshlrev_b32 v4, 3, v8
	v_or_b32_e32 v5, s15, v1
	v_add_nc_u32_e32 v0, s15, v1
	s_delay_alu instid0(VALU_DEP_4) | instskip(NEXT) | instid1(VALU_DEP_4)
	v_add_nc_u32_e32 v2, s14, v3
	v_lshl_or_b32 v3, v3, 6, v4
	v_dual_mov_b32 v19, 0 :: v_dual_lshlrev_b32 v10, 3, v1
	v_cmp_gt_i32_e32 vcc_lo, s10, v5
	s_waitcnt lgkmcnt(0)
	s_ashr_i32 s19, s18, 31
	s_ashr_i32 s13, s12, 31
	s_add_u32 s20, s20, s2
	s_addc_u32 s21, s21, s3
	s_add_u32 s2, s6, s2
	s_addc_u32 s3, s7, s3
	v_mad_i64_i32 v[4:5], null, v9, s18, 0
	s_load_b64 s[6:7], s[20:21], 0x0
	s_load_b64 s[20:21], s[2:3], 0x0
	v_ashrrev_i32_e32 v1, 31, v0
	v_mad_i64_i32 v[14:15], null, s12, v8, 0
	v_add_nc_u32_e32 v11, 0x800, v3
	v_ashrrev_i32_e32 v3, 31, v2
	v_lshlrev_b64 v[4:5], 3, v[4:5]
	v_lshlrev_b64 v[0:1], 3, v[0:1]
	v_cmp_gt_i32_e64 s2, s10, v2
	v_lshl_or_b32 v10, v9, 8, v10
	v_lshlrev_b64 v[14:15], 3, v[14:15]
	v_lshlrev_b64 v[2:3], 3, v[2:3]
	v_mov_b32_e32 v16, 0
	v_add_co_u32 v0, s3, v4, v0
	s_delay_alu instid0(VALU_DEP_1) | instskip(NEXT) | instid1(VALU_DEP_4)
	v_add_co_ci_u32_e64 v1, s3, v5, v1, s3
	v_add_co_u32 v2, s3, v14, v2
	v_mov_b32_e32 v14, 0
	v_add_co_ci_u32_e64 v3, s3, v15, v3, s3
	s_waitcnt lgkmcnt(0)
	v_add_co_u32 v0, s3, s20, v0
	s_delay_alu instid0(VALU_DEP_1) | instskip(SKIP_1) | instid1(VALU_DEP_1)
	v_add_co_ci_u32_e64 v1, s3, s21, v1, s3
	v_add_co_u32 v2, s3, v2, s6
	v_add_co_ci_u32_e64 v3, s3, s7, v3, s3
	v_mov_b32_e32 v4, 0
	s_delay_alu instid0(VALU_DEP_3) | instskip(NEXT) | instid1(VALU_DEP_1)
	v_add_co_u32 v2, s3, v2, 4
	v_add_co_ci_u32_e64 v3, s3, 0, v3, s3
	v_dual_mov_b32 v15, 0 :: v_dual_mov_b32 v18, 0
	v_mov_b32_e32 v20, 0
	v_mov_b32_e32 v22, 0
	s_lshl_b64 s[6:7], s[18:19], 6
	s_lshl_b64 s[12:13], s[12:13], 6
	s_xor_b32 s3, vcc_lo, -1
	s_xor_b32 s2, s2, -1
	s_branch .LBB834_3
.LBB834_2:                              ;   in Loop: Header=BB834_3 Depth=1
	s_or_b32 exec_lo, exec_lo, s16
	ds_store_b32 v11, v5 offset:4
	s_waitcnt lgkmcnt(0)
	s_barrier
	buffer_gl0_inv
	ds_load_2addr_b64 v[23:26], v12 offset1:16
	ds_load_b128 v[27:30], v13
	ds_load_b128 v[31:34], v13 offset:1024
	ds_load_b128 v[35:38], v13 offset:16
	;; [unrolled: 1-line block ×4, first 2 shown]
	ds_load_2addr_b64 v[47:50], v12 offset0:32 offset1:48
	ds_load_b128 v[51:54], v13 offset:1040
	v_add_co_u32 v0, vcc_lo, v0, s6
	v_add_co_ci_u32_e32 v1, vcc_lo, s7, v1, vcc_lo
	v_add_co_u32 v2, vcc_lo, v2, s12
	v_add_co_ci_u32_e32 v3, vcc_lo, s13, v3, vcc_lo
	s_add_i32 s17, s17, 8
	s_delay_alu instid0(SALU_CYCLE_1)
	s_cmp_ge_i32 s17, s11
	s_waitcnt lgkmcnt(6)
	v_mul_f32_e32 v5, v28, v24
	v_dual_mul_f32 v55, v27, v24 :: v_dual_mul_f32 v56, v28, v26
	s_waitcnt lgkmcnt(5)
	v_dual_mul_f32 v57, v27, v26 :: v_dual_mul_f32 v58, v32, v24
	v_dual_mul_f32 v24, v31, v24 :: v_dual_mul_f32 v59, v32, v26
	v_mul_f32_e32 v26, v31, v26
	v_fma_f32 v5, v27, v23, -v5
	v_fmac_f32_e32 v55, v28, v23
	v_fma_f32 v27, v27, v25, -v56
	v_fmac_f32_e32 v57, v28, v25
	v_fma_f32 v28, v31, v23, -v58
	v_dual_fmac_f32 v24, v32, v23 :: v_dual_add_f32 v5, v21, v5
	v_fma_f32 v23, v31, v25, -v59
	v_fmac_f32_e32 v26, v32, v25
	s_delay_alu instid0(VALU_DEP_4)
	v_dual_add_f32 v28, v17, v28 :: v_dual_add_f32 v21, v22, v55
	v_dual_add_f32 v22, v19, v27 :: v_dual_add_f32 v27, v20, v57
	v_add_f32_e32 v24, v18, v24
	ds_load_2addr_b64 v[17:20], v12 offset0:64 offset1:80
	s_waitcnt lgkmcnt(2)
	v_dual_mul_f32 v31, v30, v48 :: v_dual_add_f32 v16, v16, v26
	v_dual_add_f32 v15, v15, v23 :: v_dual_mul_f32 v26, v29, v50
	v_mul_f32_e32 v23, v29, v48
	s_delay_alu instid0(VALU_DEP_3) | instskip(SKIP_1) | instid1(VALU_DEP_4)
	v_fma_f32 v25, v29, v47, -v31
	v_mul_f32_e32 v31, v30, v50
	v_fmac_f32_e32 v26, v30, v49
	s_delay_alu instid0(VALU_DEP_4) | instskip(NEXT) | instid1(VALU_DEP_2)
	v_fmac_f32_e32 v23, v30, v47
	v_dual_add_f32 v5, v5, v25 :: v_dual_add_f32 v26, v27, v26
	v_mul_f32_e32 v27, v33, v50
	s_waitcnt lgkmcnt(0)
	s_delay_alu instid0(VALU_DEP_1) | instskip(NEXT) | instid1(VALU_DEP_1)
	v_dual_fmac_f32 v27, v34, v49 :: v_dual_mul_f32 v30, v35, v18
	v_add_f32_e32 v27, v16, v27
	s_delay_alu instid0(VALU_DEP_2) | instskip(SKIP_4) | instid1(VALU_DEP_3)
	v_fmac_f32_e32 v30, v36, v17
	v_fma_f32 v25, v29, v49, -v31
	v_dual_add_f32 v31, v21, v23 :: v_dual_mul_f32 v16, v35, v20
	v_mul_f32_e32 v29, v34, v48
	v_mul_f32_e32 v23, v34, v50
	v_dual_add_f32 v25, v22, v25 :: v_dual_add_f32 v30, v31, v30
	s_delay_alu instid0(VALU_DEP_4) | instskip(NEXT) | instid1(VALU_DEP_4)
	v_fmac_f32_e32 v16, v36, v19
	v_fma_f32 v22, v33, v47, -v29
	v_mul_f32_e32 v21, v33, v48
	v_mul_f32_e32 v31, v52, v18
	s_delay_alu instid0(VALU_DEP_3) | instskip(SKIP_1) | instid1(VALU_DEP_3)
	v_add_f32_e32 v28, v28, v22
	v_fma_f32 v22, v33, v49, -v23
	v_fma_f32 v31, v51, v17, -v31
	s_delay_alu instid0(VALU_DEP_2) | instskip(SKIP_2) | instid1(VALU_DEP_2)
	v_add_f32_e32 v15, v15, v22
	v_mul_f32_e32 v23, v36, v18
	v_dual_mul_f32 v18, v51, v18 :: v_dual_fmac_f32 v21, v34, v47
	v_fma_f32 v32, v35, v17, -v23
	s_delay_alu instid0(VALU_DEP_2) | instskip(NEXT) | instid1(VALU_DEP_3)
	v_fmac_f32_e32 v18, v52, v17
	v_add_f32_e32 v29, v24, v21
	ds_load_2addr_b64 v[21:24], v12 offset0:96 offset1:112
	v_mul_f32_e32 v33, v36, v20
	v_add_f32_e32 v5, v5, v32
	v_add_f32_e32 v31, v28, v31
	s_delay_alu instid0(VALU_DEP_3) | instskip(NEXT) | instid1(VALU_DEP_1)
	v_fma_f32 v32, v35, v19, -v33
	v_add_f32_e32 v25, v25, v32
	v_mul_f32_e32 v32, v52, v20
	v_mul_f32_e32 v20, v51, v20
	s_delay_alu instid0(VALU_DEP_1) | instskip(SKIP_2) | instid1(VALU_DEP_2)
	v_fmac_f32_e32 v20, v52, v19
	s_waitcnt lgkmcnt(0)
	v_mul_f32_e32 v28, v38, v24
	v_add_f32_e32 v34, v27, v20
	v_mul_f32_e32 v20, v37, v24
	s_delay_alu instid0(VALU_DEP_3)
	v_fma_f32 v27, v37, v23, -v28
	v_add_f32_e32 v33, v26, v16
	v_fma_f32 v16, v51, v19, -v32
	v_mul_f32_e32 v26, v37, v22
	v_add_f32_e32 v29, v29, v18
	v_mul_f32_e32 v19, v38, v22
	v_fmac_f32_e32 v20, v38, v23
	v_add_f32_e32 v32, v15, v16
	ds_load_2addr_b64 v[15:18], v12 offset0:128 offset1:144
	v_fmac_f32_e32 v26, v38, v21
	s_delay_alu instid0(VALU_DEP_1) | instskip(SKIP_3) | instid1(VALU_DEP_2)
	v_add_f32_e32 v35, v30, v26
	v_mul_f32_e32 v30, v54, v24
	v_mul_f32_e32 v24, v53, v24
	v_fma_f32 v19, v37, v21, -v19
	v_fmac_f32_e32 v24, v54, v23
	s_delay_alu instid0(VALU_DEP_1) | instskip(SKIP_2) | instid1(VALU_DEP_1)
	v_dual_add_f32 v5, v5, v19 :: v_dual_add_f32 v24, v34, v24
	s_waitcnt lgkmcnt(0)
	v_mul_f32_e32 v34, v39, v18
	v_dual_mul_f32 v19, v54, v22 :: v_dual_fmac_f32 v34, v40, v17
	s_delay_alu instid0(VALU_DEP_1) | instskip(NEXT) | instid1(VALU_DEP_1)
	v_fma_f32 v19, v53, v21, -v19
	v_dual_mul_f32 v22, v53, v22 :: v_dual_add_f32 v37, v31, v19
	s_delay_alu instid0(VALU_DEP_1)
	v_fmac_f32_e32 v22, v54, v21
	v_add_f32_e32 v36, v25, v27
	ds_load_b128 v[25:28], v13 offset:1056
	v_add_f32_e32 v33, v33, v20
	v_fma_f32 v20, v53, v23, -v30
	v_dual_mul_f32 v19, v40, v16 :: v_dual_add_f32 v38, v29, v22
	v_dual_mul_f32 v47, v39, v16 :: v_dual_mul_f32 v30, v40, v18
	s_delay_alu instid0(VALU_DEP_3) | instskip(NEXT) | instid1(VALU_DEP_3)
	v_add_f32_e32 v23, v32, v20
	v_fma_f32 v29, v39, v15, -v19
	ds_load_2addr_b64 v[19:22], v12 offset0:160 offset1:176
	v_fmac_f32_e32 v47, v40, v15
	v_fma_f32 v39, v39, v17, -v30
	v_add_f32_e32 v5, v5, v29
	ds_load_b128 v[29:32], v13 offset:1072
	v_add_f32_e32 v36, v36, v39
	s_waitcnt lgkmcnt(2)
	v_mul_f32_e32 v48, v26, v16
	v_mul_f32_e32 v16, v25, v16
	v_dual_mul_f32 v40, v26, v18 :: v_dual_add_f32 v35, v35, v47
	v_add_f32_e32 v33, v33, v34
	s_delay_alu instid0(VALU_DEP_4) | instskip(NEXT) | instid1(VALU_DEP_4)
	v_fma_f32 v39, v25, v15, -v48
	v_fmac_f32_e32 v16, v26, v15
	v_mul_f32_e32 v34, v25, v18
	v_fma_f32 v15, v25, v17, -v40
	s_waitcnt lgkmcnt(1)
	v_dual_mul_f32 v18, v42, v20 :: v_dual_add_f32 v37, v37, v39
	v_mul_f32_e32 v39, v42, v22
	v_fmac_f32_e32 v34, v26, v17
	v_add_f32_e32 v25, v38, v16
	v_add_f32_e32 v23, v23, v15
	v_fma_f32 v38, v41, v19, -v18
	v_mul_f32_e32 v26, v41, v20
	ds_load_2addr_b64 v[15:18], v12 offset0:192 offset1:208
	v_add_f32_e32 v5, v5, v38
	v_add_f32_e32 v34, v24, v34
	v_mul_f32_e32 v24, v41, v22
	v_fma_f32 v38, v41, v21, -v39
	s_delay_alu instid0(VALU_DEP_2) | instskip(SKIP_1) | instid1(VALU_DEP_3)
	v_fmac_f32_e32 v24, v42, v21
	v_fmac_f32_e32 v26, v42, v19
	v_add_f32_e32 v36, v36, v38
	s_delay_alu instid0(VALU_DEP_2) | instskip(NEXT) | instid1(VALU_DEP_1)
	v_dual_add_f32 v35, v35, v26 :: v_dual_mul_f32 v26, v28, v20
	v_fma_f32 v26, v27, v19, -v26
	v_mul_f32_e32 v20, v27, v20
	s_delay_alu instid0(VALU_DEP_1) | instskip(SKIP_2) | instid1(VALU_DEP_1)
	v_dual_fmac_f32 v20, v28, v19 :: v_dual_add_f32 v19, v33, v24
	s_waitcnt lgkmcnt(0)
	v_mul_f32_e32 v33, v44, v16
	v_fma_f32 v33, v43, v15, -v33
	v_mul_f32_e32 v38, v28, v22
	s_delay_alu instid0(VALU_DEP_2) | instskip(NEXT) | instid1(VALU_DEP_2)
	v_dual_mul_f32 v22, v27, v22 :: v_dual_add_f32 v5, v5, v33
	v_fma_f32 v24, v27, v21, -v38
	v_add_f32_e32 v27, v37, v26
	v_mul_f32_e32 v37, v43, v18
	v_mul_f32_e32 v33, v30, v16
	s_delay_alu instid0(VALU_DEP_2)
	v_dual_add_f32 v20, v25, v20 :: v_dual_fmac_f32 v37, v44, v17
	v_dual_fmac_f32 v22, v28, v21 :: v_dual_add_f32 v21, v23, v24
	ds_load_2addr_b64 v[23:26], v12 offset0:224 offset1:240
	v_mul_f32_e32 v28, v43, v16
	v_mul_f32_e32 v16, v29, v16
	v_fma_f32 v33, v29, v15, -v33
	s_waitcnt lgkmcnt(0)
	s_barrier
	v_fmac_f32_e32 v28, v44, v15
	s_delay_alu instid0(VALU_DEP_2)
	v_dual_fmac_f32 v16, v30, v15 :: v_dual_add_f32 v15, v27, v33
	buffer_gl0_inv
	v_dual_add_f32 v28, v35, v28 :: v_dual_mul_f32 v35, v30, v18
	v_mul_f32_e32 v27, v46, v24
	v_add_f32_e32 v22, v34, v22
	v_mul_f32_e32 v34, v44, v18
	s_delay_alu instid0(VALU_DEP_1) | instskip(NEXT) | instid1(VALU_DEP_1)
	v_fma_f32 v34, v43, v17, -v34
	v_add_f32_e32 v34, v36, v34
	v_add_f32_e32 v36, v19, v37
	v_mul_f32_e32 v18, v29, v18
	v_fma_f32 v19, v29, v17, -v35
	s_delay_alu instid0(VALU_DEP_2) | instskip(NEXT) | instid1(VALU_DEP_2)
	v_dual_mul_f32 v29, v45, v24 :: v_dual_fmac_f32 v18, v30, v17
	v_add_f32_e32 v30, v21, v19
	v_fma_f32 v17, v45, v23, -v27
	v_mul_f32_e32 v19, v46, v26
	s_delay_alu instid0(VALU_DEP_4) | instskip(SKIP_1) | instid1(VALU_DEP_4)
	v_fmac_f32_e32 v29, v46, v23
	v_dual_add_f32 v27, v22, v18 :: v_dual_mul_f32 v18, v31, v24
	v_add_f32_e32 v21, v5, v17
	s_delay_alu instid0(VALU_DEP_4)
	v_fma_f32 v5, v45, v25, -v19
	v_mul_f32_e32 v17, v32, v24
	v_mul_f32_e32 v24, v32, v26
	v_fmac_f32_e32 v18, v32, v23
	v_add_f32_e32 v22, v28, v29
	v_add_f32_e32 v19, v34, v5
	v_fma_f32 v5, v31, v23, -v17
	v_fma_f32 v23, v31, v25, -v24
	v_add_f32_e32 v16, v20, v16
	v_mul_f32_e32 v20, v45, v26
	v_mul_f32_e32 v26, v31, v26
	v_add_f32_e32 v17, v15, v5
	s_delay_alu instid0(VALU_DEP_4) | instskip(NEXT) | instid1(VALU_DEP_4)
	v_dual_add_f32 v15, v30, v23 :: v_dual_add_f32 v18, v16, v18
	v_fmac_f32_e32 v20, v46, v25
	s_delay_alu instid0(VALU_DEP_4) | instskip(NEXT) | instid1(VALU_DEP_2)
	v_fmac_f32_e32 v26, v32, v25
	v_add_f32_e32 v20, v36, v20
	s_delay_alu instid0(VALU_DEP_2)
	v_add_f32_e32 v16, v27, v26
	s_cbranch_scc1 .LBB834_11
.LBB834_3:                              ; =>This Inner Loop Header: Depth=1
	v_add_nc_u32_e32 v5, s17, v9
	s_delay_alu instid0(VALU_DEP_1) | instskip(SKIP_1) | instid1(SALU_CYCLE_1)
	v_cmp_le_i32_e32 vcc_lo, s11, v5
	s_or_b32 s16, s3, vcc_lo
	s_and_saveexec_b32 s18, s16
	s_delay_alu instid0(SALU_CYCLE_1)
	s_xor_b32 s16, exec_lo, s18
	s_cbranch_execz .LBB834_5
; %bb.4:                                ;   in Loop: Header=BB834_3 Depth=1
	v_mov_b32_e32 v5, v4
	ds_store_b64 v10, v[4:5]
.LBB834_5:                              ;   in Loop: Header=BB834_3 Depth=1
	s_and_not1_saveexec_b32 s16, s16
	s_cbranch_execz .LBB834_7
; %bb.6:                                ;   in Loop: Header=BB834_3 Depth=1
	global_load_b64 v[23:24], v[0:1], off
	s_waitcnt vmcnt(0)
	ds_store_b64 v10, v[23:24]
.LBB834_7:                              ;   in Loop: Header=BB834_3 Depth=1
	s_or_b32 exec_lo, exec_lo, s16
	v_add_nc_u32_e32 v5, s17, v8
                                        ; implicit-def: $sgpr18
	s_delay_alu instid0(VALU_DEP_1) | instskip(SKIP_1) | instid1(SALU_CYCLE_1)
	v_cmp_le_i32_e32 vcc_lo, s11, v5
	s_or_b32 s16, vcc_lo, s2
	s_and_saveexec_b32 s19, s16
	s_delay_alu instid0(SALU_CYCLE_1)
	s_xor_b32 s16, exec_lo, s19
	s_cbranch_execz .LBB834_9
; %bb.8:                                ;   in Loop: Header=BB834_3 Depth=1
	s_mov_b32 s18, 0
	ds_store_b32 v11, v14
.LBB834_9:                              ;   in Loop: Header=BB834_3 Depth=1
	s_or_saveexec_b32 s16, s16
	v_mov_b32_e32 v5, s18
	s_xor_b32 exec_lo, exec_lo, s16
	s_cbranch_execz .LBB834_2
; %bb.10:                               ;   in Loop: Header=BB834_3 Depth=1
	global_load_b64 v[23:24], v[2:3], off offset:-4
	s_waitcnt vmcnt(0)
	v_xor_b32_e32 v5, 0x80000000, v24
	ds_store_b32 v11, v23
	s_branch .LBB834_2
.LBB834_11:
	s_load_b32 s2, s[0:1], 0x50
	v_add_nc_u32_e32 v5, s14, v7
	v_add_nc_u32_e32 v0, s15, v6
	s_delay_alu instid0(VALU_DEP_1) | instskip(SKIP_1) | instid1(VALU_DEP_2)
	v_cmp_le_i32_e64 s0, v5, v0
	v_cmp_gt_i32_e32 vcc_lo, s10, v0
	s_and_b32 s0, s0, vcc_lo
	s_waitcnt lgkmcnt(0)
	v_mad_i64_i32 v[1:2], null, v5, s2, 0
	s_delay_alu instid0(VALU_DEP_1) | instskip(NEXT) | instid1(VALU_DEP_1)
	v_lshlrev_b64 v[1:2], 3, v[1:2]
	v_add_co_u32 v4, s1, s8, v1
	s_delay_alu instid0(VALU_DEP_1)
	v_add_co_ci_u32_e64 v6, s1, s9, v2, s1
	s_and_saveexec_b32 s1, s0
	s_cbranch_execz .LBB834_14
; %bb.12:
	v_ashrrev_i32_e32 v1, 31, v0
	v_mul_f32_e32 v8, s4, v22
	v_mul_f32_e32 v3, s5, v22
	s_delay_alu instid0(VALU_DEP_3) | instskip(NEXT) | instid1(VALU_DEP_3)
	v_lshlrev_b64 v[1:2], 3, v[0:1]
	v_fmac_f32_e32 v8, s5, v21
	s_delay_alu instid0(VALU_DEP_3) | instskip(NEXT) | instid1(VALU_DEP_3)
	v_fma_f32 v7, v21, s4, -v3
	v_add_co_u32 v1, s0, v4, v1
	s_delay_alu instid0(VALU_DEP_1)
	v_add_co_ci_u32_e64 v2, s0, v6, v2, s0
	v_cmp_eq_u32_e64 s0, v5, v0
	global_store_b64 v[1:2], v[7:8], off
	s_and_b32 exec_lo, exec_lo, s0
	s_cbranch_execz .LBB834_14
; %bb.13:
	v_mov_b32_e32 v3, 0
	global_store_b32 v[1:2], v3, off offset:4
.LBB834_14:
	s_or_b32 exec_lo, exec_lo, s1
	v_add_nc_u32_e32 v2, 16, v0
	s_delay_alu instid0(VALU_DEP_1) | instskip(SKIP_1) | instid1(VALU_DEP_1)
	v_cmp_le_i32_e64 s1, v5, v2
	v_cmp_gt_i32_e64 s0, s10, v2
	s_and_b32 s1, s1, s0
	s_delay_alu instid0(SALU_CYCLE_1)
	s_and_saveexec_b32 s3, s1
	s_cbranch_execz .LBB834_17
; %bb.15:
	v_ashrrev_i32_e32 v3, 31, v2
	v_mul_f32_e32 v8, s4, v20
	v_mul_f32_e32 v1, s5, v20
	s_delay_alu instid0(VALU_DEP_3) | instskip(NEXT) | instid1(VALU_DEP_3)
	v_lshlrev_b64 v[9:10], 3, v[2:3]
	v_fmac_f32_e32 v8, s5, v19
	s_delay_alu instid0(VALU_DEP_3) | instskip(NEXT) | instid1(VALU_DEP_3)
	v_fma_f32 v7, v19, s4, -v1
	v_add_co_u32 v3, s1, v4, v9
	s_delay_alu instid0(VALU_DEP_1)
	v_add_co_ci_u32_e64 v4, s1, v6, v10, s1
	v_cmp_eq_u32_e64 s1, v5, v2
	global_store_b64 v[3:4], v[7:8], off
	s_and_b32 exec_lo, exec_lo, s1
	s_cbranch_execz .LBB834_17
; %bb.16:
	v_mov_b32_e32 v1, 0
	global_store_b32 v[3:4], v1, off offset:4
.LBB834_17:
	s_or_b32 exec_lo, exec_lo, s3
	v_add_nc_u32_e32 v8, 16, v5
	s_delay_alu instid0(VALU_DEP_1) | instskip(SKIP_1) | instid1(VALU_DEP_2)
	v_mad_i64_i32 v[3:4], null, v8, s2, 0
	v_cmp_le_i32_e64 s1, v8, v0
	v_lshlrev_b64 v[3:4], 3, v[3:4]
	s_delay_alu instid0(VALU_DEP_1) | instskip(NEXT) | instid1(VALU_DEP_1)
	v_add_co_u32 v6, s2, s8, v3
	v_add_co_ci_u32_e64 v7, s2, s9, v4, s2
	s_delay_alu instid0(VALU_DEP_4) | instskip(NEXT) | instid1(SALU_CYCLE_1)
	s_and_b32 s2, s1, vcc_lo
	s_and_saveexec_b32 s1, s2
	s_cbranch_execz .LBB834_20
; %bb.18:
	v_ashrrev_i32_e32 v1, 31, v0
	v_mul_f32_e32 v10, s4, v18
	v_mul_f32_e32 v9, s5, v18
	s_delay_alu instid0(VALU_DEP_3) | instskip(NEXT) | instid1(VALU_DEP_3)
	v_lshlrev_b64 v[3:4], 3, v[0:1]
	v_fmac_f32_e32 v10, s5, v17
	s_delay_alu instid0(VALU_DEP_3) | instskip(NEXT) | instid1(VALU_DEP_3)
	v_fma_f32 v9, v17, s4, -v9
	v_add_co_u32 v3, vcc_lo, v6, v3
	s_delay_alu instid0(VALU_DEP_4)
	v_add_co_ci_u32_e32 v4, vcc_lo, v7, v4, vcc_lo
	v_cmp_eq_u32_e32 vcc_lo, v8, v0
	global_store_b64 v[3:4], v[9:10], off
	s_and_b32 exec_lo, exec_lo, vcc_lo
	s_cbranch_execz .LBB834_20
; %bb.19:
	v_mov_b32_e32 v1, 0
	global_store_b32 v[3:4], v1, off offset:4
.LBB834_20:
	s_or_b32 exec_lo, exec_lo, s1
	v_cmp_le_i32_e32 vcc_lo, v8, v2
	s_and_b32 s0, vcc_lo, s0
	s_delay_alu instid0(SALU_CYCLE_1)
	s_and_saveexec_b32 s1, s0
	s_cbranch_execz .LBB834_23
; %bb.21:
	v_ashrrev_i32_e32 v3, 31, v2
	v_mul_f32_e32 v8, s5, v16
	v_mul_f32_e32 v4, s4, v16
	s_delay_alu instid0(VALU_DEP_3) | instskip(NEXT) | instid1(VALU_DEP_3)
	v_lshlrev_b64 v[1:2], 3, v[2:3]
	v_fma_f32 v3, v15, s4, -v8
	s_delay_alu instid0(VALU_DEP_3) | instskip(NEXT) | instid1(VALU_DEP_3)
	v_fmac_f32_e32 v4, s5, v15
	v_add_co_u32 v1, vcc_lo, v6, v1
	s_delay_alu instid0(VALU_DEP_4)
	v_add_co_ci_u32_e32 v2, vcc_lo, v7, v2, vcc_lo
	v_cmp_eq_u32_e32 vcc_lo, v5, v0
	global_store_b64 v[1:2], v[3:4], off
	s_and_b32 exec_lo, exec_lo, vcc_lo
	s_cbranch_execz .LBB834_23
; %bb.22:
	v_mov_b32_e32 v0, 0
	global_store_b32 v[1:2], v0, off offset:4
.LBB834_23:
	s_nop 0
	s_sendmsg sendmsg(MSG_DEALLOC_VGPRS)
	s_endpgm
	.section	.rodata,"a",@progbits
	.p2align	6, 0x0
	.amdhsa_kernel _ZL34rocblas_syrkx_herkx_general_kernelIi19rocblas_complex_numIfELi16ELi32ELi8ELb1ELb1ELc78ELc76EKPKS1_KPS1_EviT_T0_PT8_S7_lSA_S7_lS8_PT9_S7_li
		.amdhsa_group_segment_fixed_size 4096
		.amdhsa_private_segment_fixed_size 0
		.amdhsa_kernarg_size 100
		.amdhsa_user_sgpr_count 13
		.amdhsa_user_sgpr_dispatch_ptr 0
		.amdhsa_user_sgpr_queue_ptr 0
		.amdhsa_user_sgpr_kernarg_segment_ptr 1
		.amdhsa_user_sgpr_dispatch_id 0
		.amdhsa_user_sgpr_private_segment_size 0
		.amdhsa_wavefront_size32 1
		.amdhsa_uses_dynamic_stack 0
		.amdhsa_enable_private_segment 0
		.amdhsa_system_sgpr_workgroup_id_x 1
		.amdhsa_system_sgpr_workgroup_id_y 1
		.amdhsa_system_sgpr_workgroup_id_z 1
		.amdhsa_system_sgpr_workgroup_info 0
		.amdhsa_system_vgpr_workitem_id 1
		.amdhsa_next_free_vgpr 60
		.amdhsa_next_free_sgpr 22
		.amdhsa_reserve_vcc 1
		.amdhsa_float_round_mode_32 0
		.amdhsa_float_round_mode_16_64 0
		.amdhsa_float_denorm_mode_32 3
		.amdhsa_float_denorm_mode_16_64 3
		.amdhsa_dx10_clamp 1
		.amdhsa_ieee_mode 1
		.amdhsa_fp16_overflow 0
		.amdhsa_workgroup_processor_mode 1
		.amdhsa_memory_ordered 1
		.amdhsa_forward_progress 0
		.amdhsa_shared_vgpr_count 0
		.amdhsa_exception_fp_ieee_invalid_op 0
		.amdhsa_exception_fp_denorm_src 0
		.amdhsa_exception_fp_ieee_div_zero 0
		.amdhsa_exception_fp_ieee_overflow 0
		.amdhsa_exception_fp_ieee_underflow 0
		.amdhsa_exception_fp_ieee_inexact 0
		.amdhsa_exception_int_div_zero 0
	.end_amdhsa_kernel
	.section	.text._ZL34rocblas_syrkx_herkx_general_kernelIi19rocblas_complex_numIfELi16ELi32ELi8ELb1ELb1ELc78ELc76EKPKS1_KPS1_EviT_T0_PT8_S7_lSA_S7_lS8_PT9_S7_li,"axG",@progbits,_ZL34rocblas_syrkx_herkx_general_kernelIi19rocblas_complex_numIfELi16ELi32ELi8ELb1ELb1ELc78ELc76EKPKS1_KPS1_EviT_T0_PT8_S7_lSA_S7_lS8_PT9_S7_li,comdat
.Lfunc_end834:
	.size	_ZL34rocblas_syrkx_herkx_general_kernelIi19rocblas_complex_numIfELi16ELi32ELi8ELb1ELb1ELc78ELc76EKPKS1_KPS1_EviT_T0_PT8_S7_lSA_S7_lS8_PT9_S7_li, .Lfunc_end834-_ZL34rocblas_syrkx_herkx_general_kernelIi19rocblas_complex_numIfELi16ELi32ELi8ELb1ELb1ELc78ELc76EKPKS1_KPS1_EviT_T0_PT8_S7_lSA_S7_lS8_PT9_S7_li
                                        ; -- End function
	.section	.AMDGPU.csdata,"",@progbits
; Kernel info:
; codeLenInByte = 2556
; NumSgprs: 24
; NumVgprs: 60
; ScratchSize: 0
; MemoryBound: 1
; FloatMode: 240
; IeeeMode: 1
; LDSByteSize: 4096 bytes/workgroup (compile time only)
; SGPRBlocks: 2
; VGPRBlocks: 7
; NumSGPRsForWavesPerEU: 24
; NumVGPRsForWavesPerEU: 60
; Occupancy: 16
; WaveLimiterHint : 1
; COMPUTE_PGM_RSRC2:SCRATCH_EN: 0
; COMPUTE_PGM_RSRC2:USER_SGPR: 13
; COMPUTE_PGM_RSRC2:TRAP_HANDLER: 0
; COMPUTE_PGM_RSRC2:TGID_X_EN: 1
; COMPUTE_PGM_RSRC2:TGID_Y_EN: 1
; COMPUTE_PGM_RSRC2:TGID_Z_EN: 1
; COMPUTE_PGM_RSRC2:TIDIG_COMP_CNT: 1
	.section	.text._ZL34rocblas_syrkx_herkx_general_kernelIi19rocblas_complex_numIfELi16ELi32ELi8ELb1ELb1ELc84ELc85EKPKS1_KPS1_EviT_T0_PT8_S7_lSA_S7_lS8_PT9_S7_li,"axG",@progbits,_ZL34rocblas_syrkx_herkx_general_kernelIi19rocblas_complex_numIfELi16ELi32ELi8ELb1ELb1ELc84ELc85EKPKS1_KPS1_EviT_T0_PT8_S7_lSA_S7_lS8_PT9_S7_li,comdat
	.globl	_ZL34rocblas_syrkx_herkx_general_kernelIi19rocblas_complex_numIfELi16ELi32ELi8ELb1ELb1ELc84ELc85EKPKS1_KPS1_EviT_T0_PT8_S7_lSA_S7_lS8_PT9_S7_li ; -- Begin function _ZL34rocblas_syrkx_herkx_general_kernelIi19rocblas_complex_numIfELi16ELi32ELi8ELb1ELb1ELc84ELc85EKPKS1_KPS1_EviT_T0_PT8_S7_lSA_S7_lS8_PT9_S7_li
	.p2align	8
	.type	_ZL34rocblas_syrkx_herkx_general_kernelIi19rocblas_complex_numIfELi16ELi32ELi8ELb1ELb1ELc84ELc85EKPKS1_KPS1_EviT_T0_PT8_S7_lSA_S7_lS8_PT9_S7_li,@function
_ZL34rocblas_syrkx_herkx_general_kernelIi19rocblas_complex_numIfELi16ELi32ELi8ELb1ELb1ELc84ELc85EKPKS1_KPS1_EviT_T0_PT8_S7_lSA_S7_lS8_PT9_S7_li: ; @_ZL34rocblas_syrkx_herkx_general_kernelIi19rocblas_complex_numIfELi16ELi32ELi8ELb1ELb1ELc84ELc85EKPKS1_KPS1_EviT_T0_PT8_S7_lSA_S7_lS8_PT9_S7_li
; %bb.0:
	s_clause 0x1
	s_load_b64 s[4:5], s[0:1], 0x48
	s_load_b64 s[8:9], s[0:1], 0x0
	s_mov_b32 s16, s15
	s_mov_b32 s17, 0
	v_dual_mov_b32 v21, 0 :: v_dual_and_b32 v6, 0x3ff, v0
	s_lshl_b64 s[2:3], s[16:17], 3
	v_bfe_u32 v7, v0, 10, 10
	v_dual_mov_b32 v20, 0 :: v_dual_mov_b32 v19, 0
	v_dual_mov_b32 v18, 0 :: v_dual_mov_b32 v17, 0
	;; [unrolled: 1-line block ×3, first 2 shown]
	v_mov_b32_e32 v14, 0
	s_waitcnt lgkmcnt(0)
	s_add_u32 s10, s4, s2
	s_addc_u32 s11, s5, s3
	s_load_b128 s[4:7], s[0:1], 0x8
	s_load_b64 s[10:11], s[10:11], 0x0
	s_lshl_b32 s12, s13, 5
	s_lshl_b32 s13, s14, 5
	s_cmp_lt_i32 s9, 1
	s_cbranch_scc1 .LBB835_11
; %bb.1:
	s_clause 0x1
	s_load_b64 s[14:15], s[0:1], 0x28
	s_load_b32 s16, s[0:1], 0x18
	v_lshl_add_u32 v0, v7, 4, v6
	s_load_b32 s18, s[0:1], 0x30
	v_and_b32_e32 v8, 7, v6
	v_lshlrev_b32_e32 v9, 3, v6
	v_lshl_add_u32 v10, v7, 6, 0x800
	v_and_b32_e32 v1, 31, v0
	v_lshrrev_b32_e32 v2, 3, v0
	v_lshrrev_b32_e32 v11, 5, v0
	v_dual_mov_b32 v19, 0 :: v_dual_mov_b32 v18, 0
	s_delay_alu instid0(VALU_DEP_4) | instskip(SKIP_4) | instid1(VALU_DEP_4)
	v_add_nc_u32_e32 v3, s12, v1
	v_or_b32_e32 v12, s12, v1
	v_dual_mov_b32 v20, 0 :: v_dual_lshlrev_b32 v13, 3, v1
	v_lshlrev_b32_e32 v15, 3, v11
	v_dual_mov_b32 v16, 0 :: v_dual_add_nc_u32 v5, s13, v2
	v_cmp_gt_i32_e32 vcc_lo, s8, v12
	s_waitcnt lgkmcnt(0)
	s_add_u32 s14, s14, s2
	v_mad_i64_i32 v[0:1], null, s16, v3, 0
	s_addc_u32 s15, s15, s3
	s_add_u32 s2, s6, s2
	s_addc_u32 s3, s7, s3
	s_load_b64 s[14:15], s[14:15], 0x0
	s_load_b64 s[6:7], s[2:3], 0x0
	v_cmp_gt_i32_e64 s2, s8, v5
	s_delay_alu instid0(VALU_DEP_2) | instskip(SKIP_4) | instid1(VALU_DEP_4)
	v_lshlrev_b64 v[0:1], 3, v[0:1]
	v_lshl_or_b32 v12, v11, 8, v13
	v_mov_b32_e32 v21, 0
	v_mov_b32_e32 v17, 0
	s_xor_b32 s2, s2, -1
	v_add_co_u32 v0, s3, v0, v15
	v_dual_mov_b32 v15, 0 :: v_dual_lshlrev_b32 v4, 3, v8
	v_add_co_ci_u32_e64 v1, s3, 0, v1, s3
	s_delay_alu instid0(VALU_DEP_2) | instskip(SKIP_1) | instid1(VALU_DEP_2)
	v_lshl_or_b32 v14, v2, 6, v4
	v_mad_i64_i32 v[2:3], null, s18, v5, 0
	v_dual_mov_b32 v14, 0 :: v_dual_add_nc_u32 v13, 0x800, v14
	s_delay_alu instid0(VALU_DEP_2) | instskip(NEXT) | instid1(VALU_DEP_1)
	v_lshlrev_b64 v[2:3], 3, v[2:3]
	v_add_co_u32 v2, s3, v2, v4
	s_delay_alu instid0(VALU_DEP_1) | instskip(SKIP_2) | instid1(VALU_DEP_1)
	v_add_co_ci_u32_e64 v3, s3, 0, v3, s3
	s_waitcnt lgkmcnt(0)
	v_add_co_u32 v0, s3, s6, v0
	v_add_co_ci_u32_e64 v1, s3, s7, v1, s3
	v_add_co_u32 v2, s3, s14, v2
	s_delay_alu instid0(VALU_DEP_1)
	v_add_co_ci_u32_e64 v3, s3, s15, v3, s3
	v_mov_b32_e32 v4, 0
	s_xor_b32 s3, vcc_lo, -1
	s_branch .LBB835_3
.LBB835_2:                              ;   in Loop: Header=BB835_3 Depth=1
	s_or_b32 exec_lo, exec_lo, s6
	s_waitcnt lgkmcnt(0)
	s_barrier
	buffer_gl0_inv
	ds_load_2addr_b64 v[22:25], v9 offset1:16
	ds_load_b128 v[26:29], v10
	ds_load_b128 v[30:33], v10 offset:1024
	ds_load_b128 v[34:37], v10 offset:16
	;; [unrolled: 1-line block ×4, first 2 shown]
	ds_load_2addr_b64 v[46:49], v9 offset0:32 offset1:48
	ds_load_b128 v[50:53], v10 offset:1040
	v_add_co_u32 v0, vcc_lo, v0, 64
	v_add_co_ci_u32_e32 v1, vcc_lo, 0, v1, vcc_lo
	v_add_co_u32 v2, vcc_lo, v2, 64
	v_add_co_ci_u32_e32 v3, vcc_lo, 0, v3, vcc_lo
	s_add_i32 s17, s17, 8
	s_delay_alu instid0(SALU_CYCLE_1)
	s_cmp_ge_i32 s17, s9
	s_waitcnt lgkmcnt(6)
	v_dual_mul_f32 v5, v27, v23 :: v_dual_mul_f32 v56, v26, v25
	v_dual_mul_f32 v54, v26, v23 :: v_dual_mul_f32 v55, v27, v25
	s_waitcnt lgkmcnt(5)
	v_mul_f32_e32 v58, v31, v25
	s_delay_alu instid0(VALU_DEP_3) | instskip(SKIP_3) | instid1(VALU_DEP_4)
	v_fma_f32 v5, v26, v22, -v5
	v_dual_mul_f32 v25, v30, v25 :: v_dual_fmac_f32 v56, v27, v24
	v_fmac_f32_e32 v54, v27, v22
	v_fma_f32 v26, v26, v24, -v55
	v_add_f32_e32 v5, v20, v5
	v_mul_f32_e32 v57, v31, v23
	s_delay_alu instid0(VALU_DEP_4) | instskip(SKIP_2) | instid1(VALU_DEP_4)
	v_dual_mul_f32 v23, v30, v23 :: v_dual_add_f32 v20, v21, v54
	v_fmac_f32_e32 v25, v31, v24
	v_dual_add_f32 v21, v18, v26 :: v_dual_add_f32 v26, v19, v56
	v_fma_f32 v27, v30, v22, -v57
	s_delay_alu instid0(VALU_DEP_4) | instskip(SKIP_3) | instid1(VALU_DEP_2)
	v_fmac_f32_e32 v23, v31, v22
	v_fma_f32 v22, v30, v24, -v58
	s_waitcnt lgkmcnt(1)
	v_mul_f32_e32 v30, v29, v47
	v_dual_add_f32 v27, v16, v27 :: v_dual_add_f32 v14, v14, v22
	v_dual_mul_f32 v22, v28, v47 :: v_dual_add_f32 v15, v15, v25
	v_mul_f32_e32 v25, v28, v49
	s_delay_alu instid0(VALU_DEP_4) | instskip(NEXT) | instid1(VALU_DEP_3)
	v_fma_f32 v24, v28, v46, -v30
	v_fmac_f32_e32 v22, v29, v46
	v_add_f32_e32 v23, v17, v23
	ds_load_2addr_b64 v[16:19], v9 offset0:64 offset1:80
	v_mul_f32_e32 v30, v29, v49
	v_fmac_f32_e32 v25, v29, v48
	v_add_f32_e32 v5, v5, v24
	s_delay_alu instid0(VALU_DEP_2) | instskip(SKIP_1) | instid1(VALU_DEP_1)
	v_add_f32_e32 v25, v26, v25
	v_mul_f32_e32 v26, v32, v49
	v_fmac_f32_e32 v26, v33, v48
	s_waitcnt lgkmcnt(0)
	s_delay_alu instid0(VALU_DEP_1) | instskip(SKIP_1) | instid1(VALU_DEP_2)
	v_dual_add_f32 v26, v15, v26 :: v_dual_mul_f32 v29, v34, v17
	v_mul_f32_e32 v15, v34, v19
	v_fmac_f32_e32 v29, v35, v16
	v_fma_f32 v24, v28, v48, -v30
	v_mul_f32_e32 v28, v33, v47
	v_add_f32_e32 v30, v20, v22
	v_mul_f32_e32 v20, v32, v47
	v_mul_f32_e32 v22, v33, v49
	v_add_f32_e32 v24, v21, v24
	v_fma_f32 v21, v32, v46, -v28
	s_delay_alu instid0(VALU_DEP_4) | instskip(SKIP_1) | instid1(VALU_DEP_3)
	v_dual_add_f32 v29, v30, v29 :: v_dual_fmac_f32 v20, v33, v46
	v_fmac_f32_e32 v15, v35, v18
	v_add_f32_e32 v27, v27, v21
	v_fma_f32 v21, v32, v48, -v22
	v_mul_f32_e32 v22, v35, v17
	v_mul_f32_e32 v32, v35, v19
	v_add_f32_e32 v28, v23, v20
	s_delay_alu instid0(VALU_DEP_4) | instskip(NEXT) | instid1(VALU_DEP_4)
	v_add_f32_e32 v14, v14, v21
	v_fma_f32 v31, v34, v16, -v22
	ds_load_2addr_b64 v[20:23], v9 offset0:96 offset1:112
	v_add_f32_e32 v5, v5, v31
	v_fma_f32 v31, v34, v18, -v32
	s_delay_alu instid0(VALU_DEP_1) | instskip(SKIP_3) | instid1(VALU_DEP_3)
	v_add_f32_e32 v24, v24, v31
	v_mul_f32_e32 v31, v51, v19
	v_mul_f32_e32 v19, v50, v19
	v_add_f32_e32 v32, v25, v15
	v_fma_f32 v15, v50, v18, -v31
	s_delay_alu instid0(VALU_DEP_3)
	v_fmac_f32_e32 v19, v51, v18
	v_mul_f32_e32 v30, v51, v17
	v_mul_f32_e32 v17, v50, v17
	s_waitcnt lgkmcnt(0)
	v_dual_mul_f32 v18, v37, v21 :: v_dual_add_f32 v31, v14, v15
	v_add_f32_e32 v33, v26, v19
	v_fma_f32 v30, v50, v16, -v30
	v_fmac_f32_e32 v17, v51, v16
	s_delay_alu instid0(VALU_DEP_4) | instskip(SKIP_1) | instid1(VALU_DEP_4)
	v_fma_f32 v18, v36, v20, -v18
	v_mul_f32_e32 v25, v36, v21
	v_dual_mul_f32 v19, v36, v23 :: v_dual_add_f32 v30, v27, v30
	s_delay_alu instid0(VALU_DEP_4) | instskip(SKIP_4) | instid1(VALU_DEP_2)
	v_add_f32_e32 v28, v28, v17
	ds_load_2addr_b64 v[14:17], v9 offset0:128 offset1:144
	v_add_f32_e32 v5, v5, v18
	v_mul_f32_e32 v18, v53, v21
	v_fmac_f32_e32 v19, v37, v22
	v_fma_f32 v18, v52, v20, -v18
	v_mul_f32_e32 v27, v37, v23
	s_delay_alu instid0(VALU_DEP_1) | instskip(NEXT) | instid1(VALU_DEP_3)
	v_fma_f32 v26, v36, v22, -v27
	v_add_f32_e32 v36, v30, v18
	s_waitcnt lgkmcnt(0)
	s_delay_alu instid0(VALU_DEP_2) | instskip(SKIP_2) | instid1(VALU_DEP_3)
	v_dual_add_f32 v35, v24, v26 :: v_dual_mul_f32 v46, v38, v15
	v_dual_fmac_f32 v25, v37, v20 :: v_dual_add_f32 v32, v32, v19
	v_mul_f32_e32 v18, v39, v15
	v_fmac_f32_e32 v46, v39, v14
	s_delay_alu instid0(VALU_DEP_3)
	v_add_f32_e32 v34, v29, v25
	v_mul_f32_e32 v29, v53, v23
	v_mul_f32_e32 v23, v52, v23
	ds_load_b128 v[24:27], v10 offset:1056
	v_add_f32_e32 v34, v34, v46
	v_fma_f32 v19, v52, v22, -v29
	v_mul_f32_e32 v21, v52, v21
	v_fmac_f32_e32 v23, v53, v22
	v_mul_f32_e32 v29, v39, v17
	s_delay_alu instid0(VALU_DEP_3) | instskip(NEXT) | instid1(VALU_DEP_3)
	v_dual_add_f32 v22, v31, v19 :: v_dual_fmac_f32 v21, v53, v20
	v_add_f32_e32 v23, v33, v23
	s_delay_alu instid0(VALU_DEP_2) | instskip(SKIP_4) | instid1(VALU_DEP_2)
	v_add_f32_e32 v37, v28, v21
	v_fma_f32 v28, v38, v14, -v18
	ds_load_2addr_b64 v[18:21], v9 offset0:160 offset1:176
	v_mul_f32_e32 v33, v38, v17
	v_fma_f32 v38, v38, v16, -v29
	v_fmac_f32_e32 v33, v39, v16
	s_delay_alu instid0(VALU_DEP_1)
	v_dual_add_f32 v35, v35, v38 :: v_dual_add_f32 v32, v32, v33
	v_add_f32_e32 v5, v5, v28
	ds_load_b128 v[28:31], v10 offset:1072
	s_waitcnt lgkmcnt(2)
	v_mul_f32_e32 v47, v25, v15
	v_mul_f32_e32 v15, v24, v15
	v_mul_f32_e32 v39, v25, v17
	v_mul_f32_e32 v33, v24, v17
	s_delay_alu instid0(VALU_DEP_4) | instskip(NEXT) | instid1(VALU_DEP_4)
	v_fma_f32 v38, v24, v14, -v47
	v_fmac_f32_e32 v15, v25, v14
	s_delay_alu instid0(VALU_DEP_4)
	v_fma_f32 v14, v24, v16, -v39
	s_waitcnt lgkmcnt(1)
	v_mul_f32_e32 v17, v41, v19
	v_dual_fmac_f32 v33, v25, v16 :: v_dual_add_f32 v36, v36, v38
	v_add_f32_e32 v24, v37, v15
	v_add_f32_e32 v22, v22, v14
	s_delay_alu instid0(VALU_DEP_4) | instskip(SKIP_2) | instid1(VALU_DEP_1)
	v_fma_f32 v37, v40, v18, -v17
	ds_load_2addr_b64 v[14:17], v9 offset0:192 offset1:208
	v_dual_mul_f32 v25, v40, v19 :: v_dual_mul_f32 v38, v41, v21
	v_fmac_f32_e32 v25, v41, v18
	s_delay_alu instid0(VALU_DEP_1) | instskip(SKIP_4) | instid1(VALU_DEP_3)
	v_add_f32_e32 v34, v34, v25
	v_add_f32_e32 v33, v23, v33
	v_mul_f32_e32 v23, v40, v21
	v_mul_f32_e32 v25, v27, v19
	;; [unrolled: 1-line block ×3, first 2 shown]
	v_fmac_f32_e32 v23, v41, v20
	s_delay_alu instid0(VALU_DEP_3) | instskip(NEXT) | instid1(VALU_DEP_2)
	v_fma_f32 v25, v26, v18, -v25
	v_dual_fmac_f32 v19, v27, v18 :: v_dual_add_f32 v18, v32, v23
	s_waitcnt lgkmcnt(0)
	v_dual_mul_f32 v32, v43, v15 :: v_dual_add_f32 v5, v5, v37
	v_fma_f32 v37, v40, v20, -v38
	s_delay_alu instid0(VALU_DEP_3) | instskip(NEXT) | instid1(VALU_DEP_3)
	v_add_f32_e32 v19, v24, v19
	v_fma_f32 v32, v42, v14, -v32
	s_delay_alu instid0(VALU_DEP_1) | instskip(NEXT) | instid1(VALU_DEP_4)
	v_add_f32_e32 v5, v5, v32
	v_add_f32_e32 v35, v35, v37
	v_mul_f32_e32 v37, v27, v21
	v_dual_mul_f32 v21, v26, v21 :: v_dual_mul_f32 v32, v29, v15
	s_delay_alu instid0(VALU_DEP_2) | instskip(NEXT) | instid1(VALU_DEP_2)
	v_fma_f32 v23, v26, v20, -v37
	v_dual_add_f32 v26, v36, v25 :: v_dual_fmac_f32 v21, v27, v20
	v_mul_f32_e32 v27, v42, v15
	v_mul_f32_e32 v15, v28, v15
	s_delay_alu instid0(VALU_DEP_4)
	v_add_f32_e32 v20, v22, v23
	ds_load_2addr_b64 v[22:25], v9 offset0:224 offset1:240
	v_fma_f32 v32, v28, v14, -v32
	v_dual_fmac_f32 v27, v43, v14 :: v_dual_mul_f32 v36, v42, v17
	v_fmac_f32_e32 v15, v29, v14
	s_waitcnt lgkmcnt(0)
	s_delay_alu instid0(VALU_DEP_3) | instskip(NEXT) | instid1(VALU_DEP_3)
	v_add_f32_e32 v14, v26, v32
	v_dual_add_f32 v27, v34, v27 :: v_dual_fmac_f32 v36, v43, v16
	s_delay_alu instid0(VALU_DEP_3)
	v_dual_mul_f32 v34, v29, v17 :: v_dual_add_f32 v15, v19, v15
	s_barrier
	buffer_gl0_inv
	v_mul_f32_e32 v26, v45, v23
	v_add_f32_e32 v21, v33, v21
	v_mul_f32_e32 v33, v43, v17
	v_mul_f32_e32 v17, v28, v17
	;; [unrolled: 1-line block ×3, first 2 shown]
	s_delay_alu instid0(VALU_DEP_3) | instskip(NEXT) | instid1(VALU_DEP_3)
	v_fma_f32 v33, v42, v16, -v33
	v_fmac_f32_e32 v17, v29, v16
	s_delay_alu instid0(VALU_DEP_3) | instskip(NEXT) | instid1(VALU_DEP_3)
	v_fmac_f32_e32 v19, v45, v24
	v_add_f32_e32 v33, v35, v33
	v_add_f32_e32 v35, v18, v36
	v_fma_f32 v18, v28, v16, -v34
	v_fma_f32 v16, v44, v22, -v26
	v_mul_f32_e32 v28, v44, v23
	v_dual_add_f32 v26, v21, v17 :: v_dual_mul_f32 v17, v30, v23
	s_delay_alu instid0(VALU_DEP_4) | instskip(NEXT) | instid1(VALU_DEP_4)
	v_dual_add_f32 v29, v20, v18 :: v_dual_mul_f32 v18, v45, v25
	v_add_f32_e32 v20, v5, v16
	v_mul_f32_e32 v16, v31, v23
	v_mul_f32_e32 v23, v31, v25
	;; [unrolled: 1-line block ×3, first 2 shown]
	v_fma_f32 v5, v44, v24, -v18
	v_fmac_f32_e32 v28, v45, v22
	v_fmac_f32_e32 v17, v31, v22
	v_add_f32_e32 v19, v35, v19
	s_delay_alu instid0(VALU_DEP_4)
	v_dual_fmac_f32 v25, v31, v24 :: v_dual_add_f32 v18, v33, v5
	v_fma_f32 v5, v30, v22, -v16
	v_fma_f32 v22, v30, v24, -v23
	v_add_f32_e32 v21, v27, v28
	v_add_f32_e32 v17, v15, v17
	;; [unrolled: 1-line block ×5, first 2 shown]
	s_cbranch_scc1 .LBB835_11
.LBB835_3:                              ; =>This Inner Loop Header: Depth=1
	v_add_nc_u32_e32 v5, s17, v11
	s_delay_alu instid0(VALU_DEP_1) | instskip(SKIP_1) | instid1(SALU_CYCLE_1)
	v_cmp_le_i32_e32 vcc_lo, s9, v5
	s_or_b32 s6, s3, vcc_lo
	s_and_saveexec_b32 s7, s6
	s_delay_alu instid0(SALU_CYCLE_1)
	s_xor_b32 s6, exec_lo, s7
	s_cbranch_execz .LBB835_5
; %bb.4:                                ;   in Loop: Header=BB835_3 Depth=1
	v_mov_b32_e32 v5, v4
	ds_store_b64 v12, v[4:5]
.LBB835_5:                              ;   in Loop: Header=BB835_3 Depth=1
	s_and_not1_saveexec_b32 s6, s6
	s_cbranch_execz .LBB835_7
; %bb.6:                                ;   in Loop: Header=BB835_3 Depth=1
	global_load_b64 v[22:23], v[0:1], off
	s_waitcnt vmcnt(0)
	ds_store_b64 v12, v[22:23]
.LBB835_7:                              ;   in Loop: Header=BB835_3 Depth=1
	s_or_b32 exec_lo, exec_lo, s6
	v_add_nc_u32_e32 v5, s17, v8
	s_delay_alu instid0(VALU_DEP_1) | instskip(SKIP_1) | instid1(SALU_CYCLE_1)
	v_cmp_le_i32_e32 vcc_lo, s9, v5
	s_or_b32 s6, vcc_lo, s2
	s_and_saveexec_b32 s7, s6
	s_delay_alu instid0(SALU_CYCLE_1)
	s_xor_b32 s6, exec_lo, s7
	s_cbranch_execz .LBB835_9
; %bb.8:                                ;   in Loop: Header=BB835_3 Depth=1
	v_mov_b32_e32 v5, v4
	ds_store_b64 v13, v[4:5]
.LBB835_9:                              ;   in Loop: Header=BB835_3 Depth=1
	s_and_not1_saveexec_b32 s6, s6
	s_cbranch_execz .LBB835_2
; %bb.10:                               ;   in Loop: Header=BB835_3 Depth=1
	global_load_b64 v[22:23], v[2:3], off
	s_waitcnt vmcnt(0)
	ds_store_b64 v13, v[22:23]
	s_branch .LBB835_2
.LBB835_11:
	s_load_b32 s2, s[0:1], 0x50
	v_add_nc_u32_e32 v5, s13, v7
	v_add_nc_u32_e32 v0, s12, v6
	s_delay_alu instid0(VALU_DEP_2) | instskip(NEXT) | instid1(VALU_DEP_2)
	v_cmp_gt_i32_e32 vcc_lo, s8, v5
	v_cmp_le_i32_e64 s0, v0, v5
	s_delay_alu instid0(VALU_DEP_1) | instskip(SKIP_2) | instid1(VALU_DEP_1)
	s_and_b32 s0, vcc_lo, s0
	s_waitcnt lgkmcnt(0)
	v_mad_i64_i32 v[1:2], null, v5, s2, 0
	v_lshlrev_b64 v[1:2], 3, v[1:2]
	s_delay_alu instid0(VALU_DEP_1) | instskip(NEXT) | instid1(VALU_DEP_1)
	v_add_co_u32 v4, s1, s10, v1
	v_add_co_ci_u32_e64 v6, s1, s11, v2, s1
	s_and_saveexec_b32 s1, s0
	s_cbranch_execz .LBB835_14
; %bb.12:
	v_ashrrev_i32_e32 v1, 31, v0
	v_mul_f32_e32 v8, s4, v21
	v_mul_f32_e32 v3, s5, v21
	s_delay_alu instid0(VALU_DEP_3) | instskip(NEXT) | instid1(VALU_DEP_3)
	v_lshlrev_b64 v[1:2], 3, v[0:1]
	v_fmac_f32_e32 v8, s5, v20
	s_delay_alu instid0(VALU_DEP_3) | instskip(NEXT) | instid1(VALU_DEP_3)
	v_fma_f32 v7, v20, s4, -v3
	v_add_co_u32 v1, s0, v4, v1
	s_delay_alu instid0(VALU_DEP_1)
	v_add_co_ci_u32_e64 v2, s0, v6, v2, s0
	v_cmp_eq_u32_e64 s0, v5, v0
	global_store_b64 v[1:2], v[7:8], off
	s_and_b32 exec_lo, exec_lo, s0
	s_cbranch_execz .LBB835_14
; %bb.13:
	v_mov_b32_e32 v3, 0
	global_store_b32 v[1:2], v3, off offset:4
.LBB835_14:
	s_or_b32 exec_lo, exec_lo, s1
	v_add_nc_u32_e32 v2, 16, v0
	s_delay_alu instid0(VALU_DEP_1) | instskip(NEXT) | instid1(VALU_DEP_1)
	v_cmp_le_i32_e64 s0, v2, v5
	s_and_b32 s1, vcc_lo, s0
	s_delay_alu instid0(SALU_CYCLE_1)
	s_and_saveexec_b32 s0, s1
	s_cbranch_execz .LBB835_17
; %bb.15:
	v_ashrrev_i32_e32 v3, 31, v2
	v_mul_f32_e32 v8, s4, v19
	v_mul_f32_e32 v1, s5, v19
	s_delay_alu instid0(VALU_DEP_3) | instskip(NEXT) | instid1(VALU_DEP_3)
	v_lshlrev_b64 v[9:10], 3, v[2:3]
	v_fmac_f32_e32 v8, s5, v18
	s_delay_alu instid0(VALU_DEP_3) | instskip(NEXT) | instid1(VALU_DEP_3)
	v_fma_f32 v7, v18, s4, -v1
	v_add_co_u32 v3, vcc_lo, v4, v9
	s_delay_alu instid0(VALU_DEP_4)
	v_add_co_ci_u32_e32 v4, vcc_lo, v6, v10, vcc_lo
	v_cmp_eq_u32_e32 vcc_lo, v5, v2
	global_store_b64 v[3:4], v[7:8], off
	s_and_b32 exec_lo, exec_lo, vcc_lo
	s_cbranch_execz .LBB835_17
; %bb.16:
	v_mov_b32_e32 v1, 0
	global_store_b32 v[3:4], v1, off offset:4
.LBB835_17:
	s_or_b32 exec_lo, exec_lo, s0
	v_add_nc_u32_e32 v8, 16, v5
	s_delay_alu instid0(VALU_DEP_1) | instskip(SKIP_2) | instid1(VALU_DEP_1)
	v_mad_i64_i32 v[3:4], null, v8, s2, 0
	v_cmp_gt_i32_e32 vcc_lo, s8, v8
	v_cmp_le_i32_e64 s0, v0, v8
	s_and_b32 s0, vcc_lo, s0
	s_delay_alu instid0(VALU_DEP_3) | instskip(NEXT) | instid1(VALU_DEP_1)
	v_lshlrev_b64 v[3:4], 3, v[3:4]
	v_add_co_u32 v6, s1, s10, v3
	s_delay_alu instid0(VALU_DEP_1)
	v_add_co_ci_u32_e64 v7, s1, s11, v4, s1
	s_and_saveexec_b32 s1, s0
	s_cbranch_execz .LBB835_20
; %bb.18:
	v_ashrrev_i32_e32 v1, 31, v0
	v_mul_f32_e32 v10, s4, v17
	v_mul_f32_e32 v9, s5, v17
	s_delay_alu instid0(VALU_DEP_3) | instskip(NEXT) | instid1(VALU_DEP_3)
	v_lshlrev_b64 v[3:4], 3, v[0:1]
	v_fmac_f32_e32 v10, s5, v16
	s_delay_alu instid0(VALU_DEP_3) | instskip(NEXT) | instid1(VALU_DEP_3)
	v_fma_f32 v9, v16, s4, -v9
	v_add_co_u32 v3, s0, v6, v3
	s_delay_alu instid0(VALU_DEP_1)
	v_add_co_ci_u32_e64 v4, s0, v7, v4, s0
	v_cmp_eq_u32_e64 s0, v8, v0
	global_store_b64 v[3:4], v[9:10], off
	s_and_b32 exec_lo, exec_lo, s0
	s_cbranch_execz .LBB835_20
; %bb.19:
	v_mov_b32_e32 v1, 0
	global_store_b32 v[3:4], v1, off offset:4
.LBB835_20:
	s_or_b32 exec_lo, exec_lo, s1
	v_cmp_le_i32_e64 s0, v2, v8
	s_delay_alu instid0(VALU_DEP_1) | instskip(NEXT) | instid1(SALU_CYCLE_1)
	s_and_b32 s0, vcc_lo, s0
	s_and_saveexec_b32 s1, s0
	s_cbranch_execz .LBB835_23
; %bb.21:
	v_ashrrev_i32_e32 v3, 31, v2
	v_mul_f32_e32 v8, s5, v15
	v_mul_f32_e32 v4, s4, v15
	s_delay_alu instid0(VALU_DEP_3) | instskip(NEXT) | instid1(VALU_DEP_3)
	v_lshlrev_b64 v[1:2], 3, v[2:3]
	v_fma_f32 v3, v14, s4, -v8
	s_delay_alu instid0(VALU_DEP_3) | instskip(NEXT) | instid1(VALU_DEP_3)
	v_fmac_f32_e32 v4, s5, v14
	v_add_co_u32 v1, vcc_lo, v6, v1
	s_delay_alu instid0(VALU_DEP_4)
	v_add_co_ci_u32_e32 v2, vcc_lo, v7, v2, vcc_lo
	v_cmp_eq_u32_e32 vcc_lo, v5, v0
	global_store_b64 v[1:2], v[3:4], off
	s_and_b32 exec_lo, exec_lo, vcc_lo
	s_cbranch_execz .LBB835_23
; %bb.22:
	v_mov_b32_e32 v0, 0
	global_store_b32 v[1:2], v0, off offset:4
.LBB835_23:
	s_nop 0
	s_sendmsg sendmsg(MSG_DEALLOC_VGPRS)
	s_endpgm
	.section	.rodata,"a",@progbits
	.p2align	6, 0x0
	.amdhsa_kernel _ZL34rocblas_syrkx_herkx_general_kernelIi19rocblas_complex_numIfELi16ELi32ELi8ELb1ELb1ELc84ELc85EKPKS1_KPS1_EviT_T0_PT8_S7_lSA_S7_lS8_PT9_S7_li
		.amdhsa_group_segment_fixed_size 4096
		.amdhsa_private_segment_fixed_size 0
		.amdhsa_kernarg_size 100
		.amdhsa_user_sgpr_count 13
		.amdhsa_user_sgpr_dispatch_ptr 0
		.amdhsa_user_sgpr_queue_ptr 0
		.amdhsa_user_sgpr_kernarg_segment_ptr 1
		.amdhsa_user_sgpr_dispatch_id 0
		.amdhsa_user_sgpr_private_segment_size 0
		.amdhsa_wavefront_size32 1
		.amdhsa_uses_dynamic_stack 0
		.amdhsa_enable_private_segment 0
		.amdhsa_system_sgpr_workgroup_id_x 1
		.amdhsa_system_sgpr_workgroup_id_y 1
		.amdhsa_system_sgpr_workgroup_id_z 1
		.amdhsa_system_sgpr_workgroup_info 0
		.amdhsa_system_vgpr_workitem_id 1
		.amdhsa_next_free_vgpr 59
		.amdhsa_next_free_sgpr 19
		.amdhsa_reserve_vcc 1
		.amdhsa_float_round_mode_32 0
		.amdhsa_float_round_mode_16_64 0
		.amdhsa_float_denorm_mode_32 3
		.amdhsa_float_denorm_mode_16_64 3
		.amdhsa_dx10_clamp 1
		.amdhsa_ieee_mode 1
		.amdhsa_fp16_overflow 0
		.amdhsa_workgroup_processor_mode 1
		.amdhsa_memory_ordered 1
		.amdhsa_forward_progress 0
		.amdhsa_shared_vgpr_count 0
		.amdhsa_exception_fp_ieee_invalid_op 0
		.amdhsa_exception_fp_denorm_src 0
		.amdhsa_exception_fp_ieee_div_zero 0
		.amdhsa_exception_fp_ieee_overflow 0
		.amdhsa_exception_fp_ieee_underflow 0
		.amdhsa_exception_fp_ieee_inexact 0
		.amdhsa_exception_int_div_zero 0
	.end_amdhsa_kernel
	.section	.text._ZL34rocblas_syrkx_herkx_general_kernelIi19rocblas_complex_numIfELi16ELi32ELi8ELb1ELb1ELc84ELc85EKPKS1_KPS1_EviT_T0_PT8_S7_lSA_S7_lS8_PT9_S7_li,"axG",@progbits,_ZL34rocblas_syrkx_herkx_general_kernelIi19rocblas_complex_numIfELi16ELi32ELi8ELb1ELb1ELc84ELc85EKPKS1_KPS1_EviT_T0_PT8_S7_lSA_S7_lS8_PT9_S7_li,comdat
.Lfunc_end835:
	.size	_ZL34rocblas_syrkx_herkx_general_kernelIi19rocblas_complex_numIfELi16ELi32ELi8ELb1ELb1ELc84ELc85EKPKS1_KPS1_EviT_T0_PT8_S7_lSA_S7_lS8_PT9_S7_li, .Lfunc_end835-_ZL34rocblas_syrkx_herkx_general_kernelIi19rocblas_complex_numIfELi16ELi32ELi8ELb1ELb1ELc84ELc85EKPKS1_KPS1_EviT_T0_PT8_S7_lSA_S7_lS8_PT9_S7_li
                                        ; -- End function
	.section	.AMDGPU.csdata,"",@progbits
; Kernel info:
; codeLenInByte = 2488
; NumSgprs: 21
; NumVgprs: 59
; ScratchSize: 0
; MemoryBound: 1
; FloatMode: 240
; IeeeMode: 1
; LDSByteSize: 4096 bytes/workgroup (compile time only)
; SGPRBlocks: 2
; VGPRBlocks: 7
; NumSGPRsForWavesPerEU: 21
; NumVGPRsForWavesPerEU: 59
; Occupancy: 16
; WaveLimiterHint : 1
; COMPUTE_PGM_RSRC2:SCRATCH_EN: 0
; COMPUTE_PGM_RSRC2:USER_SGPR: 13
; COMPUTE_PGM_RSRC2:TRAP_HANDLER: 0
; COMPUTE_PGM_RSRC2:TGID_X_EN: 1
; COMPUTE_PGM_RSRC2:TGID_Y_EN: 1
; COMPUTE_PGM_RSRC2:TGID_Z_EN: 1
; COMPUTE_PGM_RSRC2:TIDIG_COMP_CNT: 1
	.section	.text._ZL34rocblas_syrkx_herkx_general_kernelIi19rocblas_complex_numIfELi16ELi32ELi8ELb1ELb1ELc67ELc85EKPKS1_KPS1_EviT_T0_PT8_S7_lSA_S7_lS8_PT9_S7_li,"axG",@progbits,_ZL34rocblas_syrkx_herkx_general_kernelIi19rocblas_complex_numIfELi16ELi32ELi8ELb1ELb1ELc67ELc85EKPKS1_KPS1_EviT_T0_PT8_S7_lSA_S7_lS8_PT9_S7_li,comdat
	.globl	_ZL34rocblas_syrkx_herkx_general_kernelIi19rocblas_complex_numIfELi16ELi32ELi8ELb1ELb1ELc67ELc85EKPKS1_KPS1_EviT_T0_PT8_S7_lSA_S7_lS8_PT9_S7_li ; -- Begin function _ZL34rocblas_syrkx_herkx_general_kernelIi19rocblas_complex_numIfELi16ELi32ELi8ELb1ELb1ELc67ELc85EKPKS1_KPS1_EviT_T0_PT8_S7_lSA_S7_lS8_PT9_S7_li
	.p2align	8
	.type	_ZL34rocblas_syrkx_herkx_general_kernelIi19rocblas_complex_numIfELi16ELi32ELi8ELb1ELb1ELc67ELc85EKPKS1_KPS1_EviT_T0_PT8_S7_lSA_S7_lS8_PT9_S7_li,@function
_ZL34rocblas_syrkx_herkx_general_kernelIi19rocblas_complex_numIfELi16ELi32ELi8ELb1ELb1ELc67ELc85EKPKS1_KPS1_EviT_T0_PT8_S7_lSA_S7_lS8_PT9_S7_li: ; @_ZL34rocblas_syrkx_herkx_general_kernelIi19rocblas_complex_numIfELi16ELi32ELi8ELb1ELb1ELc67ELc85EKPKS1_KPS1_EviT_T0_PT8_S7_lSA_S7_lS8_PT9_S7_li
; %bb.0:
	s_clause 0x1
	s_load_b64 s[4:5], s[0:1], 0x48
	s_load_b64 s[8:9], s[0:1], 0x0
	s_mov_b32 s16, s15
	s_mov_b32 s17, 0
	v_dual_mov_b32 v21, 0 :: v_dual_and_b32 v6, 0x3ff, v0
	s_lshl_b64 s[2:3], s[16:17], 3
	v_bfe_u32 v7, v0, 10, 10
	v_dual_mov_b32 v22, 0 :: v_dual_mov_b32 v19, 0
	v_dual_mov_b32 v20, 0 :: v_dual_mov_b32 v17, 0
	;; [unrolled: 1-line block ×3, first 2 shown]
	v_mov_b32_e32 v16, 0
	s_waitcnt lgkmcnt(0)
	s_add_u32 s10, s4, s2
	s_addc_u32 s11, s5, s3
	s_load_b128 s[4:7], s[0:1], 0x8
	s_load_b64 s[10:11], s[10:11], 0x0
	s_lshl_b32 s12, s13, 5
	s_lshl_b32 s13, s14, 5
	s_cmp_lt_i32 s9, 1
	s_cbranch_scc1 .LBB836_11
; %bb.1:
	s_clause 0x1
	s_load_b64 s[14:15], s[0:1], 0x28
	s_load_b32 s16, s[0:1], 0x18
	v_lshl_add_u32 v0, v7, 4, v6
	s_load_b32 s18, s[0:1], 0x30
	v_and_b32_e32 v8, 7, v6
	v_lshlrev_b32_e32 v9, 3, v6
	s_delay_alu instid0(VALU_DEP_3) | instskip(SKIP_3) | instid1(VALU_DEP_4)
	v_dual_mov_b32 v17, 0 :: v_dual_and_b32 v2, 31, v0
	v_lshrrev_b32_e32 v11, 5, v0
	v_lshrrev_b32_e32 v3, 3, v0
	v_lshl_add_u32 v10, v7, 6, 0x800
	v_dual_mov_b32 v18, 0 :: v_dual_add_nc_u32 v5, s12, v2
	s_delay_alu instid0(VALU_DEP_4) | instskip(NEXT) | instid1(VALU_DEP_4)
	v_lshlrev_b32_e32 v15, 3, v11
	v_dual_mov_b32 v16, 0 :: v_dual_add_nc_u32 v13, s13, v3
	v_dual_mov_b32 v22, 0 :: v_dual_mov_b32 v21, 0
	v_dual_mov_b32 v19, 0 :: v_dual_mov_b32 v20, 0
	s_waitcnt lgkmcnt(0)
	s_add_u32 s14, s14, s2
	v_mad_i64_i32 v[0:1], null, s16, v5, 0
	s_addc_u32 s15, s15, s3
	s_add_u32 s2, s6, s2
	s_addc_u32 s3, s7, s3
	v_or_b32_e32 v5, s12, v2
	s_load_b64 s[6:7], s[2:3], 0x0
	v_lshlrev_b32_e32 v2, 3, v2
	s_delay_alu instid0(VALU_DEP_3) | instskip(SKIP_4) | instid1(VALU_DEP_4)
	v_lshlrev_b64 v[0:1], 3, v[0:1]
	s_load_b64 s[14:15], s[14:15], 0x0
	v_cmp_gt_i32_e32 vcc_lo, s8, v5
	v_cmp_gt_i32_e64 s2, s8, v13
	v_lshl_or_b32 v12, v11, 8, v2
	v_add_co_u32 v5, s3, v0, v15
	v_dual_mov_b32 v15, 0 :: v_dual_lshlrev_b32 v4, 3, v8
	s_delay_alu instid0(VALU_DEP_4) | instskip(NEXT) | instid1(VALU_DEP_1)
	s_xor_b32 s2, s2, -1
	v_lshl_or_b32 v14, v3, 6, v4
	v_mad_i64_i32 v[2:3], null, s18, v13, 0
	s_delay_alu instid0(VALU_DEP_2) | instskip(SKIP_1) | instid1(VALU_DEP_3)
	v_add_nc_u32_e32 v13, 0x800, v14
	v_add_co_ci_u32_e64 v14, s3, 0, v1, s3
	v_lshlrev_b64 v[0:1], 3, v[2:3]
	s_waitcnt lgkmcnt(0)
	v_add_co_u32 v2, s3, v5, s6
	s_delay_alu instid0(VALU_DEP_1) | instskip(SKIP_1) | instid1(VALU_DEP_4)
	v_add_co_ci_u32_e64 v3, s3, s7, v14, s3
	v_mov_b32_e32 v14, 0
	v_add_co_u32 v4, s3, v0, v4
	s_delay_alu instid0(VALU_DEP_1) | instskip(SKIP_1) | instid1(VALU_DEP_1)
	v_add_co_ci_u32_e64 v5, s3, 0, v1, s3
	v_add_co_u32 v0, s3, v2, 4
	v_add_co_ci_u32_e64 v1, s3, 0, v3, s3
	s_delay_alu instid0(VALU_DEP_4) | instskip(NEXT) | instid1(VALU_DEP_1)
	v_add_co_u32 v2, s3, s14, v4
	v_add_co_ci_u32_e64 v3, s3, s15, v5, s3
	v_mov_b32_e32 v4, 0
	s_xor_b32 s3, vcc_lo, -1
	s_branch .LBB836_3
.LBB836_2:                              ;   in Loop: Header=BB836_3 Depth=1
	s_or_b32 exec_lo, exec_lo, s6
	s_waitcnt lgkmcnt(0)
	s_barrier
	buffer_gl0_inv
	ds_load_2addr_b64 v[23:26], v9 offset1:16
	ds_load_b128 v[27:30], v10
	ds_load_b128 v[31:34], v10 offset:1024
	ds_load_b128 v[35:38], v10 offset:16
	;; [unrolled: 1-line block ×4, first 2 shown]
	ds_load_2addr_b64 v[47:50], v9 offset0:32 offset1:48
	ds_load_b128 v[51:54], v10 offset:1040
	v_add_co_u32 v0, vcc_lo, v0, 64
	v_add_co_ci_u32_e32 v1, vcc_lo, 0, v1, vcc_lo
	v_add_co_u32 v2, vcc_lo, v2, 64
	v_add_co_ci_u32_e32 v3, vcc_lo, 0, v3, vcc_lo
	s_add_i32 s17, s17, 8
	s_delay_alu instid0(SALU_CYCLE_1)
	s_cmp_ge_i32 s17, s9
	s_waitcnt lgkmcnt(6)
	v_mul_f32_e32 v5, v28, v24
	v_dual_mul_f32 v55, v27, v24 :: v_dual_mul_f32 v56, v28, v26
	s_waitcnt lgkmcnt(5)
	v_dual_mul_f32 v57, v27, v26 :: v_dual_mul_f32 v58, v32, v24
	v_dual_mul_f32 v24, v31, v24 :: v_dual_mul_f32 v59, v32, v26
	v_mul_f32_e32 v26, v31, v26
	v_fma_f32 v5, v27, v23, -v5
	v_fmac_f32_e32 v55, v28, v23
	v_fma_f32 v27, v27, v25, -v56
	v_fmac_f32_e32 v57, v28, v25
	v_fma_f32 v28, v31, v23, -v58
	v_dual_fmac_f32 v24, v32, v23 :: v_dual_add_f32 v5, v21, v5
	v_fma_f32 v23, v31, v25, -v59
	v_fmac_f32_e32 v26, v32, v25
	s_delay_alu instid0(VALU_DEP_4)
	v_dual_add_f32 v28, v17, v28 :: v_dual_add_f32 v21, v22, v55
	v_dual_add_f32 v22, v19, v27 :: v_dual_add_f32 v27, v20, v57
	v_add_f32_e32 v24, v18, v24
	ds_load_2addr_b64 v[17:20], v9 offset0:64 offset1:80
	s_waitcnt lgkmcnt(2)
	v_dual_mul_f32 v31, v30, v48 :: v_dual_add_f32 v16, v16, v26
	v_dual_add_f32 v15, v15, v23 :: v_dual_mul_f32 v26, v29, v50
	v_mul_f32_e32 v23, v29, v48
	s_delay_alu instid0(VALU_DEP_3) | instskip(SKIP_1) | instid1(VALU_DEP_4)
	v_fma_f32 v25, v29, v47, -v31
	v_mul_f32_e32 v31, v30, v50
	v_fmac_f32_e32 v26, v30, v49
	s_delay_alu instid0(VALU_DEP_4) | instskip(NEXT) | instid1(VALU_DEP_2)
	v_fmac_f32_e32 v23, v30, v47
	v_dual_add_f32 v5, v5, v25 :: v_dual_add_f32 v26, v27, v26
	v_mul_f32_e32 v27, v33, v50
	s_waitcnt lgkmcnt(0)
	s_delay_alu instid0(VALU_DEP_1) | instskip(NEXT) | instid1(VALU_DEP_1)
	v_dual_fmac_f32 v27, v34, v49 :: v_dual_mul_f32 v30, v35, v18
	v_add_f32_e32 v27, v16, v27
	s_delay_alu instid0(VALU_DEP_2) | instskip(SKIP_4) | instid1(VALU_DEP_3)
	v_fmac_f32_e32 v30, v36, v17
	v_fma_f32 v25, v29, v49, -v31
	v_dual_add_f32 v31, v21, v23 :: v_dual_mul_f32 v16, v35, v20
	v_mul_f32_e32 v29, v34, v48
	v_mul_f32_e32 v23, v34, v50
	v_dual_add_f32 v25, v22, v25 :: v_dual_add_f32 v30, v31, v30
	s_delay_alu instid0(VALU_DEP_4) | instskip(NEXT) | instid1(VALU_DEP_4)
	v_fmac_f32_e32 v16, v36, v19
	v_fma_f32 v22, v33, v47, -v29
	v_mul_f32_e32 v21, v33, v48
	v_mul_f32_e32 v31, v52, v18
	s_delay_alu instid0(VALU_DEP_3) | instskip(SKIP_1) | instid1(VALU_DEP_3)
	v_add_f32_e32 v28, v28, v22
	v_fma_f32 v22, v33, v49, -v23
	v_fma_f32 v31, v51, v17, -v31
	s_delay_alu instid0(VALU_DEP_2) | instskip(SKIP_2) | instid1(VALU_DEP_2)
	v_add_f32_e32 v15, v15, v22
	v_mul_f32_e32 v23, v36, v18
	v_dual_mul_f32 v18, v51, v18 :: v_dual_fmac_f32 v21, v34, v47
	v_fma_f32 v32, v35, v17, -v23
	s_delay_alu instid0(VALU_DEP_2) | instskip(NEXT) | instid1(VALU_DEP_3)
	v_fmac_f32_e32 v18, v52, v17
	v_add_f32_e32 v29, v24, v21
	ds_load_2addr_b64 v[21:24], v9 offset0:96 offset1:112
	v_mul_f32_e32 v33, v36, v20
	v_add_f32_e32 v5, v5, v32
	v_add_f32_e32 v31, v28, v31
	s_delay_alu instid0(VALU_DEP_3) | instskip(NEXT) | instid1(VALU_DEP_1)
	v_fma_f32 v32, v35, v19, -v33
	v_add_f32_e32 v25, v25, v32
	v_mul_f32_e32 v32, v52, v20
	v_mul_f32_e32 v20, v51, v20
	s_delay_alu instid0(VALU_DEP_1) | instskip(SKIP_2) | instid1(VALU_DEP_2)
	v_fmac_f32_e32 v20, v52, v19
	s_waitcnt lgkmcnt(0)
	v_mul_f32_e32 v28, v38, v24
	v_add_f32_e32 v34, v27, v20
	v_mul_f32_e32 v20, v37, v24
	s_delay_alu instid0(VALU_DEP_3)
	v_fma_f32 v27, v37, v23, -v28
	v_add_f32_e32 v33, v26, v16
	v_fma_f32 v16, v51, v19, -v32
	v_mul_f32_e32 v26, v37, v22
	v_add_f32_e32 v29, v29, v18
	v_mul_f32_e32 v19, v38, v22
	v_fmac_f32_e32 v20, v38, v23
	v_add_f32_e32 v32, v15, v16
	ds_load_2addr_b64 v[15:18], v9 offset0:128 offset1:144
	v_fmac_f32_e32 v26, v38, v21
	s_delay_alu instid0(VALU_DEP_1) | instskip(SKIP_3) | instid1(VALU_DEP_2)
	v_add_f32_e32 v35, v30, v26
	v_mul_f32_e32 v30, v54, v24
	v_mul_f32_e32 v24, v53, v24
	v_fma_f32 v19, v37, v21, -v19
	v_fmac_f32_e32 v24, v54, v23
	s_delay_alu instid0(VALU_DEP_1) | instskip(SKIP_2) | instid1(VALU_DEP_1)
	v_dual_add_f32 v5, v5, v19 :: v_dual_add_f32 v24, v34, v24
	s_waitcnt lgkmcnt(0)
	v_mul_f32_e32 v34, v39, v18
	v_dual_mul_f32 v19, v54, v22 :: v_dual_fmac_f32 v34, v40, v17
	s_delay_alu instid0(VALU_DEP_1) | instskip(NEXT) | instid1(VALU_DEP_1)
	v_fma_f32 v19, v53, v21, -v19
	v_dual_mul_f32 v22, v53, v22 :: v_dual_add_f32 v37, v31, v19
	s_delay_alu instid0(VALU_DEP_1)
	v_fmac_f32_e32 v22, v54, v21
	v_add_f32_e32 v36, v25, v27
	ds_load_b128 v[25:28], v10 offset:1056
	v_add_f32_e32 v33, v33, v20
	v_fma_f32 v20, v53, v23, -v30
	v_dual_mul_f32 v19, v40, v16 :: v_dual_add_f32 v38, v29, v22
	v_dual_mul_f32 v47, v39, v16 :: v_dual_mul_f32 v30, v40, v18
	s_delay_alu instid0(VALU_DEP_3) | instskip(NEXT) | instid1(VALU_DEP_3)
	v_add_f32_e32 v23, v32, v20
	v_fma_f32 v29, v39, v15, -v19
	ds_load_2addr_b64 v[19:22], v9 offset0:160 offset1:176
	v_fmac_f32_e32 v47, v40, v15
	v_fma_f32 v39, v39, v17, -v30
	v_add_f32_e32 v5, v5, v29
	ds_load_b128 v[29:32], v10 offset:1072
	v_add_f32_e32 v36, v36, v39
	s_waitcnt lgkmcnt(2)
	v_mul_f32_e32 v48, v26, v16
	v_mul_f32_e32 v16, v25, v16
	v_dual_mul_f32 v40, v26, v18 :: v_dual_add_f32 v35, v35, v47
	v_add_f32_e32 v33, v33, v34
	s_delay_alu instid0(VALU_DEP_4) | instskip(NEXT) | instid1(VALU_DEP_4)
	v_fma_f32 v39, v25, v15, -v48
	v_fmac_f32_e32 v16, v26, v15
	v_mul_f32_e32 v34, v25, v18
	v_fma_f32 v15, v25, v17, -v40
	s_waitcnt lgkmcnt(1)
	v_dual_mul_f32 v18, v42, v20 :: v_dual_add_f32 v37, v37, v39
	v_mul_f32_e32 v39, v42, v22
	v_fmac_f32_e32 v34, v26, v17
	v_add_f32_e32 v25, v38, v16
	v_add_f32_e32 v23, v23, v15
	v_fma_f32 v38, v41, v19, -v18
	v_mul_f32_e32 v26, v41, v20
	ds_load_2addr_b64 v[15:18], v9 offset0:192 offset1:208
	v_add_f32_e32 v5, v5, v38
	v_add_f32_e32 v34, v24, v34
	v_mul_f32_e32 v24, v41, v22
	v_fma_f32 v38, v41, v21, -v39
	s_delay_alu instid0(VALU_DEP_2) | instskip(SKIP_1) | instid1(VALU_DEP_3)
	v_fmac_f32_e32 v24, v42, v21
	v_fmac_f32_e32 v26, v42, v19
	v_add_f32_e32 v36, v36, v38
	s_delay_alu instid0(VALU_DEP_2) | instskip(NEXT) | instid1(VALU_DEP_1)
	v_dual_add_f32 v35, v35, v26 :: v_dual_mul_f32 v26, v28, v20
	v_fma_f32 v26, v27, v19, -v26
	v_mul_f32_e32 v20, v27, v20
	s_delay_alu instid0(VALU_DEP_1) | instskip(SKIP_2) | instid1(VALU_DEP_1)
	v_dual_fmac_f32 v20, v28, v19 :: v_dual_add_f32 v19, v33, v24
	s_waitcnt lgkmcnt(0)
	v_mul_f32_e32 v33, v44, v16
	v_fma_f32 v33, v43, v15, -v33
	v_mul_f32_e32 v38, v28, v22
	s_delay_alu instid0(VALU_DEP_2) | instskip(NEXT) | instid1(VALU_DEP_2)
	v_dual_mul_f32 v22, v27, v22 :: v_dual_add_f32 v5, v5, v33
	v_fma_f32 v24, v27, v21, -v38
	v_add_f32_e32 v27, v37, v26
	v_mul_f32_e32 v37, v43, v18
	v_mul_f32_e32 v33, v30, v16
	s_delay_alu instid0(VALU_DEP_2)
	v_dual_add_f32 v20, v25, v20 :: v_dual_fmac_f32 v37, v44, v17
	v_dual_fmac_f32 v22, v28, v21 :: v_dual_add_f32 v21, v23, v24
	ds_load_2addr_b64 v[23:26], v9 offset0:224 offset1:240
	v_mul_f32_e32 v28, v43, v16
	v_mul_f32_e32 v16, v29, v16
	v_fma_f32 v33, v29, v15, -v33
	s_waitcnt lgkmcnt(0)
	s_barrier
	v_fmac_f32_e32 v28, v44, v15
	s_delay_alu instid0(VALU_DEP_2)
	v_dual_fmac_f32 v16, v30, v15 :: v_dual_add_f32 v15, v27, v33
	buffer_gl0_inv
	v_dual_add_f32 v28, v35, v28 :: v_dual_mul_f32 v35, v30, v18
	v_mul_f32_e32 v27, v46, v24
	v_add_f32_e32 v22, v34, v22
	v_mul_f32_e32 v34, v44, v18
	s_delay_alu instid0(VALU_DEP_1) | instskip(NEXT) | instid1(VALU_DEP_1)
	v_fma_f32 v34, v43, v17, -v34
	v_add_f32_e32 v34, v36, v34
	v_add_f32_e32 v36, v19, v37
	v_mul_f32_e32 v18, v29, v18
	v_fma_f32 v19, v29, v17, -v35
	s_delay_alu instid0(VALU_DEP_2) | instskip(NEXT) | instid1(VALU_DEP_2)
	v_dual_mul_f32 v29, v45, v24 :: v_dual_fmac_f32 v18, v30, v17
	v_add_f32_e32 v30, v21, v19
	v_fma_f32 v17, v45, v23, -v27
	v_mul_f32_e32 v19, v46, v26
	s_delay_alu instid0(VALU_DEP_4) | instskip(SKIP_1) | instid1(VALU_DEP_4)
	v_fmac_f32_e32 v29, v46, v23
	v_dual_add_f32 v27, v22, v18 :: v_dual_mul_f32 v18, v31, v24
	v_add_f32_e32 v21, v5, v17
	s_delay_alu instid0(VALU_DEP_4)
	v_fma_f32 v5, v45, v25, -v19
	v_mul_f32_e32 v17, v32, v24
	v_mul_f32_e32 v24, v32, v26
	v_fmac_f32_e32 v18, v32, v23
	v_add_f32_e32 v22, v28, v29
	v_add_f32_e32 v19, v34, v5
	v_fma_f32 v5, v31, v23, -v17
	v_fma_f32 v23, v31, v25, -v24
	v_add_f32_e32 v16, v20, v16
	v_mul_f32_e32 v20, v45, v26
	v_mul_f32_e32 v26, v31, v26
	v_add_f32_e32 v17, v15, v5
	s_delay_alu instid0(VALU_DEP_4) | instskip(NEXT) | instid1(VALU_DEP_4)
	v_dual_add_f32 v15, v30, v23 :: v_dual_add_f32 v18, v16, v18
	v_fmac_f32_e32 v20, v46, v25
	s_delay_alu instid0(VALU_DEP_4) | instskip(NEXT) | instid1(VALU_DEP_2)
	v_fmac_f32_e32 v26, v32, v25
	v_add_f32_e32 v20, v36, v20
	s_delay_alu instid0(VALU_DEP_2)
	v_add_f32_e32 v16, v27, v26
	s_cbranch_scc1 .LBB836_11
.LBB836_3:                              ; =>This Inner Loop Header: Depth=1
	v_add_nc_u32_e32 v5, s17, v11
                                        ; implicit-def: $sgpr7
	s_delay_alu instid0(VALU_DEP_1) | instskip(SKIP_1) | instid1(SALU_CYCLE_1)
	v_cmp_le_i32_e32 vcc_lo, s9, v5
	s_or_b32 s6, s3, vcc_lo
	s_and_saveexec_b32 s14, s6
	s_delay_alu instid0(SALU_CYCLE_1)
	s_xor_b32 s6, exec_lo, s14
	s_cbranch_execz .LBB836_5
; %bb.4:                                ;   in Loop: Header=BB836_3 Depth=1
	s_mov_b32 s7, 0
	ds_store_b32 v12, v14
.LBB836_5:                              ;   in Loop: Header=BB836_3 Depth=1
	s_or_saveexec_b32 s6, s6
	v_mov_b32_e32 v5, s7
	s_xor_b32 exec_lo, exec_lo, s6
	s_cbranch_execz .LBB836_7
; %bb.6:                                ;   in Loop: Header=BB836_3 Depth=1
	global_load_b64 v[23:24], v[0:1], off offset:-4
	s_waitcnt vmcnt(0)
	v_xor_b32_e32 v5, 0x80000000, v24
	ds_store_b32 v12, v23
.LBB836_7:                              ;   in Loop: Header=BB836_3 Depth=1
	s_or_b32 exec_lo, exec_lo, s6
	v_add_nc_u32_e32 v23, s17, v8
	ds_store_b32 v12, v5 offset:4
	v_cmp_le_i32_e32 vcc_lo, s9, v23
	s_or_b32 s6, vcc_lo, s2
	s_delay_alu instid0(SALU_CYCLE_1) | instskip(NEXT) | instid1(SALU_CYCLE_1)
	s_and_saveexec_b32 s7, s6
	s_xor_b32 s6, exec_lo, s7
	s_cbranch_execz .LBB836_9
; %bb.8:                                ;   in Loop: Header=BB836_3 Depth=1
	v_mov_b32_e32 v5, v4
	ds_store_b64 v13, v[4:5]
.LBB836_9:                              ;   in Loop: Header=BB836_3 Depth=1
	s_and_not1_saveexec_b32 s6, s6
	s_cbranch_execz .LBB836_2
; %bb.10:                               ;   in Loop: Header=BB836_3 Depth=1
	global_load_b64 v[23:24], v[2:3], off
	s_waitcnt vmcnt(0)
	ds_store_b64 v13, v[23:24]
	s_branch .LBB836_2
.LBB836_11:
	s_load_b32 s2, s[0:1], 0x50
	v_add_nc_u32_e32 v5, s13, v7
	v_add_nc_u32_e32 v0, s12, v6
	s_delay_alu instid0(VALU_DEP_2) | instskip(NEXT) | instid1(VALU_DEP_2)
	v_cmp_gt_i32_e32 vcc_lo, s8, v5
	v_cmp_le_i32_e64 s0, v0, v5
	s_delay_alu instid0(VALU_DEP_1) | instskip(SKIP_2) | instid1(VALU_DEP_1)
	s_and_b32 s0, vcc_lo, s0
	s_waitcnt lgkmcnt(0)
	v_mad_i64_i32 v[1:2], null, v5, s2, 0
	v_lshlrev_b64 v[1:2], 3, v[1:2]
	s_delay_alu instid0(VALU_DEP_1) | instskip(NEXT) | instid1(VALU_DEP_1)
	v_add_co_u32 v4, s1, s10, v1
	v_add_co_ci_u32_e64 v6, s1, s11, v2, s1
	s_and_saveexec_b32 s1, s0
	s_cbranch_execz .LBB836_14
; %bb.12:
	v_ashrrev_i32_e32 v1, 31, v0
	v_mul_f32_e32 v8, s4, v22
	v_mul_f32_e32 v3, s5, v22
	s_delay_alu instid0(VALU_DEP_3) | instskip(NEXT) | instid1(VALU_DEP_3)
	v_lshlrev_b64 v[1:2], 3, v[0:1]
	v_fmac_f32_e32 v8, s5, v21
	s_delay_alu instid0(VALU_DEP_3) | instskip(NEXT) | instid1(VALU_DEP_3)
	v_fma_f32 v7, v21, s4, -v3
	v_add_co_u32 v1, s0, v4, v1
	s_delay_alu instid0(VALU_DEP_1)
	v_add_co_ci_u32_e64 v2, s0, v6, v2, s0
	v_cmp_eq_u32_e64 s0, v5, v0
	global_store_b64 v[1:2], v[7:8], off
	s_and_b32 exec_lo, exec_lo, s0
	s_cbranch_execz .LBB836_14
; %bb.13:
	v_mov_b32_e32 v3, 0
	global_store_b32 v[1:2], v3, off offset:4
.LBB836_14:
	s_or_b32 exec_lo, exec_lo, s1
	v_add_nc_u32_e32 v2, 16, v0
	s_delay_alu instid0(VALU_DEP_1) | instskip(NEXT) | instid1(VALU_DEP_1)
	v_cmp_le_i32_e64 s0, v2, v5
	s_and_b32 s1, vcc_lo, s0
	s_delay_alu instid0(SALU_CYCLE_1)
	s_and_saveexec_b32 s0, s1
	s_cbranch_execz .LBB836_17
; %bb.15:
	v_ashrrev_i32_e32 v3, 31, v2
	v_mul_f32_e32 v8, s4, v20
	v_mul_f32_e32 v1, s5, v20
	s_delay_alu instid0(VALU_DEP_3) | instskip(NEXT) | instid1(VALU_DEP_3)
	v_lshlrev_b64 v[9:10], 3, v[2:3]
	v_fmac_f32_e32 v8, s5, v19
	s_delay_alu instid0(VALU_DEP_3) | instskip(NEXT) | instid1(VALU_DEP_3)
	v_fma_f32 v7, v19, s4, -v1
	v_add_co_u32 v3, vcc_lo, v4, v9
	s_delay_alu instid0(VALU_DEP_4)
	v_add_co_ci_u32_e32 v4, vcc_lo, v6, v10, vcc_lo
	v_cmp_eq_u32_e32 vcc_lo, v5, v2
	global_store_b64 v[3:4], v[7:8], off
	s_and_b32 exec_lo, exec_lo, vcc_lo
	s_cbranch_execz .LBB836_17
; %bb.16:
	v_mov_b32_e32 v1, 0
	global_store_b32 v[3:4], v1, off offset:4
.LBB836_17:
	s_or_b32 exec_lo, exec_lo, s0
	v_add_nc_u32_e32 v8, 16, v5
	s_delay_alu instid0(VALU_DEP_1) | instskip(SKIP_2) | instid1(VALU_DEP_1)
	v_mad_i64_i32 v[3:4], null, v8, s2, 0
	v_cmp_gt_i32_e32 vcc_lo, s8, v8
	v_cmp_le_i32_e64 s0, v0, v8
	s_and_b32 s0, vcc_lo, s0
	s_delay_alu instid0(VALU_DEP_3) | instskip(NEXT) | instid1(VALU_DEP_1)
	v_lshlrev_b64 v[3:4], 3, v[3:4]
	v_add_co_u32 v6, s1, s10, v3
	s_delay_alu instid0(VALU_DEP_1)
	v_add_co_ci_u32_e64 v7, s1, s11, v4, s1
	s_and_saveexec_b32 s1, s0
	s_cbranch_execz .LBB836_20
; %bb.18:
	v_ashrrev_i32_e32 v1, 31, v0
	v_mul_f32_e32 v10, s4, v18
	v_mul_f32_e32 v9, s5, v18
	s_delay_alu instid0(VALU_DEP_3) | instskip(NEXT) | instid1(VALU_DEP_3)
	v_lshlrev_b64 v[3:4], 3, v[0:1]
	v_fmac_f32_e32 v10, s5, v17
	s_delay_alu instid0(VALU_DEP_3) | instskip(NEXT) | instid1(VALU_DEP_3)
	v_fma_f32 v9, v17, s4, -v9
	v_add_co_u32 v3, s0, v6, v3
	s_delay_alu instid0(VALU_DEP_1)
	v_add_co_ci_u32_e64 v4, s0, v7, v4, s0
	v_cmp_eq_u32_e64 s0, v8, v0
	global_store_b64 v[3:4], v[9:10], off
	s_and_b32 exec_lo, exec_lo, s0
	s_cbranch_execz .LBB836_20
; %bb.19:
	v_mov_b32_e32 v1, 0
	global_store_b32 v[3:4], v1, off offset:4
.LBB836_20:
	s_or_b32 exec_lo, exec_lo, s1
	v_cmp_le_i32_e64 s0, v2, v8
	s_delay_alu instid0(VALU_DEP_1) | instskip(NEXT) | instid1(SALU_CYCLE_1)
	s_and_b32 s0, vcc_lo, s0
	s_and_saveexec_b32 s1, s0
	s_cbranch_execz .LBB836_23
; %bb.21:
	v_ashrrev_i32_e32 v3, 31, v2
	v_mul_f32_e32 v8, s5, v16
	v_mul_f32_e32 v4, s4, v16
	s_delay_alu instid0(VALU_DEP_3) | instskip(NEXT) | instid1(VALU_DEP_3)
	v_lshlrev_b64 v[1:2], 3, v[2:3]
	v_fma_f32 v3, v15, s4, -v8
	s_delay_alu instid0(VALU_DEP_3) | instskip(NEXT) | instid1(VALU_DEP_3)
	v_fmac_f32_e32 v4, s5, v15
	v_add_co_u32 v1, vcc_lo, v6, v1
	s_delay_alu instid0(VALU_DEP_4)
	v_add_co_ci_u32_e32 v2, vcc_lo, v7, v2, vcc_lo
	v_cmp_eq_u32_e32 vcc_lo, v5, v0
	global_store_b64 v[1:2], v[3:4], off
	s_and_b32 exec_lo, exec_lo, vcc_lo
	s_cbranch_execz .LBB836_23
; %bb.22:
	v_mov_b32_e32 v0, 0
	global_store_b32 v[1:2], v0, off offset:4
.LBB836_23:
	s_nop 0
	s_sendmsg sendmsg(MSG_DEALLOC_VGPRS)
	s_endpgm
	.section	.rodata,"a",@progbits
	.p2align	6, 0x0
	.amdhsa_kernel _ZL34rocblas_syrkx_herkx_general_kernelIi19rocblas_complex_numIfELi16ELi32ELi8ELb1ELb1ELc67ELc85EKPKS1_KPS1_EviT_T0_PT8_S7_lSA_S7_lS8_PT9_S7_li
		.amdhsa_group_segment_fixed_size 4096
		.amdhsa_private_segment_fixed_size 0
		.amdhsa_kernarg_size 100
		.amdhsa_user_sgpr_count 13
		.amdhsa_user_sgpr_dispatch_ptr 0
		.amdhsa_user_sgpr_queue_ptr 0
		.amdhsa_user_sgpr_kernarg_segment_ptr 1
		.amdhsa_user_sgpr_dispatch_id 0
		.amdhsa_user_sgpr_private_segment_size 0
		.amdhsa_wavefront_size32 1
		.amdhsa_uses_dynamic_stack 0
		.amdhsa_enable_private_segment 0
		.amdhsa_system_sgpr_workgroup_id_x 1
		.amdhsa_system_sgpr_workgroup_id_y 1
		.amdhsa_system_sgpr_workgroup_id_z 1
		.amdhsa_system_sgpr_workgroup_info 0
		.amdhsa_system_vgpr_workitem_id 1
		.amdhsa_next_free_vgpr 60
		.amdhsa_next_free_sgpr 19
		.amdhsa_reserve_vcc 1
		.amdhsa_float_round_mode_32 0
		.amdhsa_float_round_mode_16_64 0
		.amdhsa_float_denorm_mode_32 3
		.amdhsa_float_denorm_mode_16_64 3
		.amdhsa_dx10_clamp 1
		.amdhsa_ieee_mode 1
		.amdhsa_fp16_overflow 0
		.amdhsa_workgroup_processor_mode 1
		.amdhsa_memory_ordered 1
		.amdhsa_forward_progress 0
		.amdhsa_shared_vgpr_count 0
		.amdhsa_exception_fp_ieee_invalid_op 0
		.amdhsa_exception_fp_denorm_src 0
		.amdhsa_exception_fp_ieee_div_zero 0
		.amdhsa_exception_fp_ieee_overflow 0
		.amdhsa_exception_fp_ieee_underflow 0
		.amdhsa_exception_fp_ieee_inexact 0
		.amdhsa_exception_int_div_zero 0
	.end_amdhsa_kernel
	.section	.text._ZL34rocblas_syrkx_herkx_general_kernelIi19rocblas_complex_numIfELi16ELi32ELi8ELb1ELb1ELc67ELc85EKPKS1_KPS1_EviT_T0_PT8_S7_lSA_S7_lS8_PT9_S7_li,"axG",@progbits,_ZL34rocblas_syrkx_herkx_general_kernelIi19rocblas_complex_numIfELi16ELi32ELi8ELb1ELb1ELc67ELc85EKPKS1_KPS1_EviT_T0_PT8_S7_lSA_S7_lS8_PT9_S7_li,comdat
.Lfunc_end836:
	.size	_ZL34rocblas_syrkx_herkx_general_kernelIi19rocblas_complex_numIfELi16ELi32ELi8ELb1ELb1ELc67ELc85EKPKS1_KPS1_EviT_T0_PT8_S7_lSA_S7_lS8_PT9_S7_li, .Lfunc_end836-_ZL34rocblas_syrkx_herkx_general_kernelIi19rocblas_complex_numIfELi16ELi32ELi8ELb1ELb1ELc67ELc85EKPKS1_KPS1_EviT_T0_PT8_S7_lSA_S7_lS8_PT9_S7_li
                                        ; -- End function
	.section	.AMDGPU.csdata,"",@progbits
; Kernel info:
; codeLenInByte = 2528
; NumSgprs: 21
; NumVgprs: 60
; ScratchSize: 0
; MemoryBound: 1
; FloatMode: 240
; IeeeMode: 1
; LDSByteSize: 4096 bytes/workgroup (compile time only)
; SGPRBlocks: 2
; VGPRBlocks: 7
; NumSGPRsForWavesPerEU: 21
; NumVGPRsForWavesPerEU: 60
; Occupancy: 16
; WaveLimiterHint : 1
; COMPUTE_PGM_RSRC2:SCRATCH_EN: 0
; COMPUTE_PGM_RSRC2:USER_SGPR: 13
; COMPUTE_PGM_RSRC2:TRAP_HANDLER: 0
; COMPUTE_PGM_RSRC2:TGID_X_EN: 1
; COMPUTE_PGM_RSRC2:TGID_Y_EN: 1
; COMPUTE_PGM_RSRC2:TGID_Z_EN: 1
; COMPUTE_PGM_RSRC2:TIDIG_COMP_CNT: 1
	.section	.text._ZL34rocblas_syrkx_herkx_general_kernelIi19rocblas_complex_numIfELi16ELi32ELi8ELb1ELb1ELc78ELc85EKPKS1_KPS1_EviT_T0_PT8_S7_lSA_S7_lS8_PT9_S7_li,"axG",@progbits,_ZL34rocblas_syrkx_herkx_general_kernelIi19rocblas_complex_numIfELi16ELi32ELi8ELb1ELb1ELc78ELc85EKPKS1_KPS1_EviT_T0_PT8_S7_lSA_S7_lS8_PT9_S7_li,comdat
	.globl	_ZL34rocblas_syrkx_herkx_general_kernelIi19rocblas_complex_numIfELi16ELi32ELi8ELb1ELb1ELc78ELc85EKPKS1_KPS1_EviT_T0_PT8_S7_lSA_S7_lS8_PT9_S7_li ; -- Begin function _ZL34rocblas_syrkx_herkx_general_kernelIi19rocblas_complex_numIfELi16ELi32ELi8ELb1ELb1ELc78ELc85EKPKS1_KPS1_EviT_T0_PT8_S7_lSA_S7_lS8_PT9_S7_li
	.p2align	8
	.type	_ZL34rocblas_syrkx_herkx_general_kernelIi19rocblas_complex_numIfELi16ELi32ELi8ELb1ELb1ELc78ELc85EKPKS1_KPS1_EviT_T0_PT8_S7_lSA_S7_lS8_PT9_S7_li,@function
_ZL34rocblas_syrkx_herkx_general_kernelIi19rocblas_complex_numIfELi16ELi32ELi8ELb1ELb1ELc78ELc85EKPKS1_KPS1_EviT_T0_PT8_S7_lSA_S7_lS8_PT9_S7_li: ; @_ZL34rocblas_syrkx_herkx_general_kernelIi19rocblas_complex_numIfELi16ELi32ELi8ELb1ELb1ELc78ELc85EKPKS1_KPS1_EviT_T0_PT8_S7_lSA_S7_lS8_PT9_S7_li
; %bb.0:
	s_clause 0x1
	s_load_b64 s[4:5], s[0:1], 0x48
	s_load_b64 s[8:9], s[0:1], 0x0
	s_mov_b32 s16, s15
	s_mov_b32 s17, 0
	v_dual_mov_b32 v21, 0 :: v_dual_and_b32 v6, 0x3ff, v0
	s_lshl_b64 s[2:3], s[16:17], 3
	v_bfe_u32 v7, v0, 10, 10
	v_dual_mov_b32 v22, 0 :: v_dual_mov_b32 v19, 0
	v_dual_mov_b32 v20, 0 :: v_dual_mov_b32 v17, 0
	;; [unrolled: 1-line block ×3, first 2 shown]
	v_mov_b32_e32 v16, 0
	s_waitcnt lgkmcnt(0)
	s_add_u32 s10, s4, s2
	s_addc_u32 s11, s5, s3
	s_load_b128 s[4:7], s[0:1], 0x8
	s_load_b64 s[10:11], s[10:11], 0x0
	s_lshl_b32 s15, s13, 5
	s_lshl_b32 s14, s14, 5
	s_cmp_lt_i32 s9, 1
	s_cbranch_scc1 .LBB837_11
; %bb.1:
	s_clause 0x2
	s_load_b32 s18, s[0:1], 0x18
	s_load_b32 s12, s[0:1], 0x30
	s_load_b64 s[20:21], s[0:1], 0x28
	v_lshl_add_u32 v0, v7, 4, v6
	v_and_b32_e32 v8, 7, v6
	v_dual_mov_b32 v17, 0 :: v_dual_lshlrev_b32 v12, 3, v6
	v_lshl_add_u32 v13, v7, 6, 0x800
	s_delay_alu instid0(VALU_DEP_4) | instskip(SKIP_3) | instid1(VALU_DEP_4)
	v_and_b32_e32 v1, 31, v0
	v_lshrrev_b32_e32 v9, 5, v0
	v_lshrrev_b32_e32 v3, 3, v0
	v_dual_mov_b32 v21, 0 :: v_dual_lshlrev_b32 v4, 3, v8
	v_or_b32_e32 v5, s15, v1
	v_add_nc_u32_e32 v0, s15, v1
	s_delay_alu instid0(VALU_DEP_4) | instskip(NEXT) | instid1(VALU_DEP_4)
	v_add_nc_u32_e32 v2, s14, v3
	v_lshl_or_b32 v3, v3, 6, v4
	v_dual_mov_b32 v19, 0 :: v_dual_lshlrev_b32 v10, 3, v1
	v_cmp_gt_i32_e32 vcc_lo, s8, v5
	s_waitcnt lgkmcnt(0)
	s_ashr_i32 s19, s18, 31
	s_ashr_i32 s13, s12, 31
	s_add_u32 s20, s20, s2
	s_addc_u32 s21, s21, s3
	s_add_u32 s2, s6, s2
	s_addc_u32 s3, s7, s3
	v_mad_i64_i32 v[4:5], null, v9, s18, 0
	s_load_b64 s[6:7], s[20:21], 0x0
	s_load_b64 s[20:21], s[2:3], 0x0
	v_ashrrev_i32_e32 v1, 31, v0
	v_mad_i64_i32 v[14:15], null, s12, v8, 0
	v_add_nc_u32_e32 v11, 0x800, v3
	v_ashrrev_i32_e32 v3, 31, v2
	v_lshlrev_b64 v[4:5], 3, v[4:5]
	v_lshlrev_b64 v[0:1], 3, v[0:1]
	v_cmp_gt_i32_e64 s2, s8, v2
	v_lshl_or_b32 v10, v9, 8, v10
	v_lshlrev_b64 v[14:15], 3, v[14:15]
	v_lshlrev_b64 v[2:3], 3, v[2:3]
	v_mov_b32_e32 v16, 0
	v_add_co_u32 v0, s3, v4, v0
	s_delay_alu instid0(VALU_DEP_1) | instskip(NEXT) | instid1(VALU_DEP_4)
	v_add_co_ci_u32_e64 v1, s3, v5, v1, s3
	v_add_co_u32 v2, s3, v14, v2
	v_mov_b32_e32 v14, 0
	v_add_co_ci_u32_e64 v3, s3, v15, v3, s3
	s_waitcnt lgkmcnt(0)
	v_add_co_u32 v0, s3, s20, v0
	s_delay_alu instid0(VALU_DEP_1) | instskip(SKIP_1) | instid1(VALU_DEP_1)
	v_add_co_ci_u32_e64 v1, s3, s21, v1, s3
	v_add_co_u32 v2, s3, v2, s6
	v_add_co_ci_u32_e64 v3, s3, s7, v3, s3
	v_mov_b32_e32 v4, 0
	s_delay_alu instid0(VALU_DEP_3) | instskip(NEXT) | instid1(VALU_DEP_1)
	v_add_co_u32 v2, s3, v2, 4
	v_add_co_ci_u32_e64 v3, s3, 0, v3, s3
	v_dual_mov_b32 v15, 0 :: v_dual_mov_b32 v18, 0
	v_mov_b32_e32 v20, 0
	v_mov_b32_e32 v22, 0
	s_lshl_b64 s[6:7], s[18:19], 6
	s_lshl_b64 s[12:13], s[12:13], 6
	s_xor_b32 s3, vcc_lo, -1
	s_xor_b32 s2, s2, -1
	s_branch .LBB837_3
.LBB837_2:                              ;   in Loop: Header=BB837_3 Depth=1
	s_or_b32 exec_lo, exec_lo, s16
	ds_store_b32 v11, v5 offset:4
	s_waitcnt lgkmcnt(0)
	s_barrier
	buffer_gl0_inv
	ds_load_2addr_b64 v[23:26], v12 offset1:16
	ds_load_b128 v[27:30], v13
	ds_load_b128 v[31:34], v13 offset:1024
	ds_load_b128 v[35:38], v13 offset:16
	;; [unrolled: 1-line block ×4, first 2 shown]
	ds_load_2addr_b64 v[47:50], v12 offset0:32 offset1:48
	ds_load_b128 v[51:54], v13 offset:1040
	v_add_co_u32 v0, vcc_lo, v0, s6
	v_add_co_ci_u32_e32 v1, vcc_lo, s7, v1, vcc_lo
	v_add_co_u32 v2, vcc_lo, v2, s12
	v_add_co_ci_u32_e32 v3, vcc_lo, s13, v3, vcc_lo
	s_add_i32 s17, s17, 8
	s_delay_alu instid0(SALU_CYCLE_1)
	s_cmp_ge_i32 s17, s9
	s_waitcnt lgkmcnt(6)
	v_mul_f32_e32 v5, v28, v24
	v_dual_mul_f32 v55, v27, v24 :: v_dual_mul_f32 v56, v28, v26
	s_waitcnt lgkmcnt(5)
	v_dual_mul_f32 v57, v27, v26 :: v_dual_mul_f32 v58, v32, v24
	v_dual_mul_f32 v24, v31, v24 :: v_dual_mul_f32 v59, v32, v26
	v_mul_f32_e32 v26, v31, v26
	v_fma_f32 v5, v27, v23, -v5
	v_fmac_f32_e32 v55, v28, v23
	v_fma_f32 v27, v27, v25, -v56
	v_fmac_f32_e32 v57, v28, v25
	v_fma_f32 v28, v31, v23, -v58
	v_dual_fmac_f32 v24, v32, v23 :: v_dual_add_f32 v5, v21, v5
	v_fma_f32 v23, v31, v25, -v59
	v_fmac_f32_e32 v26, v32, v25
	s_delay_alu instid0(VALU_DEP_4)
	v_dual_add_f32 v28, v17, v28 :: v_dual_add_f32 v21, v22, v55
	v_dual_add_f32 v22, v19, v27 :: v_dual_add_f32 v27, v20, v57
	v_add_f32_e32 v24, v18, v24
	ds_load_2addr_b64 v[17:20], v12 offset0:64 offset1:80
	s_waitcnt lgkmcnt(2)
	v_dual_mul_f32 v31, v30, v48 :: v_dual_add_f32 v16, v16, v26
	v_dual_add_f32 v15, v15, v23 :: v_dual_mul_f32 v26, v29, v50
	v_mul_f32_e32 v23, v29, v48
	s_delay_alu instid0(VALU_DEP_3) | instskip(SKIP_1) | instid1(VALU_DEP_4)
	v_fma_f32 v25, v29, v47, -v31
	v_mul_f32_e32 v31, v30, v50
	v_fmac_f32_e32 v26, v30, v49
	s_delay_alu instid0(VALU_DEP_4) | instskip(NEXT) | instid1(VALU_DEP_2)
	v_fmac_f32_e32 v23, v30, v47
	v_dual_add_f32 v5, v5, v25 :: v_dual_add_f32 v26, v27, v26
	v_mul_f32_e32 v27, v33, v50
	s_waitcnt lgkmcnt(0)
	s_delay_alu instid0(VALU_DEP_1) | instskip(NEXT) | instid1(VALU_DEP_1)
	v_dual_fmac_f32 v27, v34, v49 :: v_dual_mul_f32 v30, v35, v18
	v_add_f32_e32 v27, v16, v27
	s_delay_alu instid0(VALU_DEP_2) | instskip(SKIP_4) | instid1(VALU_DEP_3)
	v_fmac_f32_e32 v30, v36, v17
	v_fma_f32 v25, v29, v49, -v31
	v_dual_add_f32 v31, v21, v23 :: v_dual_mul_f32 v16, v35, v20
	v_mul_f32_e32 v29, v34, v48
	v_mul_f32_e32 v23, v34, v50
	v_dual_add_f32 v25, v22, v25 :: v_dual_add_f32 v30, v31, v30
	s_delay_alu instid0(VALU_DEP_4) | instskip(NEXT) | instid1(VALU_DEP_4)
	v_fmac_f32_e32 v16, v36, v19
	v_fma_f32 v22, v33, v47, -v29
	v_mul_f32_e32 v21, v33, v48
	v_mul_f32_e32 v31, v52, v18
	s_delay_alu instid0(VALU_DEP_3) | instskip(SKIP_1) | instid1(VALU_DEP_3)
	v_add_f32_e32 v28, v28, v22
	v_fma_f32 v22, v33, v49, -v23
	v_fma_f32 v31, v51, v17, -v31
	s_delay_alu instid0(VALU_DEP_2) | instskip(SKIP_2) | instid1(VALU_DEP_2)
	v_add_f32_e32 v15, v15, v22
	v_mul_f32_e32 v23, v36, v18
	v_dual_mul_f32 v18, v51, v18 :: v_dual_fmac_f32 v21, v34, v47
	v_fma_f32 v32, v35, v17, -v23
	s_delay_alu instid0(VALU_DEP_2) | instskip(NEXT) | instid1(VALU_DEP_3)
	v_fmac_f32_e32 v18, v52, v17
	v_add_f32_e32 v29, v24, v21
	ds_load_2addr_b64 v[21:24], v12 offset0:96 offset1:112
	v_mul_f32_e32 v33, v36, v20
	v_add_f32_e32 v5, v5, v32
	v_add_f32_e32 v31, v28, v31
	s_delay_alu instid0(VALU_DEP_3) | instskip(NEXT) | instid1(VALU_DEP_1)
	v_fma_f32 v32, v35, v19, -v33
	v_add_f32_e32 v25, v25, v32
	v_mul_f32_e32 v32, v52, v20
	v_mul_f32_e32 v20, v51, v20
	s_delay_alu instid0(VALU_DEP_1) | instskip(SKIP_2) | instid1(VALU_DEP_2)
	v_fmac_f32_e32 v20, v52, v19
	s_waitcnt lgkmcnt(0)
	v_mul_f32_e32 v28, v38, v24
	v_add_f32_e32 v34, v27, v20
	v_mul_f32_e32 v20, v37, v24
	s_delay_alu instid0(VALU_DEP_3)
	v_fma_f32 v27, v37, v23, -v28
	v_add_f32_e32 v33, v26, v16
	v_fma_f32 v16, v51, v19, -v32
	v_mul_f32_e32 v26, v37, v22
	v_add_f32_e32 v29, v29, v18
	v_mul_f32_e32 v19, v38, v22
	v_fmac_f32_e32 v20, v38, v23
	v_add_f32_e32 v32, v15, v16
	ds_load_2addr_b64 v[15:18], v12 offset0:128 offset1:144
	v_fmac_f32_e32 v26, v38, v21
	s_delay_alu instid0(VALU_DEP_1) | instskip(SKIP_3) | instid1(VALU_DEP_2)
	v_add_f32_e32 v35, v30, v26
	v_mul_f32_e32 v30, v54, v24
	v_mul_f32_e32 v24, v53, v24
	v_fma_f32 v19, v37, v21, -v19
	v_fmac_f32_e32 v24, v54, v23
	s_delay_alu instid0(VALU_DEP_1) | instskip(SKIP_2) | instid1(VALU_DEP_1)
	v_dual_add_f32 v5, v5, v19 :: v_dual_add_f32 v24, v34, v24
	s_waitcnt lgkmcnt(0)
	v_mul_f32_e32 v34, v39, v18
	v_dual_mul_f32 v19, v54, v22 :: v_dual_fmac_f32 v34, v40, v17
	s_delay_alu instid0(VALU_DEP_1) | instskip(NEXT) | instid1(VALU_DEP_1)
	v_fma_f32 v19, v53, v21, -v19
	v_dual_mul_f32 v22, v53, v22 :: v_dual_add_f32 v37, v31, v19
	s_delay_alu instid0(VALU_DEP_1)
	v_fmac_f32_e32 v22, v54, v21
	v_add_f32_e32 v36, v25, v27
	ds_load_b128 v[25:28], v13 offset:1056
	v_add_f32_e32 v33, v33, v20
	v_fma_f32 v20, v53, v23, -v30
	v_dual_mul_f32 v19, v40, v16 :: v_dual_add_f32 v38, v29, v22
	v_dual_mul_f32 v47, v39, v16 :: v_dual_mul_f32 v30, v40, v18
	s_delay_alu instid0(VALU_DEP_3) | instskip(NEXT) | instid1(VALU_DEP_3)
	v_add_f32_e32 v23, v32, v20
	v_fma_f32 v29, v39, v15, -v19
	ds_load_2addr_b64 v[19:22], v12 offset0:160 offset1:176
	v_fmac_f32_e32 v47, v40, v15
	v_fma_f32 v39, v39, v17, -v30
	v_add_f32_e32 v5, v5, v29
	ds_load_b128 v[29:32], v13 offset:1072
	v_add_f32_e32 v36, v36, v39
	s_waitcnt lgkmcnt(2)
	v_mul_f32_e32 v48, v26, v16
	v_mul_f32_e32 v16, v25, v16
	v_dual_mul_f32 v40, v26, v18 :: v_dual_add_f32 v35, v35, v47
	v_add_f32_e32 v33, v33, v34
	s_delay_alu instid0(VALU_DEP_4) | instskip(NEXT) | instid1(VALU_DEP_4)
	v_fma_f32 v39, v25, v15, -v48
	v_fmac_f32_e32 v16, v26, v15
	v_mul_f32_e32 v34, v25, v18
	v_fma_f32 v15, v25, v17, -v40
	s_waitcnt lgkmcnt(1)
	v_dual_mul_f32 v18, v42, v20 :: v_dual_add_f32 v37, v37, v39
	v_mul_f32_e32 v39, v42, v22
	v_fmac_f32_e32 v34, v26, v17
	v_add_f32_e32 v25, v38, v16
	v_add_f32_e32 v23, v23, v15
	v_fma_f32 v38, v41, v19, -v18
	v_mul_f32_e32 v26, v41, v20
	ds_load_2addr_b64 v[15:18], v12 offset0:192 offset1:208
	v_add_f32_e32 v5, v5, v38
	v_add_f32_e32 v34, v24, v34
	v_mul_f32_e32 v24, v41, v22
	v_fma_f32 v38, v41, v21, -v39
	s_delay_alu instid0(VALU_DEP_2) | instskip(SKIP_1) | instid1(VALU_DEP_3)
	v_fmac_f32_e32 v24, v42, v21
	v_fmac_f32_e32 v26, v42, v19
	v_add_f32_e32 v36, v36, v38
	s_delay_alu instid0(VALU_DEP_2) | instskip(NEXT) | instid1(VALU_DEP_1)
	v_dual_add_f32 v35, v35, v26 :: v_dual_mul_f32 v26, v28, v20
	v_fma_f32 v26, v27, v19, -v26
	v_mul_f32_e32 v20, v27, v20
	s_delay_alu instid0(VALU_DEP_1) | instskip(SKIP_2) | instid1(VALU_DEP_1)
	v_dual_fmac_f32 v20, v28, v19 :: v_dual_add_f32 v19, v33, v24
	s_waitcnt lgkmcnt(0)
	v_mul_f32_e32 v33, v44, v16
	v_fma_f32 v33, v43, v15, -v33
	v_mul_f32_e32 v38, v28, v22
	s_delay_alu instid0(VALU_DEP_2) | instskip(NEXT) | instid1(VALU_DEP_2)
	v_dual_mul_f32 v22, v27, v22 :: v_dual_add_f32 v5, v5, v33
	v_fma_f32 v24, v27, v21, -v38
	v_add_f32_e32 v27, v37, v26
	v_mul_f32_e32 v37, v43, v18
	v_mul_f32_e32 v33, v30, v16
	s_delay_alu instid0(VALU_DEP_2)
	v_dual_add_f32 v20, v25, v20 :: v_dual_fmac_f32 v37, v44, v17
	v_dual_fmac_f32 v22, v28, v21 :: v_dual_add_f32 v21, v23, v24
	ds_load_2addr_b64 v[23:26], v12 offset0:224 offset1:240
	v_mul_f32_e32 v28, v43, v16
	v_mul_f32_e32 v16, v29, v16
	v_fma_f32 v33, v29, v15, -v33
	s_waitcnt lgkmcnt(0)
	s_barrier
	v_fmac_f32_e32 v28, v44, v15
	s_delay_alu instid0(VALU_DEP_2)
	v_dual_fmac_f32 v16, v30, v15 :: v_dual_add_f32 v15, v27, v33
	buffer_gl0_inv
	v_dual_add_f32 v28, v35, v28 :: v_dual_mul_f32 v35, v30, v18
	v_mul_f32_e32 v27, v46, v24
	v_add_f32_e32 v22, v34, v22
	v_mul_f32_e32 v34, v44, v18
	s_delay_alu instid0(VALU_DEP_1) | instskip(NEXT) | instid1(VALU_DEP_1)
	v_fma_f32 v34, v43, v17, -v34
	v_add_f32_e32 v34, v36, v34
	v_add_f32_e32 v36, v19, v37
	v_mul_f32_e32 v18, v29, v18
	v_fma_f32 v19, v29, v17, -v35
	s_delay_alu instid0(VALU_DEP_2) | instskip(NEXT) | instid1(VALU_DEP_2)
	v_dual_mul_f32 v29, v45, v24 :: v_dual_fmac_f32 v18, v30, v17
	v_add_f32_e32 v30, v21, v19
	v_fma_f32 v17, v45, v23, -v27
	v_mul_f32_e32 v19, v46, v26
	s_delay_alu instid0(VALU_DEP_4) | instskip(SKIP_1) | instid1(VALU_DEP_4)
	v_fmac_f32_e32 v29, v46, v23
	v_dual_add_f32 v27, v22, v18 :: v_dual_mul_f32 v18, v31, v24
	v_add_f32_e32 v21, v5, v17
	s_delay_alu instid0(VALU_DEP_4)
	v_fma_f32 v5, v45, v25, -v19
	v_mul_f32_e32 v17, v32, v24
	v_mul_f32_e32 v24, v32, v26
	v_fmac_f32_e32 v18, v32, v23
	v_add_f32_e32 v22, v28, v29
	v_add_f32_e32 v19, v34, v5
	v_fma_f32 v5, v31, v23, -v17
	v_fma_f32 v23, v31, v25, -v24
	v_add_f32_e32 v16, v20, v16
	v_mul_f32_e32 v20, v45, v26
	v_mul_f32_e32 v26, v31, v26
	v_add_f32_e32 v17, v15, v5
	s_delay_alu instid0(VALU_DEP_4) | instskip(NEXT) | instid1(VALU_DEP_4)
	v_dual_add_f32 v15, v30, v23 :: v_dual_add_f32 v18, v16, v18
	v_fmac_f32_e32 v20, v46, v25
	s_delay_alu instid0(VALU_DEP_4) | instskip(NEXT) | instid1(VALU_DEP_2)
	v_fmac_f32_e32 v26, v32, v25
	v_add_f32_e32 v20, v36, v20
	s_delay_alu instid0(VALU_DEP_2)
	v_add_f32_e32 v16, v27, v26
	s_cbranch_scc1 .LBB837_11
.LBB837_3:                              ; =>This Inner Loop Header: Depth=1
	v_add_nc_u32_e32 v5, s17, v9
	s_delay_alu instid0(VALU_DEP_1) | instskip(SKIP_1) | instid1(SALU_CYCLE_1)
	v_cmp_le_i32_e32 vcc_lo, s9, v5
	s_or_b32 s16, s3, vcc_lo
	s_and_saveexec_b32 s18, s16
	s_delay_alu instid0(SALU_CYCLE_1)
	s_xor_b32 s16, exec_lo, s18
	s_cbranch_execz .LBB837_5
; %bb.4:                                ;   in Loop: Header=BB837_3 Depth=1
	v_mov_b32_e32 v5, v4
	ds_store_b64 v10, v[4:5]
.LBB837_5:                              ;   in Loop: Header=BB837_3 Depth=1
	s_and_not1_saveexec_b32 s16, s16
	s_cbranch_execz .LBB837_7
; %bb.6:                                ;   in Loop: Header=BB837_3 Depth=1
	global_load_b64 v[23:24], v[0:1], off
	s_waitcnt vmcnt(0)
	ds_store_b64 v10, v[23:24]
.LBB837_7:                              ;   in Loop: Header=BB837_3 Depth=1
	s_or_b32 exec_lo, exec_lo, s16
	v_add_nc_u32_e32 v5, s17, v8
                                        ; implicit-def: $sgpr18
	s_delay_alu instid0(VALU_DEP_1) | instskip(SKIP_1) | instid1(SALU_CYCLE_1)
	v_cmp_le_i32_e32 vcc_lo, s9, v5
	s_or_b32 s16, vcc_lo, s2
	s_and_saveexec_b32 s19, s16
	s_delay_alu instid0(SALU_CYCLE_1)
	s_xor_b32 s16, exec_lo, s19
	s_cbranch_execz .LBB837_9
; %bb.8:                                ;   in Loop: Header=BB837_3 Depth=1
	s_mov_b32 s18, 0
	ds_store_b32 v11, v14
.LBB837_9:                              ;   in Loop: Header=BB837_3 Depth=1
	s_or_saveexec_b32 s16, s16
	v_mov_b32_e32 v5, s18
	s_xor_b32 exec_lo, exec_lo, s16
	s_cbranch_execz .LBB837_2
; %bb.10:                               ;   in Loop: Header=BB837_3 Depth=1
	global_load_b64 v[23:24], v[2:3], off offset:-4
	s_waitcnt vmcnt(0)
	v_xor_b32_e32 v5, 0x80000000, v24
	ds_store_b32 v11, v23
	s_branch .LBB837_2
.LBB837_11:
	s_load_b32 s2, s[0:1], 0x50
	v_add_nc_u32_e32 v5, s14, v7
	v_add_nc_u32_e32 v0, s15, v6
	s_delay_alu instid0(VALU_DEP_2) | instskip(NEXT) | instid1(VALU_DEP_2)
	v_cmp_gt_i32_e32 vcc_lo, s8, v5
	v_cmp_le_i32_e64 s0, v0, v5
	s_delay_alu instid0(VALU_DEP_1) | instskip(SKIP_2) | instid1(VALU_DEP_1)
	s_and_b32 s0, vcc_lo, s0
	s_waitcnt lgkmcnt(0)
	v_mad_i64_i32 v[1:2], null, v5, s2, 0
	v_lshlrev_b64 v[1:2], 3, v[1:2]
	s_delay_alu instid0(VALU_DEP_1) | instskip(NEXT) | instid1(VALU_DEP_1)
	v_add_co_u32 v4, s1, s10, v1
	v_add_co_ci_u32_e64 v6, s1, s11, v2, s1
	s_and_saveexec_b32 s1, s0
	s_cbranch_execz .LBB837_14
; %bb.12:
	v_ashrrev_i32_e32 v1, 31, v0
	v_mul_f32_e32 v8, s4, v22
	v_mul_f32_e32 v3, s5, v22
	s_delay_alu instid0(VALU_DEP_3) | instskip(NEXT) | instid1(VALU_DEP_3)
	v_lshlrev_b64 v[1:2], 3, v[0:1]
	v_fmac_f32_e32 v8, s5, v21
	s_delay_alu instid0(VALU_DEP_3) | instskip(NEXT) | instid1(VALU_DEP_3)
	v_fma_f32 v7, v21, s4, -v3
	v_add_co_u32 v1, s0, v4, v1
	s_delay_alu instid0(VALU_DEP_1)
	v_add_co_ci_u32_e64 v2, s0, v6, v2, s0
	v_cmp_eq_u32_e64 s0, v5, v0
	global_store_b64 v[1:2], v[7:8], off
	s_and_b32 exec_lo, exec_lo, s0
	s_cbranch_execz .LBB837_14
; %bb.13:
	v_mov_b32_e32 v3, 0
	global_store_b32 v[1:2], v3, off offset:4
.LBB837_14:
	s_or_b32 exec_lo, exec_lo, s1
	v_add_nc_u32_e32 v2, 16, v0
	s_delay_alu instid0(VALU_DEP_1) | instskip(NEXT) | instid1(VALU_DEP_1)
	v_cmp_le_i32_e64 s0, v2, v5
	s_and_b32 s1, vcc_lo, s0
	s_delay_alu instid0(SALU_CYCLE_1)
	s_and_saveexec_b32 s0, s1
	s_cbranch_execz .LBB837_17
; %bb.15:
	v_ashrrev_i32_e32 v3, 31, v2
	v_mul_f32_e32 v8, s4, v20
	v_mul_f32_e32 v1, s5, v20
	s_delay_alu instid0(VALU_DEP_3) | instskip(NEXT) | instid1(VALU_DEP_3)
	v_lshlrev_b64 v[9:10], 3, v[2:3]
	v_fmac_f32_e32 v8, s5, v19
	s_delay_alu instid0(VALU_DEP_3) | instskip(NEXT) | instid1(VALU_DEP_3)
	v_fma_f32 v7, v19, s4, -v1
	v_add_co_u32 v3, vcc_lo, v4, v9
	s_delay_alu instid0(VALU_DEP_4)
	v_add_co_ci_u32_e32 v4, vcc_lo, v6, v10, vcc_lo
	v_cmp_eq_u32_e32 vcc_lo, v5, v2
	global_store_b64 v[3:4], v[7:8], off
	s_and_b32 exec_lo, exec_lo, vcc_lo
	s_cbranch_execz .LBB837_17
; %bb.16:
	v_mov_b32_e32 v1, 0
	global_store_b32 v[3:4], v1, off offset:4
.LBB837_17:
	s_or_b32 exec_lo, exec_lo, s0
	v_add_nc_u32_e32 v8, 16, v5
	s_delay_alu instid0(VALU_DEP_1) | instskip(SKIP_2) | instid1(VALU_DEP_1)
	v_mad_i64_i32 v[3:4], null, v8, s2, 0
	v_cmp_gt_i32_e32 vcc_lo, s8, v8
	v_cmp_le_i32_e64 s0, v0, v8
	s_and_b32 s0, vcc_lo, s0
	s_delay_alu instid0(VALU_DEP_3) | instskip(NEXT) | instid1(VALU_DEP_1)
	v_lshlrev_b64 v[3:4], 3, v[3:4]
	v_add_co_u32 v6, s1, s10, v3
	s_delay_alu instid0(VALU_DEP_1)
	v_add_co_ci_u32_e64 v7, s1, s11, v4, s1
	s_and_saveexec_b32 s1, s0
	s_cbranch_execz .LBB837_20
; %bb.18:
	v_ashrrev_i32_e32 v1, 31, v0
	v_mul_f32_e32 v10, s4, v18
	v_mul_f32_e32 v9, s5, v18
	s_delay_alu instid0(VALU_DEP_3) | instskip(NEXT) | instid1(VALU_DEP_3)
	v_lshlrev_b64 v[3:4], 3, v[0:1]
	v_fmac_f32_e32 v10, s5, v17
	s_delay_alu instid0(VALU_DEP_3) | instskip(NEXT) | instid1(VALU_DEP_3)
	v_fma_f32 v9, v17, s4, -v9
	v_add_co_u32 v3, s0, v6, v3
	s_delay_alu instid0(VALU_DEP_1)
	v_add_co_ci_u32_e64 v4, s0, v7, v4, s0
	v_cmp_eq_u32_e64 s0, v8, v0
	global_store_b64 v[3:4], v[9:10], off
	s_and_b32 exec_lo, exec_lo, s0
	s_cbranch_execz .LBB837_20
; %bb.19:
	v_mov_b32_e32 v1, 0
	global_store_b32 v[3:4], v1, off offset:4
.LBB837_20:
	s_or_b32 exec_lo, exec_lo, s1
	v_cmp_le_i32_e64 s0, v2, v8
	s_delay_alu instid0(VALU_DEP_1) | instskip(NEXT) | instid1(SALU_CYCLE_1)
	s_and_b32 s0, vcc_lo, s0
	s_and_saveexec_b32 s1, s0
	s_cbranch_execz .LBB837_23
; %bb.21:
	v_ashrrev_i32_e32 v3, 31, v2
	v_mul_f32_e32 v8, s5, v16
	v_mul_f32_e32 v4, s4, v16
	s_delay_alu instid0(VALU_DEP_3) | instskip(NEXT) | instid1(VALU_DEP_3)
	v_lshlrev_b64 v[1:2], 3, v[2:3]
	v_fma_f32 v3, v15, s4, -v8
	s_delay_alu instid0(VALU_DEP_3) | instskip(NEXT) | instid1(VALU_DEP_3)
	v_fmac_f32_e32 v4, s5, v15
	v_add_co_u32 v1, vcc_lo, v6, v1
	s_delay_alu instid0(VALU_DEP_4)
	v_add_co_ci_u32_e32 v2, vcc_lo, v7, v2, vcc_lo
	v_cmp_eq_u32_e32 vcc_lo, v5, v0
	global_store_b64 v[1:2], v[3:4], off
	s_and_b32 exec_lo, exec_lo, vcc_lo
	s_cbranch_execz .LBB837_23
; %bb.22:
	v_mov_b32_e32 v0, 0
	global_store_b32 v[1:2], v0, off offset:4
.LBB837_23:
	s_nop 0
	s_sendmsg sendmsg(MSG_DEALLOC_VGPRS)
	s_endpgm
	.section	.rodata,"a",@progbits
	.p2align	6, 0x0
	.amdhsa_kernel _ZL34rocblas_syrkx_herkx_general_kernelIi19rocblas_complex_numIfELi16ELi32ELi8ELb1ELb1ELc78ELc85EKPKS1_KPS1_EviT_T0_PT8_S7_lSA_S7_lS8_PT9_S7_li
		.amdhsa_group_segment_fixed_size 4096
		.amdhsa_private_segment_fixed_size 0
		.amdhsa_kernarg_size 100
		.amdhsa_user_sgpr_count 13
		.amdhsa_user_sgpr_dispatch_ptr 0
		.amdhsa_user_sgpr_queue_ptr 0
		.amdhsa_user_sgpr_kernarg_segment_ptr 1
		.amdhsa_user_sgpr_dispatch_id 0
		.amdhsa_user_sgpr_private_segment_size 0
		.amdhsa_wavefront_size32 1
		.amdhsa_uses_dynamic_stack 0
		.amdhsa_enable_private_segment 0
		.amdhsa_system_sgpr_workgroup_id_x 1
		.amdhsa_system_sgpr_workgroup_id_y 1
		.amdhsa_system_sgpr_workgroup_id_z 1
		.amdhsa_system_sgpr_workgroup_info 0
		.amdhsa_system_vgpr_workitem_id 1
		.amdhsa_next_free_vgpr 60
		.amdhsa_next_free_sgpr 22
		.amdhsa_reserve_vcc 1
		.amdhsa_float_round_mode_32 0
		.amdhsa_float_round_mode_16_64 0
		.amdhsa_float_denorm_mode_32 3
		.amdhsa_float_denorm_mode_16_64 3
		.amdhsa_dx10_clamp 1
		.amdhsa_ieee_mode 1
		.amdhsa_fp16_overflow 0
		.amdhsa_workgroup_processor_mode 1
		.amdhsa_memory_ordered 1
		.amdhsa_forward_progress 0
		.amdhsa_shared_vgpr_count 0
		.amdhsa_exception_fp_ieee_invalid_op 0
		.amdhsa_exception_fp_denorm_src 0
		.amdhsa_exception_fp_ieee_div_zero 0
		.amdhsa_exception_fp_ieee_overflow 0
		.amdhsa_exception_fp_ieee_underflow 0
		.amdhsa_exception_fp_ieee_inexact 0
		.amdhsa_exception_int_div_zero 0
	.end_amdhsa_kernel
	.section	.text._ZL34rocblas_syrkx_herkx_general_kernelIi19rocblas_complex_numIfELi16ELi32ELi8ELb1ELb1ELc78ELc85EKPKS1_KPS1_EviT_T0_PT8_S7_lSA_S7_lS8_PT9_S7_li,"axG",@progbits,_ZL34rocblas_syrkx_herkx_general_kernelIi19rocblas_complex_numIfELi16ELi32ELi8ELb1ELb1ELc78ELc85EKPKS1_KPS1_EviT_T0_PT8_S7_lSA_S7_lS8_PT9_S7_li,comdat
.Lfunc_end837:
	.size	_ZL34rocblas_syrkx_herkx_general_kernelIi19rocblas_complex_numIfELi16ELi32ELi8ELb1ELb1ELc78ELc85EKPKS1_KPS1_EviT_T0_PT8_S7_lSA_S7_lS8_PT9_S7_li, .Lfunc_end837-_ZL34rocblas_syrkx_herkx_general_kernelIi19rocblas_complex_numIfELi16ELi32ELi8ELb1ELb1ELc78ELc85EKPKS1_KPS1_EviT_T0_PT8_S7_lSA_S7_lS8_PT9_S7_li
                                        ; -- End function
	.section	.AMDGPU.csdata,"",@progbits
; Kernel info:
; codeLenInByte = 2556
; NumSgprs: 24
; NumVgprs: 60
; ScratchSize: 0
; MemoryBound: 1
; FloatMode: 240
; IeeeMode: 1
; LDSByteSize: 4096 bytes/workgroup (compile time only)
; SGPRBlocks: 2
; VGPRBlocks: 7
; NumSGPRsForWavesPerEU: 24
; NumVGPRsForWavesPerEU: 60
; Occupancy: 16
; WaveLimiterHint : 1
; COMPUTE_PGM_RSRC2:SCRATCH_EN: 0
; COMPUTE_PGM_RSRC2:USER_SGPR: 13
; COMPUTE_PGM_RSRC2:TRAP_HANDLER: 0
; COMPUTE_PGM_RSRC2:TGID_X_EN: 1
; COMPUTE_PGM_RSRC2:TGID_Y_EN: 1
; COMPUTE_PGM_RSRC2:TGID_Z_EN: 1
; COMPUTE_PGM_RSRC2:TIDIG_COMP_CNT: 1
	.section	.text._ZL34rocblas_syrkx_herkx_general_kernelIi19rocblas_complex_numIfELi16ELi32ELi8ELb0ELb1ELc84ELc76EKPKS1_KPS1_EviT_T0_PT8_S7_lSA_S7_lS8_PT9_S7_li,"axG",@progbits,_ZL34rocblas_syrkx_herkx_general_kernelIi19rocblas_complex_numIfELi16ELi32ELi8ELb0ELb1ELc84ELc76EKPKS1_KPS1_EviT_T0_PT8_S7_lSA_S7_lS8_PT9_S7_li,comdat
	.globl	_ZL34rocblas_syrkx_herkx_general_kernelIi19rocblas_complex_numIfELi16ELi32ELi8ELb0ELb1ELc84ELc76EKPKS1_KPS1_EviT_T0_PT8_S7_lSA_S7_lS8_PT9_S7_li ; -- Begin function _ZL34rocblas_syrkx_herkx_general_kernelIi19rocblas_complex_numIfELi16ELi32ELi8ELb0ELb1ELc84ELc76EKPKS1_KPS1_EviT_T0_PT8_S7_lSA_S7_lS8_PT9_S7_li
	.p2align	8
	.type	_ZL34rocblas_syrkx_herkx_general_kernelIi19rocblas_complex_numIfELi16ELi32ELi8ELb0ELb1ELc84ELc76EKPKS1_KPS1_EviT_T0_PT8_S7_lSA_S7_lS8_PT9_S7_li,@function
_ZL34rocblas_syrkx_herkx_general_kernelIi19rocblas_complex_numIfELi16ELi32ELi8ELb0ELb1ELc84ELc76EKPKS1_KPS1_EviT_T0_PT8_S7_lSA_S7_lS8_PT9_S7_li: ; @_ZL34rocblas_syrkx_herkx_general_kernelIi19rocblas_complex_numIfELi16ELi32ELi8ELb0ELb1ELc84ELc76EKPKS1_KPS1_EviT_T0_PT8_S7_lSA_S7_lS8_PT9_S7_li
; %bb.0:
	s_clause 0x1
	s_load_b128 s[4:7], s[0:1], 0x40
	s_load_b64 s[16:17], s[0:1], 0x0
	s_mov_b32 s18, s15
	s_mov_b32 s19, 0
	v_dual_mov_b32 v21, 0 :: v_dual_and_b32 v6, 0x3ff, v0
	s_lshl_b64 s[2:3], s[18:19], 3
	v_bfe_u32 v7, v0, 10, 10
	v_dual_mov_b32 v20, 0 :: v_dual_mov_b32 v19, 0
	v_dual_mov_b32 v18, 0 :: v_dual_mov_b32 v17, 0
	v_dual_mov_b32 v16, 0 :: v_dual_mov_b32 v15, 0
	v_mov_b32_e32 v14, 0
	s_waitcnt lgkmcnt(0)
	s_add_u32 s6, s6, s2
	s_addc_u32 s7, s7, s3
	s_load_b128 s[8:11], s[0:1], 0x8
	s_load_b64 s[6:7], s[6:7], 0x0
	s_lshl_b32 s12, s13, 5
	s_lshl_b32 s13, s14, 5
	s_cmp_lt_i32 s17, 1
	s_cbranch_scc1 .LBB838_11
; %bb.1:
	s_clause 0x1
	s_load_b64 s[14:15], s[0:1], 0x28
	s_load_b32 s18, s[0:1], 0x18
	v_lshl_add_u32 v0, v7, 4, v6
	s_load_b32 s20, s[0:1], 0x30
	v_and_b32_e32 v8, 7, v6
	v_lshlrev_b32_e32 v9, 3, v6
	v_lshl_add_u32 v10, v7, 6, 0x800
	v_and_b32_e32 v1, 31, v0
	v_lshrrev_b32_e32 v2, 3, v0
	v_lshrrev_b32_e32 v11, 5, v0
	v_dual_mov_b32 v19, 0 :: v_dual_mov_b32 v18, 0
	s_delay_alu instid0(VALU_DEP_4) | instskip(SKIP_4) | instid1(VALU_DEP_4)
	v_add_nc_u32_e32 v3, s12, v1
	v_or_b32_e32 v12, s12, v1
	v_dual_mov_b32 v20, 0 :: v_dual_lshlrev_b32 v13, 3, v1
	v_lshlrev_b32_e32 v15, 3, v11
	v_dual_mov_b32 v16, 0 :: v_dual_add_nc_u32 v5, s13, v2
	v_cmp_gt_i32_e32 vcc_lo, s16, v12
	s_waitcnt lgkmcnt(0)
	s_add_u32 s14, s14, s2
	v_mad_i64_i32 v[0:1], null, s18, v3, 0
	s_addc_u32 s15, s15, s3
	s_add_u32 s2, s10, s2
	s_addc_u32 s3, s11, s3
	s_load_b64 s[14:15], s[14:15], 0x0
	s_load_b64 s[10:11], s[2:3], 0x0
	v_cmp_gt_i32_e64 s2, s16, v5
	s_delay_alu instid0(VALU_DEP_2) | instskip(SKIP_4) | instid1(VALU_DEP_4)
	v_lshlrev_b64 v[0:1], 3, v[0:1]
	v_lshl_or_b32 v12, v11, 8, v13
	v_mov_b32_e32 v21, 0
	v_mov_b32_e32 v17, 0
	s_xor_b32 s2, s2, -1
	v_add_co_u32 v0, s3, v0, v15
	v_dual_mov_b32 v15, 0 :: v_dual_lshlrev_b32 v4, 3, v8
	v_add_co_ci_u32_e64 v1, s3, 0, v1, s3
	s_delay_alu instid0(VALU_DEP_2) | instskip(SKIP_1) | instid1(VALU_DEP_2)
	v_lshl_or_b32 v14, v2, 6, v4
	v_mad_i64_i32 v[2:3], null, s20, v5, 0
	v_dual_mov_b32 v14, 0 :: v_dual_add_nc_u32 v13, 0x800, v14
	s_delay_alu instid0(VALU_DEP_2) | instskip(NEXT) | instid1(VALU_DEP_1)
	v_lshlrev_b64 v[2:3], 3, v[2:3]
	v_add_co_u32 v2, s3, v2, v4
	s_delay_alu instid0(VALU_DEP_1) | instskip(SKIP_2) | instid1(VALU_DEP_1)
	v_add_co_ci_u32_e64 v3, s3, 0, v3, s3
	s_waitcnt lgkmcnt(0)
	v_add_co_u32 v0, s3, s10, v0
	v_add_co_ci_u32_e64 v1, s3, s11, v1, s3
	v_add_co_u32 v2, s3, s14, v2
	s_delay_alu instid0(VALU_DEP_1)
	v_add_co_ci_u32_e64 v3, s3, s15, v3, s3
	v_mov_b32_e32 v4, 0
	s_xor_b32 s3, vcc_lo, -1
	s_branch .LBB838_3
.LBB838_2:                              ;   in Loop: Header=BB838_3 Depth=1
	s_or_b32 exec_lo, exec_lo, s10
	s_waitcnt lgkmcnt(0)
	s_barrier
	buffer_gl0_inv
	ds_load_2addr_b64 v[22:25], v9 offset1:16
	ds_load_b128 v[26:29], v10
	ds_load_b128 v[30:33], v10 offset:1024
	ds_load_b128 v[34:37], v10 offset:16
	;; [unrolled: 1-line block ×4, first 2 shown]
	ds_load_2addr_b64 v[46:49], v9 offset0:32 offset1:48
	ds_load_b128 v[50:53], v10 offset:1040
	v_add_co_u32 v0, vcc_lo, v0, 64
	v_add_co_ci_u32_e32 v1, vcc_lo, 0, v1, vcc_lo
	v_add_co_u32 v2, vcc_lo, v2, 64
	v_add_co_ci_u32_e32 v3, vcc_lo, 0, v3, vcc_lo
	s_add_i32 s19, s19, 8
	s_delay_alu instid0(SALU_CYCLE_1)
	s_cmp_ge_i32 s19, s17
	s_waitcnt lgkmcnt(6)
	v_dual_mul_f32 v5, v27, v23 :: v_dual_mul_f32 v56, v26, v25
	v_dual_mul_f32 v54, v26, v23 :: v_dual_mul_f32 v55, v27, v25
	s_waitcnt lgkmcnt(5)
	v_mul_f32_e32 v58, v31, v25
	s_delay_alu instid0(VALU_DEP_3) | instskip(SKIP_3) | instid1(VALU_DEP_4)
	v_fma_f32 v5, v26, v22, -v5
	v_dual_mul_f32 v25, v30, v25 :: v_dual_fmac_f32 v56, v27, v24
	v_fmac_f32_e32 v54, v27, v22
	v_fma_f32 v26, v26, v24, -v55
	v_add_f32_e32 v5, v20, v5
	v_mul_f32_e32 v57, v31, v23
	s_delay_alu instid0(VALU_DEP_4) | instskip(SKIP_2) | instid1(VALU_DEP_4)
	v_dual_mul_f32 v23, v30, v23 :: v_dual_add_f32 v20, v21, v54
	v_fmac_f32_e32 v25, v31, v24
	v_dual_add_f32 v21, v18, v26 :: v_dual_add_f32 v26, v19, v56
	v_fma_f32 v27, v30, v22, -v57
	s_delay_alu instid0(VALU_DEP_4) | instskip(SKIP_3) | instid1(VALU_DEP_2)
	v_fmac_f32_e32 v23, v31, v22
	v_fma_f32 v22, v30, v24, -v58
	s_waitcnt lgkmcnt(1)
	v_mul_f32_e32 v30, v29, v47
	v_dual_add_f32 v27, v16, v27 :: v_dual_add_f32 v14, v14, v22
	v_dual_mul_f32 v22, v28, v47 :: v_dual_add_f32 v15, v15, v25
	v_mul_f32_e32 v25, v28, v49
	s_delay_alu instid0(VALU_DEP_4) | instskip(NEXT) | instid1(VALU_DEP_3)
	v_fma_f32 v24, v28, v46, -v30
	v_fmac_f32_e32 v22, v29, v46
	v_add_f32_e32 v23, v17, v23
	ds_load_2addr_b64 v[16:19], v9 offset0:64 offset1:80
	v_mul_f32_e32 v30, v29, v49
	v_fmac_f32_e32 v25, v29, v48
	v_add_f32_e32 v5, v5, v24
	s_delay_alu instid0(VALU_DEP_2) | instskip(SKIP_1) | instid1(VALU_DEP_1)
	v_add_f32_e32 v25, v26, v25
	v_mul_f32_e32 v26, v32, v49
	v_fmac_f32_e32 v26, v33, v48
	s_waitcnt lgkmcnt(0)
	s_delay_alu instid0(VALU_DEP_1) | instskip(SKIP_1) | instid1(VALU_DEP_2)
	v_dual_add_f32 v26, v15, v26 :: v_dual_mul_f32 v29, v34, v17
	v_mul_f32_e32 v15, v34, v19
	v_fmac_f32_e32 v29, v35, v16
	v_fma_f32 v24, v28, v48, -v30
	v_mul_f32_e32 v28, v33, v47
	v_add_f32_e32 v30, v20, v22
	v_mul_f32_e32 v20, v32, v47
	v_mul_f32_e32 v22, v33, v49
	v_add_f32_e32 v24, v21, v24
	v_fma_f32 v21, v32, v46, -v28
	s_delay_alu instid0(VALU_DEP_4) | instskip(SKIP_1) | instid1(VALU_DEP_3)
	v_dual_add_f32 v29, v30, v29 :: v_dual_fmac_f32 v20, v33, v46
	v_fmac_f32_e32 v15, v35, v18
	v_add_f32_e32 v27, v27, v21
	v_fma_f32 v21, v32, v48, -v22
	v_mul_f32_e32 v22, v35, v17
	v_mul_f32_e32 v32, v35, v19
	v_add_f32_e32 v28, v23, v20
	s_delay_alu instid0(VALU_DEP_4) | instskip(NEXT) | instid1(VALU_DEP_4)
	v_add_f32_e32 v14, v14, v21
	v_fma_f32 v31, v34, v16, -v22
	ds_load_2addr_b64 v[20:23], v9 offset0:96 offset1:112
	v_add_f32_e32 v5, v5, v31
	v_fma_f32 v31, v34, v18, -v32
	s_delay_alu instid0(VALU_DEP_1) | instskip(SKIP_3) | instid1(VALU_DEP_3)
	v_add_f32_e32 v24, v24, v31
	v_mul_f32_e32 v31, v51, v19
	v_mul_f32_e32 v19, v50, v19
	v_add_f32_e32 v32, v25, v15
	v_fma_f32 v15, v50, v18, -v31
	s_delay_alu instid0(VALU_DEP_3)
	v_fmac_f32_e32 v19, v51, v18
	v_mul_f32_e32 v30, v51, v17
	v_mul_f32_e32 v17, v50, v17
	s_waitcnt lgkmcnt(0)
	v_dual_mul_f32 v18, v37, v21 :: v_dual_add_f32 v31, v14, v15
	v_add_f32_e32 v33, v26, v19
	v_fma_f32 v30, v50, v16, -v30
	v_fmac_f32_e32 v17, v51, v16
	s_delay_alu instid0(VALU_DEP_4) | instskip(SKIP_1) | instid1(VALU_DEP_4)
	v_fma_f32 v18, v36, v20, -v18
	v_mul_f32_e32 v25, v36, v21
	v_dual_mul_f32 v19, v36, v23 :: v_dual_add_f32 v30, v27, v30
	s_delay_alu instid0(VALU_DEP_4) | instskip(SKIP_4) | instid1(VALU_DEP_2)
	v_add_f32_e32 v28, v28, v17
	ds_load_2addr_b64 v[14:17], v9 offset0:128 offset1:144
	v_add_f32_e32 v5, v5, v18
	v_mul_f32_e32 v18, v53, v21
	v_fmac_f32_e32 v19, v37, v22
	v_fma_f32 v18, v52, v20, -v18
	v_mul_f32_e32 v27, v37, v23
	s_delay_alu instid0(VALU_DEP_1) | instskip(NEXT) | instid1(VALU_DEP_3)
	v_fma_f32 v26, v36, v22, -v27
	v_add_f32_e32 v36, v30, v18
	s_waitcnt lgkmcnt(0)
	s_delay_alu instid0(VALU_DEP_2) | instskip(SKIP_2) | instid1(VALU_DEP_3)
	v_dual_add_f32 v35, v24, v26 :: v_dual_mul_f32 v46, v38, v15
	v_dual_fmac_f32 v25, v37, v20 :: v_dual_add_f32 v32, v32, v19
	v_mul_f32_e32 v18, v39, v15
	v_fmac_f32_e32 v46, v39, v14
	s_delay_alu instid0(VALU_DEP_3)
	v_add_f32_e32 v34, v29, v25
	v_mul_f32_e32 v29, v53, v23
	v_mul_f32_e32 v23, v52, v23
	ds_load_b128 v[24:27], v10 offset:1056
	v_add_f32_e32 v34, v34, v46
	v_fma_f32 v19, v52, v22, -v29
	v_mul_f32_e32 v21, v52, v21
	v_fmac_f32_e32 v23, v53, v22
	v_mul_f32_e32 v29, v39, v17
	s_delay_alu instid0(VALU_DEP_3) | instskip(NEXT) | instid1(VALU_DEP_3)
	v_dual_add_f32 v22, v31, v19 :: v_dual_fmac_f32 v21, v53, v20
	v_add_f32_e32 v23, v33, v23
	s_delay_alu instid0(VALU_DEP_2) | instskip(SKIP_4) | instid1(VALU_DEP_2)
	v_add_f32_e32 v37, v28, v21
	v_fma_f32 v28, v38, v14, -v18
	ds_load_2addr_b64 v[18:21], v9 offset0:160 offset1:176
	v_mul_f32_e32 v33, v38, v17
	v_fma_f32 v38, v38, v16, -v29
	v_fmac_f32_e32 v33, v39, v16
	s_delay_alu instid0(VALU_DEP_1)
	v_dual_add_f32 v35, v35, v38 :: v_dual_add_f32 v32, v32, v33
	v_add_f32_e32 v5, v5, v28
	ds_load_b128 v[28:31], v10 offset:1072
	s_waitcnt lgkmcnt(2)
	v_mul_f32_e32 v47, v25, v15
	v_mul_f32_e32 v15, v24, v15
	;; [unrolled: 1-line block ×4, first 2 shown]
	s_delay_alu instid0(VALU_DEP_4) | instskip(NEXT) | instid1(VALU_DEP_4)
	v_fma_f32 v38, v24, v14, -v47
	v_fmac_f32_e32 v15, v25, v14
	s_delay_alu instid0(VALU_DEP_4)
	v_fma_f32 v14, v24, v16, -v39
	s_waitcnt lgkmcnt(1)
	v_mul_f32_e32 v17, v41, v19
	v_dual_fmac_f32 v33, v25, v16 :: v_dual_add_f32 v36, v36, v38
	v_add_f32_e32 v24, v37, v15
	v_add_f32_e32 v22, v22, v14
	s_delay_alu instid0(VALU_DEP_4) | instskip(SKIP_2) | instid1(VALU_DEP_1)
	v_fma_f32 v37, v40, v18, -v17
	ds_load_2addr_b64 v[14:17], v9 offset0:192 offset1:208
	v_dual_mul_f32 v25, v40, v19 :: v_dual_mul_f32 v38, v41, v21
	v_fmac_f32_e32 v25, v41, v18
	s_delay_alu instid0(VALU_DEP_1) | instskip(SKIP_4) | instid1(VALU_DEP_3)
	v_add_f32_e32 v34, v34, v25
	v_add_f32_e32 v33, v23, v33
	v_mul_f32_e32 v23, v40, v21
	v_mul_f32_e32 v25, v27, v19
	v_mul_f32_e32 v19, v26, v19
	v_fmac_f32_e32 v23, v41, v20
	s_delay_alu instid0(VALU_DEP_3) | instskip(NEXT) | instid1(VALU_DEP_2)
	v_fma_f32 v25, v26, v18, -v25
	v_dual_fmac_f32 v19, v27, v18 :: v_dual_add_f32 v18, v32, v23
	s_waitcnt lgkmcnt(0)
	v_dual_mul_f32 v32, v43, v15 :: v_dual_add_f32 v5, v5, v37
	v_fma_f32 v37, v40, v20, -v38
	s_delay_alu instid0(VALU_DEP_3) | instskip(NEXT) | instid1(VALU_DEP_3)
	v_add_f32_e32 v19, v24, v19
	v_fma_f32 v32, v42, v14, -v32
	s_delay_alu instid0(VALU_DEP_1) | instskip(NEXT) | instid1(VALU_DEP_4)
	v_add_f32_e32 v5, v5, v32
	v_add_f32_e32 v35, v35, v37
	v_mul_f32_e32 v37, v27, v21
	v_dual_mul_f32 v21, v26, v21 :: v_dual_mul_f32 v32, v29, v15
	s_delay_alu instid0(VALU_DEP_2) | instskip(NEXT) | instid1(VALU_DEP_2)
	v_fma_f32 v23, v26, v20, -v37
	v_dual_add_f32 v26, v36, v25 :: v_dual_fmac_f32 v21, v27, v20
	v_mul_f32_e32 v27, v42, v15
	v_mul_f32_e32 v15, v28, v15
	s_delay_alu instid0(VALU_DEP_4)
	v_add_f32_e32 v20, v22, v23
	ds_load_2addr_b64 v[22:25], v9 offset0:224 offset1:240
	v_fma_f32 v32, v28, v14, -v32
	v_dual_fmac_f32 v27, v43, v14 :: v_dual_mul_f32 v36, v42, v17
	v_fmac_f32_e32 v15, v29, v14
	s_waitcnt lgkmcnt(0)
	s_delay_alu instid0(VALU_DEP_3) | instskip(NEXT) | instid1(VALU_DEP_3)
	v_add_f32_e32 v14, v26, v32
	v_dual_add_f32 v27, v34, v27 :: v_dual_fmac_f32 v36, v43, v16
	s_delay_alu instid0(VALU_DEP_3)
	v_dual_mul_f32 v34, v29, v17 :: v_dual_add_f32 v15, v19, v15
	s_barrier
	buffer_gl0_inv
	v_mul_f32_e32 v26, v45, v23
	v_add_f32_e32 v21, v33, v21
	v_mul_f32_e32 v33, v43, v17
	v_mul_f32_e32 v17, v28, v17
	;; [unrolled: 1-line block ×3, first 2 shown]
	s_delay_alu instid0(VALU_DEP_3) | instskip(NEXT) | instid1(VALU_DEP_3)
	v_fma_f32 v33, v42, v16, -v33
	v_fmac_f32_e32 v17, v29, v16
	s_delay_alu instid0(VALU_DEP_3) | instskip(NEXT) | instid1(VALU_DEP_3)
	v_fmac_f32_e32 v19, v45, v24
	v_add_f32_e32 v33, v35, v33
	v_add_f32_e32 v35, v18, v36
	v_fma_f32 v18, v28, v16, -v34
	v_fma_f32 v16, v44, v22, -v26
	v_mul_f32_e32 v28, v44, v23
	v_dual_add_f32 v26, v21, v17 :: v_dual_mul_f32 v17, v30, v23
	s_delay_alu instid0(VALU_DEP_4) | instskip(NEXT) | instid1(VALU_DEP_4)
	v_dual_add_f32 v29, v20, v18 :: v_dual_mul_f32 v18, v45, v25
	v_add_f32_e32 v20, v5, v16
	v_mul_f32_e32 v16, v31, v23
	v_mul_f32_e32 v23, v31, v25
	v_mul_f32_e32 v25, v30, v25
	v_fma_f32 v5, v44, v24, -v18
	v_fmac_f32_e32 v28, v45, v22
	v_fmac_f32_e32 v17, v31, v22
	v_add_f32_e32 v19, v35, v19
	s_delay_alu instid0(VALU_DEP_4)
	v_dual_fmac_f32 v25, v31, v24 :: v_dual_add_f32 v18, v33, v5
	v_fma_f32 v5, v30, v22, -v16
	v_fma_f32 v22, v30, v24, -v23
	v_add_f32_e32 v21, v27, v28
	v_add_f32_e32 v17, v15, v17
	;; [unrolled: 1-line block ×5, first 2 shown]
	s_cbranch_scc1 .LBB838_11
.LBB838_3:                              ; =>This Inner Loop Header: Depth=1
	v_add_nc_u32_e32 v5, s19, v11
	s_delay_alu instid0(VALU_DEP_1) | instskip(SKIP_1) | instid1(SALU_CYCLE_1)
	v_cmp_le_i32_e32 vcc_lo, s17, v5
	s_or_b32 s10, s3, vcc_lo
	s_and_saveexec_b32 s11, s10
	s_delay_alu instid0(SALU_CYCLE_1)
	s_xor_b32 s10, exec_lo, s11
	s_cbranch_execz .LBB838_5
; %bb.4:                                ;   in Loop: Header=BB838_3 Depth=1
	v_mov_b32_e32 v5, v4
	ds_store_b64 v12, v[4:5]
.LBB838_5:                              ;   in Loop: Header=BB838_3 Depth=1
	s_and_not1_saveexec_b32 s10, s10
	s_cbranch_execz .LBB838_7
; %bb.6:                                ;   in Loop: Header=BB838_3 Depth=1
	global_load_b64 v[22:23], v[0:1], off
	s_waitcnt vmcnt(0)
	ds_store_b64 v12, v[22:23]
.LBB838_7:                              ;   in Loop: Header=BB838_3 Depth=1
	s_or_b32 exec_lo, exec_lo, s10
	v_add_nc_u32_e32 v5, s19, v8
	s_delay_alu instid0(VALU_DEP_1) | instskip(SKIP_1) | instid1(SALU_CYCLE_1)
	v_cmp_le_i32_e32 vcc_lo, s17, v5
	s_or_b32 s10, vcc_lo, s2
	s_and_saveexec_b32 s11, s10
	s_delay_alu instid0(SALU_CYCLE_1)
	s_xor_b32 s10, exec_lo, s11
	s_cbranch_execz .LBB838_9
; %bb.8:                                ;   in Loop: Header=BB838_3 Depth=1
	v_mov_b32_e32 v5, v4
	ds_store_b64 v13, v[4:5]
.LBB838_9:                              ;   in Loop: Header=BB838_3 Depth=1
	s_and_not1_saveexec_b32 s10, s10
	s_cbranch_execz .LBB838_2
; %bb.10:                               ;   in Loop: Header=BB838_3 Depth=1
	global_load_b64 v[22:23], v[2:3], off
	s_waitcnt vmcnt(0)
	ds_store_b64 v13, v[22:23]
	s_branch .LBB838_2
.LBB838_11:
	s_load_b32 s2, s[0:1], 0x50
	v_add_nc_u32_e32 v5, s13, v7
	v_add_nc_u32_e32 v0, s12, v6
	s_delay_alu instid0(VALU_DEP_1) | instskip(SKIP_1) | instid1(VALU_DEP_2)
	v_cmp_le_i32_e64 s0, v5, v0
	v_cmp_gt_i32_e32 vcc_lo, s16, v0
	s_and_b32 s0, s0, vcc_lo
	s_waitcnt lgkmcnt(0)
	v_mad_i64_i32 v[1:2], null, v5, s2, 0
	s_delay_alu instid0(VALU_DEP_1) | instskip(NEXT) | instid1(VALU_DEP_1)
	v_lshlrev_b64 v[1:2], 3, v[1:2]
	v_add_co_u32 v4, s1, s6, v1
	s_delay_alu instid0(VALU_DEP_1)
	v_add_co_ci_u32_e64 v6, s1, s7, v2, s1
	s_and_saveexec_b32 s1, s0
	s_cbranch_execz .LBB838_14
; %bb.12:
	v_ashrrev_i32_e32 v1, 31, v0
	s_delay_alu instid0(VALU_DEP_1) | instskip(NEXT) | instid1(VALU_DEP_1)
	v_lshlrev_b64 v[1:2], 3, v[0:1]
	v_add_co_u32 v1, s0, v4, v1
	s_delay_alu instid0(VALU_DEP_1)
	v_add_co_ci_u32_e64 v2, s0, v6, v2, s0
	v_cmp_eq_u32_e64 s0, v5, v0
	global_load_b64 v[7:8], v[1:2], off
	v_mul_f32_e32 v3, s9, v21
	s_waitcnt vmcnt(0)
	v_dual_mul_f32 v9, s8, v21 :: v_dual_mul_f32 v10, s5, v8
	v_mul_f32_e32 v8, s4, v8
	s_delay_alu instid0(VALU_DEP_3) | instskip(NEXT) | instid1(VALU_DEP_3)
	v_fma_f32 v3, v20, s8, -v3
	v_fmac_f32_e32 v9, s9, v20
	s_delay_alu instid0(VALU_DEP_4) | instskip(NEXT) | instid1(VALU_DEP_1)
	v_fma_f32 v10, v7, s4, -v10
	v_dual_fmac_f32 v8, s5, v7 :: v_dual_add_f32 v7, v3, v10
	s_delay_alu instid0(VALU_DEP_1)
	v_add_f32_e32 v8, v9, v8
	global_store_b64 v[1:2], v[7:8], off
	s_and_b32 exec_lo, exec_lo, s0
	s_cbranch_execz .LBB838_14
; %bb.13:
	v_mov_b32_e32 v3, 0
	global_store_b32 v[1:2], v3, off offset:4
.LBB838_14:
	s_or_b32 exec_lo, exec_lo, s1
	v_add_nc_u32_e32 v2, 16, v0
	s_delay_alu instid0(VALU_DEP_1) | instskip(SKIP_1) | instid1(VALU_DEP_1)
	v_cmp_le_i32_e64 s1, v5, v2
	v_cmp_gt_i32_e64 s0, s16, v2
	s_and_b32 s1, s1, s0
	s_delay_alu instid0(SALU_CYCLE_1)
	s_and_saveexec_b32 s3, s1
	s_cbranch_execz .LBB838_17
; %bb.15:
	v_ashrrev_i32_e32 v3, 31, v2
	s_delay_alu instid0(VALU_DEP_1) | instskip(NEXT) | instid1(VALU_DEP_1)
	v_lshlrev_b64 v[7:8], 3, v[2:3]
	v_add_co_u32 v3, s1, v4, v7
	s_delay_alu instid0(VALU_DEP_1) | instskip(SKIP_4) | instid1(VALU_DEP_1)
	v_add_co_ci_u32_e64 v4, s1, v6, v8, s1
	v_cmp_eq_u32_e64 s1, v5, v2
	global_load_b64 v[6:7], v[3:4], off
	s_waitcnt vmcnt(0)
	v_mul_f32_e32 v9, s5, v7
	v_fma_f32 v9, v6, s4, -v9
	v_mul_f32_e32 v7, s4, v7
	s_delay_alu instid0(VALU_DEP_1) | instskip(NEXT) | instid1(VALU_DEP_1)
	v_dual_mul_f32 v8, s8, v19 :: v_dual_fmac_f32 v7, s5, v6
	v_dual_mul_f32 v1, s9, v19 :: v_dual_fmac_f32 v8, s9, v18
	s_delay_alu instid0(VALU_DEP_1) | instskip(NEXT) | instid1(VALU_DEP_1)
	v_fma_f32 v1, v18, s8, -v1
	v_dual_add_f32 v7, v8, v7 :: v_dual_add_f32 v6, v1, v9
	global_store_b64 v[3:4], v[6:7], off
	s_and_b32 exec_lo, exec_lo, s1
	s_cbranch_execz .LBB838_17
; %bb.16:
	v_mov_b32_e32 v1, 0
	global_store_b32 v[3:4], v1, off offset:4
.LBB838_17:
	s_or_b32 exec_lo, exec_lo, s3
	v_add_nc_u32_e32 v8, 16, v5
	s_delay_alu instid0(VALU_DEP_1) | instskip(SKIP_1) | instid1(VALU_DEP_2)
	v_mad_i64_i32 v[3:4], null, v8, s2, 0
	v_cmp_le_i32_e64 s1, v8, v0
	v_lshlrev_b64 v[3:4], 3, v[3:4]
	s_delay_alu instid0(VALU_DEP_1) | instskip(NEXT) | instid1(VALU_DEP_1)
	v_add_co_u32 v6, s2, s6, v3
	v_add_co_ci_u32_e64 v7, s2, s7, v4, s2
	s_delay_alu instid0(VALU_DEP_4) | instskip(NEXT) | instid1(SALU_CYCLE_1)
	s_and_b32 s2, s1, vcc_lo
	s_and_saveexec_b32 s1, s2
	s_cbranch_execz .LBB838_20
; %bb.18:
	v_ashrrev_i32_e32 v1, 31, v0
	s_delay_alu instid0(VALU_DEP_1) | instskip(NEXT) | instid1(VALU_DEP_1)
	v_lshlrev_b64 v[3:4], 3, v[0:1]
	v_add_co_u32 v3, vcc_lo, v6, v3
	s_delay_alu instid0(VALU_DEP_2)
	v_add_co_ci_u32_e32 v4, vcc_lo, v7, v4, vcc_lo
	v_cmp_eq_u32_e32 vcc_lo, v8, v0
	global_load_b64 v[9:10], v[3:4], off
	v_mul_f32_e32 v1, s9, v17
	s_waitcnt vmcnt(0)
	v_dual_mul_f32 v11, s8, v17 :: v_dual_mul_f32 v12, s5, v10
	v_mul_f32_e32 v10, s4, v10
	s_delay_alu instid0(VALU_DEP_3) | instskip(NEXT) | instid1(VALU_DEP_3)
	v_fma_f32 v1, v16, s8, -v1
	v_fmac_f32_e32 v11, s9, v16
	s_delay_alu instid0(VALU_DEP_4) | instskip(NEXT) | instid1(VALU_DEP_1)
	v_fma_f32 v12, v9, s4, -v12
	v_dual_fmac_f32 v10, s5, v9 :: v_dual_add_f32 v9, v1, v12
	s_delay_alu instid0(VALU_DEP_1)
	v_add_f32_e32 v10, v11, v10
	global_store_b64 v[3:4], v[9:10], off
	s_and_b32 exec_lo, exec_lo, vcc_lo
	s_cbranch_execz .LBB838_20
; %bb.19:
	v_mov_b32_e32 v1, 0
	global_store_b32 v[3:4], v1, off offset:4
.LBB838_20:
	s_or_b32 exec_lo, exec_lo, s1
	v_cmp_le_i32_e32 vcc_lo, v8, v2
	s_and_b32 s0, vcc_lo, s0
	s_delay_alu instid0(SALU_CYCLE_1)
	s_and_saveexec_b32 s1, s0
	s_cbranch_execz .LBB838_23
; %bb.21:
	v_ashrrev_i32_e32 v3, 31, v2
	s_delay_alu instid0(VALU_DEP_1) | instskip(NEXT) | instid1(VALU_DEP_1)
	v_lshlrev_b64 v[1:2], 3, v[2:3]
	v_add_co_u32 v1, vcc_lo, v6, v1
	s_delay_alu instid0(VALU_DEP_2) | instskip(SKIP_4) | instid1(VALU_DEP_1)
	v_add_co_ci_u32_e32 v2, vcc_lo, v7, v2, vcc_lo
	v_cmp_eq_u32_e32 vcc_lo, v5, v0
	global_load_b64 v[3:4], v[1:2], off
	s_waitcnt vmcnt(0)
	v_dual_mul_f32 v7, s8, v15 :: v_dual_mul_f32 v8, s5, v4
	v_dual_mul_f32 v6, s9, v15 :: v_dual_fmac_f32 v7, s9, v14
	v_mul_f32_e32 v4, s4, v4
	s_delay_alu instid0(VALU_DEP_3) | instskip(NEXT) | instid1(VALU_DEP_3)
	v_fma_f32 v8, v3, s4, -v8
	v_fma_f32 v6, v14, s8, -v6
	s_delay_alu instid0(VALU_DEP_1) | instskip(NEXT) | instid1(VALU_DEP_1)
	v_dual_fmac_f32 v4, s5, v3 :: v_dual_add_f32 v3, v6, v8
	v_add_f32_e32 v4, v7, v4
	global_store_b64 v[1:2], v[3:4], off
	s_and_b32 exec_lo, exec_lo, vcc_lo
	s_cbranch_execz .LBB838_23
; %bb.22:
	v_mov_b32_e32 v0, 0
	global_store_b32 v[1:2], v0, off offset:4
.LBB838_23:
	s_nop 0
	s_sendmsg sendmsg(MSG_DEALLOC_VGPRS)
	s_endpgm
	.section	.rodata,"a",@progbits
	.p2align	6, 0x0
	.amdhsa_kernel _ZL34rocblas_syrkx_herkx_general_kernelIi19rocblas_complex_numIfELi16ELi32ELi8ELb0ELb1ELc84ELc76EKPKS1_KPS1_EviT_T0_PT8_S7_lSA_S7_lS8_PT9_S7_li
		.amdhsa_group_segment_fixed_size 4096
		.amdhsa_private_segment_fixed_size 0
		.amdhsa_kernarg_size 100
		.amdhsa_user_sgpr_count 13
		.amdhsa_user_sgpr_dispatch_ptr 0
		.amdhsa_user_sgpr_queue_ptr 0
		.amdhsa_user_sgpr_kernarg_segment_ptr 1
		.amdhsa_user_sgpr_dispatch_id 0
		.amdhsa_user_sgpr_private_segment_size 0
		.amdhsa_wavefront_size32 1
		.amdhsa_uses_dynamic_stack 0
		.amdhsa_enable_private_segment 0
		.amdhsa_system_sgpr_workgroup_id_x 1
		.amdhsa_system_sgpr_workgroup_id_y 1
		.amdhsa_system_sgpr_workgroup_id_z 1
		.amdhsa_system_sgpr_workgroup_info 0
		.amdhsa_system_vgpr_workitem_id 1
		.amdhsa_next_free_vgpr 59
		.amdhsa_next_free_sgpr 21
		.amdhsa_reserve_vcc 1
		.amdhsa_float_round_mode_32 0
		.amdhsa_float_round_mode_16_64 0
		.amdhsa_float_denorm_mode_32 3
		.amdhsa_float_denorm_mode_16_64 3
		.amdhsa_dx10_clamp 1
		.amdhsa_ieee_mode 1
		.amdhsa_fp16_overflow 0
		.amdhsa_workgroup_processor_mode 1
		.amdhsa_memory_ordered 1
		.amdhsa_forward_progress 0
		.amdhsa_shared_vgpr_count 0
		.amdhsa_exception_fp_ieee_invalid_op 0
		.amdhsa_exception_fp_denorm_src 0
		.amdhsa_exception_fp_ieee_div_zero 0
		.amdhsa_exception_fp_ieee_overflow 0
		.amdhsa_exception_fp_ieee_underflow 0
		.amdhsa_exception_fp_ieee_inexact 0
		.amdhsa_exception_int_div_zero 0
	.end_amdhsa_kernel
	.section	.text._ZL34rocblas_syrkx_herkx_general_kernelIi19rocblas_complex_numIfELi16ELi32ELi8ELb0ELb1ELc84ELc76EKPKS1_KPS1_EviT_T0_PT8_S7_lSA_S7_lS8_PT9_S7_li,"axG",@progbits,_ZL34rocblas_syrkx_herkx_general_kernelIi19rocblas_complex_numIfELi16ELi32ELi8ELb0ELb1ELc84ELc76EKPKS1_KPS1_EviT_T0_PT8_S7_lSA_S7_lS8_PT9_S7_li,comdat
.Lfunc_end838:
	.size	_ZL34rocblas_syrkx_herkx_general_kernelIi19rocblas_complex_numIfELi16ELi32ELi8ELb0ELb1ELc84ELc76EKPKS1_KPS1_EviT_T0_PT8_S7_lSA_S7_lS8_PT9_S7_li, .Lfunc_end838-_ZL34rocblas_syrkx_herkx_general_kernelIi19rocblas_complex_numIfELi16ELi32ELi8ELb0ELb1ELc84ELc76EKPKS1_KPS1_EviT_T0_PT8_S7_lSA_S7_lS8_PT9_S7_li
                                        ; -- End function
	.section	.AMDGPU.csdata,"",@progbits
; Kernel info:
; codeLenInByte = 2672
; NumSgprs: 23
; NumVgprs: 59
; ScratchSize: 0
; MemoryBound: 1
; FloatMode: 240
; IeeeMode: 1
; LDSByteSize: 4096 bytes/workgroup (compile time only)
; SGPRBlocks: 2
; VGPRBlocks: 7
; NumSGPRsForWavesPerEU: 23
; NumVGPRsForWavesPerEU: 59
; Occupancy: 16
; WaveLimiterHint : 1
; COMPUTE_PGM_RSRC2:SCRATCH_EN: 0
; COMPUTE_PGM_RSRC2:USER_SGPR: 13
; COMPUTE_PGM_RSRC2:TRAP_HANDLER: 0
; COMPUTE_PGM_RSRC2:TGID_X_EN: 1
; COMPUTE_PGM_RSRC2:TGID_Y_EN: 1
; COMPUTE_PGM_RSRC2:TGID_Z_EN: 1
; COMPUTE_PGM_RSRC2:TIDIG_COMP_CNT: 1
	.section	.text._ZL34rocblas_syrkx_herkx_general_kernelIi19rocblas_complex_numIfELi16ELi32ELi8ELb0ELb1ELc67ELc76EKPKS1_KPS1_EviT_T0_PT8_S7_lSA_S7_lS8_PT9_S7_li,"axG",@progbits,_ZL34rocblas_syrkx_herkx_general_kernelIi19rocblas_complex_numIfELi16ELi32ELi8ELb0ELb1ELc67ELc76EKPKS1_KPS1_EviT_T0_PT8_S7_lSA_S7_lS8_PT9_S7_li,comdat
	.globl	_ZL34rocblas_syrkx_herkx_general_kernelIi19rocblas_complex_numIfELi16ELi32ELi8ELb0ELb1ELc67ELc76EKPKS1_KPS1_EviT_T0_PT8_S7_lSA_S7_lS8_PT9_S7_li ; -- Begin function _ZL34rocblas_syrkx_herkx_general_kernelIi19rocblas_complex_numIfELi16ELi32ELi8ELb0ELb1ELc67ELc76EKPKS1_KPS1_EviT_T0_PT8_S7_lSA_S7_lS8_PT9_S7_li
	.p2align	8
	.type	_ZL34rocblas_syrkx_herkx_general_kernelIi19rocblas_complex_numIfELi16ELi32ELi8ELb0ELb1ELc67ELc76EKPKS1_KPS1_EviT_T0_PT8_S7_lSA_S7_lS8_PT9_S7_li,@function
_ZL34rocblas_syrkx_herkx_general_kernelIi19rocblas_complex_numIfELi16ELi32ELi8ELb0ELb1ELc67ELc76EKPKS1_KPS1_EviT_T0_PT8_S7_lSA_S7_lS8_PT9_S7_li: ; @_ZL34rocblas_syrkx_herkx_general_kernelIi19rocblas_complex_numIfELi16ELi32ELi8ELb0ELb1ELc67ELc76EKPKS1_KPS1_EviT_T0_PT8_S7_lSA_S7_lS8_PT9_S7_li
; %bb.0:
	s_clause 0x1
	s_load_b128 s[4:7], s[0:1], 0x40
	s_load_b64 s[16:17], s[0:1], 0x0
	s_mov_b32 s18, s15
	s_mov_b32 s19, 0
	v_dual_mov_b32 v21, 0 :: v_dual_and_b32 v6, 0x3ff, v0
	s_lshl_b64 s[2:3], s[18:19], 3
	v_bfe_u32 v7, v0, 10, 10
	v_dual_mov_b32 v22, 0 :: v_dual_mov_b32 v19, 0
	v_dual_mov_b32 v20, 0 :: v_dual_mov_b32 v17, 0
	v_dual_mov_b32 v18, 0 :: v_dual_mov_b32 v15, 0
	v_mov_b32_e32 v16, 0
	s_waitcnt lgkmcnt(0)
	s_add_u32 s6, s6, s2
	s_addc_u32 s7, s7, s3
	s_load_b128 s[8:11], s[0:1], 0x8
	s_load_b64 s[6:7], s[6:7], 0x0
	s_lshl_b32 s12, s13, 5
	s_lshl_b32 s13, s14, 5
	s_cmp_lt_i32 s17, 1
	s_cbranch_scc1 .LBB839_11
; %bb.1:
	s_clause 0x1
	s_load_b64 s[14:15], s[0:1], 0x28
	s_load_b32 s18, s[0:1], 0x18
	v_lshl_add_u32 v0, v7, 4, v6
	s_load_b32 s20, s[0:1], 0x30
	v_and_b32_e32 v8, 7, v6
	v_lshlrev_b32_e32 v9, 3, v6
	s_delay_alu instid0(VALU_DEP_3) | instskip(SKIP_3) | instid1(VALU_DEP_4)
	v_dual_mov_b32 v17, 0 :: v_dual_and_b32 v2, 31, v0
	v_lshrrev_b32_e32 v11, 5, v0
	v_lshrrev_b32_e32 v3, 3, v0
	v_lshl_add_u32 v10, v7, 6, 0x800
	v_dual_mov_b32 v18, 0 :: v_dual_add_nc_u32 v5, s12, v2
	s_delay_alu instid0(VALU_DEP_4) | instskip(NEXT) | instid1(VALU_DEP_4)
	v_lshlrev_b32_e32 v15, 3, v11
	v_dual_mov_b32 v16, 0 :: v_dual_add_nc_u32 v13, s13, v3
	v_dual_mov_b32 v22, 0 :: v_dual_mov_b32 v21, 0
	v_dual_mov_b32 v19, 0 :: v_dual_mov_b32 v20, 0
	s_waitcnt lgkmcnt(0)
	s_add_u32 s14, s14, s2
	v_mad_i64_i32 v[0:1], null, s18, v5, 0
	s_addc_u32 s15, s15, s3
	s_add_u32 s2, s10, s2
	s_addc_u32 s3, s11, s3
	v_or_b32_e32 v5, s12, v2
	s_load_b64 s[10:11], s[2:3], 0x0
	v_lshlrev_b32_e32 v2, 3, v2
	s_delay_alu instid0(VALU_DEP_3) | instskip(SKIP_4) | instid1(VALU_DEP_4)
	v_lshlrev_b64 v[0:1], 3, v[0:1]
	s_load_b64 s[14:15], s[14:15], 0x0
	v_cmp_gt_i32_e32 vcc_lo, s16, v5
	v_cmp_gt_i32_e64 s2, s16, v13
	v_lshl_or_b32 v12, v11, 8, v2
	v_add_co_u32 v5, s3, v0, v15
	v_dual_mov_b32 v15, 0 :: v_dual_lshlrev_b32 v4, 3, v8
	s_delay_alu instid0(VALU_DEP_4) | instskip(NEXT) | instid1(VALU_DEP_1)
	s_xor_b32 s2, s2, -1
	v_lshl_or_b32 v14, v3, 6, v4
	v_mad_i64_i32 v[2:3], null, s20, v13, 0
	s_delay_alu instid0(VALU_DEP_2) | instskip(SKIP_1) | instid1(VALU_DEP_3)
	v_add_nc_u32_e32 v13, 0x800, v14
	v_add_co_ci_u32_e64 v14, s3, 0, v1, s3
	v_lshlrev_b64 v[0:1], 3, v[2:3]
	s_waitcnt lgkmcnt(0)
	v_add_co_u32 v2, s3, v5, s10
	s_delay_alu instid0(VALU_DEP_1) | instskip(SKIP_1) | instid1(VALU_DEP_4)
	v_add_co_ci_u32_e64 v3, s3, s11, v14, s3
	v_mov_b32_e32 v14, 0
	v_add_co_u32 v4, s3, v0, v4
	s_delay_alu instid0(VALU_DEP_1) | instskip(SKIP_1) | instid1(VALU_DEP_1)
	v_add_co_ci_u32_e64 v5, s3, 0, v1, s3
	v_add_co_u32 v0, s3, v2, 4
	v_add_co_ci_u32_e64 v1, s3, 0, v3, s3
	s_delay_alu instid0(VALU_DEP_4) | instskip(NEXT) | instid1(VALU_DEP_1)
	v_add_co_u32 v2, s3, s14, v4
	v_add_co_ci_u32_e64 v3, s3, s15, v5, s3
	v_mov_b32_e32 v4, 0
	s_xor_b32 s3, vcc_lo, -1
	s_branch .LBB839_3
.LBB839_2:                              ;   in Loop: Header=BB839_3 Depth=1
	s_or_b32 exec_lo, exec_lo, s10
	s_waitcnt lgkmcnt(0)
	s_barrier
	buffer_gl0_inv
	ds_load_2addr_b64 v[23:26], v9 offset1:16
	ds_load_b128 v[27:30], v10
	ds_load_b128 v[31:34], v10 offset:1024
	ds_load_b128 v[35:38], v10 offset:16
	;; [unrolled: 1-line block ×4, first 2 shown]
	ds_load_2addr_b64 v[47:50], v9 offset0:32 offset1:48
	ds_load_b128 v[51:54], v10 offset:1040
	v_add_co_u32 v0, vcc_lo, v0, 64
	v_add_co_ci_u32_e32 v1, vcc_lo, 0, v1, vcc_lo
	v_add_co_u32 v2, vcc_lo, v2, 64
	v_add_co_ci_u32_e32 v3, vcc_lo, 0, v3, vcc_lo
	s_add_i32 s19, s19, 8
	s_delay_alu instid0(SALU_CYCLE_1)
	s_cmp_ge_i32 s19, s17
	s_waitcnt lgkmcnt(6)
	v_mul_f32_e32 v5, v28, v24
	v_dual_mul_f32 v55, v27, v24 :: v_dual_mul_f32 v56, v28, v26
	s_waitcnt lgkmcnt(5)
	v_dual_mul_f32 v57, v27, v26 :: v_dual_mul_f32 v58, v32, v24
	v_dual_mul_f32 v24, v31, v24 :: v_dual_mul_f32 v59, v32, v26
	v_mul_f32_e32 v26, v31, v26
	v_fma_f32 v5, v27, v23, -v5
	v_fmac_f32_e32 v55, v28, v23
	v_fma_f32 v27, v27, v25, -v56
	v_fmac_f32_e32 v57, v28, v25
	v_fma_f32 v28, v31, v23, -v58
	v_dual_fmac_f32 v24, v32, v23 :: v_dual_add_f32 v5, v21, v5
	v_fma_f32 v23, v31, v25, -v59
	v_fmac_f32_e32 v26, v32, v25
	s_delay_alu instid0(VALU_DEP_4)
	v_dual_add_f32 v28, v17, v28 :: v_dual_add_f32 v21, v22, v55
	v_dual_add_f32 v22, v19, v27 :: v_dual_add_f32 v27, v20, v57
	v_add_f32_e32 v24, v18, v24
	ds_load_2addr_b64 v[17:20], v9 offset0:64 offset1:80
	s_waitcnt lgkmcnt(2)
	v_dual_mul_f32 v31, v30, v48 :: v_dual_add_f32 v16, v16, v26
	v_dual_add_f32 v15, v15, v23 :: v_dual_mul_f32 v26, v29, v50
	v_mul_f32_e32 v23, v29, v48
	s_delay_alu instid0(VALU_DEP_3) | instskip(SKIP_1) | instid1(VALU_DEP_4)
	v_fma_f32 v25, v29, v47, -v31
	v_mul_f32_e32 v31, v30, v50
	v_fmac_f32_e32 v26, v30, v49
	s_delay_alu instid0(VALU_DEP_4) | instskip(NEXT) | instid1(VALU_DEP_2)
	v_fmac_f32_e32 v23, v30, v47
	v_dual_add_f32 v5, v5, v25 :: v_dual_add_f32 v26, v27, v26
	v_mul_f32_e32 v27, v33, v50
	s_waitcnt lgkmcnt(0)
	s_delay_alu instid0(VALU_DEP_1) | instskip(NEXT) | instid1(VALU_DEP_1)
	v_dual_fmac_f32 v27, v34, v49 :: v_dual_mul_f32 v30, v35, v18
	v_add_f32_e32 v27, v16, v27
	s_delay_alu instid0(VALU_DEP_2) | instskip(SKIP_4) | instid1(VALU_DEP_3)
	v_fmac_f32_e32 v30, v36, v17
	v_fma_f32 v25, v29, v49, -v31
	v_dual_add_f32 v31, v21, v23 :: v_dual_mul_f32 v16, v35, v20
	v_mul_f32_e32 v29, v34, v48
	v_mul_f32_e32 v23, v34, v50
	v_dual_add_f32 v25, v22, v25 :: v_dual_add_f32 v30, v31, v30
	s_delay_alu instid0(VALU_DEP_4) | instskip(NEXT) | instid1(VALU_DEP_4)
	v_fmac_f32_e32 v16, v36, v19
	v_fma_f32 v22, v33, v47, -v29
	v_mul_f32_e32 v21, v33, v48
	v_mul_f32_e32 v31, v52, v18
	s_delay_alu instid0(VALU_DEP_3) | instskip(SKIP_1) | instid1(VALU_DEP_3)
	v_add_f32_e32 v28, v28, v22
	v_fma_f32 v22, v33, v49, -v23
	v_fma_f32 v31, v51, v17, -v31
	s_delay_alu instid0(VALU_DEP_2) | instskip(SKIP_2) | instid1(VALU_DEP_2)
	v_add_f32_e32 v15, v15, v22
	v_mul_f32_e32 v23, v36, v18
	v_dual_mul_f32 v18, v51, v18 :: v_dual_fmac_f32 v21, v34, v47
	v_fma_f32 v32, v35, v17, -v23
	s_delay_alu instid0(VALU_DEP_2) | instskip(NEXT) | instid1(VALU_DEP_3)
	v_fmac_f32_e32 v18, v52, v17
	v_add_f32_e32 v29, v24, v21
	ds_load_2addr_b64 v[21:24], v9 offset0:96 offset1:112
	v_mul_f32_e32 v33, v36, v20
	v_add_f32_e32 v5, v5, v32
	v_add_f32_e32 v31, v28, v31
	s_delay_alu instid0(VALU_DEP_3) | instskip(NEXT) | instid1(VALU_DEP_1)
	v_fma_f32 v32, v35, v19, -v33
	v_add_f32_e32 v25, v25, v32
	v_mul_f32_e32 v32, v52, v20
	v_mul_f32_e32 v20, v51, v20
	s_delay_alu instid0(VALU_DEP_1) | instskip(SKIP_2) | instid1(VALU_DEP_2)
	v_fmac_f32_e32 v20, v52, v19
	s_waitcnt lgkmcnt(0)
	v_mul_f32_e32 v28, v38, v24
	v_add_f32_e32 v34, v27, v20
	v_mul_f32_e32 v20, v37, v24
	s_delay_alu instid0(VALU_DEP_3)
	v_fma_f32 v27, v37, v23, -v28
	v_add_f32_e32 v33, v26, v16
	v_fma_f32 v16, v51, v19, -v32
	v_mul_f32_e32 v26, v37, v22
	v_add_f32_e32 v29, v29, v18
	v_mul_f32_e32 v19, v38, v22
	v_fmac_f32_e32 v20, v38, v23
	v_add_f32_e32 v32, v15, v16
	ds_load_2addr_b64 v[15:18], v9 offset0:128 offset1:144
	v_fmac_f32_e32 v26, v38, v21
	s_delay_alu instid0(VALU_DEP_1) | instskip(SKIP_3) | instid1(VALU_DEP_2)
	v_add_f32_e32 v35, v30, v26
	v_mul_f32_e32 v30, v54, v24
	v_mul_f32_e32 v24, v53, v24
	v_fma_f32 v19, v37, v21, -v19
	v_fmac_f32_e32 v24, v54, v23
	s_delay_alu instid0(VALU_DEP_1) | instskip(SKIP_2) | instid1(VALU_DEP_1)
	v_dual_add_f32 v5, v5, v19 :: v_dual_add_f32 v24, v34, v24
	s_waitcnt lgkmcnt(0)
	v_mul_f32_e32 v34, v39, v18
	v_dual_mul_f32 v19, v54, v22 :: v_dual_fmac_f32 v34, v40, v17
	s_delay_alu instid0(VALU_DEP_1) | instskip(NEXT) | instid1(VALU_DEP_1)
	v_fma_f32 v19, v53, v21, -v19
	v_dual_mul_f32 v22, v53, v22 :: v_dual_add_f32 v37, v31, v19
	s_delay_alu instid0(VALU_DEP_1)
	v_fmac_f32_e32 v22, v54, v21
	v_add_f32_e32 v36, v25, v27
	ds_load_b128 v[25:28], v10 offset:1056
	v_add_f32_e32 v33, v33, v20
	v_fma_f32 v20, v53, v23, -v30
	v_dual_mul_f32 v19, v40, v16 :: v_dual_add_f32 v38, v29, v22
	v_dual_mul_f32 v47, v39, v16 :: v_dual_mul_f32 v30, v40, v18
	s_delay_alu instid0(VALU_DEP_3) | instskip(NEXT) | instid1(VALU_DEP_3)
	v_add_f32_e32 v23, v32, v20
	v_fma_f32 v29, v39, v15, -v19
	ds_load_2addr_b64 v[19:22], v9 offset0:160 offset1:176
	v_fmac_f32_e32 v47, v40, v15
	v_fma_f32 v39, v39, v17, -v30
	v_add_f32_e32 v5, v5, v29
	ds_load_b128 v[29:32], v10 offset:1072
	v_add_f32_e32 v36, v36, v39
	s_waitcnt lgkmcnt(2)
	v_mul_f32_e32 v48, v26, v16
	v_mul_f32_e32 v16, v25, v16
	v_dual_mul_f32 v40, v26, v18 :: v_dual_add_f32 v35, v35, v47
	v_add_f32_e32 v33, v33, v34
	s_delay_alu instid0(VALU_DEP_4) | instskip(NEXT) | instid1(VALU_DEP_4)
	v_fma_f32 v39, v25, v15, -v48
	v_fmac_f32_e32 v16, v26, v15
	v_mul_f32_e32 v34, v25, v18
	v_fma_f32 v15, v25, v17, -v40
	s_waitcnt lgkmcnt(1)
	v_dual_mul_f32 v18, v42, v20 :: v_dual_add_f32 v37, v37, v39
	v_mul_f32_e32 v39, v42, v22
	v_fmac_f32_e32 v34, v26, v17
	v_add_f32_e32 v25, v38, v16
	v_add_f32_e32 v23, v23, v15
	v_fma_f32 v38, v41, v19, -v18
	v_mul_f32_e32 v26, v41, v20
	ds_load_2addr_b64 v[15:18], v9 offset0:192 offset1:208
	v_add_f32_e32 v5, v5, v38
	v_add_f32_e32 v34, v24, v34
	v_mul_f32_e32 v24, v41, v22
	v_fma_f32 v38, v41, v21, -v39
	s_delay_alu instid0(VALU_DEP_2) | instskip(SKIP_1) | instid1(VALU_DEP_3)
	v_fmac_f32_e32 v24, v42, v21
	v_fmac_f32_e32 v26, v42, v19
	v_add_f32_e32 v36, v36, v38
	s_delay_alu instid0(VALU_DEP_2) | instskip(NEXT) | instid1(VALU_DEP_1)
	v_dual_add_f32 v35, v35, v26 :: v_dual_mul_f32 v26, v28, v20
	v_fma_f32 v26, v27, v19, -v26
	v_mul_f32_e32 v20, v27, v20
	s_delay_alu instid0(VALU_DEP_1) | instskip(SKIP_2) | instid1(VALU_DEP_1)
	v_dual_fmac_f32 v20, v28, v19 :: v_dual_add_f32 v19, v33, v24
	s_waitcnt lgkmcnt(0)
	v_mul_f32_e32 v33, v44, v16
	v_fma_f32 v33, v43, v15, -v33
	v_mul_f32_e32 v38, v28, v22
	s_delay_alu instid0(VALU_DEP_2) | instskip(NEXT) | instid1(VALU_DEP_2)
	v_dual_mul_f32 v22, v27, v22 :: v_dual_add_f32 v5, v5, v33
	v_fma_f32 v24, v27, v21, -v38
	v_add_f32_e32 v27, v37, v26
	v_mul_f32_e32 v37, v43, v18
	v_mul_f32_e32 v33, v30, v16
	s_delay_alu instid0(VALU_DEP_2)
	v_dual_add_f32 v20, v25, v20 :: v_dual_fmac_f32 v37, v44, v17
	v_dual_fmac_f32 v22, v28, v21 :: v_dual_add_f32 v21, v23, v24
	ds_load_2addr_b64 v[23:26], v9 offset0:224 offset1:240
	v_mul_f32_e32 v28, v43, v16
	v_mul_f32_e32 v16, v29, v16
	v_fma_f32 v33, v29, v15, -v33
	s_waitcnt lgkmcnt(0)
	s_barrier
	v_fmac_f32_e32 v28, v44, v15
	s_delay_alu instid0(VALU_DEP_2)
	v_dual_fmac_f32 v16, v30, v15 :: v_dual_add_f32 v15, v27, v33
	buffer_gl0_inv
	v_dual_add_f32 v28, v35, v28 :: v_dual_mul_f32 v35, v30, v18
	v_mul_f32_e32 v27, v46, v24
	v_add_f32_e32 v22, v34, v22
	v_mul_f32_e32 v34, v44, v18
	s_delay_alu instid0(VALU_DEP_1) | instskip(NEXT) | instid1(VALU_DEP_1)
	v_fma_f32 v34, v43, v17, -v34
	v_add_f32_e32 v34, v36, v34
	v_add_f32_e32 v36, v19, v37
	v_mul_f32_e32 v18, v29, v18
	v_fma_f32 v19, v29, v17, -v35
	s_delay_alu instid0(VALU_DEP_2) | instskip(NEXT) | instid1(VALU_DEP_2)
	v_dual_mul_f32 v29, v45, v24 :: v_dual_fmac_f32 v18, v30, v17
	v_add_f32_e32 v30, v21, v19
	v_fma_f32 v17, v45, v23, -v27
	v_mul_f32_e32 v19, v46, v26
	s_delay_alu instid0(VALU_DEP_4) | instskip(SKIP_1) | instid1(VALU_DEP_4)
	v_fmac_f32_e32 v29, v46, v23
	v_dual_add_f32 v27, v22, v18 :: v_dual_mul_f32 v18, v31, v24
	v_add_f32_e32 v21, v5, v17
	s_delay_alu instid0(VALU_DEP_4)
	v_fma_f32 v5, v45, v25, -v19
	v_mul_f32_e32 v17, v32, v24
	v_mul_f32_e32 v24, v32, v26
	v_fmac_f32_e32 v18, v32, v23
	v_add_f32_e32 v22, v28, v29
	v_add_f32_e32 v19, v34, v5
	v_fma_f32 v5, v31, v23, -v17
	v_fma_f32 v23, v31, v25, -v24
	v_add_f32_e32 v16, v20, v16
	v_mul_f32_e32 v20, v45, v26
	v_mul_f32_e32 v26, v31, v26
	v_add_f32_e32 v17, v15, v5
	s_delay_alu instid0(VALU_DEP_4) | instskip(NEXT) | instid1(VALU_DEP_4)
	v_dual_add_f32 v15, v30, v23 :: v_dual_add_f32 v18, v16, v18
	v_fmac_f32_e32 v20, v46, v25
	s_delay_alu instid0(VALU_DEP_4) | instskip(NEXT) | instid1(VALU_DEP_2)
	v_fmac_f32_e32 v26, v32, v25
	v_add_f32_e32 v20, v36, v20
	s_delay_alu instid0(VALU_DEP_2)
	v_add_f32_e32 v16, v27, v26
	s_cbranch_scc1 .LBB839_11
.LBB839_3:                              ; =>This Inner Loop Header: Depth=1
	v_add_nc_u32_e32 v5, s19, v11
                                        ; implicit-def: $sgpr11
	s_delay_alu instid0(VALU_DEP_1) | instskip(SKIP_1) | instid1(SALU_CYCLE_1)
	v_cmp_le_i32_e32 vcc_lo, s17, v5
	s_or_b32 s10, s3, vcc_lo
	s_and_saveexec_b32 s14, s10
	s_delay_alu instid0(SALU_CYCLE_1)
	s_xor_b32 s10, exec_lo, s14
	s_cbranch_execz .LBB839_5
; %bb.4:                                ;   in Loop: Header=BB839_3 Depth=1
	s_mov_b32 s11, 0
	ds_store_b32 v12, v14
.LBB839_5:                              ;   in Loop: Header=BB839_3 Depth=1
	s_or_saveexec_b32 s10, s10
	v_mov_b32_e32 v5, s11
	s_xor_b32 exec_lo, exec_lo, s10
	s_cbranch_execz .LBB839_7
; %bb.6:                                ;   in Loop: Header=BB839_3 Depth=1
	global_load_b64 v[23:24], v[0:1], off offset:-4
	s_waitcnt vmcnt(0)
	v_xor_b32_e32 v5, 0x80000000, v24
	ds_store_b32 v12, v23
.LBB839_7:                              ;   in Loop: Header=BB839_3 Depth=1
	s_or_b32 exec_lo, exec_lo, s10
	v_add_nc_u32_e32 v23, s19, v8
	ds_store_b32 v12, v5 offset:4
	v_cmp_le_i32_e32 vcc_lo, s17, v23
	s_or_b32 s10, vcc_lo, s2
	s_delay_alu instid0(SALU_CYCLE_1) | instskip(NEXT) | instid1(SALU_CYCLE_1)
	s_and_saveexec_b32 s11, s10
	s_xor_b32 s10, exec_lo, s11
	s_cbranch_execz .LBB839_9
; %bb.8:                                ;   in Loop: Header=BB839_3 Depth=1
	v_mov_b32_e32 v5, v4
	ds_store_b64 v13, v[4:5]
.LBB839_9:                              ;   in Loop: Header=BB839_3 Depth=1
	s_and_not1_saveexec_b32 s10, s10
	s_cbranch_execz .LBB839_2
; %bb.10:                               ;   in Loop: Header=BB839_3 Depth=1
	global_load_b64 v[23:24], v[2:3], off
	s_waitcnt vmcnt(0)
	ds_store_b64 v13, v[23:24]
	s_branch .LBB839_2
.LBB839_11:
	s_load_b32 s2, s[0:1], 0x50
	v_add_nc_u32_e32 v5, s13, v7
	v_add_nc_u32_e32 v0, s12, v6
	s_delay_alu instid0(VALU_DEP_1) | instskip(SKIP_1) | instid1(VALU_DEP_2)
	v_cmp_le_i32_e64 s0, v5, v0
	v_cmp_gt_i32_e32 vcc_lo, s16, v0
	s_and_b32 s0, s0, vcc_lo
	s_waitcnt lgkmcnt(0)
	v_mad_i64_i32 v[1:2], null, v5, s2, 0
	s_delay_alu instid0(VALU_DEP_1) | instskip(NEXT) | instid1(VALU_DEP_1)
	v_lshlrev_b64 v[1:2], 3, v[1:2]
	v_add_co_u32 v4, s1, s6, v1
	s_delay_alu instid0(VALU_DEP_1)
	v_add_co_ci_u32_e64 v6, s1, s7, v2, s1
	s_and_saveexec_b32 s1, s0
	s_cbranch_execz .LBB839_14
; %bb.12:
	v_ashrrev_i32_e32 v1, 31, v0
	s_delay_alu instid0(VALU_DEP_1) | instskip(NEXT) | instid1(VALU_DEP_1)
	v_lshlrev_b64 v[1:2], 3, v[0:1]
	v_add_co_u32 v1, s0, v4, v1
	s_delay_alu instid0(VALU_DEP_1)
	v_add_co_ci_u32_e64 v2, s0, v6, v2, s0
	v_cmp_eq_u32_e64 s0, v5, v0
	global_load_b64 v[7:8], v[1:2], off
	v_mul_f32_e32 v3, s9, v22
	s_waitcnt vmcnt(0)
	v_dual_mul_f32 v9, s8, v22 :: v_dual_mul_f32 v10, s5, v8
	v_mul_f32_e32 v8, s4, v8
	s_delay_alu instid0(VALU_DEP_3) | instskip(NEXT) | instid1(VALU_DEP_3)
	v_fma_f32 v3, v21, s8, -v3
	v_fmac_f32_e32 v9, s9, v21
	s_delay_alu instid0(VALU_DEP_4) | instskip(NEXT) | instid1(VALU_DEP_1)
	v_fma_f32 v10, v7, s4, -v10
	v_dual_fmac_f32 v8, s5, v7 :: v_dual_add_f32 v7, v3, v10
	s_delay_alu instid0(VALU_DEP_1)
	v_add_f32_e32 v8, v9, v8
	global_store_b64 v[1:2], v[7:8], off
	s_and_b32 exec_lo, exec_lo, s0
	s_cbranch_execz .LBB839_14
; %bb.13:
	v_mov_b32_e32 v3, 0
	global_store_b32 v[1:2], v3, off offset:4
.LBB839_14:
	s_or_b32 exec_lo, exec_lo, s1
	v_add_nc_u32_e32 v2, 16, v0
	s_delay_alu instid0(VALU_DEP_1) | instskip(SKIP_1) | instid1(VALU_DEP_1)
	v_cmp_le_i32_e64 s1, v5, v2
	v_cmp_gt_i32_e64 s0, s16, v2
	s_and_b32 s1, s1, s0
	s_delay_alu instid0(SALU_CYCLE_1)
	s_and_saveexec_b32 s3, s1
	s_cbranch_execz .LBB839_17
; %bb.15:
	v_ashrrev_i32_e32 v3, 31, v2
	s_delay_alu instid0(VALU_DEP_1) | instskip(NEXT) | instid1(VALU_DEP_1)
	v_lshlrev_b64 v[7:8], 3, v[2:3]
	v_add_co_u32 v3, s1, v4, v7
	s_delay_alu instid0(VALU_DEP_1) | instskip(SKIP_4) | instid1(VALU_DEP_1)
	v_add_co_ci_u32_e64 v4, s1, v6, v8, s1
	v_cmp_eq_u32_e64 s1, v5, v2
	global_load_b64 v[6:7], v[3:4], off
	s_waitcnt vmcnt(0)
	v_dual_mul_f32 v8, s8, v20 :: v_dual_mul_f32 v9, s5, v7
	v_dual_mul_f32 v1, s9, v20 :: v_dual_fmac_f32 v8, s9, v19
	s_delay_alu instid0(VALU_DEP_2) | instskip(NEXT) | instid1(VALU_DEP_2)
	v_fma_f32 v9, v6, s4, -v9
	v_fma_f32 v1, v19, s8, -v1
	v_mul_f32_e32 v7, s4, v7
	s_delay_alu instid0(VALU_DEP_1) | instskip(NEXT) | instid1(VALU_DEP_1)
	v_dual_fmac_f32 v7, s5, v6 :: v_dual_add_f32 v6, v1, v9
	v_add_f32_e32 v7, v8, v7
	global_store_b64 v[3:4], v[6:7], off
	s_and_b32 exec_lo, exec_lo, s1
	s_cbranch_execz .LBB839_17
; %bb.16:
	v_mov_b32_e32 v1, 0
	global_store_b32 v[3:4], v1, off offset:4
.LBB839_17:
	s_or_b32 exec_lo, exec_lo, s3
	v_add_nc_u32_e32 v8, 16, v5
	s_delay_alu instid0(VALU_DEP_1) | instskip(SKIP_1) | instid1(VALU_DEP_2)
	v_mad_i64_i32 v[3:4], null, v8, s2, 0
	v_cmp_le_i32_e64 s1, v8, v0
	v_lshlrev_b64 v[3:4], 3, v[3:4]
	s_delay_alu instid0(VALU_DEP_1) | instskip(NEXT) | instid1(VALU_DEP_1)
	v_add_co_u32 v6, s2, s6, v3
	v_add_co_ci_u32_e64 v7, s2, s7, v4, s2
	s_delay_alu instid0(VALU_DEP_4) | instskip(NEXT) | instid1(SALU_CYCLE_1)
	s_and_b32 s2, s1, vcc_lo
	s_and_saveexec_b32 s1, s2
	s_cbranch_execz .LBB839_20
; %bb.18:
	v_ashrrev_i32_e32 v1, 31, v0
	v_mul_f32_e32 v11, s8, v18
	s_delay_alu instid0(VALU_DEP_2) | instskip(NEXT) | instid1(VALU_DEP_2)
	v_lshlrev_b64 v[3:4], 3, v[0:1]
	v_fmac_f32_e32 v11, s9, v17
	s_delay_alu instid0(VALU_DEP_2) | instskip(NEXT) | instid1(VALU_DEP_3)
	v_add_co_u32 v3, vcc_lo, v6, v3
	v_add_co_ci_u32_e32 v4, vcc_lo, v7, v4, vcc_lo
	v_cmp_eq_u32_e32 vcc_lo, v8, v0
	global_load_b64 v[9:10], v[3:4], off
	s_waitcnt vmcnt(0)
	v_mul_f32_e32 v12, s5, v10
	s_delay_alu instid0(VALU_DEP_1) | instskip(SKIP_1) | instid1(VALU_DEP_1)
	v_fma_f32 v12, v9, s4, -v12
	v_mul_f32_e32 v10, s4, v10
	v_dual_mul_f32 v1, s9, v18 :: v_dual_fmac_f32 v10, s5, v9
	s_delay_alu instid0(VALU_DEP_1) | instskip(NEXT) | instid1(VALU_DEP_1)
	v_fma_f32 v1, v17, s8, -v1
	v_dual_add_f32 v10, v11, v10 :: v_dual_add_f32 v9, v1, v12
	global_store_b64 v[3:4], v[9:10], off
	s_and_b32 exec_lo, exec_lo, vcc_lo
	s_cbranch_execz .LBB839_20
; %bb.19:
	v_mov_b32_e32 v1, 0
	global_store_b32 v[3:4], v1, off offset:4
.LBB839_20:
	s_or_b32 exec_lo, exec_lo, s1
	v_cmp_le_i32_e32 vcc_lo, v8, v2
	s_and_b32 s0, vcc_lo, s0
	s_delay_alu instid0(SALU_CYCLE_1)
	s_and_saveexec_b32 s1, s0
	s_cbranch_execz .LBB839_23
; %bb.21:
	v_ashrrev_i32_e32 v3, 31, v2
	s_delay_alu instid0(VALU_DEP_1) | instskip(NEXT) | instid1(VALU_DEP_1)
	v_lshlrev_b64 v[1:2], 3, v[2:3]
	v_add_co_u32 v1, vcc_lo, v6, v1
	s_delay_alu instid0(VALU_DEP_2)
	v_add_co_ci_u32_e32 v2, vcc_lo, v7, v2, vcc_lo
	v_cmp_eq_u32_e32 vcc_lo, v5, v0
	global_load_b64 v[3:4], v[1:2], off
	s_waitcnt vmcnt(0)
	v_mul_f32_e32 v8, s5, v4
	v_mul_f32_e32 v4, s4, v4
	;; [unrolled: 1-line block ×3, first 2 shown]
	s_delay_alu instid0(VALU_DEP_3) | instskip(NEXT) | instid1(VALU_DEP_3)
	v_fma_f32 v8, v3, s4, -v8
	v_fmac_f32_e32 v4, s5, v3
	s_delay_alu instid0(VALU_DEP_3) | instskip(NEXT) | instid1(VALU_DEP_1)
	v_dual_mul_f32 v6, s9, v16 :: v_dual_fmac_f32 v7, s9, v15
	v_fma_f32 v6, v15, s8, -v6
	s_delay_alu instid0(VALU_DEP_2) | instskip(NEXT) | instid1(VALU_DEP_2)
	v_add_f32_e32 v4, v7, v4
	v_add_f32_e32 v3, v6, v8
	global_store_b64 v[1:2], v[3:4], off
	s_and_b32 exec_lo, exec_lo, vcc_lo
	s_cbranch_execz .LBB839_23
; %bb.22:
	v_mov_b32_e32 v0, 0
	global_store_b32 v[1:2], v0, off offset:4
.LBB839_23:
	s_nop 0
	s_sendmsg sendmsg(MSG_DEALLOC_VGPRS)
	s_endpgm
	.section	.rodata,"a",@progbits
	.p2align	6, 0x0
	.amdhsa_kernel _ZL34rocblas_syrkx_herkx_general_kernelIi19rocblas_complex_numIfELi16ELi32ELi8ELb0ELb1ELc67ELc76EKPKS1_KPS1_EviT_T0_PT8_S7_lSA_S7_lS8_PT9_S7_li
		.amdhsa_group_segment_fixed_size 4096
		.amdhsa_private_segment_fixed_size 0
		.amdhsa_kernarg_size 100
		.amdhsa_user_sgpr_count 13
		.amdhsa_user_sgpr_dispatch_ptr 0
		.amdhsa_user_sgpr_queue_ptr 0
		.amdhsa_user_sgpr_kernarg_segment_ptr 1
		.amdhsa_user_sgpr_dispatch_id 0
		.amdhsa_user_sgpr_private_segment_size 0
		.amdhsa_wavefront_size32 1
		.amdhsa_uses_dynamic_stack 0
		.amdhsa_enable_private_segment 0
		.amdhsa_system_sgpr_workgroup_id_x 1
		.amdhsa_system_sgpr_workgroup_id_y 1
		.amdhsa_system_sgpr_workgroup_id_z 1
		.amdhsa_system_sgpr_workgroup_info 0
		.amdhsa_system_vgpr_workitem_id 1
		.amdhsa_next_free_vgpr 60
		.amdhsa_next_free_sgpr 21
		.amdhsa_reserve_vcc 1
		.amdhsa_float_round_mode_32 0
		.amdhsa_float_round_mode_16_64 0
		.amdhsa_float_denorm_mode_32 3
		.amdhsa_float_denorm_mode_16_64 3
		.amdhsa_dx10_clamp 1
		.amdhsa_ieee_mode 1
		.amdhsa_fp16_overflow 0
		.amdhsa_workgroup_processor_mode 1
		.amdhsa_memory_ordered 1
		.amdhsa_forward_progress 0
		.amdhsa_shared_vgpr_count 0
		.amdhsa_exception_fp_ieee_invalid_op 0
		.amdhsa_exception_fp_denorm_src 0
		.amdhsa_exception_fp_ieee_div_zero 0
		.amdhsa_exception_fp_ieee_overflow 0
		.amdhsa_exception_fp_ieee_underflow 0
		.amdhsa_exception_fp_ieee_inexact 0
		.amdhsa_exception_int_div_zero 0
	.end_amdhsa_kernel
	.section	.text._ZL34rocblas_syrkx_herkx_general_kernelIi19rocblas_complex_numIfELi16ELi32ELi8ELb0ELb1ELc67ELc76EKPKS1_KPS1_EviT_T0_PT8_S7_lSA_S7_lS8_PT9_S7_li,"axG",@progbits,_ZL34rocblas_syrkx_herkx_general_kernelIi19rocblas_complex_numIfELi16ELi32ELi8ELb0ELb1ELc67ELc76EKPKS1_KPS1_EviT_T0_PT8_S7_lSA_S7_lS8_PT9_S7_li,comdat
.Lfunc_end839:
	.size	_ZL34rocblas_syrkx_herkx_general_kernelIi19rocblas_complex_numIfELi16ELi32ELi8ELb0ELb1ELc67ELc76EKPKS1_KPS1_EviT_T0_PT8_S7_lSA_S7_lS8_PT9_S7_li, .Lfunc_end839-_ZL34rocblas_syrkx_herkx_general_kernelIi19rocblas_complex_numIfELi16ELi32ELi8ELb0ELb1ELc67ELc76EKPKS1_KPS1_EviT_T0_PT8_S7_lSA_S7_lS8_PT9_S7_li
                                        ; -- End function
	.section	.AMDGPU.csdata,"",@progbits
; Kernel info:
; codeLenInByte = 2712
; NumSgprs: 23
; NumVgprs: 60
; ScratchSize: 0
; MemoryBound: 1
; FloatMode: 240
; IeeeMode: 1
; LDSByteSize: 4096 bytes/workgroup (compile time only)
; SGPRBlocks: 2
; VGPRBlocks: 7
; NumSGPRsForWavesPerEU: 23
; NumVGPRsForWavesPerEU: 60
; Occupancy: 16
; WaveLimiterHint : 1
; COMPUTE_PGM_RSRC2:SCRATCH_EN: 0
; COMPUTE_PGM_RSRC2:USER_SGPR: 13
; COMPUTE_PGM_RSRC2:TRAP_HANDLER: 0
; COMPUTE_PGM_RSRC2:TGID_X_EN: 1
; COMPUTE_PGM_RSRC2:TGID_Y_EN: 1
; COMPUTE_PGM_RSRC2:TGID_Z_EN: 1
; COMPUTE_PGM_RSRC2:TIDIG_COMP_CNT: 1
	.section	.text._ZL34rocblas_syrkx_herkx_general_kernelIi19rocblas_complex_numIfELi16ELi32ELi8ELb0ELb1ELc78ELc76EKPKS1_KPS1_EviT_T0_PT8_S7_lSA_S7_lS8_PT9_S7_li,"axG",@progbits,_ZL34rocblas_syrkx_herkx_general_kernelIi19rocblas_complex_numIfELi16ELi32ELi8ELb0ELb1ELc78ELc76EKPKS1_KPS1_EviT_T0_PT8_S7_lSA_S7_lS8_PT9_S7_li,comdat
	.globl	_ZL34rocblas_syrkx_herkx_general_kernelIi19rocblas_complex_numIfELi16ELi32ELi8ELb0ELb1ELc78ELc76EKPKS1_KPS1_EviT_T0_PT8_S7_lSA_S7_lS8_PT9_S7_li ; -- Begin function _ZL34rocblas_syrkx_herkx_general_kernelIi19rocblas_complex_numIfELi16ELi32ELi8ELb0ELb1ELc78ELc76EKPKS1_KPS1_EviT_T0_PT8_S7_lSA_S7_lS8_PT9_S7_li
	.p2align	8
	.type	_ZL34rocblas_syrkx_herkx_general_kernelIi19rocblas_complex_numIfELi16ELi32ELi8ELb0ELb1ELc78ELc76EKPKS1_KPS1_EviT_T0_PT8_S7_lSA_S7_lS8_PT9_S7_li,@function
_ZL34rocblas_syrkx_herkx_general_kernelIi19rocblas_complex_numIfELi16ELi32ELi8ELb0ELb1ELc78ELc76EKPKS1_KPS1_EviT_T0_PT8_S7_lSA_S7_lS8_PT9_S7_li: ; @_ZL34rocblas_syrkx_herkx_general_kernelIi19rocblas_complex_numIfELi16ELi32ELi8ELb0ELb1ELc78ELc76EKPKS1_KPS1_EviT_T0_PT8_S7_lSA_S7_lS8_PT9_S7_li
; %bb.0:
	s_clause 0x1
	s_load_b128 s[4:7], s[0:1], 0x40
	s_load_b64 s[16:17], s[0:1], 0x0
	s_mov_b32 s18, s15
	s_mov_b32 s19, 0
	v_dual_mov_b32 v21, 0 :: v_dual_and_b32 v6, 0x3ff, v0
	s_lshl_b64 s[2:3], s[18:19], 3
	v_bfe_u32 v7, v0, 10, 10
	v_dual_mov_b32 v22, 0 :: v_dual_mov_b32 v19, 0
	v_dual_mov_b32 v20, 0 :: v_dual_mov_b32 v17, 0
	;; [unrolled: 1-line block ×3, first 2 shown]
	v_mov_b32_e32 v16, 0
	s_waitcnt lgkmcnt(0)
	s_add_u32 s6, s6, s2
	s_addc_u32 s7, s7, s3
	s_load_b128 s[8:11], s[0:1], 0x8
	s_load_b64 s[6:7], s[6:7], 0x0
	s_lshl_b32 s15, s13, 5
	s_lshl_b32 s14, s14, 5
	s_cmp_lt_i32 s17, 1
	s_cbranch_scc1 .LBB840_11
; %bb.1:
	s_clause 0x2
	s_load_b32 s20, s[0:1], 0x18
	s_load_b32 s12, s[0:1], 0x30
	s_load_b64 s[22:23], s[0:1], 0x28
	v_lshl_add_u32 v0, v7, 4, v6
	v_and_b32_e32 v8, 7, v6
	v_dual_mov_b32 v17, 0 :: v_dual_lshlrev_b32 v12, 3, v6
	v_lshl_add_u32 v13, v7, 6, 0x800
	s_delay_alu instid0(VALU_DEP_4) | instskip(SKIP_3) | instid1(VALU_DEP_4)
	v_and_b32_e32 v1, 31, v0
	v_lshrrev_b32_e32 v9, 5, v0
	v_lshrrev_b32_e32 v3, 3, v0
	v_dual_mov_b32 v21, 0 :: v_dual_lshlrev_b32 v4, 3, v8
	v_or_b32_e32 v5, s15, v1
	v_add_nc_u32_e32 v0, s15, v1
	s_delay_alu instid0(VALU_DEP_4) | instskip(NEXT) | instid1(VALU_DEP_4)
	v_add_nc_u32_e32 v2, s14, v3
	v_lshl_or_b32 v3, v3, 6, v4
	v_dual_mov_b32 v19, 0 :: v_dual_lshlrev_b32 v10, 3, v1
	v_cmp_gt_i32_e32 vcc_lo, s16, v5
	s_waitcnt lgkmcnt(0)
	s_ashr_i32 s21, s20, 31
	s_ashr_i32 s13, s12, 31
	s_add_u32 s22, s22, s2
	s_addc_u32 s23, s23, s3
	s_add_u32 s2, s10, s2
	s_addc_u32 s3, s11, s3
	v_mad_i64_i32 v[4:5], null, v9, s20, 0
	s_load_b64 s[10:11], s[22:23], 0x0
	s_load_b64 s[22:23], s[2:3], 0x0
	v_ashrrev_i32_e32 v1, 31, v0
	v_mad_i64_i32 v[14:15], null, s12, v8, 0
	v_add_nc_u32_e32 v11, 0x800, v3
	v_ashrrev_i32_e32 v3, 31, v2
	v_lshlrev_b64 v[4:5], 3, v[4:5]
	v_lshlrev_b64 v[0:1], 3, v[0:1]
	v_cmp_gt_i32_e64 s2, s16, v2
	v_lshl_or_b32 v10, v9, 8, v10
	v_lshlrev_b64 v[14:15], 3, v[14:15]
	v_lshlrev_b64 v[2:3], 3, v[2:3]
	v_mov_b32_e32 v16, 0
	v_add_co_u32 v0, s3, v4, v0
	s_delay_alu instid0(VALU_DEP_1) | instskip(NEXT) | instid1(VALU_DEP_4)
	v_add_co_ci_u32_e64 v1, s3, v5, v1, s3
	v_add_co_u32 v2, s3, v14, v2
	v_mov_b32_e32 v14, 0
	v_add_co_ci_u32_e64 v3, s3, v15, v3, s3
	s_waitcnt lgkmcnt(0)
	v_add_co_u32 v0, s3, s22, v0
	s_delay_alu instid0(VALU_DEP_1) | instskip(SKIP_1) | instid1(VALU_DEP_1)
	v_add_co_ci_u32_e64 v1, s3, s23, v1, s3
	v_add_co_u32 v2, s3, v2, s10
	v_add_co_ci_u32_e64 v3, s3, s11, v3, s3
	v_mov_b32_e32 v4, 0
	s_delay_alu instid0(VALU_DEP_3) | instskip(NEXT) | instid1(VALU_DEP_1)
	v_add_co_u32 v2, s3, v2, 4
	v_add_co_ci_u32_e64 v3, s3, 0, v3, s3
	v_dual_mov_b32 v15, 0 :: v_dual_mov_b32 v18, 0
	v_mov_b32_e32 v20, 0
	v_mov_b32_e32 v22, 0
	s_lshl_b64 s[10:11], s[20:21], 6
	s_lshl_b64 s[12:13], s[12:13], 6
	s_xor_b32 s3, vcc_lo, -1
	s_xor_b32 s2, s2, -1
	s_branch .LBB840_3
.LBB840_2:                              ;   in Loop: Header=BB840_3 Depth=1
	s_or_b32 exec_lo, exec_lo, s18
	ds_store_b32 v11, v5 offset:4
	s_waitcnt lgkmcnt(0)
	s_barrier
	buffer_gl0_inv
	ds_load_2addr_b64 v[23:26], v12 offset1:16
	ds_load_b128 v[27:30], v13
	ds_load_b128 v[31:34], v13 offset:1024
	ds_load_b128 v[35:38], v13 offset:16
	;; [unrolled: 1-line block ×4, first 2 shown]
	ds_load_2addr_b64 v[47:50], v12 offset0:32 offset1:48
	ds_load_b128 v[51:54], v13 offset:1040
	v_add_co_u32 v0, vcc_lo, v0, s10
	v_add_co_ci_u32_e32 v1, vcc_lo, s11, v1, vcc_lo
	v_add_co_u32 v2, vcc_lo, v2, s12
	v_add_co_ci_u32_e32 v3, vcc_lo, s13, v3, vcc_lo
	s_add_i32 s19, s19, 8
	s_delay_alu instid0(SALU_CYCLE_1)
	s_cmp_ge_i32 s19, s17
	s_waitcnt lgkmcnt(6)
	v_mul_f32_e32 v5, v28, v24
	v_dual_mul_f32 v55, v27, v24 :: v_dual_mul_f32 v56, v28, v26
	s_waitcnt lgkmcnt(5)
	v_dual_mul_f32 v57, v27, v26 :: v_dual_mul_f32 v58, v32, v24
	v_dual_mul_f32 v24, v31, v24 :: v_dual_mul_f32 v59, v32, v26
	v_mul_f32_e32 v26, v31, v26
	v_fma_f32 v5, v27, v23, -v5
	v_fmac_f32_e32 v55, v28, v23
	v_fma_f32 v27, v27, v25, -v56
	v_fmac_f32_e32 v57, v28, v25
	v_fma_f32 v28, v31, v23, -v58
	v_dual_fmac_f32 v24, v32, v23 :: v_dual_add_f32 v5, v21, v5
	v_fma_f32 v23, v31, v25, -v59
	v_fmac_f32_e32 v26, v32, v25
	s_delay_alu instid0(VALU_DEP_4)
	v_dual_add_f32 v28, v17, v28 :: v_dual_add_f32 v21, v22, v55
	v_dual_add_f32 v22, v19, v27 :: v_dual_add_f32 v27, v20, v57
	v_add_f32_e32 v24, v18, v24
	ds_load_2addr_b64 v[17:20], v12 offset0:64 offset1:80
	s_waitcnt lgkmcnt(2)
	v_dual_mul_f32 v31, v30, v48 :: v_dual_add_f32 v16, v16, v26
	v_dual_add_f32 v15, v15, v23 :: v_dual_mul_f32 v26, v29, v50
	v_mul_f32_e32 v23, v29, v48
	s_delay_alu instid0(VALU_DEP_3) | instskip(SKIP_1) | instid1(VALU_DEP_4)
	v_fma_f32 v25, v29, v47, -v31
	v_mul_f32_e32 v31, v30, v50
	v_fmac_f32_e32 v26, v30, v49
	s_delay_alu instid0(VALU_DEP_4) | instskip(NEXT) | instid1(VALU_DEP_2)
	v_fmac_f32_e32 v23, v30, v47
	v_dual_add_f32 v5, v5, v25 :: v_dual_add_f32 v26, v27, v26
	v_mul_f32_e32 v27, v33, v50
	s_waitcnt lgkmcnt(0)
	s_delay_alu instid0(VALU_DEP_1) | instskip(NEXT) | instid1(VALU_DEP_1)
	v_dual_fmac_f32 v27, v34, v49 :: v_dual_mul_f32 v30, v35, v18
	v_add_f32_e32 v27, v16, v27
	s_delay_alu instid0(VALU_DEP_2) | instskip(SKIP_4) | instid1(VALU_DEP_3)
	v_fmac_f32_e32 v30, v36, v17
	v_fma_f32 v25, v29, v49, -v31
	v_dual_add_f32 v31, v21, v23 :: v_dual_mul_f32 v16, v35, v20
	v_mul_f32_e32 v29, v34, v48
	v_mul_f32_e32 v23, v34, v50
	v_dual_add_f32 v25, v22, v25 :: v_dual_add_f32 v30, v31, v30
	s_delay_alu instid0(VALU_DEP_4) | instskip(NEXT) | instid1(VALU_DEP_4)
	v_fmac_f32_e32 v16, v36, v19
	v_fma_f32 v22, v33, v47, -v29
	v_mul_f32_e32 v21, v33, v48
	v_mul_f32_e32 v31, v52, v18
	s_delay_alu instid0(VALU_DEP_3) | instskip(SKIP_1) | instid1(VALU_DEP_3)
	v_add_f32_e32 v28, v28, v22
	v_fma_f32 v22, v33, v49, -v23
	v_fma_f32 v31, v51, v17, -v31
	s_delay_alu instid0(VALU_DEP_2) | instskip(SKIP_2) | instid1(VALU_DEP_2)
	v_add_f32_e32 v15, v15, v22
	v_mul_f32_e32 v23, v36, v18
	v_dual_mul_f32 v18, v51, v18 :: v_dual_fmac_f32 v21, v34, v47
	v_fma_f32 v32, v35, v17, -v23
	s_delay_alu instid0(VALU_DEP_2) | instskip(NEXT) | instid1(VALU_DEP_3)
	v_fmac_f32_e32 v18, v52, v17
	v_add_f32_e32 v29, v24, v21
	ds_load_2addr_b64 v[21:24], v12 offset0:96 offset1:112
	v_mul_f32_e32 v33, v36, v20
	v_add_f32_e32 v5, v5, v32
	v_add_f32_e32 v31, v28, v31
	s_delay_alu instid0(VALU_DEP_3) | instskip(NEXT) | instid1(VALU_DEP_1)
	v_fma_f32 v32, v35, v19, -v33
	v_add_f32_e32 v25, v25, v32
	v_mul_f32_e32 v32, v52, v20
	v_mul_f32_e32 v20, v51, v20
	s_delay_alu instid0(VALU_DEP_1) | instskip(SKIP_2) | instid1(VALU_DEP_2)
	v_fmac_f32_e32 v20, v52, v19
	s_waitcnt lgkmcnt(0)
	v_mul_f32_e32 v28, v38, v24
	v_add_f32_e32 v34, v27, v20
	v_mul_f32_e32 v20, v37, v24
	s_delay_alu instid0(VALU_DEP_3)
	v_fma_f32 v27, v37, v23, -v28
	v_add_f32_e32 v33, v26, v16
	v_fma_f32 v16, v51, v19, -v32
	v_mul_f32_e32 v26, v37, v22
	v_add_f32_e32 v29, v29, v18
	v_mul_f32_e32 v19, v38, v22
	v_fmac_f32_e32 v20, v38, v23
	v_add_f32_e32 v32, v15, v16
	ds_load_2addr_b64 v[15:18], v12 offset0:128 offset1:144
	v_fmac_f32_e32 v26, v38, v21
	s_delay_alu instid0(VALU_DEP_1) | instskip(SKIP_3) | instid1(VALU_DEP_2)
	v_add_f32_e32 v35, v30, v26
	v_mul_f32_e32 v30, v54, v24
	v_mul_f32_e32 v24, v53, v24
	v_fma_f32 v19, v37, v21, -v19
	v_fmac_f32_e32 v24, v54, v23
	s_delay_alu instid0(VALU_DEP_1) | instskip(SKIP_2) | instid1(VALU_DEP_1)
	v_dual_add_f32 v5, v5, v19 :: v_dual_add_f32 v24, v34, v24
	s_waitcnt lgkmcnt(0)
	v_mul_f32_e32 v34, v39, v18
	v_dual_mul_f32 v19, v54, v22 :: v_dual_fmac_f32 v34, v40, v17
	s_delay_alu instid0(VALU_DEP_1) | instskip(NEXT) | instid1(VALU_DEP_1)
	v_fma_f32 v19, v53, v21, -v19
	v_dual_mul_f32 v22, v53, v22 :: v_dual_add_f32 v37, v31, v19
	s_delay_alu instid0(VALU_DEP_1)
	v_fmac_f32_e32 v22, v54, v21
	v_add_f32_e32 v36, v25, v27
	ds_load_b128 v[25:28], v13 offset:1056
	v_add_f32_e32 v33, v33, v20
	v_fma_f32 v20, v53, v23, -v30
	v_dual_mul_f32 v19, v40, v16 :: v_dual_add_f32 v38, v29, v22
	v_dual_mul_f32 v47, v39, v16 :: v_dual_mul_f32 v30, v40, v18
	s_delay_alu instid0(VALU_DEP_3) | instskip(NEXT) | instid1(VALU_DEP_3)
	v_add_f32_e32 v23, v32, v20
	v_fma_f32 v29, v39, v15, -v19
	ds_load_2addr_b64 v[19:22], v12 offset0:160 offset1:176
	v_fmac_f32_e32 v47, v40, v15
	v_fma_f32 v39, v39, v17, -v30
	v_add_f32_e32 v5, v5, v29
	ds_load_b128 v[29:32], v13 offset:1072
	v_add_f32_e32 v36, v36, v39
	s_waitcnt lgkmcnt(2)
	v_mul_f32_e32 v48, v26, v16
	v_mul_f32_e32 v16, v25, v16
	v_dual_mul_f32 v40, v26, v18 :: v_dual_add_f32 v35, v35, v47
	v_add_f32_e32 v33, v33, v34
	s_delay_alu instid0(VALU_DEP_4) | instskip(NEXT) | instid1(VALU_DEP_4)
	v_fma_f32 v39, v25, v15, -v48
	v_fmac_f32_e32 v16, v26, v15
	v_mul_f32_e32 v34, v25, v18
	v_fma_f32 v15, v25, v17, -v40
	s_waitcnt lgkmcnt(1)
	v_dual_mul_f32 v18, v42, v20 :: v_dual_add_f32 v37, v37, v39
	v_mul_f32_e32 v39, v42, v22
	v_fmac_f32_e32 v34, v26, v17
	v_add_f32_e32 v25, v38, v16
	v_add_f32_e32 v23, v23, v15
	v_fma_f32 v38, v41, v19, -v18
	v_mul_f32_e32 v26, v41, v20
	ds_load_2addr_b64 v[15:18], v12 offset0:192 offset1:208
	v_add_f32_e32 v5, v5, v38
	v_add_f32_e32 v34, v24, v34
	v_mul_f32_e32 v24, v41, v22
	v_fma_f32 v38, v41, v21, -v39
	s_delay_alu instid0(VALU_DEP_2) | instskip(SKIP_1) | instid1(VALU_DEP_3)
	v_fmac_f32_e32 v24, v42, v21
	v_fmac_f32_e32 v26, v42, v19
	v_add_f32_e32 v36, v36, v38
	s_delay_alu instid0(VALU_DEP_2) | instskip(NEXT) | instid1(VALU_DEP_1)
	v_dual_add_f32 v35, v35, v26 :: v_dual_mul_f32 v26, v28, v20
	v_fma_f32 v26, v27, v19, -v26
	v_mul_f32_e32 v20, v27, v20
	s_delay_alu instid0(VALU_DEP_1) | instskip(SKIP_2) | instid1(VALU_DEP_1)
	v_dual_fmac_f32 v20, v28, v19 :: v_dual_add_f32 v19, v33, v24
	s_waitcnt lgkmcnt(0)
	v_mul_f32_e32 v33, v44, v16
	v_fma_f32 v33, v43, v15, -v33
	v_mul_f32_e32 v38, v28, v22
	s_delay_alu instid0(VALU_DEP_2) | instskip(NEXT) | instid1(VALU_DEP_2)
	v_dual_mul_f32 v22, v27, v22 :: v_dual_add_f32 v5, v5, v33
	v_fma_f32 v24, v27, v21, -v38
	v_add_f32_e32 v27, v37, v26
	v_mul_f32_e32 v37, v43, v18
	v_mul_f32_e32 v33, v30, v16
	s_delay_alu instid0(VALU_DEP_2)
	v_dual_add_f32 v20, v25, v20 :: v_dual_fmac_f32 v37, v44, v17
	v_dual_fmac_f32 v22, v28, v21 :: v_dual_add_f32 v21, v23, v24
	ds_load_2addr_b64 v[23:26], v12 offset0:224 offset1:240
	v_mul_f32_e32 v28, v43, v16
	v_mul_f32_e32 v16, v29, v16
	v_fma_f32 v33, v29, v15, -v33
	s_waitcnt lgkmcnt(0)
	s_barrier
	v_fmac_f32_e32 v28, v44, v15
	s_delay_alu instid0(VALU_DEP_2)
	v_dual_fmac_f32 v16, v30, v15 :: v_dual_add_f32 v15, v27, v33
	buffer_gl0_inv
	v_dual_add_f32 v28, v35, v28 :: v_dual_mul_f32 v35, v30, v18
	v_mul_f32_e32 v27, v46, v24
	v_add_f32_e32 v22, v34, v22
	v_mul_f32_e32 v34, v44, v18
	s_delay_alu instid0(VALU_DEP_1) | instskip(NEXT) | instid1(VALU_DEP_1)
	v_fma_f32 v34, v43, v17, -v34
	v_add_f32_e32 v34, v36, v34
	v_add_f32_e32 v36, v19, v37
	v_mul_f32_e32 v18, v29, v18
	v_fma_f32 v19, v29, v17, -v35
	s_delay_alu instid0(VALU_DEP_2) | instskip(NEXT) | instid1(VALU_DEP_2)
	v_dual_mul_f32 v29, v45, v24 :: v_dual_fmac_f32 v18, v30, v17
	v_add_f32_e32 v30, v21, v19
	v_fma_f32 v17, v45, v23, -v27
	v_mul_f32_e32 v19, v46, v26
	s_delay_alu instid0(VALU_DEP_4) | instskip(SKIP_1) | instid1(VALU_DEP_4)
	v_fmac_f32_e32 v29, v46, v23
	v_dual_add_f32 v27, v22, v18 :: v_dual_mul_f32 v18, v31, v24
	v_add_f32_e32 v21, v5, v17
	s_delay_alu instid0(VALU_DEP_4)
	v_fma_f32 v5, v45, v25, -v19
	v_mul_f32_e32 v17, v32, v24
	v_mul_f32_e32 v24, v32, v26
	v_fmac_f32_e32 v18, v32, v23
	v_add_f32_e32 v22, v28, v29
	v_add_f32_e32 v19, v34, v5
	v_fma_f32 v5, v31, v23, -v17
	v_fma_f32 v23, v31, v25, -v24
	v_add_f32_e32 v16, v20, v16
	v_mul_f32_e32 v20, v45, v26
	v_mul_f32_e32 v26, v31, v26
	v_add_f32_e32 v17, v15, v5
	s_delay_alu instid0(VALU_DEP_4) | instskip(NEXT) | instid1(VALU_DEP_4)
	v_dual_add_f32 v15, v30, v23 :: v_dual_add_f32 v18, v16, v18
	v_fmac_f32_e32 v20, v46, v25
	s_delay_alu instid0(VALU_DEP_4) | instskip(NEXT) | instid1(VALU_DEP_2)
	v_fmac_f32_e32 v26, v32, v25
	v_add_f32_e32 v20, v36, v20
	s_delay_alu instid0(VALU_DEP_2)
	v_add_f32_e32 v16, v27, v26
	s_cbranch_scc1 .LBB840_11
.LBB840_3:                              ; =>This Inner Loop Header: Depth=1
	v_add_nc_u32_e32 v5, s19, v9
	s_delay_alu instid0(VALU_DEP_1) | instskip(SKIP_1) | instid1(SALU_CYCLE_1)
	v_cmp_le_i32_e32 vcc_lo, s17, v5
	s_or_b32 s18, s3, vcc_lo
	s_and_saveexec_b32 s20, s18
	s_delay_alu instid0(SALU_CYCLE_1)
	s_xor_b32 s18, exec_lo, s20
	s_cbranch_execz .LBB840_5
; %bb.4:                                ;   in Loop: Header=BB840_3 Depth=1
	v_mov_b32_e32 v5, v4
	ds_store_b64 v10, v[4:5]
.LBB840_5:                              ;   in Loop: Header=BB840_3 Depth=1
	s_and_not1_saveexec_b32 s18, s18
	s_cbranch_execz .LBB840_7
; %bb.6:                                ;   in Loop: Header=BB840_3 Depth=1
	global_load_b64 v[23:24], v[0:1], off
	s_waitcnt vmcnt(0)
	ds_store_b64 v10, v[23:24]
.LBB840_7:                              ;   in Loop: Header=BB840_3 Depth=1
	s_or_b32 exec_lo, exec_lo, s18
	v_add_nc_u32_e32 v5, s19, v8
                                        ; implicit-def: $sgpr20
	s_delay_alu instid0(VALU_DEP_1) | instskip(SKIP_1) | instid1(SALU_CYCLE_1)
	v_cmp_le_i32_e32 vcc_lo, s17, v5
	s_or_b32 s18, vcc_lo, s2
	s_and_saveexec_b32 s21, s18
	s_delay_alu instid0(SALU_CYCLE_1)
	s_xor_b32 s18, exec_lo, s21
	s_cbranch_execz .LBB840_9
; %bb.8:                                ;   in Loop: Header=BB840_3 Depth=1
	s_mov_b32 s20, 0
	ds_store_b32 v11, v14
.LBB840_9:                              ;   in Loop: Header=BB840_3 Depth=1
	s_or_saveexec_b32 s18, s18
	v_mov_b32_e32 v5, s20
	s_xor_b32 exec_lo, exec_lo, s18
	s_cbranch_execz .LBB840_2
; %bb.10:                               ;   in Loop: Header=BB840_3 Depth=1
	global_load_b64 v[23:24], v[2:3], off offset:-4
	s_waitcnt vmcnt(0)
	v_xor_b32_e32 v5, 0x80000000, v24
	ds_store_b32 v11, v23
	s_branch .LBB840_2
.LBB840_11:
	s_load_b32 s2, s[0:1], 0x50
	v_add_nc_u32_e32 v5, s14, v7
	v_add_nc_u32_e32 v0, s15, v6
	s_delay_alu instid0(VALU_DEP_1) | instskip(SKIP_1) | instid1(VALU_DEP_2)
	v_cmp_le_i32_e64 s0, v5, v0
	v_cmp_gt_i32_e32 vcc_lo, s16, v0
	s_and_b32 s0, s0, vcc_lo
	s_waitcnt lgkmcnt(0)
	v_mad_i64_i32 v[1:2], null, v5, s2, 0
	s_delay_alu instid0(VALU_DEP_1) | instskip(NEXT) | instid1(VALU_DEP_1)
	v_lshlrev_b64 v[1:2], 3, v[1:2]
	v_add_co_u32 v4, s1, s6, v1
	s_delay_alu instid0(VALU_DEP_1)
	v_add_co_ci_u32_e64 v6, s1, s7, v2, s1
	s_and_saveexec_b32 s1, s0
	s_cbranch_execz .LBB840_14
; %bb.12:
	v_ashrrev_i32_e32 v1, 31, v0
	s_delay_alu instid0(VALU_DEP_1) | instskip(NEXT) | instid1(VALU_DEP_1)
	v_lshlrev_b64 v[1:2], 3, v[0:1]
	v_add_co_u32 v1, s0, v4, v1
	s_delay_alu instid0(VALU_DEP_1)
	v_add_co_ci_u32_e64 v2, s0, v6, v2, s0
	v_cmp_eq_u32_e64 s0, v5, v0
	global_load_b64 v[7:8], v[1:2], off
	v_mul_f32_e32 v3, s9, v22
	s_waitcnt vmcnt(0)
	v_dual_mul_f32 v9, s8, v22 :: v_dual_mul_f32 v10, s5, v8
	v_mul_f32_e32 v8, s4, v8
	s_delay_alu instid0(VALU_DEP_3) | instskip(NEXT) | instid1(VALU_DEP_3)
	v_fma_f32 v3, v21, s8, -v3
	v_fmac_f32_e32 v9, s9, v21
	s_delay_alu instid0(VALU_DEP_4) | instskip(NEXT) | instid1(VALU_DEP_1)
	v_fma_f32 v10, v7, s4, -v10
	v_dual_fmac_f32 v8, s5, v7 :: v_dual_add_f32 v7, v3, v10
	s_delay_alu instid0(VALU_DEP_1)
	v_add_f32_e32 v8, v9, v8
	global_store_b64 v[1:2], v[7:8], off
	s_and_b32 exec_lo, exec_lo, s0
	s_cbranch_execz .LBB840_14
; %bb.13:
	v_mov_b32_e32 v3, 0
	global_store_b32 v[1:2], v3, off offset:4
.LBB840_14:
	s_or_b32 exec_lo, exec_lo, s1
	v_add_nc_u32_e32 v2, 16, v0
	s_delay_alu instid0(VALU_DEP_1) | instskip(SKIP_1) | instid1(VALU_DEP_1)
	v_cmp_le_i32_e64 s1, v5, v2
	v_cmp_gt_i32_e64 s0, s16, v2
	s_and_b32 s1, s1, s0
	s_delay_alu instid0(SALU_CYCLE_1)
	s_and_saveexec_b32 s3, s1
	s_cbranch_execz .LBB840_17
; %bb.15:
	v_ashrrev_i32_e32 v3, 31, v2
	s_delay_alu instid0(VALU_DEP_1) | instskip(NEXT) | instid1(VALU_DEP_1)
	v_lshlrev_b64 v[7:8], 3, v[2:3]
	v_add_co_u32 v3, s1, v4, v7
	s_delay_alu instid0(VALU_DEP_1) | instskip(SKIP_4) | instid1(VALU_DEP_1)
	v_add_co_ci_u32_e64 v4, s1, v6, v8, s1
	v_cmp_eq_u32_e64 s1, v5, v2
	global_load_b64 v[6:7], v[3:4], off
	s_waitcnt vmcnt(0)
	v_dual_mul_f32 v8, s8, v20 :: v_dual_mul_f32 v9, s5, v7
	v_dual_mul_f32 v1, s9, v20 :: v_dual_fmac_f32 v8, s9, v19
	s_delay_alu instid0(VALU_DEP_2) | instskip(NEXT) | instid1(VALU_DEP_2)
	v_fma_f32 v9, v6, s4, -v9
	v_fma_f32 v1, v19, s8, -v1
	v_mul_f32_e32 v7, s4, v7
	s_delay_alu instid0(VALU_DEP_1) | instskip(NEXT) | instid1(VALU_DEP_1)
	v_dual_fmac_f32 v7, s5, v6 :: v_dual_add_f32 v6, v1, v9
	v_add_f32_e32 v7, v8, v7
	global_store_b64 v[3:4], v[6:7], off
	s_and_b32 exec_lo, exec_lo, s1
	s_cbranch_execz .LBB840_17
; %bb.16:
	v_mov_b32_e32 v1, 0
	global_store_b32 v[3:4], v1, off offset:4
.LBB840_17:
	s_or_b32 exec_lo, exec_lo, s3
	v_add_nc_u32_e32 v8, 16, v5
	s_delay_alu instid0(VALU_DEP_1) | instskip(SKIP_1) | instid1(VALU_DEP_2)
	v_mad_i64_i32 v[3:4], null, v8, s2, 0
	v_cmp_le_i32_e64 s1, v8, v0
	v_lshlrev_b64 v[3:4], 3, v[3:4]
	s_delay_alu instid0(VALU_DEP_1) | instskip(NEXT) | instid1(VALU_DEP_1)
	v_add_co_u32 v6, s2, s6, v3
	v_add_co_ci_u32_e64 v7, s2, s7, v4, s2
	s_delay_alu instid0(VALU_DEP_4) | instskip(NEXT) | instid1(SALU_CYCLE_1)
	s_and_b32 s2, s1, vcc_lo
	s_and_saveexec_b32 s1, s2
	s_cbranch_execz .LBB840_20
; %bb.18:
	v_ashrrev_i32_e32 v1, 31, v0
	v_mul_f32_e32 v11, s8, v18
	s_delay_alu instid0(VALU_DEP_2) | instskip(NEXT) | instid1(VALU_DEP_2)
	v_lshlrev_b64 v[3:4], 3, v[0:1]
	v_fmac_f32_e32 v11, s9, v17
	s_delay_alu instid0(VALU_DEP_2) | instskip(NEXT) | instid1(VALU_DEP_3)
	v_add_co_u32 v3, vcc_lo, v6, v3
	v_add_co_ci_u32_e32 v4, vcc_lo, v7, v4, vcc_lo
	v_cmp_eq_u32_e32 vcc_lo, v8, v0
	global_load_b64 v[9:10], v[3:4], off
	s_waitcnt vmcnt(0)
	v_mul_f32_e32 v12, s5, v10
	s_delay_alu instid0(VALU_DEP_1) | instskip(SKIP_1) | instid1(VALU_DEP_1)
	v_fma_f32 v12, v9, s4, -v12
	v_mul_f32_e32 v10, s4, v10
	v_dual_mul_f32 v1, s9, v18 :: v_dual_fmac_f32 v10, s5, v9
	s_delay_alu instid0(VALU_DEP_1) | instskip(NEXT) | instid1(VALU_DEP_1)
	v_fma_f32 v1, v17, s8, -v1
	v_dual_add_f32 v10, v11, v10 :: v_dual_add_f32 v9, v1, v12
	global_store_b64 v[3:4], v[9:10], off
	s_and_b32 exec_lo, exec_lo, vcc_lo
	s_cbranch_execz .LBB840_20
; %bb.19:
	v_mov_b32_e32 v1, 0
	global_store_b32 v[3:4], v1, off offset:4
.LBB840_20:
	s_or_b32 exec_lo, exec_lo, s1
	v_cmp_le_i32_e32 vcc_lo, v8, v2
	s_and_b32 s0, vcc_lo, s0
	s_delay_alu instid0(SALU_CYCLE_1)
	s_and_saveexec_b32 s1, s0
	s_cbranch_execz .LBB840_23
; %bb.21:
	v_ashrrev_i32_e32 v3, 31, v2
	s_delay_alu instid0(VALU_DEP_1) | instskip(NEXT) | instid1(VALU_DEP_1)
	v_lshlrev_b64 v[1:2], 3, v[2:3]
	v_add_co_u32 v1, vcc_lo, v6, v1
	s_delay_alu instid0(VALU_DEP_2)
	v_add_co_ci_u32_e32 v2, vcc_lo, v7, v2, vcc_lo
	v_cmp_eq_u32_e32 vcc_lo, v5, v0
	global_load_b64 v[3:4], v[1:2], off
	s_waitcnt vmcnt(0)
	v_mul_f32_e32 v8, s5, v4
	v_mul_f32_e32 v4, s4, v4
	;; [unrolled: 1-line block ×3, first 2 shown]
	s_delay_alu instid0(VALU_DEP_3) | instskip(NEXT) | instid1(VALU_DEP_3)
	v_fma_f32 v8, v3, s4, -v8
	v_fmac_f32_e32 v4, s5, v3
	s_delay_alu instid0(VALU_DEP_3) | instskip(NEXT) | instid1(VALU_DEP_1)
	v_dual_mul_f32 v6, s9, v16 :: v_dual_fmac_f32 v7, s9, v15
	v_fma_f32 v6, v15, s8, -v6
	s_delay_alu instid0(VALU_DEP_2) | instskip(NEXT) | instid1(VALU_DEP_2)
	v_add_f32_e32 v4, v7, v4
	v_add_f32_e32 v3, v6, v8
	global_store_b64 v[1:2], v[3:4], off
	s_and_b32 exec_lo, exec_lo, vcc_lo
	s_cbranch_execz .LBB840_23
; %bb.22:
	v_mov_b32_e32 v0, 0
	global_store_b32 v[1:2], v0, off offset:4
.LBB840_23:
	s_nop 0
	s_sendmsg sendmsg(MSG_DEALLOC_VGPRS)
	s_endpgm
	.section	.rodata,"a",@progbits
	.p2align	6, 0x0
	.amdhsa_kernel _ZL34rocblas_syrkx_herkx_general_kernelIi19rocblas_complex_numIfELi16ELi32ELi8ELb0ELb1ELc78ELc76EKPKS1_KPS1_EviT_T0_PT8_S7_lSA_S7_lS8_PT9_S7_li
		.amdhsa_group_segment_fixed_size 4096
		.amdhsa_private_segment_fixed_size 0
		.amdhsa_kernarg_size 100
		.amdhsa_user_sgpr_count 13
		.amdhsa_user_sgpr_dispatch_ptr 0
		.amdhsa_user_sgpr_queue_ptr 0
		.amdhsa_user_sgpr_kernarg_segment_ptr 1
		.amdhsa_user_sgpr_dispatch_id 0
		.amdhsa_user_sgpr_private_segment_size 0
		.amdhsa_wavefront_size32 1
		.amdhsa_uses_dynamic_stack 0
		.amdhsa_enable_private_segment 0
		.amdhsa_system_sgpr_workgroup_id_x 1
		.amdhsa_system_sgpr_workgroup_id_y 1
		.amdhsa_system_sgpr_workgroup_id_z 1
		.amdhsa_system_sgpr_workgroup_info 0
		.amdhsa_system_vgpr_workitem_id 1
		.amdhsa_next_free_vgpr 60
		.amdhsa_next_free_sgpr 24
		.amdhsa_reserve_vcc 1
		.amdhsa_float_round_mode_32 0
		.amdhsa_float_round_mode_16_64 0
		.amdhsa_float_denorm_mode_32 3
		.amdhsa_float_denorm_mode_16_64 3
		.amdhsa_dx10_clamp 1
		.amdhsa_ieee_mode 1
		.amdhsa_fp16_overflow 0
		.amdhsa_workgroup_processor_mode 1
		.amdhsa_memory_ordered 1
		.amdhsa_forward_progress 0
		.amdhsa_shared_vgpr_count 0
		.amdhsa_exception_fp_ieee_invalid_op 0
		.amdhsa_exception_fp_denorm_src 0
		.amdhsa_exception_fp_ieee_div_zero 0
		.amdhsa_exception_fp_ieee_overflow 0
		.amdhsa_exception_fp_ieee_underflow 0
		.amdhsa_exception_fp_ieee_inexact 0
		.amdhsa_exception_int_div_zero 0
	.end_amdhsa_kernel
	.section	.text._ZL34rocblas_syrkx_herkx_general_kernelIi19rocblas_complex_numIfELi16ELi32ELi8ELb0ELb1ELc78ELc76EKPKS1_KPS1_EviT_T0_PT8_S7_lSA_S7_lS8_PT9_S7_li,"axG",@progbits,_ZL34rocblas_syrkx_herkx_general_kernelIi19rocblas_complex_numIfELi16ELi32ELi8ELb0ELb1ELc78ELc76EKPKS1_KPS1_EviT_T0_PT8_S7_lSA_S7_lS8_PT9_S7_li,comdat
.Lfunc_end840:
	.size	_ZL34rocblas_syrkx_herkx_general_kernelIi19rocblas_complex_numIfELi16ELi32ELi8ELb0ELb1ELc78ELc76EKPKS1_KPS1_EviT_T0_PT8_S7_lSA_S7_lS8_PT9_S7_li, .Lfunc_end840-_ZL34rocblas_syrkx_herkx_general_kernelIi19rocblas_complex_numIfELi16ELi32ELi8ELb0ELb1ELc78ELc76EKPKS1_KPS1_EviT_T0_PT8_S7_lSA_S7_lS8_PT9_S7_li
                                        ; -- End function
	.section	.AMDGPU.csdata,"",@progbits
; Kernel info:
; codeLenInByte = 2740
; NumSgprs: 26
; NumVgprs: 60
; ScratchSize: 0
; MemoryBound: 1
; FloatMode: 240
; IeeeMode: 1
; LDSByteSize: 4096 bytes/workgroup (compile time only)
; SGPRBlocks: 3
; VGPRBlocks: 7
; NumSGPRsForWavesPerEU: 26
; NumVGPRsForWavesPerEU: 60
; Occupancy: 16
; WaveLimiterHint : 1
; COMPUTE_PGM_RSRC2:SCRATCH_EN: 0
; COMPUTE_PGM_RSRC2:USER_SGPR: 13
; COMPUTE_PGM_RSRC2:TRAP_HANDLER: 0
; COMPUTE_PGM_RSRC2:TGID_X_EN: 1
; COMPUTE_PGM_RSRC2:TGID_Y_EN: 1
; COMPUTE_PGM_RSRC2:TGID_Z_EN: 1
; COMPUTE_PGM_RSRC2:TIDIG_COMP_CNT: 1
	.section	.text._ZL34rocblas_syrkx_herkx_general_kernelIi19rocblas_complex_numIfELi16ELi32ELi8ELb0ELb1ELc84ELc85EKPKS1_KPS1_EviT_T0_PT8_S7_lSA_S7_lS8_PT9_S7_li,"axG",@progbits,_ZL34rocblas_syrkx_herkx_general_kernelIi19rocblas_complex_numIfELi16ELi32ELi8ELb0ELb1ELc84ELc85EKPKS1_KPS1_EviT_T0_PT8_S7_lSA_S7_lS8_PT9_S7_li,comdat
	.globl	_ZL34rocblas_syrkx_herkx_general_kernelIi19rocblas_complex_numIfELi16ELi32ELi8ELb0ELb1ELc84ELc85EKPKS1_KPS1_EviT_T0_PT8_S7_lSA_S7_lS8_PT9_S7_li ; -- Begin function _ZL34rocblas_syrkx_herkx_general_kernelIi19rocblas_complex_numIfELi16ELi32ELi8ELb0ELb1ELc84ELc85EKPKS1_KPS1_EviT_T0_PT8_S7_lSA_S7_lS8_PT9_S7_li
	.p2align	8
	.type	_ZL34rocblas_syrkx_herkx_general_kernelIi19rocblas_complex_numIfELi16ELi32ELi8ELb0ELb1ELc84ELc85EKPKS1_KPS1_EviT_T0_PT8_S7_lSA_S7_lS8_PT9_S7_li,@function
_ZL34rocblas_syrkx_herkx_general_kernelIi19rocblas_complex_numIfELi16ELi32ELi8ELb0ELb1ELc84ELc85EKPKS1_KPS1_EviT_T0_PT8_S7_lSA_S7_lS8_PT9_S7_li: ; @_ZL34rocblas_syrkx_herkx_general_kernelIi19rocblas_complex_numIfELi16ELi32ELi8ELb0ELb1ELc84ELc85EKPKS1_KPS1_EviT_T0_PT8_S7_lSA_S7_lS8_PT9_S7_li
; %bb.0:
	s_clause 0x1
	s_load_b128 s[4:7], s[0:1], 0x40
	s_load_b64 s[16:17], s[0:1], 0x0
	s_mov_b32 s18, s15
	s_mov_b32 s19, 0
	v_dual_mov_b32 v21, 0 :: v_dual_and_b32 v6, 0x3ff, v0
	s_lshl_b64 s[2:3], s[18:19], 3
	v_bfe_u32 v7, v0, 10, 10
	v_dual_mov_b32 v20, 0 :: v_dual_mov_b32 v19, 0
	v_dual_mov_b32 v18, 0 :: v_dual_mov_b32 v17, 0
	;; [unrolled: 1-line block ×3, first 2 shown]
	v_mov_b32_e32 v14, 0
	s_waitcnt lgkmcnt(0)
	s_add_u32 s6, s6, s2
	s_addc_u32 s7, s7, s3
	s_load_b128 s[8:11], s[0:1], 0x8
	s_load_b64 s[6:7], s[6:7], 0x0
	s_lshl_b32 s12, s13, 5
	s_lshl_b32 s13, s14, 5
	s_cmp_lt_i32 s17, 1
	s_cbranch_scc1 .LBB841_11
; %bb.1:
	s_clause 0x1
	s_load_b64 s[14:15], s[0:1], 0x28
	s_load_b32 s18, s[0:1], 0x18
	v_lshl_add_u32 v0, v7, 4, v6
	s_load_b32 s20, s[0:1], 0x30
	v_and_b32_e32 v8, 7, v6
	v_lshlrev_b32_e32 v9, 3, v6
	v_lshl_add_u32 v10, v7, 6, 0x800
	v_and_b32_e32 v1, 31, v0
	v_lshrrev_b32_e32 v2, 3, v0
	v_lshrrev_b32_e32 v11, 5, v0
	v_dual_mov_b32 v19, 0 :: v_dual_mov_b32 v18, 0
	s_delay_alu instid0(VALU_DEP_4) | instskip(SKIP_4) | instid1(VALU_DEP_4)
	v_add_nc_u32_e32 v3, s12, v1
	v_or_b32_e32 v12, s12, v1
	v_dual_mov_b32 v20, 0 :: v_dual_lshlrev_b32 v13, 3, v1
	v_lshlrev_b32_e32 v15, 3, v11
	v_dual_mov_b32 v16, 0 :: v_dual_add_nc_u32 v5, s13, v2
	v_cmp_gt_i32_e32 vcc_lo, s16, v12
	s_waitcnt lgkmcnt(0)
	s_add_u32 s14, s14, s2
	v_mad_i64_i32 v[0:1], null, s18, v3, 0
	s_addc_u32 s15, s15, s3
	s_add_u32 s2, s10, s2
	s_addc_u32 s3, s11, s3
	s_load_b64 s[14:15], s[14:15], 0x0
	s_load_b64 s[10:11], s[2:3], 0x0
	v_cmp_gt_i32_e64 s2, s16, v5
	s_delay_alu instid0(VALU_DEP_2) | instskip(SKIP_4) | instid1(VALU_DEP_4)
	v_lshlrev_b64 v[0:1], 3, v[0:1]
	v_lshl_or_b32 v12, v11, 8, v13
	v_mov_b32_e32 v21, 0
	v_mov_b32_e32 v17, 0
	s_xor_b32 s2, s2, -1
	v_add_co_u32 v0, s3, v0, v15
	v_dual_mov_b32 v15, 0 :: v_dual_lshlrev_b32 v4, 3, v8
	v_add_co_ci_u32_e64 v1, s3, 0, v1, s3
	s_delay_alu instid0(VALU_DEP_2) | instskip(SKIP_1) | instid1(VALU_DEP_2)
	v_lshl_or_b32 v14, v2, 6, v4
	v_mad_i64_i32 v[2:3], null, s20, v5, 0
	v_dual_mov_b32 v14, 0 :: v_dual_add_nc_u32 v13, 0x800, v14
	s_delay_alu instid0(VALU_DEP_2) | instskip(NEXT) | instid1(VALU_DEP_1)
	v_lshlrev_b64 v[2:3], 3, v[2:3]
	v_add_co_u32 v2, s3, v2, v4
	s_delay_alu instid0(VALU_DEP_1) | instskip(SKIP_2) | instid1(VALU_DEP_1)
	v_add_co_ci_u32_e64 v3, s3, 0, v3, s3
	s_waitcnt lgkmcnt(0)
	v_add_co_u32 v0, s3, s10, v0
	v_add_co_ci_u32_e64 v1, s3, s11, v1, s3
	v_add_co_u32 v2, s3, s14, v2
	s_delay_alu instid0(VALU_DEP_1)
	v_add_co_ci_u32_e64 v3, s3, s15, v3, s3
	v_mov_b32_e32 v4, 0
	s_xor_b32 s3, vcc_lo, -1
	s_branch .LBB841_3
.LBB841_2:                              ;   in Loop: Header=BB841_3 Depth=1
	s_or_b32 exec_lo, exec_lo, s10
	s_waitcnt lgkmcnt(0)
	s_barrier
	buffer_gl0_inv
	ds_load_2addr_b64 v[22:25], v9 offset1:16
	ds_load_b128 v[26:29], v10
	ds_load_b128 v[30:33], v10 offset:1024
	ds_load_b128 v[34:37], v10 offset:16
	ds_load_b128 v[38:41], v10 offset:32
	ds_load_b128 v[42:45], v10 offset:48
	ds_load_2addr_b64 v[46:49], v9 offset0:32 offset1:48
	ds_load_b128 v[50:53], v10 offset:1040
	v_add_co_u32 v0, vcc_lo, v0, 64
	v_add_co_ci_u32_e32 v1, vcc_lo, 0, v1, vcc_lo
	v_add_co_u32 v2, vcc_lo, v2, 64
	v_add_co_ci_u32_e32 v3, vcc_lo, 0, v3, vcc_lo
	s_add_i32 s19, s19, 8
	s_delay_alu instid0(SALU_CYCLE_1)
	s_cmp_ge_i32 s19, s17
	s_waitcnt lgkmcnt(6)
	v_dual_mul_f32 v5, v27, v23 :: v_dual_mul_f32 v56, v26, v25
	v_dual_mul_f32 v54, v26, v23 :: v_dual_mul_f32 v55, v27, v25
	s_waitcnt lgkmcnt(5)
	v_mul_f32_e32 v58, v31, v25
	s_delay_alu instid0(VALU_DEP_3) | instskip(SKIP_3) | instid1(VALU_DEP_4)
	v_fma_f32 v5, v26, v22, -v5
	v_dual_mul_f32 v25, v30, v25 :: v_dual_fmac_f32 v56, v27, v24
	v_fmac_f32_e32 v54, v27, v22
	v_fma_f32 v26, v26, v24, -v55
	v_add_f32_e32 v5, v20, v5
	v_mul_f32_e32 v57, v31, v23
	s_delay_alu instid0(VALU_DEP_4) | instskip(SKIP_2) | instid1(VALU_DEP_4)
	v_dual_mul_f32 v23, v30, v23 :: v_dual_add_f32 v20, v21, v54
	v_fmac_f32_e32 v25, v31, v24
	v_dual_add_f32 v21, v18, v26 :: v_dual_add_f32 v26, v19, v56
	v_fma_f32 v27, v30, v22, -v57
	s_delay_alu instid0(VALU_DEP_4) | instskip(SKIP_3) | instid1(VALU_DEP_2)
	v_fmac_f32_e32 v23, v31, v22
	v_fma_f32 v22, v30, v24, -v58
	s_waitcnt lgkmcnt(1)
	v_mul_f32_e32 v30, v29, v47
	v_dual_add_f32 v27, v16, v27 :: v_dual_add_f32 v14, v14, v22
	v_dual_mul_f32 v22, v28, v47 :: v_dual_add_f32 v15, v15, v25
	v_mul_f32_e32 v25, v28, v49
	s_delay_alu instid0(VALU_DEP_4) | instskip(NEXT) | instid1(VALU_DEP_3)
	v_fma_f32 v24, v28, v46, -v30
	v_fmac_f32_e32 v22, v29, v46
	v_add_f32_e32 v23, v17, v23
	ds_load_2addr_b64 v[16:19], v9 offset0:64 offset1:80
	v_mul_f32_e32 v30, v29, v49
	v_fmac_f32_e32 v25, v29, v48
	v_add_f32_e32 v5, v5, v24
	s_delay_alu instid0(VALU_DEP_2) | instskip(SKIP_1) | instid1(VALU_DEP_1)
	v_add_f32_e32 v25, v26, v25
	v_mul_f32_e32 v26, v32, v49
	v_fmac_f32_e32 v26, v33, v48
	s_waitcnt lgkmcnt(0)
	s_delay_alu instid0(VALU_DEP_1) | instskip(SKIP_1) | instid1(VALU_DEP_2)
	v_dual_add_f32 v26, v15, v26 :: v_dual_mul_f32 v29, v34, v17
	v_mul_f32_e32 v15, v34, v19
	v_fmac_f32_e32 v29, v35, v16
	v_fma_f32 v24, v28, v48, -v30
	v_mul_f32_e32 v28, v33, v47
	v_add_f32_e32 v30, v20, v22
	v_mul_f32_e32 v20, v32, v47
	v_mul_f32_e32 v22, v33, v49
	v_add_f32_e32 v24, v21, v24
	v_fma_f32 v21, v32, v46, -v28
	s_delay_alu instid0(VALU_DEP_4) | instskip(SKIP_1) | instid1(VALU_DEP_3)
	v_dual_add_f32 v29, v30, v29 :: v_dual_fmac_f32 v20, v33, v46
	v_fmac_f32_e32 v15, v35, v18
	v_add_f32_e32 v27, v27, v21
	v_fma_f32 v21, v32, v48, -v22
	v_mul_f32_e32 v22, v35, v17
	v_mul_f32_e32 v32, v35, v19
	v_add_f32_e32 v28, v23, v20
	s_delay_alu instid0(VALU_DEP_4) | instskip(NEXT) | instid1(VALU_DEP_4)
	v_add_f32_e32 v14, v14, v21
	v_fma_f32 v31, v34, v16, -v22
	ds_load_2addr_b64 v[20:23], v9 offset0:96 offset1:112
	v_add_f32_e32 v5, v5, v31
	v_fma_f32 v31, v34, v18, -v32
	s_delay_alu instid0(VALU_DEP_1) | instskip(SKIP_3) | instid1(VALU_DEP_3)
	v_add_f32_e32 v24, v24, v31
	v_mul_f32_e32 v31, v51, v19
	v_mul_f32_e32 v19, v50, v19
	v_add_f32_e32 v32, v25, v15
	v_fma_f32 v15, v50, v18, -v31
	s_delay_alu instid0(VALU_DEP_3)
	v_fmac_f32_e32 v19, v51, v18
	v_mul_f32_e32 v30, v51, v17
	v_mul_f32_e32 v17, v50, v17
	s_waitcnt lgkmcnt(0)
	v_dual_mul_f32 v18, v37, v21 :: v_dual_add_f32 v31, v14, v15
	v_add_f32_e32 v33, v26, v19
	v_fma_f32 v30, v50, v16, -v30
	v_fmac_f32_e32 v17, v51, v16
	s_delay_alu instid0(VALU_DEP_4) | instskip(SKIP_1) | instid1(VALU_DEP_4)
	v_fma_f32 v18, v36, v20, -v18
	v_mul_f32_e32 v25, v36, v21
	v_dual_mul_f32 v19, v36, v23 :: v_dual_add_f32 v30, v27, v30
	s_delay_alu instid0(VALU_DEP_4) | instskip(SKIP_4) | instid1(VALU_DEP_2)
	v_add_f32_e32 v28, v28, v17
	ds_load_2addr_b64 v[14:17], v9 offset0:128 offset1:144
	v_add_f32_e32 v5, v5, v18
	v_mul_f32_e32 v18, v53, v21
	v_fmac_f32_e32 v19, v37, v22
	v_fma_f32 v18, v52, v20, -v18
	v_mul_f32_e32 v27, v37, v23
	s_delay_alu instid0(VALU_DEP_1) | instskip(NEXT) | instid1(VALU_DEP_3)
	v_fma_f32 v26, v36, v22, -v27
	v_add_f32_e32 v36, v30, v18
	s_waitcnt lgkmcnt(0)
	s_delay_alu instid0(VALU_DEP_2) | instskip(SKIP_2) | instid1(VALU_DEP_3)
	v_dual_add_f32 v35, v24, v26 :: v_dual_mul_f32 v46, v38, v15
	v_dual_fmac_f32 v25, v37, v20 :: v_dual_add_f32 v32, v32, v19
	v_mul_f32_e32 v18, v39, v15
	v_fmac_f32_e32 v46, v39, v14
	s_delay_alu instid0(VALU_DEP_3)
	v_add_f32_e32 v34, v29, v25
	v_mul_f32_e32 v29, v53, v23
	v_mul_f32_e32 v23, v52, v23
	ds_load_b128 v[24:27], v10 offset:1056
	v_add_f32_e32 v34, v34, v46
	v_fma_f32 v19, v52, v22, -v29
	v_mul_f32_e32 v21, v52, v21
	v_fmac_f32_e32 v23, v53, v22
	v_mul_f32_e32 v29, v39, v17
	s_delay_alu instid0(VALU_DEP_3) | instskip(NEXT) | instid1(VALU_DEP_3)
	v_dual_add_f32 v22, v31, v19 :: v_dual_fmac_f32 v21, v53, v20
	v_add_f32_e32 v23, v33, v23
	s_delay_alu instid0(VALU_DEP_2) | instskip(SKIP_4) | instid1(VALU_DEP_2)
	v_add_f32_e32 v37, v28, v21
	v_fma_f32 v28, v38, v14, -v18
	ds_load_2addr_b64 v[18:21], v9 offset0:160 offset1:176
	v_mul_f32_e32 v33, v38, v17
	v_fma_f32 v38, v38, v16, -v29
	v_fmac_f32_e32 v33, v39, v16
	s_delay_alu instid0(VALU_DEP_1)
	v_dual_add_f32 v35, v35, v38 :: v_dual_add_f32 v32, v32, v33
	v_add_f32_e32 v5, v5, v28
	ds_load_b128 v[28:31], v10 offset:1072
	s_waitcnt lgkmcnt(2)
	v_mul_f32_e32 v47, v25, v15
	v_mul_f32_e32 v15, v24, v15
	;; [unrolled: 1-line block ×4, first 2 shown]
	s_delay_alu instid0(VALU_DEP_4) | instskip(NEXT) | instid1(VALU_DEP_4)
	v_fma_f32 v38, v24, v14, -v47
	v_fmac_f32_e32 v15, v25, v14
	s_delay_alu instid0(VALU_DEP_4)
	v_fma_f32 v14, v24, v16, -v39
	s_waitcnt lgkmcnt(1)
	v_mul_f32_e32 v17, v41, v19
	v_dual_fmac_f32 v33, v25, v16 :: v_dual_add_f32 v36, v36, v38
	v_add_f32_e32 v24, v37, v15
	v_add_f32_e32 v22, v22, v14
	s_delay_alu instid0(VALU_DEP_4) | instskip(SKIP_2) | instid1(VALU_DEP_1)
	v_fma_f32 v37, v40, v18, -v17
	ds_load_2addr_b64 v[14:17], v9 offset0:192 offset1:208
	v_dual_mul_f32 v25, v40, v19 :: v_dual_mul_f32 v38, v41, v21
	v_fmac_f32_e32 v25, v41, v18
	s_delay_alu instid0(VALU_DEP_1) | instskip(SKIP_4) | instid1(VALU_DEP_3)
	v_add_f32_e32 v34, v34, v25
	v_add_f32_e32 v33, v23, v33
	v_mul_f32_e32 v23, v40, v21
	v_mul_f32_e32 v25, v27, v19
	;; [unrolled: 1-line block ×3, first 2 shown]
	v_fmac_f32_e32 v23, v41, v20
	s_delay_alu instid0(VALU_DEP_3) | instskip(NEXT) | instid1(VALU_DEP_2)
	v_fma_f32 v25, v26, v18, -v25
	v_dual_fmac_f32 v19, v27, v18 :: v_dual_add_f32 v18, v32, v23
	s_waitcnt lgkmcnt(0)
	v_dual_mul_f32 v32, v43, v15 :: v_dual_add_f32 v5, v5, v37
	v_fma_f32 v37, v40, v20, -v38
	s_delay_alu instid0(VALU_DEP_3) | instskip(NEXT) | instid1(VALU_DEP_3)
	v_add_f32_e32 v19, v24, v19
	v_fma_f32 v32, v42, v14, -v32
	s_delay_alu instid0(VALU_DEP_1) | instskip(NEXT) | instid1(VALU_DEP_4)
	v_add_f32_e32 v5, v5, v32
	v_add_f32_e32 v35, v35, v37
	v_mul_f32_e32 v37, v27, v21
	v_dual_mul_f32 v21, v26, v21 :: v_dual_mul_f32 v32, v29, v15
	s_delay_alu instid0(VALU_DEP_2) | instskip(NEXT) | instid1(VALU_DEP_2)
	v_fma_f32 v23, v26, v20, -v37
	v_dual_add_f32 v26, v36, v25 :: v_dual_fmac_f32 v21, v27, v20
	v_mul_f32_e32 v27, v42, v15
	v_mul_f32_e32 v15, v28, v15
	s_delay_alu instid0(VALU_DEP_4)
	v_add_f32_e32 v20, v22, v23
	ds_load_2addr_b64 v[22:25], v9 offset0:224 offset1:240
	v_fma_f32 v32, v28, v14, -v32
	v_dual_fmac_f32 v27, v43, v14 :: v_dual_mul_f32 v36, v42, v17
	v_fmac_f32_e32 v15, v29, v14
	s_waitcnt lgkmcnt(0)
	s_delay_alu instid0(VALU_DEP_3) | instskip(NEXT) | instid1(VALU_DEP_3)
	v_add_f32_e32 v14, v26, v32
	v_dual_add_f32 v27, v34, v27 :: v_dual_fmac_f32 v36, v43, v16
	s_delay_alu instid0(VALU_DEP_3)
	v_dual_mul_f32 v34, v29, v17 :: v_dual_add_f32 v15, v19, v15
	s_barrier
	buffer_gl0_inv
	v_mul_f32_e32 v26, v45, v23
	v_add_f32_e32 v21, v33, v21
	v_mul_f32_e32 v33, v43, v17
	v_mul_f32_e32 v17, v28, v17
	;; [unrolled: 1-line block ×3, first 2 shown]
	s_delay_alu instid0(VALU_DEP_3) | instskip(NEXT) | instid1(VALU_DEP_3)
	v_fma_f32 v33, v42, v16, -v33
	v_fmac_f32_e32 v17, v29, v16
	s_delay_alu instid0(VALU_DEP_3) | instskip(NEXT) | instid1(VALU_DEP_3)
	v_fmac_f32_e32 v19, v45, v24
	v_add_f32_e32 v33, v35, v33
	v_add_f32_e32 v35, v18, v36
	v_fma_f32 v18, v28, v16, -v34
	v_fma_f32 v16, v44, v22, -v26
	v_mul_f32_e32 v28, v44, v23
	v_dual_add_f32 v26, v21, v17 :: v_dual_mul_f32 v17, v30, v23
	s_delay_alu instid0(VALU_DEP_4) | instskip(NEXT) | instid1(VALU_DEP_4)
	v_dual_add_f32 v29, v20, v18 :: v_dual_mul_f32 v18, v45, v25
	v_add_f32_e32 v20, v5, v16
	v_mul_f32_e32 v16, v31, v23
	v_mul_f32_e32 v23, v31, v25
	;; [unrolled: 1-line block ×3, first 2 shown]
	v_fma_f32 v5, v44, v24, -v18
	v_fmac_f32_e32 v28, v45, v22
	v_fmac_f32_e32 v17, v31, v22
	v_add_f32_e32 v19, v35, v19
	s_delay_alu instid0(VALU_DEP_4)
	v_dual_fmac_f32 v25, v31, v24 :: v_dual_add_f32 v18, v33, v5
	v_fma_f32 v5, v30, v22, -v16
	v_fma_f32 v22, v30, v24, -v23
	v_add_f32_e32 v21, v27, v28
	v_add_f32_e32 v17, v15, v17
	;; [unrolled: 1-line block ×5, first 2 shown]
	s_cbranch_scc1 .LBB841_11
.LBB841_3:                              ; =>This Inner Loop Header: Depth=1
	v_add_nc_u32_e32 v5, s19, v11
	s_delay_alu instid0(VALU_DEP_1) | instskip(SKIP_1) | instid1(SALU_CYCLE_1)
	v_cmp_le_i32_e32 vcc_lo, s17, v5
	s_or_b32 s10, s3, vcc_lo
	s_and_saveexec_b32 s11, s10
	s_delay_alu instid0(SALU_CYCLE_1)
	s_xor_b32 s10, exec_lo, s11
	s_cbranch_execz .LBB841_5
; %bb.4:                                ;   in Loop: Header=BB841_3 Depth=1
	v_mov_b32_e32 v5, v4
	ds_store_b64 v12, v[4:5]
.LBB841_5:                              ;   in Loop: Header=BB841_3 Depth=1
	s_and_not1_saveexec_b32 s10, s10
	s_cbranch_execz .LBB841_7
; %bb.6:                                ;   in Loop: Header=BB841_3 Depth=1
	global_load_b64 v[22:23], v[0:1], off
	s_waitcnt vmcnt(0)
	ds_store_b64 v12, v[22:23]
.LBB841_7:                              ;   in Loop: Header=BB841_3 Depth=1
	s_or_b32 exec_lo, exec_lo, s10
	v_add_nc_u32_e32 v5, s19, v8
	s_delay_alu instid0(VALU_DEP_1) | instskip(SKIP_1) | instid1(SALU_CYCLE_1)
	v_cmp_le_i32_e32 vcc_lo, s17, v5
	s_or_b32 s10, vcc_lo, s2
	s_and_saveexec_b32 s11, s10
	s_delay_alu instid0(SALU_CYCLE_1)
	s_xor_b32 s10, exec_lo, s11
	s_cbranch_execz .LBB841_9
; %bb.8:                                ;   in Loop: Header=BB841_3 Depth=1
	v_mov_b32_e32 v5, v4
	ds_store_b64 v13, v[4:5]
.LBB841_9:                              ;   in Loop: Header=BB841_3 Depth=1
	s_and_not1_saveexec_b32 s10, s10
	s_cbranch_execz .LBB841_2
; %bb.10:                               ;   in Loop: Header=BB841_3 Depth=1
	global_load_b64 v[22:23], v[2:3], off
	s_waitcnt vmcnt(0)
	ds_store_b64 v13, v[22:23]
	s_branch .LBB841_2
.LBB841_11:
	s_load_b32 s2, s[0:1], 0x50
	v_add_nc_u32_e32 v5, s13, v7
	v_add_nc_u32_e32 v0, s12, v6
	s_delay_alu instid0(VALU_DEP_2) | instskip(NEXT) | instid1(VALU_DEP_2)
	v_cmp_gt_i32_e32 vcc_lo, s16, v5
	v_cmp_le_i32_e64 s0, v0, v5
	s_delay_alu instid0(VALU_DEP_1) | instskip(SKIP_2) | instid1(VALU_DEP_1)
	s_and_b32 s0, vcc_lo, s0
	s_waitcnt lgkmcnt(0)
	v_mad_i64_i32 v[1:2], null, v5, s2, 0
	v_lshlrev_b64 v[1:2], 3, v[1:2]
	s_delay_alu instid0(VALU_DEP_1) | instskip(NEXT) | instid1(VALU_DEP_1)
	v_add_co_u32 v4, s1, s6, v1
	v_add_co_ci_u32_e64 v6, s1, s7, v2, s1
	s_and_saveexec_b32 s1, s0
	s_cbranch_execz .LBB841_14
; %bb.12:
	v_ashrrev_i32_e32 v1, 31, v0
	s_delay_alu instid0(VALU_DEP_1) | instskip(NEXT) | instid1(VALU_DEP_1)
	v_lshlrev_b64 v[1:2], 3, v[0:1]
	v_add_co_u32 v1, s0, v4, v1
	s_delay_alu instid0(VALU_DEP_1)
	v_add_co_ci_u32_e64 v2, s0, v6, v2, s0
	v_cmp_eq_u32_e64 s0, v5, v0
	global_load_b64 v[7:8], v[1:2], off
	v_mul_f32_e32 v3, s9, v21
	s_waitcnt vmcnt(0)
	v_dual_mul_f32 v9, s8, v21 :: v_dual_mul_f32 v10, s5, v8
	v_mul_f32_e32 v8, s4, v8
	s_delay_alu instid0(VALU_DEP_3) | instskip(NEXT) | instid1(VALU_DEP_3)
	v_fma_f32 v3, v20, s8, -v3
	v_fmac_f32_e32 v9, s9, v20
	s_delay_alu instid0(VALU_DEP_4) | instskip(NEXT) | instid1(VALU_DEP_1)
	v_fma_f32 v10, v7, s4, -v10
	v_dual_fmac_f32 v8, s5, v7 :: v_dual_add_f32 v7, v3, v10
	s_delay_alu instid0(VALU_DEP_1)
	v_add_f32_e32 v8, v9, v8
	global_store_b64 v[1:2], v[7:8], off
	s_and_b32 exec_lo, exec_lo, s0
	s_cbranch_execz .LBB841_14
; %bb.13:
	v_mov_b32_e32 v3, 0
	global_store_b32 v[1:2], v3, off offset:4
.LBB841_14:
	s_or_b32 exec_lo, exec_lo, s1
	v_add_nc_u32_e32 v2, 16, v0
	s_delay_alu instid0(VALU_DEP_1) | instskip(NEXT) | instid1(VALU_DEP_1)
	v_cmp_le_i32_e64 s0, v2, v5
	s_and_b32 s1, vcc_lo, s0
	s_delay_alu instid0(SALU_CYCLE_1)
	s_and_saveexec_b32 s0, s1
	s_cbranch_execz .LBB841_17
; %bb.15:
	v_ashrrev_i32_e32 v3, 31, v2
	s_delay_alu instid0(VALU_DEP_1) | instskip(NEXT) | instid1(VALU_DEP_1)
	v_lshlrev_b64 v[7:8], 3, v[2:3]
	v_add_co_u32 v3, vcc_lo, v4, v7
	s_delay_alu instid0(VALU_DEP_2) | instskip(SKIP_4) | instid1(VALU_DEP_1)
	v_add_co_ci_u32_e32 v4, vcc_lo, v6, v8, vcc_lo
	v_cmp_eq_u32_e32 vcc_lo, v5, v2
	global_load_b64 v[6:7], v[3:4], off
	s_waitcnt vmcnt(0)
	v_mul_f32_e32 v9, s5, v7
	v_fma_f32 v9, v6, s4, -v9
	v_mul_f32_e32 v7, s4, v7
	s_delay_alu instid0(VALU_DEP_1) | instskip(NEXT) | instid1(VALU_DEP_1)
	v_dual_mul_f32 v8, s8, v19 :: v_dual_fmac_f32 v7, s5, v6
	v_dual_mul_f32 v1, s9, v19 :: v_dual_fmac_f32 v8, s9, v18
	s_delay_alu instid0(VALU_DEP_1) | instskip(NEXT) | instid1(VALU_DEP_1)
	v_fma_f32 v1, v18, s8, -v1
	v_dual_add_f32 v7, v8, v7 :: v_dual_add_f32 v6, v1, v9
	global_store_b64 v[3:4], v[6:7], off
	s_and_b32 exec_lo, exec_lo, vcc_lo
	s_cbranch_execz .LBB841_17
; %bb.16:
	v_mov_b32_e32 v1, 0
	global_store_b32 v[3:4], v1, off offset:4
.LBB841_17:
	s_or_b32 exec_lo, exec_lo, s0
	v_add_nc_u32_e32 v8, 16, v5
	s_delay_alu instid0(VALU_DEP_1) | instskip(SKIP_2) | instid1(VALU_DEP_1)
	v_mad_i64_i32 v[3:4], null, v8, s2, 0
	v_cmp_gt_i32_e32 vcc_lo, s16, v8
	v_cmp_le_i32_e64 s0, v0, v8
	s_and_b32 s0, vcc_lo, s0
	s_delay_alu instid0(VALU_DEP_3) | instskip(NEXT) | instid1(VALU_DEP_1)
	v_lshlrev_b64 v[3:4], 3, v[3:4]
	v_add_co_u32 v6, s1, s6, v3
	s_delay_alu instid0(VALU_DEP_1)
	v_add_co_ci_u32_e64 v7, s1, s7, v4, s1
	s_and_saveexec_b32 s1, s0
	s_cbranch_execz .LBB841_20
; %bb.18:
	v_ashrrev_i32_e32 v1, 31, v0
	s_delay_alu instid0(VALU_DEP_1) | instskip(NEXT) | instid1(VALU_DEP_1)
	v_lshlrev_b64 v[3:4], 3, v[0:1]
	v_add_co_u32 v3, s0, v6, v3
	s_delay_alu instid0(VALU_DEP_1)
	v_add_co_ci_u32_e64 v4, s0, v7, v4, s0
	v_cmp_eq_u32_e64 s0, v8, v0
	global_load_b64 v[9:10], v[3:4], off
	v_mul_f32_e32 v1, s9, v17
	s_waitcnt vmcnt(0)
	v_dual_mul_f32 v11, s8, v17 :: v_dual_mul_f32 v12, s5, v10
	v_mul_f32_e32 v10, s4, v10
	s_delay_alu instid0(VALU_DEP_3) | instskip(NEXT) | instid1(VALU_DEP_3)
	v_fma_f32 v1, v16, s8, -v1
	v_fmac_f32_e32 v11, s9, v16
	s_delay_alu instid0(VALU_DEP_4) | instskip(NEXT) | instid1(VALU_DEP_1)
	v_fma_f32 v12, v9, s4, -v12
	v_dual_fmac_f32 v10, s5, v9 :: v_dual_add_f32 v9, v1, v12
	s_delay_alu instid0(VALU_DEP_1)
	v_add_f32_e32 v10, v11, v10
	global_store_b64 v[3:4], v[9:10], off
	s_and_b32 exec_lo, exec_lo, s0
	s_cbranch_execz .LBB841_20
; %bb.19:
	v_mov_b32_e32 v1, 0
	global_store_b32 v[3:4], v1, off offset:4
.LBB841_20:
	s_or_b32 exec_lo, exec_lo, s1
	v_cmp_le_i32_e64 s0, v2, v8
	s_delay_alu instid0(VALU_DEP_1) | instskip(NEXT) | instid1(SALU_CYCLE_1)
	s_and_b32 s0, vcc_lo, s0
	s_and_saveexec_b32 s1, s0
	s_cbranch_execz .LBB841_23
; %bb.21:
	v_ashrrev_i32_e32 v3, 31, v2
	s_delay_alu instid0(VALU_DEP_1) | instskip(NEXT) | instid1(VALU_DEP_1)
	v_lshlrev_b64 v[1:2], 3, v[2:3]
	v_add_co_u32 v1, vcc_lo, v6, v1
	s_delay_alu instid0(VALU_DEP_2) | instskip(SKIP_4) | instid1(VALU_DEP_1)
	v_add_co_ci_u32_e32 v2, vcc_lo, v7, v2, vcc_lo
	v_cmp_eq_u32_e32 vcc_lo, v5, v0
	global_load_b64 v[3:4], v[1:2], off
	s_waitcnt vmcnt(0)
	v_dual_mul_f32 v7, s8, v15 :: v_dual_mul_f32 v8, s5, v4
	v_dual_mul_f32 v6, s9, v15 :: v_dual_fmac_f32 v7, s9, v14
	v_mul_f32_e32 v4, s4, v4
	s_delay_alu instid0(VALU_DEP_3) | instskip(NEXT) | instid1(VALU_DEP_3)
	v_fma_f32 v8, v3, s4, -v8
	v_fma_f32 v6, v14, s8, -v6
	s_delay_alu instid0(VALU_DEP_1) | instskip(NEXT) | instid1(VALU_DEP_1)
	v_dual_fmac_f32 v4, s5, v3 :: v_dual_add_f32 v3, v6, v8
	v_add_f32_e32 v4, v7, v4
	global_store_b64 v[1:2], v[3:4], off
	s_and_b32 exec_lo, exec_lo, vcc_lo
	s_cbranch_execz .LBB841_23
; %bb.22:
	v_mov_b32_e32 v0, 0
	global_store_b32 v[1:2], v0, off offset:4
.LBB841_23:
	s_nop 0
	s_sendmsg sendmsg(MSG_DEALLOC_VGPRS)
	s_endpgm
	.section	.rodata,"a",@progbits
	.p2align	6, 0x0
	.amdhsa_kernel _ZL34rocblas_syrkx_herkx_general_kernelIi19rocblas_complex_numIfELi16ELi32ELi8ELb0ELb1ELc84ELc85EKPKS1_KPS1_EviT_T0_PT8_S7_lSA_S7_lS8_PT9_S7_li
		.amdhsa_group_segment_fixed_size 4096
		.amdhsa_private_segment_fixed_size 0
		.amdhsa_kernarg_size 100
		.amdhsa_user_sgpr_count 13
		.amdhsa_user_sgpr_dispatch_ptr 0
		.amdhsa_user_sgpr_queue_ptr 0
		.amdhsa_user_sgpr_kernarg_segment_ptr 1
		.amdhsa_user_sgpr_dispatch_id 0
		.amdhsa_user_sgpr_private_segment_size 0
		.amdhsa_wavefront_size32 1
		.amdhsa_uses_dynamic_stack 0
		.amdhsa_enable_private_segment 0
		.amdhsa_system_sgpr_workgroup_id_x 1
		.amdhsa_system_sgpr_workgroup_id_y 1
		.amdhsa_system_sgpr_workgroup_id_z 1
		.amdhsa_system_sgpr_workgroup_info 0
		.amdhsa_system_vgpr_workitem_id 1
		.amdhsa_next_free_vgpr 59
		.amdhsa_next_free_sgpr 21
		.amdhsa_reserve_vcc 1
		.amdhsa_float_round_mode_32 0
		.amdhsa_float_round_mode_16_64 0
		.amdhsa_float_denorm_mode_32 3
		.amdhsa_float_denorm_mode_16_64 3
		.amdhsa_dx10_clamp 1
		.amdhsa_ieee_mode 1
		.amdhsa_fp16_overflow 0
		.amdhsa_workgroup_processor_mode 1
		.amdhsa_memory_ordered 1
		.amdhsa_forward_progress 0
		.amdhsa_shared_vgpr_count 0
		.amdhsa_exception_fp_ieee_invalid_op 0
		.amdhsa_exception_fp_denorm_src 0
		.amdhsa_exception_fp_ieee_div_zero 0
		.amdhsa_exception_fp_ieee_overflow 0
		.amdhsa_exception_fp_ieee_underflow 0
		.amdhsa_exception_fp_ieee_inexact 0
		.amdhsa_exception_int_div_zero 0
	.end_amdhsa_kernel
	.section	.text._ZL34rocblas_syrkx_herkx_general_kernelIi19rocblas_complex_numIfELi16ELi32ELi8ELb0ELb1ELc84ELc85EKPKS1_KPS1_EviT_T0_PT8_S7_lSA_S7_lS8_PT9_S7_li,"axG",@progbits,_ZL34rocblas_syrkx_herkx_general_kernelIi19rocblas_complex_numIfELi16ELi32ELi8ELb0ELb1ELc84ELc85EKPKS1_KPS1_EviT_T0_PT8_S7_lSA_S7_lS8_PT9_S7_li,comdat
.Lfunc_end841:
	.size	_ZL34rocblas_syrkx_herkx_general_kernelIi19rocblas_complex_numIfELi16ELi32ELi8ELb0ELb1ELc84ELc85EKPKS1_KPS1_EviT_T0_PT8_S7_lSA_S7_lS8_PT9_S7_li, .Lfunc_end841-_ZL34rocblas_syrkx_herkx_general_kernelIi19rocblas_complex_numIfELi16ELi32ELi8ELb0ELb1ELc84ELc85EKPKS1_KPS1_EviT_T0_PT8_S7_lSA_S7_lS8_PT9_S7_li
                                        ; -- End function
	.section	.AMDGPU.csdata,"",@progbits
; Kernel info:
; codeLenInByte = 2672
; NumSgprs: 23
; NumVgprs: 59
; ScratchSize: 0
; MemoryBound: 1
; FloatMode: 240
; IeeeMode: 1
; LDSByteSize: 4096 bytes/workgroup (compile time only)
; SGPRBlocks: 2
; VGPRBlocks: 7
; NumSGPRsForWavesPerEU: 23
; NumVGPRsForWavesPerEU: 59
; Occupancy: 16
; WaveLimiterHint : 1
; COMPUTE_PGM_RSRC2:SCRATCH_EN: 0
; COMPUTE_PGM_RSRC2:USER_SGPR: 13
; COMPUTE_PGM_RSRC2:TRAP_HANDLER: 0
; COMPUTE_PGM_RSRC2:TGID_X_EN: 1
; COMPUTE_PGM_RSRC2:TGID_Y_EN: 1
; COMPUTE_PGM_RSRC2:TGID_Z_EN: 1
; COMPUTE_PGM_RSRC2:TIDIG_COMP_CNT: 1
	.section	.text._ZL34rocblas_syrkx_herkx_general_kernelIi19rocblas_complex_numIfELi16ELi32ELi8ELb0ELb1ELc67ELc85EKPKS1_KPS1_EviT_T0_PT8_S7_lSA_S7_lS8_PT9_S7_li,"axG",@progbits,_ZL34rocblas_syrkx_herkx_general_kernelIi19rocblas_complex_numIfELi16ELi32ELi8ELb0ELb1ELc67ELc85EKPKS1_KPS1_EviT_T0_PT8_S7_lSA_S7_lS8_PT9_S7_li,comdat
	.globl	_ZL34rocblas_syrkx_herkx_general_kernelIi19rocblas_complex_numIfELi16ELi32ELi8ELb0ELb1ELc67ELc85EKPKS1_KPS1_EviT_T0_PT8_S7_lSA_S7_lS8_PT9_S7_li ; -- Begin function _ZL34rocblas_syrkx_herkx_general_kernelIi19rocblas_complex_numIfELi16ELi32ELi8ELb0ELb1ELc67ELc85EKPKS1_KPS1_EviT_T0_PT8_S7_lSA_S7_lS8_PT9_S7_li
	.p2align	8
	.type	_ZL34rocblas_syrkx_herkx_general_kernelIi19rocblas_complex_numIfELi16ELi32ELi8ELb0ELb1ELc67ELc85EKPKS1_KPS1_EviT_T0_PT8_S7_lSA_S7_lS8_PT9_S7_li,@function
_ZL34rocblas_syrkx_herkx_general_kernelIi19rocblas_complex_numIfELi16ELi32ELi8ELb0ELb1ELc67ELc85EKPKS1_KPS1_EviT_T0_PT8_S7_lSA_S7_lS8_PT9_S7_li: ; @_ZL34rocblas_syrkx_herkx_general_kernelIi19rocblas_complex_numIfELi16ELi32ELi8ELb0ELb1ELc67ELc85EKPKS1_KPS1_EviT_T0_PT8_S7_lSA_S7_lS8_PT9_S7_li
; %bb.0:
	s_clause 0x1
	s_load_b128 s[4:7], s[0:1], 0x40
	s_load_b64 s[16:17], s[0:1], 0x0
	s_mov_b32 s18, s15
	s_mov_b32 s19, 0
	v_dual_mov_b32 v21, 0 :: v_dual_and_b32 v6, 0x3ff, v0
	s_lshl_b64 s[2:3], s[18:19], 3
	v_bfe_u32 v7, v0, 10, 10
	v_dual_mov_b32 v22, 0 :: v_dual_mov_b32 v19, 0
	v_dual_mov_b32 v20, 0 :: v_dual_mov_b32 v17, 0
	;; [unrolled: 1-line block ×3, first 2 shown]
	v_mov_b32_e32 v16, 0
	s_waitcnt lgkmcnt(0)
	s_add_u32 s6, s6, s2
	s_addc_u32 s7, s7, s3
	s_load_b128 s[8:11], s[0:1], 0x8
	s_load_b64 s[6:7], s[6:7], 0x0
	s_lshl_b32 s12, s13, 5
	s_lshl_b32 s13, s14, 5
	s_cmp_lt_i32 s17, 1
	s_cbranch_scc1 .LBB842_11
; %bb.1:
	s_clause 0x1
	s_load_b64 s[14:15], s[0:1], 0x28
	s_load_b32 s18, s[0:1], 0x18
	v_lshl_add_u32 v0, v7, 4, v6
	s_load_b32 s20, s[0:1], 0x30
	v_and_b32_e32 v8, 7, v6
	v_lshlrev_b32_e32 v9, 3, v6
	s_delay_alu instid0(VALU_DEP_3) | instskip(SKIP_3) | instid1(VALU_DEP_4)
	v_dual_mov_b32 v17, 0 :: v_dual_and_b32 v2, 31, v0
	v_lshrrev_b32_e32 v11, 5, v0
	v_lshrrev_b32_e32 v3, 3, v0
	v_lshl_add_u32 v10, v7, 6, 0x800
	v_dual_mov_b32 v18, 0 :: v_dual_add_nc_u32 v5, s12, v2
	s_delay_alu instid0(VALU_DEP_4) | instskip(NEXT) | instid1(VALU_DEP_4)
	v_lshlrev_b32_e32 v15, 3, v11
	v_dual_mov_b32 v16, 0 :: v_dual_add_nc_u32 v13, s13, v3
	v_dual_mov_b32 v22, 0 :: v_dual_mov_b32 v21, 0
	v_dual_mov_b32 v19, 0 :: v_dual_mov_b32 v20, 0
	s_waitcnt lgkmcnt(0)
	s_add_u32 s14, s14, s2
	v_mad_i64_i32 v[0:1], null, s18, v5, 0
	s_addc_u32 s15, s15, s3
	s_add_u32 s2, s10, s2
	s_addc_u32 s3, s11, s3
	v_or_b32_e32 v5, s12, v2
	s_load_b64 s[10:11], s[2:3], 0x0
	v_lshlrev_b32_e32 v2, 3, v2
	s_delay_alu instid0(VALU_DEP_3) | instskip(SKIP_4) | instid1(VALU_DEP_4)
	v_lshlrev_b64 v[0:1], 3, v[0:1]
	s_load_b64 s[14:15], s[14:15], 0x0
	v_cmp_gt_i32_e32 vcc_lo, s16, v5
	v_cmp_gt_i32_e64 s2, s16, v13
	v_lshl_or_b32 v12, v11, 8, v2
	v_add_co_u32 v5, s3, v0, v15
	v_dual_mov_b32 v15, 0 :: v_dual_lshlrev_b32 v4, 3, v8
	s_delay_alu instid0(VALU_DEP_4) | instskip(NEXT) | instid1(VALU_DEP_1)
	s_xor_b32 s2, s2, -1
	v_lshl_or_b32 v14, v3, 6, v4
	v_mad_i64_i32 v[2:3], null, s20, v13, 0
	s_delay_alu instid0(VALU_DEP_2) | instskip(SKIP_1) | instid1(VALU_DEP_3)
	v_add_nc_u32_e32 v13, 0x800, v14
	v_add_co_ci_u32_e64 v14, s3, 0, v1, s3
	v_lshlrev_b64 v[0:1], 3, v[2:3]
	s_waitcnt lgkmcnt(0)
	v_add_co_u32 v2, s3, v5, s10
	s_delay_alu instid0(VALU_DEP_1) | instskip(SKIP_1) | instid1(VALU_DEP_4)
	v_add_co_ci_u32_e64 v3, s3, s11, v14, s3
	v_mov_b32_e32 v14, 0
	v_add_co_u32 v4, s3, v0, v4
	s_delay_alu instid0(VALU_DEP_1) | instskip(SKIP_1) | instid1(VALU_DEP_1)
	v_add_co_ci_u32_e64 v5, s3, 0, v1, s3
	v_add_co_u32 v0, s3, v2, 4
	v_add_co_ci_u32_e64 v1, s3, 0, v3, s3
	s_delay_alu instid0(VALU_DEP_4) | instskip(NEXT) | instid1(VALU_DEP_1)
	v_add_co_u32 v2, s3, s14, v4
	v_add_co_ci_u32_e64 v3, s3, s15, v5, s3
	v_mov_b32_e32 v4, 0
	s_xor_b32 s3, vcc_lo, -1
	s_branch .LBB842_3
.LBB842_2:                              ;   in Loop: Header=BB842_3 Depth=1
	s_or_b32 exec_lo, exec_lo, s10
	s_waitcnt lgkmcnt(0)
	s_barrier
	buffer_gl0_inv
	ds_load_2addr_b64 v[23:26], v9 offset1:16
	ds_load_b128 v[27:30], v10
	ds_load_b128 v[31:34], v10 offset:1024
	ds_load_b128 v[35:38], v10 offset:16
	;; [unrolled: 1-line block ×4, first 2 shown]
	ds_load_2addr_b64 v[47:50], v9 offset0:32 offset1:48
	ds_load_b128 v[51:54], v10 offset:1040
	v_add_co_u32 v0, vcc_lo, v0, 64
	v_add_co_ci_u32_e32 v1, vcc_lo, 0, v1, vcc_lo
	v_add_co_u32 v2, vcc_lo, v2, 64
	v_add_co_ci_u32_e32 v3, vcc_lo, 0, v3, vcc_lo
	s_add_i32 s19, s19, 8
	s_delay_alu instid0(SALU_CYCLE_1)
	s_cmp_ge_i32 s19, s17
	s_waitcnt lgkmcnt(6)
	v_mul_f32_e32 v5, v28, v24
	v_dual_mul_f32 v55, v27, v24 :: v_dual_mul_f32 v56, v28, v26
	s_waitcnt lgkmcnt(5)
	v_dual_mul_f32 v57, v27, v26 :: v_dual_mul_f32 v58, v32, v24
	v_dual_mul_f32 v24, v31, v24 :: v_dual_mul_f32 v59, v32, v26
	v_mul_f32_e32 v26, v31, v26
	v_fma_f32 v5, v27, v23, -v5
	v_fmac_f32_e32 v55, v28, v23
	v_fma_f32 v27, v27, v25, -v56
	v_fmac_f32_e32 v57, v28, v25
	v_fma_f32 v28, v31, v23, -v58
	v_dual_fmac_f32 v24, v32, v23 :: v_dual_add_f32 v5, v21, v5
	v_fma_f32 v23, v31, v25, -v59
	v_fmac_f32_e32 v26, v32, v25
	s_delay_alu instid0(VALU_DEP_4)
	v_dual_add_f32 v28, v17, v28 :: v_dual_add_f32 v21, v22, v55
	v_dual_add_f32 v22, v19, v27 :: v_dual_add_f32 v27, v20, v57
	v_add_f32_e32 v24, v18, v24
	ds_load_2addr_b64 v[17:20], v9 offset0:64 offset1:80
	s_waitcnt lgkmcnt(2)
	v_dual_mul_f32 v31, v30, v48 :: v_dual_add_f32 v16, v16, v26
	v_dual_add_f32 v15, v15, v23 :: v_dual_mul_f32 v26, v29, v50
	v_mul_f32_e32 v23, v29, v48
	s_delay_alu instid0(VALU_DEP_3) | instskip(SKIP_1) | instid1(VALU_DEP_4)
	v_fma_f32 v25, v29, v47, -v31
	v_mul_f32_e32 v31, v30, v50
	v_fmac_f32_e32 v26, v30, v49
	s_delay_alu instid0(VALU_DEP_4) | instskip(NEXT) | instid1(VALU_DEP_2)
	v_fmac_f32_e32 v23, v30, v47
	v_dual_add_f32 v5, v5, v25 :: v_dual_add_f32 v26, v27, v26
	v_mul_f32_e32 v27, v33, v50
	s_waitcnt lgkmcnt(0)
	s_delay_alu instid0(VALU_DEP_1) | instskip(NEXT) | instid1(VALU_DEP_1)
	v_dual_fmac_f32 v27, v34, v49 :: v_dual_mul_f32 v30, v35, v18
	v_add_f32_e32 v27, v16, v27
	s_delay_alu instid0(VALU_DEP_2) | instskip(SKIP_4) | instid1(VALU_DEP_3)
	v_fmac_f32_e32 v30, v36, v17
	v_fma_f32 v25, v29, v49, -v31
	v_dual_add_f32 v31, v21, v23 :: v_dual_mul_f32 v16, v35, v20
	v_mul_f32_e32 v29, v34, v48
	v_mul_f32_e32 v23, v34, v50
	v_dual_add_f32 v25, v22, v25 :: v_dual_add_f32 v30, v31, v30
	s_delay_alu instid0(VALU_DEP_4) | instskip(NEXT) | instid1(VALU_DEP_4)
	v_fmac_f32_e32 v16, v36, v19
	v_fma_f32 v22, v33, v47, -v29
	v_mul_f32_e32 v21, v33, v48
	v_mul_f32_e32 v31, v52, v18
	s_delay_alu instid0(VALU_DEP_3) | instskip(SKIP_1) | instid1(VALU_DEP_3)
	v_add_f32_e32 v28, v28, v22
	v_fma_f32 v22, v33, v49, -v23
	v_fma_f32 v31, v51, v17, -v31
	s_delay_alu instid0(VALU_DEP_2) | instskip(SKIP_2) | instid1(VALU_DEP_2)
	v_add_f32_e32 v15, v15, v22
	v_mul_f32_e32 v23, v36, v18
	v_dual_mul_f32 v18, v51, v18 :: v_dual_fmac_f32 v21, v34, v47
	v_fma_f32 v32, v35, v17, -v23
	s_delay_alu instid0(VALU_DEP_2) | instskip(NEXT) | instid1(VALU_DEP_3)
	v_fmac_f32_e32 v18, v52, v17
	v_add_f32_e32 v29, v24, v21
	ds_load_2addr_b64 v[21:24], v9 offset0:96 offset1:112
	v_mul_f32_e32 v33, v36, v20
	v_add_f32_e32 v5, v5, v32
	v_add_f32_e32 v31, v28, v31
	s_delay_alu instid0(VALU_DEP_3) | instskip(NEXT) | instid1(VALU_DEP_1)
	v_fma_f32 v32, v35, v19, -v33
	v_add_f32_e32 v25, v25, v32
	v_mul_f32_e32 v32, v52, v20
	v_mul_f32_e32 v20, v51, v20
	s_delay_alu instid0(VALU_DEP_1) | instskip(SKIP_2) | instid1(VALU_DEP_2)
	v_fmac_f32_e32 v20, v52, v19
	s_waitcnt lgkmcnt(0)
	v_mul_f32_e32 v28, v38, v24
	v_add_f32_e32 v34, v27, v20
	v_mul_f32_e32 v20, v37, v24
	s_delay_alu instid0(VALU_DEP_3)
	v_fma_f32 v27, v37, v23, -v28
	v_add_f32_e32 v33, v26, v16
	v_fma_f32 v16, v51, v19, -v32
	v_mul_f32_e32 v26, v37, v22
	v_add_f32_e32 v29, v29, v18
	v_mul_f32_e32 v19, v38, v22
	v_fmac_f32_e32 v20, v38, v23
	v_add_f32_e32 v32, v15, v16
	ds_load_2addr_b64 v[15:18], v9 offset0:128 offset1:144
	v_fmac_f32_e32 v26, v38, v21
	s_delay_alu instid0(VALU_DEP_1) | instskip(SKIP_3) | instid1(VALU_DEP_2)
	v_add_f32_e32 v35, v30, v26
	v_mul_f32_e32 v30, v54, v24
	v_mul_f32_e32 v24, v53, v24
	v_fma_f32 v19, v37, v21, -v19
	v_fmac_f32_e32 v24, v54, v23
	s_delay_alu instid0(VALU_DEP_1) | instskip(SKIP_2) | instid1(VALU_DEP_1)
	v_dual_add_f32 v5, v5, v19 :: v_dual_add_f32 v24, v34, v24
	s_waitcnt lgkmcnt(0)
	v_mul_f32_e32 v34, v39, v18
	v_dual_mul_f32 v19, v54, v22 :: v_dual_fmac_f32 v34, v40, v17
	s_delay_alu instid0(VALU_DEP_1) | instskip(NEXT) | instid1(VALU_DEP_1)
	v_fma_f32 v19, v53, v21, -v19
	v_dual_mul_f32 v22, v53, v22 :: v_dual_add_f32 v37, v31, v19
	s_delay_alu instid0(VALU_DEP_1)
	v_fmac_f32_e32 v22, v54, v21
	v_add_f32_e32 v36, v25, v27
	ds_load_b128 v[25:28], v10 offset:1056
	v_add_f32_e32 v33, v33, v20
	v_fma_f32 v20, v53, v23, -v30
	v_dual_mul_f32 v19, v40, v16 :: v_dual_add_f32 v38, v29, v22
	v_dual_mul_f32 v47, v39, v16 :: v_dual_mul_f32 v30, v40, v18
	s_delay_alu instid0(VALU_DEP_3) | instskip(NEXT) | instid1(VALU_DEP_3)
	v_add_f32_e32 v23, v32, v20
	v_fma_f32 v29, v39, v15, -v19
	ds_load_2addr_b64 v[19:22], v9 offset0:160 offset1:176
	v_fmac_f32_e32 v47, v40, v15
	v_fma_f32 v39, v39, v17, -v30
	v_add_f32_e32 v5, v5, v29
	ds_load_b128 v[29:32], v10 offset:1072
	v_add_f32_e32 v36, v36, v39
	s_waitcnt lgkmcnt(2)
	v_mul_f32_e32 v48, v26, v16
	v_mul_f32_e32 v16, v25, v16
	v_dual_mul_f32 v40, v26, v18 :: v_dual_add_f32 v35, v35, v47
	v_add_f32_e32 v33, v33, v34
	s_delay_alu instid0(VALU_DEP_4) | instskip(NEXT) | instid1(VALU_DEP_4)
	v_fma_f32 v39, v25, v15, -v48
	v_fmac_f32_e32 v16, v26, v15
	v_mul_f32_e32 v34, v25, v18
	v_fma_f32 v15, v25, v17, -v40
	s_waitcnt lgkmcnt(1)
	v_dual_mul_f32 v18, v42, v20 :: v_dual_add_f32 v37, v37, v39
	v_mul_f32_e32 v39, v42, v22
	v_fmac_f32_e32 v34, v26, v17
	v_add_f32_e32 v25, v38, v16
	v_add_f32_e32 v23, v23, v15
	v_fma_f32 v38, v41, v19, -v18
	v_mul_f32_e32 v26, v41, v20
	ds_load_2addr_b64 v[15:18], v9 offset0:192 offset1:208
	v_add_f32_e32 v5, v5, v38
	v_add_f32_e32 v34, v24, v34
	v_mul_f32_e32 v24, v41, v22
	v_fma_f32 v38, v41, v21, -v39
	s_delay_alu instid0(VALU_DEP_2) | instskip(SKIP_1) | instid1(VALU_DEP_3)
	v_fmac_f32_e32 v24, v42, v21
	v_fmac_f32_e32 v26, v42, v19
	v_add_f32_e32 v36, v36, v38
	s_delay_alu instid0(VALU_DEP_2) | instskip(NEXT) | instid1(VALU_DEP_1)
	v_dual_add_f32 v35, v35, v26 :: v_dual_mul_f32 v26, v28, v20
	v_fma_f32 v26, v27, v19, -v26
	v_mul_f32_e32 v20, v27, v20
	s_delay_alu instid0(VALU_DEP_1) | instskip(SKIP_2) | instid1(VALU_DEP_1)
	v_dual_fmac_f32 v20, v28, v19 :: v_dual_add_f32 v19, v33, v24
	s_waitcnt lgkmcnt(0)
	v_mul_f32_e32 v33, v44, v16
	v_fma_f32 v33, v43, v15, -v33
	v_mul_f32_e32 v38, v28, v22
	s_delay_alu instid0(VALU_DEP_2) | instskip(NEXT) | instid1(VALU_DEP_2)
	v_dual_mul_f32 v22, v27, v22 :: v_dual_add_f32 v5, v5, v33
	v_fma_f32 v24, v27, v21, -v38
	v_add_f32_e32 v27, v37, v26
	v_mul_f32_e32 v37, v43, v18
	v_mul_f32_e32 v33, v30, v16
	s_delay_alu instid0(VALU_DEP_2)
	v_dual_add_f32 v20, v25, v20 :: v_dual_fmac_f32 v37, v44, v17
	v_dual_fmac_f32 v22, v28, v21 :: v_dual_add_f32 v21, v23, v24
	ds_load_2addr_b64 v[23:26], v9 offset0:224 offset1:240
	v_mul_f32_e32 v28, v43, v16
	v_mul_f32_e32 v16, v29, v16
	v_fma_f32 v33, v29, v15, -v33
	s_waitcnt lgkmcnt(0)
	s_barrier
	v_fmac_f32_e32 v28, v44, v15
	s_delay_alu instid0(VALU_DEP_2)
	v_dual_fmac_f32 v16, v30, v15 :: v_dual_add_f32 v15, v27, v33
	buffer_gl0_inv
	v_dual_add_f32 v28, v35, v28 :: v_dual_mul_f32 v35, v30, v18
	v_mul_f32_e32 v27, v46, v24
	v_add_f32_e32 v22, v34, v22
	v_mul_f32_e32 v34, v44, v18
	s_delay_alu instid0(VALU_DEP_1) | instskip(NEXT) | instid1(VALU_DEP_1)
	v_fma_f32 v34, v43, v17, -v34
	v_add_f32_e32 v34, v36, v34
	v_add_f32_e32 v36, v19, v37
	v_mul_f32_e32 v18, v29, v18
	v_fma_f32 v19, v29, v17, -v35
	s_delay_alu instid0(VALU_DEP_2) | instskip(NEXT) | instid1(VALU_DEP_2)
	v_dual_mul_f32 v29, v45, v24 :: v_dual_fmac_f32 v18, v30, v17
	v_add_f32_e32 v30, v21, v19
	v_fma_f32 v17, v45, v23, -v27
	v_mul_f32_e32 v19, v46, v26
	s_delay_alu instid0(VALU_DEP_4) | instskip(SKIP_1) | instid1(VALU_DEP_4)
	v_fmac_f32_e32 v29, v46, v23
	v_dual_add_f32 v27, v22, v18 :: v_dual_mul_f32 v18, v31, v24
	v_add_f32_e32 v21, v5, v17
	s_delay_alu instid0(VALU_DEP_4)
	v_fma_f32 v5, v45, v25, -v19
	v_mul_f32_e32 v17, v32, v24
	v_mul_f32_e32 v24, v32, v26
	v_fmac_f32_e32 v18, v32, v23
	v_add_f32_e32 v22, v28, v29
	v_add_f32_e32 v19, v34, v5
	v_fma_f32 v5, v31, v23, -v17
	v_fma_f32 v23, v31, v25, -v24
	v_add_f32_e32 v16, v20, v16
	v_mul_f32_e32 v20, v45, v26
	v_mul_f32_e32 v26, v31, v26
	v_add_f32_e32 v17, v15, v5
	s_delay_alu instid0(VALU_DEP_4) | instskip(NEXT) | instid1(VALU_DEP_4)
	v_dual_add_f32 v15, v30, v23 :: v_dual_add_f32 v18, v16, v18
	v_fmac_f32_e32 v20, v46, v25
	s_delay_alu instid0(VALU_DEP_4) | instskip(NEXT) | instid1(VALU_DEP_2)
	v_fmac_f32_e32 v26, v32, v25
	v_add_f32_e32 v20, v36, v20
	s_delay_alu instid0(VALU_DEP_2)
	v_add_f32_e32 v16, v27, v26
	s_cbranch_scc1 .LBB842_11
.LBB842_3:                              ; =>This Inner Loop Header: Depth=1
	v_add_nc_u32_e32 v5, s19, v11
                                        ; implicit-def: $sgpr11
	s_delay_alu instid0(VALU_DEP_1) | instskip(SKIP_1) | instid1(SALU_CYCLE_1)
	v_cmp_le_i32_e32 vcc_lo, s17, v5
	s_or_b32 s10, s3, vcc_lo
	s_and_saveexec_b32 s14, s10
	s_delay_alu instid0(SALU_CYCLE_1)
	s_xor_b32 s10, exec_lo, s14
	s_cbranch_execz .LBB842_5
; %bb.4:                                ;   in Loop: Header=BB842_3 Depth=1
	s_mov_b32 s11, 0
	ds_store_b32 v12, v14
.LBB842_5:                              ;   in Loop: Header=BB842_3 Depth=1
	s_or_saveexec_b32 s10, s10
	v_mov_b32_e32 v5, s11
	s_xor_b32 exec_lo, exec_lo, s10
	s_cbranch_execz .LBB842_7
; %bb.6:                                ;   in Loop: Header=BB842_3 Depth=1
	global_load_b64 v[23:24], v[0:1], off offset:-4
	s_waitcnt vmcnt(0)
	v_xor_b32_e32 v5, 0x80000000, v24
	ds_store_b32 v12, v23
.LBB842_7:                              ;   in Loop: Header=BB842_3 Depth=1
	s_or_b32 exec_lo, exec_lo, s10
	v_add_nc_u32_e32 v23, s19, v8
	ds_store_b32 v12, v5 offset:4
	v_cmp_le_i32_e32 vcc_lo, s17, v23
	s_or_b32 s10, vcc_lo, s2
	s_delay_alu instid0(SALU_CYCLE_1) | instskip(NEXT) | instid1(SALU_CYCLE_1)
	s_and_saveexec_b32 s11, s10
	s_xor_b32 s10, exec_lo, s11
	s_cbranch_execz .LBB842_9
; %bb.8:                                ;   in Loop: Header=BB842_3 Depth=1
	v_mov_b32_e32 v5, v4
	ds_store_b64 v13, v[4:5]
.LBB842_9:                              ;   in Loop: Header=BB842_3 Depth=1
	s_and_not1_saveexec_b32 s10, s10
	s_cbranch_execz .LBB842_2
; %bb.10:                               ;   in Loop: Header=BB842_3 Depth=1
	global_load_b64 v[23:24], v[2:3], off
	s_waitcnt vmcnt(0)
	ds_store_b64 v13, v[23:24]
	s_branch .LBB842_2
.LBB842_11:
	s_load_b32 s2, s[0:1], 0x50
	v_add_nc_u32_e32 v5, s13, v7
	v_add_nc_u32_e32 v0, s12, v6
	s_delay_alu instid0(VALU_DEP_2) | instskip(NEXT) | instid1(VALU_DEP_2)
	v_cmp_gt_i32_e32 vcc_lo, s16, v5
	v_cmp_le_i32_e64 s0, v0, v5
	s_delay_alu instid0(VALU_DEP_1) | instskip(SKIP_2) | instid1(VALU_DEP_1)
	s_and_b32 s0, vcc_lo, s0
	s_waitcnt lgkmcnt(0)
	v_mad_i64_i32 v[1:2], null, v5, s2, 0
	v_lshlrev_b64 v[1:2], 3, v[1:2]
	s_delay_alu instid0(VALU_DEP_1) | instskip(NEXT) | instid1(VALU_DEP_1)
	v_add_co_u32 v4, s1, s6, v1
	v_add_co_ci_u32_e64 v6, s1, s7, v2, s1
	s_and_saveexec_b32 s1, s0
	s_cbranch_execz .LBB842_14
; %bb.12:
	v_ashrrev_i32_e32 v1, 31, v0
	s_delay_alu instid0(VALU_DEP_1) | instskip(NEXT) | instid1(VALU_DEP_1)
	v_lshlrev_b64 v[1:2], 3, v[0:1]
	v_add_co_u32 v1, s0, v4, v1
	s_delay_alu instid0(VALU_DEP_1)
	v_add_co_ci_u32_e64 v2, s0, v6, v2, s0
	v_cmp_eq_u32_e64 s0, v5, v0
	global_load_b64 v[7:8], v[1:2], off
	v_mul_f32_e32 v3, s9, v22
	s_waitcnt vmcnt(0)
	v_dual_mul_f32 v9, s8, v22 :: v_dual_mul_f32 v10, s5, v8
	v_mul_f32_e32 v8, s4, v8
	s_delay_alu instid0(VALU_DEP_3) | instskip(NEXT) | instid1(VALU_DEP_3)
	v_fma_f32 v3, v21, s8, -v3
	v_fmac_f32_e32 v9, s9, v21
	s_delay_alu instid0(VALU_DEP_4) | instskip(NEXT) | instid1(VALU_DEP_1)
	v_fma_f32 v10, v7, s4, -v10
	v_dual_fmac_f32 v8, s5, v7 :: v_dual_add_f32 v7, v3, v10
	s_delay_alu instid0(VALU_DEP_1)
	v_add_f32_e32 v8, v9, v8
	global_store_b64 v[1:2], v[7:8], off
	s_and_b32 exec_lo, exec_lo, s0
	s_cbranch_execz .LBB842_14
; %bb.13:
	v_mov_b32_e32 v3, 0
	global_store_b32 v[1:2], v3, off offset:4
.LBB842_14:
	s_or_b32 exec_lo, exec_lo, s1
	v_add_nc_u32_e32 v2, 16, v0
	s_delay_alu instid0(VALU_DEP_1) | instskip(NEXT) | instid1(VALU_DEP_1)
	v_cmp_le_i32_e64 s0, v2, v5
	s_and_b32 s1, vcc_lo, s0
	s_delay_alu instid0(SALU_CYCLE_1)
	s_and_saveexec_b32 s0, s1
	s_cbranch_execz .LBB842_17
; %bb.15:
	v_ashrrev_i32_e32 v3, 31, v2
	s_delay_alu instid0(VALU_DEP_1) | instskip(NEXT) | instid1(VALU_DEP_1)
	v_lshlrev_b64 v[7:8], 3, v[2:3]
	v_add_co_u32 v3, vcc_lo, v4, v7
	s_delay_alu instid0(VALU_DEP_2) | instskip(SKIP_4) | instid1(VALU_DEP_1)
	v_add_co_ci_u32_e32 v4, vcc_lo, v6, v8, vcc_lo
	v_cmp_eq_u32_e32 vcc_lo, v5, v2
	global_load_b64 v[6:7], v[3:4], off
	s_waitcnt vmcnt(0)
	v_dual_mul_f32 v8, s8, v20 :: v_dual_mul_f32 v9, s5, v7
	v_dual_mul_f32 v1, s9, v20 :: v_dual_fmac_f32 v8, s9, v19
	s_delay_alu instid0(VALU_DEP_2) | instskip(NEXT) | instid1(VALU_DEP_2)
	v_fma_f32 v9, v6, s4, -v9
	v_fma_f32 v1, v19, s8, -v1
	v_mul_f32_e32 v7, s4, v7
	s_delay_alu instid0(VALU_DEP_1) | instskip(NEXT) | instid1(VALU_DEP_1)
	v_dual_fmac_f32 v7, s5, v6 :: v_dual_add_f32 v6, v1, v9
	v_add_f32_e32 v7, v8, v7
	global_store_b64 v[3:4], v[6:7], off
	s_and_b32 exec_lo, exec_lo, vcc_lo
	s_cbranch_execz .LBB842_17
; %bb.16:
	v_mov_b32_e32 v1, 0
	global_store_b32 v[3:4], v1, off offset:4
.LBB842_17:
	s_or_b32 exec_lo, exec_lo, s0
	v_add_nc_u32_e32 v8, 16, v5
	s_delay_alu instid0(VALU_DEP_1) | instskip(SKIP_2) | instid1(VALU_DEP_1)
	v_mad_i64_i32 v[3:4], null, v8, s2, 0
	v_cmp_gt_i32_e32 vcc_lo, s16, v8
	v_cmp_le_i32_e64 s0, v0, v8
	s_and_b32 s0, vcc_lo, s0
	s_delay_alu instid0(VALU_DEP_3) | instskip(NEXT) | instid1(VALU_DEP_1)
	v_lshlrev_b64 v[3:4], 3, v[3:4]
	v_add_co_u32 v6, s1, s6, v3
	s_delay_alu instid0(VALU_DEP_1)
	v_add_co_ci_u32_e64 v7, s1, s7, v4, s1
	s_and_saveexec_b32 s1, s0
	s_cbranch_execz .LBB842_20
; %bb.18:
	v_ashrrev_i32_e32 v1, 31, v0
	v_mul_f32_e32 v11, s8, v18
	s_delay_alu instid0(VALU_DEP_2) | instskip(NEXT) | instid1(VALU_DEP_2)
	v_lshlrev_b64 v[3:4], 3, v[0:1]
	v_fmac_f32_e32 v11, s9, v17
	s_delay_alu instid0(VALU_DEP_2) | instskip(NEXT) | instid1(VALU_DEP_1)
	v_add_co_u32 v3, s0, v6, v3
	v_add_co_ci_u32_e64 v4, s0, v7, v4, s0
	v_cmp_eq_u32_e64 s0, v8, v0
	global_load_b64 v[9:10], v[3:4], off
	s_waitcnt vmcnt(0)
	v_mul_f32_e32 v12, s5, v10
	s_delay_alu instid0(VALU_DEP_1) | instskip(SKIP_1) | instid1(VALU_DEP_1)
	v_fma_f32 v12, v9, s4, -v12
	v_mul_f32_e32 v10, s4, v10
	v_dual_mul_f32 v1, s9, v18 :: v_dual_fmac_f32 v10, s5, v9
	s_delay_alu instid0(VALU_DEP_1) | instskip(NEXT) | instid1(VALU_DEP_1)
	v_fma_f32 v1, v17, s8, -v1
	v_dual_add_f32 v10, v11, v10 :: v_dual_add_f32 v9, v1, v12
	global_store_b64 v[3:4], v[9:10], off
	s_and_b32 exec_lo, exec_lo, s0
	s_cbranch_execz .LBB842_20
; %bb.19:
	v_mov_b32_e32 v1, 0
	global_store_b32 v[3:4], v1, off offset:4
.LBB842_20:
	s_or_b32 exec_lo, exec_lo, s1
	v_cmp_le_i32_e64 s0, v2, v8
	s_delay_alu instid0(VALU_DEP_1) | instskip(NEXT) | instid1(SALU_CYCLE_1)
	s_and_b32 s0, vcc_lo, s0
	s_and_saveexec_b32 s1, s0
	s_cbranch_execz .LBB842_23
; %bb.21:
	v_ashrrev_i32_e32 v3, 31, v2
	s_delay_alu instid0(VALU_DEP_1) | instskip(NEXT) | instid1(VALU_DEP_1)
	v_lshlrev_b64 v[1:2], 3, v[2:3]
	v_add_co_u32 v1, vcc_lo, v6, v1
	s_delay_alu instid0(VALU_DEP_2)
	v_add_co_ci_u32_e32 v2, vcc_lo, v7, v2, vcc_lo
	v_cmp_eq_u32_e32 vcc_lo, v5, v0
	global_load_b64 v[3:4], v[1:2], off
	s_waitcnt vmcnt(0)
	v_mul_f32_e32 v8, s5, v4
	v_mul_f32_e32 v4, s4, v4
	;; [unrolled: 1-line block ×3, first 2 shown]
	s_delay_alu instid0(VALU_DEP_3) | instskip(NEXT) | instid1(VALU_DEP_3)
	v_fma_f32 v8, v3, s4, -v8
	v_fmac_f32_e32 v4, s5, v3
	s_delay_alu instid0(VALU_DEP_3) | instskip(NEXT) | instid1(VALU_DEP_1)
	v_dual_mul_f32 v6, s9, v16 :: v_dual_fmac_f32 v7, s9, v15
	v_fma_f32 v6, v15, s8, -v6
	s_delay_alu instid0(VALU_DEP_2) | instskip(NEXT) | instid1(VALU_DEP_2)
	v_add_f32_e32 v4, v7, v4
	v_add_f32_e32 v3, v6, v8
	global_store_b64 v[1:2], v[3:4], off
	s_and_b32 exec_lo, exec_lo, vcc_lo
	s_cbranch_execz .LBB842_23
; %bb.22:
	v_mov_b32_e32 v0, 0
	global_store_b32 v[1:2], v0, off offset:4
.LBB842_23:
	s_nop 0
	s_sendmsg sendmsg(MSG_DEALLOC_VGPRS)
	s_endpgm
	.section	.rodata,"a",@progbits
	.p2align	6, 0x0
	.amdhsa_kernel _ZL34rocblas_syrkx_herkx_general_kernelIi19rocblas_complex_numIfELi16ELi32ELi8ELb0ELb1ELc67ELc85EKPKS1_KPS1_EviT_T0_PT8_S7_lSA_S7_lS8_PT9_S7_li
		.amdhsa_group_segment_fixed_size 4096
		.amdhsa_private_segment_fixed_size 0
		.amdhsa_kernarg_size 100
		.amdhsa_user_sgpr_count 13
		.amdhsa_user_sgpr_dispatch_ptr 0
		.amdhsa_user_sgpr_queue_ptr 0
		.amdhsa_user_sgpr_kernarg_segment_ptr 1
		.amdhsa_user_sgpr_dispatch_id 0
		.amdhsa_user_sgpr_private_segment_size 0
		.amdhsa_wavefront_size32 1
		.amdhsa_uses_dynamic_stack 0
		.amdhsa_enable_private_segment 0
		.amdhsa_system_sgpr_workgroup_id_x 1
		.amdhsa_system_sgpr_workgroup_id_y 1
		.amdhsa_system_sgpr_workgroup_id_z 1
		.amdhsa_system_sgpr_workgroup_info 0
		.amdhsa_system_vgpr_workitem_id 1
		.amdhsa_next_free_vgpr 60
		.amdhsa_next_free_sgpr 21
		.amdhsa_reserve_vcc 1
		.amdhsa_float_round_mode_32 0
		.amdhsa_float_round_mode_16_64 0
		.amdhsa_float_denorm_mode_32 3
		.amdhsa_float_denorm_mode_16_64 3
		.amdhsa_dx10_clamp 1
		.amdhsa_ieee_mode 1
		.amdhsa_fp16_overflow 0
		.amdhsa_workgroup_processor_mode 1
		.amdhsa_memory_ordered 1
		.amdhsa_forward_progress 0
		.amdhsa_shared_vgpr_count 0
		.amdhsa_exception_fp_ieee_invalid_op 0
		.amdhsa_exception_fp_denorm_src 0
		.amdhsa_exception_fp_ieee_div_zero 0
		.amdhsa_exception_fp_ieee_overflow 0
		.amdhsa_exception_fp_ieee_underflow 0
		.amdhsa_exception_fp_ieee_inexact 0
		.amdhsa_exception_int_div_zero 0
	.end_amdhsa_kernel
	.section	.text._ZL34rocblas_syrkx_herkx_general_kernelIi19rocblas_complex_numIfELi16ELi32ELi8ELb0ELb1ELc67ELc85EKPKS1_KPS1_EviT_T0_PT8_S7_lSA_S7_lS8_PT9_S7_li,"axG",@progbits,_ZL34rocblas_syrkx_herkx_general_kernelIi19rocblas_complex_numIfELi16ELi32ELi8ELb0ELb1ELc67ELc85EKPKS1_KPS1_EviT_T0_PT8_S7_lSA_S7_lS8_PT9_S7_li,comdat
.Lfunc_end842:
	.size	_ZL34rocblas_syrkx_herkx_general_kernelIi19rocblas_complex_numIfELi16ELi32ELi8ELb0ELb1ELc67ELc85EKPKS1_KPS1_EviT_T0_PT8_S7_lSA_S7_lS8_PT9_S7_li, .Lfunc_end842-_ZL34rocblas_syrkx_herkx_general_kernelIi19rocblas_complex_numIfELi16ELi32ELi8ELb0ELb1ELc67ELc85EKPKS1_KPS1_EviT_T0_PT8_S7_lSA_S7_lS8_PT9_S7_li
                                        ; -- End function
	.section	.AMDGPU.csdata,"",@progbits
; Kernel info:
; codeLenInByte = 2712
; NumSgprs: 23
; NumVgprs: 60
; ScratchSize: 0
; MemoryBound: 1
; FloatMode: 240
; IeeeMode: 1
; LDSByteSize: 4096 bytes/workgroup (compile time only)
; SGPRBlocks: 2
; VGPRBlocks: 7
; NumSGPRsForWavesPerEU: 23
; NumVGPRsForWavesPerEU: 60
; Occupancy: 16
; WaveLimiterHint : 1
; COMPUTE_PGM_RSRC2:SCRATCH_EN: 0
; COMPUTE_PGM_RSRC2:USER_SGPR: 13
; COMPUTE_PGM_RSRC2:TRAP_HANDLER: 0
; COMPUTE_PGM_RSRC2:TGID_X_EN: 1
; COMPUTE_PGM_RSRC2:TGID_Y_EN: 1
; COMPUTE_PGM_RSRC2:TGID_Z_EN: 1
; COMPUTE_PGM_RSRC2:TIDIG_COMP_CNT: 1
	.section	.text._ZL34rocblas_syrkx_herkx_general_kernelIi19rocblas_complex_numIfELi16ELi32ELi8ELb0ELb1ELc78ELc85EKPKS1_KPS1_EviT_T0_PT8_S7_lSA_S7_lS8_PT9_S7_li,"axG",@progbits,_ZL34rocblas_syrkx_herkx_general_kernelIi19rocblas_complex_numIfELi16ELi32ELi8ELb0ELb1ELc78ELc85EKPKS1_KPS1_EviT_T0_PT8_S7_lSA_S7_lS8_PT9_S7_li,comdat
	.globl	_ZL34rocblas_syrkx_herkx_general_kernelIi19rocblas_complex_numIfELi16ELi32ELi8ELb0ELb1ELc78ELc85EKPKS1_KPS1_EviT_T0_PT8_S7_lSA_S7_lS8_PT9_S7_li ; -- Begin function _ZL34rocblas_syrkx_herkx_general_kernelIi19rocblas_complex_numIfELi16ELi32ELi8ELb0ELb1ELc78ELc85EKPKS1_KPS1_EviT_T0_PT8_S7_lSA_S7_lS8_PT9_S7_li
	.p2align	8
	.type	_ZL34rocblas_syrkx_herkx_general_kernelIi19rocblas_complex_numIfELi16ELi32ELi8ELb0ELb1ELc78ELc85EKPKS1_KPS1_EviT_T0_PT8_S7_lSA_S7_lS8_PT9_S7_li,@function
_ZL34rocblas_syrkx_herkx_general_kernelIi19rocblas_complex_numIfELi16ELi32ELi8ELb0ELb1ELc78ELc85EKPKS1_KPS1_EviT_T0_PT8_S7_lSA_S7_lS8_PT9_S7_li: ; @_ZL34rocblas_syrkx_herkx_general_kernelIi19rocblas_complex_numIfELi16ELi32ELi8ELb0ELb1ELc78ELc85EKPKS1_KPS1_EviT_T0_PT8_S7_lSA_S7_lS8_PT9_S7_li
; %bb.0:
	s_clause 0x1
	s_load_b128 s[4:7], s[0:1], 0x40
	s_load_b64 s[16:17], s[0:1], 0x0
	s_mov_b32 s18, s15
	s_mov_b32 s19, 0
	v_dual_mov_b32 v21, 0 :: v_dual_and_b32 v6, 0x3ff, v0
	s_lshl_b64 s[2:3], s[18:19], 3
	v_bfe_u32 v7, v0, 10, 10
	v_dual_mov_b32 v22, 0 :: v_dual_mov_b32 v19, 0
	v_dual_mov_b32 v20, 0 :: v_dual_mov_b32 v17, 0
	;; [unrolled: 1-line block ×3, first 2 shown]
	v_mov_b32_e32 v16, 0
	s_waitcnt lgkmcnt(0)
	s_add_u32 s6, s6, s2
	s_addc_u32 s7, s7, s3
	s_load_b128 s[8:11], s[0:1], 0x8
	s_load_b64 s[6:7], s[6:7], 0x0
	s_lshl_b32 s15, s13, 5
	s_lshl_b32 s14, s14, 5
	s_cmp_lt_i32 s17, 1
	s_cbranch_scc1 .LBB843_11
; %bb.1:
	s_clause 0x2
	s_load_b32 s20, s[0:1], 0x18
	s_load_b32 s12, s[0:1], 0x30
	s_load_b64 s[22:23], s[0:1], 0x28
	v_lshl_add_u32 v0, v7, 4, v6
	v_and_b32_e32 v8, 7, v6
	v_dual_mov_b32 v17, 0 :: v_dual_lshlrev_b32 v12, 3, v6
	v_lshl_add_u32 v13, v7, 6, 0x800
	s_delay_alu instid0(VALU_DEP_4) | instskip(SKIP_3) | instid1(VALU_DEP_4)
	v_and_b32_e32 v1, 31, v0
	v_lshrrev_b32_e32 v9, 5, v0
	v_lshrrev_b32_e32 v3, 3, v0
	v_dual_mov_b32 v21, 0 :: v_dual_lshlrev_b32 v4, 3, v8
	v_or_b32_e32 v5, s15, v1
	v_add_nc_u32_e32 v0, s15, v1
	s_delay_alu instid0(VALU_DEP_4) | instskip(NEXT) | instid1(VALU_DEP_4)
	v_add_nc_u32_e32 v2, s14, v3
	v_lshl_or_b32 v3, v3, 6, v4
	v_dual_mov_b32 v19, 0 :: v_dual_lshlrev_b32 v10, 3, v1
	v_cmp_gt_i32_e32 vcc_lo, s16, v5
	s_waitcnt lgkmcnt(0)
	s_ashr_i32 s21, s20, 31
	s_ashr_i32 s13, s12, 31
	s_add_u32 s22, s22, s2
	s_addc_u32 s23, s23, s3
	s_add_u32 s2, s10, s2
	s_addc_u32 s3, s11, s3
	v_mad_i64_i32 v[4:5], null, v9, s20, 0
	s_load_b64 s[10:11], s[22:23], 0x0
	s_load_b64 s[22:23], s[2:3], 0x0
	v_ashrrev_i32_e32 v1, 31, v0
	v_mad_i64_i32 v[14:15], null, s12, v8, 0
	v_add_nc_u32_e32 v11, 0x800, v3
	v_ashrrev_i32_e32 v3, 31, v2
	v_lshlrev_b64 v[4:5], 3, v[4:5]
	v_lshlrev_b64 v[0:1], 3, v[0:1]
	v_cmp_gt_i32_e64 s2, s16, v2
	v_lshl_or_b32 v10, v9, 8, v10
	v_lshlrev_b64 v[14:15], 3, v[14:15]
	v_lshlrev_b64 v[2:3], 3, v[2:3]
	v_mov_b32_e32 v16, 0
	v_add_co_u32 v0, s3, v4, v0
	s_delay_alu instid0(VALU_DEP_1) | instskip(NEXT) | instid1(VALU_DEP_4)
	v_add_co_ci_u32_e64 v1, s3, v5, v1, s3
	v_add_co_u32 v2, s3, v14, v2
	v_mov_b32_e32 v14, 0
	v_add_co_ci_u32_e64 v3, s3, v15, v3, s3
	s_waitcnt lgkmcnt(0)
	v_add_co_u32 v0, s3, s22, v0
	s_delay_alu instid0(VALU_DEP_1) | instskip(SKIP_1) | instid1(VALU_DEP_1)
	v_add_co_ci_u32_e64 v1, s3, s23, v1, s3
	v_add_co_u32 v2, s3, v2, s10
	v_add_co_ci_u32_e64 v3, s3, s11, v3, s3
	v_mov_b32_e32 v4, 0
	s_delay_alu instid0(VALU_DEP_3) | instskip(NEXT) | instid1(VALU_DEP_1)
	v_add_co_u32 v2, s3, v2, 4
	v_add_co_ci_u32_e64 v3, s3, 0, v3, s3
	v_dual_mov_b32 v15, 0 :: v_dual_mov_b32 v18, 0
	v_mov_b32_e32 v20, 0
	v_mov_b32_e32 v22, 0
	s_lshl_b64 s[10:11], s[20:21], 6
	s_lshl_b64 s[12:13], s[12:13], 6
	s_xor_b32 s3, vcc_lo, -1
	s_xor_b32 s2, s2, -1
	s_branch .LBB843_3
.LBB843_2:                              ;   in Loop: Header=BB843_3 Depth=1
	s_or_b32 exec_lo, exec_lo, s18
	ds_store_b32 v11, v5 offset:4
	s_waitcnt lgkmcnt(0)
	s_barrier
	buffer_gl0_inv
	ds_load_2addr_b64 v[23:26], v12 offset1:16
	ds_load_b128 v[27:30], v13
	ds_load_b128 v[31:34], v13 offset:1024
	ds_load_b128 v[35:38], v13 offset:16
	;; [unrolled: 1-line block ×4, first 2 shown]
	ds_load_2addr_b64 v[47:50], v12 offset0:32 offset1:48
	ds_load_b128 v[51:54], v13 offset:1040
	v_add_co_u32 v0, vcc_lo, v0, s10
	v_add_co_ci_u32_e32 v1, vcc_lo, s11, v1, vcc_lo
	v_add_co_u32 v2, vcc_lo, v2, s12
	v_add_co_ci_u32_e32 v3, vcc_lo, s13, v3, vcc_lo
	s_add_i32 s19, s19, 8
	s_delay_alu instid0(SALU_CYCLE_1)
	s_cmp_ge_i32 s19, s17
	s_waitcnt lgkmcnt(6)
	v_mul_f32_e32 v5, v28, v24
	v_dual_mul_f32 v55, v27, v24 :: v_dual_mul_f32 v56, v28, v26
	s_waitcnt lgkmcnt(5)
	v_dual_mul_f32 v57, v27, v26 :: v_dual_mul_f32 v58, v32, v24
	v_dual_mul_f32 v24, v31, v24 :: v_dual_mul_f32 v59, v32, v26
	v_mul_f32_e32 v26, v31, v26
	v_fma_f32 v5, v27, v23, -v5
	v_fmac_f32_e32 v55, v28, v23
	v_fma_f32 v27, v27, v25, -v56
	v_fmac_f32_e32 v57, v28, v25
	v_fma_f32 v28, v31, v23, -v58
	v_dual_fmac_f32 v24, v32, v23 :: v_dual_add_f32 v5, v21, v5
	v_fma_f32 v23, v31, v25, -v59
	v_fmac_f32_e32 v26, v32, v25
	s_delay_alu instid0(VALU_DEP_4)
	v_dual_add_f32 v28, v17, v28 :: v_dual_add_f32 v21, v22, v55
	v_dual_add_f32 v22, v19, v27 :: v_dual_add_f32 v27, v20, v57
	v_add_f32_e32 v24, v18, v24
	ds_load_2addr_b64 v[17:20], v12 offset0:64 offset1:80
	s_waitcnt lgkmcnt(2)
	v_dual_mul_f32 v31, v30, v48 :: v_dual_add_f32 v16, v16, v26
	v_dual_add_f32 v15, v15, v23 :: v_dual_mul_f32 v26, v29, v50
	v_mul_f32_e32 v23, v29, v48
	s_delay_alu instid0(VALU_DEP_3) | instskip(SKIP_1) | instid1(VALU_DEP_4)
	v_fma_f32 v25, v29, v47, -v31
	v_mul_f32_e32 v31, v30, v50
	v_fmac_f32_e32 v26, v30, v49
	s_delay_alu instid0(VALU_DEP_4) | instskip(NEXT) | instid1(VALU_DEP_2)
	v_fmac_f32_e32 v23, v30, v47
	v_dual_add_f32 v5, v5, v25 :: v_dual_add_f32 v26, v27, v26
	v_mul_f32_e32 v27, v33, v50
	s_waitcnt lgkmcnt(0)
	s_delay_alu instid0(VALU_DEP_1) | instskip(NEXT) | instid1(VALU_DEP_1)
	v_dual_fmac_f32 v27, v34, v49 :: v_dual_mul_f32 v30, v35, v18
	v_add_f32_e32 v27, v16, v27
	s_delay_alu instid0(VALU_DEP_2) | instskip(SKIP_4) | instid1(VALU_DEP_3)
	v_fmac_f32_e32 v30, v36, v17
	v_fma_f32 v25, v29, v49, -v31
	v_dual_add_f32 v31, v21, v23 :: v_dual_mul_f32 v16, v35, v20
	v_mul_f32_e32 v29, v34, v48
	v_mul_f32_e32 v23, v34, v50
	v_dual_add_f32 v25, v22, v25 :: v_dual_add_f32 v30, v31, v30
	s_delay_alu instid0(VALU_DEP_4) | instskip(NEXT) | instid1(VALU_DEP_4)
	v_fmac_f32_e32 v16, v36, v19
	v_fma_f32 v22, v33, v47, -v29
	v_mul_f32_e32 v21, v33, v48
	v_mul_f32_e32 v31, v52, v18
	s_delay_alu instid0(VALU_DEP_3) | instskip(SKIP_1) | instid1(VALU_DEP_3)
	v_add_f32_e32 v28, v28, v22
	v_fma_f32 v22, v33, v49, -v23
	v_fma_f32 v31, v51, v17, -v31
	s_delay_alu instid0(VALU_DEP_2) | instskip(SKIP_2) | instid1(VALU_DEP_2)
	v_add_f32_e32 v15, v15, v22
	v_mul_f32_e32 v23, v36, v18
	v_dual_mul_f32 v18, v51, v18 :: v_dual_fmac_f32 v21, v34, v47
	v_fma_f32 v32, v35, v17, -v23
	s_delay_alu instid0(VALU_DEP_2) | instskip(NEXT) | instid1(VALU_DEP_3)
	v_fmac_f32_e32 v18, v52, v17
	v_add_f32_e32 v29, v24, v21
	ds_load_2addr_b64 v[21:24], v12 offset0:96 offset1:112
	v_mul_f32_e32 v33, v36, v20
	v_add_f32_e32 v5, v5, v32
	v_add_f32_e32 v31, v28, v31
	s_delay_alu instid0(VALU_DEP_3) | instskip(NEXT) | instid1(VALU_DEP_1)
	v_fma_f32 v32, v35, v19, -v33
	v_add_f32_e32 v25, v25, v32
	v_mul_f32_e32 v32, v52, v20
	v_mul_f32_e32 v20, v51, v20
	s_delay_alu instid0(VALU_DEP_1) | instskip(SKIP_2) | instid1(VALU_DEP_2)
	v_fmac_f32_e32 v20, v52, v19
	s_waitcnt lgkmcnt(0)
	v_mul_f32_e32 v28, v38, v24
	v_add_f32_e32 v34, v27, v20
	v_mul_f32_e32 v20, v37, v24
	s_delay_alu instid0(VALU_DEP_3)
	v_fma_f32 v27, v37, v23, -v28
	v_add_f32_e32 v33, v26, v16
	v_fma_f32 v16, v51, v19, -v32
	v_mul_f32_e32 v26, v37, v22
	v_add_f32_e32 v29, v29, v18
	v_mul_f32_e32 v19, v38, v22
	v_fmac_f32_e32 v20, v38, v23
	v_add_f32_e32 v32, v15, v16
	ds_load_2addr_b64 v[15:18], v12 offset0:128 offset1:144
	v_fmac_f32_e32 v26, v38, v21
	s_delay_alu instid0(VALU_DEP_1) | instskip(SKIP_3) | instid1(VALU_DEP_2)
	v_add_f32_e32 v35, v30, v26
	v_mul_f32_e32 v30, v54, v24
	v_mul_f32_e32 v24, v53, v24
	v_fma_f32 v19, v37, v21, -v19
	v_fmac_f32_e32 v24, v54, v23
	s_delay_alu instid0(VALU_DEP_1) | instskip(SKIP_2) | instid1(VALU_DEP_1)
	v_dual_add_f32 v5, v5, v19 :: v_dual_add_f32 v24, v34, v24
	s_waitcnt lgkmcnt(0)
	v_mul_f32_e32 v34, v39, v18
	v_dual_mul_f32 v19, v54, v22 :: v_dual_fmac_f32 v34, v40, v17
	s_delay_alu instid0(VALU_DEP_1) | instskip(NEXT) | instid1(VALU_DEP_1)
	v_fma_f32 v19, v53, v21, -v19
	v_dual_mul_f32 v22, v53, v22 :: v_dual_add_f32 v37, v31, v19
	s_delay_alu instid0(VALU_DEP_1)
	v_fmac_f32_e32 v22, v54, v21
	v_add_f32_e32 v36, v25, v27
	ds_load_b128 v[25:28], v13 offset:1056
	v_add_f32_e32 v33, v33, v20
	v_fma_f32 v20, v53, v23, -v30
	v_dual_mul_f32 v19, v40, v16 :: v_dual_add_f32 v38, v29, v22
	v_dual_mul_f32 v47, v39, v16 :: v_dual_mul_f32 v30, v40, v18
	s_delay_alu instid0(VALU_DEP_3) | instskip(NEXT) | instid1(VALU_DEP_3)
	v_add_f32_e32 v23, v32, v20
	v_fma_f32 v29, v39, v15, -v19
	ds_load_2addr_b64 v[19:22], v12 offset0:160 offset1:176
	v_fmac_f32_e32 v47, v40, v15
	v_fma_f32 v39, v39, v17, -v30
	v_add_f32_e32 v5, v5, v29
	ds_load_b128 v[29:32], v13 offset:1072
	v_add_f32_e32 v36, v36, v39
	s_waitcnt lgkmcnt(2)
	v_mul_f32_e32 v48, v26, v16
	v_mul_f32_e32 v16, v25, v16
	v_dual_mul_f32 v40, v26, v18 :: v_dual_add_f32 v35, v35, v47
	v_add_f32_e32 v33, v33, v34
	s_delay_alu instid0(VALU_DEP_4) | instskip(NEXT) | instid1(VALU_DEP_4)
	v_fma_f32 v39, v25, v15, -v48
	v_fmac_f32_e32 v16, v26, v15
	v_mul_f32_e32 v34, v25, v18
	v_fma_f32 v15, v25, v17, -v40
	s_waitcnt lgkmcnt(1)
	v_dual_mul_f32 v18, v42, v20 :: v_dual_add_f32 v37, v37, v39
	v_mul_f32_e32 v39, v42, v22
	v_fmac_f32_e32 v34, v26, v17
	v_add_f32_e32 v25, v38, v16
	v_add_f32_e32 v23, v23, v15
	v_fma_f32 v38, v41, v19, -v18
	v_mul_f32_e32 v26, v41, v20
	ds_load_2addr_b64 v[15:18], v12 offset0:192 offset1:208
	v_add_f32_e32 v5, v5, v38
	v_add_f32_e32 v34, v24, v34
	v_mul_f32_e32 v24, v41, v22
	v_fma_f32 v38, v41, v21, -v39
	s_delay_alu instid0(VALU_DEP_2) | instskip(SKIP_1) | instid1(VALU_DEP_3)
	v_fmac_f32_e32 v24, v42, v21
	v_fmac_f32_e32 v26, v42, v19
	v_add_f32_e32 v36, v36, v38
	s_delay_alu instid0(VALU_DEP_2) | instskip(NEXT) | instid1(VALU_DEP_1)
	v_dual_add_f32 v35, v35, v26 :: v_dual_mul_f32 v26, v28, v20
	v_fma_f32 v26, v27, v19, -v26
	v_mul_f32_e32 v20, v27, v20
	s_delay_alu instid0(VALU_DEP_1) | instskip(SKIP_2) | instid1(VALU_DEP_1)
	v_dual_fmac_f32 v20, v28, v19 :: v_dual_add_f32 v19, v33, v24
	s_waitcnt lgkmcnt(0)
	v_mul_f32_e32 v33, v44, v16
	v_fma_f32 v33, v43, v15, -v33
	v_mul_f32_e32 v38, v28, v22
	s_delay_alu instid0(VALU_DEP_2) | instskip(NEXT) | instid1(VALU_DEP_2)
	v_dual_mul_f32 v22, v27, v22 :: v_dual_add_f32 v5, v5, v33
	v_fma_f32 v24, v27, v21, -v38
	v_add_f32_e32 v27, v37, v26
	v_mul_f32_e32 v37, v43, v18
	v_mul_f32_e32 v33, v30, v16
	s_delay_alu instid0(VALU_DEP_2)
	v_dual_add_f32 v20, v25, v20 :: v_dual_fmac_f32 v37, v44, v17
	v_dual_fmac_f32 v22, v28, v21 :: v_dual_add_f32 v21, v23, v24
	ds_load_2addr_b64 v[23:26], v12 offset0:224 offset1:240
	v_mul_f32_e32 v28, v43, v16
	v_mul_f32_e32 v16, v29, v16
	v_fma_f32 v33, v29, v15, -v33
	s_waitcnt lgkmcnt(0)
	s_barrier
	v_fmac_f32_e32 v28, v44, v15
	s_delay_alu instid0(VALU_DEP_2)
	v_dual_fmac_f32 v16, v30, v15 :: v_dual_add_f32 v15, v27, v33
	buffer_gl0_inv
	v_dual_add_f32 v28, v35, v28 :: v_dual_mul_f32 v35, v30, v18
	v_mul_f32_e32 v27, v46, v24
	v_add_f32_e32 v22, v34, v22
	v_mul_f32_e32 v34, v44, v18
	s_delay_alu instid0(VALU_DEP_1) | instskip(NEXT) | instid1(VALU_DEP_1)
	v_fma_f32 v34, v43, v17, -v34
	v_add_f32_e32 v34, v36, v34
	v_add_f32_e32 v36, v19, v37
	v_mul_f32_e32 v18, v29, v18
	v_fma_f32 v19, v29, v17, -v35
	s_delay_alu instid0(VALU_DEP_2) | instskip(NEXT) | instid1(VALU_DEP_2)
	v_dual_mul_f32 v29, v45, v24 :: v_dual_fmac_f32 v18, v30, v17
	v_add_f32_e32 v30, v21, v19
	v_fma_f32 v17, v45, v23, -v27
	v_mul_f32_e32 v19, v46, v26
	s_delay_alu instid0(VALU_DEP_4) | instskip(SKIP_1) | instid1(VALU_DEP_4)
	v_fmac_f32_e32 v29, v46, v23
	v_dual_add_f32 v27, v22, v18 :: v_dual_mul_f32 v18, v31, v24
	v_add_f32_e32 v21, v5, v17
	s_delay_alu instid0(VALU_DEP_4)
	v_fma_f32 v5, v45, v25, -v19
	v_mul_f32_e32 v17, v32, v24
	v_mul_f32_e32 v24, v32, v26
	v_fmac_f32_e32 v18, v32, v23
	v_add_f32_e32 v22, v28, v29
	v_add_f32_e32 v19, v34, v5
	v_fma_f32 v5, v31, v23, -v17
	v_fma_f32 v23, v31, v25, -v24
	v_add_f32_e32 v16, v20, v16
	v_mul_f32_e32 v20, v45, v26
	v_mul_f32_e32 v26, v31, v26
	v_add_f32_e32 v17, v15, v5
	s_delay_alu instid0(VALU_DEP_4) | instskip(NEXT) | instid1(VALU_DEP_4)
	v_dual_add_f32 v15, v30, v23 :: v_dual_add_f32 v18, v16, v18
	v_fmac_f32_e32 v20, v46, v25
	s_delay_alu instid0(VALU_DEP_4) | instskip(NEXT) | instid1(VALU_DEP_2)
	v_fmac_f32_e32 v26, v32, v25
	v_add_f32_e32 v20, v36, v20
	s_delay_alu instid0(VALU_DEP_2)
	v_add_f32_e32 v16, v27, v26
	s_cbranch_scc1 .LBB843_11
.LBB843_3:                              ; =>This Inner Loop Header: Depth=1
	v_add_nc_u32_e32 v5, s19, v9
	s_delay_alu instid0(VALU_DEP_1) | instskip(SKIP_1) | instid1(SALU_CYCLE_1)
	v_cmp_le_i32_e32 vcc_lo, s17, v5
	s_or_b32 s18, s3, vcc_lo
	s_and_saveexec_b32 s20, s18
	s_delay_alu instid0(SALU_CYCLE_1)
	s_xor_b32 s18, exec_lo, s20
	s_cbranch_execz .LBB843_5
; %bb.4:                                ;   in Loop: Header=BB843_3 Depth=1
	v_mov_b32_e32 v5, v4
	ds_store_b64 v10, v[4:5]
.LBB843_5:                              ;   in Loop: Header=BB843_3 Depth=1
	s_and_not1_saveexec_b32 s18, s18
	s_cbranch_execz .LBB843_7
; %bb.6:                                ;   in Loop: Header=BB843_3 Depth=1
	global_load_b64 v[23:24], v[0:1], off
	s_waitcnt vmcnt(0)
	ds_store_b64 v10, v[23:24]
.LBB843_7:                              ;   in Loop: Header=BB843_3 Depth=1
	s_or_b32 exec_lo, exec_lo, s18
	v_add_nc_u32_e32 v5, s19, v8
                                        ; implicit-def: $sgpr20
	s_delay_alu instid0(VALU_DEP_1) | instskip(SKIP_1) | instid1(SALU_CYCLE_1)
	v_cmp_le_i32_e32 vcc_lo, s17, v5
	s_or_b32 s18, vcc_lo, s2
	s_and_saveexec_b32 s21, s18
	s_delay_alu instid0(SALU_CYCLE_1)
	s_xor_b32 s18, exec_lo, s21
	s_cbranch_execz .LBB843_9
; %bb.8:                                ;   in Loop: Header=BB843_3 Depth=1
	s_mov_b32 s20, 0
	ds_store_b32 v11, v14
.LBB843_9:                              ;   in Loop: Header=BB843_3 Depth=1
	s_or_saveexec_b32 s18, s18
	v_mov_b32_e32 v5, s20
	s_xor_b32 exec_lo, exec_lo, s18
	s_cbranch_execz .LBB843_2
; %bb.10:                               ;   in Loop: Header=BB843_3 Depth=1
	global_load_b64 v[23:24], v[2:3], off offset:-4
	s_waitcnt vmcnt(0)
	v_xor_b32_e32 v5, 0x80000000, v24
	ds_store_b32 v11, v23
	s_branch .LBB843_2
.LBB843_11:
	s_load_b32 s2, s[0:1], 0x50
	v_add_nc_u32_e32 v5, s14, v7
	v_add_nc_u32_e32 v0, s15, v6
	s_delay_alu instid0(VALU_DEP_2) | instskip(NEXT) | instid1(VALU_DEP_2)
	v_cmp_gt_i32_e32 vcc_lo, s16, v5
	v_cmp_le_i32_e64 s0, v0, v5
	s_delay_alu instid0(VALU_DEP_1) | instskip(SKIP_2) | instid1(VALU_DEP_1)
	s_and_b32 s0, vcc_lo, s0
	s_waitcnt lgkmcnt(0)
	v_mad_i64_i32 v[1:2], null, v5, s2, 0
	v_lshlrev_b64 v[1:2], 3, v[1:2]
	s_delay_alu instid0(VALU_DEP_1) | instskip(NEXT) | instid1(VALU_DEP_1)
	v_add_co_u32 v4, s1, s6, v1
	v_add_co_ci_u32_e64 v6, s1, s7, v2, s1
	s_and_saveexec_b32 s1, s0
	s_cbranch_execz .LBB843_14
; %bb.12:
	v_ashrrev_i32_e32 v1, 31, v0
	s_delay_alu instid0(VALU_DEP_1) | instskip(NEXT) | instid1(VALU_DEP_1)
	v_lshlrev_b64 v[1:2], 3, v[0:1]
	v_add_co_u32 v1, s0, v4, v1
	s_delay_alu instid0(VALU_DEP_1)
	v_add_co_ci_u32_e64 v2, s0, v6, v2, s0
	v_cmp_eq_u32_e64 s0, v5, v0
	global_load_b64 v[7:8], v[1:2], off
	v_mul_f32_e32 v3, s9, v22
	s_waitcnt vmcnt(0)
	v_dual_mul_f32 v9, s8, v22 :: v_dual_mul_f32 v10, s5, v8
	v_mul_f32_e32 v8, s4, v8
	s_delay_alu instid0(VALU_DEP_3) | instskip(NEXT) | instid1(VALU_DEP_3)
	v_fma_f32 v3, v21, s8, -v3
	v_fmac_f32_e32 v9, s9, v21
	s_delay_alu instid0(VALU_DEP_4) | instskip(NEXT) | instid1(VALU_DEP_1)
	v_fma_f32 v10, v7, s4, -v10
	v_dual_fmac_f32 v8, s5, v7 :: v_dual_add_f32 v7, v3, v10
	s_delay_alu instid0(VALU_DEP_1)
	v_add_f32_e32 v8, v9, v8
	global_store_b64 v[1:2], v[7:8], off
	s_and_b32 exec_lo, exec_lo, s0
	s_cbranch_execz .LBB843_14
; %bb.13:
	v_mov_b32_e32 v3, 0
	global_store_b32 v[1:2], v3, off offset:4
.LBB843_14:
	s_or_b32 exec_lo, exec_lo, s1
	v_add_nc_u32_e32 v2, 16, v0
	s_delay_alu instid0(VALU_DEP_1) | instskip(NEXT) | instid1(VALU_DEP_1)
	v_cmp_le_i32_e64 s0, v2, v5
	s_and_b32 s1, vcc_lo, s0
	s_delay_alu instid0(SALU_CYCLE_1)
	s_and_saveexec_b32 s0, s1
	s_cbranch_execz .LBB843_17
; %bb.15:
	v_ashrrev_i32_e32 v3, 31, v2
	s_delay_alu instid0(VALU_DEP_1) | instskip(NEXT) | instid1(VALU_DEP_1)
	v_lshlrev_b64 v[7:8], 3, v[2:3]
	v_add_co_u32 v3, vcc_lo, v4, v7
	s_delay_alu instid0(VALU_DEP_2) | instskip(SKIP_4) | instid1(VALU_DEP_1)
	v_add_co_ci_u32_e32 v4, vcc_lo, v6, v8, vcc_lo
	v_cmp_eq_u32_e32 vcc_lo, v5, v2
	global_load_b64 v[6:7], v[3:4], off
	s_waitcnt vmcnt(0)
	v_dual_mul_f32 v8, s8, v20 :: v_dual_mul_f32 v9, s5, v7
	v_dual_mul_f32 v1, s9, v20 :: v_dual_fmac_f32 v8, s9, v19
	s_delay_alu instid0(VALU_DEP_2) | instskip(NEXT) | instid1(VALU_DEP_2)
	v_fma_f32 v9, v6, s4, -v9
	v_fma_f32 v1, v19, s8, -v1
	v_mul_f32_e32 v7, s4, v7
	s_delay_alu instid0(VALU_DEP_1) | instskip(NEXT) | instid1(VALU_DEP_1)
	v_dual_fmac_f32 v7, s5, v6 :: v_dual_add_f32 v6, v1, v9
	v_add_f32_e32 v7, v8, v7
	global_store_b64 v[3:4], v[6:7], off
	s_and_b32 exec_lo, exec_lo, vcc_lo
	s_cbranch_execz .LBB843_17
; %bb.16:
	v_mov_b32_e32 v1, 0
	global_store_b32 v[3:4], v1, off offset:4
.LBB843_17:
	s_or_b32 exec_lo, exec_lo, s0
	v_add_nc_u32_e32 v8, 16, v5
	s_delay_alu instid0(VALU_DEP_1) | instskip(SKIP_2) | instid1(VALU_DEP_1)
	v_mad_i64_i32 v[3:4], null, v8, s2, 0
	v_cmp_gt_i32_e32 vcc_lo, s16, v8
	v_cmp_le_i32_e64 s0, v0, v8
	s_and_b32 s0, vcc_lo, s0
	s_delay_alu instid0(VALU_DEP_3) | instskip(NEXT) | instid1(VALU_DEP_1)
	v_lshlrev_b64 v[3:4], 3, v[3:4]
	v_add_co_u32 v6, s1, s6, v3
	s_delay_alu instid0(VALU_DEP_1)
	v_add_co_ci_u32_e64 v7, s1, s7, v4, s1
	s_and_saveexec_b32 s1, s0
	s_cbranch_execz .LBB843_20
; %bb.18:
	v_ashrrev_i32_e32 v1, 31, v0
	v_mul_f32_e32 v11, s8, v18
	s_delay_alu instid0(VALU_DEP_2) | instskip(NEXT) | instid1(VALU_DEP_2)
	v_lshlrev_b64 v[3:4], 3, v[0:1]
	v_fmac_f32_e32 v11, s9, v17
	s_delay_alu instid0(VALU_DEP_2) | instskip(NEXT) | instid1(VALU_DEP_1)
	v_add_co_u32 v3, s0, v6, v3
	v_add_co_ci_u32_e64 v4, s0, v7, v4, s0
	v_cmp_eq_u32_e64 s0, v8, v0
	global_load_b64 v[9:10], v[3:4], off
	s_waitcnt vmcnt(0)
	v_mul_f32_e32 v12, s5, v10
	s_delay_alu instid0(VALU_DEP_1) | instskip(SKIP_1) | instid1(VALU_DEP_1)
	v_fma_f32 v12, v9, s4, -v12
	v_mul_f32_e32 v10, s4, v10
	v_dual_mul_f32 v1, s9, v18 :: v_dual_fmac_f32 v10, s5, v9
	s_delay_alu instid0(VALU_DEP_1) | instskip(NEXT) | instid1(VALU_DEP_1)
	v_fma_f32 v1, v17, s8, -v1
	v_dual_add_f32 v10, v11, v10 :: v_dual_add_f32 v9, v1, v12
	global_store_b64 v[3:4], v[9:10], off
	s_and_b32 exec_lo, exec_lo, s0
	s_cbranch_execz .LBB843_20
; %bb.19:
	v_mov_b32_e32 v1, 0
	global_store_b32 v[3:4], v1, off offset:4
.LBB843_20:
	s_or_b32 exec_lo, exec_lo, s1
	v_cmp_le_i32_e64 s0, v2, v8
	s_delay_alu instid0(VALU_DEP_1) | instskip(NEXT) | instid1(SALU_CYCLE_1)
	s_and_b32 s0, vcc_lo, s0
	s_and_saveexec_b32 s1, s0
	s_cbranch_execz .LBB843_23
; %bb.21:
	v_ashrrev_i32_e32 v3, 31, v2
	s_delay_alu instid0(VALU_DEP_1) | instskip(NEXT) | instid1(VALU_DEP_1)
	v_lshlrev_b64 v[1:2], 3, v[2:3]
	v_add_co_u32 v1, vcc_lo, v6, v1
	s_delay_alu instid0(VALU_DEP_2)
	v_add_co_ci_u32_e32 v2, vcc_lo, v7, v2, vcc_lo
	v_cmp_eq_u32_e32 vcc_lo, v5, v0
	global_load_b64 v[3:4], v[1:2], off
	s_waitcnt vmcnt(0)
	v_mul_f32_e32 v8, s5, v4
	v_mul_f32_e32 v4, s4, v4
	;; [unrolled: 1-line block ×3, first 2 shown]
	s_delay_alu instid0(VALU_DEP_3) | instskip(NEXT) | instid1(VALU_DEP_3)
	v_fma_f32 v8, v3, s4, -v8
	v_fmac_f32_e32 v4, s5, v3
	s_delay_alu instid0(VALU_DEP_3) | instskip(NEXT) | instid1(VALU_DEP_1)
	v_dual_mul_f32 v6, s9, v16 :: v_dual_fmac_f32 v7, s9, v15
	v_fma_f32 v6, v15, s8, -v6
	s_delay_alu instid0(VALU_DEP_2) | instskip(NEXT) | instid1(VALU_DEP_2)
	v_add_f32_e32 v4, v7, v4
	v_add_f32_e32 v3, v6, v8
	global_store_b64 v[1:2], v[3:4], off
	s_and_b32 exec_lo, exec_lo, vcc_lo
	s_cbranch_execz .LBB843_23
; %bb.22:
	v_mov_b32_e32 v0, 0
	global_store_b32 v[1:2], v0, off offset:4
.LBB843_23:
	s_nop 0
	s_sendmsg sendmsg(MSG_DEALLOC_VGPRS)
	s_endpgm
	.section	.rodata,"a",@progbits
	.p2align	6, 0x0
	.amdhsa_kernel _ZL34rocblas_syrkx_herkx_general_kernelIi19rocblas_complex_numIfELi16ELi32ELi8ELb0ELb1ELc78ELc85EKPKS1_KPS1_EviT_T0_PT8_S7_lSA_S7_lS8_PT9_S7_li
		.amdhsa_group_segment_fixed_size 4096
		.amdhsa_private_segment_fixed_size 0
		.amdhsa_kernarg_size 100
		.amdhsa_user_sgpr_count 13
		.amdhsa_user_sgpr_dispatch_ptr 0
		.amdhsa_user_sgpr_queue_ptr 0
		.amdhsa_user_sgpr_kernarg_segment_ptr 1
		.amdhsa_user_sgpr_dispatch_id 0
		.amdhsa_user_sgpr_private_segment_size 0
		.amdhsa_wavefront_size32 1
		.amdhsa_uses_dynamic_stack 0
		.amdhsa_enable_private_segment 0
		.amdhsa_system_sgpr_workgroup_id_x 1
		.amdhsa_system_sgpr_workgroup_id_y 1
		.amdhsa_system_sgpr_workgroup_id_z 1
		.amdhsa_system_sgpr_workgroup_info 0
		.amdhsa_system_vgpr_workitem_id 1
		.amdhsa_next_free_vgpr 60
		.amdhsa_next_free_sgpr 24
		.amdhsa_reserve_vcc 1
		.amdhsa_float_round_mode_32 0
		.amdhsa_float_round_mode_16_64 0
		.amdhsa_float_denorm_mode_32 3
		.amdhsa_float_denorm_mode_16_64 3
		.amdhsa_dx10_clamp 1
		.amdhsa_ieee_mode 1
		.amdhsa_fp16_overflow 0
		.amdhsa_workgroup_processor_mode 1
		.amdhsa_memory_ordered 1
		.amdhsa_forward_progress 0
		.amdhsa_shared_vgpr_count 0
		.amdhsa_exception_fp_ieee_invalid_op 0
		.amdhsa_exception_fp_denorm_src 0
		.amdhsa_exception_fp_ieee_div_zero 0
		.amdhsa_exception_fp_ieee_overflow 0
		.amdhsa_exception_fp_ieee_underflow 0
		.amdhsa_exception_fp_ieee_inexact 0
		.amdhsa_exception_int_div_zero 0
	.end_amdhsa_kernel
	.section	.text._ZL34rocblas_syrkx_herkx_general_kernelIi19rocblas_complex_numIfELi16ELi32ELi8ELb0ELb1ELc78ELc85EKPKS1_KPS1_EviT_T0_PT8_S7_lSA_S7_lS8_PT9_S7_li,"axG",@progbits,_ZL34rocblas_syrkx_herkx_general_kernelIi19rocblas_complex_numIfELi16ELi32ELi8ELb0ELb1ELc78ELc85EKPKS1_KPS1_EviT_T0_PT8_S7_lSA_S7_lS8_PT9_S7_li,comdat
.Lfunc_end843:
	.size	_ZL34rocblas_syrkx_herkx_general_kernelIi19rocblas_complex_numIfELi16ELi32ELi8ELb0ELb1ELc78ELc85EKPKS1_KPS1_EviT_T0_PT8_S7_lSA_S7_lS8_PT9_S7_li, .Lfunc_end843-_ZL34rocblas_syrkx_herkx_general_kernelIi19rocblas_complex_numIfELi16ELi32ELi8ELb0ELb1ELc78ELc85EKPKS1_KPS1_EviT_T0_PT8_S7_lSA_S7_lS8_PT9_S7_li
                                        ; -- End function
	.section	.AMDGPU.csdata,"",@progbits
; Kernel info:
; codeLenInByte = 2740
; NumSgprs: 26
; NumVgprs: 60
; ScratchSize: 0
; MemoryBound: 1
; FloatMode: 240
; IeeeMode: 1
; LDSByteSize: 4096 bytes/workgroup (compile time only)
; SGPRBlocks: 3
; VGPRBlocks: 7
; NumSGPRsForWavesPerEU: 26
; NumVGPRsForWavesPerEU: 60
; Occupancy: 16
; WaveLimiterHint : 1
; COMPUTE_PGM_RSRC2:SCRATCH_EN: 0
; COMPUTE_PGM_RSRC2:USER_SGPR: 13
; COMPUTE_PGM_RSRC2:TRAP_HANDLER: 0
; COMPUTE_PGM_RSRC2:TGID_X_EN: 1
; COMPUTE_PGM_RSRC2:TGID_Y_EN: 1
; COMPUTE_PGM_RSRC2:TGID_Z_EN: 1
; COMPUTE_PGM_RSRC2:TIDIG_COMP_CNT: 1
	.section	.text._ZL26rocblas_syr2k_scale_kernelIiLi128ELi8ELb1E19rocblas_complex_numIfES1_PKPS1_EvbiT_T3_T4_T5_S5_li,"axG",@progbits,_ZL26rocblas_syr2k_scale_kernelIiLi128ELi8ELb1E19rocblas_complex_numIfES1_PKPS1_EvbiT_T3_T4_T5_S5_li,comdat
	.globl	_ZL26rocblas_syr2k_scale_kernelIiLi128ELi8ELb1E19rocblas_complex_numIfES1_PKPS1_EvbiT_T3_T4_T5_S5_li ; -- Begin function _ZL26rocblas_syr2k_scale_kernelIiLi128ELi8ELb1E19rocblas_complex_numIfES1_PKPS1_EvbiT_T3_T4_T5_S5_li
	.p2align	8
	.type	_ZL26rocblas_syr2k_scale_kernelIiLi128ELi8ELb1E19rocblas_complex_numIfES1_PKPS1_EvbiT_T3_T4_T5_S5_li,@function
_ZL26rocblas_syr2k_scale_kernelIiLi128ELi8ELb1E19rocblas_complex_numIfES1_PKPS1_EvbiT_T3_T4_T5_S5_li: ; @_ZL26rocblas_syr2k_scale_kernelIiLi128ELi8ELb1E19rocblas_complex_numIfES1_PKPS1_EvbiT_T3_T4_T5_S5_li
; %bb.0:
	s_load_b256 s[4:11], s[0:1], 0x0
	s_mov_b32 s12, s15
	s_waitcnt lgkmcnt(0)
	v_cmp_eq_f32_e64 s2, s9, 1.0
	v_cmp_eq_f32_e64 s3, s10, 0
	s_delay_alu instid0(VALU_DEP_1)
	s_and_b32 s3, s2, s3
	s_mov_b32 s2, 0
	s_and_not1_b32 vcc_lo, exec_lo, s3
	s_mov_b32 s3, -1
	s_cbranch_vccnz .LBB844_4
; %bb.1:
	s_cmp_lg_u32 s6, 0
	s_cbranch_scc0 .LBB844_3
; %bb.2:
	v_cmp_neq_f32_e64 s2, s7, 0
	v_cmp_neq_f32_e64 s3, s8, 0
	s_delay_alu instid0(VALU_DEP_1)
	s_or_b32 s2, s2, s3
.LBB844_3:
	s_delay_alu instid0(SALU_CYCLE_1)
	s_mov_b32 s3, s2
.LBB844_4:
	s_delay_alu instid0(SALU_CYCLE_1)
	s_and_b32 vcc_lo, exec_lo, s3
	s_cbranch_vccz .LBB844_9
; %bb.5:
	s_load_b32 s2, s[0:1], 0x4c
	v_and_b32_e32 v2, 0x3ff, v0
	v_bfe_u32 v4, v0, 10, 10
	s_bitcmp1_b32 s4, 0
	s_cselect_b32 vcc_lo, -1, 0
	s_waitcnt lgkmcnt(0)
	s_lshr_b32 s3, s2, 16
	s_and_b32 s2, s2, 0xffff
	s_delay_alu instid0(SALU_CYCLE_1) | instskip(SKIP_1) | instid1(VALU_DEP_1)
	v_mad_u64_u32 v[0:1], null, s13, s2, v[2:3]
	v_mad_u64_u32 v[2:3], null, s14, s3, v[4:5]
	v_dual_cndmask_b32 v1, v2, v0 :: v_dual_cndmask_b32 v4, v0, v2
	v_max_u32_e32 v3, v0, v2
	s_delay_alu instid0(VALU_DEP_2) | instskip(NEXT) | instid1(VALU_DEP_2)
	v_cmp_le_i32_e64 s2, v1, v4
	v_cmp_gt_u32_e32 vcc_lo, s5, v3
	s_delay_alu instid0(VALU_DEP_2) | instskip(NEXT) | instid1(SALU_CYCLE_1)
	s_and_b32 s2, vcc_lo, s2
	s_and_saveexec_b32 s3, s2
	s_cbranch_execz .LBB844_9
; %bb.6:
	s_clause 0x2
	s_load_b32 s6, s[0:1], 0x28
	s_load_b64 s[2:3], s[0:1], 0x20
	s_load_b64 s[0:1], s[0:1], 0x30
	s_mov_b32 s13, 0
	s_delay_alu instid0(SALU_CYCLE_1)
	s_lshl_b64 s[4:5], s[12:13], 3
	s_waitcnt lgkmcnt(0)
	v_mad_u64_u32 v[3:4], null, v2, s6, 0
	s_ashr_i32 s6, s6, 31
	s_add_u32 s2, s2, s4
	s_addc_u32 s3, s3, s5
	s_lshl_b64 s[0:1], s[0:1], 3
	s_load_b64 s[2:3], s[2:3], 0x0
	s_delay_alu instid0(VALU_DEP_1) | instskip(NEXT) | instid1(VALU_DEP_1)
	v_mov_b32_e32 v1, v4
	v_mad_u64_u32 v[4:5], null, v2, s6, v[1:2]
	v_mov_b32_e32 v1, 0
	s_delay_alu instid0(VALU_DEP_1) | instskip(NEXT) | instid1(VALU_DEP_3)
	v_lshlrev_b64 v[5:6], 3, v[0:1]
	v_lshlrev_b64 v[3:4], 3, v[3:4]
	s_waitcnt lgkmcnt(0)
	s_add_u32 s0, s2, s0
	s_addc_u32 s1, s3, s1
	s_delay_alu instid0(VALU_DEP_1) | instskip(NEXT) | instid1(VALU_DEP_2)
	v_add_co_u32 v3, vcc_lo, s0, v3
	v_add_co_ci_u32_e32 v4, vcc_lo, s1, v4, vcc_lo
	s_or_b32 s2, s9, s10
	s_delay_alu instid0(VALU_DEP_2) | instskip(NEXT) | instid1(VALU_DEP_2)
	v_add_co_u32 v3, vcc_lo, v3, v5
	v_add_co_ci_u32_e32 v4, vcc_lo, v4, v6, vcc_lo
	v_mov_b32_e32 v5, v1
	s_bitset0_b32 s2, 31
	s_delay_alu instid0(SALU_CYCLE_1)
	s_cmp_eq_u32 s2, 0
	s_cbranch_scc1 .LBB844_8
; %bb.7:
	global_load_b64 v[6:7], v[3:4], off
	s_waitcnt vmcnt(0)
	v_mul_f32_e32 v1, s10, v7
	v_mul_f32_e32 v5, s9, v7
	s_delay_alu instid0(VALU_DEP_2) | instskip(NEXT) | instid1(VALU_DEP_2)
	v_fma_f32 v1, v6, s9, -v1
	v_fmac_f32_e32 v5, s10, v6
.LBB844_8:
	v_cmp_ne_u32_e32 vcc_lo, v0, v2
	s_delay_alu instid0(VALU_DEP_2)
	v_cndmask_b32_e32 v2, 0, v5, vcc_lo
	global_store_b64 v[3:4], v[1:2], off
.LBB844_9:
	s_nop 0
	s_sendmsg sendmsg(MSG_DEALLOC_VGPRS)
	s_endpgm
	.section	.rodata,"a",@progbits
	.p2align	6, 0x0
	.amdhsa_kernel _ZL26rocblas_syr2k_scale_kernelIiLi128ELi8ELb1E19rocblas_complex_numIfES1_PKPS1_EvbiT_T3_T4_T5_S5_li
		.amdhsa_group_segment_fixed_size 0
		.amdhsa_private_segment_fixed_size 0
		.amdhsa_kernarg_size 320
		.amdhsa_user_sgpr_count 13
		.amdhsa_user_sgpr_dispatch_ptr 0
		.amdhsa_user_sgpr_queue_ptr 0
		.amdhsa_user_sgpr_kernarg_segment_ptr 1
		.amdhsa_user_sgpr_dispatch_id 0
		.amdhsa_user_sgpr_private_segment_size 0
		.amdhsa_wavefront_size32 1
		.amdhsa_uses_dynamic_stack 0
		.amdhsa_enable_private_segment 0
		.amdhsa_system_sgpr_workgroup_id_x 1
		.amdhsa_system_sgpr_workgroup_id_y 1
		.amdhsa_system_sgpr_workgroup_id_z 1
		.amdhsa_system_sgpr_workgroup_info 0
		.amdhsa_system_vgpr_workitem_id 1
		.amdhsa_next_free_vgpr 8
		.amdhsa_next_free_sgpr 16
		.amdhsa_reserve_vcc 1
		.amdhsa_float_round_mode_32 0
		.amdhsa_float_round_mode_16_64 0
		.amdhsa_float_denorm_mode_32 3
		.amdhsa_float_denorm_mode_16_64 3
		.amdhsa_dx10_clamp 1
		.amdhsa_ieee_mode 1
		.amdhsa_fp16_overflow 0
		.amdhsa_workgroup_processor_mode 1
		.amdhsa_memory_ordered 1
		.amdhsa_forward_progress 0
		.amdhsa_shared_vgpr_count 0
		.amdhsa_exception_fp_ieee_invalid_op 0
		.amdhsa_exception_fp_denorm_src 0
		.amdhsa_exception_fp_ieee_div_zero 0
		.amdhsa_exception_fp_ieee_overflow 0
		.amdhsa_exception_fp_ieee_underflow 0
		.amdhsa_exception_fp_ieee_inexact 0
		.amdhsa_exception_int_div_zero 0
	.end_amdhsa_kernel
	.section	.text._ZL26rocblas_syr2k_scale_kernelIiLi128ELi8ELb1E19rocblas_complex_numIfES1_PKPS1_EvbiT_T3_T4_T5_S5_li,"axG",@progbits,_ZL26rocblas_syr2k_scale_kernelIiLi128ELi8ELb1E19rocblas_complex_numIfES1_PKPS1_EvbiT_T3_T4_T5_S5_li,comdat
.Lfunc_end844:
	.size	_ZL26rocblas_syr2k_scale_kernelIiLi128ELi8ELb1E19rocblas_complex_numIfES1_PKPS1_EvbiT_T3_T4_T5_S5_li, .Lfunc_end844-_ZL26rocblas_syr2k_scale_kernelIiLi128ELi8ELb1E19rocblas_complex_numIfES1_PKPS1_EvbiT_T3_T4_T5_S5_li
                                        ; -- End function
	.section	.AMDGPU.csdata,"",@progbits
; Kernel info:
; codeLenInByte = 472
; NumSgprs: 18
; NumVgprs: 8
; ScratchSize: 0
; MemoryBound: 0
; FloatMode: 240
; IeeeMode: 1
; LDSByteSize: 0 bytes/workgroup (compile time only)
; SGPRBlocks: 2
; VGPRBlocks: 0
; NumSGPRsForWavesPerEU: 18
; NumVGPRsForWavesPerEU: 8
; Occupancy: 16
; WaveLimiterHint : 1
; COMPUTE_PGM_RSRC2:SCRATCH_EN: 0
; COMPUTE_PGM_RSRC2:USER_SGPR: 13
; COMPUTE_PGM_RSRC2:TRAP_HANDLER: 0
; COMPUTE_PGM_RSRC2:TGID_X_EN: 1
; COMPUTE_PGM_RSRC2:TGID_Y_EN: 1
; COMPUTE_PGM_RSRC2:TGID_Z_EN: 1
; COMPUTE_PGM_RSRC2:TIDIG_COMP_CNT: 1
	.section	.text._ZL26rocblas_syr2k_her2k_kernelIiLb0ELb1ELb0ELi32EPK19rocblas_complex_numIfEPKS3_PKPS1_EvbiT_T4_T5_S9_lSB_S9_lT6_S9_li,"axG",@progbits,_ZL26rocblas_syr2k_her2k_kernelIiLb0ELb1ELb0ELi32EPK19rocblas_complex_numIfEPKS3_PKPS1_EvbiT_T4_T5_S9_lSB_S9_lT6_S9_li,comdat
	.globl	_ZL26rocblas_syr2k_her2k_kernelIiLb0ELb1ELb0ELi32EPK19rocblas_complex_numIfEPKS3_PKPS1_EvbiT_T4_T5_S9_lSB_S9_lT6_S9_li ; -- Begin function _ZL26rocblas_syr2k_her2k_kernelIiLb0ELb1ELb0ELi32EPK19rocblas_complex_numIfEPKS3_PKPS1_EvbiT_T4_T5_S9_lSB_S9_lT6_S9_li
	.p2align	8
	.type	_ZL26rocblas_syr2k_her2k_kernelIiLb0ELb1ELb0ELi32EPK19rocblas_complex_numIfEPKS3_PKPS1_EvbiT_T4_T5_S9_lSB_S9_lT6_S9_li,@function
_ZL26rocblas_syr2k_her2k_kernelIiLb0ELb1ELb0ELi32EPK19rocblas_complex_numIfEPKS3_PKPS1_EvbiT_T4_T5_S9_lSB_S9_lT6_S9_li: ; @_ZL26rocblas_syr2k_her2k_kernelIiLb0ELb1ELb0ELi32EPK19rocblas_complex_numIfEPKS3_PKPS1_EvbiT_T4_T5_S9_lSB_S9_lT6_S9_li
; %bb.0:
	s_load_b128 s[16:19], s[0:1], 0x10
	s_waitcnt lgkmcnt(0)
	s_load_b64 s[16:17], s[16:17], 0x0
	s_waitcnt lgkmcnt(0)
	v_cmp_eq_f32_e64 s2, s16, 0
	v_cmp_eq_f32_e64 s3, s17, 0
	s_delay_alu instid0(VALU_DEP_1) | instskip(NEXT) | instid1(SALU_CYCLE_1)
	s_and_b32 s2, s2, s3
	s_and_b32 vcc_lo, exec_lo, s2
	s_cbranch_vccnz .LBB845_13
; %bb.1:
	s_load_b128 s[4:7], s[0:1], 0x0
	s_waitcnt lgkmcnt(0)
	s_lshl_b32 s7, s14, 5
	s_and_b32 s2, 1, s4
	s_lshl_b32 s4, s13, 5
	s_cmp_eq_u32 s2, 1
	s_cselect_b32 s2, -1, 0
	s_delay_alu instid0(SALU_CYCLE_1) | instskip(SKIP_2) | instid1(SALU_CYCLE_1)
	s_and_b32 s3, s2, exec_lo
	s_cselect_b32 s3, s4, s7
	s_cselect_b32 s8, s7, s4
	s_cmp_gt_i32 s3, s8
	s_cbranch_scc1 .LBB845_13
; %bb.2:
	s_clause 0x1
	s_load_b128 s[8:11], s[0:1], 0x40
	s_load_b32 s3, s[0:1], 0x50
	s_mov_b32 s20, s15
	s_mov_b32 s21, 0
	s_load_b64 s[12:13], s[0:1], 0x58
	s_lshl_b64 s[22:23], s[20:21], 3
	v_and_b32_e32 v9, 0x3ff, v0
	v_bfe_u32 v10, v0, 10, 10
	s_delay_alu instid0(VALU_DEP_2) | instskip(NEXT) | instid1(VALU_DEP_2)
	v_add_nc_u32_e32 v0, s4, v9
	v_add_nc_u32_e32 v2, s7, v10
	s_delay_alu instid0(VALU_DEP_2)
	v_cmp_gt_i32_e32 vcc_lo, s5, v0
	v_ashrrev_i32_e32 v1, 31, v0
	s_waitcnt lgkmcnt(0)
	s_add_u32 s10, s10, s22
	s_addc_u32 s11, s11, s23
	s_load_b64 s[10:11], s[10:11], 0x0
	s_lshl_b64 s[12:13], s[12:13], 3
	s_waitcnt lgkmcnt(0)
	s_add_u32 s4, s10, s12
	s_addc_u32 s7, s11, s13
	s_cmp_lt_i32 s6, 1
	s_cbranch_scc1 .LBB845_11
; %bb.3:
	s_clause 0x2
	s_load_b128 s[12:15], s[0:1], 0x28
	s_load_b32 s10, s[0:1], 0x20
	s_load_b32 s11, s[0:1], 0x38
	s_add_u32 s18, s18, s22
	v_mad_i64_i32 v[7:8], null, s3, v2, 0
	s_addc_u32 s19, s19, s23
	v_lshlrev_b32_e32 v4, 3, v10
	s_load_b64 s[18:19], s[18:19], 0x0
	v_lshlrev_b32_e32 v11, 8, v9
	v_ashrrev_i32_e32 v3, 31, v2
	v_lshlrev_b64 v[5:6], 3, v[0:1]
	v_or_b32_e32 v13, 0x2000, v4
	v_cndmask_b32_e64 v14, v0, v2, s2
	v_add_nc_u32_e32 v12, v11, v4
	v_lshlrev_b64 v[18:19], 3, v[2:3]
	v_lshlrev_b64 v[3:4], 3, v[7:8]
	v_cndmask_b32_e64 v15, v2, v0, s2
	v_cmp_gt_i32_e64 s0, s5, v2
	v_add_nc_u32_e32 v20, 0x1000, v13
	s_waitcnt lgkmcnt(0)
	s_add_u32 s14, s14, s22
	s_addc_u32 s15, s15, s23
	v_add_co_u32 v3, s2, s4, v3
	s_load_b64 s[14:15], s[14:15], 0x0
	v_add_co_ci_u32_e64 v4, s2, s7, v4, s2
	s_delay_alu instid0(VALU_DEP_2) | instskip(SKIP_1) | instid1(VALU_DEP_2)
	v_add_co_u32 v3, s2, v3, v5
	s_lshl_b64 s[12:13], s[12:13], 3
	v_add_co_ci_u32_e64 v4, s2, v4, v6, s2
	s_add_u32 s2, s18, s12
	s_addc_u32 s12, s19, s13
	v_add_co_u32 v16, s2, s2, v5
	s_lshl_b64 s[8:9], s[8:9], 3
	v_add_co_ci_u32_e64 v17, s2, s12, v6, s2
	v_cmp_le_i32_e64 s1, v15, v14
	v_add_nc_u32_e32 v14, v13, v11
	v_add_nc_u32_e32 v15, 0x800, v13
	;; [unrolled: 1-line block ×3, first 2 shown]
	s_waitcnt lgkmcnt(0)
	s_add_u32 s2, s14, s8
	s_addc_u32 s8, s15, s9
	v_add_co_u32 v18, s2, s2, v18
	s_delay_alu instid0(VALU_DEP_1) | instskip(SKIP_1) | instid1(SALU_CYCLE_1)
	v_add_co_ci_u32_e64 v19, s2, s8, v19, s2
	s_and_b32 s2, s0, vcc_lo
	s_and_b32 s2, s2, s1
	s_branch .LBB845_5
.LBB845_4:                              ;   in Loop: Header=BB845_5 Depth=1
	s_or_b32 exec_lo, exec_lo, s1
	s_add_i32 s21, s21, 32
	s_waitcnt_vscnt null, 0x0
	s_cmp_ge_i32 s21, s6
	s_barrier
	buffer_gl0_inv
	s_cbranch_scc1 .LBB845_11
.LBB845_5:                              ; =>This Inner Loop Header: Depth=1
	v_dual_mov_b32 v5, 0 :: v_dual_add_nc_u32 v6, s21, v10
	v_dual_mov_b32 v7, 0 :: v_dual_mov_b32 v8, 0
	s_delay_alu instid0(VALU_DEP_2) | instskip(NEXT) | instid1(VALU_DEP_1)
	v_cmp_gt_i32_e64 s1, s6, v6
	s_and_b32 s1, vcc_lo, s1
	s_delay_alu instid0(SALU_CYCLE_1)
	s_and_saveexec_b32 s8, s1
	s_cbranch_execz .LBB845_7
; %bb.6:                                ;   in Loop: Header=BB845_5 Depth=1
	v_mad_i64_i32 v[7:8], null, v6, s10, 0
	s_delay_alu instid0(VALU_DEP_1) | instskip(NEXT) | instid1(VALU_DEP_1)
	v_lshlrev_b64 v[6:7], 3, v[7:8]
	v_add_co_u32 v6, s1, v16, v6
	s_delay_alu instid0(VALU_DEP_1)
	v_add_co_ci_u32_e64 v7, s1, v17, v7, s1
	global_load_b64 v[7:8], v[6:7], off
.LBB845_7:                              ;   in Loop: Header=BB845_5 Depth=1
	s_or_b32 exec_lo, exec_lo, s8
	v_add_nc_u32_e32 v22, s21, v9
	v_mov_b32_e32 v6, 0
	s_waitcnt vmcnt(0)
	ds_store_b64 v12, v[7:8]
	v_cmp_gt_i32_e64 s1, s6, v22
	s_delay_alu instid0(VALU_DEP_1) | instskip(NEXT) | instid1(SALU_CYCLE_1)
	s_and_b32 s1, s0, s1
	s_and_saveexec_b32 s8, s1
	s_cbranch_execz .LBB845_9
; %bb.8:                                ;   in Loop: Header=BB845_5 Depth=1
	v_mad_i64_i32 v[5:6], null, v22, s11, 0
	s_delay_alu instid0(VALU_DEP_1) | instskip(NEXT) | instid1(VALU_DEP_1)
	v_lshlrev_b64 v[5:6], 3, v[5:6]
	v_add_co_u32 v5, s1, v18, v5
	s_delay_alu instid0(VALU_DEP_1)
	v_add_co_ci_u32_e64 v6, s1, v19, v6, s1
	global_load_b64 v[5:6], v[5:6], off
	s_waitcnt vmcnt(0)
	v_xor_b32_e32 v6, 0x80000000, v6
.LBB845_9:                              ;   in Loop: Header=BB845_5 Depth=1
	s_or_b32 exec_lo, exec_lo, s8
	ds_store_b64 v14, v[5:6]
	s_waitcnt lgkmcnt(0)
	s_barrier
	buffer_gl0_inv
	s_and_saveexec_b32 s1, s2
	s_cbranch_execz .LBB845_4
; %bb.10:                               ;   in Loop: Header=BB845_5 Depth=1
	global_load_b64 v[5:6], v[3:4], off
	ds_load_2addr_b64 v[22:25], v13 offset1:32
	ds_load_b128 v[26:29], v11
	ds_load_b128 v[30:33], v11 offset:16
	ds_load_b128 v[34:37], v11 offset:32
	;; [unrolled: 1-line block ×3, first 2 shown]
	ds_load_2addr_b64 v[42:45], v13 offset0:64 offset1:96
	ds_load_2addr_b64 v[46:49], v13 offset0:128 offset1:160
	;; [unrolled: 1-line block ×3, first 2 shown]
	ds_load_2addr_b64 v[54:57], v15 offset1:32
	ds_load_b128 v[58:61], v11 offset:64
	ds_load_b128 v[62:65], v11 offset:80
	ds_load_2addr_b64 v[66:69], v15 offset0:64 offset1:96
	ds_load_2addr_b64 v[70:73], v15 offset0:128 offset1:160
	ds_load_b128 v[74:77], v11 offset:96
	ds_load_b128 v[78:81], v11 offset:112
	ds_load_2addr_b64 v[82:85], v15 offset0:192 offset1:224
	ds_load_2addr_b64 v[86:89], v20 offset1:32
	ds_load_b128 v[90:93], v11 offset:128
	ds_load_b128 v[94:97], v11 offset:144
	s_waitcnt lgkmcnt(17)
	v_mul_f32_e32 v8, v22, v27
	v_dual_mul_f32 v7, v23, v27 :: v_dual_mul_f32 v98, v24, v29
	v_mul_f32_e32 v27, v25, v29
	s_waitcnt lgkmcnt(13)
	s_delay_alu instid0(VALU_DEP_3) | instskip(NEXT) | instid1(VALU_DEP_3)
	v_dual_mul_f32 v101, v44, v33 :: v_dual_fmac_f32 v8, v23, v26
	v_fma_f32 v7, v22, v26, -v7
	v_fmac_f32_e32 v98, v25, v28
	v_fma_f32 v99, v24, v28, -v27
	v_mul_f32_e32 v26, v43, v31
	v_dual_mul_f32 v100, v42, v31 :: v_dual_fmac_f32 v101, v45, v32
	v_mul_f32_e32 v27, v45, v33
	s_waitcnt lgkmcnt(12)
	v_dual_mul_f32 v31, v47, v35 :: v_dual_add_f32 v8, 0, v8
	v_dual_mul_f32 v102, v46, v35 :: v_dual_mul_f32 v105, v48, v37
	s_waitcnt lgkmcnt(11)
	v_dual_fmac_f32 v100, v43, v30 :: v_dual_mul_f32 v107, v50, v39
	s_delay_alu instid0(VALU_DEP_3) | instskip(NEXT) | instid1(VALU_DEP_3)
	v_dual_add_f32 v8, v8, v98 :: v_dual_add_f32 v7, 0, v7
	v_fmac_f32_e32 v102, v47, v34
	s_delay_alu instid0(VALU_DEP_3) | instskip(SKIP_3) | instid1(VALU_DEP_4)
	v_dual_mul_f32 v98, v52, v41 :: v_dual_fmac_f32 v107, v51, v38
	v_mul_f32_e32 v33, v49, v37
	v_fma_f32 v103, v42, v30, -v26
	v_fmac_f32_e32 v105, v49, v36
	v_dual_fmac_f32 v98, v53, v40 :: v_dual_add_f32 v7, v7, v99
	s_waitcnt lgkmcnt(9)
	v_dual_add_f32 v8, v8, v100 :: v_dual_mul_f32 v47, v55, v59
	v_fma_f32 v104, v44, v32, -v27
	v_fma_f32 v46, v46, v34, -v31
	s_delay_alu instid0(VALU_DEP_3) | instskip(SKIP_3) | instid1(VALU_DEP_3)
	v_dual_add_f32 v7, v7, v103 :: v_dual_add_f32 v8, v8, v101
	v_dual_mul_f32 v99, v54, v59 :: v_dual_mul_f32 v100, v56, v61
	s_waitcnt lgkmcnt(7)
	v_mul_f32_e32 v59, v67, v63
	v_dual_add_f32 v7, v7, v104 :: v_dual_add_f32 v8, v8, v102
	s_delay_alu instid0(VALU_DEP_3) | instskip(SKIP_1) | instid1(VALU_DEP_3)
	v_dual_mul_f32 v101, v66, v63 :: v_dual_fmac_f32 v100, v57, v60
	v_fma_f32 v106, v48, v36, -v33
	v_dual_add_f32 v7, v7, v46 :: v_dual_add_f32 v8, v8, v105
	v_dual_mul_f32 v42, v51, v39 :: v_dual_mul_f32 v39, v53, v41
	v_mul_f32_e32 v103, v68, v65
	s_delay_alu instid0(VALU_DEP_3) | instskip(NEXT) | instid1(VALU_DEP_3)
	v_dual_fmac_f32 v101, v67, v62 :: v_dual_add_f32 v8, v8, v107
	v_fma_f32 v108, v50, v38, -v42
	v_mul_f32_e32 v48, v57, v61
	v_fma_f32 v63, v54, v58, -v47
	v_dual_fmac_f32 v99, v55, v58 :: v_dual_mul_f32 v54, v69, v65
	v_fma_f32 v104, v66, v62, -v59
	v_add_f32_e32 v7, v7, v106
	s_waitcnt lgkmcnt(5)
	v_dual_mul_f32 v62, v71, v75 :: v_dual_fmac_f32 v103, v69, v64
	v_add_f32_e32 v8, v8, v98
	v_fma_f32 v109, v52, v40, -v39
	v_fma_f32 v105, v68, v64, -v54
	v_dual_mul_f32 v64, v73, v77 :: v_dual_add_f32 v7, v7, v108
	s_delay_alu instid0(VALU_DEP_4)
	v_add_f32_e32 v8, v8, v99
	ds_load_2addr_b64 v[22:25], v20 offset0:64 offset1:96
	s_waitcnt lgkmcnt(4)
	v_dual_mul_f32 v77, v72, v77 :: v_dual_mul_f32 v98, v83, v79
	v_dual_add_f32 v7, v7, v109 :: v_dual_add_f32 v8, v8, v100
	v_fma_f32 v102, v56, v60, -v48
	v_mul_f32_e32 v75, v70, v75
	v_mul_f32_e32 v79, v82, v79
	v_fma_f32 v99, v70, v74, -v62
	v_dual_fmac_f32 v77, v73, v76 :: v_dual_add_f32 v8, v8, v101
	v_dual_mul_f32 v70, v85, v81 :: v_dual_add_f32 v7, v7, v63
	v_fmac_f32_e32 v75, v71, v74
	v_fma_f32 v74, v72, v76, -v64
	v_mul_f32_e32 v76, v84, v81
	v_fma_f32 v81, v82, v78, -v98
	s_waitcnt lgkmcnt(2)
	v_dual_fmac_f32 v79, v83, v78 :: v_dual_mul_f32 v82, v86, v91
	v_fma_f32 v78, v84, v80, -v70
	v_add_f32_e32 v8, v8, v103
	v_dual_mul_f32 v84, v89, v93 :: v_dual_add_f32 v7, v7, v102
	ds_load_2addr_b64 v[26:29], v20 offset0:128 offset1:160
	v_fmac_f32_e32 v76, v85, v80
	v_add_f32_e32 v8, v8, v75
	ds_load_b128 v[30:33], v11 offset:160
	ds_load_b128 v[34:37], v11 offset:176
	v_add_f32_e32 v7, v7, v104
	s_waitcnt lgkmcnt(3)
	v_mul_f32_e32 v85, v23, v95
	v_dual_mul_f32 v80, v87, v91 :: v_dual_mul_f32 v83, v88, v93
	v_add_f32_e32 v8, v8, v77
	v_add_f32_e32 v7, v7, v105
	v_dual_mul_f32 v91, v22, v95 :: v_dual_fmac_f32 v82, v87, v90
	ds_load_2addr_b64 v[38:41], v20 offset0:192 offset1:224
	v_add_f32_e32 v8, v8, v79
	v_add_f32_e32 v7, v7, v99
	ds_load_2addr_b64 v[42:45], v21 offset1:32
	ds_load_b128 v[46:49], v11 offset:192
	ds_load_b128 v[50:53], v11 offset:208
	ds_load_2addr_b64 v[54:57], v21 offset0:64 offset1:96
	v_add_f32_e32 v8, v8, v76
	v_fmac_f32_e32 v83, v89, v92
	v_fmac_f32_e32 v91, v23, v94
	v_fma_f32 v79, v86, v90, -v80
	s_waitcnt lgkmcnt(6)
	v_mul_f32_e32 v95, v27, v31
	v_dual_mul_f32 v31, v26, v31 :: v_dual_add_f32 v8, v8, v82
	v_mul_f32_e32 v77, v29, v33
	v_fma_f32 v80, v88, v92, -v84
	v_mul_f32_e32 v75, v25, v97
	s_delay_alu instid0(VALU_DEP_4)
	v_dual_fmac_f32 v31, v27, v30 :: v_dual_add_f32 v8, v8, v83
	v_add_f32_e32 v7, v7, v74
	v_mul_f32_e32 v93, v24, v97
	v_fma_f32 v22, v22, v94, -v85
	ds_load_2addr_b64 v[58:61], v21 offset0:128 offset1:160
	v_dual_add_f32 v8, v8, v91 :: v_dual_add_f32 v7, v7, v81
	ds_load_b128 v[62:65], v11 offset:224
	ds_load_b128 v[66:69], v11 offset:240
	ds_load_2addr_b64 v[70:73], v21 offset0:192 offset1:224
	s_waitcnt lgkmcnt(8)
	v_mul_f32_e32 v74, v39, v35
	v_fma_f32 v24, v24, v96, -v75
	v_add_f32_e32 v7, v7, v78
	s_waitcnt lgkmcnt(6)
	v_dual_mul_f32 v78, v43, v47 :: v_dual_fmac_f32 v93, v25, v96
	v_mul_f32_e32 v33, v28, v33
	v_mul_f32_e32 v35, v38, v35
	v_dual_add_f32 v7, v7, v79 :: v_dual_mul_f32 v76, v41, v37
	s_delay_alu instid0(VALU_DEP_4) | instskip(SKIP_2) | instid1(VALU_DEP_4)
	v_add_f32_e32 v8, v8, v93
	v_fma_f32 v26, v26, v30, -v95
	v_fma_f32 v27, v28, v32, -v77
	v_add_f32_e32 v7, v7, v80
	v_mul_f32_e32 v37, v40, v37
	v_dual_add_f32 v8, v8, v31 :: v_dual_fmac_f32 v35, v39, v34
	v_fma_f32 v28, v38, v34, -v74
	s_waitcnt lgkmcnt(4)
	v_dual_add_f32 v7, v7, v22 :: v_dual_mul_f32 v22, v54, v51
	v_fmac_f32_e32 v33, v29, v32
	v_mul_f32_e32 v47, v42, v47
	v_mul_f32_e32 v23, v44, v49
	s_delay_alu instid0(VALU_DEP_4)
	v_add_f32_e32 v7, v7, v24
	v_fma_f32 v29, v40, v36, -v76
	v_add_f32_e32 v8, v8, v33
	v_mul_f32_e32 v81, v45, v49
	v_fmac_f32_e32 v47, v43, v46
	v_add_f32_e32 v7, v7, v26
	v_fmac_f32_e32 v22, v55, v50
	v_dual_add_f32 v8, v8, v35 :: v_dual_fmac_f32 v23, v45, v48
	s_delay_alu instid0(VALU_DEP_3) | instskip(SKIP_3) | instid1(VALU_DEP_4)
	v_dual_mul_f32 v26, v56, v53 :: v_dual_add_f32 v7, v7, v27
	v_fma_f32 v30, v42, v46, -v78
	v_fma_f32 v31, v44, v48, -v81
	v_mul_f32_e32 v24, v57, v53
	v_fmac_f32_e32 v26, v57, v52
	s_waitcnt lgkmcnt(2)
	v_dual_add_f32 v7, v7, v28 :: v_dual_mul_f32 v28, v58, v63
	v_fmac_f32_e32 v37, v41, v36
	v_fma_f32 v24, v56, v52, -v24
	s_delay_alu instid0(VALU_DEP_3) | instskip(NEXT) | instid1(VALU_DEP_4)
	v_add_f32_e32 v7, v7, v29
	v_fmac_f32_e32 v28, v59, v62
	s_delay_alu instid0(VALU_DEP_4) | instskip(SKIP_1) | instid1(VALU_DEP_2)
	v_add_f32_e32 v8, v8, v37
	v_mul_f32_e32 v29, v61, v65
	v_dual_add_f32 v7, v7, v30 :: v_dual_add_f32 v8, v8, v47
	s_delay_alu instid0(VALU_DEP_1) | instskip(NEXT) | instid1(VALU_DEP_2)
	v_add_f32_e32 v7, v7, v31
	v_add_f32_e32 v8, v8, v23
	v_mul_f32_e32 v25, v55, v51
	v_mul_f32_e32 v23, v60, v65
	s_delay_alu instid0(VALU_DEP_3) | instskip(NEXT) | instid1(VALU_DEP_3)
	v_add_f32_e32 v8, v8, v22
	v_fma_f32 v25, v54, v50, -v25
	s_waitcnt lgkmcnt(0)
	s_delay_alu instid0(VALU_DEP_3) | instskip(NEXT) | instid1(VALU_DEP_2)
	v_dual_fmac_f32 v23, v61, v64 :: v_dual_mul_f32 v22, v71, v67
	v_dual_add_f32 v8, v8, v26 :: v_dual_add_f32 v7, v7, v25
	v_mul_f32_e32 v25, v70, v67
	s_delay_alu instid0(VALU_DEP_3) | instskip(NEXT) | instid1(VALU_DEP_3)
	v_fma_f32 v22, v70, v66, -v22
	v_add_f32_e32 v8, v8, v28
	s_delay_alu instid0(VALU_DEP_4) | instskip(NEXT) | instid1(VALU_DEP_2)
	v_dual_add_f32 v7, v7, v24 :: v_dual_mul_f32 v24, v72, v69
	v_dual_fmac_f32 v25, v71, v66 :: v_dual_add_f32 v8, v8, v23
	v_mul_f32_e32 v23, v73, v69
	s_delay_alu instid0(VALU_DEP_3) | instskip(NEXT) | instid1(VALU_DEP_3)
	v_fmac_f32_e32 v24, v73, v68
	v_dual_add_f32 v8, v8, v25 :: v_dual_mul_f32 v27, v59, v63
	s_delay_alu instid0(VALU_DEP_3) | instskip(NEXT) | instid1(VALU_DEP_2)
	v_fma_f32 v23, v72, v68, -v23
	v_add_f32_e32 v8, v8, v24
	s_delay_alu instid0(VALU_DEP_3) | instskip(SKIP_1) | instid1(VALU_DEP_2)
	v_fma_f32 v26, v58, v62, -v27
	v_fma_f32 v27, v60, v64, -v29
	v_add_f32_e32 v7, v7, v26
	s_delay_alu instid0(VALU_DEP_1) | instskip(NEXT) | instid1(VALU_DEP_1)
	v_add_f32_e32 v7, v7, v27
	v_dual_add_f32 v7, v7, v22 :: v_dual_mul_f32 v22, s17, v8
	s_delay_alu instid0(VALU_DEP_1) | instskip(NEXT) | instid1(VALU_DEP_1)
	v_dual_mul_f32 v8, s16, v8 :: v_dual_add_f32 v7, v7, v23
	v_fma_f32 v22, s16, v7, -v22
	s_waitcnt vmcnt(0)
	s_delay_alu instid0(VALU_DEP_1) | instskip(NEXT) | instid1(VALU_DEP_1)
	v_dual_fmac_f32 v8, s17, v7 :: v_dual_add_f32 v5, v5, v22
	v_add_f32_e32 v6, v6, v8
	global_store_b64 v[3:4], v[5:6], off
	s_branch .LBB845_4
.LBB845_11:
	v_cmp_eq_u32_e32 vcc_lo, v0, v2
	v_cmp_gt_i32_e64 s0, s5, v0
	s_delay_alu instid0(VALU_DEP_1) | instskip(NEXT) | instid1(SALU_CYCLE_1)
	s_and_b32 s0, vcc_lo, s0
	s_and_saveexec_b32 s1, s0
	s_cbranch_execz .LBB845_13
; %bb.12:
	v_mad_i64_i32 v[2:3], null, s3, v0, 0
	v_lshlrev_b64 v[0:1], 3, v[0:1]
	s_delay_alu instid0(VALU_DEP_2) | instskip(NEXT) | instid1(VALU_DEP_1)
	v_lshlrev_b64 v[2:3], 3, v[2:3]
	v_add_co_u32 v2, vcc_lo, s4, v2
	s_delay_alu instid0(VALU_DEP_2) | instskip(NEXT) | instid1(VALU_DEP_2)
	v_add_co_ci_u32_e32 v3, vcc_lo, s7, v3, vcc_lo
	v_add_co_u32 v0, vcc_lo, v2, v0
	s_delay_alu instid0(VALU_DEP_2)
	v_add_co_ci_u32_e32 v1, vcc_lo, v3, v1, vcc_lo
	v_mov_b32_e32 v2, 0
	global_store_b32 v[0:1], v2, off offset:4
.LBB845_13:
	s_nop 0
	s_sendmsg sendmsg(MSG_DEALLOC_VGPRS)
	s_endpgm
	.section	.rodata,"a",@progbits
	.p2align	6, 0x0
	.amdhsa_kernel _ZL26rocblas_syr2k_her2k_kernelIiLb0ELb1ELb0ELi32EPK19rocblas_complex_numIfEPKS3_PKPS1_EvbiT_T4_T5_S9_lSB_S9_lT6_S9_li
		.amdhsa_group_segment_fixed_size 16384
		.amdhsa_private_segment_fixed_size 0
		.amdhsa_kernarg_size 100
		.amdhsa_user_sgpr_count 13
		.amdhsa_user_sgpr_dispatch_ptr 0
		.amdhsa_user_sgpr_queue_ptr 0
		.amdhsa_user_sgpr_kernarg_segment_ptr 1
		.amdhsa_user_sgpr_dispatch_id 0
		.amdhsa_user_sgpr_private_segment_size 0
		.amdhsa_wavefront_size32 1
		.amdhsa_uses_dynamic_stack 0
		.amdhsa_enable_private_segment 0
		.amdhsa_system_sgpr_workgroup_id_x 1
		.amdhsa_system_sgpr_workgroup_id_y 1
		.amdhsa_system_sgpr_workgroup_id_z 1
		.amdhsa_system_sgpr_workgroup_info 0
		.amdhsa_system_vgpr_workitem_id 1
		.amdhsa_next_free_vgpr 110
		.amdhsa_next_free_sgpr 24
		.amdhsa_reserve_vcc 1
		.amdhsa_float_round_mode_32 0
		.amdhsa_float_round_mode_16_64 0
		.amdhsa_float_denorm_mode_32 3
		.amdhsa_float_denorm_mode_16_64 3
		.amdhsa_dx10_clamp 1
		.amdhsa_ieee_mode 1
		.amdhsa_fp16_overflow 0
		.amdhsa_workgroup_processor_mode 1
		.amdhsa_memory_ordered 1
		.amdhsa_forward_progress 0
		.amdhsa_shared_vgpr_count 0
		.amdhsa_exception_fp_ieee_invalid_op 0
		.amdhsa_exception_fp_denorm_src 0
		.amdhsa_exception_fp_ieee_div_zero 0
		.amdhsa_exception_fp_ieee_overflow 0
		.amdhsa_exception_fp_ieee_underflow 0
		.amdhsa_exception_fp_ieee_inexact 0
		.amdhsa_exception_int_div_zero 0
	.end_amdhsa_kernel
	.section	.text._ZL26rocblas_syr2k_her2k_kernelIiLb0ELb1ELb0ELi32EPK19rocblas_complex_numIfEPKS3_PKPS1_EvbiT_T4_T5_S9_lSB_S9_lT6_S9_li,"axG",@progbits,_ZL26rocblas_syr2k_her2k_kernelIiLb0ELb1ELb0ELi32EPK19rocblas_complex_numIfEPKS3_PKPS1_EvbiT_T4_T5_S9_lSB_S9_lT6_S9_li,comdat
.Lfunc_end845:
	.size	_ZL26rocblas_syr2k_her2k_kernelIiLb0ELb1ELb0ELi32EPK19rocblas_complex_numIfEPKS3_PKPS1_EvbiT_T4_T5_S9_lSB_S9_lT6_S9_li, .Lfunc_end845-_ZL26rocblas_syr2k_her2k_kernelIiLb0ELb1ELb0ELi32EPK19rocblas_complex_numIfEPKS3_PKPS1_EvbiT_T4_T5_S9_lSB_S9_lT6_S9_li
                                        ; -- End function
	.section	.AMDGPU.csdata,"",@progbits
; Kernel info:
; codeLenInByte = 2272
; NumSgprs: 26
; NumVgprs: 110
; ScratchSize: 0
; MemoryBound: 0
; FloatMode: 240
; IeeeMode: 1
; LDSByteSize: 16384 bytes/workgroup (compile time only)
; SGPRBlocks: 3
; VGPRBlocks: 13
; NumSGPRsForWavesPerEU: 26
; NumVGPRsForWavesPerEU: 110
; Occupancy: 12
; WaveLimiterHint : 1
; COMPUTE_PGM_RSRC2:SCRATCH_EN: 0
; COMPUTE_PGM_RSRC2:USER_SGPR: 13
; COMPUTE_PGM_RSRC2:TRAP_HANDLER: 0
; COMPUTE_PGM_RSRC2:TGID_X_EN: 1
; COMPUTE_PGM_RSRC2:TGID_Y_EN: 1
; COMPUTE_PGM_RSRC2:TGID_Z_EN: 1
; COMPUTE_PGM_RSRC2:TIDIG_COMP_CNT: 1
	.section	.text._ZL26rocblas_syr2k_her2k_kernelIiLb0ELb1ELb1ELi32EPK19rocblas_complex_numIfEPKS3_PKPS1_EvbiT_T4_T5_S9_lSB_S9_lT6_S9_li,"axG",@progbits,_ZL26rocblas_syr2k_her2k_kernelIiLb0ELb1ELb1ELi32EPK19rocblas_complex_numIfEPKS3_PKPS1_EvbiT_T4_T5_S9_lSB_S9_lT6_S9_li,comdat
	.globl	_ZL26rocblas_syr2k_her2k_kernelIiLb0ELb1ELb1ELi32EPK19rocblas_complex_numIfEPKS3_PKPS1_EvbiT_T4_T5_S9_lSB_S9_lT6_S9_li ; -- Begin function _ZL26rocblas_syr2k_her2k_kernelIiLb0ELb1ELb1ELi32EPK19rocblas_complex_numIfEPKS3_PKPS1_EvbiT_T4_T5_S9_lSB_S9_lT6_S9_li
	.p2align	8
	.type	_ZL26rocblas_syr2k_her2k_kernelIiLb0ELb1ELb1ELi32EPK19rocblas_complex_numIfEPKS3_PKPS1_EvbiT_T4_T5_S9_lSB_S9_lT6_S9_li,@function
_ZL26rocblas_syr2k_her2k_kernelIiLb0ELb1ELb1ELi32EPK19rocblas_complex_numIfEPKS3_PKPS1_EvbiT_T4_T5_S9_lSB_S9_lT6_S9_li: ; @_ZL26rocblas_syr2k_her2k_kernelIiLb0ELb1ELb1ELi32EPK19rocblas_complex_numIfEPKS3_PKPS1_EvbiT_T4_T5_S9_lSB_S9_lT6_S9_li
; %bb.0:
	s_load_b128 s[16:19], s[0:1], 0x10
	s_waitcnt lgkmcnt(0)
	s_load_b64 s[16:17], s[16:17], 0x0
	s_waitcnt lgkmcnt(0)
	v_cmp_eq_f32_e64 s2, s16, 0
	v_cmp_eq_f32_e64 s3, s17, 0
	s_delay_alu instid0(VALU_DEP_1) | instskip(NEXT) | instid1(SALU_CYCLE_1)
	s_and_b32 s2, s2, s3
	s_and_b32 vcc_lo, exec_lo, s2
	s_cbranch_vccnz .LBB846_13
; %bb.1:
	s_load_b128 s[4:7], s[0:1], 0x0
	s_waitcnt lgkmcnt(0)
	s_lshl_b32 s7, s14, 5
	s_and_b32 s2, 1, s4
	s_lshl_b32 s4, s13, 5
	s_cmp_eq_u32 s2, 1
	s_cselect_b32 s2, -1, 0
	s_delay_alu instid0(SALU_CYCLE_1) | instskip(SKIP_2) | instid1(SALU_CYCLE_1)
	s_and_b32 s3, s2, exec_lo
	s_cselect_b32 s3, s4, s7
	s_cselect_b32 s8, s7, s4
	s_cmp_gt_i32 s3, s8
	s_cbranch_scc1 .LBB846_13
; %bb.2:
	s_clause 0x1
	s_load_b128 s[8:11], s[0:1], 0x40
	s_load_b32 s3, s[0:1], 0x50
	s_mov_b32 s20, s15
	s_mov_b32 s21, 0
	s_load_b64 s[12:13], s[0:1], 0x58
	s_lshl_b64 s[22:23], s[20:21], 3
	v_and_b32_e32 v10, 0x3ff, v0
	v_bfe_u32 v11, v0, 10, 10
	s_delay_alu instid0(VALU_DEP_2) | instskip(NEXT) | instid1(VALU_DEP_2)
	v_add_nc_u32_e32 v0, s4, v10
	v_add_nc_u32_e32 v12, s7, v11
	s_delay_alu instid0(VALU_DEP_2)
	v_cmp_gt_i32_e32 vcc_lo, s5, v0
	v_ashrrev_i32_e32 v1, 31, v0
	s_waitcnt lgkmcnt(0)
	s_add_u32 s10, s10, s22
	s_addc_u32 s11, s11, s23
	s_load_b64 s[10:11], s[10:11], 0x0
	s_lshl_b64 s[12:13], s[12:13], 3
	s_waitcnt lgkmcnt(0)
	s_add_u32 s4, s10, s12
	s_addc_u32 s7, s11, s13
	s_cmp_lt_i32 s6, 1
	s_cbranch_scc1 .LBB846_11
; %bb.3:
	s_clause 0x2
	s_load_b128 s[12:15], s[0:1], 0x28
	s_load_b32 s20, s[0:1], 0x20
	s_load_b32 s24, s[0:1], 0x38
	s_add_u32 s10, s18, s22
	s_addc_u32 s11, s19, s23
	v_mad_i64_i32 v[2:3], null, s3, v12, 0
	s_load_b64 s[10:11], s[10:11], 0x0
	v_cndmask_b32_e64 v6, v0, v12, s2
	v_cndmask_b32_e64 v7, v12, v0, s2
	v_lshlrev_b32_e32 v8, 3, v11
	v_lshlrev_b32_e32 v13, 8, v10
	v_lshlrev_b64 v[4:5], 3, v[0:1]
	v_lshlrev_b64 v[2:3], 3, v[2:3]
	v_cmp_le_i32_e64 s1, v7, v6
	v_or_b32_e32 v15, 0x2000, v8
	v_add_nc_u32_e32 v14, v13, v8
	v_cmp_gt_i32_e64 s0, s5, v12
	v_add_co_u32 v21, s2, s4, v2
	s_waitcnt lgkmcnt(0)
	s_add_u32 s14, s14, s22
	s_addc_u32 s15, s15, s23
	v_mad_i64_i32 v[6:7], null, s20, v0, 0
	s_load_b64 s[14:15], s[14:15], 0x0
	v_mad_i64_i32 v[8:9], null, s24, v12, 0
	v_add_co_ci_u32_e64 v22, s2, s7, v3, s2
	s_lshl_b64 s[12:13], s[12:13], 3
	s_delay_alu instid0(VALU_DEP_3) | instskip(SKIP_2) | instid1(VALU_DEP_3)
	v_lshlrev_b64 v[2:3], 3, v[6:7]
	s_add_u32 s2, s10, s12
	s_addc_u32 s10, s11, s13
	v_lshlrev_b64 v[6:7], 3, v[8:9]
	s_lshl_b64 s[8:9], s[8:9], 3
	v_add_nc_u32_e32 v16, v15, v13
	v_add_co_u32 v17, s2, s2, v2
	s_delay_alu instid0(VALU_DEP_1)
	v_add_co_ci_u32_e64 v18, s2, s10, v3, s2
	v_add_nc_u32_e32 v23, 0x1800, v15
	s_waitcnt lgkmcnt(0)
	s_add_u32 s2, s14, s8
	s_addc_u32 s8, s15, s9
	v_add_co_u32 v19, s2, s2, v6
	s_delay_alu instid0(VALU_DEP_1) | instskip(SKIP_1) | instid1(VALU_DEP_1)
	v_add_co_ci_u32_e64 v20, s2, s8, v7, s2
	v_add_co_u32 v2, s2, v21, v4
	v_add_co_ci_u32_e64 v3, s2, v22, v5, s2
	v_add_nc_u32_e32 v21, 0x800, v15
	v_add_nc_u32_e32 v22, 0x1000, v15
	s_and_b32 s2, s0, vcc_lo
	s_delay_alu instid0(SALU_CYCLE_1)
	s_and_b32 s2, s2, s1
	s_branch .LBB846_5
.LBB846_4:                              ;   in Loop: Header=BB846_5 Depth=1
	s_or_b32 exec_lo, exec_lo, s1
	s_add_i32 s21, s21, 32
	s_waitcnt_vscnt null, 0x0
	s_cmp_ge_i32 s21, s6
	s_barrier
	buffer_gl0_inv
	s_cbranch_scc1 .LBB846_11
.LBB846_5:                              ; =>This Inner Loop Header: Depth=1
	v_dual_mov_b32 v4, 0 :: v_dual_add_nc_u32 v5, s21, v11
	v_dual_mov_b32 v6, 0 :: v_dual_mov_b32 v7, 0
	s_delay_alu instid0(VALU_DEP_2) | instskip(NEXT) | instid1(VALU_DEP_1)
	v_cmp_gt_i32_e64 s1, s6, v5
	s_and_b32 s1, vcc_lo, s1
	s_delay_alu instid0(SALU_CYCLE_1)
	s_and_saveexec_b32 s8, s1
	s_cbranch_execz .LBB846_7
; %bb.6:                                ;   in Loop: Header=BB846_5 Depth=1
	v_ashrrev_i32_e32 v6, 31, v5
	s_delay_alu instid0(VALU_DEP_1) | instskip(NEXT) | instid1(VALU_DEP_1)
	v_lshlrev_b64 v[5:6], 3, v[5:6]
	v_add_co_u32 v5, s1, v17, v5
	s_delay_alu instid0(VALU_DEP_1)
	v_add_co_ci_u32_e64 v6, s1, v18, v6, s1
	global_load_b64 v[6:7], v[5:6], off
	s_waitcnt vmcnt(0)
	v_xor_b32_e32 v7, 0x80000000, v7
.LBB846_7:                              ;   in Loop: Header=BB846_5 Depth=1
	s_or_b32 exec_lo, exec_lo, s8
	v_dual_mov_b32 v5, 0 :: v_dual_add_nc_u32 v8, s21, v10
	ds_store_b64 v14, v[6:7]
	v_cmp_gt_i32_e64 s1, s6, v8
	s_delay_alu instid0(VALU_DEP_1) | instskip(NEXT) | instid1(SALU_CYCLE_1)
	s_and_b32 s1, s0, s1
	s_and_saveexec_b32 s8, s1
	s_cbranch_execz .LBB846_9
; %bb.8:                                ;   in Loop: Header=BB846_5 Depth=1
	v_ashrrev_i32_e32 v9, 31, v8
	s_delay_alu instid0(VALU_DEP_1) | instskip(NEXT) | instid1(VALU_DEP_1)
	v_lshlrev_b64 v[4:5], 3, v[8:9]
	v_add_co_u32 v4, s1, v19, v4
	s_delay_alu instid0(VALU_DEP_1)
	v_add_co_ci_u32_e64 v5, s1, v20, v5, s1
	global_load_b64 v[4:5], v[4:5], off
.LBB846_9:                              ;   in Loop: Header=BB846_5 Depth=1
	s_or_b32 exec_lo, exec_lo, s8
	s_waitcnt vmcnt(0)
	ds_store_b64 v16, v[4:5]
	s_waitcnt lgkmcnt(0)
	s_barrier
	buffer_gl0_inv
	s_and_saveexec_b32 s1, s2
	s_cbranch_execz .LBB846_4
; %bb.10:                               ;   in Loop: Header=BB846_5 Depth=1
	global_load_b64 v[4:5], v[2:3], off
	ds_load_2addr_b64 v[6:9], v15 offset1:32
	ds_load_b128 v[24:27], v13
	ds_load_b128 v[28:31], v13 offset:16
	ds_load_b128 v[32:35], v13 offset:32
	;; [unrolled: 1-line block ×3, first 2 shown]
	ds_load_2addr_b64 v[40:43], v15 offset0:64 offset1:96
	ds_load_2addr_b64 v[44:47], v15 offset0:128 offset1:160
	;; [unrolled: 1-line block ×3, first 2 shown]
	ds_load_2addr_b64 v[52:55], v21 offset1:32
	ds_load_b128 v[56:59], v13 offset:64
	ds_load_b128 v[60:63], v13 offset:80
	ds_load_2addr_b64 v[64:67], v21 offset0:64 offset1:96
	ds_load_2addr_b64 v[68:71], v21 offset0:128 offset1:160
	ds_load_b128 v[72:75], v13 offset:96
	ds_load_b128 v[76:79], v13 offset:112
	ds_load_2addr_b64 v[80:83], v21 offset0:192 offset1:224
	ds_load_2addr_b64 v[84:87], v22 offset1:32
	ds_load_b128 v[88:91], v13 offset:128
	ds_load_b128 v[92:95], v13 offset:144
	s_waitcnt lgkmcnt(17)
	v_mul_f32_e32 v96, v7, v25
	v_dual_mul_f32 v97, v6, v25 :: v_dual_mul_f32 v98, v8, v27
	s_waitcnt lgkmcnt(13)
	v_dual_mul_f32 v25, v9, v27 :: v_dual_mul_f32 v100, v40, v29
	v_mul_f32_e32 v101, v42, v31
	v_fma_f32 v96, v6, v24, -v96
	v_dual_fmac_f32 v97, v7, v24 :: v_dual_fmac_f32 v98, v9, v26
	s_delay_alu instid0(VALU_DEP_4) | instskip(SKIP_4) | instid1(VALU_DEP_3)
	v_fma_f32 v99, v8, v26, -v25
	v_dual_mul_f32 v24, v41, v29 :: v_dual_mul_f32 v25, v43, v31
	s_waitcnt lgkmcnt(12)
	v_dual_mul_f32 v102, v44, v33 :: v_dual_mul_f32 v31, v47, v35
	v_mul_f32_e32 v105, v46, v35
	v_fma_f32 v103, v40, v28, -v24
	v_add_f32_e32 v40, 0, v97
	s_delay_alu instid0(VALU_DEP_4)
	v_fmac_f32_e32 v102, v45, v32
	v_mul_f32_e32 v29, v45, v33
	v_dual_fmac_f32 v105, v47, v34 :: v_dual_fmac_f32 v100, v41, v28
	v_fmac_f32_e32 v101, v43, v30
	v_add_f32_e32 v40, v40, v98
	v_fma_f32 v106, v46, v34, -v31
	s_waitcnt lgkmcnt(11)
	v_dual_mul_f32 v41, v49, v37 :: v_dual_mul_f32 v98, v50, v39
	v_mul_f32_e32 v97, v48, v37
	v_dual_mul_f32 v37, v51, v39 :: v_dual_add_f32 v46, v40, v100
	v_add_f32_e32 v39, 0, v96
	v_fma_f32 v104, v42, v30, -v25
	s_waitcnt lgkmcnt(9)
	v_dual_mul_f32 v47, v53, v57 :: v_dual_mul_f32 v100, v54, v59
	s_delay_alu instid0(VALU_DEP_3) | instskip(SKIP_1) | instid1(VALU_DEP_3)
	v_dual_add_f32 v46, v46, v101 :: v_dual_add_f32 v45, v39, v99
	v_fma_f32 v44, v44, v32, -v29
	v_dual_mul_f32 v99, v52, v57 :: v_dual_fmac_f32 v100, v55, v58
	s_delay_alu instid0(VALU_DEP_3) | instskip(SKIP_2) | instid1(VALU_DEP_3)
	v_dual_add_f32 v46, v46, v102 :: v_dual_add_f32 v45, v45, v103
	v_fma_f32 v96, v48, v36, -v41
	v_dual_fmac_f32 v98, v51, v38 :: v_dual_fmac_f32 v97, v49, v36
	v_dual_mul_f32 v48, v55, v59 :: v_dual_add_f32 v45, v45, v104
	s_waitcnt lgkmcnt(7)
	v_mul_f32_e32 v57, v65, v61
	v_mul_f32_e32 v101, v64, v61
	v_fma_f32 v61, v52, v56, -v47
	v_dual_mul_f32 v52, v67, v63 :: v_dual_fmac_f32 v99, v53, v56
	v_dual_add_f32 v56, v46, v105 :: v_dual_add_f32 v53, v45, v44
	v_mul_f32_e32 v103, v66, v63
	v_fma_f32 v104, v64, v60, -v57
	s_waitcnt lgkmcnt(5)
	v_dual_fmac_f32 v101, v65, v60 :: v_dual_mul_f32 v64, v71, v75
	v_add_f32_e32 v60, v53, v106
	v_fma_f32 v107, v50, v38, -v37
	v_fma_f32 v105, v66, v62, -v52
	v_mul_f32_e32 v75, v70, v75
	v_fma_f32 v102, v54, v58, -v48
	v_add_f32_e32 v60, v60, v96
	s_waitcnt lgkmcnt(3)
	v_dual_mul_f32 v96, v81, v77 :: v_dual_fmac_f32 v103, v67, v62
	v_add_f32_e32 v62, v56, v97
	v_mul_f32_e32 v77, v80, v77
	v_dual_add_f32 v60, v60, v107 :: v_dual_fmac_f32 v75, v71, v74
	s_delay_alu instid0(VALU_DEP_4) | instskip(NEXT) | instid1(VALU_DEP_4)
	v_fma_f32 v80, v80, v76, -v96
	v_dual_add_f32 v62, v62, v98 :: v_dual_mul_f32 v63, v69, v73
	v_mul_f32_e32 v73, v68, v73
	ds_load_2addr_b64 v[24:27], v22 offset0:128 offset1:160
	ds_load_2addr_b64 v[6:9], v22 offset0:64 offset1:96
	v_add_f32_e32 v62, v62, v99
	v_fma_f32 v97, v68, v72, -v63
	v_dual_mul_f32 v68, v83, v79 :: v_dual_fmac_f32 v73, v69, v72
	v_fma_f32 v72, v70, v74, -v64
	v_dual_mul_f32 v74, v82, v79 :: v_dual_add_f32 v69, v60, v61
	v_add_f32_e32 v79, v62, v100
	v_fmac_f32_e32 v77, v81, v76
	v_fma_f32 v76, v82, v78, -v68
	s_delay_alu instid0(VALU_DEP_4)
	v_fmac_f32_e32 v74, v83, v78
	v_add_f32_e32 v78, v69, v102
	ds_load_b128 v[28:31], v13 offset:160
	ds_load_b128 v[32:35], v13 offset:176
	ds_load_2addr_b64 v[36:39], v22 offset0:192 offset1:224
	s_waitcnt lgkmcnt(6)
	v_mul_f32_e32 v81, v85, v89
	v_mul_f32_e32 v82, v84, v89
	v_add_f32_e32 v78, v78, v104
	v_mul_f32_e32 v83, v86, v91
	ds_load_2addr_b64 v[40:43], v23 offset1:32
	ds_load_b128 v[44:47], v13 offset:192
	ds_load_b128 v[48:51], v13 offset:208
	v_fmac_f32_e32 v82, v85, v88
	v_dual_add_f32 v78, v78, v105 :: v_dual_mul_f32 v89, v87, v91
	ds_load_2addr_b64 v[52:55], v23 offset0:64 offset1:96
	ds_load_2addr_b64 v[56:59], v23 offset0:128 offset1:160
	ds_load_b128 v[60:63], v13 offset:224
	ds_load_b128 v[64:67], v13 offset:240
	v_add_f32_e32 v78, v78, v97
	ds_load_2addr_b64 v[68:71], v23 offset0:192 offset1:224
	v_dual_add_f32 v72, v78, v72 :: v_dual_add_f32 v79, v79, v101
	s_waitcnt lgkmcnt(10)
	v_mul_f32_e32 v96, v25, v29
	v_mul_f32_e32 v29, v24, v29
	s_delay_alu instid0(VALU_DEP_3) | instskip(SKIP_1) | instid1(VALU_DEP_4)
	v_dual_fmac_f32 v83, v87, v90 :: v_dual_add_f32 v72, v72, v80
	v_add_f32_e32 v79, v79, v103
	v_fma_f32 v24, v24, v28, -v96
	v_mul_f32_e32 v91, v7, v93
	v_fma_f32 v80, v86, v90, -v89
	s_delay_alu instid0(VALU_DEP_4) | instskip(SKIP_3) | instid1(VALU_DEP_3)
	v_dual_add_f32 v72, v72, v76 :: v_dual_add_f32 v73, v79, v73
	s_waitcnt lgkmcnt(6)
	v_mul_f32_e32 v76, v41, v45
	v_mul_f32_e32 v45, v40, v45
	v_add_f32_e32 v73, v73, v75
	v_mul_f32_e32 v75, v27, v31
	v_mul_f32_e32 v31, v26, v31
	s_delay_alu instid0(VALU_DEP_3) | instskip(NEXT) | instid1(VALU_DEP_1)
	v_add_f32_e32 v73, v73, v77
	v_dual_add_f32 v73, v73, v74 :: v_dual_mul_f32 v74, v39, v35
	v_fma_f32 v78, v84, v88, -v81
	s_delay_alu instid0(VALU_DEP_2) | instskip(SKIP_2) | instid1(VALU_DEP_2)
	v_add_f32_e32 v73, v73, v82
	v_mul_f32_e32 v93, v6, v93
	v_fma_f32 v6, v6, v92, -v91
	v_fmac_f32_e32 v93, v7, v92
	s_delay_alu instid0(VALU_DEP_4) | instskip(NEXT) | instid1(VALU_DEP_1)
	v_dual_add_f32 v7, v72, v78 :: v_dual_add_f32 v72, v73, v83
	v_add_f32_e32 v7, v7, v80
	v_mul_f32_e32 v79, v9, v95
	s_delay_alu instid0(VALU_DEP_2) | instskip(NEXT) | instid1(VALU_DEP_2)
	v_dual_mul_f32 v95, v8, v95 :: v_dual_add_f32 v6, v7, v6
	v_fma_f32 v8, v8, v94, -v79
	s_delay_alu instid0(VALU_DEP_2)
	v_fmac_f32_e32 v95, v9, v94
	v_add_f32_e32 v9, v72, v93
	s_waitcnt lgkmcnt(4)
	v_mul_f32_e32 v72, v53, v49
	v_add_f32_e32 v6, v6, v8
	v_dual_mul_f32 v8, v55, v51 :: v_dual_fmac_f32 v29, v25, v28
	v_fma_f32 v25, v26, v30, -v75
	v_fma_f32 v28, v40, v44, -v76
	s_delay_alu instid0(VALU_DEP_4) | instskip(SKIP_3) | instid1(VALU_DEP_4)
	v_add_f32_e32 v6, v6, v24
	v_mul_f32_e32 v24, v54, v51
	v_mul_f32_e32 v35, v38, v35
	v_fma_f32 v8, v54, v50, -v8
	v_add_f32_e32 v6, v6, v25
	s_delay_alu instid0(VALU_DEP_4) | instskip(NEXT) | instid1(VALU_DEP_4)
	v_dual_fmac_f32 v24, v55, v50 :: v_dual_mul_f32 v77, v37, v33
	v_fmac_f32_e32 v35, v39, v34
	s_waitcnt lgkmcnt(2)
	v_mul_f32_e32 v25, v57, v61
	s_delay_alu instid0(VALU_DEP_3) | instskip(NEXT) | instid1(VALU_DEP_2)
	v_fma_f32 v26, v36, v32, -v77
	v_fma_f32 v25, v56, v60, -v25
	s_delay_alu instid0(VALU_DEP_2) | instskip(SKIP_3) | instid1(VALU_DEP_3)
	v_add_f32_e32 v6, v6, v26
	v_dual_mul_f32 v26, v56, v61 :: v_dual_fmac_f32 v31, v27, v30
	v_fma_f32 v27, v38, v34, -v74
	v_mul_f32_e32 v33, v36, v33
	v_dual_mul_f32 v81, v43, v47 :: v_dual_fmac_f32 v26, v57, v60
	v_mul_f32_e32 v47, v42, v47
	s_delay_alu instid0(VALU_DEP_3) | instskip(SKIP_2) | instid1(VALU_DEP_3)
	v_dual_add_f32 v6, v6, v27 :: v_dual_fmac_f32 v33, v37, v32
	v_fma_f32 v30, v52, v48, -v72
	v_mul_f32_e32 v27, v59, v63
	v_dual_fmac_f32 v47, v43, v46 :: v_dual_add_f32 v6, v6, v28
	v_dual_mul_f32 v28, v58, v63 :: v_dual_fmac_f32 v45, v41, v44
	s_delay_alu instid0(VALU_DEP_1) | instskip(SKIP_1) | instid1(VALU_DEP_2)
	v_dual_fmac_f32 v28, v59, v62 :: v_dual_add_f32 v7, v9, v95
	v_mul_f32_e32 v9, v52, v49
	v_add_f32_e32 v7, v7, v29
	v_fma_f32 v29, v42, v46, -v81
	s_delay_alu instid0(VALU_DEP_3) | instskip(NEXT) | instid1(VALU_DEP_2)
	v_fmac_f32_e32 v9, v53, v48
	v_dual_add_f32 v7, v7, v31 :: v_dual_add_f32 v6, v6, v29
	s_delay_alu instid0(VALU_DEP_1) | instskip(NEXT) | instid1(VALU_DEP_1)
	v_dual_add_f32 v7, v7, v33 :: v_dual_add_f32 v6, v6, v30
	v_dual_add_f32 v7, v7, v35 :: v_dual_add_f32 v6, v6, v8
	s_waitcnt lgkmcnt(0)
	s_delay_alu instid0(VALU_DEP_1) | instskip(NEXT) | instid1(VALU_DEP_2)
	v_dual_mul_f32 v8, v70, v67 :: v_dual_add_f32 v7, v7, v45
	v_dual_add_f32 v6, v6, v25 :: v_dual_mul_f32 v25, v71, v67
	s_delay_alu instid0(VALU_DEP_2) | instskip(NEXT) | instid1(VALU_DEP_3)
	v_fmac_f32_e32 v8, v71, v66
	v_add_f32_e32 v7, v7, v47
	s_delay_alu instid0(VALU_DEP_1) | instskip(SKIP_1) | instid1(VALU_DEP_2)
	v_add_f32_e32 v7, v7, v9
	v_mul_f32_e32 v9, v69, v65
	v_dual_add_f32 v7, v7, v24 :: v_dual_mul_f32 v24, v68, v65
	s_delay_alu instid0(VALU_DEP_2) | instskip(NEXT) | instid1(VALU_DEP_2)
	v_fma_f32 v9, v68, v64, -v9
	v_add_f32_e32 v7, v7, v26
	v_fma_f32 v26, v58, v62, -v27
	s_delay_alu instid0(VALU_DEP_4) | instskip(NEXT) | instid1(VALU_DEP_2)
	v_fmac_f32_e32 v24, v69, v64
	v_dual_add_f32 v7, v7, v28 :: v_dual_add_f32 v6, v6, v26
	s_delay_alu instid0(VALU_DEP_1) | instskip(SKIP_1) | instid1(VALU_DEP_2)
	v_add_f32_e32 v7, v7, v24
	v_fma_f32 v24, v70, v66, -v25
	v_dual_add_f32 v6, v6, v9 :: v_dual_add_f32 v7, v7, v8
	s_delay_alu instid0(VALU_DEP_1) | instskip(NEXT) | instid1(VALU_DEP_2)
	v_add_f32_e32 v6, v6, v24
	v_mul_f32_e32 v8, s17, v7
	v_mul_f32_e32 v7, s16, v7
	s_delay_alu instid0(VALU_DEP_2) | instskip(SKIP_1) | instid1(VALU_DEP_1)
	v_fma_f32 v8, s16, v6, -v8
	s_waitcnt vmcnt(0)
	v_dual_fmac_f32 v7, s17, v6 :: v_dual_add_f32 v4, v4, v8
	s_delay_alu instid0(VALU_DEP_1)
	v_add_f32_e32 v5, v5, v7
	global_store_b64 v[2:3], v[4:5], off
	s_branch .LBB846_4
.LBB846_11:
	v_cmp_eq_u32_e32 vcc_lo, v0, v12
	v_cmp_gt_i32_e64 s0, s5, v0
	s_delay_alu instid0(VALU_DEP_1) | instskip(NEXT) | instid1(SALU_CYCLE_1)
	s_and_b32 s0, vcc_lo, s0
	s_and_saveexec_b32 s1, s0
	s_cbranch_execz .LBB846_13
; %bb.12:
	v_mad_i64_i32 v[2:3], null, s3, v0, 0
	v_lshlrev_b64 v[0:1], 3, v[0:1]
	s_delay_alu instid0(VALU_DEP_2) | instskip(NEXT) | instid1(VALU_DEP_1)
	v_lshlrev_b64 v[2:3], 3, v[2:3]
	v_add_co_u32 v2, vcc_lo, s4, v2
	s_delay_alu instid0(VALU_DEP_2) | instskip(NEXT) | instid1(VALU_DEP_2)
	v_add_co_ci_u32_e32 v3, vcc_lo, s7, v3, vcc_lo
	v_add_co_u32 v0, vcc_lo, v2, v0
	s_delay_alu instid0(VALU_DEP_2)
	v_add_co_ci_u32_e32 v1, vcc_lo, v3, v1, vcc_lo
	v_mov_b32_e32 v2, 0
	global_store_b32 v[0:1], v2, off offset:4
.LBB846_13:
	s_nop 0
	s_sendmsg sendmsg(MSG_DEALLOC_VGPRS)
	s_endpgm
	.section	.rodata,"a",@progbits
	.p2align	6, 0x0
	.amdhsa_kernel _ZL26rocblas_syr2k_her2k_kernelIiLb0ELb1ELb1ELi32EPK19rocblas_complex_numIfEPKS3_PKPS1_EvbiT_T4_T5_S9_lSB_S9_lT6_S9_li
		.amdhsa_group_segment_fixed_size 16384
		.amdhsa_private_segment_fixed_size 0
		.amdhsa_kernarg_size 100
		.amdhsa_user_sgpr_count 13
		.amdhsa_user_sgpr_dispatch_ptr 0
		.amdhsa_user_sgpr_queue_ptr 0
		.amdhsa_user_sgpr_kernarg_segment_ptr 1
		.amdhsa_user_sgpr_dispatch_id 0
		.amdhsa_user_sgpr_private_segment_size 0
		.amdhsa_wavefront_size32 1
		.amdhsa_uses_dynamic_stack 0
		.amdhsa_enable_private_segment 0
		.amdhsa_system_sgpr_workgroup_id_x 1
		.amdhsa_system_sgpr_workgroup_id_y 1
		.amdhsa_system_sgpr_workgroup_id_z 1
		.amdhsa_system_sgpr_workgroup_info 0
		.amdhsa_system_vgpr_workitem_id 1
		.amdhsa_next_free_vgpr 108
		.amdhsa_next_free_sgpr 25
		.amdhsa_reserve_vcc 1
		.amdhsa_float_round_mode_32 0
		.amdhsa_float_round_mode_16_64 0
		.amdhsa_float_denorm_mode_32 3
		.amdhsa_float_denorm_mode_16_64 3
		.amdhsa_dx10_clamp 1
		.amdhsa_ieee_mode 1
		.amdhsa_fp16_overflow 0
		.amdhsa_workgroup_processor_mode 1
		.amdhsa_memory_ordered 1
		.amdhsa_forward_progress 0
		.amdhsa_shared_vgpr_count 0
		.amdhsa_exception_fp_ieee_invalid_op 0
		.amdhsa_exception_fp_denorm_src 0
		.amdhsa_exception_fp_ieee_div_zero 0
		.amdhsa_exception_fp_ieee_overflow 0
		.amdhsa_exception_fp_ieee_underflow 0
		.amdhsa_exception_fp_ieee_inexact 0
		.amdhsa_exception_int_div_zero 0
	.end_amdhsa_kernel
	.section	.text._ZL26rocblas_syr2k_her2k_kernelIiLb0ELb1ELb1ELi32EPK19rocblas_complex_numIfEPKS3_PKPS1_EvbiT_T4_T5_S9_lSB_S9_lT6_S9_li,"axG",@progbits,_ZL26rocblas_syr2k_her2k_kernelIiLb0ELb1ELb1ELi32EPK19rocblas_complex_numIfEPKS3_PKPS1_EvbiT_T4_T5_S9_lSB_S9_lT6_S9_li,comdat
.Lfunc_end846:
	.size	_ZL26rocblas_syr2k_her2k_kernelIiLb0ELb1ELb1ELi32EPK19rocblas_complex_numIfEPKS3_PKPS1_EvbiT_T4_T5_S9_lSB_S9_lT6_S9_li, .Lfunc_end846-_ZL26rocblas_syr2k_her2k_kernelIiLb0ELb1ELb1ELi32EPK19rocblas_complex_numIfEPKS3_PKPS1_EvbiT_T4_T5_S9_lSB_S9_lT6_S9_li
                                        ; -- End function
	.section	.AMDGPU.csdata,"",@progbits
; Kernel info:
; codeLenInByte = 2308
; NumSgprs: 27
; NumVgprs: 108
; ScratchSize: 0
; MemoryBound: 0
; FloatMode: 240
; IeeeMode: 1
; LDSByteSize: 16384 bytes/workgroup (compile time only)
; SGPRBlocks: 3
; VGPRBlocks: 13
; NumSGPRsForWavesPerEU: 27
; NumVGPRsForWavesPerEU: 108
; Occupancy: 12
; WaveLimiterHint : 1
; COMPUTE_PGM_RSRC2:SCRATCH_EN: 0
; COMPUTE_PGM_RSRC2:USER_SGPR: 13
; COMPUTE_PGM_RSRC2:TRAP_HANDLER: 0
; COMPUTE_PGM_RSRC2:TGID_X_EN: 1
; COMPUTE_PGM_RSRC2:TGID_Y_EN: 1
; COMPUTE_PGM_RSRC2:TGID_Z_EN: 1
; COMPUTE_PGM_RSRC2:TIDIG_COMP_CNT: 1
	.section	.text._ZL26rocblas_syr2k_her2k_kernelIiLb0ELb1ELb0ELi32E19rocblas_complex_numIdEPKPKS1_PKPS1_EvbiT_T4_T5_S9_lSB_S9_lT6_S9_li,"axG",@progbits,_ZL26rocblas_syr2k_her2k_kernelIiLb0ELb1ELb0ELi32E19rocblas_complex_numIdEPKPKS1_PKPS1_EvbiT_T4_T5_S9_lSB_S9_lT6_S9_li,comdat
	.globl	_ZL26rocblas_syr2k_her2k_kernelIiLb0ELb1ELb0ELi32E19rocblas_complex_numIdEPKPKS1_PKPS1_EvbiT_T4_T5_S9_lSB_S9_lT6_S9_li ; -- Begin function _ZL26rocblas_syr2k_her2k_kernelIiLb0ELb1ELb0ELi32E19rocblas_complex_numIdEPKPKS1_PKPS1_EvbiT_T4_T5_S9_lSB_S9_lT6_S9_li
	.p2align	8
	.type	_ZL26rocblas_syr2k_her2k_kernelIiLb0ELb1ELb0ELi32E19rocblas_complex_numIdEPKPKS1_PKPS1_EvbiT_T4_T5_S9_lSB_S9_lT6_S9_li,@function
_ZL26rocblas_syr2k_her2k_kernelIiLb0ELb1ELb0ELi32E19rocblas_complex_numIdEPKPKS1_PKPS1_EvbiT_T4_T5_S9_lSB_S9_lT6_S9_li: ; @_ZL26rocblas_syr2k_her2k_kernelIiLb0ELb1ELb0ELi32E19rocblas_complex_numIdEPKPKS1_PKPS1_EvbiT_T4_T5_S9_lSB_S9_lT6_S9_li
; %bb.0:
	s_load_b128 s[4:7], s[0:1], 0x10
	s_waitcnt lgkmcnt(0)
	v_cmp_eq_f64_e64 s2, s[4:5], 0
	v_cmp_eq_f64_e64 s3, s[6:7], 0
	s_delay_alu instid0(VALU_DEP_1) | instskip(NEXT) | instid1(SALU_CYCLE_1)
	s_and_b32 s2, s2, s3
	s_and_b32 vcc_lo, exec_lo, s2
	s_cbranch_vccnz .LBB847_13
; %bb.1:
	s_load_b128 s[8:11], s[0:1], 0x0
	s_waitcnt lgkmcnt(0)
	s_lshl_b32 s11, s14, 5
	s_and_b32 s2, 1, s8
	s_lshl_b32 s8, s13, 5
	s_cmp_eq_u32 s2, 1
	s_cselect_b32 s2, -1, 0
	s_delay_alu instid0(SALU_CYCLE_1) | instskip(SKIP_2) | instid1(SALU_CYCLE_1)
	s_and_b32 s3, s2, exec_lo
	s_cselect_b32 s3, s8, s11
	s_cselect_b32 s12, s11, s8
	s_cmp_gt_i32 s3, s12
	s_cbranch_scc1 .LBB847_13
; %bb.2:
	s_mov_b32 s20, s15
	s_clause 0x1
	s_load_b128 s[12:15], s[0:1], 0x48
	s_load_b32 s3, s[0:1], 0x58
	s_mov_b32 s21, 0
	s_load_b64 s[16:17], s[0:1], 0x60
	s_lshl_b64 s[22:23], s[20:21], 3
	v_and_b32_e32 v13, 0x3ff, v0
	v_bfe_u32 v14, v0, 10, 10
	s_delay_alu instid0(VALU_DEP_2) | instskip(NEXT) | instid1(VALU_DEP_2)
	v_add_nc_u32_e32 v8, s8, v13
	v_add_nc_u32_e32 v10, s11, v14
	s_delay_alu instid0(VALU_DEP_2)
	v_cmp_gt_i32_e32 vcc_lo, s9, v8
	v_ashrrev_i32_e32 v9, 31, v8
	s_waitcnt lgkmcnt(0)
	s_add_u32 s14, s14, s22
	s_addc_u32 s15, s15, s23
	s_load_b64 s[14:15], s[14:15], 0x0
	s_lshl_b64 s[16:17], s[16:17], 4
	s_waitcnt lgkmcnt(0)
	s_add_u32 s8, s14, s16
	s_addc_u32 s11, s15, s17
	s_cmp_lt_i32 s10, 1
	s_cbranch_scc1 .LBB847_11
; %bb.3:
	s_clause 0x2
	s_load_b64 s[24:25], s[0:1], 0x20
	s_load_b128 s[16:19], s[0:1], 0x30
	s_load_b32 s14, s[0:1], 0x28
	v_mad_i64_i32 v[0:1], null, s3, v10, 0
	v_lshlrev_b32_e32 v4, 4, v14
	v_lshlrev_b32_e32 v15, 9, v13
	v_ashrrev_i32_e32 v11, 31, v10
	v_lshlrev_b64 v[2:3], 4, v[8:9]
	v_cndmask_b32_e64 v6, v8, v10, s2
	v_cndmask_b32_e64 v7, v10, v8, s2
	v_lshlrev_b64 v[0:1], 4, v[0:1]
	v_add_nc_u32_e32 v16, v15, v4
	v_or_b32_e32 v17, 0x4000, v4
	v_lshlrev_b64 v[4:5], 4, v[10:11]
	s_delay_alu instid0(VALU_DEP_4) | instskip(NEXT) | instid1(VALU_DEP_1)
	v_add_co_u32 v0, s2, s8, v0
	v_add_co_ci_u32_e64 v1, s2, s11, v1, s2
	s_waitcnt lgkmcnt(0)
	s_add_u32 s24, s24, s22
	s_addc_u32 s25, s25, s23
	s_load_b32 s15, s[0:1], 0x40
	s_load_b64 s[24:25], s[24:25], 0x0
	s_add_u32 s0, s18, s22
	s_addc_u32 s1, s19, s23
	s_lshl_b64 s[16:17], s[16:17], 4
	s_load_b64 s[18:19], s[0:1], 0x0
	v_cmp_gt_i32_e64 s0, s9, v10
	v_cmp_le_i32_e64 s1, v7, v6
	v_add_nc_u32_e32 v18, v17, v15
	s_waitcnt lgkmcnt(0)
	s_add_u32 s16, s24, s16
	s_addc_u32 s17, s25, s17
	s_lshl_b64 s[12:13], s[12:13], 4
	v_add_co_u32 v19, s2, s16, v2
	s_add_u32 s12, s18, s12
	v_add_co_ci_u32_e64 v20, s2, s17, v3, s2
	s_addc_u32 s13, s19, s13
	v_add_co_u32 v21, s2, s12, v4
	s_delay_alu instid0(VALU_DEP_1) | instskip(SKIP_1) | instid1(VALU_DEP_1)
	v_add_co_ci_u32_e64 v22, s2, s13, v5, s2
	v_add_co_u32 v11, s2, v0, v2
	v_add_co_ci_u32_e64 v12, s2, v1, v3, s2
	s_and_b32 s2, s0, vcc_lo
	s_delay_alu instid0(SALU_CYCLE_1)
	s_and_b32 s2, s2, s1
	s_branch .LBB847_5
.LBB847_4:                              ;   in Loop: Header=BB847_5 Depth=1
	s_or_b32 exec_lo, exec_lo, s1
	s_add_i32 s21, s21, 32
	s_waitcnt_vscnt null, 0x0
	s_cmp_ge_i32 s21, s10
	s_barrier
	buffer_gl0_inv
	s_cbranch_scc1 .LBB847_11
.LBB847_5:                              ; =>This Inner Loop Header: Depth=1
	v_add_nc_u32_e32 v2, s21, v14
	v_mov_b32_e32 v0, 0
	v_mov_b32_e32 v1, 0
	s_delay_alu instid0(VALU_DEP_3) | instskip(NEXT) | instid1(VALU_DEP_2)
	v_cmp_gt_i32_e64 s1, s10, v2
	v_dual_mov_b32 v5, v1 :: v_dual_mov_b32 v4, v0
	v_dual_mov_b32 v7, v1 :: v_dual_mov_b32 v6, v0
	s_delay_alu instid0(VALU_DEP_3) | instskip(NEXT) | instid1(SALU_CYCLE_1)
	s_and_b32 s1, vcc_lo, s1
	s_and_saveexec_b32 s12, s1
	s_cbranch_execz .LBB847_7
; %bb.6:                                ;   in Loop: Header=BB847_5 Depth=1
	v_mad_i64_i32 v[3:4], null, v2, s14, 0
	s_delay_alu instid0(VALU_DEP_1) | instskip(NEXT) | instid1(VALU_DEP_1)
	v_lshlrev_b64 v[2:3], 4, v[3:4]
	v_add_co_u32 v2, s1, v19, v2
	s_delay_alu instid0(VALU_DEP_1)
	v_add_co_ci_u32_e64 v3, s1, v20, v3, s1
	global_load_b128 v[4:7], v[2:3], off
.LBB847_7:                              ;   in Loop: Header=BB847_5 Depth=1
	s_or_b32 exec_lo, exec_lo, s12
	v_add_nc_u32_e32 v23, s21, v13
	v_dual_mov_b32 v3, v1 :: v_dual_mov_b32 v2, v0
	s_waitcnt vmcnt(0)
	ds_store_b128 v16, v[4:7]
	v_cmp_gt_i32_e64 s1, s10, v23
	s_delay_alu instid0(VALU_DEP_1) | instskip(NEXT) | instid1(SALU_CYCLE_1)
	s_and_b32 s1, s0, s1
	s_and_saveexec_b32 s12, s1
	s_cbranch_execz .LBB847_9
; %bb.8:                                ;   in Loop: Header=BB847_5 Depth=1
	v_mad_i64_i32 v[0:1], null, v23, s15, 0
	s_delay_alu instid0(VALU_DEP_1) | instskip(NEXT) | instid1(VALU_DEP_1)
	v_lshlrev_b64 v[0:1], 4, v[0:1]
	v_add_co_u32 v0, s1, v21, v0
	s_delay_alu instid0(VALU_DEP_1)
	v_add_co_ci_u32_e64 v1, s1, v22, v1, s1
	global_load_b128 v[0:3], v[0:1], off
	s_waitcnt vmcnt(0)
	v_xor_b32_e32 v3, 0x80000000, v3
.LBB847_9:                              ;   in Loop: Header=BB847_5 Depth=1
	s_or_b32 exec_lo, exec_lo, s12
	ds_store_b128 v18, v[0:3]
	s_waitcnt lgkmcnt(0)
	s_barrier
	buffer_gl0_inv
	s_and_saveexec_b32 s1, s2
	s_cbranch_execz .LBB847_4
; %bb.10:                               ;   in Loop: Header=BB847_5 Depth=1
	ds_load_b128 v[0:3], v17
	ds_load_b128 v[4:7], v15
	ds_load_b128 v[23:26], v15 offset:16
	ds_load_b128 v[27:30], v17 offset:512
	s_waitcnt lgkmcnt(2)
	v_mul_f64 v[31:32], v[0:1], v[6:7]
	v_mul_f64 v[6:7], v[2:3], v[6:7]
	s_waitcnt lgkmcnt(0)
	v_mul_f64 v[47:48], v[27:28], v[25:26]
	v_mul_f64 v[25:26], v[29:30], v[25:26]
	s_delay_alu instid0(VALU_DEP_4)
	v_fma_f64 v[2:3], v[2:3], v[4:5], v[31:32]
	ds_load_b128 v[31:34], v17 offset:1024
	ds_load_b128 v[35:38], v15 offset:32
	;; [unrolled: 1-line block ×4, first 2 shown]
	v_fma_f64 v[0:1], v[0:1], v[4:5], -v[6:7]
	v_fma_f64 v[4:5], v[29:30], v[23:24], v[47:48]
	v_fma_f64 v[51:52], v[27:28], v[23:24], -v[25:26]
	s_waitcnt lgkmcnt(2)
	v_mul_f64 v[49:50], v[31:32], v[37:38]
	v_mul_f64 v[37:38], v[33:34], v[37:38]
	s_waitcnt lgkmcnt(0)
	v_mul_f64 v[47:48], v[43:44], v[41:42]
	v_mul_f64 v[41:42], v[45:46], v[41:42]
	v_add_f64 v[2:3], v[2:3], 0
	v_fma_f64 v[33:34], v[33:34], v[35:36], v[49:50]
	v_add_f64 v[49:50], v[0:1], 0
	v_fma_f64 v[31:32], v[31:32], v[35:36], -v[37:38]
	v_fma_f64 v[35:36], v[45:46], v[39:40], v[47:48]
	v_add_f64 v[53:54], v[2:3], v[4:5]
	ds_load_b128 v[0:3], v15 offset:64
	ds_load_b128 v[4:7], v17 offset:2048
	ds_load_b128 v[23:26], v17 offset:2560
	ds_load_b128 v[27:30], v15 offset:80
	s_waitcnt lgkmcnt(2)
	v_mul_f64 v[55:56], v[4:5], v[2:3]
	v_add_f64 v[37:38], v[49:50], v[51:52]
	v_mul_f64 v[2:3], v[6:7], v[2:3]
	s_waitcnt lgkmcnt(0)
	v_mul_f64 v[47:48], v[23:24], v[29:30]
	v_fma_f64 v[49:50], v[43:44], v[39:40], -v[41:42]
	v_mul_f64 v[29:30], v[25:26], v[29:30]
	v_add_f64 v[33:34], v[53:54], v[33:34]
	v_fma_f64 v[6:7], v[6:7], v[0:1], v[55:56]
	v_add_f64 v[51:52], v[37:38], v[31:32]
	v_fma_f64 v[0:1], v[4:5], v[0:1], -v[2:3]
	v_fma_f64 v[2:3], v[25:26], v[27:28], v[47:48]
	v_add_f64 v[53:54], v[33:34], v[35:36]
	ds_load_b128 v[31:34], v15 offset:96
	ds_load_b128 v[35:38], v17 offset:3072
	ds_load_b128 v[39:42], v17 offset:3584
	ds_load_b128 v[43:46], v15 offset:112
	s_waitcnt lgkmcnt(2)
	v_mul_f64 v[55:56], v[35:36], v[33:34]
	v_add_f64 v[4:5], v[51:52], v[49:50]
	v_mul_f64 v[33:34], v[37:38], v[33:34]
	s_waitcnt lgkmcnt(0)
	v_mul_f64 v[47:48], v[39:40], v[45:46]
	v_fma_f64 v[49:50], v[23:24], v[27:28], -v[29:30]
	;; [unrolled: 18-line block ×11, first 2 shown]
	v_mul_f64 v[29:30], v[25:26], v[29:30]
	v_add_f64 v[37:38], v[53:54], v[37:38]
	v_fma_f64 v[6:7], v[6:7], v[0:1], v[55:56]
	v_add_f64 v[51:52], v[35:36], v[31:32]
	v_fma_f64 v[0:1], v[4:5], v[0:1], -v[2:3]
	v_fma_f64 v[2:3], v[25:26], v[27:28], v[47:48]
	v_add_f64 v[53:54], v[37:38], v[33:34]
	ds_load_b128 v[31:34], v15 offset:416
	ds_load_b128 v[35:38], v17 offset:13312
	;; [unrolled: 1-line block ×4, first 2 shown]
	s_waitcnt lgkmcnt(2)
	v_mul_f64 v[55:56], v[35:36], v[33:34]
	v_add_f64 v[4:5], v[51:52], v[49:50]
	v_mul_f64 v[33:34], v[37:38], v[33:34]
	s_waitcnt lgkmcnt(0)
	v_mul_f64 v[51:52], v[39:40], v[45:46]
	v_mul_f64 v[45:46], v[41:42], v[45:46]
	v_add_f64 v[6:7], v[53:54], v[6:7]
	v_fma_f64 v[53:54], v[23:24], v[27:28], -v[29:30]
	v_fma_f64 v[37:38], v[37:38], v[31:32], v[55:56]
	v_add_f64 v[55:56], v[4:5], v[0:1]
	v_fma_f64 v[31:32], v[35:36], v[31:32], -v[33:34]
	v_fma_f64 v[33:34], v[41:42], v[43:44], v[51:52]
	v_add_f64 v[57:58], v[6:7], v[2:3]
	ds_load_b128 v[0:3], v15 offset:448
	ds_load_b128 v[4:7], v17 offset:14336
	global_load_b128 v[23:26], v[11:12], off
	ds_load_b128 v[27:30], v17 offset:14848
	ds_load_b128 v[47:50], v15 offset:464
	v_add_f64 v[35:36], v[55:56], v[53:54]
	s_waitcnt lgkmcnt(2)
	v_mul_f64 v[59:60], v[4:5], v[2:3]
	v_mul_f64 v[2:3], v[6:7], v[2:3]
	s_waitcnt lgkmcnt(0)
	v_mul_f64 v[51:52], v[27:28], v[49:50]
	v_fma_f64 v[53:54], v[39:40], v[43:44], -v[45:46]
	v_mul_f64 v[49:50], v[29:30], v[49:50]
	v_add_f64 v[37:38], v[57:58], v[37:38]
	v_add_f64 v[55:56], v[35:36], v[31:32]
	v_fma_f64 v[6:7], v[6:7], v[0:1], v[59:60]
	v_fma_f64 v[0:1], v[4:5], v[0:1], -v[2:3]
	v_fma_f64 v[2:3], v[29:30], v[47:48], v[51:52]
	v_fma_f64 v[27:28], v[27:28], v[47:48], -v[49:50]
	v_add_f64 v[57:58], v[37:38], v[33:34]
	ds_load_b128 v[31:34], v15 offset:480
	ds_load_b128 v[35:38], v17 offset:15360
	ds_load_b128 v[39:42], v17 offset:15872
	ds_load_b128 v[43:46], v15 offset:496
	s_waitcnt lgkmcnt(2)
	v_mul_f64 v[59:60], v[35:36], v[33:34]
	v_add_f64 v[4:5], v[55:56], v[53:54]
	v_mul_f64 v[29:30], v[37:38], v[33:34]
	s_waitcnt lgkmcnt(0)
	v_mul_f64 v[33:34], v[39:40], v[45:46]
	v_add_f64 v[6:7], v[57:58], v[6:7]
	v_fma_f64 v[37:38], v[37:38], v[31:32], v[59:60]
	v_add_f64 v[0:1], v[4:5], v[0:1]
	v_mul_f64 v[4:5], v[41:42], v[45:46]
	s_delay_alu instid0(VALU_DEP_4)
	v_add_f64 v[2:3], v[6:7], v[2:3]
	v_fma_f64 v[6:7], v[35:36], v[31:32], -v[29:30]
	v_fma_f64 v[29:30], v[41:42], v[43:44], v[33:34]
	v_add_f64 v[0:1], v[0:1], v[27:28]
	v_fma_f64 v[4:5], v[39:40], v[43:44], -v[4:5]
	v_add_f64 v[2:3], v[2:3], v[37:38]
	s_delay_alu instid0(VALU_DEP_3) | instskip(NEXT) | instid1(VALU_DEP_2)
	v_add_f64 v[0:1], v[0:1], v[6:7]
	v_add_f64 v[2:3], v[2:3], v[29:30]
	s_delay_alu instid0(VALU_DEP_2) | instskip(NEXT) | instid1(VALU_DEP_2)
	v_add_f64 v[0:1], v[0:1], v[4:5]
	v_mul_f64 v[4:5], s[6:7], v[2:3]
	v_mul_f64 v[2:3], s[4:5], v[2:3]
	s_delay_alu instid0(VALU_DEP_2) | instskip(NEXT) | instid1(VALU_DEP_2)
	v_fma_f64 v[4:5], s[4:5], v[0:1], -v[4:5]
	v_fma_f64 v[2:3], s[6:7], v[0:1], v[2:3]
	s_waitcnt vmcnt(0)
	s_delay_alu instid0(VALU_DEP_2) | instskip(NEXT) | instid1(VALU_DEP_2)
	v_add_f64 v[0:1], v[23:24], v[4:5]
	v_add_f64 v[2:3], v[25:26], v[2:3]
	global_store_b128 v[11:12], v[0:3], off
	s_branch .LBB847_4
.LBB847_11:
	v_cmp_eq_u32_e32 vcc_lo, v8, v10
	v_cmp_gt_i32_e64 s0, s9, v8
	s_delay_alu instid0(VALU_DEP_1) | instskip(NEXT) | instid1(SALU_CYCLE_1)
	s_and_b32 s0, vcc_lo, s0
	s_and_saveexec_b32 s1, s0
	s_cbranch_execz .LBB847_13
; %bb.12:
	v_mad_i64_i32 v[0:1], null, s3, v8, 0
	v_lshlrev_b64 v[2:3], 4, v[8:9]
	s_delay_alu instid0(VALU_DEP_2) | instskip(NEXT) | instid1(VALU_DEP_1)
	v_lshlrev_b64 v[0:1], 4, v[0:1]
	v_add_co_u32 v4, vcc_lo, s8, v0
	s_delay_alu instid0(VALU_DEP_2) | instskip(SKIP_1) | instid1(VALU_DEP_3)
	v_add_co_ci_u32_e32 v1, vcc_lo, s11, v1, vcc_lo
	v_mov_b32_e32 v0, 0
	v_add_co_u32 v2, vcc_lo, v4, v2
	s_delay_alu instid0(VALU_DEP_3) | instskip(NEXT) | instid1(VALU_DEP_3)
	v_add_co_ci_u32_e32 v3, vcc_lo, v1, v3, vcc_lo
	v_mov_b32_e32 v1, v0
	global_store_b64 v[2:3], v[0:1], off offset:8
.LBB847_13:
	s_nop 0
	s_sendmsg sendmsg(MSG_DEALLOC_VGPRS)
	s_endpgm
	.section	.rodata,"a",@progbits
	.p2align	6, 0x0
	.amdhsa_kernel _ZL26rocblas_syr2k_her2k_kernelIiLb0ELb1ELb0ELi32E19rocblas_complex_numIdEPKPKS1_PKPS1_EvbiT_T4_T5_S9_lSB_S9_lT6_S9_li
		.amdhsa_group_segment_fixed_size 32768
		.amdhsa_private_segment_fixed_size 0
		.amdhsa_kernarg_size 108
		.amdhsa_user_sgpr_count 13
		.amdhsa_user_sgpr_dispatch_ptr 0
		.amdhsa_user_sgpr_queue_ptr 0
		.amdhsa_user_sgpr_kernarg_segment_ptr 1
		.amdhsa_user_sgpr_dispatch_id 0
		.amdhsa_user_sgpr_private_segment_size 0
		.amdhsa_wavefront_size32 1
		.amdhsa_uses_dynamic_stack 0
		.amdhsa_enable_private_segment 0
		.amdhsa_system_sgpr_workgroup_id_x 1
		.amdhsa_system_sgpr_workgroup_id_y 1
		.amdhsa_system_sgpr_workgroup_id_z 1
		.amdhsa_system_sgpr_workgroup_info 0
		.amdhsa_system_vgpr_workitem_id 1
		.amdhsa_next_free_vgpr 61
		.amdhsa_next_free_sgpr 26
		.amdhsa_reserve_vcc 1
		.amdhsa_float_round_mode_32 0
		.amdhsa_float_round_mode_16_64 0
		.amdhsa_float_denorm_mode_32 3
		.amdhsa_float_denorm_mode_16_64 3
		.amdhsa_dx10_clamp 1
		.amdhsa_ieee_mode 1
		.amdhsa_fp16_overflow 0
		.amdhsa_workgroup_processor_mode 1
		.amdhsa_memory_ordered 1
		.amdhsa_forward_progress 0
		.amdhsa_shared_vgpr_count 0
		.amdhsa_exception_fp_ieee_invalid_op 0
		.amdhsa_exception_fp_denorm_src 0
		.amdhsa_exception_fp_ieee_div_zero 0
		.amdhsa_exception_fp_ieee_overflow 0
		.amdhsa_exception_fp_ieee_underflow 0
		.amdhsa_exception_fp_ieee_inexact 0
		.amdhsa_exception_int_div_zero 0
	.end_amdhsa_kernel
	.section	.text._ZL26rocblas_syr2k_her2k_kernelIiLb0ELb1ELb0ELi32E19rocblas_complex_numIdEPKPKS1_PKPS1_EvbiT_T4_T5_S9_lSB_S9_lT6_S9_li,"axG",@progbits,_ZL26rocblas_syr2k_her2k_kernelIiLb0ELb1ELb0ELi32E19rocblas_complex_numIdEPKPKS1_PKPS1_EvbiT_T4_T5_S9_lSB_S9_lT6_S9_li,comdat
.Lfunc_end847:
	.size	_ZL26rocblas_syr2k_her2k_kernelIiLb0ELb1ELb0ELi32E19rocblas_complex_numIdEPKPKS1_PKPS1_EvbiT_T4_T5_S9_lSB_S9_lT6_S9_li, .Lfunc_end847-_ZL26rocblas_syr2k_her2k_kernelIiLb0ELb1ELb0ELi32E19rocblas_complex_numIdEPKPKS1_PKPS1_EvbiT_T4_T5_S9_lSB_S9_lT6_S9_li
                                        ; -- End function
	.section	.AMDGPU.csdata,"",@progbits
; Kernel info:
; codeLenInByte = 3176
; NumSgprs: 28
; NumVgprs: 61
; ScratchSize: 0
; MemoryBound: 1
; FloatMode: 240
; IeeeMode: 1
; LDSByteSize: 32768 bytes/workgroup (compile time only)
; SGPRBlocks: 3
; VGPRBlocks: 7
; NumSGPRsForWavesPerEU: 28
; NumVGPRsForWavesPerEU: 61
; Occupancy: 16
; WaveLimiterHint : 1
; COMPUTE_PGM_RSRC2:SCRATCH_EN: 0
; COMPUTE_PGM_RSRC2:USER_SGPR: 13
; COMPUTE_PGM_RSRC2:TRAP_HANDLER: 0
; COMPUTE_PGM_RSRC2:TGID_X_EN: 1
; COMPUTE_PGM_RSRC2:TGID_Y_EN: 1
; COMPUTE_PGM_RSRC2:TGID_Z_EN: 1
; COMPUTE_PGM_RSRC2:TIDIG_COMP_CNT: 1
	.section	.text._ZL26rocblas_syr2k_her2k_kernelIiLb0ELb1ELb1ELi32E19rocblas_complex_numIdEPKPKS1_PKPS1_EvbiT_T4_T5_S9_lSB_S9_lT6_S9_li,"axG",@progbits,_ZL26rocblas_syr2k_her2k_kernelIiLb0ELb1ELb1ELi32E19rocblas_complex_numIdEPKPKS1_PKPS1_EvbiT_T4_T5_S9_lSB_S9_lT6_S9_li,comdat
	.globl	_ZL26rocblas_syr2k_her2k_kernelIiLb0ELb1ELb1ELi32E19rocblas_complex_numIdEPKPKS1_PKPS1_EvbiT_T4_T5_S9_lSB_S9_lT6_S9_li ; -- Begin function _ZL26rocblas_syr2k_her2k_kernelIiLb0ELb1ELb1ELi32E19rocblas_complex_numIdEPKPKS1_PKPS1_EvbiT_T4_T5_S9_lSB_S9_lT6_S9_li
	.p2align	8
	.type	_ZL26rocblas_syr2k_her2k_kernelIiLb0ELb1ELb1ELi32E19rocblas_complex_numIdEPKPKS1_PKPS1_EvbiT_T4_T5_S9_lSB_S9_lT6_S9_li,@function
_ZL26rocblas_syr2k_her2k_kernelIiLb0ELb1ELb1ELi32E19rocblas_complex_numIdEPKPKS1_PKPS1_EvbiT_T4_T5_S9_lSB_S9_lT6_S9_li: ; @_ZL26rocblas_syr2k_her2k_kernelIiLb0ELb1ELb1ELi32E19rocblas_complex_numIdEPKPKS1_PKPS1_EvbiT_T4_T5_S9_lSB_S9_lT6_S9_li
; %bb.0:
	s_load_b128 s[4:7], s[0:1], 0x10
	s_waitcnt lgkmcnt(0)
	v_cmp_eq_f64_e64 s2, s[4:5], 0
	v_cmp_eq_f64_e64 s3, s[6:7], 0
	s_delay_alu instid0(VALU_DEP_1) | instskip(NEXT) | instid1(SALU_CYCLE_1)
	s_and_b32 s2, s2, s3
	s_and_b32 vcc_lo, exec_lo, s2
	s_cbranch_vccnz .LBB848_13
; %bb.1:
	s_load_b128 s[8:11], s[0:1], 0x0
	s_waitcnt lgkmcnt(0)
	s_lshl_b32 s11, s14, 5
	s_and_b32 s2, 1, s8
	s_lshl_b32 s8, s13, 5
	s_cmp_eq_u32 s2, 1
	s_cselect_b32 s2, -1, 0
	s_delay_alu instid0(SALU_CYCLE_1) | instskip(SKIP_2) | instid1(SALU_CYCLE_1)
	s_and_b32 s3, s2, exec_lo
	s_cselect_b32 s3, s8, s11
	s_cselect_b32 s12, s11, s8
	s_cmp_gt_i32 s3, s12
	s_cbranch_scc1 .LBB848_13
; %bb.2:
	s_mov_b32 s20, s15
	s_clause 0x1
	s_load_b128 s[12:15], s[0:1], 0x48
	s_load_b32 s3, s[0:1], 0x58
	s_mov_b32 s21, 0
	s_load_b64 s[16:17], s[0:1], 0x60
	s_lshl_b64 s[22:23], s[20:21], 3
	v_and_b32_e32 v14, 0x3ff, v0
	v_bfe_u32 v15, v0, 10, 10
	s_delay_alu instid0(VALU_DEP_2) | instskip(NEXT) | instid1(VALU_DEP_2)
	v_add_nc_u32_e32 v8, s8, v14
	v_add_nc_u32_e32 v16, s11, v15
	s_delay_alu instid0(VALU_DEP_2)
	v_cmp_gt_i32_e32 vcc_lo, s9, v8
	v_ashrrev_i32_e32 v9, 31, v8
	s_waitcnt lgkmcnt(0)
	s_add_u32 s14, s14, s22
	s_addc_u32 s15, s15, s23
	s_load_b64 s[14:15], s[14:15], 0x0
	s_lshl_b64 s[16:17], s[16:17], 4
	s_waitcnt lgkmcnt(0)
	s_add_u32 s8, s14, s16
	s_addc_u32 s11, s15, s17
	s_cmp_lt_i32 s10, 1
	s_cbranch_scc1 .LBB848_11
; %bb.3:
	s_clause 0x3
	s_load_b64 s[14:15], s[0:1], 0x20
	s_load_b128 s[16:19], s[0:1], 0x30
	s_load_b32 s20, s[0:1], 0x28
	s_load_b32 s24, s[0:1], 0x40
	v_mad_i64_i32 v[0:1], null, s3, v16, 0
	v_cndmask_b32_e64 v4, v8, v16, s2
	v_cndmask_b32_e64 v5, v16, v8, s2
	v_lshlrev_b32_e32 v6, 4, v15
	v_lshlrev_b32_e32 v17, 9, v14
	v_lshlrev_b64 v[2:3], 4, v[8:9]
	v_cmp_gt_i32_e64 s0, s9, v16
	v_cmp_le_i32_e64 s1, v5, v4
	v_lshlrev_b64 v[0:1], 4, v[0:1]
	v_or_b32_e32 v18, 0x4000, v6
	v_add_nc_u32_e32 v19, v17, v6
	s_delay_alu instid0(VALU_DEP_2)
	v_add_nc_u32_e32 v20, v18, v17
	s_waitcnt lgkmcnt(0)
	s_add_u32 s14, s14, s22
	s_addc_u32 s15, s15, s23
	s_add_u32 s18, s18, s22
	s_load_b64 s[14:15], s[14:15], 0x0
	s_addc_u32 s19, s19, s23
	v_mad_i64_i32 v[4:5], null, s20, v8, 0
	s_load_b64 s[18:19], s[18:19], 0x0
	v_mad_i64_i32 v[6:7], null, s24, v16, 0
	v_add_co_u32 v10, s2, s8, v0
	s_delay_alu instid0(VALU_DEP_1) | instskip(NEXT) | instid1(VALU_DEP_4)
	v_add_co_ci_u32_e64 v11, s2, s11, v1, s2
	v_lshlrev_b64 v[0:1], 4, v[4:5]
	s_lshl_b64 s[16:17], s[16:17], 4
	s_delay_alu instid0(VALU_DEP_4)
	v_lshlrev_b64 v[4:5], 4, v[6:7]
	s_waitcnt lgkmcnt(0)
	s_add_u32 s2, s14, s16
	s_addc_u32 s14, s15, s17
	s_lshl_b64 s[12:13], s[12:13], 4
	v_add_co_u32 v21, s2, s2, v0
	s_add_u32 s12, s18, s12
	v_add_co_ci_u32_e64 v22, s2, s14, v1, s2
	s_addc_u32 s13, s19, s13
	v_add_co_u32 v23, s2, s12, v4
	s_delay_alu instid0(VALU_DEP_1) | instskip(SKIP_1) | instid1(VALU_DEP_1)
	v_add_co_ci_u32_e64 v24, s2, s13, v5, s2
	v_add_co_u32 v10, s2, v10, v2
	v_add_co_ci_u32_e64 v11, s2, v11, v3, s2
	s_and_b32 s2, s0, vcc_lo
	s_delay_alu instid0(SALU_CYCLE_1)
	s_and_b32 s2, s2, s1
	s_branch .LBB848_5
.LBB848_4:                              ;   in Loop: Header=BB848_5 Depth=1
	s_or_b32 exec_lo, exec_lo, s1
	s_add_i32 s21, s21, 32
	s_waitcnt_vscnt null, 0x0
	s_cmp_ge_i32 s21, s10
	s_barrier
	buffer_gl0_inv
	s_cbranch_scc1 .LBB848_11
.LBB848_5:                              ; =>This Inner Loop Header: Depth=1
	v_add_nc_u32_e32 v2, s21, v15
	v_mov_b32_e32 v0, 0
	v_mov_b32_e32 v1, 0
	s_delay_alu instid0(VALU_DEP_3) | instskip(NEXT) | instid1(VALU_DEP_2)
	v_cmp_gt_i32_e64 s1, s10, v2
	v_dual_mov_b32 v5, v1 :: v_dual_mov_b32 v4, v0
	v_dual_mov_b32 v7, v1 :: v_dual_mov_b32 v6, v0
	s_delay_alu instid0(VALU_DEP_3) | instskip(NEXT) | instid1(SALU_CYCLE_1)
	s_and_b32 s1, vcc_lo, s1
	s_and_saveexec_b32 s12, s1
	s_cbranch_execz .LBB848_7
; %bb.6:                                ;   in Loop: Header=BB848_5 Depth=1
	v_ashrrev_i32_e32 v3, 31, v2
	s_delay_alu instid0(VALU_DEP_1) | instskip(NEXT) | instid1(VALU_DEP_1)
	v_lshlrev_b64 v[2:3], 4, v[2:3]
	v_add_co_u32 v2, s1, v21, v2
	s_delay_alu instid0(VALU_DEP_1)
	v_add_co_ci_u32_e64 v3, s1, v22, v3, s1
	global_load_b128 v[4:7], v[2:3], off
	s_waitcnt vmcnt(0)
	v_xor_b32_e32 v7, 0x80000000, v7
.LBB848_7:                              ;   in Loop: Header=BB848_5 Depth=1
	s_or_b32 exec_lo, exec_lo, s12
	v_dual_mov_b32 v3, v1 :: v_dual_add_nc_u32 v12, s21, v14
	v_mov_b32_e32 v2, v0
	ds_store_b128 v19, v[4:7]
	v_cmp_gt_i32_e64 s1, s10, v12
	s_delay_alu instid0(VALU_DEP_1) | instskip(NEXT) | instid1(SALU_CYCLE_1)
	s_and_b32 s1, s0, s1
	s_and_saveexec_b32 s12, s1
	s_cbranch_execz .LBB848_9
; %bb.8:                                ;   in Loop: Header=BB848_5 Depth=1
	v_ashrrev_i32_e32 v13, 31, v12
	s_delay_alu instid0(VALU_DEP_1) | instskip(NEXT) | instid1(VALU_DEP_1)
	v_lshlrev_b64 v[0:1], 4, v[12:13]
	v_add_co_u32 v0, s1, v23, v0
	s_delay_alu instid0(VALU_DEP_1)
	v_add_co_ci_u32_e64 v1, s1, v24, v1, s1
	global_load_b128 v[0:3], v[0:1], off
.LBB848_9:                              ;   in Loop: Header=BB848_5 Depth=1
	s_or_b32 exec_lo, exec_lo, s12
	s_waitcnt vmcnt(0)
	ds_store_b128 v20, v[0:3]
	s_waitcnt lgkmcnt(0)
	s_barrier
	buffer_gl0_inv
	s_and_saveexec_b32 s1, s2
	s_cbranch_execz .LBB848_4
; %bb.10:                               ;   in Loop: Header=BB848_5 Depth=1
	ds_load_b128 v[0:3], v18
	ds_load_b128 v[4:7], v17
	ds_load_b128 v[25:28], v17 offset:16
	ds_load_b128 v[29:32], v18 offset:512
	;; [unrolled: 1-line block ×6, first 2 shown]
	s_waitcnt lgkmcnt(6)
	v_mul_f64 v[12:13], v[0:1], v[6:7]
	v_mul_f64 v[6:7], v[2:3], v[6:7]
	s_waitcnt lgkmcnt(4)
	v_mul_f64 v[49:50], v[29:30], v[27:28]
	s_delay_alu instid0(VALU_DEP_3)
	v_fma_f64 v[2:3], v[2:3], v[4:5], v[12:13]
	v_mul_f64 v[12:13], v[31:32], v[27:28]
	s_waitcnt lgkmcnt(2)
	v_mul_f64 v[27:28], v[33:34], v[39:40]
	v_fma_f64 v[0:1], v[0:1], v[4:5], -v[6:7]
	v_fma_f64 v[4:5], v[31:32], v[25:26], v[49:50]
	v_mul_f64 v[39:40], v[35:36], v[39:40]
	s_waitcnt lgkmcnt(0)
	v_mul_f64 v[49:50], v[45:46], v[43:44]
	v_mul_f64 v[43:44], v[47:48], v[43:44]
	v_add_f64 v[2:3], v[2:3], 0
	v_fma_f64 v[12:13], v[29:30], v[25:26], -v[12:13]
	v_fma_f64 v[35:36], v[35:36], v[37:38], v[27:28]
	v_add_f64 v[51:52], v[0:1], 0
	v_fma_f64 v[33:34], v[33:34], v[37:38], -v[39:40]
	v_fma_f64 v[37:38], v[47:48], v[41:42], v[49:50]
	v_add_f64 v[53:54], v[2:3], v[4:5]
	ds_load_b128 v[0:3], v17 offset:64
	ds_load_b128 v[4:7], v18 offset:2048
	ds_load_b128 v[25:28], v18 offset:2560
	ds_load_b128 v[29:32], v17 offset:80
	v_add_f64 v[12:13], v[51:52], v[12:13]
	v_fma_f64 v[51:52], v[45:46], v[41:42], -v[43:44]
	s_waitcnt lgkmcnt(2)
	v_mul_f64 v[55:56], v[4:5], v[2:3]
	v_mul_f64 v[2:3], v[6:7], v[2:3]
	s_waitcnt lgkmcnt(0)
	v_mul_f64 v[49:50], v[25:26], v[31:32]
	v_mul_f64 v[31:32], v[27:28], v[31:32]
	v_add_f64 v[35:36], v[53:54], v[35:36]
	v_add_f64 v[12:13], v[12:13], v[33:34]
	v_fma_f64 v[6:7], v[6:7], v[0:1], v[55:56]
	v_fma_f64 v[0:1], v[4:5], v[0:1], -v[2:3]
	v_fma_f64 v[2:3], v[27:28], v[29:30], v[49:50]
	v_fma_f64 v[49:50], v[25:26], v[29:30], -v[31:32]
	v_add_f64 v[53:54], v[35:36], v[37:38]
	ds_load_b128 v[33:36], v17 offset:96
	ds_load_b128 v[37:40], v18 offset:3072
	ds_load_b128 v[41:44], v18 offset:3584
	ds_load_b128 v[45:48], v17 offset:112
	v_add_f64 v[4:5], v[12:13], v[51:52]
	s_waitcnt lgkmcnt(2)
	v_mul_f64 v[55:56], v[37:38], v[35:36]
	v_mul_f64 v[12:13], v[39:40], v[35:36]
	s_waitcnt lgkmcnt(0)
	v_mul_f64 v[35:36], v[41:42], v[47:48]
	v_mul_f64 v[47:48], v[43:44], v[47:48]
	v_add_f64 v[6:7], v[53:54], v[6:7]
	v_add_f64 v[51:52], v[4:5], v[0:1]
	v_fma_f64 v[39:40], v[39:40], v[33:34], v[55:56]
	v_fma_f64 v[12:13], v[37:38], v[33:34], -v[12:13]
	v_fma_f64 v[33:34], v[43:44], v[45:46], v[35:36]
	v_add_f64 v[53:54], v[6:7], v[2:3]
	ds_load_b128 v[0:3], v17 offset:128
	ds_load_b128 v[4:7], v18 offset:4096
	ds_load_b128 v[25:28], v18 offset:4608
	ds_load_b128 v[29:32], v17 offset:144
	v_add_f64 v[35:36], v[51:52], v[49:50]
	v_fma_f64 v[51:52], v[41:42], v[45:46], -v[47:48]
	s_waitcnt lgkmcnt(2)
	v_mul_f64 v[55:56], v[4:5], v[2:3]
	v_mul_f64 v[2:3], v[6:7], v[2:3]
	s_waitcnt lgkmcnt(0)
	v_mul_f64 v[49:50], v[25:26], v[31:32]
	v_mul_f64 v[31:32], v[27:28], v[31:32]
	v_add_f64 v[37:38], v[53:54], v[39:40]
	v_add_f64 v[12:13], v[35:36], v[12:13]
	v_fma_f64 v[6:7], v[6:7], v[0:1], v[55:56]
	v_fma_f64 v[0:1], v[4:5], v[0:1], -v[2:3]
	v_fma_f64 v[2:3], v[27:28], v[29:30], v[49:50]
	v_fma_f64 v[49:50], v[25:26], v[29:30], -v[31:32]
	v_add_f64 v[53:54], v[37:38], v[33:34]
	ds_load_b128 v[33:36], v17 offset:160
	ds_load_b128 v[37:40], v18 offset:5120
	ds_load_b128 v[41:44], v18 offset:5632
	ds_load_b128 v[45:48], v17 offset:176
	v_add_f64 v[4:5], v[12:13], v[51:52]
	s_waitcnt lgkmcnt(2)
	v_mul_f64 v[55:56], v[37:38], v[35:36]
	v_mul_f64 v[12:13], v[39:40], v[35:36]
	s_waitcnt lgkmcnt(0)
	v_mul_f64 v[35:36], v[41:42], v[47:48]
	v_mul_f64 v[47:48], v[43:44], v[47:48]
	v_add_f64 v[6:7], v[53:54], v[6:7]
	v_add_f64 v[51:52], v[4:5], v[0:1]
	v_fma_f64 v[39:40], v[39:40], v[33:34], v[55:56]
	v_fma_f64 v[12:13], v[37:38], v[33:34], -v[12:13]
	v_fma_f64 v[33:34], v[43:44], v[45:46], v[35:36]
	v_add_f64 v[53:54], v[6:7], v[2:3]
	ds_load_b128 v[0:3], v17 offset:192
	ds_load_b128 v[4:7], v18 offset:6144
	ds_load_b128 v[25:28], v18 offset:6656
	ds_load_b128 v[29:32], v17 offset:208
	v_add_f64 v[35:36], v[51:52], v[49:50]
	v_fma_f64 v[51:52], v[41:42], v[45:46], -v[47:48]
	s_waitcnt lgkmcnt(2)
	v_mul_f64 v[55:56], v[4:5], v[2:3]
	v_mul_f64 v[2:3], v[6:7], v[2:3]
	s_waitcnt lgkmcnt(0)
	v_mul_f64 v[49:50], v[25:26], v[31:32]
	v_mul_f64 v[31:32], v[27:28], v[31:32]
	v_add_f64 v[37:38], v[53:54], v[39:40]
	v_add_f64 v[12:13], v[35:36], v[12:13]
	v_fma_f64 v[6:7], v[6:7], v[0:1], v[55:56]
	v_fma_f64 v[0:1], v[4:5], v[0:1], -v[2:3]
	v_fma_f64 v[2:3], v[27:28], v[29:30], v[49:50]
	v_fma_f64 v[49:50], v[25:26], v[29:30], -v[31:32]
	v_add_f64 v[53:54], v[37:38], v[33:34]
	ds_load_b128 v[33:36], v17 offset:224
	ds_load_b128 v[37:40], v18 offset:7168
	ds_load_b128 v[41:44], v18 offset:7680
	ds_load_b128 v[45:48], v17 offset:240
	v_add_f64 v[4:5], v[12:13], v[51:52]
	s_waitcnt lgkmcnt(2)
	v_mul_f64 v[55:56], v[37:38], v[35:36]
	v_mul_f64 v[12:13], v[39:40], v[35:36]
	s_waitcnt lgkmcnt(0)
	v_mul_f64 v[35:36], v[41:42], v[47:48]
	v_mul_f64 v[47:48], v[43:44], v[47:48]
	v_add_f64 v[6:7], v[53:54], v[6:7]
	v_add_f64 v[51:52], v[4:5], v[0:1]
	v_fma_f64 v[39:40], v[39:40], v[33:34], v[55:56]
	v_fma_f64 v[12:13], v[37:38], v[33:34], -v[12:13]
	v_fma_f64 v[33:34], v[43:44], v[45:46], v[35:36]
	v_add_f64 v[53:54], v[6:7], v[2:3]
	ds_load_b128 v[0:3], v17 offset:256
	ds_load_b128 v[4:7], v18 offset:8192
	ds_load_b128 v[25:28], v18 offset:8704
	ds_load_b128 v[29:32], v17 offset:272
	v_add_f64 v[35:36], v[51:52], v[49:50]
	v_fma_f64 v[51:52], v[41:42], v[45:46], -v[47:48]
	s_waitcnt lgkmcnt(2)
	v_mul_f64 v[55:56], v[4:5], v[2:3]
	v_mul_f64 v[2:3], v[6:7], v[2:3]
	s_waitcnt lgkmcnt(0)
	v_mul_f64 v[49:50], v[25:26], v[31:32]
	v_mul_f64 v[31:32], v[27:28], v[31:32]
	v_add_f64 v[37:38], v[53:54], v[39:40]
	v_add_f64 v[12:13], v[35:36], v[12:13]
	v_fma_f64 v[6:7], v[6:7], v[0:1], v[55:56]
	v_fma_f64 v[0:1], v[4:5], v[0:1], -v[2:3]
	v_fma_f64 v[2:3], v[27:28], v[29:30], v[49:50]
	v_fma_f64 v[49:50], v[25:26], v[29:30], -v[31:32]
	v_add_f64 v[53:54], v[37:38], v[33:34]
	ds_load_b128 v[33:36], v17 offset:288
	ds_load_b128 v[37:40], v18 offset:9216
	ds_load_b128 v[41:44], v18 offset:9728
	ds_load_b128 v[45:48], v17 offset:304
	v_add_f64 v[4:5], v[12:13], v[51:52]
	s_waitcnt lgkmcnt(2)
	v_mul_f64 v[55:56], v[37:38], v[35:36]
	v_mul_f64 v[12:13], v[39:40], v[35:36]
	s_waitcnt lgkmcnt(0)
	v_mul_f64 v[35:36], v[41:42], v[47:48]
	v_mul_f64 v[47:48], v[43:44], v[47:48]
	v_add_f64 v[6:7], v[53:54], v[6:7]
	v_add_f64 v[51:52], v[4:5], v[0:1]
	v_fma_f64 v[39:40], v[39:40], v[33:34], v[55:56]
	v_fma_f64 v[12:13], v[37:38], v[33:34], -v[12:13]
	v_fma_f64 v[33:34], v[43:44], v[45:46], v[35:36]
	v_add_f64 v[53:54], v[6:7], v[2:3]
	ds_load_b128 v[0:3], v17 offset:320
	ds_load_b128 v[4:7], v18 offset:10240
	ds_load_b128 v[25:28], v18 offset:10752
	ds_load_b128 v[29:32], v17 offset:336
	v_add_f64 v[35:36], v[51:52], v[49:50]
	v_fma_f64 v[51:52], v[41:42], v[45:46], -v[47:48]
	s_waitcnt lgkmcnt(2)
	v_mul_f64 v[55:56], v[4:5], v[2:3]
	v_mul_f64 v[2:3], v[6:7], v[2:3]
	s_waitcnt lgkmcnt(0)
	v_mul_f64 v[49:50], v[25:26], v[31:32]
	v_mul_f64 v[31:32], v[27:28], v[31:32]
	v_add_f64 v[37:38], v[53:54], v[39:40]
	v_add_f64 v[12:13], v[35:36], v[12:13]
	v_fma_f64 v[6:7], v[6:7], v[0:1], v[55:56]
	v_fma_f64 v[0:1], v[4:5], v[0:1], -v[2:3]
	v_fma_f64 v[2:3], v[27:28], v[29:30], v[49:50]
	v_fma_f64 v[49:50], v[25:26], v[29:30], -v[31:32]
	v_add_f64 v[53:54], v[37:38], v[33:34]
	ds_load_b128 v[33:36], v17 offset:352
	ds_load_b128 v[37:40], v18 offset:11264
	ds_load_b128 v[41:44], v18 offset:11776
	ds_load_b128 v[45:48], v17 offset:368
	v_add_f64 v[4:5], v[12:13], v[51:52]
	s_waitcnt lgkmcnt(2)
	v_mul_f64 v[55:56], v[37:38], v[35:36]
	v_mul_f64 v[12:13], v[39:40], v[35:36]
	s_waitcnt lgkmcnt(0)
	v_mul_f64 v[35:36], v[41:42], v[47:48]
	v_mul_f64 v[47:48], v[43:44], v[47:48]
	v_add_f64 v[6:7], v[53:54], v[6:7]
	v_add_f64 v[51:52], v[4:5], v[0:1]
	v_fma_f64 v[39:40], v[39:40], v[33:34], v[55:56]
	v_fma_f64 v[12:13], v[37:38], v[33:34], -v[12:13]
	v_fma_f64 v[33:34], v[43:44], v[45:46], v[35:36]
	v_add_f64 v[53:54], v[6:7], v[2:3]
	ds_load_b128 v[0:3], v17 offset:384
	ds_load_b128 v[4:7], v18 offset:12288
	;; [unrolled: 1-line block ×4, first 2 shown]
	v_add_f64 v[35:36], v[51:52], v[49:50]
	v_fma_f64 v[51:52], v[41:42], v[45:46], -v[47:48]
	s_waitcnt lgkmcnt(2)
	v_mul_f64 v[55:56], v[4:5], v[2:3]
	v_mul_f64 v[2:3], v[6:7], v[2:3]
	s_waitcnt lgkmcnt(0)
	v_mul_f64 v[49:50], v[25:26], v[31:32]
	v_mul_f64 v[31:32], v[27:28], v[31:32]
	v_add_f64 v[37:38], v[53:54], v[39:40]
	v_add_f64 v[12:13], v[35:36], v[12:13]
	v_fma_f64 v[6:7], v[6:7], v[0:1], v[55:56]
	v_fma_f64 v[0:1], v[4:5], v[0:1], -v[2:3]
	v_fma_f64 v[2:3], v[27:28], v[29:30], v[49:50]
	v_add_f64 v[53:54], v[37:38], v[33:34]
	ds_load_b128 v[33:36], v17 offset:416
	ds_load_b128 v[37:40], v18 offset:13312
	;; [unrolled: 1-line block ×4, first 2 shown]
	v_add_f64 v[4:5], v[12:13], v[51:52]
	s_waitcnt lgkmcnt(2)
	v_mul_f64 v[55:56], v[37:38], v[35:36]
	v_mul_f64 v[12:13], v[39:40], v[35:36]
	s_waitcnt lgkmcnt(0)
	v_mul_f64 v[35:36], v[41:42], v[47:48]
	v_mul_f64 v[47:48], v[43:44], v[47:48]
	v_add_f64 v[6:7], v[53:54], v[6:7]
	v_fma_f64 v[53:54], v[25:26], v[29:30], -v[31:32]
	v_fma_f64 v[39:40], v[39:40], v[33:34], v[55:56]
	v_add_f64 v[55:56], v[4:5], v[0:1]
	v_fma_f64 v[12:13], v[37:38], v[33:34], -v[12:13]
	v_fma_f64 v[33:34], v[43:44], v[45:46], v[35:36]
	v_add_f64 v[57:58], v[6:7], v[2:3]
	ds_load_b128 v[0:3], v17 offset:448
	ds_load_b128 v[4:7], v18 offset:14336
	global_load_b128 v[25:28], v[10:11], off
	ds_load_b128 v[29:32], v18 offset:14848
	ds_load_b128 v[49:52], v17 offset:464
	v_add_f64 v[35:36], v[55:56], v[53:54]
	s_waitcnt lgkmcnt(2)
	v_mul_f64 v[59:60], v[4:5], v[2:3]
	v_mul_f64 v[2:3], v[6:7], v[2:3]
	s_waitcnt lgkmcnt(0)
	v_mul_f64 v[53:54], v[29:30], v[51:52]
	v_fma_f64 v[55:56], v[41:42], v[45:46], -v[47:48]
	v_mul_f64 v[51:52], v[31:32], v[51:52]
	v_add_f64 v[37:38], v[57:58], v[39:40]
	v_add_f64 v[12:13], v[35:36], v[12:13]
	v_fma_f64 v[6:7], v[6:7], v[0:1], v[59:60]
	v_fma_f64 v[0:1], v[4:5], v[0:1], -v[2:3]
	v_fma_f64 v[2:3], v[31:32], v[49:50], v[53:54]
	v_fma_f64 v[29:30], v[29:30], v[49:50], -v[51:52]
	v_add_f64 v[57:58], v[37:38], v[33:34]
	ds_load_b128 v[33:36], v17 offset:480
	ds_load_b128 v[37:40], v18 offset:15360
	;; [unrolled: 1-line block ×4, first 2 shown]
	s_waitcnt lgkmcnt(2)
	v_mul_f64 v[59:60], v[37:38], v[35:36]
	v_add_f64 v[4:5], v[12:13], v[55:56]
	v_mul_f64 v[12:13], v[39:40], v[35:36]
	s_waitcnt lgkmcnt(0)
	v_mul_f64 v[31:32], v[41:42], v[47:48]
	v_add_f64 v[6:7], v[57:58], v[6:7]
	v_fma_f64 v[35:36], v[39:40], v[33:34], v[59:60]
	v_add_f64 v[0:1], v[4:5], v[0:1]
	v_mul_f64 v[4:5], v[43:44], v[47:48]
	s_delay_alu instid0(VALU_DEP_4)
	v_add_f64 v[2:3], v[6:7], v[2:3]
	v_fma_f64 v[6:7], v[37:38], v[33:34], -v[12:13]
	v_fma_f64 v[12:13], v[43:44], v[45:46], v[31:32]
	v_add_f64 v[0:1], v[0:1], v[29:30]
	v_fma_f64 v[4:5], v[41:42], v[45:46], -v[4:5]
	v_add_f64 v[2:3], v[2:3], v[35:36]
	s_delay_alu instid0(VALU_DEP_3) | instskip(NEXT) | instid1(VALU_DEP_2)
	v_add_f64 v[0:1], v[0:1], v[6:7]
	v_add_f64 v[2:3], v[2:3], v[12:13]
	s_delay_alu instid0(VALU_DEP_2) | instskip(NEXT) | instid1(VALU_DEP_2)
	v_add_f64 v[0:1], v[0:1], v[4:5]
	v_mul_f64 v[4:5], s[6:7], v[2:3]
	v_mul_f64 v[2:3], s[4:5], v[2:3]
	s_delay_alu instid0(VALU_DEP_2) | instskip(NEXT) | instid1(VALU_DEP_2)
	v_fma_f64 v[4:5], s[4:5], v[0:1], -v[4:5]
	v_fma_f64 v[2:3], s[6:7], v[0:1], v[2:3]
	s_waitcnt vmcnt(0)
	s_delay_alu instid0(VALU_DEP_2) | instskip(NEXT) | instid1(VALU_DEP_2)
	v_add_f64 v[0:1], v[25:26], v[4:5]
	v_add_f64 v[2:3], v[27:28], v[2:3]
	global_store_b128 v[10:11], v[0:3], off
	s_branch .LBB848_4
.LBB848_11:
	v_cmp_eq_u32_e32 vcc_lo, v8, v16
	v_cmp_gt_i32_e64 s0, s9, v8
	s_delay_alu instid0(VALU_DEP_1) | instskip(NEXT) | instid1(SALU_CYCLE_1)
	s_and_b32 s0, vcc_lo, s0
	s_and_saveexec_b32 s1, s0
	s_cbranch_execz .LBB848_13
; %bb.12:
	v_mad_i64_i32 v[0:1], null, s3, v8, 0
	v_lshlrev_b64 v[2:3], 4, v[8:9]
	s_delay_alu instid0(VALU_DEP_2) | instskip(NEXT) | instid1(VALU_DEP_1)
	v_lshlrev_b64 v[0:1], 4, v[0:1]
	v_add_co_u32 v4, vcc_lo, s8, v0
	s_delay_alu instid0(VALU_DEP_2) | instskip(SKIP_1) | instid1(VALU_DEP_3)
	v_add_co_ci_u32_e32 v1, vcc_lo, s11, v1, vcc_lo
	v_mov_b32_e32 v0, 0
	v_add_co_u32 v2, vcc_lo, v4, v2
	s_delay_alu instid0(VALU_DEP_3) | instskip(NEXT) | instid1(VALU_DEP_3)
	v_add_co_ci_u32_e32 v3, vcc_lo, v1, v3, vcc_lo
	v_mov_b32_e32 v1, v0
	global_store_b64 v[2:3], v[0:1], off offset:8
.LBB848_13:
	s_nop 0
	s_sendmsg sendmsg(MSG_DEALLOC_VGPRS)
	s_endpgm
	.section	.rodata,"a",@progbits
	.p2align	6, 0x0
	.amdhsa_kernel _ZL26rocblas_syr2k_her2k_kernelIiLb0ELb1ELb1ELi32E19rocblas_complex_numIdEPKPKS1_PKPS1_EvbiT_T4_T5_S9_lSB_S9_lT6_S9_li
		.amdhsa_group_segment_fixed_size 32768
		.amdhsa_private_segment_fixed_size 0
		.amdhsa_kernarg_size 108
		.amdhsa_user_sgpr_count 13
		.amdhsa_user_sgpr_dispatch_ptr 0
		.amdhsa_user_sgpr_queue_ptr 0
		.amdhsa_user_sgpr_kernarg_segment_ptr 1
		.amdhsa_user_sgpr_dispatch_id 0
		.amdhsa_user_sgpr_private_segment_size 0
		.amdhsa_wavefront_size32 1
		.amdhsa_uses_dynamic_stack 0
		.amdhsa_enable_private_segment 0
		.amdhsa_system_sgpr_workgroup_id_x 1
		.amdhsa_system_sgpr_workgroup_id_y 1
		.amdhsa_system_sgpr_workgroup_id_z 1
		.amdhsa_system_sgpr_workgroup_info 0
		.amdhsa_system_vgpr_workitem_id 1
		.amdhsa_next_free_vgpr 61
		.amdhsa_next_free_sgpr 25
		.amdhsa_reserve_vcc 1
		.amdhsa_float_round_mode_32 0
		.amdhsa_float_round_mode_16_64 0
		.amdhsa_float_denorm_mode_32 3
		.amdhsa_float_denorm_mode_16_64 3
		.amdhsa_dx10_clamp 1
		.amdhsa_ieee_mode 1
		.amdhsa_fp16_overflow 0
		.amdhsa_workgroup_processor_mode 1
		.amdhsa_memory_ordered 1
		.amdhsa_forward_progress 0
		.amdhsa_shared_vgpr_count 0
		.amdhsa_exception_fp_ieee_invalid_op 0
		.amdhsa_exception_fp_denorm_src 0
		.amdhsa_exception_fp_ieee_div_zero 0
		.amdhsa_exception_fp_ieee_overflow 0
		.amdhsa_exception_fp_ieee_underflow 0
		.amdhsa_exception_fp_ieee_inexact 0
		.amdhsa_exception_int_div_zero 0
	.end_amdhsa_kernel
	.section	.text._ZL26rocblas_syr2k_her2k_kernelIiLb0ELb1ELb1ELi32E19rocblas_complex_numIdEPKPKS1_PKPS1_EvbiT_T4_T5_S9_lSB_S9_lT6_S9_li,"axG",@progbits,_ZL26rocblas_syr2k_her2k_kernelIiLb0ELb1ELb1ELi32E19rocblas_complex_numIdEPKPKS1_PKPS1_EvbiT_T4_T5_S9_lSB_S9_lT6_S9_li,comdat
.Lfunc_end848:
	.size	_ZL26rocblas_syr2k_her2k_kernelIiLb0ELb1ELb1ELi32E19rocblas_complex_numIdEPKPKS1_PKPS1_EvbiT_T4_T5_S9_lSB_S9_lT6_S9_li, .Lfunc_end848-_ZL26rocblas_syr2k_her2k_kernelIiLb0ELb1ELb1ELi32E19rocblas_complex_numIdEPKPKS1_PKPS1_EvbiT_T4_T5_S9_lSB_S9_lT6_S9_li
                                        ; -- End function
	.section	.AMDGPU.csdata,"",@progbits
; Kernel info:
; codeLenInByte = 3196
; NumSgprs: 27
; NumVgprs: 61
; ScratchSize: 0
; MemoryBound: 1
; FloatMode: 240
; IeeeMode: 1
; LDSByteSize: 32768 bytes/workgroup (compile time only)
; SGPRBlocks: 3
; VGPRBlocks: 7
; NumSGPRsForWavesPerEU: 27
; NumVGPRsForWavesPerEU: 61
; Occupancy: 16
; WaveLimiterHint : 1
; COMPUTE_PGM_RSRC2:SCRATCH_EN: 0
; COMPUTE_PGM_RSRC2:USER_SGPR: 13
; COMPUTE_PGM_RSRC2:TRAP_HANDLER: 0
; COMPUTE_PGM_RSRC2:TGID_X_EN: 1
; COMPUTE_PGM_RSRC2:TGID_Y_EN: 1
; COMPUTE_PGM_RSRC2:TGID_Z_EN: 1
; COMPUTE_PGM_RSRC2:TIDIG_COMP_CNT: 1
	.section	.text._ZL37rocblas_syrkx_herkx_restricted_kernelIi19rocblas_complex_numIdELi16ELi32ELi8ELi1ELi1ELb1ELc84ELc76EKPKS1_KPS1_EviT_PT9_S7_lS9_S7_lPT10_S7_li,"axG",@progbits,_ZL37rocblas_syrkx_herkx_restricted_kernelIi19rocblas_complex_numIdELi16ELi32ELi8ELi1ELi1ELb1ELc84ELc76EKPKS1_KPS1_EviT_PT9_S7_lS9_S7_lPT10_S7_li,comdat
	.globl	_ZL37rocblas_syrkx_herkx_restricted_kernelIi19rocblas_complex_numIdELi16ELi32ELi8ELi1ELi1ELb1ELc84ELc76EKPKS1_KPS1_EviT_PT9_S7_lS9_S7_lPT10_S7_li ; -- Begin function _ZL37rocblas_syrkx_herkx_restricted_kernelIi19rocblas_complex_numIdELi16ELi32ELi8ELi1ELi1ELb1ELc84ELc76EKPKS1_KPS1_EviT_PT9_S7_lS9_S7_lPT10_S7_li
	.p2align	8
	.type	_ZL37rocblas_syrkx_herkx_restricted_kernelIi19rocblas_complex_numIdELi16ELi32ELi8ELi1ELi1ELb1ELc84ELc76EKPKS1_KPS1_EviT_PT9_S7_lS9_S7_lPT10_S7_li,@function
_ZL37rocblas_syrkx_herkx_restricted_kernelIi19rocblas_complex_numIdELi16ELi32ELi8ELi1ELi1ELb1ELc84ELc76EKPKS1_KPS1_EviT_PT9_S7_lS9_S7_lPT10_S7_li: ; @_ZL37rocblas_syrkx_herkx_restricted_kernelIi19rocblas_complex_numIdELi16ELi32ELi8ELi1ELi1ELb1ELc84ELc76EKPKS1_KPS1_EviT_PT9_S7_lS9_S7_lPT10_S7_li
; %bb.0:
	s_clause 0x1
	s_load_b64 s[2:3], s[0:1], 0x38
	s_load_b64 s[4:5], s[0:1], 0x0
	s_mov_b32 s6, s15
	s_mov_b32 s7, 0
	v_mov_b32_e32 v16, 0
	s_lshl_b64 s[8:9], s[6:7], 3
	v_dual_mov_b32 v17, 0 :: v_dual_and_b32 v20, 0x3ff, v0
	v_bfe_u32 v21, v0, 10, 10
	s_delay_alu instid0(VALU_DEP_3) | instskip(NEXT) | instid1(VALU_DEP_3)
	v_mov_b32_e32 v12, v16
	v_dual_mov_b32 v14, v16 :: v_dual_mov_b32 v15, v17
	v_dual_mov_b32 v19, v17 :: v_dual_mov_b32 v18, v16
	;; [unrolled: 1-line block ×5, first 2 shown]
	v_mov_b32_e32 v7, v17
	s_waitcnt lgkmcnt(0)
	s_add_u32 s2, s2, s8
	s_addc_u32 s3, s3, s9
	v_dual_mov_b32 v4, v16 :: v_dual_mov_b32 v5, v17
	s_load_b64 s[2:3], s[2:3], 0x0
	s_lshl_b32 s6, s13, 5
	s_lshl_b32 s10, s14, 5
	s_cmp_lt_i32 s5, 1
	s_cbranch_scc1 .LBB849_3
; %bb.1:
	s_clause 0x3
	s_load_b64 s[12:13], s[0:1], 0x8
	s_load_b64 s[14:15], s[0:1], 0x20
	s_load_b32 s11, s[0:1], 0x10
	s_load_b32 s16, s[0:1], 0x28
	v_lshl_add_u32 v2, v21, 4, v20
	v_dual_mov_b32 v1, 0 :: v_dual_and_b32 v0, 7, v20
	v_mov_b32_e32 v4, 0
	v_dual_mov_b32 v5, 0 :: v_dual_lshlrev_b32 v22, 4, v20
	s_delay_alu instid0(VALU_DEP_4)
	v_and_b32_e32 v7, 31, v2
	v_lshrrev_b32_e32 v6, 3, v2
	v_lshrrev_b32_e32 v2, 5, v2
	v_mov_b32_e32 v3, v1
	v_lshl_add_u32 v23, v21, 7, 0x1000
	v_add_nc_u32_e32 v10, s6, v7
	v_dual_mov_b32 v15, v5 :: v_dual_add_nc_u32 v12, s10, v6
	v_dual_mov_b32 v14, v4 :: v_dual_mov_b32 v19, v5
	v_mov_b32_e32 v18, v4
	s_waitcnt lgkmcnt(0)
	s_add_u32 s12, s12, s8
	s_addc_u32 s13, s13, s9
	s_add_u32 s8, s14, s8
	s_load_b64 s[12:13], s[12:13], 0x0
	s_addc_u32 s9, s15, s9
	v_mad_i64_i32 v[8:9], null, s11, v10, v[2:3]
	s_load_b64 s[8:9], s[8:9], 0x0
	v_lshlrev_b32_e32 v3, 4, v0
	v_mad_i64_i32 v[10:11], null, s16, v12, v[0:1]
	v_dual_mov_b32 v17, v5 :: v_dual_lshlrev_b32 v12, 4, v7
	v_mov_b32_e32 v16, v4
	s_delay_alu instid0(VALU_DEP_4) | instskip(SKIP_3) | instid1(VALU_DEP_4)
	v_lshl_or_b32 v3, v6, 7, v3
	v_lshlrev_b64 v[0:1], 4, v[8:9]
	v_dual_mov_b32 v9, v5 :: v_dual_mov_b32 v8, v4
	v_lshl_or_b32 v24, v2, 9, v12
	v_add_nc_u32_e32 v25, 0x1000, v3
	v_lshlrev_b64 v[2:3], 4, v[10:11]
	v_dual_mov_b32 v7, v5 :: v_dual_mov_b32 v6, v4
	s_waitcnt lgkmcnt(0)
	v_add_co_u32 v0, vcc_lo, v0, s12
	v_add_co_ci_u32_e32 v1, vcc_lo, s13, v1, vcc_lo
	s_delay_alu instid0(VALU_DEP_4) | instskip(SKIP_1) | instid1(VALU_DEP_4)
	v_add_co_u32 v2, vcc_lo, v2, s8
	v_add_co_ci_u32_e32 v3, vcc_lo, s9, v3, vcc_lo
	v_add_co_u32 v0, vcc_lo, v0, 8
	s_delay_alu instid0(VALU_DEP_4) | instskip(NEXT) | instid1(VALU_DEP_4)
	v_add_co_ci_u32_e32 v1, vcc_lo, 0, v1, vcc_lo
	v_add_co_u32 v2, vcc_lo, v2, 8
	s_delay_alu instid0(VALU_DEP_4)
	v_add_co_ci_u32_e32 v3, vcc_lo, 0, v3, vcc_lo
	v_dual_mov_b32 v11, v5 :: v_dual_mov_b32 v10, v4
	v_dual_mov_b32 v13, v5 :: v_dual_mov_b32 v12, v4
.LBB849_2:                              ; =>This Inner Loop Header: Depth=1
	global_load_b128 v[26:29], v[0:1], off offset:-8
	global_load_b128 v[30:33], v[2:3], off offset:-8
	v_add_co_u32 v0, vcc_lo, 0x80, v0
	v_add_co_ci_u32_e32 v1, vcc_lo, 0, v1, vcc_lo
	v_add_co_u32 v2, vcc_lo, 0x80, v2
	v_add_co_ci_u32_e32 v3, vcc_lo, 0, v3, vcc_lo
	s_add_i32 s7, s7, 8
	s_waitcnt vmcnt(1)
	ds_store_b128 v24, v[26:29]
	s_waitcnt vmcnt(0)
	ds_store_b128 v25, v[30:33]
	s_waitcnt lgkmcnt(0)
	s_barrier
	buffer_gl0_inv
	ds_load_b128 v[26:29], v23
	ds_load_b128 v[30:33], v22
	ds_load_b128 v[34:37], v22 offset:256
	ds_load_b128 v[38:41], v23 offset:2048
	;; [unrolled: 1-line block ×13, first 2 shown]
	s_cmp_ge_i32 s7, s5
	s_waitcnt lgkmcnt(13)
	v_mul_f64 v[86:87], v[28:29], v[32:33]
	v_mul_f64 v[88:89], v[26:27], v[32:33]
	s_waitcnt lgkmcnt(12)
	v_mul_f64 v[90:91], v[28:29], v[36:37]
	v_mul_f64 v[92:93], v[26:27], v[36:37]
	;; [unrolled: 3-line block ×3, first 2 shown]
	v_mul_f64 v[96:97], v[40:41], v[36:37]
	v_mul_f64 v[36:37], v[38:39], v[36:37]
	s_waitcnt lgkmcnt(8)
	v_mul_f64 v[98:99], v[44:45], v[52:53]
	v_mul_f64 v[100:101], v[42:43], v[52:53]
	s_waitcnt lgkmcnt(7)
	v_mul_f64 v[102:103], v[44:45], v[56:57]
	v_mul_f64 v[104:105], v[42:43], v[56:57]
	;; [unrolled: 1-line block ×6, first 2 shown]
	s_waitcnt lgkmcnt(3)
	v_mul_f64 v[112:113], v[58:59], v[72:73]
	s_waitcnt lgkmcnt(2)
	v_mul_f64 v[114:115], v[76:77], v[68:69]
	v_mul_f64 v[116:117], v[76:77], v[72:73]
	v_fma_f64 v[86:87], v[26:27], v[30:31], -v[86:87]
	v_fma_f64 v[88:89], v[28:29], v[30:31], v[88:89]
	v_fma_f64 v[90:91], v[26:27], v[34:35], -v[90:91]
	v_fma_f64 v[92:93], v[28:29], v[34:35], v[92:93]
	;; [unrolled: 2-line block ×4, first 2 shown]
	v_mul_f64 v[36:37], v[60:61], v[68:69]
	v_mul_f64 v[40:41], v[58:59], v[68:69]
	;; [unrolled: 1-line block ×5, first 2 shown]
	v_fma_f64 v[98:99], v[42:43], v[50:51], -v[98:99]
	v_fma_f64 v[100:101], v[44:45], v[50:51], v[100:101]
	v_fma_f64 v[42:43], v[42:43], v[54:55], -v[102:103]
	v_fma_f64 v[44:45], v[44:45], v[54:55], v[104:105]
	;; [unrolled: 2-line block ×4, first 2 shown]
	ds_load_b128 v[26:29], v22 offset:1792
	ds_load_b128 v[30:33], v22 offset:2048
	s_waitcnt lgkmcnt(2)
	v_mul_f64 v[56:57], v[64:65], v[84:85]
	v_add_f64 v[16:17], v[16:17], v[86:87]
	v_add_f64 v[18:19], v[18:19], v[88:89]
	;; [unrolled: 1-line block ×8, first 2 shown]
	v_mul_f64 v[86:87], v[62:63], v[84:85]
	s_waitcnt lgkmcnt(1)
	v_mul_f64 v[88:89], v[64:65], v[28:29]
	v_mul_f64 v[90:91], v[62:63], v[28:29]
	;; [unrolled: 1-line block ×6, first 2 shown]
	v_fma_f64 v[104:105], v[58:59], v[66:67], -v[36:37]
	v_fma_f64 v[106:107], v[60:61], v[66:67], v[40:41]
	v_fma_f64 v[58:59], v[58:59], v[70:71], -v[96:97]
	v_fma_f64 v[60:61], v[60:61], v[70:71], v[112:113]
	;; [unrolled: 2-line block ×4, first 2 shown]
	ds_load_b128 v[4:7], v22 offset:2304
	ds_load_b128 v[8:11], v23 offset:64
	v_fma_f64 v[56:57], v[62:63], v[82:83], -v[56:57]
	v_add_f64 v[72:73], v[16:17], v[98:99]
	v_add_f64 v[74:75], v[18:19], v[100:101]
	v_add_f64 v[42:43], v[12:13], v[42:43]
	v_add_f64 v[44:45], v[14:15], v[44:45]
	v_add_f64 v[52:53], v[52:53], v[102:103]
	v_add_f64 v[50:51], v[54:55], v[50:51]
	v_add_f64 v[46:47], v[38:39], v[46:47]
	v_add_f64 v[48:49], v[34:35], v[48:49]
	ds_load_b128 v[12:15], v23 offset:2112
	ds_load_b128 v[16:19], v23 offset:80
	;; [unrolled: 1-line block ×4, first 2 shown]
	s_waitcnt lgkmcnt(4)
	v_mul_f64 v[54:55], v[10:11], v[32:33]
	v_mul_f64 v[76:77], v[8:9], v[32:33]
	;; [unrolled: 1-line block ×4, first 2 shown]
	v_fma_f64 v[86:87], v[64:65], v[82:83], v[86:87]
	v_fma_f64 v[62:63], v[62:63], v[26:27], -v[88:89]
	v_fma_f64 v[64:65], v[64:65], v[26:27], v[90:91]
	v_fma_f64 v[88:89], v[78:79], v[82:83], -v[92:93]
	;; [unrolled: 2-line block ×3, first 2 shown]
	v_fma_f64 v[80:81], v[80:81], v[26:27], v[28:29]
	s_waitcnt lgkmcnt(3)
	v_mul_f64 v[102:103], v[14:15], v[32:33]
	v_mul_f64 v[32:33], v[12:13], v[32:33]
	;; [unrolled: 1-line block ×4, first 2 shown]
	s_waitcnt lgkmcnt(0)
	v_mul_f64 v[90:91], v[18:19], v[40:41]
	v_mul_f64 v[92:93], v[16:17], v[40:41]
	v_add_f64 v[72:73], v[72:73], v[104:105]
	v_add_f64 v[74:75], v[74:75], v[106:107]
	v_add_f64 v[58:59], v[42:43], v[58:59]
	v_add_f64 v[60:61], v[44:45], v[60:61]
	v_add_f64 v[84:85], v[52:53], v[96:97]
	v_add_f64 v[66:67], v[50:51], v[66:67]
	v_add_f64 v[68:69], v[46:47], v[68:69]
	v_add_f64 v[70:71], v[48:49], v[70:71]
	ds_load_b128 v[26:29], v22 offset:2816
	ds_load_b128 v[42:45], v22 offset:3072
	;; [unrolled: 1-line block ×4, first 2 shown]
	v_mul_f64 v[104:105], v[36:37], v[40:41]
	v_mul_f64 v[40:41], v[34:35], v[40:41]
	v_fma_f64 v[54:55], v[8:9], v[30:31], -v[54:55]
	v_fma_f64 v[76:77], v[10:11], v[30:31], v[76:77]
	v_fma_f64 v[98:99], v[8:9], v[4:5], -v[98:99]
	v_fma_f64 v[100:101], v[10:11], v[4:5], v[100:101]
	s_waitcnt lgkmcnt(3)
	v_mul_f64 v[94:95], v[18:19], v[28:29]
	v_mul_f64 v[96:97], v[16:17], v[28:29]
	;; [unrolled: 1-line block ×4, first 2 shown]
	v_fma_f64 v[102:103], v[12:13], v[30:31], -v[102:103]
	v_fma_f64 v[32:33], v[14:15], v[30:31], v[32:33]
	v_fma_f64 v[108:109], v[12:13], v[4:5], -v[108:109]
	v_fma_f64 v[112:113], v[14:15], v[4:5], v[6:7]
	ds_load_b128 v[4:7], v23 offset:2144
	ds_load_b128 v[8:11], v23 offset:112
	;; [unrolled: 1-line block ×4, first 2 shown]
	v_add_f64 v[56:57], v[72:73], v[56:57]
	v_add_f64 v[72:73], v[74:75], v[86:87]
	;; [unrolled: 1-line block ×8, first 2 shown]
	s_waitcnt lgkmcnt(4)
	v_mul_f64 v[70:71], v[52:53], v[44:45]
	v_mul_f64 v[74:75], v[50:51], v[44:45]
	;; [unrolled: 1-line block ×4, first 2 shown]
	s_waitcnt lgkmcnt(3)
	v_mul_f64 v[82:83], v[6:7], v[44:45]
	v_mul_f64 v[44:45], v[4:5], v[44:45]
	v_mul_f64 v[84:85], v[6:7], v[48:49]
	v_mul_f64 v[48:49], v[4:5], v[48:49]
	v_fma_f64 v[86:87], v[16:17], v[38:39], -v[90:91]
	v_fma_f64 v[88:89], v[18:19], v[38:39], v[92:93]
	v_fma_f64 v[90:91], v[16:17], v[26:27], -v[94:95]
	v_fma_f64 v[92:93], v[18:19], v[26:27], v[96:97]
	v_fma_f64 v[94:95], v[34:35], v[38:39], -v[104:105]
	v_fma_f64 v[38:39], v[36:37], v[38:39], v[40:41]
	v_fma_f64 v[34:35], v[34:35], v[26:27], -v[106:107]
	v_fma_f64 v[26:27], v[36:37], v[26:27], v[110:111]
	ds_load_b128 v[16:19], v22 offset:3840
	s_waitcnt lgkmcnt(0)
	s_barrier
	buffer_gl0_inv
	v_add_f64 v[36:37], v[56:57], v[54:55]
	v_add_f64 v[40:41], v[72:73], v[76:77]
	;; [unrolled: 1-line block ×8, first 2 shown]
	v_mul_f64 v[64:65], v[10:11], v[30:31]
	v_mul_f64 v[66:67], v[8:9], v[30:31]
	;; [unrolled: 1-line block ×4, first 2 shown]
	v_fma_f64 v[70:71], v[50:51], v[42:43], -v[70:71]
	v_mul_f64 v[68:69], v[10:11], v[18:19]
	v_mul_f64 v[72:73], v[8:9], v[18:19]
	;; [unrolled: 1-line block ×4, first 2 shown]
	v_fma_f64 v[74:75], v[52:53], v[42:43], v[74:75]
	v_fma_f64 v[50:51], v[50:51], v[46:47], -v[78:79]
	v_fma_f64 v[52:53], v[52:53], v[46:47], v[80:81]
	v_fma_f64 v[78:79], v[4:5], v[42:43], -v[82:83]
	;; [unrolled: 2-line block ×3, first 2 shown]
	v_fma_f64 v[6:7], v[6:7], v[46:47], v[48:49]
	v_add_f64 v[36:37], v[36:37], v[86:87]
	v_add_f64 v[40:41], v[40:41], v[88:89]
	;; [unrolled: 1-line block ×8, first 2 shown]
	v_fma_f64 v[38:39], v[8:9], v[28:29], -v[64:65]
	v_fma_f64 v[54:55], v[10:11], v[28:29], v[66:67]
	v_fma_f64 v[56:57], v[12:13], v[28:29], -v[76:77]
	v_fma_f64 v[28:29], v[14:15], v[28:29], v[30:31]
	;; [unrolled: 2-line block ×4, first 2 shown]
	v_add_f64 v[12:13], v[36:37], v[70:71]
	v_add_f64 v[14:15], v[40:41], v[74:75]
	;; [unrolled: 1-line block ×16, first 2 shown]
	s_cbranch_scc0 .LBB849_2
.LBB849_3:
	s_load_b32 s5, s[0:1], 0x40
	v_add_nc_u32_e32 v21, s10, v21
	v_add_nc_u32_e32 v0, s6, v20
	s_delay_alu instid0(VALU_DEP_1) | instskip(SKIP_1) | instid1(VALU_DEP_2)
	v_cmp_le_i32_e64 s0, v21, v0
	v_cmp_gt_i32_e32 vcc_lo, s4, v0
	s_and_b32 s0, s0, vcc_lo
	s_waitcnt lgkmcnt(0)
	v_mad_i64_i32 v[1:2], null, v21, s5, 0
	s_delay_alu instid0(VALU_DEP_1) | instskip(NEXT) | instid1(VALU_DEP_1)
	v_lshlrev_b64 v[1:2], 4, v[1:2]
	v_add_co_u32 v20, s1, s2, v1
	s_delay_alu instid0(VALU_DEP_1)
	v_add_co_ci_u32_e64 v22, s1, s3, v2, s1
	s_and_saveexec_b32 s1, s0
	s_cbranch_execz .LBB849_5
; %bb.4:
	v_ashrrev_i32_e32 v1, 31, v0
	s_delay_alu instid0(VALU_DEP_1) | instskip(NEXT) | instid1(VALU_DEP_1)
	v_lshlrev_b64 v[1:2], 4, v[0:1]
	v_add_co_u32 v1, s0, v20, v1
	s_delay_alu instid0(VALU_DEP_1)
	v_add_co_ci_u32_e64 v2, s0, v22, v2, s0
	v_cmp_ne_u32_e64 s0, v21, v0
	global_load_b128 v[23:26], v[1:2], off
	s_waitcnt vmcnt(0)
	v_add_f64 v[18:19], v[18:19], v[25:26]
	v_add_f64 v[16:17], v[16:17], v[23:24]
	s_delay_alu instid0(VALU_DEP_2) | instskip(NEXT) | instid1(VALU_DEP_3)
	v_cndmask_b32_e64 v19, 0, v19, s0
	v_cndmask_b32_e64 v18, 0, v18, s0
	global_store_b128 v[1:2], v[16:19], off
.LBB849_5:
	s_or_b32 exec_lo, exec_lo, s1
	v_add_nc_u32_e32 v2, 16, v0
	s_delay_alu instid0(VALU_DEP_1) | instskip(SKIP_1) | instid1(VALU_DEP_1)
	v_cmp_le_i32_e64 s1, v21, v2
	v_cmp_gt_i32_e64 s0, s4, v2
	s_and_b32 s1, s1, s0
	s_delay_alu instid0(SALU_CYCLE_1)
	s_and_saveexec_b32 s4, s1
	s_cbranch_execz .LBB849_7
; %bb.6:
	v_ashrrev_i32_e32 v3, 31, v2
	s_delay_alu instid0(VALU_DEP_1) | instskip(NEXT) | instid1(VALU_DEP_1)
	v_lshlrev_b64 v[16:17], 4, v[2:3]
	v_add_co_u32 v23, s1, v20, v16
	s_delay_alu instid0(VALU_DEP_1)
	v_add_co_ci_u32_e64 v24, s1, v22, v17, s1
	v_cmp_ne_u32_e64 s1, v21, v2
	global_load_b128 v[16:19], v[23:24], off
	s_waitcnt vmcnt(0)
	v_add_f64 v[14:15], v[14:15], v[18:19]
	v_add_f64 v[12:13], v[12:13], v[16:17]
	s_delay_alu instid0(VALU_DEP_2) | instskip(NEXT) | instid1(VALU_DEP_3)
	v_cndmask_b32_e64 v15, 0, v15, s1
	v_cndmask_b32_e64 v14, 0, v14, s1
	global_store_b128 v[23:24], v[12:15], off
.LBB849_7:
	s_or_b32 exec_lo, exec_lo, s4
	v_add_nc_u32_e32 v3, 16, v21
	s_delay_alu instid0(VALU_DEP_1) | instskip(SKIP_1) | instid1(VALU_DEP_2)
	v_mad_i64_i32 v[12:13], null, v3, s5, 0
	v_cmp_le_i32_e64 s1, v3, v0
	v_lshlrev_b64 v[12:13], 4, v[12:13]
	s_delay_alu instid0(VALU_DEP_1) | instskip(NEXT) | instid1(VALU_DEP_1)
	v_add_co_u32 v12, s2, s2, v12
	v_add_co_ci_u32_e64 v13, s2, s3, v13, s2
	s_delay_alu instid0(VALU_DEP_4) | instskip(NEXT) | instid1(SALU_CYCLE_1)
	s_and_b32 s2, s1, vcc_lo
	s_and_saveexec_b32 s1, s2
	s_cbranch_execz .LBB849_9
; %bb.8:
	v_ashrrev_i32_e32 v1, 31, v0
	s_delay_alu instid0(VALU_DEP_1) | instskip(NEXT) | instid1(VALU_DEP_1)
	v_lshlrev_b64 v[14:15], 4, v[0:1]
	v_add_co_u32 v18, vcc_lo, v12, v14
	s_delay_alu instid0(VALU_DEP_2)
	v_add_co_ci_u32_e32 v19, vcc_lo, v13, v15, vcc_lo
	v_cmp_ne_u32_e32 vcc_lo, v3, v0
	global_load_b128 v[14:17], v[18:19], off
	s_waitcnt vmcnt(0)
	v_add_f64 v[16:17], v[8:9], v[16:17]
	v_add_f64 v[8:9], v[10:11], v[14:15]
	s_delay_alu instid0(VALU_DEP_2)
	v_dual_cndmask_b32 v11, 0, v17 :: v_dual_cndmask_b32 v10, 0, v16
	global_store_b128 v[18:19], v[8:11], off
.LBB849_9:
	s_or_b32 exec_lo, exec_lo, s1
	v_cmp_le_i32_e32 vcc_lo, v3, v2
	s_and_b32 s0, vcc_lo, s0
	s_delay_alu instid0(SALU_CYCLE_1)
	s_and_saveexec_b32 s1, s0
	s_cbranch_execz .LBB849_11
; %bb.10:
	v_ashrrev_i32_e32 v3, 31, v2
	s_delay_alu instid0(VALU_DEP_1) | instskip(NEXT) | instid1(VALU_DEP_1)
	v_lshlrev_b64 v[1:2], 4, v[2:3]
	v_add_co_u32 v12, vcc_lo, v12, v1
	s_delay_alu instid0(VALU_DEP_2)
	v_add_co_ci_u32_e32 v13, vcc_lo, v13, v2, vcc_lo
	v_cmp_ne_u32_e32 vcc_lo, v21, v0
	global_load_b128 v[8:11], v[12:13], off
	s_waitcnt vmcnt(0)
	v_add_f64 v[3:4], v[4:5], v[10:11]
	v_add_f64 v[1:2], v[6:7], v[8:9]
	s_delay_alu instid0(VALU_DEP_2)
	v_dual_cndmask_b32 v4, 0, v4 :: v_dual_cndmask_b32 v3, 0, v3
	global_store_b128 v[12:13], v[1:4], off
.LBB849_11:
	s_nop 0
	s_sendmsg sendmsg(MSG_DEALLOC_VGPRS)
	s_endpgm
	.section	.rodata,"a",@progbits
	.p2align	6, 0x0
	.amdhsa_kernel _ZL37rocblas_syrkx_herkx_restricted_kernelIi19rocblas_complex_numIdELi16ELi32ELi8ELi1ELi1ELb1ELc84ELc76EKPKS1_KPS1_EviT_PT9_S7_lS9_S7_lPT10_S7_li
		.amdhsa_group_segment_fixed_size 8192
		.amdhsa_private_segment_fixed_size 0
		.amdhsa_kernarg_size 84
		.amdhsa_user_sgpr_count 13
		.amdhsa_user_sgpr_dispatch_ptr 0
		.amdhsa_user_sgpr_queue_ptr 0
		.amdhsa_user_sgpr_kernarg_segment_ptr 1
		.amdhsa_user_sgpr_dispatch_id 0
		.amdhsa_user_sgpr_private_segment_size 0
		.amdhsa_wavefront_size32 1
		.amdhsa_uses_dynamic_stack 0
		.amdhsa_enable_private_segment 0
		.amdhsa_system_sgpr_workgroup_id_x 1
		.amdhsa_system_sgpr_workgroup_id_y 1
		.amdhsa_system_sgpr_workgroup_id_z 1
		.amdhsa_system_sgpr_workgroup_info 0
		.amdhsa_system_vgpr_workitem_id 1
		.amdhsa_next_free_vgpr 118
		.amdhsa_next_free_sgpr 17
		.amdhsa_reserve_vcc 1
		.amdhsa_float_round_mode_32 0
		.amdhsa_float_round_mode_16_64 0
		.amdhsa_float_denorm_mode_32 3
		.amdhsa_float_denorm_mode_16_64 3
		.amdhsa_dx10_clamp 1
		.amdhsa_ieee_mode 1
		.amdhsa_fp16_overflow 0
		.amdhsa_workgroup_processor_mode 1
		.amdhsa_memory_ordered 1
		.amdhsa_forward_progress 0
		.amdhsa_shared_vgpr_count 0
		.amdhsa_exception_fp_ieee_invalid_op 0
		.amdhsa_exception_fp_denorm_src 0
		.amdhsa_exception_fp_ieee_div_zero 0
		.amdhsa_exception_fp_ieee_overflow 0
		.amdhsa_exception_fp_ieee_underflow 0
		.amdhsa_exception_fp_ieee_inexact 0
		.amdhsa_exception_int_div_zero 0
	.end_amdhsa_kernel
	.section	.text._ZL37rocblas_syrkx_herkx_restricted_kernelIi19rocblas_complex_numIdELi16ELi32ELi8ELi1ELi1ELb1ELc84ELc76EKPKS1_KPS1_EviT_PT9_S7_lS9_S7_lPT10_S7_li,"axG",@progbits,_ZL37rocblas_syrkx_herkx_restricted_kernelIi19rocblas_complex_numIdELi16ELi32ELi8ELi1ELi1ELb1ELc84ELc76EKPKS1_KPS1_EviT_PT9_S7_lS9_S7_lPT10_S7_li,comdat
.Lfunc_end849:
	.size	_ZL37rocblas_syrkx_herkx_restricted_kernelIi19rocblas_complex_numIdELi16ELi32ELi8ELi1ELi1ELb1ELc84ELc76EKPKS1_KPS1_EviT_PT9_S7_lS9_S7_lPT10_S7_li, .Lfunc_end849-_ZL37rocblas_syrkx_herkx_restricted_kernelIi19rocblas_complex_numIdELi16ELi32ELi8ELi1ELi1ELb1ELc84ELc76EKPKS1_KPS1_EviT_PT9_S7_lS9_S7_lPT10_S7_li
                                        ; -- End function
	.section	.AMDGPU.csdata,"",@progbits
; Kernel info:
; codeLenInByte = 3056
; NumSgprs: 19
; NumVgprs: 118
; ScratchSize: 0
; MemoryBound: 0
; FloatMode: 240
; IeeeMode: 1
; LDSByteSize: 8192 bytes/workgroup (compile time only)
; SGPRBlocks: 2
; VGPRBlocks: 14
; NumSGPRsForWavesPerEU: 19
; NumVGPRsForWavesPerEU: 118
; Occupancy: 12
; WaveLimiterHint : 1
; COMPUTE_PGM_RSRC2:SCRATCH_EN: 0
; COMPUTE_PGM_RSRC2:USER_SGPR: 13
; COMPUTE_PGM_RSRC2:TRAP_HANDLER: 0
; COMPUTE_PGM_RSRC2:TGID_X_EN: 1
; COMPUTE_PGM_RSRC2:TGID_Y_EN: 1
; COMPUTE_PGM_RSRC2:TGID_Z_EN: 1
; COMPUTE_PGM_RSRC2:TIDIG_COMP_CNT: 1
	.section	.text._ZL37rocblas_syrkx_herkx_restricted_kernelIi19rocblas_complex_numIdELi16ELi32ELi8ELi1ELi1ELb1ELc67ELc76EKPKS1_KPS1_EviT_PT9_S7_lS9_S7_lPT10_S7_li,"axG",@progbits,_ZL37rocblas_syrkx_herkx_restricted_kernelIi19rocblas_complex_numIdELi16ELi32ELi8ELi1ELi1ELb1ELc67ELc76EKPKS1_KPS1_EviT_PT9_S7_lS9_S7_lPT10_S7_li,comdat
	.globl	_ZL37rocblas_syrkx_herkx_restricted_kernelIi19rocblas_complex_numIdELi16ELi32ELi8ELi1ELi1ELb1ELc67ELc76EKPKS1_KPS1_EviT_PT9_S7_lS9_S7_lPT10_S7_li ; -- Begin function _ZL37rocblas_syrkx_herkx_restricted_kernelIi19rocblas_complex_numIdELi16ELi32ELi8ELi1ELi1ELb1ELc67ELc76EKPKS1_KPS1_EviT_PT9_S7_lS9_S7_lPT10_S7_li
	.p2align	8
	.type	_ZL37rocblas_syrkx_herkx_restricted_kernelIi19rocblas_complex_numIdELi16ELi32ELi8ELi1ELi1ELb1ELc67ELc76EKPKS1_KPS1_EviT_PT9_S7_lS9_S7_lPT10_S7_li,@function
_ZL37rocblas_syrkx_herkx_restricted_kernelIi19rocblas_complex_numIdELi16ELi32ELi8ELi1ELi1ELb1ELc67ELc76EKPKS1_KPS1_EviT_PT9_S7_lS9_S7_lPT10_S7_li: ; @_ZL37rocblas_syrkx_herkx_restricted_kernelIi19rocblas_complex_numIdELi16ELi32ELi8ELi1ELi1ELb1ELc67ELc76EKPKS1_KPS1_EviT_PT9_S7_lS9_S7_lPT10_S7_li
; %bb.0:
	s_clause 0x1
	s_load_b64 s[2:3], s[0:1], 0x38
	s_load_b64 s[4:5], s[0:1], 0x0
	s_mov_b32 s6, s15
	s_mov_b32 s7, 0
	v_mov_b32_e32 v16, 0
	s_lshl_b64 s[8:9], s[6:7], 3
	v_dual_mov_b32 v17, 0 :: v_dual_and_b32 v20, 0x3ff, v0
	v_bfe_u32 v21, v0, 10, 10
	s_delay_alu instid0(VALU_DEP_3) | instskip(NEXT) | instid1(VALU_DEP_3)
	v_mov_b32_e32 v12, v16
	v_dual_mov_b32 v14, v16 :: v_dual_mov_b32 v15, v17
	v_dual_mov_b32 v19, v17 :: v_dual_mov_b32 v18, v16
	;; [unrolled: 1-line block ×5, first 2 shown]
	v_mov_b32_e32 v7, v17
	s_waitcnt lgkmcnt(0)
	s_add_u32 s2, s2, s8
	s_addc_u32 s3, s3, s9
	v_dual_mov_b32 v4, v16 :: v_dual_mov_b32 v5, v17
	s_load_b64 s[2:3], s[2:3], 0x0
	s_lshl_b32 s6, s13, 5
	s_lshl_b32 s10, s14, 5
	s_cmp_lt_i32 s5, 1
	s_cbranch_scc1 .LBB850_3
; %bb.1:
	s_clause 0x3
	s_load_b64 s[12:13], s[0:1], 0x8
	s_load_b64 s[14:15], s[0:1], 0x20
	s_load_b32 s11, s[0:1], 0x10
	s_load_b32 s16, s[0:1], 0x28
	v_lshl_add_u32 v2, v21, 4, v20
	v_dual_mov_b32 v1, 0 :: v_dual_and_b32 v0, 7, v20
	v_mov_b32_e32 v4, 0
	v_dual_mov_b32 v5, 0 :: v_dual_lshlrev_b32 v22, 4, v20
	s_delay_alu instid0(VALU_DEP_4)
	v_and_b32_e32 v7, 31, v2
	v_lshrrev_b32_e32 v6, 3, v2
	v_lshrrev_b32_e32 v2, 5, v2
	v_mov_b32_e32 v3, v1
	v_lshl_add_u32 v23, v21, 7, 0x1000
	v_add_nc_u32_e32 v10, s6, v7
	v_dual_mov_b32 v15, v5 :: v_dual_add_nc_u32 v12, s10, v6
	v_dual_mov_b32 v14, v4 :: v_dual_mov_b32 v19, v5
	v_mov_b32_e32 v18, v4
	s_waitcnt lgkmcnt(0)
	s_add_u32 s12, s12, s8
	s_addc_u32 s13, s13, s9
	s_add_u32 s8, s14, s8
	s_load_b64 s[12:13], s[12:13], 0x0
	s_addc_u32 s9, s15, s9
	v_mad_i64_i32 v[8:9], null, s11, v10, v[2:3]
	s_load_b64 s[8:9], s[8:9], 0x0
	v_lshlrev_b32_e32 v3, 4, v0
	v_mad_i64_i32 v[10:11], null, s16, v12, v[0:1]
	v_dual_mov_b32 v17, v5 :: v_dual_lshlrev_b32 v12, 4, v7
	v_mov_b32_e32 v16, v4
	s_delay_alu instid0(VALU_DEP_4) | instskip(SKIP_3) | instid1(VALU_DEP_4)
	v_lshl_or_b32 v3, v6, 7, v3
	v_lshlrev_b64 v[0:1], 4, v[8:9]
	v_dual_mov_b32 v9, v5 :: v_dual_mov_b32 v8, v4
	v_lshl_or_b32 v24, v2, 9, v12
	v_add_nc_u32_e32 v25, 0x1000, v3
	v_lshlrev_b64 v[2:3], 4, v[10:11]
	v_dual_mov_b32 v7, v5 :: v_dual_mov_b32 v6, v4
	s_waitcnt lgkmcnt(0)
	v_add_co_u32 v0, vcc_lo, v0, s12
	v_add_co_ci_u32_e32 v1, vcc_lo, s13, v1, vcc_lo
	s_delay_alu instid0(VALU_DEP_4) | instskip(SKIP_1) | instid1(VALU_DEP_4)
	v_add_co_u32 v2, vcc_lo, v2, s8
	v_add_co_ci_u32_e32 v3, vcc_lo, s9, v3, vcc_lo
	v_add_co_u32 v0, vcc_lo, v0, 8
	s_delay_alu instid0(VALU_DEP_4) | instskip(NEXT) | instid1(VALU_DEP_4)
	v_add_co_ci_u32_e32 v1, vcc_lo, 0, v1, vcc_lo
	v_add_co_u32 v2, vcc_lo, v2, 8
	s_delay_alu instid0(VALU_DEP_4)
	v_add_co_ci_u32_e32 v3, vcc_lo, 0, v3, vcc_lo
	v_dual_mov_b32 v11, v5 :: v_dual_mov_b32 v10, v4
	v_dual_mov_b32 v13, v5 :: v_dual_mov_b32 v12, v4
.LBB850_2:                              ; =>This Inner Loop Header: Depth=1
	global_load_b128 v[26:29], v[0:1], off offset:-8
	global_load_b128 v[30:33], v[2:3], off offset:-8
	v_add_co_u32 v0, vcc_lo, 0x80, v0
	v_add_co_ci_u32_e32 v1, vcc_lo, 0, v1, vcc_lo
	v_add_co_u32 v2, vcc_lo, 0x80, v2
	v_add_co_ci_u32_e32 v3, vcc_lo, 0, v3, vcc_lo
	s_add_i32 s7, s7, 8
	s_delay_alu instid0(SALU_CYCLE_1)
	s_cmp_ge_i32 s7, s5
	s_waitcnt vmcnt(1)
	v_xor_b32_e32 v29, 0x80000000, v29
	ds_store_b128 v24, v[26:29]
	s_waitcnt vmcnt(0)
	ds_store_b128 v25, v[30:33]
	s_waitcnt lgkmcnt(0)
	s_barrier
	buffer_gl0_inv
	ds_load_b128 v[26:29], v23
	ds_load_b128 v[30:33], v22
	ds_load_b128 v[34:37], v22 offset:256
	ds_load_b128 v[38:41], v23 offset:2048
	;; [unrolled: 1-line block ×13, first 2 shown]
	s_waitcnt lgkmcnt(13)
	v_mul_f64 v[86:87], v[28:29], v[32:33]
	v_mul_f64 v[88:89], v[26:27], v[32:33]
	s_waitcnt lgkmcnt(12)
	v_mul_f64 v[90:91], v[28:29], v[36:37]
	v_mul_f64 v[92:93], v[26:27], v[36:37]
	;; [unrolled: 3-line block ×3, first 2 shown]
	v_mul_f64 v[96:97], v[40:41], v[36:37]
	v_mul_f64 v[36:37], v[38:39], v[36:37]
	s_waitcnt lgkmcnt(8)
	v_mul_f64 v[98:99], v[44:45], v[52:53]
	v_mul_f64 v[100:101], v[42:43], v[52:53]
	s_waitcnt lgkmcnt(7)
	v_mul_f64 v[102:103], v[44:45], v[56:57]
	v_mul_f64 v[104:105], v[42:43], v[56:57]
	v_mul_f64 v[106:107], v[48:49], v[52:53]
	v_mul_f64 v[52:53], v[46:47], v[52:53]
	v_mul_f64 v[108:109], v[48:49], v[56:57]
	v_mul_f64 v[56:57], v[46:47], v[56:57]
	s_waitcnt lgkmcnt(3)
	v_mul_f64 v[112:113], v[58:59], v[72:73]
	s_waitcnt lgkmcnt(2)
	v_mul_f64 v[114:115], v[76:77], v[68:69]
	v_mul_f64 v[116:117], v[76:77], v[72:73]
	v_fma_f64 v[86:87], v[26:27], v[30:31], -v[86:87]
	v_fma_f64 v[88:89], v[28:29], v[30:31], v[88:89]
	v_fma_f64 v[90:91], v[26:27], v[34:35], -v[90:91]
	v_fma_f64 v[92:93], v[28:29], v[34:35], v[92:93]
	;; [unrolled: 2-line block ×4, first 2 shown]
	v_mul_f64 v[36:37], v[60:61], v[68:69]
	v_mul_f64 v[40:41], v[58:59], v[68:69]
	;; [unrolled: 1-line block ×5, first 2 shown]
	v_fma_f64 v[98:99], v[42:43], v[50:51], -v[98:99]
	v_fma_f64 v[100:101], v[44:45], v[50:51], v[100:101]
	v_fma_f64 v[42:43], v[42:43], v[54:55], -v[102:103]
	v_fma_f64 v[44:45], v[44:45], v[54:55], v[104:105]
	;; [unrolled: 2-line block ×4, first 2 shown]
	ds_load_b128 v[26:29], v22 offset:1792
	ds_load_b128 v[30:33], v22 offset:2048
	s_waitcnt lgkmcnt(2)
	v_mul_f64 v[56:57], v[64:65], v[84:85]
	v_add_f64 v[16:17], v[16:17], v[86:87]
	v_add_f64 v[18:19], v[18:19], v[88:89]
	;; [unrolled: 1-line block ×8, first 2 shown]
	v_mul_f64 v[86:87], v[62:63], v[84:85]
	s_waitcnt lgkmcnt(1)
	v_mul_f64 v[88:89], v[64:65], v[28:29]
	v_mul_f64 v[90:91], v[62:63], v[28:29]
	v_mul_f64 v[92:93], v[80:81], v[84:85]
	v_mul_f64 v[84:85], v[78:79], v[84:85]
	v_mul_f64 v[94:95], v[80:81], v[28:29]
	v_mul_f64 v[28:29], v[78:79], v[28:29]
	v_fma_f64 v[104:105], v[58:59], v[66:67], -v[36:37]
	v_fma_f64 v[106:107], v[60:61], v[66:67], v[40:41]
	v_fma_f64 v[58:59], v[58:59], v[70:71], -v[96:97]
	v_fma_f64 v[60:61], v[60:61], v[70:71], v[112:113]
	;; [unrolled: 2-line block ×4, first 2 shown]
	ds_load_b128 v[4:7], v22 offset:2304
	ds_load_b128 v[8:11], v23 offset:64
	v_fma_f64 v[56:57], v[62:63], v[82:83], -v[56:57]
	v_add_f64 v[72:73], v[16:17], v[98:99]
	v_add_f64 v[74:75], v[18:19], v[100:101]
	v_add_f64 v[42:43], v[12:13], v[42:43]
	v_add_f64 v[44:45], v[14:15], v[44:45]
	v_add_f64 v[52:53], v[52:53], v[102:103]
	v_add_f64 v[50:51], v[54:55], v[50:51]
	v_add_f64 v[46:47], v[38:39], v[46:47]
	v_add_f64 v[48:49], v[34:35], v[48:49]
	ds_load_b128 v[12:15], v23 offset:2112
	ds_load_b128 v[16:19], v23 offset:80
	ds_load_b128 v[34:37], v23 offset:2128
	ds_load_b128 v[38:41], v22 offset:2560
	s_waitcnt lgkmcnt(4)
	v_mul_f64 v[54:55], v[10:11], v[32:33]
	v_mul_f64 v[76:77], v[8:9], v[32:33]
	;; [unrolled: 1-line block ×4, first 2 shown]
	v_fma_f64 v[86:87], v[64:65], v[82:83], v[86:87]
	v_fma_f64 v[62:63], v[62:63], v[26:27], -v[88:89]
	v_fma_f64 v[64:65], v[64:65], v[26:27], v[90:91]
	v_fma_f64 v[88:89], v[78:79], v[82:83], -v[92:93]
	;; [unrolled: 2-line block ×3, first 2 shown]
	v_fma_f64 v[80:81], v[80:81], v[26:27], v[28:29]
	s_waitcnt lgkmcnt(3)
	v_mul_f64 v[102:103], v[14:15], v[32:33]
	v_mul_f64 v[32:33], v[12:13], v[32:33]
	;; [unrolled: 1-line block ×4, first 2 shown]
	s_waitcnt lgkmcnt(0)
	v_mul_f64 v[90:91], v[18:19], v[40:41]
	v_mul_f64 v[92:93], v[16:17], v[40:41]
	v_add_f64 v[72:73], v[72:73], v[104:105]
	v_add_f64 v[74:75], v[74:75], v[106:107]
	v_add_f64 v[58:59], v[42:43], v[58:59]
	v_add_f64 v[60:61], v[44:45], v[60:61]
	v_add_f64 v[84:85], v[52:53], v[96:97]
	v_add_f64 v[66:67], v[50:51], v[66:67]
	v_add_f64 v[68:69], v[46:47], v[68:69]
	v_add_f64 v[70:71], v[48:49], v[70:71]
	ds_load_b128 v[26:29], v22 offset:2816
	ds_load_b128 v[42:45], v22 offset:3072
	;; [unrolled: 1-line block ×4, first 2 shown]
	v_mul_f64 v[104:105], v[36:37], v[40:41]
	v_mul_f64 v[40:41], v[34:35], v[40:41]
	v_fma_f64 v[54:55], v[8:9], v[30:31], -v[54:55]
	v_fma_f64 v[76:77], v[10:11], v[30:31], v[76:77]
	v_fma_f64 v[98:99], v[8:9], v[4:5], -v[98:99]
	v_fma_f64 v[100:101], v[10:11], v[4:5], v[100:101]
	s_waitcnt lgkmcnt(3)
	v_mul_f64 v[94:95], v[18:19], v[28:29]
	v_mul_f64 v[96:97], v[16:17], v[28:29]
	;; [unrolled: 1-line block ×4, first 2 shown]
	v_fma_f64 v[102:103], v[12:13], v[30:31], -v[102:103]
	v_fma_f64 v[32:33], v[14:15], v[30:31], v[32:33]
	v_fma_f64 v[108:109], v[12:13], v[4:5], -v[108:109]
	v_fma_f64 v[112:113], v[14:15], v[4:5], v[6:7]
	ds_load_b128 v[4:7], v23 offset:2144
	ds_load_b128 v[8:11], v23 offset:112
	;; [unrolled: 1-line block ×4, first 2 shown]
	v_add_f64 v[56:57], v[72:73], v[56:57]
	v_add_f64 v[72:73], v[74:75], v[86:87]
	;; [unrolled: 1-line block ×8, first 2 shown]
	s_waitcnt lgkmcnt(4)
	v_mul_f64 v[70:71], v[52:53], v[44:45]
	v_mul_f64 v[74:75], v[50:51], v[44:45]
	v_mul_f64 v[78:79], v[52:53], v[48:49]
	v_mul_f64 v[80:81], v[50:51], v[48:49]
	s_waitcnt lgkmcnt(3)
	v_mul_f64 v[82:83], v[6:7], v[44:45]
	v_mul_f64 v[44:45], v[4:5], v[44:45]
	;; [unrolled: 1-line block ×4, first 2 shown]
	v_fma_f64 v[86:87], v[16:17], v[38:39], -v[90:91]
	v_fma_f64 v[88:89], v[18:19], v[38:39], v[92:93]
	v_fma_f64 v[90:91], v[16:17], v[26:27], -v[94:95]
	v_fma_f64 v[92:93], v[18:19], v[26:27], v[96:97]
	;; [unrolled: 2-line block ×4, first 2 shown]
	ds_load_b128 v[16:19], v22 offset:3840
	s_waitcnt lgkmcnt(0)
	s_barrier
	buffer_gl0_inv
	v_add_f64 v[36:37], v[56:57], v[54:55]
	v_add_f64 v[40:41], v[72:73], v[76:77]
	;; [unrolled: 1-line block ×8, first 2 shown]
	v_mul_f64 v[64:65], v[10:11], v[30:31]
	v_mul_f64 v[66:67], v[8:9], v[30:31]
	;; [unrolled: 1-line block ×4, first 2 shown]
	v_fma_f64 v[70:71], v[50:51], v[42:43], -v[70:71]
	v_mul_f64 v[68:69], v[10:11], v[18:19]
	v_mul_f64 v[72:73], v[8:9], v[18:19]
	;; [unrolled: 1-line block ×4, first 2 shown]
	v_fma_f64 v[74:75], v[52:53], v[42:43], v[74:75]
	v_fma_f64 v[50:51], v[50:51], v[46:47], -v[78:79]
	v_fma_f64 v[52:53], v[52:53], v[46:47], v[80:81]
	v_fma_f64 v[78:79], v[4:5], v[42:43], -v[82:83]
	;; [unrolled: 2-line block ×3, first 2 shown]
	v_fma_f64 v[6:7], v[6:7], v[46:47], v[48:49]
	v_add_f64 v[36:37], v[36:37], v[86:87]
	v_add_f64 v[40:41], v[40:41], v[88:89]
	;; [unrolled: 1-line block ×8, first 2 shown]
	v_fma_f64 v[38:39], v[8:9], v[28:29], -v[64:65]
	v_fma_f64 v[54:55], v[10:11], v[28:29], v[66:67]
	v_fma_f64 v[56:57], v[12:13], v[28:29], -v[76:77]
	v_fma_f64 v[28:29], v[14:15], v[28:29], v[30:31]
	;; [unrolled: 2-line block ×4, first 2 shown]
	v_add_f64 v[12:13], v[36:37], v[70:71]
	v_add_f64 v[14:15], v[40:41], v[74:75]
	;; [unrolled: 1-line block ×16, first 2 shown]
	s_cbranch_scc0 .LBB850_2
.LBB850_3:
	s_load_b32 s5, s[0:1], 0x40
	v_add_nc_u32_e32 v21, s10, v21
	v_add_nc_u32_e32 v0, s6, v20
	s_delay_alu instid0(VALU_DEP_1) | instskip(SKIP_1) | instid1(VALU_DEP_2)
	v_cmp_le_i32_e64 s0, v21, v0
	v_cmp_gt_i32_e32 vcc_lo, s4, v0
	s_and_b32 s0, s0, vcc_lo
	s_waitcnt lgkmcnt(0)
	v_mad_i64_i32 v[1:2], null, v21, s5, 0
	s_delay_alu instid0(VALU_DEP_1) | instskip(NEXT) | instid1(VALU_DEP_1)
	v_lshlrev_b64 v[1:2], 4, v[1:2]
	v_add_co_u32 v20, s1, s2, v1
	s_delay_alu instid0(VALU_DEP_1)
	v_add_co_ci_u32_e64 v22, s1, s3, v2, s1
	s_and_saveexec_b32 s1, s0
	s_cbranch_execz .LBB850_5
; %bb.4:
	v_ashrrev_i32_e32 v1, 31, v0
	s_delay_alu instid0(VALU_DEP_1) | instskip(NEXT) | instid1(VALU_DEP_1)
	v_lshlrev_b64 v[1:2], 4, v[0:1]
	v_add_co_u32 v1, s0, v20, v1
	s_delay_alu instid0(VALU_DEP_1)
	v_add_co_ci_u32_e64 v2, s0, v22, v2, s0
	v_cmp_ne_u32_e64 s0, v21, v0
	global_load_b128 v[23:26], v[1:2], off
	s_waitcnt vmcnt(0)
	v_add_f64 v[18:19], v[18:19], v[25:26]
	v_add_f64 v[16:17], v[16:17], v[23:24]
	s_delay_alu instid0(VALU_DEP_2) | instskip(NEXT) | instid1(VALU_DEP_3)
	v_cndmask_b32_e64 v19, 0, v19, s0
	v_cndmask_b32_e64 v18, 0, v18, s0
	global_store_b128 v[1:2], v[16:19], off
.LBB850_5:
	s_or_b32 exec_lo, exec_lo, s1
	v_add_nc_u32_e32 v2, 16, v0
	s_delay_alu instid0(VALU_DEP_1) | instskip(SKIP_1) | instid1(VALU_DEP_1)
	v_cmp_le_i32_e64 s1, v21, v2
	v_cmp_gt_i32_e64 s0, s4, v2
	s_and_b32 s1, s1, s0
	s_delay_alu instid0(SALU_CYCLE_1)
	s_and_saveexec_b32 s4, s1
	s_cbranch_execz .LBB850_7
; %bb.6:
	v_ashrrev_i32_e32 v3, 31, v2
	s_delay_alu instid0(VALU_DEP_1) | instskip(NEXT) | instid1(VALU_DEP_1)
	v_lshlrev_b64 v[16:17], 4, v[2:3]
	v_add_co_u32 v23, s1, v20, v16
	s_delay_alu instid0(VALU_DEP_1)
	v_add_co_ci_u32_e64 v24, s1, v22, v17, s1
	v_cmp_ne_u32_e64 s1, v21, v2
	global_load_b128 v[16:19], v[23:24], off
	s_waitcnt vmcnt(0)
	v_add_f64 v[14:15], v[14:15], v[18:19]
	v_add_f64 v[12:13], v[12:13], v[16:17]
	s_delay_alu instid0(VALU_DEP_2) | instskip(NEXT) | instid1(VALU_DEP_3)
	v_cndmask_b32_e64 v15, 0, v15, s1
	v_cndmask_b32_e64 v14, 0, v14, s1
	global_store_b128 v[23:24], v[12:15], off
.LBB850_7:
	s_or_b32 exec_lo, exec_lo, s4
	v_add_nc_u32_e32 v3, 16, v21
	s_delay_alu instid0(VALU_DEP_1) | instskip(SKIP_1) | instid1(VALU_DEP_2)
	v_mad_i64_i32 v[12:13], null, v3, s5, 0
	v_cmp_le_i32_e64 s1, v3, v0
	v_lshlrev_b64 v[12:13], 4, v[12:13]
	s_delay_alu instid0(VALU_DEP_1) | instskip(NEXT) | instid1(VALU_DEP_1)
	v_add_co_u32 v12, s2, s2, v12
	v_add_co_ci_u32_e64 v13, s2, s3, v13, s2
	s_delay_alu instid0(VALU_DEP_4) | instskip(NEXT) | instid1(SALU_CYCLE_1)
	s_and_b32 s2, s1, vcc_lo
	s_and_saveexec_b32 s1, s2
	s_cbranch_execz .LBB850_9
; %bb.8:
	v_ashrrev_i32_e32 v1, 31, v0
	s_delay_alu instid0(VALU_DEP_1) | instskip(NEXT) | instid1(VALU_DEP_1)
	v_lshlrev_b64 v[14:15], 4, v[0:1]
	v_add_co_u32 v18, vcc_lo, v12, v14
	s_delay_alu instid0(VALU_DEP_2)
	v_add_co_ci_u32_e32 v19, vcc_lo, v13, v15, vcc_lo
	v_cmp_ne_u32_e32 vcc_lo, v3, v0
	global_load_b128 v[14:17], v[18:19], off
	s_waitcnt vmcnt(0)
	v_add_f64 v[16:17], v[8:9], v[16:17]
	v_add_f64 v[8:9], v[10:11], v[14:15]
	s_delay_alu instid0(VALU_DEP_2)
	v_dual_cndmask_b32 v11, 0, v17 :: v_dual_cndmask_b32 v10, 0, v16
	global_store_b128 v[18:19], v[8:11], off
.LBB850_9:
	s_or_b32 exec_lo, exec_lo, s1
	v_cmp_le_i32_e32 vcc_lo, v3, v2
	s_and_b32 s0, vcc_lo, s0
	s_delay_alu instid0(SALU_CYCLE_1)
	s_and_saveexec_b32 s1, s0
	s_cbranch_execz .LBB850_11
; %bb.10:
	v_ashrrev_i32_e32 v3, 31, v2
	s_delay_alu instid0(VALU_DEP_1) | instskip(NEXT) | instid1(VALU_DEP_1)
	v_lshlrev_b64 v[1:2], 4, v[2:3]
	v_add_co_u32 v12, vcc_lo, v12, v1
	s_delay_alu instid0(VALU_DEP_2)
	v_add_co_ci_u32_e32 v13, vcc_lo, v13, v2, vcc_lo
	v_cmp_ne_u32_e32 vcc_lo, v21, v0
	global_load_b128 v[8:11], v[12:13], off
	s_waitcnt vmcnt(0)
	v_add_f64 v[3:4], v[4:5], v[10:11]
	v_add_f64 v[1:2], v[6:7], v[8:9]
	s_delay_alu instid0(VALU_DEP_2)
	v_dual_cndmask_b32 v4, 0, v4 :: v_dual_cndmask_b32 v3, 0, v3
	global_store_b128 v[12:13], v[1:4], off
.LBB850_11:
	s_nop 0
	s_sendmsg sendmsg(MSG_DEALLOC_VGPRS)
	s_endpgm
	.section	.rodata,"a",@progbits
	.p2align	6, 0x0
	.amdhsa_kernel _ZL37rocblas_syrkx_herkx_restricted_kernelIi19rocblas_complex_numIdELi16ELi32ELi8ELi1ELi1ELb1ELc67ELc76EKPKS1_KPS1_EviT_PT9_S7_lS9_S7_lPT10_S7_li
		.amdhsa_group_segment_fixed_size 8192
		.amdhsa_private_segment_fixed_size 0
		.amdhsa_kernarg_size 84
		.amdhsa_user_sgpr_count 13
		.amdhsa_user_sgpr_dispatch_ptr 0
		.amdhsa_user_sgpr_queue_ptr 0
		.amdhsa_user_sgpr_kernarg_segment_ptr 1
		.amdhsa_user_sgpr_dispatch_id 0
		.amdhsa_user_sgpr_private_segment_size 0
		.amdhsa_wavefront_size32 1
		.amdhsa_uses_dynamic_stack 0
		.amdhsa_enable_private_segment 0
		.amdhsa_system_sgpr_workgroup_id_x 1
		.amdhsa_system_sgpr_workgroup_id_y 1
		.amdhsa_system_sgpr_workgroup_id_z 1
		.amdhsa_system_sgpr_workgroup_info 0
		.amdhsa_system_vgpr_workitem_id 1
		.amdhsa_next_free_vgpr 118
		.amdhsa_next_free_sgpr 17
		.amdhsa_reserve_vcc 1
		.amdhsa_float_round_mode_32 0
		.amdhsa_float_round_mode_16_64 0
		.amdhsa_float_denorm_mode_32 3
		.amdhsa_float_denorm_mode_16_64 3
		.amdhsa_dx10_clamp 1
		.amdhsa_ieee_mode 1
		.amdhsa_fp16_overflow 0
		.amdhsa_workgroup_processor_mode 1
		.amdhsa_memory_ordered 1
		.amdhsa_forward_progress 0
		.amdhsa_shared_vgpr_count 0
		.amdhsa_exception_fp_ieee_invalid_op 0
		.amdhsa_exception_fp_denorm_src 0
		.amdhsa_exception_fp_ieee_div_zero 0
		.amdhsa_exception_fp_ieee_overflow 0
		.amdhsa_exception_fp_ieee_underflow 0
		.amdhsa_exception_fp_ieee_inexact 0
		.amdhsa_exception_int_div_zero 0
	.end_amdhsa_kernel
	.section	.text._ZL37rocblas_syrkx_herkx_restricted_kernelIi19rocblas_complex_numIdELi16ELi32ELi8ELi1ELi1ELb1ELc67ELc76EKPKS1_KPS1_EviT_PT9_S7_lS9_S7_lPT10_S7_li,"axG",@progbits,_ZL37rocblas_syrkx_herkx_restricted_kernelIi19rocblas_complex_numIdELi16ELi32ELi8ELi1ELi1ELb1ELc67ELc76EKPKS1_KPS1_EviT_PT9_S7_lS9_S7_lPT10_S7_li,comdat
.Lfunc_end850:
	.size	_ZL37rocblas_syrkx_herkx_restricted_kernelIi19rocblas_complex_numIdELi16ELi32ELi8ELi1ELi1ELb1ELc67ELc76EKPKS1_KPS1_EviT_PT9_S7_lS9_S7_lPT10_S7_li, .Lfunc_end850-_ZL37rocblas_syrkx_herkx_restricted_kernelIi19rocblas_complex_numIdELi16ELi32ELi8ELi1ELi1ELb1ELc67ELc76EKPKS1_KPS1_EviT_PT9_S7_lS9_S7_lPT10_S7_li
                                        ; -- End function
	.section	.AMDGPU.csdata,"",@progbits
; Kernel info:
; codeLenInByte = 3068
; NumSgprs: 19
; NumVgprs: 118
; ScratchSize: 0
; MemoryBound: 0
; FloatMode: 240
; IeeeMode: 1
; LDSByteSize: 8192 bytes/workgroup (compile time only)
; SGPRBlocks: 2
; VGPRBlocks: 14
; NumSGPRsForWavesPerEU: 19
; NumVGPRsForWavesPerEU: 118
; Occupancy: 12
; WaveLimiterHint : 1
; COMPUTE_PGM_RSRC2:SCRATCH_EN: 0
; COMPUTE_PGM_RSRC2:USER_SGPR: 13
; COMPUTE_PGM_RSRC2:TRAP_HANDLER: 0
; COMPUTE_PGM_RSRC2:TGID_X_EN: 1
; COMPUTE_PGM_RSRC2:TGID_Y_EN: 1
; COMPUTE_PGM_RSRC2:TGID_Z_EN: 1
; COMPUTE_PGM_RSRC2:TIDIG_COMP_CNT: 1
	.section	.text._ZL37rocblas_syrkx_herkx_restricted_kernelIi19rocblas_complex_numIdELi16ELi32ELi8ELi1ELi1ELb1ELc78ELc76EKPKS1_KPS1_EviT_PT9_S7_lS9_S7_lPT10_S7_li,"axG",@progbits,_ZL37rocblas_syrkx_herkx_restricted_kernelIi19rocblas_complex_numIdELi16ELi32ELi8ELi1ELi1ELb1ELc78ELc76EKPKS1_KPS1_EviT_PT9_S7_lS9_S7_lPT10_S7_li,comdat
	.globl	_ZL37rocblas_syrkx_herkx_restricted_kernelIi19rocblas_complex_numIdELi16ELi32ELi8ELi1ELi1ELb1ELc78ELc76EKPKS1_KPS1_EviT_PT9_S7_lS9_S7_lPT10_S7_li ; -- Begin function _ZL37rocblas_syrkx_herkx_restricted_kernelIi19rocblas_complex_numIdELi16ELi32ELi8ELi1ELi1ELb1ELc78ELc76EKPKS1_KPS1_EviT_PT9_S7_lS9_S7_lPT10_S7_li
	.p2align	8
	.type	_ZL37rocblas_syrkx_herkx_restricted_kernelIi19rocblas_complex_numIdELi16ELi32ELi8ELi1ELi1ELb1ELc78ELc76EKPKS1_KPS1_EviT_PT9_S7_lS9_S7_lPT10_S7_li,@function
_ZL37rocblas_syrkx_herkx_restricted_kernelIi19rocblas_complex_numIdELi16ELi32ELi8ELi1ELi1ELb1ELc78ELc76EKPKS1_KPS1_EviT_PT9_S7_lS9_S7_lPT10_S7_li: ; @_ZL37rocblas_syrkx_herkx_restricted_kernelIi19rocblas_complex_numIdELi16ELi32ELi8ELi1ELi1ELb1ELc78ELc76EKPKS1_KPS1_EviT_PT9_S7_lS9_S7_lPT10_S7_li
; %bb.0:
	s_clause 0x1
	s_load_b64 s[2:3], s[0:1], 0x38
	s_load_b64 s[4:5], s[0:1], 0x0
	s_mov_b32 s6, s15
	s_mov_b32 s7, 0
	v_mov_b32_e32 v16, 0
	s_lshl_b64 s[8:9], s[6:7], 3
	v_dual_mov_b32 v17, 0 :: v_dual_and_b32 v20, 0x3ff, v0
	v_bfe_u32 v21, v0, 10, 10
	s_delay_alu instid0(VALU_DEP_3) | instskip(NEXT) | instid1(VALU_DEP_3)
	v_mov_b32_e32 v12, v16
	v_dual_mov_b32 v14, v16 :: v_dual_mov_b32 v15, v17
	v_dual_mov_b32 v19, v17 :: v_dual_mov_b32 v18, v16
	;; [unrolled: 1-line block ×5, first 2 shown]
	v_mov_b32_e32 v7, v17
	s_waitcnt lgkmcnt(0)
	s_add_u32 s2, s2, s8
	s_addc_u32 s3, s3, s9
	v_dual_mov_b32 v4, v16 :: v_dual_mov_b32 v5, v17
	s_load_b64 s[2:3], s[2:3], 0x0
	s_lshl_b32 s6, s13, 5
	s_lshl_b32 s12, s14, 5
	s_cmp_lt_i32 s5, 1
	s_cbranch_scc1 .LBB851_3
; %bb.1:
	s_clause 0x3
	s_load_b32 s10, s[0:1], 0x10
	s_load_b32 s14, s[0:1], 0x28
	s_load_b64 s[16:17], s[0:1], 0x8
	s_load_b64 s[18:19], s[0:1], 0x20
	v_lshl_add_u32 v0, v21, 4, v20
	v_and_b32_e32 v10, 7, v20
	v_lshl_add_u32 v23, v21, 7, 0x1000
	v_mov_b32_e32 v4, 0
	v_mov_b32_e32 v5, 0
	v_and_b32_e32 v9, 31, v0
	v_lshrrev_b32_e32 v8, 3, v0
	v_lshlrev_b32_e32 v12, 4, v10
	v_lshrrev_b32_e32 v11, 5, v0
	s_delay_alu instid0(VALU_DEP_4) | instskip(NEXT) | instid1(VALU_DEP_4)
	v_dual_mov_b32 v15, v5 :: v_dual_add_nc_u32 v2, s6, v9
	v_add_nc_u32_e32 v0, s12, v8
	v_lshlrev_b32_e32 v9, 4, v9
	v_lshl_or_b32 v8, v8, 7, v12
	v_lshlrev_b32_e32 v22, 4, v20
	v_dual_mov_b32 v14, v4 :: v_dual_mov_b32 v19, v5
	s_waitcnt lgkmcnt(0)
	s_ashr_i32 s11, s10, 31
	s_ashr_i32 s15, s14, 31
	s_add_u32 s16, s16, s8
	s_addc_u32 s17, s17, s9
	s_add_u32 s8, s18, s8
	s_load_b64 s[16:17], s[16:17], 0x0
	s_addc_u32 s9, s19, s9
	v_lshl_or_b32 v24, v11, 9, v9
	v_add_nc_u32_e32 v25, 0x1000, v8
	v_mov_b32_e32 v9, v5
	v_ashrrev_i32_e32 v3, 31, v2
	s_load_b64 s[8:9], s[8:9], 0x0
	v_ashrrev_i32_e32 v1, 31, v0
	v_dual_mov_b32 v8, v4 :: v_dual_mov_b32 v13, v5
	s_delay_alu instid0(VALU_DEP_3) | instskip(NEXT) | instid1(VALU_DEP_3)
	v_mad_i64_i32 v[6:7], null, s10, v11, v[2:3]
	v_mad_i64_i32 v[2:3], null, s14, v10, v[0:1]
	v_dual_mov_b32 v11, v5 :: v_dual_mov_b32 v12, v4
	v_dual_mov_b32 v17, v5 :: v_dual_mov_b32 v10, v4
	s_delay_alu instid0(VALU_DEP_4)
	v_lshlrev_b64 v[0:1], 4, v[6:7]
	v_mov_b32_e32 v7, v5
	v_lshlrev_b64 v[2:3], 4, v[2:3]
	v_mov_b32_e32 v6, v4
	v_mov_b32_e32 v18, v4
	;; [unrolled: 1-line block ×3, first 2 shown]
	s_waitcnt lgkmcnt(0)
	v_add_co_u32 v0, vcc_lo, v0, s16
	v_add_co_ci_u32_e32 v1, vcc_lo, s17, v1, vcc_lo
	v_add_co_u32 v2, vcc_lo, v2, s8
	v_add_co_ci_u32_e32 v3, vcc_lo, s9, v3, vcc_lo
	s_delay_alu instid0(VALU_DEP_4) | instskip(NEXT) | instid1(VALU_DEP_4)
	v_add_co_u32 v0, vcc_lo, v0, 8
	v_add_co_ci_u32_e32 v1, vcc_lo, 0, v1, vcc_lo
	s_delay_alu instid0(VALU_DEP_4) | instskip(NEXT) | instid1(VALU_DEP_4)
	v_add_co_u32 v2, vcc_lo, v2, 8
	v_add_co_ci_u32_e32 v3, vcc_lo, 0, v3, vcc_lo
	s_lshl_b64 s[8:9], s[10:11], 7
	s_lshl_b64 s[10:11], s[14:15], 7
.LBB851_2:                              ; =>This Inner Loop Header: Depth=1
	global_load_b128 v[26:29], v[2:3], off offset:-8
	global_load_b128 v[30:33], v[0:1], off offset:-8
	v_add_co_u32 v0, vcc_lo, v0, s8
	v_add_co_ci_u32_e32 v1, vcc_lo, s9, v1, vcc_lo
	v_add_co_u32 v2, vcc_lo, v2, s10
	v_add_co_ci_u32_e32 v3, vcc_lo, s11, v3, vcc_lo
	s_add_i32 s7, s7, 8
	s_delay_alu instid0(SALU_CYCLE_1)
	s_cmp_ge_i32 s7, s5
	s_waitcnt vmcnt(1)
	v_xor_b32_e32 v29, 0x80000000, v29
	s_waitcnt vmcnt(0)
	ds_store_b128 v24, v[30:33]
	ds_store_b128 v25, v[26:29]
	s_waitcnt lgkmcnt(0)
	s_barrier
	buffer_gl0_inv
	ds_load_b128 v[26:29], v23
	ds_load_b128 v[30:33], v22
	ds_load_b128 v[34:37], v22 offset:256
	ds_load_b128 v[38:41], v23 offset:2048
	;; [unrolled: 1-line block ×13, first 2 shown]
	s_waitcnt lgkmcnt(13)
	v_mul_f64 v[86:87], v[28:29], v[32:33]
	v_mul_f64 v[88:89], v[26:27], v[32:33]
	s_waitcnt lgkmcnt(12)
	v_mul_f64 v[90:91], v[28:29], v[36:37]
	v_mul_f64 v[92:93], v[26:27], v[36:37]
	;; [unrolled: 3-line block ×3, first 2 shown]
	v_mul_f64 v[96:97], v[40:41], v[36:37]
	v_mul_f64 v[36:37], v[38:39], v[36:37]
	s_waitcnt lgkmcnt(8)
	v_mul_f64 v[98:99], v[44:45], v[52:53]
	v_mul_f64 v[100:101], v[42:43], v[52:53]
	s_waitcnt lgkmcnt(7)
	v_mul_f64 v[102:103], v[44:45], v[56:57]
	v_mul_f64 v[104:105], v[42:43], v[56:57]
	;; [unrolled: 1-line block ×6, first 2 shown]
	s_waitcnt lgkmcnt(3)
	v_mul_f64 v[112:113], v[58:59], v[72:73]
	s_waitcnt lgkmcnt(2)
	v_mul_f64 v[114:115], v[76:77], v[68:69]
	v_mul_f64 v[116:117], v[76:77], v[72:73]
	v_fma_f64 v[86:87], v[26:27], v[30:31], -v[86:87]
	v_fma_f64 v[88:89], v[28:29], v[30:31], v[88:89]
	v_fma_f64 v[90:91], v[26:27], v[34:35], -v[90:91]
	v_fma_f64 v[92:93], v[28:29], v[34:35], v[92:93]
	;; [unrolled: 2-line block ×4, first 2 shown]
	v_mul_f64 v[36:37], v[60:61], v[68:69]
	v_mul_f64 v[40:41], v[58:59], v[68:69]
	;; [unrolled: 1-line block ×5, first 2 shown]
	v_fma_f64 v[98:99], v[42:43], v[50:51], -v[98:99]
	v_fma_f64 v[100:101], v[44:45], v[50:51], v[100:101]
	v_fma_f64 v[42:43], v[42:43], v[54:55], -v[102:103]
	v_fma_f64 v[44:45], v[44:45], v[54:55], v[104:105]
	;; [unrolled: 2-line block ×4, first 2 shown]
	ds_load_b128 v[26:29], v22 offset:1792
	ds_load_b128 v[30:33], v22 offset:2048
	s_waitcnt lgkmcnt(2)
	v_mul_f64 v[56:57], v[64:65], v[84:85]
	v_add_f64 v[16:17], v[16:17], v[86:87]
	v_add_f64 v[18:19], v[18:19], v[88:89]
	;; [unrolled: 1-line block ×8, first 2 shown]
	v_mul_f64 v[86:87], v[62:63], v[84:85]
	s_waitcnt lgkmcnt(1)
	v_mul_f64 v[88:89], v[64:65], v[28:29]
	v_mul_f64 v[90:91], v[62:63], v[28:29]
	;; [unrolled: 1-line block ×6, first 2 shown]
	v_fma_f64 v[104:105], v[58:59], v[66:67], -v[36:37]
	v_fma_f64 v[106:107], v[60:61], v[66:67], v[40:41]
	v_fma_f64 v[58:59], v[58:59], v[70:71], -v[96:97]
	v_fma_f64 v[60:61], v[60:61], v[70:71], v[112:113]
	;; [unrolled: 2-line block ×4, first 2 shown]
	ds_load_b128 v[4:7], v22 offset:2304
	ds_load_b128 v[8:11], v23 offset:64
	v_fma_f64 v[56:57], v[62:63], v[82:83], -v[56:57]
	v_add_f64 v[72:73], v[16:17], v[98:99]
	v_add_f64 v[74:75], v[18:19], v[100:101]
	;; [unrolled: 1-line block ×8, first 2 shown]
	ds_load_b128 v[12:15], v23 offset:2112
	ds_load_b128 v[16:19], v23 offset:80
	;; [unrolled: 1-line block ×4, first 2 shown]
	s_waitcnt lgkmcnt(4)
	v_mul_f64 v[54:55], v[10:11], v[32:33]
	v_mul_f64 v[76:77], v[8:9], v[32:33]
	;; [unrolled: 1-line block ×4, first 2 shown]
	v_fma_f64 v[86:87], v[64:65], v[82:83], v[86:87]
	v_fma_f64 v[62:63], v[62:63], v[26:27], -v[88:89]
	v_fma_f64 v[64:65], v[64:65], v[26:27], v[90:91]
	v_fma_f64 v[88:89], v[78:79], v[82:83], -v[92:93]
	;; [unrolled: 2-line block ×3, first 2 shown]
	v_fma_f64 v[80:81], v[80:81], v[26:27], v[28:29]
	s_waitcnt lgkmcnt(3)
	v_mul_f64 v[102:103], v[14:15], v[32:33]
	v_mul_f64 v[32:33], v[12:13], v[32:33]
	;; [unrolled: 1-line block ×4, first 2 shown]
	s_waitcnt lgkmcnt(0)
	v_mul_f64 v[90:91], v[18:19], v[40:41]
	v_mul_f64 v[92:93], v[16:17], v[40:41]
	v_add_f64 v[72:73], v[72:73], v[104:105]
	v_add_f64 v[74:75], v[74:75], v[106:107]
	;; [unrolled: 1-line block ×8, first 2 shown]
	ds_load_b128 v[26:29], v22 offset:2816
	ds_load_b128 v[42:45], v22 offset:3072
	ds_load_b128 v[46:49], v22 offset:3328
	ds_load_b128 v[50:53], v23 offset:96
	v_mul_f64 v[104:105], v[36:37], v[40:41]
	v_mul_f64 v[40:41], v[34:35], v[40:41]
	v_fma_f64 v[54:55], v[8:9], v[30:31], -v[54:55]
	v_fma_f64 v[76:77], v[10:11], v[30:31], v[76:77]
	v_fma_f64 v[98:99], v[8:9], v[4:5], -v[98:99]
	v_fma_f64 v[100:101], v[10:11], v[4:5], v[100:101]
	s_waitcnt lgkmcnt(3)
	v_mul_f64 v[94:95], v[18:19], v[28:29]
	v_mul_f64 v[96:97], v[16:17], v[28:29]
	;; [unrolled: 1-line block ×4, first 2 shown]
	v_fma_f64 v[102:103], v[12:13], v[30:31], -v[102:103]
	v_fma_f64 v[32:33], v[14:15], v[30:31], v[32:33]
	v_fma_f64 v[108:109], v[12:13], v[4:5], -v[108:109]
	v_fma_f64 v[112:113], v[14:15], v[4:5], v[6:7]
	ds_load_b128 v[4:7], v23 offset:2144
	ds_load_b128 v[8:11], v23 offset:112
	;; [unrolled: 1-line block ×4, first 2 shown]
	v_add_f64 v[56:57], v[72:73], v[56:57]
	v_add_f64 v[72:73], v[74:75], v[86:87]
	;; [unrolled: 1-line block ×8, first 2 shown]
	s_waitcnt lgkmcnt(4)
	v_mul_f64 v[70:71], v[52:53], v[44:45]
	v_mul_f64 v[74:75], v[50:51], v[44:45]
	;; [unrolled: 1-line block ×4, first 2 shown]
	s_waitcnt lgkmcnt(3)
	v_mul_f64 v[82:83], v[6:7], v[44:45]
	v_mul_f64 v[44:45], v[4:5], v[44:45]
	v_mul_f64 v[84:85], v[6:7], v[48:49]
	v_mul_f64 v[48:49], v[4:5], v[48:49]
	v_fma_f64 v[86:87], v[16:17], v[38:39], -v[90:91]
	v_fma_f64 v[88:89], v[18:19], v[38:39], v[92:93]
	v_fma_f64 v[90:91], v[16:17], v[26:27], -v[94:95]
	v_fma_f64 v[92:93], v[18:19], v[26:27], v[96:97]
	;; [unrolled: 2-line block ×4, first 2 shown]
	ds_load_b128 v[16:19], v22 offset:3840
	s_waitcnt lgkmcnt(0)
	s_barrier
	buffer_gl0_inv
	v_add_f64 v[36:37], v[56:57], v[54:55]
	v_add_f64 v[40:41], v[72:73], v[76:77]
	;; [unrolled: 1-line block ×8, first 2 shown]
	v_mul_f64 v[64:65], v[10:11], v[30:31]
	v_mul_f64 v[66:67], v[8:9], v[30:31]
	;; [unrolled: 1-line block ×4, first 2 shown]
	v_fma_f64 v[70:71], v[50:51], v[42:43], -v[70:71]
	v_mul_f64 v[68:69], v[10:11], v[18:19]
	v_mul_f64 v[72:73], v[8:9], v[18:19]
	;; [unrolled: 1-line block ×4, first 2 shown]
	v_fma_f64 v[74:75], v[52:53], v[42:43], v[74:75]
	v_fma_f64 v[50:51], v[50:51], v[46:47], -v[78:79]
	v_fma_f64 v[52:53], v[52:53], v[46:47], v[80:81]
	v_fma_f64 v[78:79], v[4:5], v[42:43], -v[82:83]
	;; [unrolled: 2-line block ×3, first 2 shown]
	v_fma_f64 v[6:7], v[6:7], v[46:47], v[48:49]
	v_add_f64 v[36:37], v[36:37], v[86:87]
	v_add_f64 v[40:41], v[40:41], v[88:89]
	;; [unrolled: 1-line block ×8, first 2 shown]
	v_fma_f64 v[38:39], v[8:9], v[28:29], -v[64:65]
	v_fma_f64 v[54:55], v[10:11], v[28:29], v[66:67]
	v_fma_f64 v[56:57], v[12:13], v[28:29], -v[76:77]
	v_fma_f64 v[28:29], v[14:15], v[28:29], v[30:31]
	;; [unrolled: 2-line block ×4, first 2 shown]
	v_add_f64 v[12:13], v[36:37], v[70:71]
	v_add_f64 v[14:15], v[40:41], v[74:75]
	;; [unrolled: 1-line block ×16, first 2 shown]
	s_cbranch_scc0 .LBB851_2
.LBB851_3:
	s_load_b32 s5, s[0:1], 0x40
	v_add_nc_u32_e32 v21, s12, v21
	v_add_nc_u32_e32 v0, s6, v20
	s_delay_alu instid0(VALU_DEP_1) | instskip(SKIP_1) | instid1(VALU_DEP_2)
	v_cmp_le_i32_e64 s0, v21, v0
	v_cmp_gt_i32_e32 vcc_lo, s4, v0
	s_and_b32 s0, s0, vcc_lo
	s_waitcnt lgkmcnt(0)
	v_mad_i64_i32 v[1:2], null, v21, s5, 0
	s_delay_alu instid0(VALU_DEP_1) | instskip(NEXT) | instid1(VALU_DEP_1)
	v_lshlrev_b64 v[1:2], 4, v[1:2]
	v_add_co_u32 v20, s1, s2, v1
	s_delay_alu instid0(VALU_DEP_1)
	v_add_co_ci_u32_e64 v22, s1, s3, v2, s1
	s_and_saveexec_b32 s1, s0
	s_cbranch_execz .LBB851_5
; %bb.4:
	v_ashrrev_i32_e32 v1, 31, v0
	s_delay_alu instid0(VALU_DEP_1) | instskip(NEXT) | instid1(VALU_DEP_1)
	v_lshlrev_b64 v[1:2], 4, v[0:1]
	v_add_co_u32 v1, s0, v20, v1
	s_delay_alu instid0(VALU_DEP_1)
	v_add_co_ci_u32_e64 v2, s0, v22, v2, s0
	v_cmp_ne_u32_e64 s0, v21, v0
	global_load_b128 v[23:26], v[1:2], off
	s_waitcnt vmcnt(0)
	v_add_f64 v[18:19], v[18:19], v[25:26]
	v_add_f64 v[16:17], v[16:17], v[23:24]
	s_delay_alu instid0(VALU_DEP_2) | instskip(NEXT) | instid1(VALU_DEP_3)
	v_cndmask_b32_e64 v19, 0, v19, s0
	v_cndmask_b32_e64 v18, 0, v18, s0
	global_store_b128 v[1:2], v[16:19], off
.LBB851_5:
	s_or_b32 exec_lo, exec_lo, s1
	v_add_nc_u32_e32 v2, 16, v0
	s_delay_alu instid0(VALU_DEP_1) | instskip(SKIP_1) | instid1(VALU_DEP_1)
	v_cmp_le_i32_e64 s1, v21, v2
	v_cmp_gt_i32_e64 s0, s4, v2
	s_and_b32 s1, s1, s0
	s_delay_alu instid0(SALU_CYCLE_1)
	s_and_saveexec_b32 s4, s1
	s_cbranch_execz .LBB851_7
; %bb.6:
	v_ashrrev_i32_e32 v3, 31, v2
	s_delay_alu instid0(VALU_DEP_1) | instskip(NEXT) | instid1(VALU_DEP_1)
	v_lshlrev_b64 v[16:17], 4, v[2:3]
	v_add_co_u32 v23, s1, v20, v16
	s_delay_alu instid0(VALU_DEP_1)
	v_add_co_ci_u32_e64 v24, s1, v22, v17, s1
	v_cmp_ne_u32_e64 s1, v21, v2
	global_load_b128 v[16:19], v[23:24], off
	s_waitcnt vmcnt(0)
	v_add_f64 v[14:15], v[14:15], v[18:19]
	v_add_f64 v[12:13], v[12:13], v[16:17]
	s_delay_alu instid0(VALU_DEP_2) | instskip(NEXT) | instid1(VALU_DEP_3)
	v_cndmask_b32_e64 v15, 0, v15, s1
	v_cndmask_b32_e64 v14, 0, v14, s1
	global_store_b128 v[23:24], v[12:15], off
.LBB851_7:
	s_or_b32 exec_lo, exec_lo, s4
	v_add_nc_u32_e32 v3, 16, v21
	s_delay_alu instid0(VALU_DEP_1) | instskip(SKIP_1) | instid1(VALU_DEP_2)
	v_mad_i64_i32 v[12:13], null, v3, s5, 0
	v_cmp_le_i32_e64 s1, v3, v0
	v_lshlrev_b64 v[12:13], 4, v[12:13]
	s_delay_alu instid0(VALU_DEP_1) | instskip(NEXT) | instid1(VALU_DEP_1)
	v_add_co_u32 v12, s2, s2, v12
	v_add_co_ci_u32_e64 v13, s2, s3, v13, s2
	s_delay_alu instid0(VALU_DEP_4) | instskip(NEXT) | instid1(SALU_CYCLE_1)
	s_and_b32 s2, s1, vcc_lo
	s_and_saveexec_b32 s1, s2
	s_cbranch_execz .LBB851_9
; %bb.8:
	v_ashrrev_i32_e32 v1, 31, v0
	s_delay_alu instid0(VALU_DEP_1) | instskip(NEXT) | instid1(VALU_DEP_1)
	v_lshlrev_b64 v[14:15], 4, v[0:1]
	v_add_co_u32 v18, vcc_lo, v12, v14
	s_delay_alu instid0(VALU_DEP_2)
	v_add_co_ci_u32_e32 v19, vcc_lo, v13, v15, vcc_lo
	v_cmp_ne_u32_e32 vcc_lo, v3, v0
	global_load_b128 v[14:17], v[18:19], off
	s_waitcnt vmcnt(0)
	v_add_f64 v[10:11], v[10:11], v[16:17]
	v_add_f64 v[8:9], v[8:9], v[14:15]
	s_delay_alu instid0(VALU_DEP_2)
	v_dual_cndmask_b32 v11, 0, v11 :: v_dual_cndmask_b32 v10, 0, v10
	global_store_b128 v[18:19], v[8:11], off
.LBB851_9:
	s_or_b32 exec_lo, exec_lo, s1
	v_cmp_le_i32_e32 vcc_lo, v3, v2
	s_and_b32 s0, vcc_lo, s0
	s_delay_alu instid0(SALU_CYCLE_1)
	s_and_saveexec_b32 s1, s0
	s_cbranch_execz .LBB851_11
; %bb.10:
	v_ashrrev_i32_e32 v3, 31, v2
	s_delay_alu instid0(VALU_DEP_1) | instskip(NEXT) | instid1(VALU_DEP_1)
	v_lshlrev_b64 v[1:2], 4, v[2:3]
	v_add_co_u32 v12, vcc_lo, v12, v1
	s_delay_alu instid0(VALU_DEP_2)
	v_add_co_ci_u32_e32 v13, vcc_lo, v13, v2, vcc_lo
	v_cmp_ne_u32_e32 vcc_lo, v21, v0
	global_load_b128 v[8:11], v[12:13], off
	s_waitcnt vmcnt(0)
	v_add_f64 v[3:4], v[4:5], v[10:11]
	v_add_f64 v[1:2], v[6:7], v[8:9]
	s_delay_alu instid0(VALU_DEP_2)
	v_dual_cndmask_b32 v4, 0, v4 :: v_dual_cndmask_b32 v3, 0, v3
	global_store_b128 v[12:13], v[1:4], off
.LBB851_11:
	s_nop 0
	s_sendmsg sendmsg(MSG_DEALLOC_VGPRS)
	s_endpgm
	.section	.rodata,"a",@progbits
	.p2align	6, 0x0
	.amdhsa_kernel _ZL37rocblas_syrkx_herkx_restricted_kernelIi19rocblas_complex_numIdELi16ELi32ELi8ELi1ELi1ELb1ELc78ELc76EKPKS1_KPS1_EviT_PT9_S7_lS9_S7_lPT10_S7_li
		.amdhsa_group_segment_fixed_size 8192
		.amdhsa_private_segment_fixed_size 0
		.amdhsa_kernarg_size 84
		.amdhsa_user_sgpr_count 13
		.amdhsa_user_sgpr_dispatch_ptr 0
		.amdhsa_user_sgpr_queue_ptr 0
		.amdhsa_user_sgpr_kernarg_segment_ptr 1
		.amdhsa_user_sgpr_dispatch_id 0
		.amdhsa_user_sgpr_private_segment_size 0
		.amdhsa_wavefront_size32 1
		.amdhsa_uses_dynamic_stack 0
		.amdhsa_enable_private_segment 0
		.amdhsa_system_sgpr_workgroup_id_x 1
		.amdhsa_system_sgpr_workgroup_id_y 1
		.amdhsa_system_sgpr_workgroup_id_z 1
		.amdhsa_system_sgpr_workgroup_info 0
		.amdhsa_system_vgpr_workitem_id 1
		.amdhsa_next_free_vgpr 118
		.amdhsa_next_free_sgpr 20
		.amdhsa_reserve_vcc 1
		.amdhsa_float_round_mode_32 0
		.amdhsa_float_round_mode_16_64 0
		.amdhsa_float_denorm_mode_32 3
		.amdhsa_float_denorm_mode_16_64 3
		.amdhsa_dx10_clamp 1
		.amdhsa_ieee_mode 1
		.amdhsa_fp16_overflow 0
		.amdhsa_workgroup_processor_mode 1
		.amdhsa_memory_ordered 1
		.amdhsa_forward_progress 0
		.amdhsa_shared_vgpr_count 0
		.amdhsa_exception_fp_ieee_invalid_op 0
		.amdhsa_exception_fp_denorm_src 0
		.amdhsa_exception_fp_ieee_div_zero 0
		.amdhsa_exception_fp_ieee_overflow 0
		.amdhsa_exception_fp_ieee_underflow 0
		.amdhsa_exception_fp_ieee_inexact 0
		.amdhsa_exception_int_div_zero 0
	.end_amdhsa_kernel
	.section	.text._ZL37rocblas_syrkx_herkx_restricted_kernelIi19rocblas_complex_numIdELi16ELi32ELi8ELi1ELi1ELb1ELc78ELc76EKPKS1_KPS1_EviT_PT9_S7_lS9_S7_lPT10_S7_li,"axG",@progbits,_ZL37rocblas_syrkx_herkx_restricted_kernelIi19rocblas_complex_numIdELi16ELi32ELi8ELi1ELi1ELb1ELc78ELc76EKPKS1_KPS1_EviT_PT9_S7_lS9_S7_lPT10_S7_li,comdat
.Lfunc_end851:
	.size	_ZL37rocblas_syrkx_herkx_restricted_kernelIi19rocblas_complex_numIdELi16ELi32ELi8ELi1ELi1ELb1ELc78ELc76EKPKS1_KPS1_EviT_PT9_S7_lS9_S7_lPT10_S7_li, .Lfunc_end851-_ZL37rocblas_syrkx_herkx_restricted_kernelIi19rocblas_complex_numIdELi16ELi32ELi8ELi1ELi1ELb1ELc78ELc76EKPKS1_KPS1_EviT_PT9_S7_lS9_S7_lPT10_S7_li
                                        ; -- End function
	.section	.AMDGPU.csdata,"",@progbits
; Kernel info:
; codeLenInByte = 3076
; NumSgprs: 22
; NumVgprs: 118
; ScratchSize: 0
; MemoryBound: 0
; FloatMode: 240
; IeeeMode: 1
; LDSByteSize: 8192 bytes/workgroup (compile time only)
; SGPRBlocks: 2
; VGPRBlocks: 14
; NumSGPRsForWavesPerEU: 22
; NumVGPRsForWavesPerEU: 118
; Occupancy: 12
; WaveLimiterHint : 1
; COMPUTE_PGM_RSRC2:SCRATCH_EN: 0
; COMPUTE_PGM_RSRC2:USER_SGPR: 13
; COMPUTE_PGM_RSRC2:TRAP_HANDLER: 0
; COMPUTE_PGM_RSRC2:TGID_X_EN: 1
; COMPUTE_PGM_RSRC2:TGID_Y_EN: 1
; COMPUTE_PGM_RSRC2:TGID_Z_EN: 1
; COMPUTE_PGM_RSRC2:TIDIG_COMP_CNT: 1
	.section	.text._ZL37rocblas_syrkx_herkx_restricted_kernelIi19rocblas_complex_numIdELi16ELi32ELi8ELi1ELi1ELb1ELc84ELc85EKPKS1_KPS1_EviT_PT9_S7_lS9_S7_lPT10_S7_li,"axG",@progbits,_ZL37rocblas_syrkx_herkx_restricted_kernelIi19rocblas_complex_numIdELi16ELi32ELi8ELi1ELi1ELb1ELc84ELc85EKPKS1_KPS1_EviT_PT9_S7_lS9_S7_lPT10_S7_li,comdat
	.globl	_ZL37rocblas_syrkx_herkx_restricted_kernelIi19rocblas_complex_numIdELi16ELi32ELi8ELi1ELi1ELb1ELc84ELc85EKPKS1_KPS1_EviT_PT9_S7_lS9_S7_lPT10_S7_li ; -- Begin function _ZL37rocblas_syrkx_herkx_restricted_kernelIi19rocblas_complex_numIdELi16ELi32ELi8ELi1ELi1ELb1ELc84ELc85EKPKS1_KPS1_EviT_PT9_S7_lS9_S7_lPT10_S7_li
	.p2align	8
	.type	_ZL37rocblas_syrkx_herkx_restricted_kernelIi19rocblas_complex_numIdELi16ELi32ELi8ELi1ELi1ELb1ELc84ELc85EKPKS1_KPS1_EviT_PT9_S7_lS9_S7_lPT10_S7_li,@function
_ZL37rocblas_syrkx_herkx_restricted_kernelIi19rocblas_complex_numIdELi16ELi32ELi8ELi1ELi1ELb1ELc84ELc85EKPKS1_KPS1_EviT_PT9_S7_lS9_S7_lPT10_S7_li: ; @_ZL37rocblas_syrkx_herkx_restricted_kernelIi19rocblas_complex_numIdELi16ELi32ELi8ELi1ELi1ELb1ELc84ELc85EKPKS1_KPS1_EviT_PT9_S7_lS9_S7_lPT10_S7_li
; %bb.0:
	s_clause 0x1
	s_load_b64 s[4:5], s[0:1], 0x38
	s_load_b64 s[2:3], s[0:1], 0x0
	s_mov_b32 s6, s15
	s_mov_b32 s7, 0
	v_mov_b32_e32 v16, 0
	s_lshl_b64 s[8:9], s[6:7], 3
	v_dual_mov_b32 v17, 0 :: v_dual_and_b32 v20, 0x3ff, v0
	v_bfe_u32 v21, v0, 10, 10
	s_delay_alu instid0(VALU_DEP_3) | instskip(NEXT) | instid1(VALU_DEP_3)
	v_mov_b32_e32 v12, v16
	v_dual_mov_b32 v14, v16 :: v_dual_mov_b32 v15, v17
	v_dual_mov_b32 v19, v17 :: v_dual_mov_b32 v18, v16
	;; [unrolled: 1-line block ×5, first 2 shown]
	v_mov_b32_e32 v7, v17
	s_waitcnt lgkmcnt(0)
	s_add_u32 s4, s4, s8
	s_addc_u32 s5, s5, s9
	v_dual_mov_b32 v4, v16 :: v_dual_mov_b32 v5, v17
	s_load_b64 s[4:5], s[4:5], 0x0
	s_lshl_b32 s6, s13, 5
	s_lshl_b32 s10, s14, 5
	s_cmp_lt_i32 s3, 1
	s_cbranch_scc1 .LBB852_3
; %bb.1:
	s_clause 0x3
	s_load_b64 s[12:13], s[0:1], 0x8
	s_load_b64 s[14:15], s[0:1], 0x20
	s_load_b32 s11, s[0:1], 0x10
	s_load_b32 s16, s[0:1], 0x28
	v_lshl_add_u32 v2, v21, 4, v20
	v_dual_mov_b32 v1, 0 :: v_dual_and_b32 v0, 7, v20
	v_mov_b32_e32 v4, 0
	v_dual_mov_b32 v5, 0 :: v_dual_lshlrev_b32 v22, 4, v20
	s_delay_alu instid0(VALU_DEP_4)
	v_and_b32_e32 v7, 31, v2
	v_lshrrev_b32_e32 v6, 3, v2
	v_lshrrev_b32_e32 v2, 5, v2
	v_mov_b32_e32 v3, v1
	v_lshl_add_u32 v23, v21, 7, 0x1000
	v_add_nc_u32_e32 v10, s6, v7
	v_dual_mov_b32 v15, v5 :: v_dual_add_nc_u32 v12, s10, v6
	v_dual_mov_b32 v14, v4 :: v_dual_mov_b32 v19, v5
	v_mov_b32_e32 v18, v4
	s_waitcnt lgkmcnt(0)
	s_add_u32 s12, s12, s8
	s_addc_u32 s13, s13, s9
	s_add_u32 s8, s14, s8
	s_load_b64 s[12:13], s[12:13], 0x0
	s_addc_u32 s9, s15, s9
	v_mad_i64_i32 v[8:9], null, s11, v10, v[2:3]
	s_load_b64 s[8:9], s[8:9], 0x0
	v_lshlrev_b32_e32 v3, 4, v0
	v_mad_i64_i32 v[10:11], null, s16, v12, v[0:1]
	v_dual_mov_b32 v17, v5 :: v_dual_lshlrev_b32 v12, 4, v7
	v_mov_b32_e32 v16, v4
	s_delay_alu instid0(VALU_DEP_4) | instskip(SKIP_3) | instid1(VALU_DEP_4)
	v_lshl_or_b32 v3, v6, 7, v3
	v_lshlrev_b64 v[0:1], 4, v[8:9]
	v_dual_mov_b32 v9, v5 :: v_dual_mov_b32 v8, v4
	v_lshl_or_b32 v24, v2, 9, v12
	v_add_nc_u32_e32 v25, 0x1000, v3
	v_lshlrev_b64 v[2:3], 4, v[10:11]
	v_dual_mov_b32 v7, v5 :: v_dual_mov_b32 v6, v4
	s_waitcnt lgkmcnt(0)
	v_add_co_u32 v0, vcc_lo, v0, s12
	v_add_co_ci_u32_e32 v1, vcc_lo, s13, v1, vcc_lo
	s_delay_alu instid0(VALU_DEP_4) | instskip(SKIP_1) | instid1(VALU_DEP_4)
	v_add_co_u32 v2, vcc_lo, v2, s8
	v_add_co_ci_u32_e32 v3, vcc_lo, s9, v3, vcc_lo
	v_add_co_u32 v0, vcc_lo, v0, 8
	s_delay_alu instid0(VALU_DEP_4) | instskip(NEXT) | instid1(VALU_DEP_4)
	v_add_co_ci_u32_e32 v1, vcc_lo, 0, v1, vcc_lo
	v_add_co_u32 v2, vcc_lo, v2, 8
	s_delay_alu instid0(VALU_DEP_4)
	v_add_co_ci_u32_e32 v3, vcc_lo, 0, v3, vcc_lo
	v_dual_mov_b32 v11, v5 :: v_dual_mov_b32 v10, v4
	v_dual_mov_b32 v13, v5 :: v_dual_mov_b32 v12, v4
.LBB852_2:                              ; =>This Inner Loop Header: Depth=1
	global_load_b128 v[26:29], v[0:1], off offset:-8
	global_load_b128 v[30:33], v[2:3], off offset:-8
	v_add_co_u32 v0, vcc_lo, 0x80, v0
	v_add_co_ci_u32_e32 v1, vcc_lo, 0, v1, vcc_lo
	v_add_co_u32 v2, vcc_lo, 0x80, v2
	v_add_co_ci_u32_e32 v3, vcc_lo, 0, v3, vcc_lo
	s_add_i32 s7, s7, 8
	s_waitcnt vmcnt(1)
	ds_store_b128 v24, v[26:29]
	s_waitcnt vmcnt(0)
	ds_store_b128 v25, v[30:33]
	s_waitcnt lgkmcnt(0)
	s_barrier
	buffer_gl0_inv
	ds_load_b128 v[26:29], v23
	ds_load_b128 v[30:33], v22
	ds_load_b128 v[34:37], v22 offset:256
	ds_load_b128 v[38:41], v23 offset:2048
	;; [unrolled: 1-line block ×13, first 2 shown]
	s_cmp_ge_i32 s7, s3
	s_waitcnt lgkmcnt(13)
	v_mul_f64 v[86:87], v[28:29], v[32:33]
	v_mul_f64 v[88:89], v[26:27], v[32:33]
	s_waitcnt lgkmcnt(12)
	v_mul_f64 v[90:91], v[28:29], v[36:37]
	v_mul_f64 v[92:93], v[26:27], v[36:37]
	;; [unrolled: 3-line block ×3, first 2 shown]
	v_mul_f64 v[96:97], v[40:41], v[36:37]
	v_mul_f64 v[36:37], v[38:39], v[36:37]
	s_waitcnt lgkmcnt(8)
	v_mul_f64 v[98:99], v[44:45], v[52:53]
	v_mul_f64 v[100:101], v[42:43], v[52:53]
	s_waitcnt lgkmcnt(7)
	v_mul_f64 v[102:103], v[44:45], v[56:57]
	v_mul_f64 v[104:105], v[42:43], v[56:57]
	;; [unrolled: 1-line block ×6, first 2 shown]
	s_waitcnt lgkmcnt(3)
	v_mul_f64 v[112:113], v[58:59], v[72:73]
	s_waitcnt lgkmcnt(2)
	v_mul_f64 v[114:115], v[76:77], v[68:69]
	v_mul_f64 v[116:117], v[76:77], v[72:73]
	v_fma_f64 v[86:87], v[26:27], v[30:31], -v[86:87]
	v_fma_f64 v[88:89], v[28:29], v[30:31], v[88:89]
	v_fma_f64 v[90:91], v[26:27], v[34:35], -v[90:91]
	v_fma_f64 v[92:93], v[28:29], v[34:35], v[92:93]
	;; [unrolled: 2-line block ×4, first 2 shown]
	v_mul_f64 v[36:37], v[60:61], v[68:69]
	v_mul_f64 v[40:41], v[58:59], v[68:69]
	;; [unrolled: 1-line block ×5, first 2 shown]
	v_fma_f64 v[98:99], v[42:43], v[50:51], -v[98:99]
	v_fma_f64 v[100:101], v[44:45], v[50:51], v[100:101]
	v_fma_f64 v[42:43], v[42:43], v[54:55], -v[102:103]
	v_fma_f64 v[44:45], v[44:45], v[54:55], v[104:105]
	;; [unrolled: 2-line block ×4, first 2 shown]
	ds_load_b128 v[26:29], v22 offset:1792
	ds_load_b128 v[30:33], v22 offset:2048
	s_waitcnt lgkmcnt(2)
	v_mul_f64 v[56:57], v[64:65], v[84:85]
	v_add_f64 v[16:17], v[16:17], v[86:87]
	v_add_f64 v[18:19], v[18:19], v[88:89]
	;; [unrolled: 1-line block ×8, first 2 shown]
	v_mul_f64 v[86:87], v[62:63], v[84:85]
	s_waitcnt lgkmcnt(1)
	v_mul_f64 v[88:89], v[64:65], v[28:29]
	v_mul_f64 v[90:91], v[62:63], v[28:29]
	;; [unrolled: 1-line block ×6, first 2 shown]
	v_fma_f64 v[104:105], v[58:59], v[66:67], -v[36:37]
	v_fma_f64 v[106:107], v[60:61], v[66:67], v[40:41]
	v_fma_f64 v[58:59], v[58:59], v[70:71], -v[96:97]
	v_fma_f64 v[60:61], v[60:61], v[70:71], v[112:113]
	v_fma_f64 v[96:97], v[74:75], v[66:67], -v[114:115]
	v_fma_f64 v[66:67], v[76:77], v[66:67], v[68:69]
	v_fma_f64 v[68:69], v[74:75], v[70:71], -v[116:117]
	v_fma_f64 v[70:71], v[76:77], v[70:71], v[72:73]
	ds_load_b128 v[4:7], v22 offset:2304
	ds_load_b128 v[8:11], v23 offset:64
	v_fma_f64 v[56:57], v[62:63], v[82:83], -v[56:57]
	v_add_f64 v[72:73], v[16:17], v[98:99]
	v_add_f64 v[74:75], v[18:19], v[100:101]
	;; [unrolled: 1-line block ×8, first 2 shown]
	ds_load_b128 v[12:15], v23 offset:2112
	ds_load_b128 v[16:19], v23 offset:80
	;; [unrolled: 1-line block ×4, first 2 shown]
	s_waitcnt lgkmcnt(4)
	v_mul_f64 v[54:55], v[10:11], v[32:33]
	v_mul_f64 v[76:77], v[8:9], v[32:33]
	;; [unrolled: 1-line block ×4, first 2 shown]
	v_fma_f64 v[86:87], v[64:65], v[82:83], v[86:87]
	v_fma_f64 v[62:63], v[62:63], v[26:27], -v[88:89]
	v_fma_f64 v[64:65], v[64:65], v[26:27], v[90:91]
	v_fma_f64 v[88:89], v[78:79], v[82:83], -v[92:93]
	;; [unrolled: 2-line block ×3, first 2 shown]
	v_fma_f64 v[80:81], v[80:81], v[26:27], v[28:29]
	s_waitcnt lgkmcnt(3)
	v_mul_f64 v[102:103], v[14:15], v[32:33]
	v_mul_f64 v[32:33], v[12:13], v[32:33]
	;; [unrolled: 1-line block ×4, first 2 shown]
	s_waitcnt lgkmcnt(0)
	v_mul_f64 v[90:91], v[18:19], v[40:41]
	v_mul_f64 v[92:93], v[16:17], v[40:41]
	v_add_f64 v[72:73], v[72:73], v[104:105]
	v_add_f64 v[74:75], v[74:75], v[106:107]
	;; [unrolled: 1-line block ×8, first 2 shown]
	ds_load_b128 v[26:29], v22 offset:2816
	ds_load_b128 v[42:45], v22 offset:3072
	;; [unrolled: 1-line block ×4, first 2 shown]
	v_mul_f64 v[104:105], v[36:37], v[40:41]
	v_mul_f64 v[40:41], v[34:35], v[40:41]
	v_fma_f64 v[54:55], v[8:9], v[30:31], -v[54:55]
	v_fma_f64 v[76:77], v[10:11], v[30:31], v[76:77]
	v_fma_f64 v[98:99], v[8:9], v[4:5], -v[98:99]
	v_fma_f64 v[100:101], v[10:11], v[4:5], v[100:101]
	s_waitcnt lgkmcnt(3)
	v_mul_f64 v[94:95], v[18:19], v[28:29]
	v_mul_f64 v[96:97], v[16:17], v[28:29]
	;; [unrolled: 1-line block ×4, first 2 shown]
	v_fma_f64 v[102:103], v[12:13], v[30:31], -v[102:103]
	v_fma_f64 v[32:33], v[14:15], v[30:31], v[32:33]
	v_fma_f64 v[108:109], v[12:13], v[4:5], -v[108:109]
	v_fma_f64 v[112:113], v[14:15], v[4:5], v[6:7]
	ds_load_b128 v[4:7], v23 offset:2144
	ds_load_b128 v[8:11], v23 offset:112
	;; [unrolled: 1-line block ×4, first 2 shown]
	v_add_f64 v[56:57], v[72:73], v[56:57]
	v_add_f64 v[72:73], v[74:75], v[86:87]
	;; [unrolled: 1-line block ×8, first 2 shown]
	s_waitcnt lgkmcnt(4)
	v_mul_f64 v[70:71], v[52:53], v[44:45]
	v_mul_f64 v[74:75], v[50:51], v[44:45]
	;; [unrolled: 1-line block ×4, first 2 shown]
	s_waitcnt lgkmcnt(3)
	v_mul_f64 v[82:83], v[6:7], v[44:45]
	v_mul_f64 v[44:45], v[4:5], v[44:45]
	;; [unrolled: 1-line block ×4, first 2 shown]
	v_fma_f64 v[86:87], v[16:17], v[38:39], -v[90:91]
	v_fma_f64 v[88:89], v[18:19], v[38:39], v[92:93]
	v_fma_f64 v[90:91], v[16:17], v[26:27], -v[94:95]
	v_fma_f64 v[92:93], v[18:19], v[26:27], v[96:97]
	;; [unrolled: 2-line block ×4, first 2 shown]
	ds_load_b128 v[16:19], v22 offset:3840
	s_waitcnt lgkmcnt(0)
	s_barrier
	buffer_gl0_inv
	v_add_f64 v[36:37], v[56:57], v[54:55]
	v_add_f64 v[40:41], v[72:73], v[76:77]
	;; [unrolled: 1-line block ×8, first 2 shown]
	v_mul_f64 v[64:65], v[10:11], v[30:31]
	v_mul_f64 v[66:67], v[8:9], v[30:31]
	;; [unrolled: 1-line block ×4, first 2 shown]
	v_fma_f64 v[70:71], v[50:51], v[42:43], -v[70:71]
	v_mul_f64 v[68:69], v[10:11], v[18:19]
	v_mul_f64 v[72:73], v[8:9], v[18:19]
	;; [unrolled: 1-line block ×4, first 2 shown]
	v_fma_f64 v[74:75], v[52:53], v[42:43], v[74:75]
	v_fma_f64 v[50:51], v[50:51], v[46:47], -v[78:79]
	v_fma_f64 v[52:53], v[52:53], v[46:47], v[80:81]
	v_fma_f64 v[78:79], v[4:5], v[42:43], -v[82:83]
	;; [unrolled: 2-line block ×3, first 2 shown]
	v_fma_f64 v[6:7], v[6:7], v[46:47], v[48:49]
	v_add_f64 v[36:37], v[36:37], v[86:87]
	v_add_f64 v[40:41], v[40:41], v[88:89]
	;; [unrolled: 1-line block ×8, first 2 shown]
	v_fma_f64 v[38:39], v[8:9], v[28:29], -v[64:65]
	v_fma_f64 v[54:55], v[10:11], v[28:29], v[66:67]
	v_fma_f64 v[56:57], v[12:13], v[28:29], -v[76:77]
	v_fma_f64 v[28:29], v[14:15], v[28:29], v[30:31]
	;; [unrolled: 2-line block ×4, first 2 shown]
	v_add_f64 v[12:13], v[36:37], v[70:71]
	v_add_f64 v[14:15], v[40:41], v[74:75]
	;; [unrolled: 1-line block ×16, first 2 shown]
	s_cbranch_scc0 .LBB852_2
.LBB852_3:
	s_load_b32 s3, s[0:1], 0x40
	v_add_nc_u32_e32 v21, s10, v21
	v_add_nc_u32_e32 v0, s6, v20
	s_delay_alu instid0(VALU_DEP_2) | instskip(NEXT) | instid1(VALU_DEP_2)
	v_cmp_gt_i32_e32 vcc_lo, s2, v21
	v_cmp_le_i32_e64 s0, v0, v21
	s_delay_alu instid0(VALU_DEP_1) | instskip(SKIP_2) | instid1(VALU_DEP_1)
	s_and_b32 s0, vcc_lo, s0
	s_waitcnt lgkmcnt(0)
	v_mad_i64_i32 v[1:2], null, v21, s3, 0
	v_lshlrev_b64 v[1:2], 4, v[1:2]
	s_delay_alu instid0(VALU_DEP_1) | instskip(NEXT) | instid1(VALU_DEP_1)
	v_add_co_u32 v20, s1, s4, v1
	v_add_co_ci_u32_e64 v22, s1, s5, v2, s1
	s_and_saveexec_b32 s1, s0
	s_cbranch_execz .LBB852_5
; %bb.4:
	v_ashrrev_i32_e32 v1, 31, v0
	s_delay_alu instid0(VALU_DEP_1) | instskip(NEXT) | instid1(VALU_DEP_1)
	v_lshlrev_b64 v[1:2], 4, v[0:1]
	v_add_co_u32 v1, s0, v20, v1
	s_delay_alu instid0(VALU_DEP_1)
	v_add_co_ci_u32_e64 v2, s0, v22, v2, s0
	v_cmp_ne_u32_e64 s0, v21, v0
	global_load_b128 v[23:26], v[1:2], off
	s_waitcnt vmcnt(0)
	v_add_f64 v[18:19], v[18:19], v[25:26]
	v_add_f64 v[16:17], v[16:17], v[23:24]
	s_delay_alu instid0(VALU_DEP_2) | instskip(NEXT) | instid1(VALU_DEP_3)
	v_cndmask_b32_e64 v19, 0, v19, s0
	v_cndmask_b32_e64 v18, 0, v18, s0
	global_store_b128 v[1:2], v[16:19], off
.LBB852_5:
	s_or_b32 exec_lo, exec_lo, s1
	v_add_nc_u32_e32 v2, 16, v0
	s_delay_alu instid0(VALU_DEP_1) | instskip(NEXT) | instid1(VALU_DEP_1)
	v_cmp_le_i32_e64 s0, v2, v21
	s_and_b32 s1, vcc_lo, s0
	s_delay_alu instid0(SALU_CYCLE_1)
	s_and_saveexec_b32 s0, s1
	s_cbranch_execz .LBB852_7
; %bb.6:
	v_ashrrev_i32_e32 v3, 31, v2
	s_delay_alu instid0(VALU_DEP_1) | instskip(NEXT) | instid1(VALU_DEP_1)
	v_lshlrev_b64 v[16:17], 4, v[2:3]
	v_add_co_u32 v23, vcc_lo, v20, v16
	s_delay_alu instid0(VALU_DEP_2)
	v_add_co_ci_u32_e32 v24, vcc_lo, v22, v17, vcc_lo
	v_cmp_ne_u32_e32 vcc_lo, v21, v2
	global_load_b128 v[16:19], v[23:24], off
	s_waitcnt vmcnt(0)
	v_add_f64 v[14:15], v[14:15], v[18:19]
	v_add_f64 v[12:13], v[12:13], v[16:17]
	s_delay_alu instid0(VALU_DEP_2)
	v_dual_cndmask_b32 v15, 0, v15 :: v_dual_cndmask_b32 v14, 0, v14
	global_store_b128 v[23:24], v[12:15], off
.LBB852_7:
	s_or_b32 exec_lo, exec_lo, s0
	v_add_nc_u32_e32 v3, 16, v21
	s_delay_alu instid0(VALU_DEP_1) | instskip(SKIP_2) | instid1(VALU_DEP_1)
	v_mad_i64_i32 v[12:13], null, v3, s3, 0
	v_cmp_gt_i32_e32 vcc_lo, s2, v3
	v_cmp_le_i32_e64 s0, v0, v3
	s_and_b32 s0, vcc_lo, s0
	s_delay_alu instid0(VALU_DEP_3) | instskip(NEXT) | instid1(VALU_DEP_1)
	v_lshlrev_b64 v[12:13], 4, v[12:13]
	v_add_co_u32 v12, s1, s4, v12
	s_delay_alu instid0(VALU_DEP_1)
	v_add_co_ci_u32_e64 v13, s1, s5, v13, s1
	s_and_saveexec_b32 s1, s0
	s_cbranch_execz .LBB852_9
; %bb.8:
	v_ashrrev_i32_e32 v1, 31, v0
	s_delay_alu instid0(VALU_DEP_1) | instskip(NEXT) | instid1(VALU_DEP_1)
	v_lshlrev_b64 v[14:15], 4, v[0:1]
	v_add_co_u32 v18, s0, v12, v14
	s_delay_alu instid0(VALU_DEP_1)
	v_add_co_ci_u32_e64 v19, s0, v13, v15, s0
	v_cmp_ne_u32_e64 s0, v3, v0
	global_load_b128 v[14:17], v[18:19], off
	s_waitcnt vmcnt(0)
	v_add_f64 v[16:17], v[8:9], v[16:17]
	v_add_f64 v[8:9], v[10:11], v[14:15]
	s_delay_alu instid0(VALU_DEP_2) | instskip(NEXT) | instid1(VALU_DEP_3)
	v_cndmask_b32_e64 v11, 0, v17, s0
	v_cndmask_b32_e64 v10, 0, v16, s0
	global_store_b128 v[18:19], v[8:11], off
.LBB852_9:
	s_or_b32 exec_lo, exec_lo, s1
	v_cmp_le_i32_e64 s0, v2, v3
	s_delay_alu instid0(VALU_DEP_1) | instskip(NEXT) | instid1(SALU_CYCLE_1)
	s_and_b32 s0, vcc_lo, s0
	s_and_saveexec_b32 s1, s0
	s_cbranch_execz .LBB852_11
; %bb.10:
	v_ashrrev_i32_e32 v3, 31, v2
	s_delay_alu instid0(VALU_DEP_1) | instskip(NEXT) | instid1(VALU_DEP_1)
	v_lshlrev_b64 v[1:2], 4, v[2:3]
	v_add_co_u32 v12, vcc_lo, v12, v1
	s_delay_alu instid0(VALU_DEP_2)
	v_add_co_ci_u32_e32 v13, vcc_lo, v13, v2, vcc_lo
	v_cmp_ne_u32_e32 vcc_lo, v21, v0
	global_load_b128 v[8:11], v[12:13], off
	s_waitcnt vmcnt(0)
	v_add_f64 v[3:4], v[4:5], v[10:11]
	v_add_f64 v[1:2], v[6:7], v[8:9]
	s_delay_alu instid0(VALU_DEP_2)
	v_dual_cndmask_b32 v4, 0, v4 :: v_dual_cndmask_b32 v3, 0, v3
	global_store_b128 v[12:13], v[1:4], off
.LBB852_11:
	s_nop 0
	s_sendmsg sendmsg(MSG_DEALLOC_VGPRS)
	s_endpgm
	.section	.rodata,"a",@progbits
	.p2align	6, 0x0
	.amdhsa_kernel _ZL37rocblas_syrkx_herkx_restricted_kernelIi19rocblas_complex_numIdELi16ELi32ELi8ELi1ELi1ELb1ELc84ELc85EKPKS1_KPS1_EviT_PT9_S7_lS9_S7_lPT10_S7_li
		.amdhsa_group_segment_fixed_size 8192
		.amdhsa_private_segment_fixed_size 0
		.amdhsa_kernarg_size 84
		.amdhsa_user_sgpr_count 13
		.amdhsa_user_sgpr_dispatch_ptr 0
		.amdhsa_user_sgpr_queue_ptr 0
		.amdhsa_user_sgpr_kernarg_segment_ptr 1
		.amdhsa_user_sgpr_dispatch_id 0
		.amdhsa_user_sgpr_private_segment_size 0
		.amdhsa_wavefront_size32 1
		.amdhsa_uses_dynamic_stack 0
		.amdhsa_enable_private_segment 0
		.amdhsa_system_sgpr_workgroup_id_x 1
		.amdhsa_system_sgpr_workgroup_id_y 1
		.amdhsa_system_sgpr_workgroup_id_z 1
		.amdhsa_system_sgpr_workgroup_info 0
		.amdhsa_system_vgpr_workitem_id 1
		.amdhsa_next_free_vgpr 118
		.amdhsa_next_free_sgpr 17
		.amdhsa_reserve_vcc 1
		.amdhsa_float_round_mode_32 0
		.amdhsa_float_round_mode_16_64 0
		.amdhsa_float_denorm_mode_32 3
		.amdhsa_float_denorm_mode_16_64 3
		.amdhsa_dx10_clamp 1
		.amdhsa_ieee_mode 1
		.amdhsa_fp16_overflow 0
		.amdhsa_workgroup_processor_mode 1
		.amdhsa_memory_ordered 1
		.amdhsa_forward_progress 0
		.amdhsa_shared_vgpr_count 0
		.amdhsa_exception_fp_ieee_invalid_op 0
		.amdhsa_exception_fp_denorm_src 0
		.amdhsa_exception_fp_ieee_div_zero 0
		.amdhsa_exception_fp_ieee_overflow 0
		.amdhsa_exception_fp_ieee_underflow 0
		.amdhsa_exception_fp_ieee_inexact 0
		.amdhsa_exception_int_div_zero 0
	.end_amdhsa_kernel
	.section	.text._ZL37rocblas_syrkx_herkx_restricted_kernelIi19rocblas_complex_numIdELi16ELi32ELi8ELi1ELi1ELb1ELc84ELc85EKPKS1_KPS1_EviT_PT9_S7_lS9_S7_lPT10_S7_li,"axG",@progbits,_ZL37rocblas_syrkx_herkx_restricted_kernelIi19rocblas_complex_numIdELi16ELi32ELi8ELi1ELi1ELb1ELc84ELc85EKPKS1_KPS1_EviT_PT9_S7_lS9_S7_lPT10_S7_li,comdat
.Lfunc_end852:
	.size	_ZL37rocblas_syrkx_herkx_restricted_kernelIi19rocblas_complex_numIdELi16ELi32ELi8ELi1ELi1ELb1ELc84ELc85EKPKS1_KPS1_EviT_PT9_S7_lS9_S7_lPT10_S7_li, .Lfunc_end852-_ZL37rocblas_syrkx_herkx_restricted_kernelIi19rocblas_complex_numIdELi16ELi32ELi8ELi1ELi1ELb1ELc84ELc85EKPKS1_KPS1_EviT_PT9_S7_lS9_S7_lPT10_S7_li
                                        ; -- End function
	.section	.AMDGPU.csdata,"",@progbits
; Kernel info:
; codeLenInByte = 3056
; NumSgprs: 19
; NumVgprs: 118
; ScratchSize: 0
; MemoryBound: 0
; FloatMode: 240
; IeeeMode: 1
; LDSByteSize: 8192 bytes/workgroup (compile time only)
; SGPRBlocks: 2
; VGPRBlocks: 14
; NumSGPRsForWavesPerEU: 19
; NumVGPRsForWavesPerEU: 118
; Occupancy: 12
; WaveLimiterHint : 1
; COMPUTE_PGM_RSRC2:SCRATCH_EN: 0
; COMPUTE_PGM_RSRC2:USER_SGPR: 13
; COMPUTE_PGM_RSRC2:TRAP_HANDLER: 0
; COMPUTE_PGM_RSRC2:TGID_X_EN: 1
; COMPUTE_PGM_RSRC2:TGID_Y_EN: 1
; COMPUTE_PGM_RSRC2:TGID_Z_EN: 1
; COMPUTE_PGM_RSRC2:TIDIG_COMP_CNT: 1
	.section	.text._ZL37rocblas_syrkx_herkx_restricted_kernelIi19rocblas_complex_numIdELi16ELi32ELi8ELi1ELi1ELb1ELc67ELc85EKPKS1_KPS1_EviT_PT9_S7_lS9_S7_lPT10_S7_li,"axG",@progbits,_ZL37rocblas_syrkx_herkx_restricted_kernelIi19rocblas_complex_numIdELi16ELi32ELi8ELi1ELi1ELb1ELc67ELc85EKPKS1_KPS1_EviT_PT9_S7_lS9_S7_lPT10_S7_li,comdat
	.globl	_ZL37rocblas_syrkx_herkx_restricted_kernelIi19rocblas_complex_numIdELi16ELi32ELi8ELi1ELi1ELb1ELc67ELc85EKPKS1_KPS1_EviT_PT9_S7_lS9_S7_lPT10_S7_li ; -- Begin function _ZL37rocblas_syrkx_herkx_restricted_kernelIi19rocblas_complex_numIdELi16ELi32ELi8ELi1ELi1ELb1ELc67ELc85EKPKS1_KPS1_EviT_PT9_S7_lS9_S7_lPT10_S7_li
	.p2align	8
	.type	_ZL37rocblas_syrkx_herkx_restricted_kernelIi19rocblas_complex_numIdELi16ELi32ELi8ELi1ELi1ELb1ELc67ELc85EKPKS1_KPS1_EviT_PT9_S7_lS9_S7_lPT10_S7_li,@function
_ZL37rocblas_syrkx_herkx_restricted_kernelIi19rocblas_complex_numIdELi16ELi32ELi8ELi1ELi1ELb1ELc67ELc85EKPKS1_KPS1_EviT_PT9_S7_lS9_S7_lPT10_S7_li: ; @_ZL37rocblas_syrkx_herkx_restricted_kernelIi19rocblas_complex_numIdELi16ELi32ELi8ELi1ELi1ELb1ELc67ELc85EKPKS1_KPS1_EviT_PT9_S7_lS9_S7_lPT10_S7_li
; %bb.0:
	s_clause 0x1
	s_load_b64 s[4:5], s[0:1], 0x38
	s_load_b64 s[2:3], s[0:1], 0x0
	s_mov_b32 s6, s15
	s_mov_b32 s7, 0
	v_mov_b32_e32 v16, 0
	s_lshl_b64 s[8:9], s[6:7], 3
	v_dual_mov_b32 v17, 0 :: v_dual_and_b32 v20, 0x3ff, v0
	v_bfe_u32 v21, v0, 10, 10
	s_delay_alu instid0(VALU_DEP_3) | instskip(NEXT) | instid1(VALU_DEP_3)
	v_mov_b32_e32 v12, v16
	v_dual_mov_b32 v14, v16 :: v_dual_mov_b32 v15, v17
	v_dual_mov_b32 v19, v17 :: v_dual_mov_b32 v18, v16
	;; [unrolled: 1-line block ×5, first 2 shown]
	v_mov_b32_e32 v7, v17
	s_waitcnt lgkmcnt(0)
	s_add_u32 s4, s4, s8
	s_addc_u32 s5, s5, s9
	v_dual_mov_b32 v4, v16 :: v_dual_mov_b32 v5, v17
	s_load_b64 s[4:5], s[4:5], 0x0
	s_lshl_b32 s6, s13, 5
	s_lshl_b32 s10, s14, 5
	s_cmp_lt_i32 s3, 1
	s_cbranch_scc1 .LBB853_3
; %bb.1:
	s_clause 0x3
	s_load_b64 s[12:13], s[0:1], 0x8
	s_load_b64 s[14:15], s[0:1], 0x20
	s_load_b32 s11, s[0:1], 0x10
	s_load_b32 s16, s[0:1], 0x28
	v_lshl_add_u32 v2, v21, 4, v20
	v_dual_mov_b32 v1, 0 :: v_dual_and_b32 v0, 7, v20
	v_mov_b32_e32 v4, 0
	v_dual_mov_b32 v5, 0 :: v_dual_lshlrev_b32 v22, 4, v20
	s_delay_alu instid0(VALU_DEP_4)
	v_and_b32_e32 v7, 31, v2
	v_lshrrev_b32_e32 v6, 3, v2
	v_lshrrev_b32_e32 v2, 5, v2
	v_mov_b32_e32 v3, v1
	v_lshl_add_u32 v23, v21, 7, 0x1000
	v_add_nc_u32_e32 v10, s6, v7
	v_dual_mov_b32 v15, v5 :: v_dual_add_nc_u32 v12, s10, v6
	v_dual_mov_b32 v14, v4 :: v_dual_mov_b32 v19, v5
	v_mov_b32_e32 v18, v4
	s_waitcnt lgkmcnt(0)
	s_add_u32 s12, s12, s8
	s_addc_u32 s13, s13, s9
	s_add_u32 s8, s14, s8
	s_load_b64 s[12:13], s[12:13], 0x0
	s_addc_u32 s9, s15, s9
	v_mad_i64_i32 v[8:9], null, s11, v10, v[2:3]
	s_load_b64 s[8:9], s[8:9], 0x0
	v_lshlrev_b32_e32 v3, 4, v0
	v_mad_i64_i32 v[10:11], null, s16, v12, v[0:1]
	v_dual_mov_b32 v17, v5 :: v_dual_lshlrev_b32 v12, 4, v7
	v_mov_b32_e32 v16, v4
	s_delay_alu instid0(VALU_DEP_4) | instskip(SKIP_3) | instid1(VALU_DEP_4)
	v_lshl_or_b32 v3, v6, 7, v3
	v_lshlrev_b64 v[0:1], 4, v[8:9]
	v_dual_mov_b32 v9, v5 :: v_dual_mov_b32 v8, v4
	v_lshl_or_b32 v24, v2, 9, v12
	v_add_nc_u32_e32 v25, 0x1000, v3
	v_lshlrev_b64 v[2:3], 4, v[10:11]
	v_dual_mov_b32 v7, v5 :: v_dual_mov_b32 v6, v4
	s_waitcnt lgkmcnt(0)
	v_add_co_u32 v0, vcc_lo, v0, s12
	v_add_co_ci_u32_e32 v1, vcc_lo, s13, v1, vcc_lo
	s_delay_alu instid0(VALU_DEP_4) | instskip(SKIP_1) | instid1(VALU_DEP_4)
	v_add_co_u32 v2, vcc_lo, v2, s8
	v_add_co_ci_u32_e32 v3, vcc_lo, s9, v3, vcc_lo
	v_add_co_u32 v0, vcc_lo, v0, 8
	s_delay_alu instid0(VALU_DEP_4) | instskip(NEXT) | instid1(VALU_DEP_4)
	v_add_co_ci_u32_e32 v1, vcc_lo, 0, v1, vcc_lo
	v_add_co_u32 v2, vcc_lo, v2, 8
	s_delay_alu instid0(VALU_DEP_4)
	v_add_co_ci_u32_e32 v3, vcc_lo, 0, v3, vcc_lo
	v_dual_mov_b32 v11, v5 :: v_dual_mov_b32 v10, v4
	v_dual_mov_b32 v13, v5 :: v_dual_mov_b32 v12, v4
.LBB853_2:                              ; =>This Inner Loop Header: Depth=1
	global_load_b128 v[26:29], v[0:1], off offset:-8
	global_load_b128 v[30:33], v[2:3], off offset:-8
	v_add_co_u32 v0, vcc_lo, 0x80, v0
	v_add_co_ci_u32_e32 v1, vcc_lo, 0, v1, vcc_lo
	v_add_co_u32 v2, vcc_lo, 0x80, v2
	v_add_co_ci_u32_e32 v3, vcc_lo, 0, v3, vcc_lo
	s_add_i32 s7, s7, 8
	s_delay_alu instid0(SALU_CYCLE_1)
	s_cmp_ge_i32 s7, s3
	s_waitcnt vmcnt(1)
	v_xor_b32_e32 v29, 0x80000000, v29
	ds_store_b128 v24, v[26:29]
	s_waitcnt vmcnt(0)
	ds_store_b128 v25, v[30:33]
	s_waitcnt lgkmcnt(0)
	s_barrier
	buffer_gl0_inv
	ds_load_b128 v[26:29], v23
	ds_load_b128 v[30:33], v22
	ds_load_b128 v[34:37], v22 offset:256
	ds_load_b128 v[38:41], v23 offset:2048
	ds_load_b128 v[42:45], v23 offset:16
	ds_load_b128 v[46:49], v23 offset:2064
	ds_load_b128 v[50:53], v22 offset:512
	ds_load_b128 v[54:57], v22 offset:768
	ds_load_b128 v[58:61], v23 offset:32
	ds_load_b128 v[62:65], v23 offset:48
	ds_load_b128 v[66:69], v22 offset:1024
	ds_load_b128 v[70:73], v22 offset:1280
	ds_load_b128 v[74:77], v23 offset:2080
	ds_load_b128 v[78:81], v23 offset:2096
	ds_load_b128 v[82:85], v22 offset:1536
	s_waitcnt lgkmcnt(13)
	v_mul_f64 v[86:87], v[28:29], v[32:33]
	v_mul_f64 v[88:89], v[26:27], v[32:33]
	s_waitcnt lgkmcnt(12)
	v_mul_f64 v[90:91], v[28:29], v[36:37]
	v_mul_f64 v[92:93], v[26:27], v[36:37]
	;; [unrolled: 3-line block ×3, first 2 shown]
	v_mul_f64 v[96:97], v[40:41], v[36:37]
	v_mul_f64 v[36:37], v[38:39], v[36:37]
	s_waitcnt lgkmcnt(8)
	v_mul_f64 v[98:99], v[44:45], v[52:53]
	v_mul_f64 v[100:101], v[42:43], v[52:53]
	s_waitcnt lgkmcnt(7)
	v_mul_f64 v[102:103], v[44:45], v[56:57]
	v_mul_f64 v[104:105], v[42:43], v[56:57]
	;; [unrolled: 1-line block ×6, first 2 shown]
	s_waitcnt lgkmcnt(3)
	v_mul_f64 v[112:113], v[58:59], v[72:73]
	s_waitcnt lgkmcnt(2)
	v_mul_f64 v[114:115], v[76:77], v[68:69]
	v_mul_f64 v[116:117], v[76:77], v[72:73]
	v_fma_f64 v[86:87], v[26:27], v[30:31], -v[86:87]
	v_fma_f64 v[88:89], v[28:29], v[30:31], v[88:89]
	v_fma_f64 v[90:91], v[26:27], v[34:35], -v[90:91]
	v_fma_f64 v[92:93], v[28:29], v[34:35], v[92:93]
	;; [unrolled: 2-line block ×4, first 2 shown]
	v_mul_f64 v[36:37], v[60:61], v[68:69]
	v_mul_f64 v[40:41], v[58:59], v[68:69]
	;; [unrolled: 1-line block ×5, first 2 shown]
	v_fma_f64 v[98:99], v[42:43], v[50:51], -v[98:99]
	v_fma_f64 v[100:101], v[44:45], v[50:51], v[100:101]
	v_fma_f64 v[42:43], v[42:43], v[54:55], -v[102:103]
	v_fma_f64 v[44:45], v[44:45], v[54:55], v[104:105]
	v_fma_f64 v[102:103], v[46:47], v[50:51], -v[106:107]
	v_fma_f64 v[50:51], v[48:49], v[50:51], v[52:53]
	v_fma_f64 v[46:47], v[46:47], v[54:55], -v[108:109]
	v_fma_f64 v[48:49], v[48:49], v[54:55], v[56:57]
	ds_load_b128 v[26:29], v22 offset:1792
	ds_load_b128 v[30:33], v22 offset:2048
	s_waitcnt lgkmcnt(2)
	v_mul_f64 v[56:57], v[64:65], v[84:85]
	v_add_f64 v[16:17], v[16:17], v[86:87]
	v_add_f64 v[18:19], v[18:19], v[88:89]
	v_add_f64 v[12:13], v[12:13], v[90:91]
	v_add_f64 v[14:15], v[14:15], v[92:93]
	v_add_f64 v[52:53], v[10:11], v[94:95]
	v_add_f64 v[54:55], v[8:9], v[110:111]
	v_add_f64 v[38:39], v[6:7], v[38:39]
	v_add_f64 v[34:35], v[4:5], v[34:35]
	v_mul_f64 v[86:87], v[62:63], v[84:85]
	s_waitcnt lgkmcnt(1)
	v_mul_f64 v[88:89], v[64:65], v[28:29]
	v_mul_f64 v[90:91], v[62:63], v[28:29]
	;; [unrolled: 1-line block ×6, first 2 shown]
	v_fma_f64 v[104:105], v[58:59], v[66:67], -v[36:37]
	v_fma_f64 v[106:107], v[60:61], v[66:67], v[40:41]
	v_fma_f64 v[58:59], v[58:59], v[70:71], -v[96:97]
	v_fma_f64 v[60:61], v[60:61], v[70:71], v[112:113]
	;; [unrolled: 2-line block ×4, first 2 shown]
	ds_load_b128 v[4:7], v22 offset:2304
	ds_load_b128 v[8:11], v23 offset:64
	v_fma_f64 v[56:57], v[62:63], v[82:83], -v[56:57]
	v_add_f64 v[72:73], v[16:17], v[98:99]
	v_add_f64 v[74:75], v[18:19], v[100:101]
	;; [unrolled: 1-line block ×8, first 2 shown]
	ds_load_b128 v[12:15], v23 offset:2112
	ds_load_b128 v[16:19], v23 offset:80
	;; [unrolled: 1-line block ×4, first 2 shown]
	s_waitcnt lgkmcnt(4)
	v_mul_f64 v[54:55], v[10:11], v[32:33]
	v_mul_f64 v[76:77], v[8:9], v[32:33]
	;; [unrolled: 1-line block ×4, first 2 shown]
	v_fma_f64 v[86:87], v[64:65], v[82:83], v[86:87]
	v_fma_f64 v[62:63], v[62:63], v[26:27], -v[88:89]
	v_fma_f64 v[64:65], v[64:65], v[26:27], v[90:91]
	v_fma_f64 v[88:89], v[78:79], v[82:83], -v[92:93]
	;; [unrolled: 2-line block ×3, first 2 shown]
	v_fma_f64 v[80:81], v[80:81], v[26:27], v[28:29]
	s_waitcnt lgkmcnt(3)
	v_mul_f64 v[102:103], v[14:15], v[32:33]
	v_mul_f64 v[32:33], v[12:13], v[32:33]
	v_mul_f64 v[108:109], v[14:15], v[6:7]
	v_mul_f64 v[6:7], v[12:13], v[6:7]
	s_waitcnt lgkmcnt(0)
	v_mul_f64 v[90:91], v[18:19], v[40:41]
	v_mul_f64 v[92:93], v[16:17], v[40:41]
	v_add_f64 v[72:73], v[72:73], v[104:105]
	v_add_f64 v[74:75], v[74:75], v[106:107]
	;; [unrolled: 1-line block ×8, first 2 shown]
	ds_load_b128 v[26:29], v22 offset:2816
	ds_load_b128 v[42:45], v22 offset:3072
	ds_load_b128 v[46:49], v22 offset:3328
	ds_load_b128 v[50:53], v23 offset:96
	v_mul_f64 v[104:105], v[36:37], v[40:41]
	v_mul_f64 v[40:41], v[34:35], v[40:41]
	v_fma_f64 v[54:55], v[8:9], v[30:31], -v[54:55]
	v_fma_f64 v[76:77], v[10:11], v[30:31], v[76:77]
	v_fma_f64 v[98:99], v[8:9], v[4:5], -v[98:99]
	v_fma_f64 v[100:101], v[10:11], v[4:5], v[100:101]
	s_waitcnt lgkmcnt(3)
	v_mul_f64 v[94:95], v[18:19], v[28:29]
	v_mul_f64 v[96:97], v[16:17], v[28:29]
	;; [unrolled: 1-line block ×4, first 2 shown]
	v_fma_f64 v[102:103], v[12:13], v[30:31], -v[102:103]
	v_fma_f64 v[32:33], v[14:15], v[30:31], v[32:33]
	v_fma_f64 v[108:109], v[12:13], v[4:5], -v[108:109]
	v_fma_f64 v[112:113], v[14:15], v[4:5], v[6:7]
	ds_load_b128 v[4:7], v23 offset:2144
	ds_load_b128 v[8:11], v23 offset:112
	;; [unrolled: 1-line block ×4, first 2 shown]
	v_add_f64 v[56:57], v[72:73], v[56:57]
	v_add_f64 v[72:73], v[74:75], v[86:87]
	;; [unrolled: 1-line block ×8, first 2 shown]
	s_waitcnt lgkmcnt(4)
	v_mul_f64 v[70:71], v[52:53], v[44:45]
	v_mul_f64 v[74:75], v[50:51], v[44:45]
	;; [unrolled: 1-line block ×4, first 2 shown]
	s_waitcnt lgkmcnt(3)
	v_mul_f64 v[82:83], v[6:7], v[44:45]
	v_mul_f64 v[44:45], v[4:5], v[44:45]
	;; [unrolled: 1-line block ×4, first 2 shown]
	v_fma_f64 v[86:87], v[16:17], v[38:39], -v[90:91]
	v_fma_f64 v[88:89], v[18:19], v[38:39], v[92:93]
	v_fma_f64 v[90:91], v[16:17], v[26:27], -v[94:95]
	v_fma_f64 v[92:93], v[18:19], v[26:27], v[96:97]
	;; [unrolled: 2-line block ×4, first 2 shown]
	ds_load_b128 v[16:19], v22 offset:3840
	s_waitcnt lgkmcnt(0)
	s_barrier
	buffer_gl0_inv
	v_add_f64 v[36:37], v[56:57], v[54:55]
	v_add_f64 v[40:41], v[72:73], v[76:77]
	;; [unrolled: 1-line block ×8, first 2 shown]
	v_mul_f64 v[64:65], v[10:11], v[30:31]
	v_mul_f64 v[66:67], v[8:9], v[30:31]
	;; [unrolled: 1-line block ×4, first 2 shown]
	v_fma_f64 v[70:71], v[50:51], v[42:43], -v[70:71]
	v_mul_f64 v[68:69], v[10:11], v[18:19]
	v_mul_f64 v[72:73], v[8:9], v[18:19]
	;; [unrolled: 1-line block ×4, first 2 shown]
	v_fma_f64 v[74:75], v[52:53], v[42:43], v[74:75]
	v_fma_f64 v[50:51], v[50:51], v[46:47], -v[78:79]
	v_fma_f64 v[52:53], v[52:53], v[46:47], v[80:81]
	v_fma_f64 v[78:79], v[4:5], v[42:43], -v[82:83]
	;; [unrolled: 2-line block ×3, first 2 shown]
	v_fma_f64 v[6:7], v[6:7], v[46:47], v[48:49]
	v_add_f64 v[36:37], v[36:37], v[86:87]
	v_add_f64 v[40:41], v[40:41], v[88:89]
	;; [unrolled: 1-line block ×8, first 2 shown]
	v_fma_f64 v[38:39], v[8:9], v[28:29], -v[64:65]
	v_fma_f64 v[54:55], v[10:11], v[28:29], v[66:67]
	v_fma_f64 v[56:57], v[12:13], v[28:29], -v[76:77]
	v_fma_f64 v[28:29], v[14:15], v[28:29], v[30:31]
	v_fma_f64 v[8:9], v[8:9], v[16:17], -v[68:69]
	v_fma_f64 v[10:11], v[10:11], v[16:17], v[72:73]
	v_fma_f64 v[30:31], v[12:13], v[16:17], -v[96:97]
	v_fma_f64 v[58:59], v[14:15], v[16:17], v[18:19]
	v_add_f64 v[12:13], v[36:37], v[70:71]
	v_add_f64 v[14:15], v[40:41], v[74:75]
	v_add_f64 v[36:37], v[44:45], v[50:51]
	v_add_f64 v[40:41], v[46:47], v[52:53]
	v_add_f64 v[44:45], v[48:49], v[78:79]
	v_add_f64 v[32:33], v[32:33], v[42:43]
	v_add_f64 v[4:5], v[34:35], v[4:5]
	v_add_f64 v[26:27], v[26:27], v[6:7]
	v_add_f64 v[16:17], v[12:13], v[38:39]
	v_add_f64 v[18:19], v[14:15], v[54:55]
	v_add_f64 v[12:13], v[36:37], v[8:9]
	v_add_f64 v[14:15], v[40:41], v[10:11]
	v_add_f64 v[10:11], v[44:45], v[56:57]
	v_add_f64 v[8:9], v[32:33], v[28:29]
	v_add_f64 v[6:7], v[4:5], v[30:31]
	v_add_f64 v[4:5], v[26:27], v[58:59]
	s_cbranch_scc0 .LBB853_2
.LBB853_3:
	s_load_b32 s3, s[0:1], 0x40
	v_add_nc_u32_e32 v21, s10, v21
	v_add_nc_u32_e32 v0, s6, v20
	s_delay_alu instid0(VALU_DEP_2) | instskip(NEXT) | instid1(VALU_DEP_2)
	v_cmp_gt_i32_e32 vcc_lo, s2, v21
	v_cmp_le_i32_e64 s0, v0, v21
	s_delay_alu instid0(VALU_DEP_1) | instskip(SKIP_2) | instid1(VALU_DEP_1)
	s_and_b32 s0, vcc_lo, s0
	s_waitcnt lgkmcnt(0)
	v_mad_i64_i32 v[1:2], null, v21, s3, 0
	v_lshlrev_b64 v[1:2], 4, v[1:2]
	s_delay_alu instid0(VALU_DEP_1) | instskip(NEXT) | instid1(VALU_DEP_1)
	v_add_co_u32 v20, s1, s4, v1
	v_add_co_ci_u32_e64 v22, s1, s5, v2, s1
	s_and_saveexec_b32 s1, s0
	s_cbranch_execz .LBB853_5
; %bb.4:
	v_ashrrev_i32_e32 v1, 31, v0
	s_delay_alu instid0(VALU_DEP_1) | instskip(NEXT) | instid1(VALU_DEP_1)
	v_lshlrev_b64 v[1:2], 4, v[0:1]
	v_add_co_u32 v1, s0, v20, v1
	s_delay_alu instid0(VALU_DEP_1)
	v_add_co_ci_u32_e64 v2, s0, v22, v2, s0
	v_cmp_ne_u32_e64 s0, v21, v0
	global_load_b128 v[23:26], v[1:2], off
	s_waitcnt vmcnt(0)
	v_add_f64 v[18:19], v[18:19], v[25:26]
	v_add_f64 v[16:17], v[16:17], v[23:24]
	s_delay_alu instid0(VALU_DEP_2) | instskip(NEXT) | instid1(VALU_DEP_3)
	v_cndmask_b32_e64 v19, 0, v19, s0
	v_cndmask_b32_e64 v18, 0, v18, s0
	global_store_b128 v[1:2], v[16:19], off
.LBB853_5:
	s_or_b32 exec_lo, exec_lo, s1
	v_add_nc_u32_e32 v2, 16, v0
	s_delay_alu instid0(VALU_DEP_1) | instskip(NEXT) | instid1(VALU_DEP_1)
	v_cmp_le_i32_e64 s0, v2, v21
	s_and_b32 s1, vcc_lo, s0
	s_delay_alu instid0(SALU_CYCLE_1)
	s_and_saveexec_b32 s0, s1
	s_cbranch_execz .LBB853_7
; %bb.6:
	v_ashrrev_i32_e32 v3, 31, v2
	s_delay_alu instid0(VALU_DEP_1) | instskip(NEXT) | instid1(VALU_DEP_1)
	v_lshlrev_b64 v[16:17], 4, v[2:3]
	v_add_co_u32 v23, vcc_lo, v20, v16
	s_delay_alu instid0(VALU_DEP_2)
	v_add_co_ci_u32_e32 v24, vcc_lo, v22, v17, vcc_lo
	v_cmp_ne_u32_e32 vcc_lo, v21, v2
	global_load_b128 v[16:19], v[23:24], off
	s_waitcnt vmcnt(0)
	v_add_f64 v[14:15], v[14:15], v[18:19]
	v_add_f64 v[12:13], v[12:13], v[16:17]
	s_delay_alu instid0(VALU_DEP_2)
	v_dual_cndmask_b32 v15, 0, v15 :: v_dual_cndmask_b32 v14, 0, v14
	global_store_b128 v[23:24], v[12:15], off
.LBB853_7:
	s_or_b32 exec_lo, exec_lo, s0
	v_add_nc_u32_e32 v3, 16, v21
	s_delay_alu instid0(VALU_DEP_1) | instskip(SKIP_2) | instid1(VALU_DEP_1)
	v_mad_i64_i32 v[12:13], null, v3, s3, 0
	v_cmp_gt_i32_e32 vcc_lo, s2, v3
	v_cmp_le_i32_e64 s0, v0, v3
	s_and_b32 s0, vcc_lo, s0
	s_delay_alu instid0(VALU_DEP_3) | instskip(NEXT) | instid1(VALU_DEP_1)
	v_lshlrev_b64 v[12:13], 4, v[12:13]
	v_add_co_u32 v12, s1, s4, v12
	s_delay_alu instid0(VALU_DEP_1)
	v_add_co_ci_u32_e64 v13, s1, s5, v13, s1
	s_and_saveexec_b32 s1, s0
	s_cbranch_execz .LBB853_9
; %bb.8:
	v_ashrrev_i32_e32 v1, 31, v0
	s_delay_alu instid0(VALU_DEP_1) | instskip(NEXT) | instid1(VALU_DEP_1)
	v_lshlrev_b64 v[14:15], 4, v[0:1]
	v_add_co_u32 v18, s0, v12, v14
	s_delay_alu instid0(VALU_DEP_1)
	v_add_co_ci_u32_e64 v19, s0, v13, v15, s0
	v_cmp_ne_u32_e64 s0, v3, v0
	global_load_b128 v[14:17], v[18:19], off
	s_waitcnt vmcnt(0)
	v_add_f64 v[16:17], v[8:9], v[16:17]
	v_add_f64 v[8:9], v[10:11], v[14:15]
	s_delay_alu instid0(VALU_DEP_2) | instskip(NEXT) | instid1(VALU_DEP_3)
	v_cndmask_b32_e64 v11, 0, v17, s0
	v_cndmask_b32_e64 v10, 0, v16, s0
	global_store_b128 v[18:19], v[8:11], off
.LBB853_9:
	s_or_b32 exec_lo, exec_lo, s1
	v_cmp_le_i32_e64 s0, v2, v3
	s_delay_alu instid0(VALU_DEP_1) | instskip(NEXT) | instid1(SALU_CYCLE_1)
	s_and_b32 s0, vcc_lo, s0
	s_and_saveexec_b32 s1, s0
	s_cbranch_execz .LBB853_11
; %bb.10:
	v_ashrrev_i32_e32 v3, 31, v2
	s_delay_alu instid0(VALU_DEP_1) | instskip(NEXT) | instid1(VALU_DEP_1)
	v_lshlrev_b64 v[1:2], 4, v[2:3]
	v_add_co_u32 v12, vcc_lo, v12, v1
	s_delay_alu instid0(VALU_DEP_2)
	v_add_co_ci_u32_e32 v13, vcc_lo, v13, v2, vcc_lo
	v_cmp_ne_u32_e32 vcc_lo, v21, v0
	global_load_b128 v[8:11], v[12:13], off
	s_waitcnt vmcnt(0)
	v_add_f64 v[3:4], v[4:5], v[10:11]
	v_add_f64 v[1:2], v[6:7], v[8:9]
	s_delay_alu instid0(VALU_DEP_2)
	v_dual_cndmask_b32 v4, 0, v4 :: v_dual_cndmask_b32 v3, 0, v3
	global_store_b128 v[12:13], v[1:4], off
.LBB853_11:
	s_nop 0
	s_sendmsg sendmsg(MSG_DEALLOC_VGPRS)
	s_endpgm
	.section	.rodata,"a",@progbits
	.p2align	6, 0x0
	.amdhsa_kernel _ZL37rocblas_syrkx_herkx_restricted_kernelIi19rocblas_complex_numIdELi16ELi32ELi8ELi1ELi1ELb1ELc67ELc85EKPKS1_KPS1_EviT_PT9_S7_lS9_S7_lPT10_S7_li
		.amdhsa_group_segment_fixed_size 8192
		.amdhsa_private_segment_fixed_size 0
		.amdhsa_kernarg_size 84
		.amdhsa_user_sgpr_count 13
		.amdhsa_user_sgpr_dispatch_ptr 0
		.amdhsa_user_sgpr_queue_ptr 0
		.amdhsa_user_sgpr_kernarg_segment_ptr 1
		.amdhsa_user_sgpr_dispatch_id 0
		.amdhsa_user_sgpr_private_segment_size 0
		.amdhsa_wavefront_size32 1
		.amdhsa_uses_dynamic_stack 0
		.amdhsa_enable_private_segment 0
		.amdhsa_system_sgpr_workgroup_id_x 1
		.amdhsa_system_sgpr_workgroup_id_y 1
		.amdhsa_system_sgpr_workgroup_id_z 1
		.amdhsa_system_sgpr_workgroup_info 0
		.amdhsa_system_vgpr_workitem_id 1
		.amdhsa_next_free_vgpr 118
		.amdhsa_next_free_sgpr 17
		.amdhsa_reserve_vcc 1
		.amdhsa_float_round_mode_32 0
		.amdhsa_float_round_mode_16_64 0
		.amdhsa_float_denorm_mode_32 3
		.amdhsa_float_denorm_mode_16_64 3
		.amdhsa_dx10_clamp 1
		.amdhsa_ieee_mode 1
		.amdhsa_fp16_overflow 0
		.amdhsa_workgroup_processor_mode 1
		.amdhsa_memory_ordered 1
		.amdhsa_forward_progress 0
		.amdhsa_shared_vgpr_count 0
		.amdhsa_exception_fp_ieee_invalid_op 0
		.amdhsa_exception_fp_denorm_src 0
		.amdhsa_exception_fp_ieee_div_zero 0
		.amdhsa_exception_fp_ieee_overflow 0
		.amdhsa_exception_fp_ieee_underflow 0
		.amdhsa_exception_fp_ieee_inexact 0
		.amdhsa_exception_int_div_zero 0
	.end_amdhsa_kernel
	.section	.text._ZL37rocblas_syrkx_herkx_restricted_kernelIi19rocblas_complex_numIdELi16ELi32ELi8ELi1ELi1ELb1ELc67ELc85EKPKS1_KPS1_EviT_PT9_S7_lS9_S7_lPT10_S7_li,"axG",@progbits,_ZL37rocblas_syrkx_herkx_restricted_kernelIi19rocblas_complex_numIdELi16ELi32ELi8ELi1ELi1ELb1ELc67ELc85EKPKS1_KPS1_EviT_PT9_S7_lS9_S7_lPT10_S7_li,comdat
.Lfunc_end853:
	.size	_ZL37rocblas_syrkx_herkx_restricted_kernelIi19rocblas_complex_numIdELi16ELi32ELi8ELi1ELi1ELb1ELc67ELc85EKPKS1_KPS1_EviT_PT9_S7_lS9_S7_lPT10_S7_li, .Lfunc_end853-_ZL37rocblas_syrkx_herkx_restricted_kernelIi19rocblas_complex_numIdELi16ELi32ELi8ELi1ELi1ELb1ELc67ELc85EKPKS1_KPS1_EviT_PT9_S7_lS9_S7_lPT10_S7_li
                                        ; -- End function
	.section	.AMDGPU.csdata,"",@progbits
; Kernel info:
; codeLenInByte = 3068
; NumSgprs: 19
; NumVgprs: 118
; ScratchSize: 0
; MemoryBound: 0
; FloatMode: 240
; IeeeMode: 1
; LDSByteSize: 8192 bytes/workgroup (compile time only)
; SGPRBlocks: 2
; VGPRBlocks: 14
; NumSGPRsForWavesPerEU: 19
; NumVGPRsForWavesPerEU: 118
; Occupancy: 12
; WaveLimiterHint : 1
; COMPUTE_PGM_RSRC2:SCRATCH_EN: 0
; COMPUTE_PGM_RSRC2:USER_SGPR: 13
; COMPUTE_PGM_RSRC2:TRAP_HANDLER: 0
; COMPUTE_PGM_RSRC2:TGID_X_EN: 1
; COMPUTE_PGM_RSRC2:TGID_Y_EN: 1
; COMPUTE_PGM_RSRC2:TGID_Z_EN: 1
; COMPUTE_PGM_RSRC2:TIDIG_COMP_CNT: 1
	.section	.text._ZL37rocblas_syrkx_herkx_restricted_kernelIi19rocblas_complex_numIdELi16ELi32ELi8ELi1ELi1ELb1ELc78ELc85EKPKS1_KPS1_EviT_PT9_S7_lS9_S7_lPT10_S7_li,"axG",@progbits,_ZL37rocblas_syrkx_herkx_restricted_kernelIi19rocblas_complex_numIdELi16ELi32ELi8ELi1ELi1ELb1ELc78ELc85EKPKS1_KPS1_EviT_PT9_S7_lS9_S7_lPT10_S7_li,comdat
	.globl	_ZL37rocblas_syrkx_herkx_restricted_kernelIi19rocblas_complex_numIdELi16ELi32ELi8ELi1ELi1ELb1ELc78ELc85EKPKS1_KPS1_EviT_PT9_S7_lS9_S7_lPT10_S7_li ; -- Begin function _ZL37rocblas_syrkx_herkx_restricted_kernelIi19rocblas_complex_numIdELi16ELi32ELi8ELi1ELi1ELb1ELc78ELc85EKPKS1_KPS1_EviT_PT9_S7_lS9_S7_lPT10_S7_li
	.p2align	8
	.type	_ZL37rocblas_syrkx_herkx_restricted_kernelIi19rocblas_complex_numIdELi16ELi32ELi8ELi1ELi1ELb1ELc78ELc85EKPKS1_KPS1_EviT_PT9_S7_lS9_S7_lPT10_S7_li,@function
_ZL37rocblas_syrkx_herkx_restricted_kernelIi19rocblas_complex_numIdELi16ELi32ELi8ELi1ELi1ELb1ELc78ELc85EKPKS1_KPS1_EviT_PT9_S7_lS9_S7_lPT10_S7_li: ; @_ZL37rocblas_syrkx_herkx_restricted_kernelIi19rocblas_complex_numIdELi16ELi32ELi8ELi1ELi1ELb1ELc78ELc85EKPKS1_KPS1_EviT_PT9_S7_lS9_S7_lPT10_S7_li
; %bb.0:
	s_clause 0x1
	s_load_b64 s[4:5], s[0:1], 0x38
	s_load_b64 s[2:3], s[0:1], 0x0
	s_mov_b32 s6, s15
	s_mov_b32 s7, 0
	v_mov_b32_e32 v16, 0
	s_lshl_b64 s[8:9], s[6:7], 3
	v_dual_mov_b32 v17, 0 :: v_dual_and_b32 v20, 0x3ff, v0
	v_bfe_u32 v21, v0, 10, 10
	s_delay_alu instid0(VALU_DEP_3) | instskip(NEXT) | instid1(VALU_DEP_3)
	v_mov_b32_e32 v12, v16
	v_dual_mov_b32 v14, v16 :: v_dual_mov_b32 v15, v17
	v_dual_mov_b32 v19, v17 :: v_dual_mov_b32 v18, v16
	;; [unrolled: 1-line block ×5, first 2 shown]
	v_mov_b32_e32 v7, v17
	s_waitcnt lgkmcnt(0)
	s_add_u32 s4, s4, s8
	s_addc_u32 s5, s5, s9
	v_dual_mov_b32 v4, v16 :: v_dual_mov_b32 v5, v17
	s_load_b64 s[4:5], s[4:5], 0x0
	s_lshl_b32 s6, s13, 5
	s_lshl_b32 s12, s14, 5
	s_cmp_lt_i32 s3, 1
	s_cbranch_scc1 .LBB854_3
; %bb.1:
	s_clause 0x3
	s_load_b32 s10, s[0:1], 0x10
	s_load_b32 s14, s[0:1], 0x28
	s_load_b64 s[16:17], s[0:1], 0x8
	s_load_b64 s[18:19], s[0:1], 0x20
	v_lshl_add_u32 v0, v21, 4, v20
	v_and_b32_e32 v10, 7, v20
	v_lshl_add_u32 v23, v21, 7, 0x1000
	v_mov_b32_e32 v4, 0
	v_mov_b32_e32 v5, 0
	v_and_b32_e32 v9, 31, v0
	v_lshrrev_b32_e32 v8, 3, v0
	v_lshlrev_b32_e32 v12, 4, v10
	v_lshrrev_b32_e32 v11, 5, v0
	s_delay_alu instid0(VALU_DEP_4) | instskip(NEXT) | instid1(VALU_DEP_4)
	v_dual_mov_b32 v15, v5 :: v_dual_add_nc_u32 v2, s6, v9
	v_add_nc_u32_e32 v0, s12, v8
	v_lshlrev_b32_e32 v9, 4, v9
	v_lshl_or_b32 v8, v8, 7, v12
	v_lshlrev_b32_e32 v22, 4, v20
	v_dual_mov_b32 v14, v4 :: v_dual_mov_b32 v19, v5
	s_waitcnt lgkmcnt(0)
	s_ashr_i32 s11, s10, 31
	s_ashr_i32 s15, s14, 31
	s_add_u32 s16, s16, s8
	s_addc_u32 s17, s17, s9
	s_add_u32 s8, s18, s8
	s_load_b64 s[16:17], s[16:17], 0x0
	s_addc_u32 s9, s19, s9
	v_lshl_or_b32 v24, v11, 9, v9
	v_add_nc_u32_e32 v25, 0x1000, v8
	v_mov_b32_e32 v9, v5
	v_ashrrev_i32_e32 v3, 31, v2
	s_load_b64 s[8:9], s[8:9], 0x0
	v_ashrrev_i32_e32 v1, 31, v0
	v_dual_mov_b32 v8, v4 :: v_dual_mov_b32 v13, v5
	s_delay_alu instid0(VALU_DEP_3) | instskip(NEXT) | instid1(VALU_DEP_3)
	v_mad_i64_i32 v[6:7], null, s10, v11, v[2:3]
	v_mad_i64_i32 v[2:3], null, s14, v10, v[0:1]
	v_dual_mov_b32 v11, v5 :: v_dual_mov_b32 v12, v4
	v_dual_mov_b32 v17, v5 :: v_dual_mov_b32 v10, v4
	s_delay_alu instid0(VALU_DEP_4)
	v_lshlrev_b64 v[0:1], 4, v[6:7]
	v_mov_b32_e32 v7, v5
	v_lshlrev_b64 v[2:3], 4, v[2:3]
	v_mov_b32_e32 v6, v4
	v_mov_b32_e32 v18, v4
	;; [unrolled: 1-line block ×3, first 2 shown]
	s_waitcnt lgkmcnt(0)
	v_add_co_u32 v0, vcc_lo, v0, s16
	v_add_co_ci_u32_e32 v1, vcc_lo, s17, v1, vcc_lo
	v_add_co_u32 v2, vcc_lo, v2, s8
	v_add_co_ci_u32_e32 v3, vcc_lo, s9, v3, vcc_lo
	s_delay_alu instid0(VALU_DEP_4) | instskip(NEXT) | instid1(VALU_DEP_4)
	v_add_co_u32 v0, vcc_lo, v0, 8
	v_add_co_ci_u32_e32 v1, vcc_lo, 0, v1, vcc_lo
	s_delay_alu instid0(VALU_DEP_4) | instskip(NEXT) | instid1(VALU_DEP_4)
	v_add_co_u32 v2, vcc_lo, v2, 8
	v_add_co_ci_u32_e32 v3, vcc_lo, 0, v3, vcc_lo
	s_lshl_b64 s[8:9], s[10:11], 7
	s_lshl_b64 s[10:11], s[14:15], 7
.LBB854_2:                              ; =>This Inner Loop Header: Depth=1
	global_load_b128 v[26:29], v[2:3], off offset:-8
	global_load_b128 v[30:33], v[0:1], off offset:-8
	v_add_co_u32 v0, vcc_lo, v0, s8
	v_add_co_ci_u32_e32 v1, vcc_lo, s9, v1, vcc_lo
	v_add_co_u32 v2, vcc_lo, v2, s10
	v_add_co_ci_u32_e32 v3, vcc_lo, s11, v3, vcc_lo
	s_add_i32 s7, s7, 8
	s_delay_alu instid0(SALU_CYCLE_1)
	s_cmp_ge_i32 s7, s3
	s_waitcnt vmcnt(1)
	v_xor_b32_e32 v29, 0x80000000, v29
	s_waitcnt vmcnt(0)
	ds_store_b128 v24, v[30:33]
	ds_store_b128 v25, v[26:29]
	s_waitcnt lgkmcnt(0)
	s_barrier
	buffer_gl0_inv
	ds_load_b128 v[26:29], v23
	ds_load_b128 v[30:33], v22
	ds_load_b128 v[34:37], v22 offset:256
	ds_load_b128 v[38:41], v23 offset:2048
	;; [unrolled: 1-line block ×13, first 2 shown]
	s_waitcnt lgkmcnt(13)
	v_mul_f64 v[86:87], v[28:29], v[32:33]
	v_mul_f64 v[88:89], v[26:27], v[32:33]
	s_waitcnt lgkmcnt(12)
	v_mul_f64 v[90:91], v[28:29], v[36:37]
	v_mul_f64 v[92:93], v[26:27], v[36:37]
	s_waitcnt lgkmcnt(11)
	v_mul_f64 v[94:95], v[40:41], v[32:33]
	v_mul_f64 v[32:33], v[38:39], v[32:33]
	v_mul_f64 v[96:97], v[40:41], v[36:37]
	v_mul_f64 v[36:37], v[38:39], v[36:37]
	s_waitcnt lgkmcnt(8)
	v_mul_f64 v[98:99], v[44:45], v[52:53]
	v_mul_f64 v[100:101], v[42:43], v[52:53]
	s_waitcnt lgkmcnt(7)
	v_mul_f64 v[102:103], v[44:45], v[56:57]
	v_mul_f64 v[104:105], v[42:43], v[56:57]
	v_mul_f64 v[106:107], v[48:49], v[52:53]
	v_mul_f64 v[52:53], v[46:47], v[52:53]
	v_mul_f64 v[108:109], v[48:49], v[56:57]
	v_mul_f64 v[56:57], v[46:47], v[56:57]
	s_waitcnt lgkmcnt(3)
	v_mul_f64 v[112:113], v[58:59], v[72:73]
	s_waitcnt lgkmcnt(2)
	v_mul_f64 v[114:115], v[76:77], v[68:69]
	v_mul_f64 v[116:117], v[76:77], v[72:73]
	v_fma_f64 v[86:87], v[26:27], v[30:31], -v[86:87]
	v_fma_f64 v[88:89], v[28:29], v[30:31], v[88:89]
	v_fma_f64 v[90:91], v[26:27], v[34:35], -v[90:91]
	v_fma_f64 v[92:93], v[28:29], v[34:35], v[92:93]
	;; [unrolled: 2-line block ×4, first 2 shown]
	v_mul_f64 v[36:37], v[60:61], v[68:69]
	v_mul_f64 v[40:41], v[58:59], v[68:69]
	;; [unrolled: 1-line block ×5, first 2 shown]
	v_fma_f64 v[98:99], v[42:43], v[50:51], -v[98:99]
	v_fma_f64 v[100:101], v[44:45], v[50:51], v[100:101]
	v_fma_f64 v[42:43], v[42:43], v[54:55], -v[102:103]
	v_fma_f64 v[44:45], v[44:45], v[54:55], v[104:105]
	;; [unrolled: 2-line block ×4, first 2 shown]
	ds_load_b128 v[26:29], v22 offset:1792
	ds_load_b128 v[30:33], v22 offset:2048
	s_waitcnt lgkmcnt(2)
	v_mul_f64 v[56:57], v[64:65], v[84:85]
	v_add_f64 v[16:17], v[16:17], v[86:87]
	v_add_f64 v[18:19], v[18:19], v[88:89]
	;; [unrolled: 1-line block ×8, first 2 shown]
	v_mul_f64 v[86:87], v[62:63], v[84:85]
	s_waitcnt lgkmcnt(1)
	v_mul_f64 v[88:89], v[64:65], v[28:29]
	v_mul_f64 v[90:91], v[62:63], v[28:29]
	;; [unrolled: 1-line block ×6, first 2 shown]
	v_fma_f64 v[104:105], v[58:59], v[66:67], -v[36:37]
	v_fma_f64 v[106:107], v[60:61], v[66:67], v[40:41]
	v_fma_f64 v[58:59], v[58:59], v[70:71], -v[96:97]
	v_fma_f64 v[60:61], v[60:61], v[70:71], v[112:113]
	;; [unrolled: 2-line block ×4, first 2 shown]
	ds_load_b128 v[4:7], v22 offset:2304
	ds_load_b128 v[8:11], v23 offset:64
	v_fma_f64 v[56:57], v[62:63], v[82:83], -v[56:57]
	v_add_f64 v[72:73], v[16:17], v[98:99]
	v_add_f64 v[74:75], v[18:19], v[100:101]
	;; [unrolled: 1-line block ×8, first 2 shown]
	ds_load_b128 v[12:15], v23 offset:2112
	ds_load_b128 v[16:19], v23 offset:80
	;; [unrolled: 1-line block ×4, first 2 shown]
	s_waitcnt lgkmcnt(4)
	v_mul_f64 v[54:55], v[10:11], v[32:33]
	v_mul_f64 v[76:77], v[8:9], v[32:33]
	v_mul_f64 v[98:99], v[10:11], v[6:7]
	v_mul_f64 v[100:101], v[8:9], v[6:7]
	v_fma_f64 v[86:87], v[64:65], v[82:83], v[86:87]
	v_fma_f64 v[62:63], v[62:63], v[26:27], -v[88:89]
	v_fma_f64 v[64:65], v[64:65], v[26:27], v[90:91]
	v_fma_f64 v[88:89], v[78:79], v[82:83], -v[92:93]
	;; [unrolled: 2-line block ×3, first 2 shown]
	v_fma_f64 v[80:81], v[80:81], v[26:27], v[28:29]
	s_waitcnt lgkmcnt(3)
	v_mul_f64 v[102:103], v[14:15], v[32:33]
	v_mul_f64 v[32:33], v[12:13], v[32:33]
	;; [unrolled: 1-line block ×4, first 2 shown]
	s_waitcnt lgkmcnt(0)
	v_mul_f64 v[90:91], v[18:19], v[40:41]
	v_mul_f64 v[92:93], v[16:17], v[40:41]
	v_add_f64 v[72:73], v[72:73], v[104:105]
	v_add_f64 v[74:75], v[74:75], v[106:107]
	;; [unrolled: 1-line block ×8, first 2 shown]
	ds_load_b128 v[26:29], v22 offset:2816
	ds_load_b128 v[42:45], v22 offset:3072
	;; [unrolled: 1-line block ×4, first 2 shown]
	v_mul_f64 v[104:105], v[36:37], v[40:41]
	v_mul_f64 v[40:41], v[34:35], v[40:41]
	v_fma_f64 v[54:55], v[8:9], v[30:31], -v[54:55]
	v_fma_f64 v[76:77], v[10:11], v[30:31], v[76:77]
	v_fma_f64 v[98:99], v[8:9], v[4:5], -v[98:99]
	v_fma_f64 v[100:101], v[10:11], v[4:5], v[100:101]
	s_waitcnt lgkmcnt(3)
	v_mul_f64 v[94:95], v[18:19], v[28:29]
	v_mul_f64 v[96:97], v[16:17], v[28:29]
	;; [unrolled: 1-line block ×4, first 2 shown]
	v_fma_f64 v[102:103], v[12:13], v[30:31], -v[102:103]
	v_fma_f64 v[32:33], v[14:15], v[30:31], v[32:33]
	v_fma_f64 v[108:109], v[12:13], v[4:5], -v[108:109]
	v_fma_f64 v[112:113], v[14:15], v[4:5], v[6:7]
	ds_load_b128 v[4:7], v23 offset:2144
	ds_load_b128 v[8:11], v23 offset:112
	;; [unrolled: 1-line block ×4, first 2 shown]
	v_add_f64 v[56:57], v[72:73], v[56:57]
	v_add_f64 v[72:73], v[74:75], v[86:87]
	;; [unrolled: 1-line block ×8, first 2 shown]
	s_waitcnt lgkmcnt(4)
	v_mul_f64 v[70:71], v[52:53], v[44:45]
	v_mul_f64 v[74:75], v[50:51], v[44:45]
	;; [unrolled: 1-line block ×4, first 2 shown]
	s_waitcnt lgkmcnt(3)
	v_mul_f64 v[82:83], v[6:7], v[44:45]
	v_mul_f64 v[44:45], v[4:5], v[44:45]
	;; [unrolled: 1-line block ×4, first 2 shown]
	v_fma_f64 v[86:87], v[16:17], v[38:39], -v[90:91]
	v_fma_f64 v[88:89], v[18:19], v[38:39], v[92:93]
	v_fma_f64 v[90:91], v[16:17], v[26:27], -v[94:95]
	v_fma_f64 v[92:93], v[18:19], v[26:27], v[96:97]
	;; [unrolled: 2-line block ×4, first 2 shown]
	ds_load_b128 v[16:19], v22 offset:3840
	s_waitcnt lgkmcnt(0)
	s_barrier
	buffer_gl0_inv
	v_add_f64 v[36:37], v[56:57], v[54:55]
	v_add_f64 v[40:41], v[72:73], v[76:77]
	;; [unrolled: 1-line block ×8, first 2 shown]
	v_mul_f64 v[64:65], v[10:11], v[30:31]
	v_mul_f64 v[66:67], v[8:9], v[30:31]
	;; [unrolled: 1-line block ×4, first 2 shown]
	v_fma_f64 v[70:71], v[50:51], v[42:43], -v[70:71]
	v_mul_f64 v[68:69], v[10:11], v[18:19]
	v_mul_f64 v[72:73], v[8:9], v[18:19]
	;; [unrolled: 1-line block ×4, first 2 shown]
	v_fma_f64 v[74:75], v[52:53], v[42:43], v[74:75]
	v_fma_f64 v[50:51], v[50:51], v[46:47], -v[78:79]
	v_fma_f64 v[52:53], v[52:53], v[46:47], v[80:81]
	v_fma_f64 v[78:79], v[4:5], v[42:43], -v[82:83]
	;; [unrolled: 2-line block ×3, first 2 shown]
	v_fma_f64 v[6:7], v[6:7], v[46:47], v[48:49]
	v_add_f64 v[36:37], v[36:37], v[86:87]
	v_add_f64 v[40:41], v[40:41], v[88:89]
	;; [unrolled: 1-line block ×8, first 2 shown]
	v_fma_f64 v[38:39], v[8:9], v[28:29], -v[64:65]
	v_fma_f64 v[54:55], v[10:11], v[28:29], v[66:67]
	v_fma_f64 v[56:57], v[12:13], v[28:29], -v[76:77]
	v_fma_f64 v[28:29], v[14:15], v[28:29], v[30:31]
	;; [unrolled: 2-line block ×4, first 2 shown]
	v_add_f64 v[12:13], v[36:37], v[70:71]
	v_add_f64 v[14:15], v[40:41], v[74:75]
	;; [unrolled: 1-line block ×16, first 2 shown]
	s_cbranch_scc0 .LBB854_2
.LBB854_3:
	s_load_b32 s3, s[0:1], 0x40
	v_add_nc_u32_e32 v21, s12, v21
	v_add_nc_u32_e32 v0, s6, v20
	s_delay_alu instid0(VALU_DEP_2) | instskip(NEXT) | instid1(VALU_DEP_2)
	v_cmp_gt_i32_e32 vcc_lo, s2, v21
	v_cmp_le_i32_e64 s0, v0, v21
	s_delay_alu instid0(VALU_DEP_1) | instskip(SKIP_2) | instid1(VALU_DEP_1)
	s_and_b32 s0, vcc_lo, s0
	s_waitcnt lgkmcnt(0)
	v_mad_i64_i32 v[1:2], null, v21, s3, 0
	v_lshlrev_b64 v[1:2], 4, v[1:2]
	s_delay_alu instid0(VALU_DEP_1) | instskip(NEXT) | instid1(VALU_DEP_1)
	v_add_co_u32 v20, s1, s4, v1
	v_add_co_ci_u32_e64 v22, s1, s5, v2, s1
	s_and_saveexec_b32 s1, s0
	s_cbranch_execz .LBB854_5
; %bb.4:
	v_ashrrev_i32_e32 v1, 31, v0
	s_delay_alu instid0(VALU_DEP_1) | instskip(NEXT) | instid1(VALU_DEP_1)
	v_lshlrev_b64 v[1:2], 4, v[0:1]
	v_add_co_u32 v1, s0, v20, v1
	s_delay_alu instid0(VALU_DEP_1)
	v_add_co_ci_u32_e64 v2, s0, v22, v2, s0
	v_cmp_ne_u32_e64 s0, v21, v0
	global_load_b128 v[23:26], v[1:2], off
	s_waitcnt vmcnt(0)
	v_add_f64 v[18:19], v[18:19], v[25:26]
	v_add_f64 v[16:17], v[16:17], v[23:24]
	s_delay_alu instid0(VALU_DEP_2) | instskip(NEXT) | instid1(VALU_DEP_3)
	v_cndmask_b32_e64 v19, 0, v19, s0
	v_cndmask_b32_e64 v18, 0, v18, s0
	global_store_b128 v[1:2], v[16:19], off
.LBB854_5:
	s_or_b32 exec_lo, exec_lo, s1
	v_add_nc_u32_e32 v2, 16, v0
	s_delay_alu instid0(VALU_DEP_1) | instskip(NEXT) | instid1(VALU_DEP_1)
	v_cmp_le_i32_e64 s0, v2, v21
	s_and_b32 s1, vcc_lo, s0
	s_delay_alu instid0(SALU_CYCLE_1)
	s_and_saveexec_b32 s0, s1
	s_cbranch_execz .LBB854_7
; %bb.6:
	v_ashrrev_i32_e32 v3, 31, v2
	s_delay_alu instid0(VALU_DEP_1) | instskip(NEXT) | instid1(VALU_DEP_1)
	v_lshlrev_b64 v[16:17], 4, v[2:3]
	v_add_co_u32 v23, vcc_lo, v20, v16
	s_delay_alu instid0(VALU_DEP_2)
	v_add_co_ci_u32_e32 v24, vcc_lo, v22, v17, vcc_lo
	v_cmp_ne_u32_e32 vcc_lo, v21, v2
	global_load_b128 v[16:19], v[23:24], off
	s_waitcnt vmcnt(0)
	v_add_f64 v[14:15], v[14:15], v[18:19]
	v_add_f64 v[12:13], v[12:13], v[16:17]
	s_delay_alu instid0(VALU_DEP_2)
	v_dual_cndmask_b32 v15, 0, v15 :: v_dual_cndmask_b32 v14, 0, v14
	global_store_b128 v[23:24], v[12:15], off
.LBB854_7:
	s_or_b32 exec_lo, exec_lo, s0
	v_add_nc_u32_e32 v3, 16, v21
	s_delay_alu instid0(VALU_DEP_1) | instskip(SKIP_2) | instid1(VALU_DEP_1)
	v_mad_i64_i32 v[12:13], null, v3, s3, 0
	v_cmp_gt_i32_e32 vcc_lo, s2, v3
	v_cmp_le_i32_e64 s0, v0, v3
	s_and_b32 s0, vcc_lo, s0
	s_delay_alu instid0(VALU_DEP_3) | instskip(NEXT) | instid1(VALU_DEP_1)
	v_lshlrev_b64 v[12:13], 4, v[12:13]
	v_add_co_u32 v12, s1, s4, v12
	s_delay_alu instid0(VALU_DEP_1)
	v_add_co_ci_u32_e64 v13, s1, s5, v13, s1
	s_and_saveexec_b32 s1, s0
	s_cbranch_execz .LBB854_9
; %bb.8:
	v_ashrrev_i32_e32 v1, 31, v0
	s_delay_alu instid0(VALU_DEP_1) | instskip(NEXT) | instid1(VALU_DEP_1)
	v_lshlrev_b64 v[14:15], 4, v[0:1]
	v_add_co_u32 v18, s0, v12, v14
	s_delay_alu instid0(VALU_DEP_1)
	v_add_co_ci_u32_e64 v19, s0, v13, v15, s0
	v_cmp_ne_u32_e64 s0, v3, v0
	global_load_b128 v[14:17], v[18:19], off
	s_waitcnt vmcnt(0)
	v_add_f64 v[10:11], v[10:11], v[16:17]
	v_add_f64 v[8:9], v[8:9], v[14:15]
	s_delay_alu instid0(VALU_DEP_2) | instskip(NEXT) | instid1(VALU_DEP_3)
	v_cndmask_b32_e64 v11, 0, v11, s0
	v_cndmask_b32_e64 v10, 0, v10, s0
	global_store_b128 v[18:19], v[8:11], off
.LBB854_9:
	s_or_b32 exec_lo, exec_lo, s1
	v_cmp_le_i32_e64 s0, v2, v3
	s_delay_alu instid0(VALU_DEP_1) | instskip(NEXT) | instid1(SALU_CYCLE_1)
	s_and_b32 s0, vcc_lo, s0
	s_and_saveexec_b32 s1, s0
	s_cbranch_execz .LBB854_11
; %bb.10:
	v_ashrrev_i32_e32 v3, 31, v2
	s_delay_alu instid0(VALU_DEP_1) | instskip(NEXT) | instid1(VALU_DEP_1)
	v_lshlrev_b64 v[1:2], 4, v[2:3]
	v_add_co_u32 v12, vcc_lo, v12, v1
	s_delay_alu instid0(VALU_DEP_2)
	v_add_co_ci_u32_e32 v13, vcc_lo, v13, v2, vcc_lo
	v_cmp_ne_u32_e32 vcc_lo, v21, v0
	global_load_b128 v[8:11], v[12:13], off
	s_waitcnt vmcnt(0)
	v_add_f64 v[3:4], v[4:5], v[10:11]
	v_add_f64 v[1:2], v[6:7], v[8:9]
	s_delay_alu instid0(VALU_DEP_2)
	v_dual_cndmask_b32 v4, 0, v4 :: v_dual_cndmask_b32 v3, 0, v3
	global_store_b128 v[12:13], v[1:4], off
.LBB854_11:
	s_nop 0
	s_sendmsg sendmsg(MSG_DEALLOC_VGPRS)
	s_endpgm
	.section	.rodata,"a",@progbits
	.p2align	6, 0x0
	.amdhsa_kernel _ZL37rocblas_syrkx_herkx_restricted_kernelIi19rocblas_complex_numIdELi16ELi32ELi8ELi1ELi1ELb1ELc78ELc85EKPKS1_KPS1_EviT_PT9_S7_lS9_S7_lPT10_S7_li
		.amdhsa_group_segment_fixed_size 8192
		.amdhsa_private_segment_fixed_size 0
		.amdhsa_kernarg_size 84
		.amdhsa_user_sgpr_count 13
		.amdhsa_user_sgpr_dispatch_ptr 0
		.amdhsa_user_sgpr_queue_ptr 0
		.amdhsa_user_sgpr_kernarg_segment_ptr 1
		.amdhsa_user_sgpr_dispatch_id 0
		.amdhsa_user_sgpr_private_segment_size 0
		.amdhsa_wavefront_size32 1
		.amdhsa_uses_dynamic_stack 0
		.amdhsa_enable_private_segment 0
		.amdhsa_system_sgpr_workgroup_id_x 1
		.amdhsa_system_sgpr_workgroup_id_y 1
		.amdhsa_system_sgpr_workgroup_id_z 1
		.amdhsa_system_sgpr_workgroup_info 0
		.amdhsa_system_vgpr_workitem_id 1
		.amdhsa_next_free_vgpr 118
		.amdhsa_next_free_sgpr 20
		.amdhsa_reserve_vcc 1
		.amdhsa_float_round_mode_32 0
		.amdhsa_float_round_mode_16_64 0
		.amdhsa_float_denorm_mode_32 3
		.amdhsa_float_denorm_mode_16_64 3
		.amdhsa_dx10_clamp 1
		.amdhsa_ieee_mode 1
		.amdhsa_fp16_overflow 0
		.amdhsa_workgroup_processor_mode 1
		.amdhsa_memory_ordered 1
		.amdhsa_forward_progress 0
		.amdhsa_shared_vgpr_count 0
		.amdhsa_exception_fp_ieee_invalid_op 0
		.amdhsa_exception_fp_denorm_src 0
		.amdhsa_exception_fp_ieee_div_zero 0
		.amdhsa_exception_fp_ieee_overflow 0
		.amdhsa_exception_fp_ieee_underflow 0
		.amdhsa_exception_fp_ieee_inexact 0
		.amdhsa_exception_int_div_zero 0
	.end_amdhsa_kernel
	.section	.text._ZL37rocblas_syrkx_herkx_restricted_kernelIi19rocblas_complex_numIdELi16ELi32ELi8ELi1ELi1ELb1ELc78ELc85EKPKS1_KPS1_EviT_PT9_S7_lS9_S7_lPT10_S7_li,"axG",@progbits,_ZL37rocblas_syrkx_herkx_restricted_kernelIi19rocblas_complex_numIdELi16ELi32ELi8ELi1ELi1ELb1ELc78ELc85EKPKS1_KPS1_EviT_PT9_S7_lS9_S7_lPT10_S7_li,comdat
.Lfunc_end854:
	.size	_ZL37rocblas_syrkx_herkx_restricted_kernelIi19rocblas_complex_numIdELi16ELi32ELi8ELi1ELi1ELb1ELc78ELc85EKPKS1_KPS1_EviT_PT9_S7_lS9_S7_lPT10_S7_li, .Lfunc_end854-_ZL37rocblas_syrkx_herkx_restricted_kernelIi19rocblas_complex_numIdELi16ELi32ELi8ELi1ELi1ELb1ELc78ELc85EKPKS1_KPS1_EviT_PT9_S7_lS9_S7_lPT10_S7_li
                                        ; -- End function
	.section	.AMDGPU.csdata,"",@progbits
; Kernel info:
; codeLenInByte = 3076
; NumSgprs: 22
; NumVgprs: 118
; ScratchSize: 0
; MemoryBound: 0
; FloatMode: 240
; IeeeMode: 1
; LDSByteSize: 8192 bytes/workgroup (compile time only)
; SGPRBlocks: 2
; VGPRBlocks: 14
; NumSGPRsForWavesPerEU: 22
; NumVGPRsForWavesPerEU: 118
; Occupancy: 12
; WaveLimiterHint : 1
; COMPUTE_PGM_RSRC2:SCRATCH_EN: 0
; COMPUTE_PGM_RSRC2:USER_SGPR: 13
; COMPUTE_PGM_RSRC2:TRAP_HANDLER: 0
; COMPUTE_PGM_RSRC2:TGID_X_EN: 1
; COMPUTE_PGM_RSRC2:TGID_Y_EN: 1
; COMPUTE_PGM_RSRC2:TGID_Z_EN: 1
; COMPUTE_PGM_RSRC2:TIDIG_COMP_CNT: 1
	.section	.text._ZL37rocblas_syrkx_herkx_restricted_kernelIi19rocblas_complex_numIdELi16ELi32ELi8ELi1ELin1ELb1ELc84ELc76EKPKS1_KPS1_EviT_PT9_S7_lS9_S7_lPT10_S7_li,"axG",@progbits,_ZL37rocblas_syrkx_herkx_restricted_kernelIi19rocblas_complex_numIdELi16ELi32ELi8ELi1ELin1ELb1ELc84ELc76EKPKS1_KPS1_EviT_PT9_S7_lS9_S7_lPT10_S7_li,comdat
	.globl	_ZL37rocblas_syrkx_herkx_restricted_kernelIi19rocblas_complex_numIdELi16ELi32ELi8ELi1ELin1ELb1ELc84ELc76EKPKS1_KPS1_EviT_PT9_S7_lS9_S7_lPT10_S7_li ; -- Begin function _ZL37rocblas_syrkx_herkx_restricted_kernelIi19rocblas_complex_numIdELi16ELi32ELi8ELi1ELin1ELb1ELc84ELc76EKPKS1_KPS1_EviT_PT9_S7_lS9_S7_lPT10_S7_li
	.p2align	8
	.type	_ZL37rocblas_syrkx_herkx_restricted_kernelIi19rocblas_complex_numIdELi16ELi32ELi8ELi1ELin1ELb1ELc84ELc76EKPKS1_KPS1_EviT_PT9_S7_lS9_S7_lPT10_S7_li,@function
_ZL37rocblas_syrkx_herkx_restricted_kernelIi19rocblas_complex_numIdELi16ELi32ELi8ELi1ELin1ELb1ELc84ELc76EKPKS1_KPS1_EviT_PT9_S7_lS9_S7_lPT10_S7_li: ; @_ZL37rocblas_syrkx_herkx_restricted_kernelIi19rocblas_complex_numIdELi16ELi32ELi8ELi1ELin1ELb1ELc84ELc76EKPKS1_KPS1_EviT_PT9_S7_lS9_S7_lPT10_S7_li
; %bb.0:
	s_clause 0x1
	s_load_b64 s[2:3], s[0:1], 0x38
	s_load_b64 s[4:5], s[0:1], 0x0
	s_mov_b32 s6, s15
	s_mov_b32 s7, 0
	v_mov_b32_e32 v16, 0
	s_lshl_b64 s[8:9], s[6:7], 3
	v_dual_mov_b32 v17, 0 :: v_dual_and_b32 v20, 0x3ff, v0
	v_bfe_u32 v21, v0, 10, 10
	s_delay_alu instid0(VALU_DEP_3) | instskip(NEXT) | instid1(VALU_DEP_3)
	v_mov_b32_e32 v12, v16
	v_dual_mov_b32 v14, v16 :: v_dual_mov_b32 v15, v17
	v_dual_mov_b32 v19, v17 :: v_dual_mov_b32 v18, v16
	;; [unrolled: 1-line block ×5, first 2 shown]
	v_mov_b32_e32 v7, v17
	s_waitcnt lgkmcnt(0)
	s_add_u32 s2, s2, s8
	s_addc_u32 s3, s3, s9
	v_dual_mov_b32 v4, v16 :: v_dual_mov_b32 v5, v17
	s_load_b64 s[2:3], s[2:3], 0x0
	s_lshl_b32 s6, s13, 5
	s_lshl_b32 s10, s14, 5
	s_cmp_lt_i32 s5, 1
	s_cbranch_scc1 .LBB855_3
; %bb.1:
	s_clause 0x3
	s_load_b64 s[12:13], s[0:1], 0x8
	s_load_b64 s[14:15], s[0:1], 0x20
	s_load_b32 s11, s[0:1], 0x10
	s_load_b32 s16, s[0:1], 0x28
	v_lshl_add_u32 v2, v21, 4, v20
	v_dual_mov_b32 v1, 0 :: v_dual_and_b32 v0, 7, v20
	v_mov_b32_e32 v4, 0
	v_dual_mov_b32 v5, 0 :: v_dual_lshlrev_b32 v22, 4, v20
	s_delay_alu instid0(VALU_DEP_4)
	v_and_b32_e32 v7, 31, v2
	v_lshrrev_b32_e32 v6, 3, v2
	v_lshrrev_b32_e32 v2, 5, v2
	v_mov_b32_e32 v3, v1
	v_lshl_add_u32 v23, v21, 7, 0x1000
	v_add_nc_u32_e32 v10, s6, v7
	v_dual_mov_b32 v15, v5 :: v_dual_add_nc_u32 v12, s10, v6
	v_dual_mov_b32 v14, v4 :: v_dual_mov_b32 v19, v5
	v_mov_b32_e32 v18, v4
	s_waitcnt lgkmcnt(0)
	s_add_u32 s12, s12, s8
	s_addc_u32 s13, s13, s9
	s_add_u32 s8, s14, s8
	s_load_b64 s[12:13], s[12:13], 0x0
	s_addc_u32 s9, s15, s9
	v_mad_i64_i32 v[8:9], null, s11, v10, v[2:3]
	s_load_b64 s[8:9], s[8:9], 0x0
	v_lshlrev_b32_e32 v3, 4, v0
	v_mad_i64_i32 v[10:11], null, s16, v12, v[0:1]
	v_dual_mov_b32 v17, v5 :: v_dual_lshlrev_b32 v12, 4, v7
	v_mov_b32_e32 v16, v4
	s_delay_alu instid0(VALU_DEP_4) | instskip(SKIP_3) | instid1(VALU_DEP_4)
	v_lshl_or_b32 v3, v6, 7, v3
	v_lshlrev_b64 v[0:1], 4, v[8:9]
	v_dual_mov_b32 v9, v5 :: v_dual_mov_b32 v8, v4
	v_lshl_or_b32 v24, v2, 9, v12
	v_add_nc_u32_e32 v25, 0x1000, v3
	v_lshlrev_b64 v[2:3], 4, v[10:11]
	v_dual_mov_b32 v7, v5 :: v_dual_mov_b32 v6, v4
	s_waitcnt lgkmcnt(0)
	v_add_co_u32 v0, vcc_lo, v0, s12
	v_add_co_ci_u32_e32 v1, vcc_lo, s13, v1, vcc_lo
	s_delay_alu instid0(VALU_DEP_4) | instskip(SKIP_1) | instid1(VALU_DEP_4)
	v_add_co_u32 v2, vcc_lo, v2, s8
	v_add_co_ci_u32_e32 v3, vcc_lo, s9, v3, vcc_lo
	v_add_co_u32 v0, vcc_lo, v0, 8
	s_delay_alu instid0(VALU_DEP_4) | instskip(NEXT) | instid1(VALU_DEP_4)
	v_add_co_ci_u32_e32 v1, vcc_lo, 0, v1, vcc_lo
	v_add_co_u32 v2, vcc_lo, v2, 8
	s_delay_alu instid0(VALU_DEP_4)
	v_add_co_ci_u32_e32 v3, vcc_lo, 0, v3, vcc_lo
	v_dual_mov_b32 v11, v5 :: v_dual_mov_b32 v10, v4
	v_dual_mov_b32 v13, v5 :: v_dual_mov_b32 v12, v4
.LBB855_2:                              ; =>This Inner Loop Header: Depth=1
	global_load_b128 v[26:29], v[0:1], off offset:-8
	global_load_b128 v[30:33], v[2:3], off offset:-8
	v_add_co_u32 v0, vcc_lo, 0x80, v0
	v_add_co_ci_u32_e32 v1, vcc_lo, 0, v1, vcc_lo
	v_add_co_u32 v2, vcc_lo, 0x80, v2
	v_add_co_ci_u32_e32 v3, vcc_lo, 0, v3, vcc_lo
	s_add_i32 s7, s7, 8
	s_waitcnt vmcnt(1)
	ds_store_b128 v24, v[26:29]
	s_waitcnt vmcnt(0)
	ds_store_b128 v25, v[30:33]
	s_waitcnt lgkmcnt(0)
	s_barrier
	buffer_gl0_inv
	ds_load_b128 v[26:29], v23
	ds_load_b128 v[30:33], v22
	ds_load_b128 v[34:37], v22 offset:256
	ds_load_b128 v[38:41], v23 offset:2048
	;; [unrolled: 1-line block ×13, first 2 shown]
	s_cmp_ge_i32 s7, s5
	s_waitcnt lgkmcnt(13)
	v_mul_f64 v[86:87], v[28:29], v[32:33]
	v_mul_f64 v[88:89], v[26:27], v[32:33]
	s_waitcnt lgkmcnt(12)
	v_mul_f64 v[90:91], v[28:29], v[36:37]
	v_mul_f64 v[92:93], v[26:27], v[36:37]
	;; [unrolled: 3-line block ×3, first 2 shown]
	v_mul_f64 v[96:97], v[40:41], v[36:37]
	v_mul_f64 v[36:37], v[38:39], v[36:37]
	s_waitcnt lgkmcnt(8)
	v_mul_f64 v[98:99], v[44:45], v[52:53]
	v_mul_f64 v[100:101], v[42:43], v[52:53]
	s_waitcnt lgkmcnt(7)
	v_mul_f64 v[102:103], v[44:45], v[56:57]
	v_mul_f64 v[104:105], v[42:43], v[56:57]
	;; [unrolled: 1-line block ×6, first 2 shown]
	s_waitcnt lgkmcnt(3)
	v_mul_f64 v[112:113], v[58:59], v[72:73]
	s_waitcnt lgkmcnt(2)
	v_mul_f64 v[114:115], v[76:77], v[68:69]
	v_mul_f64 v[116:117], v[76:77], v[72:73]
	v_fma_f64 v[86:87], v[26:27], v[30:31], -v[86:87]
	v_fma_f64 v[88:89], v[28:29], v[30:31], v[88:89]
	v_fma_f64 v[90:91], v[26:27], v[34:35], -v[90:91]
	v_fma_f64 v[92:93], v[28:29], v[34:35], v[92:93]
	;; [unrolled: 2-line block ×4, first 2 shown]
	v_mul_f64 v[36:37], v[60:61], v[68:69]
	v_mul_f64 v[40:41], v[58:59], v[68:69]
	;; [unrolled: 1-line block ×5, first 2 shown]
	v_fma_f64 v[98:99], v[42:43], v[50:51], -v[98:99]
	v_fma_f64 v[100:101], v[44:45], v[50:51], v[100:101]
	v_fma_f64 v[42:43], v[42:43], v[54:55], -v[102:103]
	v_fma_f64 v[44:45], v[44:45], v[54:55], v[104:105]
	;; [unrolled: 2-line block ×4, first 2 shown]
	ds_load_b128 v[26:29], v22 offset:1792
	ds_load_b128 v[30:33], v22 offset:2048
	s_waitcnt lgkmcnt(2)
	v_mul_f64 v[56:57], v[64:65], v[84:85]
	v_add_f64 v[16:17], v[16:17], v[86:87]
	v_add_f64 v[18:19], v[18:19], v[88:89]
	v_add_f64 v[12:13], v[12:13], v[90:91]
	v_add_f64 v[14:15], v[14:15], v[92:93]
	v_add_f64 v[52:53], v[10:11], v[94:95]
	v_add_f64 v[54:55], v[8:9], v[110:111]
	v_add_f64 v[38:39], v[6:7], v[38:39]
	v_add_f64 v[34:35], v[4:5], v[34:35]
	v_mul_f64 v[86:87], v[62:63], v[84:85]
	s_waitcnt lgkmcnt(1)
	v_mul_f64 v[88:89], v[64:65], v[28:29]
	v_mul_f64 v[90:91], v[62:63], v[28:29]
	;; [unrolled: 1-line block ×6, first 2 shown]
	v_fma_f64 v[104:105], v[58:59], v[66:67], -v[36:37]
	v_fma_f64 v[106:107], v[60:61], v[66:67], v[40:41]
	v_fma_f64 v[58:59], v[58:59], v[70:71], -v[96:97]
	v_fma_f64 v[60:61], v[60:61], v[70:71], v[112:113]
	;; [unrolled: 2-line block ×4, first 2 shown]
	ds_load_b128 v[4:7], v22 offset:2304
	ds_load_b128 v[8:11], v23 offset:64
	v_fma_f64 v[56:57], v[62:63], v[82:83], -v[56:57]
	v_add_f64 v[72:73], v[16:17], v[98:99]
	v_add_f64 v[74:75], v[18:19], v[100:101]
	;; [unrolled: 1-line block ×8, first 2 shown]
	ds_load_b128 v[12:15], v23 offset:2112
	ds_load_b128 v[16:19], v23 offset:80
	;; [unrolled: 1-line block ×4, first 2 shown]
	s_waitcnt lgkmcnt(4)
	v_mul_f64 v[54:55], v[10:11], v[32:33]
	v_mul_f64 v[76:77], v[8:9], v[32:33]
	;; [unrolled: 1-line block ×4, first 2 shown]
	v_fma_f64 v[86:87], v[64:65], v[82:83], v[86:87]
	v_fma_f64 v[62:63], v[62:63], v[26:27], -v[88:89]
	v_fma_f64 v[64:65], v[64:65], v[26:27], v[90:91]
	v_fma_f64 v[88:89], v[78:79], v[82:83], -v[92:93]
	;; [unrolled: 2-line block ×3, first 2 shown]
	v_fma_f64 v[80:81], v[80:81], v[26:27], v[28:29]
	s_waitcnt lgkmcnt(3)
	v_mul_f64 v[102:103], v[14:15], v[32:33]
	v_mul_f64 v[32:33], v[12:13], v[32:33]
	;; [unrolled: 1-line block ×4, first 2 shown]
	s_waitcnt lgkmcnt(0)
	v_mul_f64 v[90:91], v[18:19], v[40:41]
	v_mul_f64 v[92:93], v[16:17], v[40:41]
	v_add_f64 v[72:73], v[72:73], v[104:105]
	v_add_f64 v[74:75], v[74:75], v[106:107]
	;; [unrolled: 1-line block ×8, first 2 shown]
	ds_load_b128 v[26:29], v22 offset:2816
	ds_load_b128 v[42:45], v22 offset:3072
	;; [unrolled: 1-line block ×4, first 2 shown]
	v_mul_f64 v[104:105], v[36:37], v[40:41]
	v_mul_f64 v[40:41], v[34:35], v[40:41]
	v_fma_f64 v[54:55], v[8:9], v[30:31], -v[54:55]
	v_fma_f64 v[76:77], v[10:11], v[30:31], v[76:77]
	v_fma_f64 v[98:99], v[8:9], v[4:5], -v[98:99]
	v_fma_f64 v[100:101], v[10:11], v[4:5], v[100:101]
	s_waitcnt lgkmcnt(3)
	v_mul_f64 v[94:95], v[18:19], v[28:29]
	v_mul_f64 v[96:97], v[16:17], v[28:29]
	;; [unrolled: 1-line block ×4, first 2 shown]
	v_fma_f64 v[102:103], v[12:13], v[30:31], -v[102:103]
	v_fma_f64 v[32:33], v[14:15], v[30:31], v[32:33]
	v_fma_f64 v[108:109], v[12:13], v[4:5], -v[108:109]
	v_fma_f64 v[112:113], v[14:15], v[4:5], v[6:7]
	ds_load_b128 v[4:7], v23 offset:2144
	ds_load_b128 v[8:11], v23 offset:112
	;; [unrolled: 1-line block ×4, first 2 shown]
	v_add_f64 v[56:57], v[72:73], v[56:57]
	v_add_f64 v[72:73], v[74:75], v[86:87]
	;; [unrolled: 1-line block ×8, first 2 shown]
	s_waitcnt lgkmcnt(4)
	v_mul_f64 v[70:71], v[52:53], v[44:45]
	v_mul_f64 v[74:75], v[50:51], v[44:45]
	;; [unrolled: 1-line block ×4, first 2 shown]
	s_waitcnt lgkmcnt(3)
	v_mul_f64 v[82:83], v[6:7], v[44:45]
	v_mul_f64 v[44:45], v[4:5], v[44:45]
	;; [unrolled: 1-line block ×4, first 2 shown]
	v_fma_f64 v[86:87], v[16:17], v[38:39], -v[90:91]
	v_fma_f64 v[88:89], v[18:19], v[38:39], v[92:93]
	v_fma_f64 v[90:91], v[16:17], v[26:27], -v[94:95]
	v_fma_f64 v[92:93], v[18:19], v[26:27], v[96:97]
	;; [unrolled: 2-line block ×4, first 2 shown]
	ds_load_b128 v[16:19], v22 offset:3840
	s_waitcnt lgkmcnt(0)
	s_barrier
	buffer_gl0_inv
	v_add_f64 v[36:37], v[56:57], v[54:55]
	v_add_f64 v[40:41], v[72:73], v[76:77]
	;; [unrolled: 1-line block ×8, first 2 shown]
	v_mul_f64 v[64:65], v[10:11], v[30:31]
	v_mul_f64 v[66:67], v[8:9], v[30:31]
	;; [unrolled: 1-line block ×4, first 2 shown]
	v_fma_f64 v[70:71], v[50:51], v[42:43], -v[70:71]
	v_mul_f64 v[68:69], v[10:11], v[18:19]
	v_mul_f64 v[72:73], v[8:9], v[18:19]
	;; [unrolled: 1-line block ×4, first 2 shown]
	v_fma_f64 v[74:75], v[52:53], v[42:43], v[74:75]
	v_fma_f64 v[50:51], v[50:51], v[46:47], -v[78:79]
	v_fma_f64 v[52:53], v[52:53], v[46:47], v[80:81]
	v_fma_f64 v[78:79], v[4:5], v[42:43], -v[82:83]
	;; [unrolled: 2-line block ×3, first 2 shown]
	v_fma_f64 v[6:7], v[6:7], v[46:47], v[48:49]
	v_add_f64 v[36:37], v[36:37], v[86:87]
	v_add_f64 v[40:41], v[40:41], v[88:89]
	;; [unrolled: 1-line block ×8, first 2 shown]
	v_fma_f64 v[38:39], v[8:9], v[28:29], -v[64:65]
	v_fma_f64 v[54:55], v[10:11], v[28:29], v[66:67]
	v_fma_f64 v[56:57], v[12:13], v[28:29], -v[76:77]
	v_fma_f64 v[28:29], v[14:15], v[28:29], v[30:31]
	v_fma_f64 v[8:9], v[8:9], v[16:17], -v[68:69]
	v_fma_f64 v[10:11], v[10:11], v[16:17], v[72:73]
	v_fma_f64 v[30:31], v[12:13], v[16:17], -v[96:97]
	v_fma_f64 v[58:59], v[14:15], v[16:17], v[18:19]
	v_add_f64 v[12:13], v[36:37], v[70:71]
	v_add_f64 v[14:15], v[40:41], v[74:75]
	;; [unrolled: 1-line block ×16, first 2 shown]
	s_cbranch_scc0 .LBB855_2
.LBB855_3:
	s_load_b32 s5, s[0:1], 0x40
	v_add_nc_u32_e32 v21, s10, v21
	v_add_nc_u32_e32 v0, s6, v20
	s_delay_alu instid0(VALU_DEP_1) | instskip(SKIP_1) | instid1(VALU_DEP_2)
	v_cmp_le_i32_e64 s0, v21, v0
	v_cmp_gt_i32_e32 vcc_lo, s4, v0
	s_and_b32 s0, s0, vcc_lo
	s_waitcnt lgkmcnt(0)
	v_mad_i64_i32 v[1:2], null, v21, s5, 0
	s_delay_alu instid0(VALU_DEP_1) | instskip(NEXT) | instid1(VALU_DEP_1)
	v_lshlrev_b64 v[1:2], 4, v[1:2]
	v_add_co_u32 v20, s1, s2, v1
	s_delay_alu instid0(VALU_DEP_1)
	v_add_co_ci_u32_e64 v22, s1, s3, v2, s1
	s_and_saveexec_b32 s1, s0
	s_cbranch_execz .LBB855_5
; %bb.4:
	v_ashrrev_i32_e32 v1, 31, v0
	s_delay_alu instid0(VALU_DEP_1) | instskip(NEXT) | instid1(VALU_DEP_1)
	v_lshlrev_b64 v[1:2], 4, v[0:1]
	v_add_co_u32 v1, s0, v20, v1
	s_delay_alu instid0(VALU_DEP_1)
	v_add_co_ci_u32_e64 v2, s0, v22, v2, s0
	v_cmp_ne_u32_e64 s0, v21, v0
	global_load_b128 v[23:26], v[1:2], off
	s_waitcnt vmcnt(0)
	v_add_f64 v[18:19], v[18:19], -v[25:26]
	v_add_f64 v[16:17], v[16:17], -v[23:24]
	s_delay_alu instid0(VALU_DEP_2) | instskip(NEXT) | instid1(VALU_DEP_3)
	v_cndmask_b32_e64 v19, 0, v19, s0
	v_cndmask_b32_e64 v18, 0, v18, s0
	global_store_b128 v[1:2], v[16:19], off
.LBB855_5:
	s_or_b32 exec_lo, exec_lo, s1
	v_add_nc_u32_e32 v2, 16, v0
	s_delay_alu instid0(VALU_DEP_1) | instskip(SKIP_1) | instid1(VALU_DEP_1)
	v_cmp_le_i32_e64 s1, v21, v2
	v_cmp_gt_i32_e64 s0, s4, v2
	s_and_b32 s1, s1, s0
	s_delay_alu instid0(SALU_CYCLE_1)
	s_and_saveexec_b32 s4, s1
	s_cbranch_execz .LBB855_7
; %bb.6:
	v_ashrrev_i32_e32 v3, 31, v2
	s_delay_alu instid0(VALU_DEP_1) | instskip(NEXT) | instid1(VALU_DEP_1)
	v_lshlrev_b64 v[16:17], 4, v[2:3]
	v_add_co_u32 v23, s1, v20, v16
	s_delay_alu instid0(VALU_DEP_1)
	v_add_co_ci_u32_e64 v24, s1, v22, v17, s1
	v_cmp_ne_u32_e64 s1, v21, v2
	global_load_b128 v[16:19], v[23:24], off
	s_waitcnt vmcnt(0)
	v_add_f64 v[14:15], v[14:15], -v[18:19]
	v_add_f64 v[12:13], v[12:13], -v[16:17]
	s_delay_alu instid0(VALU_DEP_2) | instskip(NEXT) | instid1(VALU_DEP_3)
	v_cndmask_b32_e64 v15, 0, v15, s1
	v_cndmask_b32_e64 v14, 0, v14, s1
	global_store_b128 v[23:24], v[12:15], off
.LBB855_7:
	s_or_b32 exec_lo, exec_lo, s4
	v_add_nc_u32_e32 v3, 16, v21
	s_delay_alu instid0(VALU_DEP_1) | instskip(SKIP_1) | instid1(VALU_DEP_2)
	v_mad_i64_i32 v[12:13], null, v3, s5, 0
	v_cmp_le_i32_e64 s1, v3, v0
	v_lshlrev_b64 v[12:13], 4, v[12:13]
	s_delay_alu instid0(VALU_DEP_1) | instskip(NEXT) | instid1(VALU_DEP_1)
	v_add_co_u32 v12, s2, s2, v12
	v_add_co_ci_u32_e64 v13, s2, s3, v13, s2
	s_delay_alu instid0(VALU_DEP_4) | instskip(NEXT) | instid1(SALU_CYCLE_1)
	s_and_b32 s2, s1, vcc_lo
	s_and_saveexec_b32 s1, s2
	s_cbranch_execz .LBB855_9
; %bb.8:
	v_ashrrev_i32_e32 v1, 31, v0
	s_delay_alu instid0(VALU_DEP_1) | instskip(NEXT) | instid1(VALU_DEP_1)
	v_lshlrev_b64 v[14:15], 4, v[0:1]
	v_add_co_u32 v18, vcc_lo, v12, v14
	s_delay_alu instid0(VALU_DEP_2)
	v_add_co_ci_u32_e32 v19, vcc_lo, v13, v15, vcc_lo
	v_cmp_ne_u32_e32 vcc_lo, v3, v0
	global_load_b128 v[14:17], v[18:19], off
	s_waitcnt vmcnt(0)
	v_add_f64 v[16:17], v[8:9], -v[16:17]
	v_add_f64 v[8:9], v[10:11], -v[14:15]
	s_delay_alu instid0(VALU_DEP_2)
	v_dual_cndmask_b32 v11, 0, v17 :: v_dual_cndmask_b32 v10, 0, v16
	global_store_b128 v[18:19], v[8:11], off
.LBB855_9:
	s_or_b32 exec_lo, exec_lo, s1
	v_cmp_le_i32_e32 vcc_lo, v3, v2
	s_and_b32 s0, vcc_lo, s0
	s_delay_alu instid0(SALU_CYCLE_1)
	s_and_saveexec_b32 s1, s0
	s_cbranch_execz .LBB855_11
; %bb.10:
	v_ashrrev_i32_e32 v3, 31, v2
	s_delay_alu instid0(VALU_DEP_1) | instskip(NEXT) | instid1(VALU_DEP_1)
	v_lshlrev_b64 v[1:2], 4, v[2:3]
	v_add_co_u32 v12, vcc_lo, v12, v1
	s_delay_alu instid0(VALU_DEP_2)
	v_add_co_ci_u32_e32 v13, vcc_lo, v13, v2, vcc_lo
	v_cmp_ne_u32_e32 vcc_lo, v21, v0
	global_load_b128 v[8:11], v[12:13], off
	s_waitcnt vmcnt(0)
	v_add_f64 v[3:4], v[4:5], -v[10:11]
	v_add_f64 v[1:2], v[6:7], -v[8:9]
	s_delay_alu instid0(VALU_DEP_2)
	v_dual_cndmask_b32 v4, 0, v4 :: v_dual_cndmask_b32 v3, 0, v3
	global_store_b128 v[12:13], v[1:4], off
.LBB855_11:
	s_nop 0
	s_sendmsg sendmsg(MSG_DEALLOC_VGPRS)
	s_endpgm
	.section	.rodata,"a",@progbits
	.p2align	6, 0x0
	.amdhsa_kernel _ZL37rocblas_syrkx_herkx_restricted_kernelIi19rocblas_complex_numIdELi16ELi32ELi8ELi1ELin1ELb1ELc84ELc76EKPKS1_KPS1_EviT_PT9_S7_lS9_S7_lPT10_S7_li
		.amdhsa_group_segment_fixed_size 8192
		.amdhsa_private_segment_fixed_size 0
		.amdhsa_kernarg_size 84
		.amdhsa_user_sgpr_count 13
		.amdhsa_user_sgpr_dispatch_ptr 0
		.amdhsa_user_sgpr_queue_ptr 0
		.amdhsa_user_sgpr_kernarg_segment_ptr 1
		.amdhsa_user_sgpr_dispatch_id 0
		.amdhsa_user_sgpr_private_segment_size 0
		.amdhsa_wavefront_size32 1
		.amdhsa_uses_dynamic_stack 0
		.amdhsa_enable_private_segment 0
		.amdhsa_system_sgpr_workgroup_id_x 1
		.amdhsa_system_sgpr_workgroup_id_y 1
		.amdhsa_system_sgpr_workgroup_id_z 1
		.amdhsa_system_sgpr_workgroup_info 0
		.amdhsa_system_vgpr_workitem_id 1
		.amdhsa_next_free_vgpr 118
		.amdhsa_next_free_sgpr 17
		.amdhsa_reserve_vcc 1
		.amdhsa_float_round_mode_32 0
		.amdhsa_float_round_mode_16_64 0
		.amdhsa_float_denorm_mode_32 3
		.amdhsa_float_denorm_mode_16_64 3
		.amdhsa_dx10_clamp 1
		.amdhsa_ieee_mode 1
		.amdhsa_fp16_overflow 0
		.amdhsa_workgroup_processor_mode 1
		.amdhsa_memory_ordered 1
		.amdhsa_forward_progress 0
		.amdhsa_shared_vgpr_count 0
		.amdhsa_exception_fp_ieee_invalid_op 0
		.amdhsa_exception_fp_denorm_src 0
		.amdhsa_exception_fp_ieee_div_zero 0
		.amdhsa_exception_fp_ieee_overflow 0
		.amdhsa_exception_fp_ieee_underflow 0
		.amdhsa_exception_fp_ieee_inexact 0
		.amdhsa_exception_int_div_zero 0
	.end_amdhsa_kernel
	.section	.text._ZL37rocblas_syrkx_herkx_restricted_kernelIi19rocblas_complex_numIdELi16ELi32ELi8ELi1ELin1ELb1ELc84ELc76EKPKS1_KPS1_EviT_PT9_S7_lS9_S7_lPT10_S7_li,"axG",@progbits,_ZL37rocblas_syrkx_herkx_restricted_kernelIi19rocblas_complex_numIdELi16ELi32ELi8ELi1ELin1ELb1ELc84ELc76EKPKS1_KPS1_EviT_PT9_S7_lS9_S7_lPT10_S7_li,comdat
.Lfunc_end855:
	.size	_ZL37rocblas_syrkx_herkx_restricted_kernelIi19rocblas_complex_numIdELi16ELi32ELi8ELi1ELin1ELb1ELc84ELc76EKPKS1_KPS1_EviT_PT9_S7_lS9_S7_lPT10_S7_li, .Lfunc_end855-_ZL37rocblas_syrkx_herkx_restricted_kernelIi19rocblas_complex_numIdELi16ELi32ELi8ELi1ELin1ELb1ELc84ELc76EKPKS1_KPS1_EviT_PT9_S7_lS9_S7_lPT10_S7_li
                                        ; -- End function
	.section	.AMDGPU.csdata,"",@progbits
; Kernel info:
; codeLenInByte = 3056
; NumSgprs: 19
; NumVgprs: 118
; ScratchSize: 0
; MemoryBound: 0
; FloatMode: 240
; IeeeMode: 1
; LDSByteSize: 8192 bytes/workgroup (compile time only)
; SGPRBlocks: 2
; VGPRBlocks: 14
; NumSGPRsForWavesPerEU: 19
; NumVGPRsForWavesPerEU: 118
; Occupancy: 12
; WaveLimiterHint : 1
; COMPUTE_PGM_RSRC2:SCRATCH_EN: 0
; COMPUTE_PGM_RSRC2:USER_SGPR: 13
; COMPUTE_PGM_RSRC2:TRAP_HANDLER: 0
; COMPUTE_PGM_RSRC2:TGID_X_EN: 1
; COMPUTE_PGM_RSRC2:TGID_Y_EN: 1
; COMPUTE_PGM_RSRC2:TGID_Z_EN: 1
; COMPUTE_PGM_RSRC2:TIDIG_COMP_CNT: 1
	.section	.text._ZL37rocblas_syrkx_herkx_restricted_kernelIi19rocblas_complex_numIdELi16ELi32ELi8ELi1ELin1ELb1ELc67ELc76EKPKS1_KPS1_EviT_PT9_S7_lS9_S7_lPT10_S7_li,"axG",@progbits,_ZL37rocblas_syrkx_herkx_restricted_kernelIi19rocblas_complex_numIdELi16ELi32ELi8ELi1ELin1ELb1ELc67ELc76EKPKS1_KPS1_EviT_PT9_S7_lS9_S7_lPT10_S7_li,comdat
	.globl	_ZL37rocblas_syrkx_herkx_restricted_kernelIi19rocblas_complex_numIdELi16ELi32ELi8ELi1ELin1ELb1ELc67ELc76EKPKS1_KPS1_EviT_PT9_S7_lS9_S7_lPT10_S7_li ; -- Begin function _ZL37rocblas_syrkx_herkx_restricted_kernelIi19rocblas_complex_numIdELi16ELi32ELi8ELi1ELin1ELb1ELc67ELc76EKPKS1_KPS1_EviT_PT9_S7_lS9_S7_lPT10_S7_li
	.p2align	8
	.type	_ZL37rocblas_syrkx_herkx_restricted_kernelIi19rocblas_complex_numIdELi16ELi32ELi8ELi1ELin1ELb1ELc67ELc76EKPKS1_KPS1_EviT_PT9_S7_lS9_S7_lPT10_S7_li,@function
_ZL37rocblas_syrkx_herkx_restricted_kernelIi19rocblas_complex_numIdELi16ELi32ELi8ELi1ELin1ELb1ELc67ELc76EKPKS1_KPS1_EviT_PT9_S7_lS9_S7_lPT10_S7_li: ; @_ZL37rocblas_syrkx_herkx_restricted_kernelIi19rocblas_complex_numIdELi16ELi32ELi8ELi1ELin1ELb1ELc67ELc76EKPKS1_KPS1_EviT_PT9_S7_lS9_S7_lPT10_S7_li
; %bb.0:
	s_clause 0x1
	s_load_b64 s[2:3], s[0:1], 0x38
	s_load_b64 s[4:5], s[0:1], 0x0
	s_mov_b32 s6, s15
	s_mov_b32 s7, 0
	v_mov_b32_e32 v16, 0
	s_lshl_b64 s[8:9], s[6:7], 3
	v_dual_mov_b32 v17, 0 :: v_dual_and_b32 v20, 0x3ff, v0
	v_bfe_u32 v21, v0, 10, 10
	s_delay_alu instid0(VALU_DEP_3) | instskip(NEXT) | instid1(VALU_DEP_3)
	v_mov_b32_e32 v12, v16
	v_dual_mov_b32 v14, v16 :: v_dual_mov_b32 v15, v17
	v_dual_mov_b32 v19, v17 :: v_dual_mov_b32 v18, v16
	;; [unrolled: 1-line block ×5, first 2 shown]
	v_mov_b32_e32 v7, v17
	s_waitcnt lgkmcnt(0)
	s_add_u32 s2, s2, s8
	s_addc_u32 s3, s3, s9
	v_dual_mov_b32 v4, v16 :: v_dual_mov_b32 v5, v17
	s_load_b64 s[2:3], s[2:3], 0x0
	s_lshl_b32 s6, s13, 5
	s_lshl_b32 s10, s14, 5
	s_cmp_lt_i32 s5, 1
	s_cbranch_scc1 .LBB856_3
; %bb.1:
	s_clause 0x3
	s_load_b64 s[12:13], s[0:1], 0x8
	s_load_b64 s[14:15], s[0:1], 0x20
	s_load_b32 s11, s[0:1], 0x10
	s_load_b32 s16, s[0:1], 0x28
	v_lshl_add_u32 v2, v21, 4, v20
	v_dual_mov_b32 v1, 0 :: v_dual_and_b32 v0, 7, v20
	v_mov_b32_e32 v4, 0
	v_dual_mov_b32 v5, 0 :: v_dual_lshlrev_b32 v22, 4, v20
	s_delay_alu instid0(VALU_DEP_4)
	v_and_b32_e32 v7, 31, v2
	v_lshrrev_b32_e32 v6, 3, v2
	v_lshrrev_b32_e32 v2, 5, v2
	v_mov_b32_e32 v3, v1
	v_lshl_add_u32 v23, v21, 7, 0x1000
	v_add_nc_u32_e32 v10, s6, v7
	v_dual_mov_b32 v15, v5 :: v_dual_add_nc_u32 v12, s10, v6
	v_dual_mov_b32 v14, v4 :: v_dual_mov_b32 v19, v5
	v_mov_b32_e32 v18, v4
	s_waitcnt lgkmcnt(0)
	s_add_u32 s12, s12, s8
	s_addc_u32 s13, s13, s9
	s_add_u32 s8, s14, s8
	s_load_b64 s[12:13], s[12:13], 0x0
	s_addc_u32 s9, s15, s9
	v_mad_i64_i32 v[8:9], null, s11, v10, v[2:3]
	s_load_b64 s[8:9], s[8:9], 0x0
	v_lshlrev_b32_e32 v3, 4, v0
	v_mad_i64_i32 v[10:11], null, s16, v12, v[0:1]
	v_dual_mov_b32 v17, v5 :: v_dual_lshlrev_b32 v12, 4, v7
	v_mov_b32_e32 v16, v4
	s_delay_alu instid0(VALU_DEP_4) | instskip(SKIP_3) | instid1(VALU_DEP_4)
	v_lshl_or_b32 v3, v6, 7, v3
	v_lshlrev_b64 v[0:1], 4, v[8:9]
	v_dual_mov_b32 v9, v5 :: v_dual_mov_b32 v8, v4
	v_lshl_or_b32 v24, v2, 9, v12
	v_add_nc_u32_e32 v25, 0x1000, v3
	v_lshlrev_b64 v[2:3], 4, v[10:11]
	v_dual_mov_b32 v7, v5 :: v_dual_mov_b32 v6, v4
	s_waitcnt lgkmcnt(0)
	v_add_co_u32 v0, vcc_lo, v0, s12
	v_add_co_ci_u32_e32 v1, vcc_lo, s13, v1, vcc_lo
	s_delay_alu instid0(VALU_DEP_4) | instskip(SKIP_1) | instid1(VALU_DEP_4)
	v_add_co_u32 v2, vcc_lo, v2, s8
	v_add_co_ci_u32_e32 v3, vcc_lo, s9, v3, vcc_lo
	v_add_co_u32 v0, vcc_lo, v0, 8
	s_delay_alu instid0(VALU_DEP_4) | instskip(NEXT) | instid1(VALU_DEP_4)
	v_add_co_ci_u32_e32 v1, vcc_lo, 0, v1, vcc_lo
	v_add_co_u32 v2, vcc_lo, v2, 8
	s_delay_alu instid0(VALU_DEP_4)
	v_add_co_ci_u32_e32 v3, vcc_lo, 0, v3, vcc_lo
	v_dual_mov_b32 v11, v5 :: v_dual_mov_b32 v10, v4
	v_dual_mov_b32 v13, v5 :: v_dual_mov_b32 v12, v4
.LBB856_2:                              ; =>This Inner Loop Header: Depth=1
	global_load_b128 v[26:29], v[0:1], off offset:-8
	global_load_b128 v[30:33], v[2:3], off offset:-8
	v_add_co_u32 v0, vcc_lo, 0x80, v0
	v_add_co_ci_u32_e32 v1, vcc_lo, 0, v1, vcc_lo
	v_add_co_u32 v2, vcc_lo, 0x80, v2
	v_add_co_ci_u32_e32 v3, vcc_lo, 0, v3, vcc_lo
	s_add_i32 s7, s7, 8
	s_delay_alu instid0(SALU_CYCLE_1)
	s_cmp_ge_i32 s7, s5
	s_waitcnt vmcnt(1)
	v_xor_b32_e32 v29, 0x80000000, v29
	ds_store_b128 v24, v[26:29]
	s_waitcnt vmcnt(0)
	ds_store_b128 v25, v[30:33]
	s_waitcnt lgkmcnt(0)
	s_barrier
	buffer_gl0_inv
	ds_load_b128 v[26:29], v23
	ds_load_b128 v[30:33], v22
	ds_load_b128 v[34:37], v22 offset:256
	ds_load_b128 v[38:41], v23 offset:2048
	;; [unrolled: 1-line block ×13, first 2 shown]
	s_waitcnt lgkmcnt(13)
	v_mul_f64 v[86:87], v[28:29], v[32:33]
	v_mul_f64 v[88:89], v[26:27], v[32:33]
	s_waitcnt lgkmcnt(12)
	v_mul_f64 v[90:91], v[28:29], v[36:37]
	v_mul_f64 v[92:93], v[26:27], v[36:37]
	;; [unrolled: 3-line block ×3, first 2 shown]
	v_mul_f64 v[96:97], v[40:41], v[36:37]
	v_mul_f64 v[36:37], v[38:39], v[36:37]
	s_waitcnt lgkmcnt(8)
	v_mul_f64 v[98:99], v[44:45], v[52:53]
	v_mul_f64 v[100:101], v[42:43], v[52:53]
	s_waitcnt lgkmcnt(7)
	v_mul_f64 v[102:103], v[44:45], v[56:57]
	v_mul_f64 v[104:105], v[42:43], v[56:57]
	;; [unrolled: 1-line block ×6, first 2 shown]
	s_waitcnt lgkmcnt(3)
	v_mul_f64 v[112:113], v[58:59], v[72:73]
	s_waitcnt lgkmcnt(2)
	v_mul_f64 v[114:115], v[76:77], v[68:69]
	v_mul_f64 v[116:117], v[76:77], v[72:73]
	v_fma_f64 v[86:87], v[26:27], v[30:31], -v[86:87]
	v_fma_f64 v[88:89], v[28:29], v[30:31], v[88:89]
	v_fma_f64 v[90:91], v[26:27], v[34:35], -v[90:91]
	v_fma_f64 v[92:93], v[28:29], v[34:35], v[92:93]
	;; [unrolled: 2-line block ×4, first 2 shown]
	v_mul_f64 v[36:37], v[60:61], v[68:69]
	v_mul_f64 v[40:41], v[58:59], v[68:69]
	;; [unrolled: 1-line block ×5, first 2 shown]
	v_fma_f64 v[98:99], v[42:43], v[50:51], -v[98:99]
	v_fma_f64 v[100:101], v[44:45], v[50:51], v[100:101]
	v_fma_f64 v[42:43], v[42:43], v[54:55], -v[102:103]
	v_fma_f64 v[44:45], v[44:45], v[54:55], v[104:105]
	;; [unrolled: 2-line block ×4, first 2 shown]
	ds_load_b128 v[26:29], v22 offset:1792
	ds_load_b128 v[30:33], v22 offset:2048
	s_waitcnt lgkmcnt(2)
	v_mul_f64 v[56:57], v[64:65], v[84:85]
	v_add_f64 v[16:17], v[16:17], v[86:87]
	v_add_f64 v[18:19], v[18:19], v[88:89]
	;; [unrolled: 1-line block ×8, first 2 shown]
	v_mul_f64 v[86:87], v[62:63], v[84:85]
	s_waitcnt lgkmcnt(1)
	v_mul_f64 v[88:89], v[64:65], v[28:29]
	v_mul_f64 v[90:91], v[62:63], v[28:29]
	;; [unrolled: 1-line block ×6, first 2 shown]
	v_fma_f64 v[104:105], v[58:59], v[66:67], -v[36:37]
	v_fma_f64 v[106:107], v[60:61], v[66:67], v[40:41]
	v_fma_f64 v[58:59], v[58:59], v[70:71], -v[96:97]
	v_fma_f64 v[60:61], v[60:61], v[70:71], v[112:113]
	;; [unrolled: 2-line block ×4, first 2 shown]
	ds_load_b128 v[4:7], v22 offset:2304
	ds_load_b128 v[8:11], v23 offset:64
	v_fma_f64 v[56:57], v[62:63], v[82:83], -v[56:57]
	v_add_f64 v[72:73], v[16:17], v[98:99]
	v_add_f64 v[74:75], v[18:19], v[100:101]
	;; [unrolled: 1-line block ×8, first 2 shown]
	ds_load_b128 v[12:15], v23 offset:2112
	ds_load_b128 v[16:19], v23 offset:80
	;; [unrolled: 1-line block ×4, first 2 shown]
	s_waitcnt lgkmcnt(4)
	v_mul_f64 v[54:55], v[10:11], v[32:33]
	v_mul_f64 v[76:77], v[8:9], v[32:33]
	;; [unrolled: 1-line block ×4, first 2 shown]
	v_fma_f64 v[86:87], v[64:65], v[82:83], v[86:87]
	v_fma_f64 v[62:63], v[62:63], v[26:27], -v[88:89]
	v_fma_f64 v[64:65], v[64:65], v[26:27], v[90:91]
	v_fma_f64 v[88:89], v[78:79], v[82:83], -v[92:93]
	;; [unrolled: 2-line block ×3, first 2 shown]
	v_fma_f64 v[80:81], v[80:81], v[26:27], v[28:29]
	s_waitcnt lgkmcnt(3)
	v_mul_f64 v[102:103], v[14:15], v[32:33]
	v_mul_f64 v[32:33], v[12:13], v[32:33]
	;; [unrolled: 1-line block ×4, first 2 shown]
	s_waitcnt lgkmcnt(0)
	v_mul_f64 v[90:91], v[18:19], v[40:41]
	v_mul_f64 v[92:93], v[16:17], v[40:41]
	v_add_f64 v[72:73], v[72:73], v[104:105]
	v_add_f64 v[74:75], v[74:75], v[106:107]
	;; [unrolled: 1-line block ×8, first 2 shown]
	ds_load_b128 v[26:29], v22 offset:2816
	ds_load_b128 v[42:45], v22 offset:3072
	;; [unrolled: 1-line block ×4, first 2 shown]
	v_mul_f64 v[104:105], v[36:37], v[40:41]
	v_mul_f64 v[40:41], v[34:35], v[40:41]
	v_fma_f64 v[54:55], v[8:9], v[30:31], -v[54:55]
	v_fma_f64 v[76:77], v[10:11], v[30:31], v[76:77]
	v_fma_f64 v[98:99], v[8:9], v[4:5], -v[98:99]
	v_fma_f64 v[100:101], v[10:11], v[4:5], v[100:101]
	s_waitcnt lgkmcnt(3)
	v_mul_f64 v[94:95], v[18:19], v[28:29]
	v_mul_f64 v[96:97], v[16:17], v[28:29]
	;; [unrolled: 1-line block ×4, first 2 shown]
	v_fma_f64 v[102:103], v[12:13], v[30:31], -v[102:103]
	v_fma_f64 v[32:33], v[14:15], v[30:31], v[32:33]
	v_fma_f64 v[108:109], v[12:13], v[4:5], -v[108:109]
	v_fma_f64 v[112:113], v[14:15], v[4:5], v[6:7]
	ds_load_b128 v[4:7], v23 offset:2144
	ds_load_b128 v[8:11], v23 offset:112
	;; [unrolled: 1-line block ×4, first 2 shown]
	v_add_f64 v[56:57], v[72:73], v[56:57]
	v_add_f64 v[72:73], v[74:75], v[86:87]
	;; [unrolled: 1-line block ×8, first 2 shown]
	s_waitcnt lgkmcnt(4)
	v_mul_f64 v[70:71], v[52:53], v[44:45]
	v_mul_f64 v[74:75], v[50:51], v[44:45]
	;; [unrolled: 1-line block ×4, first 2 shown]
	s_waitcnt lgkmcnt(3)
	v_mul_f64 v[82:83], v[6:7], v[44:45]
	v_mul_f64 v[44:45], v[4:5], v[44:45]
	;; [unrolled: 1-line block ×4, first 2 shown]
	v_fma_f64 v[86:87], v[16:17], v[38:39], -v[90:91]
	v_fma_f64 v[88:89], v[18:19], v[38:39], v[92:93]
	v_fma_f64 v[90:91], v[16:17], v[26:27], -v[94:95]
	v_fma_f64 v[92:93], v[18:19], v[26:27], v[96:97]
	;; [unrolled: 2-line block ×4, first 2 shown]
	ds_load_b128 v[16:19], v22 offset:3840
	s_waitcnt lgkmcnt(0)
	s_barrier
	buffer_gl0_inv
	v_add_f64 v[36:37], v[56:57], v[54:55]
	v_add_f64 v[40:41], v[72:73], v[76:77]
	;; [unrolled: 1-line block ×8, first 2 shown]
	v_mul_f64 v[64:65], v[10:11], v[30:31]
	v_mul_f64 v[66:67], v[8:9], v[30:31]
	;; [unrolled: 1-line block ×4, first 2 shown]
	v_fma_f64 v[70:71], v[50:51], v[42:43], -v[70:71]
	v_mul_f64 v[68:69], v[10:11], v[18:19]
	v_mul_f64 v[72:73], v[8:9], v[18:19]
	;; [unrolled: 1-line block ×4, first 2 shown]
	v_fma_f64 v[74:75], v[52:53], v[42:43], v[74:75]
	v_fma_f64 v[50:51], v[50:51], v[46:47], -v[78:79]
	v_fma_f64 v[52:53], v[52:53], v[46:47], v[80:81]
	v_fma_f64 v[78:79], v[4:5], v[42:43], -v[82:83]
	;; [unrolled: 2-line block ×3, first 2 shown]
	v_fma_f64 v[6:7], v[6:7], v[46:47], v[48:49]
	v_add_f64 v[36:37], v[36:37], v[86:87]
	v_add_f64 v[40:41], v[40:41], v[88:89]
	;; [unrolled: 1-line block ×8, first 2 shown]
	v_fma_f64 v[38:39], v[8:9], v[28:29], -v[64:65]
	v_fma_f64 v[54:55], v[10:11], v[28:29], v[66:67]
	v_fma_f64 v[56:57], v[12:13], v[28:29], -v[76:77]
	v_fma_f64 v[28:29], v[14:15], v[28:29], v[30:31]
	v_fma_f64 v[8:9], v[8:9], v[16:17], -v[68:69]
	v_fma_f64 v[10:11], v[10:11], v[16:17], v[72:73]
	v_fma_f64 v[30:31], v[12:13], v[16:17], -v[96:97]
	v_fma_f64 v[58:59], v[14:15], v[16:17], v[18:19]
	v_add_f64 v[12:13], v[36:37], v[70:71]
	v_add_f64 v[14:15], v[40:41], v[74:75]
	;; [unrolled: 1-line block ×16, first 2 shown]
	s_cbranch_scc0 .LBB856_2
.LBB856_3:
	s_load_b32 s5, s[0:1], 0x40
	v_add_nc_u32_e32 v21, s10, v21
	v_add_nc_u32_e32 v0, s6, v20
	s_delay_alu instid0(VALU_DEP_1) | instskip(SKIP_1) | instid1(VALU_DEP_2)
	v_cmp_le_i32_e64 s0, v21, v0
	v_cmp_gt_i32_e32 vcc_lo, s4, v0
	s_and_b32 s0, s0, vcc_lo
	s_waitcnt lgkmcnt(0)
	v_mad_i64_i32 v[1:2], null, v21, s5, 0
	s_delay_alu instid0(VALU_DEP_1) | instskip(NEXT) | instid1(VALU_DEP_1)
	v_lshlrev_b64 v[1:2], 4, v[1:2]
	v_add_co_u32 v20, s1, s2, v1
	s_delay_alu instid0(VALU_DEP_1)
	v_add_co_ci_u32_e64 v22, s1, s3, v2, s1
	s_and_saveexec_b32 s1, s0
	s_cbranch_execz .LBB856_5
; %bb.4:
	v_ashrrev_i32_e32 v1, 31, v0
	s_delay_alu instid0(VALU_DEP_1) | instskip(NEXT) | instid1(VALU_DEP_1)
	v_lshlrev_b64 v[1:2], 4, v[0:1]
	v_add_co_u32 v1, s0, v20, v1
	s_delay_alu instid0(VALU_DEP_1)
	v_add_co_ci_u32_e64 v2, s0, v22, v2, s0
	v_cmp_ne_u32_e64 s0, v21, v0
	global_load_b128 v[23:26], v[1:2], off
	s_waitcnt vmcnt(0)
	v_add_f64 v[18:19], v[18:19], -v[25:26]
	v_add_f64 v[16:17], v[16:17], -v[23:24]
	s_delay_alu instid0(VALU_DEP_2) | instskip(NEXT) | instid1(VALU_DEP_3)
	v_cndmask_b32_e64 v19, 0, v19, s0
	v_cndmask_b32_e64 v18, 0, v18, s0
	global_store_b128 v[1:2], v[16:19], off
.LBB856_5:
	s_or_b32 exec_lo, exec_lo, s1
	v_add_nc_u32_e32 v2, 16, v0
	s_delay_alu instid0(VALU_DEP_1) | instskip(SKIP_1) | instid1(VALU_DEP_1)
	v_cmp_le_i32_e64 s1, v21, v2
	v_cmp_gt_i32_e64 s0, s4, v2
	s_and_b32 s1, s1, s0
	s_delay_alu instid0(SALU_CYCLE_1)
	s_and_saveexec_b32 s4, s1
	s_cbranch_execz .LBB856_7
; %bb.6:
	v_ashrrev_i32_e32 v3, 31, v2
	s_delay_alu instid0(VALU_DEP_1) | instskip(NEXT) | instid1(VALU_DEP_1)
	v_lshlrev_b64 v[16:17], 4, v[2:3]
	v_add_co_u32 v23, s1, v20, v16
	s_delay_alu instid0(VALU_DEP_1)
	v_add_co_ci_u32_e64 v24, s1, v22, v17, s1
	v_cmp_ne_u32_e64 s1, v21, v2
	global_load_b128 v[16:19], v[23:24], off
	s_waitcnt vmcnt(0)
	v_add_f64 v[14:15], v[14:15], -v[18:19]
	v_add_f64 v[12:13], v[12:13], -v[16:17]
	s_delay_alu instid0(VALU_DEP_2) | instskip(NEXT) | instid1(VALU_DEP_3)
	v_cndmask_b32_e64 v15, 0, v15, s1
	v_cndmask_b32_e64 v14, 0, v14, s1
	global_store_b128 v[23:24], v[12:15], off
.LBB856_7:
	s_or_b32 exec_lo, exec_lo, s4
	v_add_nc_u32_e32 v3, 16, v21
	s_delay_alu instid0(VALU_DEP_1) | instskip(SKIP_1) | instid1(VALU_DEP_2)
	v_mad_i64_i32 v[12:13], null, v3, s5, 0
	v_cmp_le_i32_e64 s1, v3, v0
	v_lshlrev_b64 v[12:13], 4, v[12:13]
	s_delay_alu instid0(VALU_DEP_1) | instskip(NEXT) | instid1(VALU_DEP_1)
	v_add_co_u32 v12, s2, s2, v12
	v_add_co_ci_u32_e64 v13, s2, s3, v13, s2
	s_delay_alu instid0(VALU_DEP_4) | instskip(NEXT) | instid1(SALU_CYCLE_1)
	s_and_b32 s2, s1, vcc_lo
	s_and_saveexec_b32 s1, s2
	s_cbranch_execz .LBB856_9
; %bb.8:
	v_ashrrev_i32_e32 v1, 31, v0
	s_delay_alu instid0(VALU_DEP_1) | instskip(NEXT) | instid1(VALU_DEP_1)
	v_lshlrev_b64 v[14:15], 4, v[0:1]
	v_add_co_u32 v18, vcc_lo, v12, v14
	s_delay_alu instid0(VALU_DEP_2)
	v_add_co_ci_u32_e32 v19, vcc_lo, v13, v15, vcc_lo
	v_cmp_ne_u32_e32 vcc_lo, v3, v0
	global_load_b128 v[14:17], v[18:19], off
	s_waitcnt vmcnt(0)
	v_add_f64 v[16:17], v[8:9], -v[16:17]
	v_add_f64 v[8:9], v[10:11], -v[14:15]
	s_delay_alu instid0(VALU_DEP_2)
	v_dual_cndmask_b32 v11, 0, v17 :: v_dual_cndmask_b32 v10, 0, v16
	global_store_b128 v[18:19], v[8:11], off
.LBB856_9:
	s_or_b32 exec_lo, exec_lo, s1
	v_cmp_le_i32_e32 vcc_lo, v3, v2
	s_and_b32 s0, vcc_lo, s0
	s_delay_alu instid0(SALU_CYCLE_1)
	s_and_saveexec_b32 s1, s0
	s_cbranch_execz .LBB856_11
; %bb.10:
	v_ashrrev_i32_e32 v3, 31, v2
	s_delay_alu instid0(VALU_DEP_1) | instskip(NEXT) | instid1(VALU_DEP_1)
	v_lshlrev_b64 v[1:2], 4, v[2:3]
	v_add_co_u32 v12, vcc_lo, v12, v1
	s_delay_alu instid0(VALU_DEP_2)
	v_add_co_ci_u32_e32 v13, vcc_lo, v13, v2, vcc_lo
	v_cmp_ne_u32_e32 vcc_lo, v21, v0
	global_load_b128 v[8:11], v[12:13], off
	s_waitcnt vmcnt(0)
	v_add_f64 v[3:4], v[4:5], -v[10:11]
	v_add_f64 v[1:2], v[6:7], -v[8:9]
	s_delay_alu instid0(VALU_DEP_2)
	v_dual_cndmask_b32 v4, 0, v4 :: v_dual_cndmask_b32 v3, 0, v3
	global_store_b128 v[12:13], v[1:4], off
.LBB856_11:
	s_nop 0
	s_sendmsg sendmsg(MSG_DEALLOC_VGPRS)
	s_endpgm
	.section	.rodata,"a",@progbits
	.p2align	6, 0x0
	.amdhsa_kernel _ZL37rocblas_syrkx_herkx_restricted_kernelIi19rocblas_complex_numIdELi16ELi32ELi8ELi1ELin1ELb1ELc67ELc76EKPKS1_KPS1_EviT_PT9_S7_lS9_S7_lPT10_S7_li
		.amdhsa_group_segment_fixed_size 8192
		.amdhsa_private_segment_fixed_size 0
		.amdhsa_kernarg_size 84
		.amdhsa_user_sgpr_count 13
		.amdhsa_user_sgpr_dispatch_ptr 0
		.amdhsa_user_sgpr_queue_ptr 0
		.amdhsa_user_sgpr_kernarg_segment_ptr 1
		.amdhsa_user_sgpr_dispatch_id 0
		.amdhsa_user_sgpr_private_segment_size 0
		.amdhsa_wavefront_size32 1
		.amdhsa_uses_dynamic_stack 0
		.amdhsa_enable_private_segment 0
		.amdhsa_system_sgpr_workgroup_id_x 1
		.amdhsa_system_sgpr_workgroup_id_y 1
		.amdhsa_system_sgpr_workgroup_id_z 1
		.amdhsa_system_sgpr_workgroup_info 0
		.amdhsa_system_vgpr_workitem_id 1
		.amdhsa_next_free_vgpr 118
		.amdhsa_next_free_sgpr 17
		.amdhsa_reserve_vcc 1
		.amdhsa_float_round_mode_32 0
		.amdhsa_float_round_mode_16_64 0
		.amdhsa_float_denorm_mode_32 3
		.amdhsa_float_denorm_mode_16_64 3
		.amdhsa_dx10_clamp 1
		.amdhsa_ieee_mode 1
		.amdhsa_fp16_overflow 0
		.amdhsa_workgroup_processor_mode 1
		.amdhsa_memory_ordered 1
		.amdhsa_forward_progress 0
		.amdhsa_shared_vgpr_count 0
		.amdhsa_exception_fp_ieee_invalid_op 0
		.amdhsa_exception_fp_denorm_src 0
		.amdhsa_exception_fp_ieee_div_zero 0
		.amdhsa_exception_fp_ieee_overflow 0
		.amdhsa_exception_fp_ieee_underflow 0
		.amdhsa_exception_fp_ieee_inexact 0
		.amdhsa_exception_int_div_zero 0
	.end_amdhsa_kernel
	.section	.text._ZL37rocblas_syrkx_herkx_restricted_kernelIi19rocblas_complex_numIdELi16ELi32ELi8ELi1ELin1ELb1ELc67ELc76EKPKS1_KPS1_EviT_PT9_S7_lS9_S7_lPT10_S7_li,"axG",@progbits,_ZL37rocblas_syrkx_herkx_restricted_kernelIi19rocblas_complex_numIdELi16ELi32ELi8ELi1ELin1ELb1ELc67ELc76EKPKS1_KPS1_EviT_PT9_S7_lS9_S7_lPT10_S7_li,comdat
.Lfunc_end856:
	.size	_ZL37rocblas_syrkx_herkx_restricted_kernelIi19rocblas_complex_numIdELi16ELi32ELi8ELi1ELin1ELb1ELc67ELc76EKPKS1_KPS1_EviT_PT9_S7_lS9_S7_lPT10_S7_li, .Lfunc_end856-_ZL37rocblas_syrkx_herkx_restricted_kernelIi19rocblas_complex_numIdELi16ELi32ELi8ELi1ELin1ELb1ELc67ELc76EKPKS1_KPS1_EviT_PT9_S7_lS9_S7_lPT10_S7_li
                                        ; -- End function
	.section	.AMDGPU.csdata,"",@progbits
; Kernel info:
; codeLenInByte = 3068
; NumSgprs: 19
; NumVgprs: 118
; ScratchSize: 0
; MemoryBound: 0
; FloatMode: 240
; IeeeMode: 1
; LDSByteSize: 8192 bytes/workgroup (compile time only)
; SGPRBlocks: 2
; VGPRBlocks: 14
; NumSGPRsForWavesPerEU: 19
; NumVGPRsForWavesPerEU: 118
; Occupancy: 12
; WaveLimiterHint : 1
; COMPUTE_PGM_RSRC2:SCRATCH_EN: 0
; COMPUTE_PGM_RSRC2:USER_SGPR: 13
; COMPUTE_PGM_RSRC2:TRAP_HANDLER: 0
; COMPUTE_PGM_RSRC2:TGID_X_EN: 1
; COMPUTE_PGM_RSRC2:TGID_Y_EN: 1
; COMPUTE_PGM_RSRC2:TGID_Z_EN: 1
; COMPUTE_PGM_RSRC2:TIDIG_COMP_CNT: 1
	.section	.text._ZL37rocblas_syrkx_herkx_restricted_kernelIi19rocblas_complex_numIdELi16ELi32ELi8ELi1ELin1ELb1ELc78ELc76EKPKS1_KPS1_EviT_PT9_S7_lS9_S7_lPT10_S7_li,"axG",@progbits,_ZL37rocblas_syrkx_herkx_restricted_kernelIi19rocblas_complex_numIdELi16ELi32ELi8ELi1ELin1ELb1ELc78ELc76EKPKS1_KPS1_EviT_PT9_S7_lS9_S7_lPT10_S7_li,comdat
	.globl	_ZL37rocblas_syrkx_herkx_restricted_kernelIi19rocblas_complex_numIdELi16ELi32ELi8ELi1ELin1ELb1ELc78ELc76EKPKS1_KPS1_EviT_PT9_S7_lS9_S7_lPT10_S7_li ; -- Begin function _ZL37rocblas_syrkx_herkx_restricted_kernelIi19rocblas_complex_numIdELi16ELi32ELi8ELi1ELin1ELb1ELc78ELc76EKPKS1_KPS1_EviT_PT9_S7_lS9_S7_lPT10_S7_li
	.p2align	8
	.type	_ZL37rocblas_syrkx_herkx_restricted_kernelIi19rocblas_complex_numIdELi16ELi32ELi8ELi1ELin1ELb1ELc78ELc76EKPKS1_KPS1_EviT_PT9_S7_lS9_S7_lPT10_S7_li,@function
_ZL37rocblas_syrkx_herkx_restricted_kernelIi19rocblas_complex_numIdELi16ELi32ELi8ELi1ELin1ELb1ELc78ELc76EKPKS1_KPS1_EviT_PT9_S7_lS9_S7_lPT10_S7_li: ; @_ZL37rocblas_syrkx_herkx_restricted_kernelIi19rocblas_complex_numIdELi16ELi32ELi8ELi1ELin1ELb1ELc78ELc76EKPKS1_KPS1_EviT_PT9_S7_lS9_S7_lPT10_S7_li
; %bb.0:
	s_clause 0x1
	s_load_b64 s[2:3], s[0:1], 0x38
	s_load_b64 s[4:5], s[0:1], 0x0
	s_mov_b32 s6, s15
	s_mov_b32 s7, 0
	v_mov_b32_e32 v16, 0
	s_lshl_b64 s[8:9], s[6:7], 3
	v_dual_mov_b32 v17, 0 :: v_dual_and_b32 v20, 0x3ff, v0
	v_bfe_u32 v21, v0, 10, 10
	s_delay_alu instid0(VALU_DEP_3) | instskip(NEXT) | instid1(VALU_DEP_3)
	v_mov_b32_e32 v12, v16
	v_dual_mov_b32 v14, v16 :: v_dual_mov_b32 v15, v17
	v_dual_mov_b32 v19, v17 :: v_dual_mov_b32 v18, v16
	;; [unrolled: 1-line block ×5, first 2 shown]
	v_mov_b32_e32 v7, v17
	s_waitcnt lgkmcnt(0)
	s_add_u32 s2, s2, s8
	s_addc_u32 s3, s3, s9
	v_dual_mov_b32 v4, v16 :: v_dual_mov_b32 v5, v17
	s_load_b64 s[2:3], s[2:3], 0x0
	s_lshl_b32 s6, s13, 5
	s_lshl_b32 s12, s14, 5
	s_cmp_lt_i32 s5, 1
	s_cbranch_scc1 .LBB857_3
; %bb.1:
	s_clause 0x3
	s_load_b32 s10, s[0:1], 0x10
	s_load_b32 s14, s[0:1], 0x28
	s_load_b64 s[16:17], s[0:1], 0x8
	s_load_b64 s[18:19], s[0:1], 0x20
	v_lshl_add_u32 v0, v21, 4, v20
	v_and_b32_e32 v10, 7, v20
	v_lshl_add_u32 v23, v21, 7, 0x1000
	v_mov_b32_e32 v4, 0
	v_mov_b32_e32 v5, 0
	v_and_b32_e32 v9, 31, v0
	v_lshrrev_b32_e32 v8, 3, v0
	v_lshlrev_b32_e32 v12, 4, v10
	v_lshrrev_b32_e32 v11, 5, v0
	s_delay_alu instid0(VALU_DEP_4) | instskip(NEXT) | instid1(VALU_DEP_4)
	v_dual_mov_b32 v15, v5 :: v_dual_add_nc_u32 v2, s6, v9
	v_add_nc_u32_e32 v0, s12, v8
	v_lshlrev_b32_e32 v9, 4, v9
	v_lshl_or_b32 v8, v8, 7, v12
	v_lshlrev_b32_e32 v22, 4, v20
	v_dual_mov_b32 v14, v4 :: v_dual_mov_b32 v19, v5
	s_waitcnt lgkmcnt(0)
	s_ashr_i32 s11, s10, 31
	s_ashr_i32 s15, s14, 31
	s_add_u32 s16, s16, s8
	s_addc_u32 s17, s17, s9
	s_add_u32 s8, s18, s8
	s_load_b64 s[16:17], s[16:17], 0x0
	s_addc_u32 s9, s19, s9
	v_lshl_or_b32 v24, v11, 9, v9
	v_add_nc_u32_e32 v25, 0x1000, v8
	v_mov_b32_e32 v9, v5
	v_ashrrev_i32_e32 v3, 31, v2
	s_load_b64 s[8:9], s[8:9], 0x0
	v_ashrrev_i32_e32 v1, 31, v0
	v_dual_mov_b32 v8, v4 :: v_dual_mov_b32 v13, v5
	s_delay_alu instid0(VALU_DEP_3) | instskip(NEXT) | instid1(VALU_DEP_3)
	v_mad_i64_i32 v[6:7], null, s10, v11, v[2:3]
	v_mad_i64_i32 v[2:3], null, s14, v10, v[0:1]
	v_dual_mov_b32 v11, v5 :: v_dual_mov_b32 v12, v4
	v_dual_mov_b32 v17, v5 :: v_dual_mov_b32 v10, v4
	s_delay_alu instid0(VALU_DEP_4)
	v_lshlrev_b64 v[0:1], 4, v[6:7]
	v_mov_b32_e32 v7, v5
	v_lshlrev_b64 v[2:3], 4, v[2:3]
	v_mov_b32_e32 v6, v4
	v_mov_b32_e32 v18, v4
	;; [unrolled: 1-line block ×3, first 2 shown]
	s_waitcnt lgkmcnt(0)
	v_add_co_u32 v0, vcc_lo, v0, s16
	v_add_co_ci_u32_e32 v1, vcc_lo, s17, v1, vcc_lo
	v_add_co_u32 v2, vcc_lo, v2, s8
	v_add_co_ci_u32_e32 v3, vcc_lo, s9, v3, vcc_lo
	s_delay_alu instid0(VALU_DEP_4) | instskip(NEXT) | instid1(VALU_DEP_4)
	v_add_co_u32 v0, vcc_lo, v0, 8
	v_add_co_ci_u32_e32 v1, vcc_lo, 0, v1, vcc_lo
	s_delay_alu instid0(VALU_DEP_4) | instskip(NEXT) | instid1(VALU_DEP_4)
	v_add_co_u32 v2, vcc_lo, v2, 8
	v_add_co_ci_u32_e32 v3, vcc_lo, 0, v3, vcc_lo
	s_lshl_b64 s[8:9], s[10:11], 7
	s_lshl_b64 s[10:11], s[14:15], 7
.LBB857_2:                              ; =>This Inner Loop Header: Depth=1
	global_load_b128 v[26:29], v[2:3], off offset:-8
	global_load_b128 v[30:33], v[0:1], off offset:-8
	v_add_co_u32 v0, vcc_lo, v0, s8
	v_add_co_ci_u32_e32 v1, vcc_lo, s9, v1, vcc_lo
	v_add_co_u32 v2, vcc_lo, v2, s10
	v_add_co_ci_u32_e32 v3, vcc_lo, s11, v3, vcc_lo
	s_add_i32 s7, s7, 8
	s_delay_alu instid0(SALU_CYCLE_1)
	s_cmp_ge_i32 s7, s5
	s_waitcnt vmcnt(1)
	v_xor_b32_e32 v29, 0x80000000, v29
	s_waitcnt vmcnt(0)
	ds_store_b128 v24, v[30:33]
	ds_store_b128 v25, v[26:29]
	s_waitcnt lgkmcnt(0)
	s_barrier
	buffer_gl0_inv
	ds_load_b128 v[26:29], v23
	ds_load_b128 v[30:33], v22
	ds_load_b128 v[34:37], v22 offset:256
	ds_load_b128 v[38:41], v23 offset:2048
	;; [unrolled: 1-line block ×13, first 2 shown]
	s_waitcnt lgkmcnt(13)
	v_mul_f64 v[86:87], v[28:29], v[32:33]
	v_mul_f64 v[88:89], v[26:27], v[32:33]
	s_waitcnt lgkmcnt(12)
	v_mul_f64 v[90:91], v[28:29], v[36:37]
	v_mul_f64 v[92:93], v[26:27], v[36:37]
	;; [unrolled: 3-line block ×3, first 2 shown]
	v_mul_f64 v[96:97], v[40:41], v[36:37]
	v_mul_f64 v[36:37], v[38:39], v[36:37]
	s_waitcnt lgkmcnt(8)
	v_mul_f64 v[98:99], v[44:45], v[52:53]
	v_mul_f64 v[100:101], v[42:43], v[52:53]
	s_waitcnt lgkmcnt(7)
	v_mul_f64 v[102:103], v[44:45], v[56:57]
	v_mul_f64 v[104:105], v[42:43], v[56:57]
	;; [unrolled: 1-line block ×6, first 2 shown]
	s_waitcnt lgkmcnt(3)
	v_mul_f64 v[112:113], v[58:59], v[72:73]
	s_waitcnt lgkmcnt(2)
	v_mul_f64 v[114:115], v[76:77], v[68:69]
	v_mul_f64 v[116:117], v[76:77], v[72:73]
	v_fma_f64 v[86:87], v[26:27], v[30:31], -v[86:87]
	v_fma_f64 v[88:89], v[28:29], v[30:31], v[88:89]
	v_fma_f64 v[90:91], v[26:27], v[34:35], -v[90:91]
	v_fma_f64 v[92:93], v[28:29], v[34:35], v[92:93]
	;; [unrolled: 2-line block ×4, first 2 shown]
	v_mul_f64 v[36:37], v[60:61], v[68:69]
	v_mul_f64 v[40:41], v[58:59], v[68:69]
	v_mul_f64 v[96:97], v[60:61], v[72:73]
	v_mul_f64 v[68:69], v[74:75], v[68:69]
	v_mul_f64 v[72:73], v[74:75], v[72:73]
	v_fma_f64 v[98:99], v[42:43], v[50:51], -v[98:99]
	v_fma_f64 v[100:101], v[44:45], v[50:51], v[100:101]
	v_fma_f64 v[42:43], v[42:43], v[54:55], -v[102:103]
	v_fma_f64 v[44:45], v[44:45], v[54:55], v[104:105]
	;; [unrolled: 2-line block ×4, first 2 shown]
	ds_load_b128 v[26:29], v22 offset:1792
	ds_load_b128 v[30:33], v22 offset:2048
	s_waitcnt lgkmcnt(2)
	v_mul_f64 v[56:57], v[64:65], v[84:85]
	v_add_f64 v[16:17], v[16:17], v[86:87]
	v_add_f64 v[18:19], v[18:19], v[88:89]
	v_add_f64 v[12:13], v[12:13], v[90:91]
	v_add_f64 v[14:15], v[14:15], v[92:93]
	v_add_f64 v[52:53], v[8:9], v[94:95]
	v_add_f64 v[54:55], v[10:11], v[110:111]
	v_add_f64 v[38:39], v[6:7], v[38:39]
	v_add_f64 v[34:35], v[4:5], v[34:35]
	v_mul_f64 v[86:87], v[62:63], v[84:85]
	s_waitcnt lgkmcnt(1)
	v_mul_f64 v[88:89], v[64:65], v[28:29]
	v_mul_f64 v[90:91], v[62:63], v[28:29]
	;; [unrolled: 1-line block ×6, first 2 shown]
	v_fma_f64 v[104:105], v[58:59], v[66:67], -v[36:37]
	v_fma_f64 v[106:107], v[60:61], v[66:67], v[40:41]
	v_fma_f64 v[58:59], v[58:59], v[70:71], -v[96:97]
	v_fma_f64 v[60:61], v[60:61], v[70:71], v[112:113]
	;; [unrolled: 2-line block ×4, first 2 shown]
	ds_load_b128 v[4:7], v22 offset:2304
	ds_load_b128 v[8:11], v23 offset:64
	v_fma_f64 v[56:57], v[62:63], v[82:83], -v[56:57]
	v_add_f64 v[72:73], v[16:17], v[98:99]
	v_add_f64 v[74:75], v[18:19], v[100:101]
	;; [unrolled: 1-line block ×8, first 2 shown]
	ds_load_b128 v[12:15], v23 offset:2112
	ds_load_b128 v[16:19], v23 offset:80
	;; [unrolled: 1-line block ×4, first 2 shown]
	s_waitcnt lgkmcnt(4)
	v_mul_f64 v[54:55], v[10:11], v[32:33]
	v_mul_f64 v[76:77], v[8:9], v[32:33]
	;; [unrolled: 1-line block ×4, first 2 shown]
	v_fma_f64 v[86:87], v[64:65], v[82:83], v[86:87]
	v_fma_f64 v[62:63], v[62:63], v[26:27], -v[88:89]
	v_fma_f64 v[64:65], v[64:65], v[26:27], v[90:91]
	v_fma_f64 v[88:89], v[78:79], v[82:83], -v[92:93]
	;; [unrolled: 2-line block ×3, first 2 shown]
	v_fma_f64 v[80:81], v[80:81], v[26:27], v[28:29]
	s_waitcnt lgkmcnt(3)
	v_mul_f64 v[102:103], v[14:15], v[32:33]
	v_mul_f64 v[32:33], v[12:13], v[32:33]
	;; [unrolled: 1-line block ×4, first 2 shown]
	s_waitcnt lgkmcnt(0)
	v_mul_f64 v[90:91], v[18:19], v[40:41]
	v_mul_f64 v[92:93], v[16:17], v[40:41]
	v_add_f64 v[72:73], v[72:73], v[104:105]
	v_add_f64 v[74:75], v[74:75], v[106:107]
	;; [unrolled: 1-line block ×8, first 2 shown]
	ds_load_b128 v[26:29], v22 offset:2816
	ds_load_b128 v[42:45], v22 offset:3072
	;; [unrolled: 1-line block ×4, first 2 shown]
	v_mul_f64 v[104:105], v[36:37], v[40:41]
	v_mul_f64 v[40:41], v[34:35], v[40:41]
	v_fma_f64 v[54:55], v[8:9], v[30:31], -v[54:55]
	v_fma_f64 v[76:77], v[10:11], v[30:31], v[76:77]
	v_fma_f64 v[98:99], v[8:9], v[4:5], -v[98:99]
	v_fma_f64 v[100:101], v[10:11], v[4:5], v[100:101]
	s_waitcnt lgkmcnt(3)
	v_mul_f64 v[94:95], v[18:19], v[28:29]
	v_mul_f64 v[96:97], v[16:17], v[28:29]
	;; [unrolled: 1-line block ×4, first 2 shown]
	v_fma_f64 v[102:103], v[12:13], v[30:31], -v[102:103]
	v_fma_f64 v[32:33], v[14:15], v[30:31], v[32:33]
	v_fma_f64 v[108:109], v[12:13], v[4:5], -v[108:109]
	v_fma_f64 v[112:113], v[14:15], v[4:5], v[6:7]
	ds_load_b128 v[4:7], v23 offset:2144
	ds_load_b128 v[8:11], v23 offset:112
	;; [unrolled: 1-line block ×4, first 2 shown]
	v_add_f64 v[56:57], v[72:73], v[56:57]
	v_add_f64 v[72:73], v[74:75], v[86:87]
	;; [unrolled: 1-line block ×8, first 2 shown]
	s_waitcnt lgkmcnt(4)
	v_mul_f64 v[70:71], v[52:53], v[44:45]
	v_mul_f64 v[74:75], v[50:51], v[44:45]
	;; [unrolled: 1-line block ×4, first 2 shown]
	s_waitcnt lgkmcnt(3)
	v_mul_f64 v[82:83], v[6:7], v[44:45]
	v_mul_f64 v[44:45], v[4:5], v[44:45]
	v_mul_f64 v[84:85], v[6:7], v[48:49]
	v_mul_f64 v[48:49], v[4:5], v[48:49]
	v_fma_f64 v[86:87], v[16:17], v[38:39], -v[90:91]
	v_fma_f64 v[88:89], v[18:19], v[38:39], v[92:93]
	v_fma_f64 v[90:91], v[16:17], v[26:27], -v[94:95]
	v_fma_f64 v[92:93], v[18:19], v[26:27], v[96:97]
	;; [unrolled: 2-line block ×4, first 2 shown]
	ds_load_b128 v[16:19], v22 offset:3840
	s_waitcnt lgkmcnt(0)
	s_barrier
	buffer_gl0_inv
	v_add_f64 v[36:37], v[56:57], v[54:55]
	v_add_f64 v[40:41], v[72:73], v[76:77]
	v_add_f64 v[54:55], v[58:59], v[98:99]
	v_add_f64 v[56:57], v[60:61], v[100:101]
	v_add_f64 v[58:59], v[62:63], v[102:103]
	v_add_f64 v[32:33], v[64:65], v[32:33]
	v_add_f64 v[60:61], v[66:67], v[108:109]
	v_add_f64 v[62:63], v[68:69], v[112:113]
	v_mul_f64 v[64:65], v[10:11], v[30:31]
	v_mul_f64 v[66:67], v[8:9], v[30:31]
	;; [unrolled: 1-line block ×4, first 2 shown]
	v_fma_f64 v[70:71], v[50:51], v[42:43], -v[70:71]
	v_mul_f64 v[68:69], v[10:11], v[18:19]
	v_mul_f64 v[72:73], v[8:9], v[18:19]
	;; [unrolled: 1-line block ×4, first 2 shown]
	v_fma_f64 v[74:75], v[52:53], v[42:43], v[74:75]
	v_fma_f64 v[50:51], v[50:51], v[46:47], -v[78:79]
	v_fma_f64 v[52:53], v[52:53], v[46:47], v[80:81]
	v_fma_f64 v[78:79], v[4:5], v[42:43], -v[82:83]
	;; [unrolled: 2-line block ×3, first 2 shown]
	v_fma_f64 v[6:7], v[6:7], v[46:47], v[48:49]
	v_add_f64 v[36:37], v[36:37], v[86:87]
	v_add_f64 v[40:41], v[40:41], v[88:89]
	;; [unrolled: 1-line block ×8, first 2 shown]
	v_fma_f64 v[38:39], v[8:9], v[28:29], -v[64:65]
	v_fma_f64 v[54:55], v[10:11], v[28:29], v[66:67]
	v_fma_f64 v[56:57], v[12:13], v[28:29], -v[76:77]
	v_fma_f64 v[28:29], v[14:15], v[28:29], v[30:31]
	;; [unrolled: 2-line block ×4, first 2 shown]
	v_add_f64 v[12:13], v[36:37], v[70:71]
	v_add_f64 v[14:15], v[40:41], v[74:75]
	;; [unrolled: 1-line block ×16, first 2 shown]
	s_cbranch_scc0 .LBB857_2
.LBB857_3:
	s_load_b32 s5, s[0:1], 0x40
	v_add_nc_u32_e32 v21, s12, v21
	v_add_nc_u32_e32 v0, s6, v20
	s_delay_alu instid0(VALU_DEP_1) | instskip(SKIP_1) | instid1(VALU_DEP_2)
	v_cmp_le_i32_e64 s0, v21, v0
	v_cmp_gt_i32_e32 vcc_lo, s4, v0
	s_and_b32 s0, s0, vcc_lo
	s_waitcnt lgkmcnt(0)
	v_mad_i64_i32 v[1:2], null, v21, s5, 0
	s_delay_alu instid0(VALU_DEP_1) | instskip(NEXT) | instid1(VALU_DEP_1)
	v_lshlrev_b64 v[1:2], 4, v[1:2]
	v_add_co_u32 v20, s1, s2, v1
	s_delay_alu instid0(VALU_DEP_1)
	v_add_co_ci_u32_e64 v22, s1, s3, v2, s1
	s_and_saveexec_b32 s1, s0
	s_cbranch_execz .LBB857_5
; %bb.4:
	v_ashrrev_i32_e32 v1, 31, v0
	s_delay_alu instid0(VALU_DEP_1) | instskip(NEXT) | instid1(VALU_DEP_1)
	v_lshlrev_b64 v[1:2], 4, v[0:1]
	v_add_co_u32 v1, s0, v20, v1
	s_delay_alu instid0(VALU_DEP_1)
	v_add_co_ci_u32_e64 v2, s0, v22, v2, s0
	v_cmp_ne_u32_e64 s0, v21, v0
	global_load_b128 v[23:26], v[1:2], off
	s_waitcnt vmcnt(0)
	v_add_f64 v[18:19], v[18:19], -v[25:26]
	v_add_f64 v[16:17], v[16:17], -v[23:24]
	s_delay_alu instid0(VALU_DEP_2) | instskip(NEXT) | instid1(VALU_DEP_3)
	v_cndmask_b32_e64 v19, 0, v19, s0
	v_cndmask_b32_e64 v18, 0, v18, s0
	global_store_b128 v[1:2], v[16:19], off
.LBB857_5:
	s_or_b32 exec_lo, exec_lo, s1
	v_add_nc_u32_e32 v2, 16, v0
	s_delay_alu instid0(VALU_DEP_1) | instskip(SKIP_1) | instid1(VALU_DEP_1)
	v_cmp_le_i32_e64 s1, v21, v2
	v_cmp_gt_i32_e64 s0, s4, v2
	s_and_b32 s1, s1, s0
	s_delay_alu instid0(SALU_CYCLE_1)
	s_and_saveexec_b32 s4, s1
	s_cbranch_execz .LBB857_7
; %bb.6:
	v_ashrrev_i32_e32 v3, 31, v2
	s_delay_alu instid0(VALU_DEP_1) | instskip(NEXT) | instid1(VALU_DEP_1)
	v_lshlrev_b64 v[16:17], 4, v[2:3]
	v_add_co_u32 v23, s1, v20, v16
	s_delay_alu instid0(VALU_DEP_1)
	v_add_co_ci_u32_e64 v24, s1, v22, v17, s1
	v_cmp_ne_u32_e64 s1, v21, v2
	global_load_b128 v[16:19], v[23:24], off
	s_waitcnt vmcnt(0)
	v_add_f64 v[14:15], v[14:15], -v[18:19]
	v_add_f64 v[12:13], v[12:13], -v[16:17]
	s_delay_alu instid0(VALU_DEP_2) | instskip(NEXT) | instid1(VALU_DEP_3)
	v_cndmask_b32_e64 v15, 0, v15, s1
	v_cndmask_b32_e64 v14, 0, v14, s1
	global_store_b128 v[23:24], v[12:15], off
.LBB857_7:
	s_or_b32 exec_lo, exec_lo, s4
	v_add_nc_u32_e32 v3, 16, v21
	s_delay_alu instid0(VALU_DEP_1) | instskip(SKIP_1) | instid1(VALU_DEP_2)
	v_mad_i64_i32 v[12:13], null, v3, s5, 0
	v_cmp_le_i32_e64 s1, v3, v0
	v_lshlrev_b64 v[12:13], 4, v[12:13]
	s_delay_alu instid0(VALU_DEP_1) | instskip(NEXT) | instid1(VALU_DEP_1)
	v_add_co_u32 v12, s2, s2, v12
	v_add_co_ci_u32_e64 v13, s2, s3, v13, s2
	s_delay_alu instid0(VALU_DEP_4) | instskip(NEXT) | instid1(SALU_CYCLE_1)
	s_and_b32 s2, s1, vcc_lo
	s_and_saveexec_b32 s1, s2
	s_cbranch_execz .LBB857_9
; %bb.8:
	v_ashrrev_i32_e32 v1, 31, v0
	s_delay_alu instid0(VALU_DEP_1) | instskip(NEXT) | instid1(VALU_DEP_1)
	v_lshlrev_b64 v[14:15], 4, v[0:1]
	v_add_co_u32 v18, vcc_lo, v12, v14
	s_delay_alu instid0(VALU_DEP_2)
	v_add_co_ci_u32_e32 v19, vcc_lo, v13, v15, vcc_lo
	v_cmp_ne_u32_e32 vcc_lo, v3, v0
	global_load_b128 v[14:17], v[18:19], off
	s_waitcnt vmcnt(0)
	v_add_f64 v[10:11], v[10:11], -v[16:17]
	v_add_f64 v[8:9], v[8:9], -v[14:15]
	s_delay_alu instid0(VALU_DEP_2)
	v_dual_cndmask_b32 v11, 0, v11 :: v_dual_cndmask_b32 v10, 0, v10
	global_store_b128 v[18:19], v[8:11], off
.LBB857_9:
	s_or_b32 exec_lo, exec_lo, s1
	v_cmp_le_i32_e32 vcc_lo, v3, v2
	s_and_b32 s0, vcc_lo, s0
	s_delay_alu instid0(SALU_CYCLE_1)
	s_and_saveexec_b32 s1, s0
	s_cbranch_execz .LBB857_11
; %bb.10:
	v_ashrrev_i32_e32 v3, 31, v2
	s_delay_alu instid0(VALU_DEP_1) | instskip(NEXT) | instid1(VALU_DEP_1)
	v_lshlrev_b64 v[1:2], 4, v[2:3]
	v_add_co_u32 v12, vcc_lo, v12, v1
	s_delay_alu instid0(VALU_DEP_2)
	v_add_co_ci_u32_e32 v13, vcc_lo, v13, v2, vcc_lo
	v_cmp_ne_u32_e32 vcc_lo, v21, v0
	global_load_b128 v[8:11], v[12:13], off
	s_waitcnt vmcnt(0)
	v_add_f64 v[3:4], v[4:5], -v[10:11]
	v_add_f64 v[1:2], v[6:7], -v[8:9]
	s_delay_alu instid0(VALU_DEP_2)
	v_dual_cndmask_b32 v4, 0, v4 :: v_dual_cndmask_b32 v3, 0, v3
	global_store_b128 v[12:13], v[1:4], off
.LBB857_11:
	s_nop 0
	s_sendmsg sendmsg(MSG_DEALLOC_VGPRS)
	s_endpgm
	.section	.rodata,"a",@progbits
	.p2align	6, 0x0
	.amdhsa_kernel _ZL37rocblas_syrkx_herkx_restricted_kernelIi19rocblas_complex_numIdELi16ELi32ELi8ELi1ELin1ELb1ELc78ELc76EKPKS1_KPS1_EviT_PT9_S7_lS9_S7_lPT10_S7_li
		.amdhsa_group_segment_fixed_size 8192
		.amdhsa_private_segment_fixed_size 0
		.amdhsa_kernarg_size 84
		.amdhsa_user_sgpr_count 13
		.amdhsa_user_sgpr_dispatch_ptr 0
		.amdhsa_user_sgpr_queue_ptr 0
		.amdhsa_user_sgpr_kernarg_segment_ptr 1
		.amdhsa_user_sgpr_dispatch_id 0
		.amdhsa_user_sgpr_private_segment_size 0
		.amdhsa_wavefront_size32 1
		.amdhsa_uses_dynamic_stack 0
		.amdhsa_enable_private_segment 0
		.amdhsa_system_sgpr_workgroup_id_x 1
		.amdhsa_system_sgpr_workgroup_id_y 1
		.amdhsa_system_sgpr_workgroup_id_z 1
		.amdhsa_system_sgpr_workgroup_info 0
		.amdhsa_system_vgpr_workitem_id 1
		.amdhsa_next_free_vgpr 118
		.amdhsa_next_free_sgpr 20
		.amdhsa_reserve_vcc 1
		.amdhsa_float_round_mode_32 0
		.amdhsa_float_round_mode_16_64 0
		.amdhsa_float_denorm_mode_32 3
		.amdhsa_float_denorm_mode_16_64 3
		.amdhsa_dx10_clamp 1
		.amdhsa_ieee_mode 1
		.amdhsa_fp16_overflow 0
		.amdhsa_workgroup_processor_mode 1
		.amdhsa_memory_ordered 1
		.amdhsa_forward_progress 0
		.amdhsa_shared_vgpr_count 0
		.amdhsa_exception_fp_ieee_invalid_op 0
		.amdhsa_exception_fp_denorm_src 0
		.amdhsa_exception_fp_ieee_div_zero 0
		.amdhsa_exception_fp_ieee_overflow 0
		.amdhsa_exception_fp_ieee_underflow 0
		.amdhsa_exception_fp_ieee_inexact 0
		.amdhsa_exception_int_div_zero 0
	.end_amdhsa_kernel
	.section	.text._ZL37rocblas_syrkx_herkx_restricted_kernelIi19rocblas_complex_numIdELi16ELi32ELi8ELi1ELin1ELb1ELc78ELc76EKPKS1_KPS1_EviT_PT9_S7_lS9_S7_lPT10_S7_li,"axG",@progbits,_ZL37rocblas_syrkx_herkx_restricted_kernelIi19rocblas_complex_numIdELi16ELi32ELi8ELi1ELin1ELb1ELc78ELc76EKPKS1_KPS1_EviT_PT9_S7_lS9_S7_lPT10_S7_li,comdat
.Lfunc_end857:
	.size	_ZL37rocblas_syrkx_herkx_restricted_kernelIi19rocblas_complex_numIdELi16ELi32ELi8ELi1ELin1ELb1ELc78ELc76EKPKS1_KPS1_EviT_PT9_S7_lS9_S7_lPT10_S7_li, .Lfunc_end857-_ZL37rocblas_syrkx_herkx_restricted_kernelIi19rocblas_complex_numIdELi16ELi32ELi8ELi1ELin1ELb1ELc78ELc76EKPKS1_KPS1_EviT_PT9_S7_lS9_S7_lPT10_S7_li
                                        ; -- End function
	.section	.AMDGPU.csdata,"",@progbits
; Kernel info:
; codeLenInByte = 3076
; NumSgprs: 22
; NumVgprs: 118
; ScratchSize: 0
; MemoryBound: 0
; FloatMode: 240
; IeeeMode: 1
; LDSByteSize: 8192 bytes/workgroup (compile time only)
; SGPRBlocks: 2
; VGPRBlocks: 14
; NumSGPRsForWavesPerEU: 22
; NumVGPRsForWavesPerEU: 118
; Occupancy: 12
; WaveLimiterHint : 1
; COMPUTE_PGM_RSRC2:SCRATCH_EN: 0
; COMPUTE_PGM_RSRC2:USER_SGPR: 13
; COMPUTE_PGM_RSRC2:TRAP_HANDLER: 0
; COMPUTE_PGM_RSRC2:TGID_X_EN: 1
; COMPUTE_PGM_RSRC2:TGID_Y_EN: 1
; COMPUTE_PGM_RSRC2:TGID_Z_EN: 1
; COMPUTE_PGM_RSRC2:TIDIG_COMP_CNT: 1
	.section	.text._ZL37rocblas_syrkx_herkx_restricted_kernelIi19rocblas_complex_numIdELi16ELi32ELi8ELi1ELin1ELb1ELc84ELc85EKPKS1_KPS1_EviT_PT9_S7_lS9_S7_lPT10_S7_li,"axG",@progbits,_ZL37rocblas_syrkx_herkx_restricted_kernelIi19rocblas_complex_numIdELi16ELi32ELi8ELi1ELin1ELb1ELc84ELc85EKPKS1_KPS1_EviT_PT9_S7_lS9_S7_lPT10_S7_li,comdat
	.globl	_ZL37rocblas_syrkx_herkx_restricted_kernelIi19rocblas_complex_numIdELi16ELi32ELi8ELi1ELin1ELb1ELc84ELc85EKPKS1_KPS1_EviT_PT9_S7_lS9_S7_lPT10_S7_li ; -- Begin function _ZL37rocblas_syrkx_herkx_restricted_kernelIi19rocblas_complex_numIdELi16ELi32ELi8ELi1ELin1ELb1ELc84ELc85EKPKS1_KPS1_EviT_PT9_S7_lS9_S7_lPT10_S7_li
	.p2align	8
	.type	_ZL37rocblas_syrkx_herkx_restricted_kernelIi19rocblas_complex_numIdELi16ELi32ELi8ELi1ELin1ELb1ELc84ELc85EKPKS1_KPS1_EviT_PT9_S7_lS9_S7_lPT10_S7_li,@function
_ZL37rocblas_syrkx_herkx_restricted_kernelIi19rocblas_complex_numIdELi16ELi32ELi8ELi1ELin1ELb1ELc84ELc85EKPKS1_KPS1_EviT_PT9_S7_lS9_S7_lPT10_S7_li: ; @_ZL37rocblas_syrkx_herkx_restricted_kernelIi19rocblas_complex_numIdELi16ELi32ELi8ELi1ELin1ELb1ELc84ELc85EKPKS1_KPS1_EviT_PT9_S7_lS9_S7_lPT10_S7_li
; %bb.0:
	s_clause 0x1
	s_load_b64 s[4:5], s[0:1], 0x38
	s_load_b64 s[2:3], s[0:1], 0x0
	s_mov_b32 s6, s15
	s_mov_b32 s7, 0
	v_mov_b32_e32 v16, 0
	s_lshl_b64 s[8:9], s[6:7], 3
	v_dual_mov_b32 v17, 0 :: v_dual_and_b32 v20, 0x3ff, v0
	v_bfe_u32 v21, v0, 10, 10
	s_delay_alu instid0(VALU_DEP_3) | instskip(NEXT) | instid1(VALU_DEP_3)
	v_mov_b32_e32 v12, v16
	v_dual_mov_b32 v14, v16 :: v_dual_mov_b32 v15, v17
	v_dual_mov_b32 v19, v17 :: v_dual_mov_b32 v18, v16
	;; [unrolled: 1-line block ×5, first 2 shown]
	v_mov_b32_e32 v7, v17
	s_waitcnt lgkmcnt(0)
	s_add_u32 s4, s4, s8
	s_addc_u32 s5, s5, s9
	v_dual_mov_b32 v4, v16 :: v_dual_mov_b32 v5, v17
	s_load_b64 s[4:5], s[4:5], 0x0
	s_lshl_b32 s6, s13, 5
	s_lshl_b32 s10, s14, 5
	s_cmp_lt_i32 s3, 1
	s_cbranch_scc1 .LBB858_3
; %bb.1:
	s_clause 0x3
	s_load_b64 s[12:13], s[0:1], 0x8
	s_load_b64 s[14:15], s[0:1], 0x20
	s_load_b32 s11, s[0:1], 0x10
	s_load_b32 s16, s[0:1], 0x28
	v_lshl_add_u32 v2, v21, 4, v20
	v_dual_mov_b32 v1, 0 :: v_dual_and_b32 v0, 7, v20
	v_mov_b32_e32 v4, 0
	v_dual_mov_b32 v5, 0 :: v_dual_lshlrev_b32 v22, 4, v20
	s_delay_alu instid0(VALU_DEP_4)
	v_and_b32_e32 v7, 31, v2
	v_lshrrev_b32_e32 v6, 3, v2
	v_lshrrev_b32_e32 v2, 5, v2
	v_mov_b32_e32 v3, v1
	v_lshl_add_u32 v23, v21, 7, 0x1000
	v_add_nc_u32_e32 v10, s6, v7
	v_dual_mov_b32 v15, v5 :: v_dual_add_nc_u32 v12, s10, v6
	v_dual_mov_b32 v14, v4 :: v_dual_mov_b32 v19, v5
	v_mov_b32_e32 v18, v4
	s_waitcnt lgkmcnt(0)
	s_add_u32 s12, s12, s8
	s_addc_u32 s13, s13, s9
	s_add_u32 s8, s14, s8
	s_load_b64 s[12:13], s[12:13], 0x0
	s_addc_u32 s9, s15, s9
	v_mad_i64_i32 v[8:9], null, s11, v10, v[2:3]
	s_load_b64 s[8:9], s[8:9], 0x0
	v_lshlrev_b32_e32 v3, 4, v0
	v_mad_i64_i32 v[10:11], null, s16, v12, v[0:1]
	v_dual_mov_b32 v17, v5 :: v_dual_lshlrev_b32 v12, 4, v7
	v_mov_b32_e32 v16, v4
	s_delay_alu instid0(VALU_DEP_4) | instskip(SKIP_3) | instid1(VALU_DEP_4)
	v_lshl_or_b32 v3, v6, 7, v3
	v_lshlrev_b64 v[0:1], 4, v[8:9]
	v_dual_mov_b32 v9, v5 :: v_dual_mov_b32 v8, v4
	v_lshl_or_b32 v24, v2, 9, v12
	v_add_nc_u32_e32 v25, 0x1000, v3
	v_lshlrev_b64 v[2:3], 4, v[10:11]
	v_dual_mov_b32 v7, v5 :: v_dual_mov_b32 v6, v4
	s_waitcnt lgkmcnt(0)
	v_add_co_u32 v0, vcc_lo, v0, s12
	v_add_co_ci_u32_e32 v1, vcc_lo, s13, v1, vcc_lo
	s_delay_alu instid0(VALU_DEP_4) | instskip(SKIP_1) | instid1(VALU_DEP_4)
	v_add_co_u32 v2, vcc_lo, v2, s8
	v_add_co_ci_u32_e32 v3, vcc_lo, s9, v3, vcc_lo
	v_add_co_u32 v0, vcc_lo, v0, 8
	s_delay_alu instid0(VALU_DEP_4) | instskip(NEXT) | instid1(VALU_DEP_4)
	v_add_co_ci_u32_e32 v1, vcc_lo, 0, v1, vcc_lo
	v_add_co_u32 v2, vcc_lo, v2, 8
	s_delay_alu instid0(VALU_DEP_4)
	v_add_co_ci_u32_e32 v3, vcc_lo, 0, v3, vcc_lo
	v_dual_mov_b32 v11, v5 :: v_dual_mov_b32 v10, v4
	v_dual_mov_b32 v13, v5 :: v_dual_mov_b32 v12, v4
.LBB858_2:                              ; =>This Inner Loop Header: Depth=1
	global_load_b128 v[26:29], v[0:1], off offset:-8
	global_load_b128 v[30:33], v[2:3], off offset:-8
	v_add_co_u32 v0, vcc_lo, 0x80, v0
	v_add_co_ci_u32_e32 v1, vcc_lo, 0, v1, vcc_lo
	v_add_co_u32 v2, vcc_lo, 0x80, v2
	v_add_co_ci_u32_e32 v3, vcc_lo, 0, v3, vcc_lo
	s_add_i32 s7, s7, 8
	s_waitcnt vmcnt(1)
	ds_store_b128 v24, v[26:29]
	s_waitcnt vmcnt(0)
	ds_store_b128 v25, v[30:33]
	s_waitcnt lgkmcnt(0)
	s_barrier
	buffer_gl0_inv
	ds_load_b128 v[26:29], v23
	ds_load_b128 v[30:33], v22
	ds_load_b128 v[34:37], v22 offset:256
	ds_load_b128 v[38:41], v23 offset:2048
	;; [unrolled: 1-line block ×13, first 2 shown]
	s_cmp_ge_i32 s7, s3
	s_waitcnt lgkmcnt(13)
	v_mul_f64 v[86:87], v[28:29], v[32:33]
	v_mul_f64 v[88:89], v[26:27], v[32:33]
	s_waitcnt lgkmcnt(12)
	v_mul_f64 v[90:91], v[28:29], v[36:37]
	v_mul_f64 v[92:93], v[26:27], v[36:37]
	;; [unrolled: 3-line block ×3, first 2 shown]
	v_mul_f64 v[96:97], v[40:41], v[36:37]
	v_mul_f64 v[36:37], v[38:39], v[36:37]
	s_waitcnt lgkmcnt(8)
	v_mul_f64 v[98:99], v[44:45], v[52:53]
	v_mul_f64 v[100:101], v[42:43], v[52:53]
	s_waitcnt lgkmcnt(7)
	v_mul_f64 v[102:103], v[44:45], v[56:57]
	v_mul_f64 v[104:105], v[42:43], v[56:57]
	;; [unrolled: 1-line block ×6, first 2 shown]
	s_waitcnt lgkmcnt(3)
	v_mul_f64 v[112:113], v[58:59], v[72:73]
	s_waitcnt lgkmcnt(2)
	v_mul_f64 v[114:115], v[76:77], v[68:69]
	v_mul_f64 v[116:117], v[76:77], v[72:73]
	v_fma_f64 v[86:87], v[26:27], v[30:31], -v[86:87]
	v_fma_f64 v[88:89], v[28:29], v[30:31], v[88:89]
	v_fma_f64 v[90:91], v[26:27], v[34:35], -v[90:91]
	v_fma_f64 v[92:93], v[28:29], v[34:35], v[92:93]
	;; [unrolled: 2-line block ×4, first 2 shown]
	v_mul_f64 v[36:37], v[60:61], v[68:69]
	v_mul_f64 v[40:41], v[58:59], v[68:69]
	;; [unrolled: 1-line block ×5, first 2 shown]
	v_fma_f64 v[98:99], v[42:43], v[50:51], -v[98:99]
	v_fma_f64 v[100:101], v[44:45], v[50:51], v[100:101]
	v_fma_f64 v[42:43], v[42:43], v[54:55], -v[102:103]
	v_fma_f64 v[44:45], v[44:45], v[54:55], v[104:105]
	;; [unrolled: 2-line block ×4, first 2 shown]
	ds_load_b128 v[26:29], v22 offset:1792
	ds_load_b128 v[30:33], v22 offset:2048
	s_waitcnt lgkmcnt(2)
	v_mul_f64 v[56:57], v[64:65], v[84:85]
	v_add_f64 v[16:17], v[16:17], v[86:87]
	v_add_f64 v[18:19], v[18:19], v[88:89]
	;; [unrolled: 1-line block ×8, first 2 shown]
	v_mul_f64 v[86:87], v[62:63], v[84:85]
	s_waitcnt lgkmcnt(1)
	v_mul_f64 v[88:89], v[64:65], v[28:29]
	v_mul_f64 v[90:91], v[62:63], v[28:29]
	;; [unrolled: 1-line block ×6, first 2 shown]
	v_fma_f64 v[104:105], v[58:59], v[66:67], -v[36:37]
	v_fma_f64 v[106:107], v[60:61], v[66:67], v[40:41]
	v_fma_f64 v[58:59], v[58:59], v[70:71], -v[96:97]
	v_fma_f64 v[60:61], v[60:61], v[70:71], v[112:113]
	;; [unrolled: 2-line block ×4, first 2 shown]
	ds_load_b128 v[4:7], v22 offset:2304
	ds_load_b128 v[8:11], v23 offset:64
	v_fma_f64 v[56:57], v[62:63], v[82:83], -v[56:57]
	v_add_f64 v[72:73], v[16:17], v[98:99]
	v_add_f64 v[74:75], v[18:19], v[100:101]
	v_add_f64 v[42:43], v[12:13], v[42:43]
	v_add_f64 v[44:45], v[14:15], v[44:45]
	v_add_f64 v[52:53], v[52:53], v[102:103]
	v_add_f64 v[50:51], v[54:55], v[50:51]
	v_add_f64 v[46:47], v[38:39], v[46:47]
	v_add_f64 v[48:49], v[34:35], v[48:49]
	ds_load_b128 v[12:15], v23 offset:2112
	ds_load_b128 v[16:19], v23 offset:80
	;; [unrolled: 1-line block ×4, first 2 shown]
	s_waitcnt lgkmcnt(4)
	v_mul_f64 v[54:55], v[10:11], v[32:33]
	v_mul_f64 v[76:77], v[8:9], v[32:33]
	;; [unrolled: 1-line block ×4, first 2 shown]
	v_fma_f64 v[86:87], v[64:65], v[82:83], v[86:87]
	v_fma_f64 v[62:63], v[62:63], v[26:27], -v[88:89]
	v_fma_f64 v[64:65], v[64:65], v[26:27], v[90:91]
	v_fma_f64 v[88:89], v[78:79], v[82:83], -v[92:93]
	;; [unrolled: 2-line block ×3, first 2 shown]
	v_fma_f64 v[80:81], v[80:81], v[26:27], v[28:29]
	s_waitcnt lgkmcnt(3)
	v_mul_f64 v[102:103], v[14:15], v[32:33]
	v_mul_f64 v[32:33], v[12:13], v[32:33]
	;; [unrolled: 1-line block ×4, first 2 shown]
	s_waitcnt lgkmcnt(0)
	v_mul_f64 v[90:91], v[18:19], v[40:41]
	v_mul_f64 v[92:93], v[16:17], v[40:41]
	v_add_f64 v[72:73], v[72:73], v[104:105]
	v_add_f64 v[74:75], v[74:75], v[106:107]
	;; [unrolled: 1-line block ×8, first 2 shown]
	ds_load_b128 v[26:29], v22 offset:2816
	ds_load_b128 v[42:45], v22 offset:3072
	;; [unrolled: 1-line block ×4, first 2 shown]
	v_mul_f64 v[104:105], v[36:37], v[40:41]
	v_mul_f64 v[40:41], v[34:35], v[40:41]
	v_fma_f64 v[54:55], v[8:9], v[30:31], -v[54:55]
	v_fma_f64 v[76:77], v[10:11], v[30:31], v[76:77]
	v_fma_f64 v[98:99], v[8:9], v[4:5], -v[98:99]
	v_fma_f64 v[100:101], v[10:11], v[4:5], v[100:101]
	s_waitcnt lgkmcnt(3)
	v_mul_f64 v[94:95], v[18:19], v[28:29]
	v_mul_f64 v[96:97], v[16:17], v[28:29]
	;; [unrolled: 1-line block ×4, first 2 shown]
	v_fma_f64 v[102:103], v[12:13], v[30:31], -v[102:103]
	v_fma_f64 v[32:33], v[14:15], v[30:31], v[32:33]
	v_fma_f64 v[108:109], v[12:13], v[4:5], -v[108:109]
	v_fma_f64 v[112:113], v[14:15], v[4:5], v[6:7]
	ds_load_b128 v[4:7], v23 offset:2144
	ds_load_b128 v[8:11], v23 offset:112
	;; [unrolled: 1-line block ×4, first 2 shown]
	v_add_f64 v[56:57], v[72:73], v[56:57]
	v_add_f64 v[72:73], v[74:75], v[86:87]
	v_add_f64 v[58:59], v[58:59], v[62:63]
	v_add_f64 v[60:61], v[60:61], v[64:65]
	v_add_f64 v[62:63], v[84:85], v[88:89]
	v_add_f64 v[64:65], v[66:67], v[82:83]
	v_add_f64 v[66:67], v[68:69], v[78:79]
	v_add_f64 v[68:69], v[70:71], v[80:81]
	s_waitcnt lgkmcnt(4)
	v_mul_f64 v[70:71], v[52:53], v[44:45]
	v_mul_f64 v[74:75], v[50:51], v[44:45]
	;; [unrolled: 1-line block ×4, first 2 shown]
	s_waitcnt lgkmcnt(3)
	v_mul_f64 v[82:83], v[6:7], v[44:45]
	v_mul_f64 v[44:45], v[4:5], v[44:45]
	v_mul_f64 v[84:85], v[6:7], v[48:49]
	v_mul_f64 v[48:49], v[4:5], v[48:49]
	v_fma_f64 v[86:87], v[16:17], v[38:39], -v[90:91]
	v_fma_f64 v[88:89], v[18:19], v[38:39], v[92:93]
	v_fma_f64 v[90:91], v[16:17], v[26:27], -v[94:95]
	v_fma_f64 v[92:93], v[18:19], v[26:27], v[96:97]
	;; [unrolled: 2-line block ×4, first 2 shown]
	ds_load_b128 v[16:19], v22 offset:3840
	s_waitcnt lgkmcnt(0)
	s_barrier
	buffer_gl0_inv
	v_add_f64 v[36:37], v[56:57], v[54:55]
	v_add_f64 v[40:41], v[72:73], v[76:77]
	;; [unrolled: 1-line block ×8, first 2 shown]
	v_mul_f64 v[64:65], v[10:11], v[30:31]
	v_mul_f64 v[66:67], v[8:9], v[30:31]
	v_mul_f64 v[76:77], v[14:15], v[30:31]
	v_mul_f64 v[30:31], v[12:13], v[30:31]
	v_fma_f64 v[70:71], v[50:51], v[42:43], -v[70:71]
	v_mul_f64 v[68:69], v[10:11], v[18:19]
	v_mul_f64 v[72:73], v[8:9], v[18:19]
	;; [unrolled: 1-line block ×4, first 2 shown]
	v_fma_f64 v[74:75], v[52:53], v[42:43], v[74:75]
	v_fma_f64 v[50:51], v[50:51], v[46:47], -v[78:79]
	v_fma_f64 v[52:53], v[52:53], v[46:47], v[80:81]
	v_fma_f64 v[78:79], v[4:5], v[42:43], -v[82:83]
	v_fma_f64 v[42:43], v[6:7], v[42:43], v[44:45]
	v_fma_f64 v[4:5], v[4:5], v[46:47], -v[84:85]
	v_fma_f64 v[6:7], v[6:7], v[46:47], v[48:49]
	v_add_f64 v[36:37], v[36:37], v[86:87]
	v_add_f64 v[40:41], v[40:41], v[88:89]
	;; [unrolled: 1-line block ×8, first 2 shown]
	v_fma_f64 v[38:39], v[8:9], v[28:29], -v[64:65]
	v_fma_f64 v[54:55], v[10:11], v[28:29], v[66:67]
	v_fma_f64 v[56:57], v[12:13], v[28:29], -v[76:77]
	v_fma_f64 v[28:29], v[14:15], v[28:29], v[30:31]
	;; [unrolled: 2-line block ×4, first 2 shown]
	v_add_f64 v[12:13], v[36:37], v[70:71]
	v_add_f64 v[14:15], v[40:41], v[74:75]
	;; [unrolled: 1-line block ×16, first 2 shown]
	s_cbranch_scc0 .LBB858_2
.LBB858_3:
	s_load_b32 s3, s[0:1], 0x40
	v_add_nc_u32_e32 v21, s10, v21
	v_add_nc_u32_e32 v0, s6, v20
	s_delay_alu instid0(VALU_DEP_2) | instskip(NEXT) | instid1(VALU_DEP_2)
	v_cmp_gt_i32_e32 vcc_lo, s2, v21
	v_cmp_le_i32_e64 s0, v0, v21
	s_delay_alu instid0(VALU_DEP_1) | instskip(SKIP_2) | instid1(VALU_DEP_1)
	s_and_b32 s0, vcc_lo, s0
	s_waitcnt lgkmcnt(0)
	v_mad_i64_i32 v[1:2], null, v21, s3, 0
	v_lshlrev_b64 v[1:2], 4, v[1:2]
	s_delay_alu instid0(VALU_DEP_1) | instskip(NEXT) | instid1(VALU_DEP_1)
	v_add_co_u32 v20, s1, s4, v1
	v_add_co_ci_u32_e64 v22, s1, s5, v2, s1
	s_and_saveexec_b32 s1, s0
	s_cbranch_execz .LBB858_5
; %bb.4:
	v_ashrrev_i32_e32 v1, 31, v0
	s_delay_alu instid0(VALU_DEP_1) | instskip(NEXT) | instid1(VALU_DEP_1)
	v_lshlrev_b64 v[1:2], 4, v[0:1]
	v_add_co_u32 v1, s0, v20, v1
	s_delay_alu instid0(VALU_DEP_1)
	v_add_co_ci_u32_e64 v2, s0, v22, v2, s0
	v_cmp_ne_u32_e64 s0, v21, v0
	global_load_b128 v[23:26], v[1:2], off
	s_waitcnt vmcnt(0)
	v_add_f64 v[18:19], v[18:19], -v[25:26]
	v_add_f64 v[16:17], v[16:17], -v[23:24]
	s_delay_alu instid0(VALU_DEP_2) | instskip(NEXT) | instid1(VALU_DEP_3)
	v_cndmask_b32_e64 v19, 0, v19, s0
	v_cndmask_b32_e64 v18, 0, v18, s0
	global_store_b128 v[1:2], v[16:19], off
.LBB858_5:
	s_or_b32 exec_lo, exec_lo, s1
	v_add_nc_u32_e32 v2, 16, v0
	s_delay_alu instid0(VALU_DEP_1) | instskip(NEXT) | instid1(VALU_DEP_1)
	v_cmp_le_i32_e64 s0, v2, v21
	s_and_b32 s1, vcc_lo, s0
	s_delay_alu instid0(SALU_CYCLE_1)
	s_and_saveexec_b32 s0, s1
	s_cbranch_execz .LBB858_7
; %bb.6:
	v_ashrrev_i32_e32 v3, 31, v2
	s_delay_alu instid0(VALU_DEP_1) | instskip(NEXT) | instid1(VALU_DEP_1)
	v_lshlrev_b64 v[16:17], 4, v[2:3]
	v_add_co_u32 v23, vcc_lo, v20, v16
	s_delay_alu instid0(VALU_DEP_2)
	v_add_co_ci_u32_e32 v24, vcc_lo, v22, v17, vcc_lo
	v_cmp_ne_u32_e32 vcc_lo, v21, v2
	global_load_b128 v[16:19], v[23:24], off
	s_waitcnt vmcnt(0)
	v_add_f64 v[14:15], v[14:15], -v[18:19]
	v_add_f64 v[12:13], v[12:13], -v[16:17]
	s_delay_alu instid0(VALU_DEP_2)
	v_dual_cndmask_b32 v15, 0, v15 :: v_dual_cndmask_b32 v14, 0, v14
	global_store_b128 v[23:24], v[12:15], off
.LBB858_7:
	s_or_b32 exec_lo, exec_lo, s0
	v_add_nc_u32_e32 v3, 16, v21
	s_delay_alu instid0(VALU_DEP_1) | instskip(SKIP_2) | instid1(VALU_DEP_1)
	v_mad_i64_i32 v[12:13], null, v3, s3, 0
	v_cmp_gt_i32_e32 vcc_lo, s2, v3
	v_cmp_le_i32_e64 s0, v0, v3
	s_and_b32 s0, vcc_lo, s0
	s_delay_alu instid0(VALU_DEP_3) | instskip(NEXT) | instid1(VALU_DEP_1)
	v_lshlrev_b64 v[12:13], 4, v[12:13]
	v_add_co_u32 v12, s1, s4, v12
	s_delay_alu instid0(VALU_DEP_1)
	v_add_co_ci_u32_e64 v13, s1, s5, v13, s1
	s_and_saveexec_b32 s1, s0
	s_cbranch_execz .LBB858_9
; %bb.8:
	v_ashrrev_i32_e32 v1, 31, v0
	s_delay_alu instid0(VALU_DEP_1) | instskip(NEXT) | instid1(VALU_DEP_1)
	v_lshlrev_b64 v[14:15], 4, v[0:1]
	v_add_co_u32 v18, s0, v12, v14
	s_delay_alu instid0(VALU_DEP_1)
	v_add_co_ci_u32_e64 v19, s0, v13, v15, s0
	v_cmp_ne_u32_e64 s0, v3, v0
	global_load_b128 v[14:17], v[18:19], off
	s_waitcnt vmcnt(0)
	v_add_f64 v[16:17], v[8:9], -v[16:17]
	v_add_f64 v[8:9], v[10:11], -v[14:15]
	s_delay_alu instid0(VALU_DEP_2) | instskip(NEXT) | instid1(VALU_DEP_3)
	v_cndmask_b32_e64 v11, 0, v17, s0
	v_cndmask_b32_e64 v10, 0, v16, s0
	global_store_b128 v[18:19], v[8:11], off
.LBB858_9:
	s_or_b32 exec_lo, exec_lo, s1
	v_cmp_le_i32_e64 s0, v2, v3
	s_delay_alu instid0(VALU_DEP_1) | instskip(NEXT) | instid1(SALU_CYCLE_1)
	s_and_b32 s0, vcc_lo, s0
	s_and_saveexec_b32 s1, s0
	s_cbranch_execz .LBB858_11
; %bb.10:
	v_ashrrev_i32_e32 v3, 31, v2
	s_delay_alu instid0(VALU_DEP_1) | instskip(NEXT) | instid1(VALU_DEP_1)
	v_lshlrev_b64 v[1:2], 4, v[2:3]
	v_add_co_u32 v12, vcc_lo, v12, v1
	s_delay_alu instid0(VALU_DEP_2)
	v_add_co_ci_u32_e32 v13, vcc_lo, v13, v2, vcc_lo
	v_cmp_ne_u32_e32 vcc_lo, v21, v0
	global_load_b128 v[8:11], v[12:13], off
	s_waitcnt vmcnt(0)
	v_add_f64 v[3:4], v[4:5], -v[10:11]
	v_add_f64 v[1:2], v[6:7], -v[8:9]
	s_delay_alu instid0(VALU_DEP_2)
	v_dual_cndmask_b32 v4, 0, v4 :: v_dual_cndmask_b32 v3, 0, v3
	global_store_b128 v[12:13], v[1:4], off
.LBB858_11:
	s_nop 0
	s_sendmsg sendmsg(MSG_DEALLOC_VGPRS)
	s_endpgm
	.section	.rodata,"a",@progbits
	.p2align	6, 0x0
	.amdhsa_kernel _ZL37rocblas_syrkx_herkx_restricted_kernelIi19rocblas_complex_numIdELi16ELi32ELi8ELi1ELin1ELb1ELc84ELc85EKPKS1_KPS1_EviT_PT9_S7_lS9_S7_lPT10_S7_li
		.amdhsa_group_segment_fixed_size 8192
		.amdhsa_private_segment_fixed_size 0
		.amdhsa_kernarg_size 84
		.amdhsa_user_sgpr_count 13
		.amdhsa_user_sgpr_dispatch_ptr 0
		.amdhsa_user_sgpr_queue_ptr 0
		.amdhsa_user_sgpr_kernarg_segment_ptr 1
		.amdhsa_user_sgpr_dispatch_id 0
		.amdhsa_user_sgpr_private_segment_size 0
		.amdhsa_wavefront_size32 1
		.amdhsa_uses_dynamic_stack 0
		.amdhsa_enable_private_segment 0
		.amdhsa_system_sgpr_workgroup_id_x 1
		.amdhsa_system_sgpr_workgroup_id_y 1
		.amdhsa_system_sgpr_workgroup_id_z 1
		.amdhsa_system_sgpr_workgroup_info 0
		.amdhsa_system_vgpr_workitem_id 1
		.amdhsa_next_free_vgpr 118
		.amdhsa_next_free_sgpr 17
		.amdhsa_reserve_vcc 1
		.amdhsa_float_round_mode_32 0
		.amdhsa_float_round_mode_16_64 0
		.amdhsa_float_denorm_mode_32 3
		.amdhsa_float_denorm_mode_16_64 3
		.amdhsa_dx10_clamp 1
		.amdhsa_ieee_mode 1
		.amdhsa_fp16_overflow 0
		.amdhsa_workgroup_processor_mode 1
		.amdhsa_memory_ordered 1
		.amdhsa_forward_progress 0
		.amdhsa_shared_vgpr_count 0
		.amdhsa_exception_fp_ieee_invalid_op 0
		.amdhsa_exception_fp_denorm_src 0
		.amdhsa_exception_fp_ieee_div_zero 0
		.amdhsa_exception_fp_ieee_overflow 0
		.amdhsa_exception_fp_ieee_underflow 0
		.amdhsa_exception_fp_ieee_inexact 0
		.amdhsa_exception_int_div_zero 0
	.end_amdhsa_kernel
	.section	.text._ZL37rocblas_syrkx_herkx_restricted_kernelIi19rocblas_complex_numIdELi16ELi32ELi8ELi1ELin1ELb1ELc84ELc85EKPKS1_KPS1_EviT_PT9_S7_lS9_S7_lPT10_S7_li,"axG",@progbits,_ZL37rocblas_syrkx_herkx_restricted_kernelIi19rocblas_complex_numIdELi16ELi32ELi8ELi1ELin1ELb1ELc84ELc85EKPKS1_KPS1_EviT_PT9_S7_lS9_S7_lPT10_S7_li,comdat
.Lfunc_end858:
	.size	_ZL37rocblas_syrkx_herkx_restricted_kernelIi19rocblas_complex_numIdELi16ELi32ELi8ELi1ELin1ELb1ELc84ELc85EKPKS1_KPS1_EviT_PT9_S7_lS9_S7_lPT10_S7_li, .Lfunc_end858-_ZL37rocblas_syrkx_herkx_restricted_kernelIi19rocblas_complex_numIdELi16ELi32ELi8ELi1ELin1ELb1ELc84ELc85EKPKS1_KPS1_EviT_PT9_S7_lS9_S7_lPT10_S7_li
                                        ; -- End function
	.section	.AMDGPU.csdata,"",@progbits
; Kernel info:
; codeLenInByte = 3056
; NumSgprs: 19
; NumVgprs: 118
; ScratchSize: 0
; MemoryBound: 0
; FloatMode: 240
; IeeeMode: 1
; LDSByteSize: 8192 bytes/workgroup (compile time only)
; SGPRBlocks: 2
; VGPRBlocks: 14
; NumSGPRsForWavesPerEU: 19
; NumVGPRsForWavesPerEU: 118
; Occupancy: 12
; WaveLimiterHint : 1
; COMPUTE_PGM_RSRC2:SCRATCH_EN: 0
; COMPUTE_PGM_RSRC2:USER_SGPR: 13
; COMPUTE_PGM_RSRC2:TRAP_HANDLER: 0
; COMPUTE_PGM_RSRC2:TGID_X_EN: 1
; COMPUTE_PGM_RSRC2:TGID_Y_EN: 1
; COMPUTE_PGM_RSRC2:TGID_Z_EN: 1
; COMPUTE_PGM_RSRC2:TIDIG_COMP_CNT: 1
	.section	.text._ZL37rocblas_syrkx_herkx_restricted_kernelIi19rocblas_complex_numIdELi16ELi32ELi8ELi1ELin1ELb1ELc67ELc85EKPKS1_KPS1_EviT_PT9_S7_lS9_S7_lPT10_S7_li,"axG",@progbits,_ZL37rocblas_syrkx_herkx_restricted_kernelIi19rocblas_complex_numIdELi16ELi32ELi8ELi1ELin1ELb1ELc67ELc85EKPKS1_KPS1_EviT_PT9_S7_lS9_S7_lPT10_S7_li,comdat
	.globl	_ZL37rocblas_syrkx_herkx_restricted_kernelIi19rocblas_complex_numIdELi16ELi32ELi8ELi1ELin1ELb1ELc67ELc85EKPKS1_KPS1_EviT_PT9_S7_lS9_S7_lPT10_S7_li ; -- Begin function _ZL37rocblas_syrkx_herkx_restricted_kernelIi19rocblas_complex_numIdELi16ELi32ELi8ELi1ELin1ELb1ELc67ELc85EKPKS1_KPS1_EviT_PT9_S7_lS9_S7_lPT10_S7_li
	.p2align	8
	.type	_ZL37rocblas_syrkx_herkx_restricted_kernelIi19rocblas_complex_numIdELi16ELi32ELi8ELi1ELin1ELb1ELc67ELc85EKPKS1_KPS1_EviT_PT9_S7_lS9_S7_lPT10_S7_li,@function
_ZL37rocblas_syrkx_herkx_restricted_kernelIi19rocblas_complex_numIdELi16ELi32ELi8ELi1ELin1ELb1ELc67ELc85EKPKS1_KPS1_EviT_PT9_S7_lS9_S7_lPT10_S7_li: ; @_ZL37rocblas_syrkx_herkx_restricted_kernelIi19rocblas_complex_numIdELi16ELi32ELi8ELi1ELin1ELb1ELc67ELc85EKPKS1_KPS1_EviT_PT9_S7_lS9_S7_lPT10_S7_li
; %bb.0:
	s_clause 0x1
	s_load_b64 s[4:5], s[0:1], 0x38
	s_load_b64 s[2:3], s[0:1], 0x0
	s_mov_b32 s6, s15
	s_mov_b32 s7, 0
	v_mov_b32_e32 v16, 0
	s_lshl_b64 s[8:9], s[6:7], 3
	v_dual_mov_b32 v17, 0 :: v_dual_and_b32 v20, 0x3ff, v0
	v_bfe_u32 v21, v0, 10, 10
	s_delay_alu instid0(VALU_DEP_3) | instskip(NEXT) | instid1(VALU_DEP_3)
	v_mov_b32_e32 v12, v16
	v_dual_mov_b32 v14, v16 :: v_dual_mov_b32 v15, v17
	v_dual_mov_b32 v19, v17 :: v_dual_mov_b32 v18, v16
	;; [unrolled: 1-line block ×5, first 2 shown]
	v_mov_b32_e32 v7, v17
	s_waitcnt lgkmcnt(0)
	s_add_u32 s4, s4, s8
	s_addc_u32 s5, s5, s9
	v_dual_mov_b32 v4, v16 :: v_dual_mov_b32 v5, v17
	s_load_b64 s[4:5], s[4:5], 0x0
	s_lshl_b32 s6, s13, 5
	s_lshl_b32 s10, s14, 5
	s_cmp_lt_i32 s3, 1
	s_cbranch_scc1 .LBB859_3
; %bb.1:
	s_clause 0x3
	s_load_b64 s[12:13], s[0:1], 0x8
	s_load_b64 s[14:15], s[0:1], 0x20
	s_load_b32 s11, s[0:1], 0x10
	s_load_b32 s16, s[0:1], 0x28
	v_lshl_add_u32 v2, v21, 4, v20
	v_dual_mov_b32 v1, 0 :: v_dual_and_b32 v0, 7, v20
	v_mov_b32_e32 v4, 0
	v_dual_mov_b32 v5, 0 :: v_dual_lshlrev_b32 v22, 4, v20
	s_delay_alu instid0(VALU_DEP_4)
	v_and_b32_e32 v7, 31, v2
	v_lshrrev_b32_e32 v6, 3, v2
	v_lshrrev_b32_e32 v2, 5, v2
	v_mov_b32_e32 v3, v1
	v_lshl_add_u32 v23, v21, 7, 0x1000
	v_add_nc_u32_e32 v10, s6, v7
	v_dual_mov_b32 v15, v5 :: v_dual_add_nc_u32 v12, s10, v6
	v_dual_mov_b32 v14, v4 :: v_dual_mov_b32 v19, v5
	v_mov_b32_e32 v18, v4
	s_waitcnt lgkmcnt(0)
	s_add_u32 s12, s12, s8
	s_addc_u32 s13, s13, s9
	s_add_u32 s8, s14, s8
	s_load_b64 s[12:13], s[12:13], 0x0
	s_addc_u32 s9, s15, s9
	v_mad_i64_i32 v[8:9], null, s11, v10, v[2:3]
	s_load_b64 s[8:9], s[8:9], 0x0
	v_lshlrev_b32_e32 v3, 4, v0
	v_mad_i64_i32 v[10:11], null, s16, v12, v[0:1]
	v_dual_mov_b32 v17, v5 :: v_dual_lshlrev_b32 v12, 4, v7
	v_mov_b32_e32 v16, v4
	s_delay_alu instid0(VALU_DEP_4) | instskip(SKIP_3) | instid1(VALU_DEP_4)
	v_lshl_or_b32 v3, v6, 7, v3
	v_lshlrev_b64 v[0:1], 4, v[8:9]
	v_dual_mov_b32 v9, v5 :: v_dual_mov_b32 v8, v4
	v_lshl_or_b32 v24, v2, 9, v12
	v_add_nc_u32_e32 v25, 0x1000, v3
	v_lshlrev_b64 v[2:3], 4, v[10:11]
	v_dual_mov_b32 v7, v5 :: v_dual_mov_b32 v6, v4
	s_waitcnt lgkmcnt(0)
	v_add_co_u32 v0, vcc_lo, v0, s12
	v_add_co_ci_u32_e32 v1, vcc_lo, s13, v1, vcc_lo
	s_delay_alu instid0(VALU_DEP_4) | instskip(SKIP_1) | instid1(VALU_DEP_4)
	v_add_co_u32 v2, vcc_lo, v2, s8
	v_add_co_ci_u32_e32 v3, vcc_lo, s9, v3, vcc_lo
	v_add_co_u32 v0, vcc_lo, v0, 8
	s_delay_alu instid0(VALU_DEP_4) | instskip(NEXT) | instid1(VALU_DEP_4)
	v_add_co_ci_u32_e32 v1, vcc_lo, 0, v1, vcc_lo
	v_add_co_u32 v2, vcc_lo, v2, 8
	s_delay_alu instid0(VALU_DEP_4)
	v_add_co_ci_u32_e32 v3, vcc_lo, 0, v3, vcc_lo
	v_dual_mov_b32 v11, v5 :: v_dual_mov_b32 v10, v4
	v_dual_mov_b32 v13, v5 :: v_dual_mov_b32 v12, v4
.LBB859_2:                              ; =>This Inner Loop Header: Depth=1
	global_load_b128 v[26:29], v[0:1], off offset:-8
	global_load_b128 v[30:33], v[2:3], off offset:-8
	v_add_co_u32 v0, vcc_lo, 0x80, v0
	v_add_co_ci_u32_e32 v1, vcc_lo, 0, v1, vcc_lo
	v_add_co_u32 v2, vcc_lo, 0x80, v2
	v_add_co_ci_u32_e32 v3, vcc_lo, 0, v3, vcc_lo
	s_add_i32 s7, s7, 8
	s_delay_alu instid0(SALU_CYCLE_1)
	s_cmp_ge_i32 s7, s3
	s_waitcnt vmcnt(1)
	v_xor_b32_e32 v29, 0x80000000, v29
	ds_store_b128 v24, v[26:29]
	s_waitcnt vmcnt(0)
	ds_store_b128 v25, v[30:33]
	s_waitcnt lgkmcnt(0)
	s_barrier
	buffer_gl0_inv
	ds_load_b128 v[26:29], v23
	ds_load_b128 v[30:33], v22
	ds_load_b128 v[34:37], v22 offset:256
	ds_load_b128 v[38:41], v23 offset:2048
	;; [unrolled: 1-line block ×13, first 2 shown]
	s_waitcnt lgkmcnt(13)
	v_mul_f64 v[86:87], v[28:29], v[32:33]
	v_mul_f64 v[88:89], v[26:27], v[32:33]
	s_waitcnt lgkmcnt(12)
	v_mul_f64 v[90:91], v[28:29], v[36:37]
	v_mul_f64 v[92:93], v[26:27], v[36:37]
	;; [unrolled: 3-line block ×3, first 2 shown]
	v_mul_f64 v[96:97], v[40:41], v[36:37]
	v_mul_f64 v[36:37], v[38:39], v[36:37]
	s_waitcnt lgkmcnt(8)
	v_mul_f64 v[98:99], v[44:45], v[52:53]
	v_mul_f64 v[100:101], v[42:43], v[52:53]
	s_waitcnt lgkmcnt(7)
	v_mul_f64 v[102:103], v[44:45], v[56:57]
	v_mul_f64 v[104:105], v[42:43], v[56:57]
	;; [unrolled: 1-line block ×6, first 2 shown]
	s_waitcnt lgkmcnt(3)
	v_mul_f64 v[112:113], v[58:59], v[72:73]
	s_waitcnt lgkmcnt(2)
	v_mul_f64 v[114:115], v[76:77], v[68:69]
	v_mul_f64 v[116:117], v[76:77], v[72:73]
	v_fma_f64 v[86:87], v[26:27], v[30:31], -v[86:87]
	v_fma_f64 v[88:89], v[28:29], v[30:31], v[88:89]
	v_fma_f64 v[90:91], v[26:27], v[34:35], -v[90:91]
	v_fma_f64 v[92:93], v[28:29], v[34:35], v[92:93]
	;; [unrolled: 2-line block ×4, first 2 shown]
	v_mul_f64 v[36:37], v[60:61], v[68:69]
	v_mul_f64 v[40:41], v[58:59], v[68:69]
	;; [unrolled: 1-line block ×5, first 2 shown]
	v_fma_f64 v[98:99], v[42:43], v[50:51], -v[98:99]
	v_fma_f64 v[100:101], v[44:45], v[50:51], v[100:101]
	v_fma_f64 v[42:43], v[42:43], v[54:55], -v[102:103]
	v_fma_f64 v[44:45], v[44:45], v[54:55], v[104:105]
	v_fma_f64 v[102:103], v[46:47], v[50:51], -v[106:107]
	v_fma_f64 v[50:51], v[48:49], v[50:51], v[52:53]
	v_fma_f64 v[46:47], v[46:47], v[54:55], -v[108:109]
	v_fma_f64 v[48:49], v[48:49], v[54:55], v[56:57]
	ds_load_b128 v[26:29], v22 offset:1792
	ds_load_b128 v[30:33], v22 offset:2048
	s_waitcnt lgkmcnt(2)
	v_mul_f64 v[56:57], v[64:65], v[84:85]
	v_add_f64 v[16:17], v[16:17], v[86:87]
	v_add_f64 v[18:19], v[18:19], v[88:89]
	;; [unrolled: 1-line block ×8, first 2 shown]
	v_mul_f64 v[86:87], v[62:63], v[84:85]
	s_waitcnt lgkmcnt(1)
	v_mul_f64 v[88:89], v[64:65], v[28:29]
	v_mul_f64 v[90:91], v[62:63], v[28:29]
	;; [unrolled: 1-line block ×6, first 2 shown]
	v_fma_f64 v[104:105], v[58:59], v[66:67], -v[36:37]
	v_fma_f64 v[106:107], v[60:61], v[66:67], v[40:41]
	v_fma_f64 v[58:59], v[58:59], v[70:71], -v[96:97]
	v_fma_f64 v[60:61], v[60:61], v[70:71], v[112:113]
	;; [unrolled: 2-line block ×4, first 2 shown]
	ds_load_b128 v[4:7], v22 offset:2304
	ds_load_b128 v[8:11], v23 offset:64
	v_fma_f64 v[56:57], v[62:63], v[82:83], -v[56:57]
	v_add_f64 v[72:73], v[16:17], v[98:99]
	v_add_f64 v[74:75], v[18:19], v[100:101]
	;; [unrolled: 1-line block ×8, first 2 shown]
	ds_load_b128 v[12:15], v23 offset:2112
	ds_load_b128 v[16:19], v23 offset:80
	;; [unrolled: 1-line block ×4, first 2 shown]
	s_waitcnt lgkmcnt(4)
	v_mul_f64 v[54:55], v[10:11], v[32:33]
	v_mul_f64 v[76:77], v[8:9], v[32:33]
	;; [unrolled: 1-line block ×4, first 2 shown]
	v_fma_f64 v[86:87], v[64:65], v[82:83], v[86:87]
	v_fma_f64 v[62:63], v[62:63], v[26:27], -v[88:89]
	v_fma_f64 v[64:65], v[64:65], v[26:27], v[90:91]
	v_fma_f64 v[88:89], v[78:79], v[82:83], -v[92:93]
	;; [unrolled: 2-line block ×3, first 2 shown]
	v_fma_f64 v[80:81], v[80:81], v[26:27], v[28:29]
	s_waitcnt lgkmcnt(3)
	v_mul_f64 v[102:103], v[14:15], v[32:33]
	v_mul_f64 v[32:33], v[12:13], v[32:33]
	;; [unrolled: 1-line block ×4, first 2 shown]
	s_waitcnt lgkmcnt(0)
	v_mul_f64 v[90:91], v[18:19], v[40:41]
	v_mul_f64 v[92:93], v[16:17], v[40:41]
	v_add_f64 v[72:73], v[72:73], v[104:105]
	v_add_f64 v[74:75], v[74:75], v[106:107]
	;; [unrolled: 1-line block ×8, first 2 shown]
	ds_load_b128 v[26:29], v22 offset:2816
	ds_load_b128 v[42:45], v22 offset:3072
	;; [unrolled: 1-line block ×4, first 2 shown]
	v_mul_f64 v[104:105], v[36:37], v[40:41]
	v_mul_f64 v[40:41], v[34:35], v[40:41]
	v_fma_f64 v[54:55], v[8:9], v[30:31], -v[54:55]
	v_fma_f64 v[76:77], v[10:11], v[30:31], v[76:77]
	v_fma_f64 v[98:99], v[8:9], v[4:5], -v[98:99]
	v_fma_f64 v[100:101], v[10:11], v[4:5], v[100:101]
	s_waitcnt lgkmcnt(3)
	v_mul_f64 v[94:95], v[18:19], v[28:29]
	v_mul_f64 v[96:97], v[16:17], v[28:29]
	;; [unrolled: 1-line block ×4, first 2 shown]
	v_fma_f64 v[102:103], v[12:13], v[30:31], -v[102:103]
	v_fma_f64 v[32:33], v[14:15], v[30:31], v[32:33]
	v_fma_f64 v[108:109], v[12:13], v[4:5], -v[108:109]
	v_fma_f64 v[112:113], v[14:15], v[4:5], v[6:7]
	ds_load_b128 v[4:7], v23 offset:2144
	ds_load_b128 v[8:11], v23 offset:112
	;; [unrolled: 1-line block ×4, first 2 shown]
	v_add_f64 v[56:57], v[72:73], v[56:57]
	v_add_f64 v[72:73], v[74:75], v[86:87]
	;; [unrolled: 1-line block ×8, first 2 shown]
	s_waitcnt lgkmcnt(4)
	v_mul_f64 v[70:71], v[52:53], v[44:45]
	v_mul_f64 v[74:75], v[50:51], v[44:45]
	;; [unrolled: 1-line block ×4, first 2 shown]
	s_waitcnt lgkmcnt(3)
	v_mul_f64 v[82:83], v[6:7], v[44:45]
	v_mul_f64 v[44:45], v[4:5], v[44:45]
	;; [unrolled: 1-line block ×4, first 2 shown]
	v_fma_f64 v[86:87], v[16:17], v[38:39], -v[90:91]
	v_fma_f64 v[88:89], v[18:19], v[38:39], v[92:93]
	v_fma_f64 v[90:91], v[16:17], v[26:27], -v[94:95]
	v_fma_f64 v[92:93], v[18:19], v[26:27], v[96:97]
	;; [unrolled: 2-line block ×4, first 2 shown]
	ds_load_b128 v[16:19], v22 offset:3840
	s_waitcnt lgkmcnt(0)
	s_barrier
	buffer_gl0_inv
	v_add_f64 v[36:37], v[56:57], v[54:55]
	v_add_f64 v[40:41], v[72:73], v[76:77]
	;; [unrolled: 1-line block ×8, first 2 shown]
	v_mul_f64 v[64:65], v[10:11], v[30:31]
	v_mul_f64 v[66:67], v[8:9], v[30:31]
	;; [unrolled: 1-line block ×4, first 2 shown]
	v_fma_f64 v[70:71], v[50:51], v[42:43], -v[70:71]
	v_mul_f64 v[68:69], v[10:11], v[18:19]
	v_mul_f64 v[72:73], v[8:9], v[18:19]
	;; [unrolled: 1-line block ×4, first 2 shown]
	v_fma_f64 v[74:75], v[52:53], v[42:43], v[74:75]
	v_fma_f64 v[50:51], v[50:51], v[46:47], -v[78:79]
	v_fma_f64 v[52:53], v[52:53], v[46:47], v[80:81]
	v_fma_f64 v[78:79], v[4:5], v[42:43], -v[82:83]
	;; [unrolled: 2-line block ×3, first 2 shown]
	v_fma_f64 v[6:7], v[6:7], v[46:47], v[48:49]
	v_add_f64 v[36:37], v[36:37], v[86:87]
	v_add_f64 v[40:41], v[40:41], v[88:89]
	;; [unrolled: 1-line block ×8, first 2 shown]
	v_fma_f64 v[38:39], v[8:9], v[28:29], -v[64:65]
	v_fma_f64 v[54:55], v[10:11], v[28:29], v[66:67]
	v_fma_f64 v[56:57], v[12:13], v[28:29], -v[76:77]
	v_fma_f64 v[28:29], v[14:15], v[28:29], v[30:31]
	;; [unrolled: 2-line block ×4, first 2 shown]
	v_add_f64 v[12:13], v[36:37], v[70:71]
	v_add_f64 v[14:15], v[40:41], v[74:75]
	;; [unrolled: 1-line block ×16, first 2 shown]
	s_cbranch_scc0 .LBB859_2
.LBB859_3:
	s_load_b32 s3, s[0:1], 0x40
	v_add_nc_u32_e32 v21, s10, v21
	v_add_nc_u32_e32 v0, s6, v20
	s_delay_alu instid0(VALU_DEP_2) | instskip(NEXT) | instid1(VALU_DEP_2)
	v_cmp_gt_i32_e32 vcc_lo, s2, v21
	v_cmp_le_i32_e64 s0, v0, v21
	s_delay_alu instid0(VALU_DEP_1) | instskip(SKIP_2) | instid1(VALU_DEP_1)
	s_and_b32 s0, vcc_lo, s0
	s_waitcnt lgkmcnt(0)
	v_mad_i64_i32 v[1:2], null, v21, s3, 0
	v_lshlrev_b64 v[1:2], 4, v[1:2]
	s_delay_alu instid0(VALU_DEP_1) | instskip(NEXT) | instid1(VALU_DEP_1)
	v_add_co_u32 v20, s1, s4, v1
	v_add_co_ci_u32_e64 v22, s1, s5, v2, s1
	s_and_saveexec_b32 s1, s0
	s_cbranch_execz .LBB859_5
; %bb.4:
	v_ashrrev_i32_e32 v1, 31, v0
	s_delay_alu instid0(VALU_DEP_1) | instskip(NEXT) | instid1(VALU_DEP_1)
	v_lshlrev_b64 v[1:2], 4, v[0:1]
	v_add_co_u32 v1, s0, v20, v1
	s_delay_alu instid0(VALU_DEP_1)
	v_add_co_ci_u32_e64 v2, s0, v22, v2, s0
	v_cmp_ne_u32_e64 s0, v21, v0
	global_load_b128 v[23:26], v[1:2], off
	s_waitcnt vmcnt(0)
	v_add_f64 v[18:19], v[18:19], -v[25:26]
	v_add_f64 v[16:17], v[16:17], -v[23:24]
	s_delay_alu instid0(VALU_DEP_2) | instskip(NEXT) | instid1(VALU_DEP_3)
	v_cndmask_b32_e64 v19, 0, v19, s0
	v_cndmask_b32_e64 v18, 0, v18, s0
	global_store_b128 v[1:2], v[16:19], off
.LBB859_5:
	s_or_b32 exec_lo, exec_lo, s1
	v_add_nc_u32_e32 v2, 16, v0
	s_delay_alu instid0(VALU_DEP_1) | instskip(NEXT) | instid1(VALU_DEP_1)
	v_cmp_le_i32_e64 s0, v2, v21
	s_and_b32 s1, vcc_lo, s0
	s_delay_alu instid0(SALU_CYCLE_1)
	s_and_saveexec_b32 s0, s1
	s_cbranch_execz .LBB859_7
; %bb.6:
	v_ashrrev_i32_e32 v3, 31, v2
	s_delay_alu instid0(VALU_DEP_1) | instskip(NEXT) | instid1(VALU_DEP_1)
	v_lshlrev_b64 v[16:17], 4, v[2:3]
	v_add_co_u32 v23, vcc_lo, v20, v16
	s_delay_alu instid0(VALU_DEP_2)
	v_add_co_ci_u32_e32 v24, vcc_lo, v22, v17, vcc_lo
	v_cmp_ne_u32_e32 vcc_lo, v21, v2
	global_load_b128 v[16:19], v[23:24], off
	s_waitcnt vmcnt(0)
	v_add_f64 v[14:15], v[14:15], -v[18:19]
	v_add_f64 v[12:13], v[12:13], -v[16:17]
	s_delay_alu instid0(VALU_DEP_2)
	v_dual_cndmask_b32 v15, 0, v15 :: v_dual_cndmask_b32 v14, 0, v14
	global_store_b128 v[23:24], v[12:15], off
.LBB859_7:
	s_or_b32 exec_lo, exec_lo, s0
	v_add_nc_u32_e32 v3, 16, v21
	s_delay_alu instid0(VALU_DEP_1) | instskip(SKIP_2) | instid1(VALU_DEP_1)
	v_mad_i64_i32 v[12:13], null, v3, s3, 0
	v_cmp_gt_i32_e32 vcc_lo, s2, v3
	v_cmp_le_i32_e64 s0, v0, v3
	s_and_b32 s0, vcc_lo, s0
	s_delay_alu instid0(VALU_DEP_3) | instskip(NEXT) | instid1(VALU_DEP_1)
	v_lshlrev_b64 v[12:13], 4, v[12:13]
	v_add_co_u32 v12, s1, s4, v12
	s_delay_alu instid0(VALU_DEP_1)
	v_add_co_ci_u32_e64 v13, s1, s5, v13, s1
	s_and_saveexec_b32 s1, s0
	s_cbranch_execz .LBB859_9
; %bb.8:
	v_ashrrev_i32_e32 v1, 31, v0
	s_delay_alu instid0(VALU_DEP_1) | instskip(NEXT) | instid1(VALU_DEP_1)
	v_lshlrev_b64 v[14:15], 4, v[0:1]
	v_add_co_u32 v18, s0, v12, v14
	s_delay_alu instid0(VALU_DEP_1)
	v_add_co_ci_u32_e64 v19, s0, v13, v15, s0
	v_cmp_ne_u32_e64 s0, v3, v0
	global_load_b128 v[14:17], v[18:19], off
	s_waitcnt vmcnt(0)
	v_add_f64 v[16:17], v[8:9], -v[16:17]
	v_add_f64 v[8:9], v[10:11], -v[14:15]
	s_delay_alu instid0(VALU_DEP_2) | instskip(NEXT) | instid1(VALU_DEP_3)
	v_cndmask_b32_e64 v11, 0, v17, s0
	v_cndmask_b32_e64 v10, 0, v16, s0
	global_store_b128 v[18:19], v[8:11], off
.LBB859_9:
	s_or_b32 exec_lo, exec_lo, s1
	v_cmp_le_i32_e64 s0, v2, v3
	s_delay_alu instid0(VALU_DEP_1) | instskip(NEXT) | instid1(SALU_CYCLE_1)
	s_and_b32 s0, vcc_lo, s0
	s_and_saveexec_b32 s1, s0
	s_cbranch_execz .LBB859_11
; %bb.10:
	v_ashrrev_i32_e32 v3, 31, v2
	s_delay_alu instid0(VALU_DEP_1) | instskip(NEXT) | instid1(VALU_DEP_1)
	v_lshlrev_b64 v[1:2], 4, v[2:3]
	v_add_co_u32 v12, vcc_lo, v12, v1
	s_delay_alu instid0(VALU_DEP_2)
	v_add_co_ci_u32_e32 v13, vcc_lo, v13, v2, vcc_lo
	v_cmp_ne_u32_e32 vcc_lo, v21, v0
	global_load_b128 v[8:11], v[12:13], off
	s_waitcnt vmcnt(0)
	v_add_f64 v[3:4], v[4:5], -v[10:11]
	v_add_f64 v[1:2], v[6:7], -v[8:9]
	s_delay_alu instid0(VALU_DEP_2)
	v_dual_cndmask_b32 v4, 0, v4 :: v_dual_cndmask_b32 v3, 0, v3
	global_store_b128 v[12:13], v[1:4], off
.LBB859_11:
	s_nop 0
	s_sendmsg sendmsg(MSG_DEALLOC_VGPRS)
	s_endpgm
	.section	.rodata,"a",@progbits
	.p2align	6, 0x0
	.amdhsa_kernel _ZL37rocblas_syrkx_herkx_restricted_kernelIi19rocblas_complex_numIdELi16ELi32ELi8ELi1ELin1ELb1ELc67ELc85EKPKS1_KPS1_EviT_PT9_S7_lS9_S7_lPT10_S7_li
		.amdhsa_group_segment_fixed_size 8192
		.amdhsa_private_segment_fixed_size 0
		.amdhsa_kernarg_size 84
		.amdhsa_user_sgpr_count 13
		.amdhsa_user_sgpr_dispatch_ptr 0
		.amdhsa_user_sgpr_queue_ptr 0
		.amdhsa_user_sgpr_kernarg_segment_ptr 1
		.amdhsa_user_sgpr_dispatch_id 0
		.amdhsa_user_sgpr_private_segment_size 0
		.amdhsa_wavefront_size32 1
		.amdhsa_uses_dynamic_stack 0
		.amdhsa_enable_private_segment 0
		.amdhsa_system_sgpr_workgroup_id_x 1
		.amdhsa_system_sgpr_workgroup_id_y 1
		.amdhsa_system_sgpr_workgroup_id_z 1
		.amdhsa_system_sgpr_workgroup_info 0
		.amdhsa_system_vgpr_workitem_id 1
		.amdhsa_next_free_vgpr 118
		.amdhsa_next_free_sgpr 17
		.amdhsa_reserve_vcc 1
		.amdhsa_float_round_mode_32 0
		.amdhsa_float_round_mode_16_64 0
		.amdhsa_float_denorm_mode_32 3
		.amdhsa_float_denorm_mode_16_64 3
		.amdhsa_dx10_clamp 1
		.amdhsa_ieee_mode 1
		.amdhsa_fp16_overflow 0
		.amdhsa_workgroup_processor_mode 1
		.amdhsa_memory_ordered 1
		.amdhsa_forward_progress 0
		.amdhsa_shared_vgpr_count 0
		.amdhsa_exception_fp_ieee_invalid_op 0
		.amdhsa_exception_fp_denorm_src 0
		.amdhsa_exception_fp_ieee_div_zero 0
		.amdhsa_exception_fp_ieee_overflow 0
		.amdhsa_exception_fp_ieee_underflow 0
		.amdhsa_exception_fp_ieee_inexact 0
		.amdhsa_exception_int_div_zero 0
	.end_amdhsa_kernel
	.section	.text._ZL37rocblas_syrkx_herkx_restricted_kernelIi19rocblas_complex_numIdELi16ELi32ELi8ELi1ELin1ELb1ELc67ELc85EKPKS1_KPS1_EviT_PT9_S7_lS9_S7_lPT10_S7_li,"axG",@progbits,_ZL37rocblas_syrkx_herkx_restricted_kernelIi19rocblas_complex_numIdELi16ELi32ELi8ELi1ELin1ELb1ELc67ELc85EKPKS1_KPS1_EviT_PT9_S7_lS9_S7_lPT10_S7_li,comdat
.Lfunc_end859:
	.size	_ZL37rocblas_syrkx_herkx_restricted_kernelIi19rocblas_complex_numIdELi16ELi32ELi8ELi1ELin1ELb1ELc67ELc85EKPKS1_KPS1_EviT_PT9_S7_lS9_S7_lPT10_S7_li, .Lfunc_end859-_ZL37rocblas_syrkx_herkx_restricted_kernelIi19rocblas_complex_numIdELi16ELi32ELi8ELi1ELin1ELb1ELc67ELc85EKPKS1_KPS1_EviT_PT9_S7_lS9_S7_lPT10_S7_li
                                        ; -- End function
	.section	.AMDGPU.csdata,"",@progbits
; Kernel info:
; codeLenInByte = 3068
; NumSgprs: 19
; NumVgprs: 118
; ScratchSize: 0
; MemoryBound: 0
; FloatMode: 240
; IeeeMode: 1
; LDSByteSize: 8192 bytes/workgroup (compile time only)
; SGPRBlocks: 2
; VGPRBlocks: 14
; NumSGPRsForWavesPerEU: 19
; NumVGPRsForWavesPerEU: 118
; Occupancy: 12
; WaveLimiterHint : 1
; COMPUTE_PGM_RSRC2:SCRATCH_EN: 0
; COMPUTE_PGM_RSRC2:USER_SGPR: 13
; COMPUTE_PGM_RSRC2:TRAP_HANDLER: 0
; COMPUTE_PGM_RSRC2:TGID_X_EN: 1
; COMPUTE_PGM_RSRC2:TGID_Y_EN: 1
; COMPUTE_PGM_RSRC2:TGID_Z_EN: 1
; COMPUTE_PGM_RSRC2:TIDIG_COMP_CNT: 1
	.section	.text._ZL37rocblas_syrkx_herkx_restricted_kernelIi19rocblas_complex_numIdELi16ELi32ELi8ELi1ELin1ELb1ELc78ELc85EKPKS1_KPS1_EviT_PT9_S7_lS9_S7_lPT10_S7_li,"axG",@progbits,_ZL37rocblas_syrkx_herkx_restricted_kernelIi19rocblas_complex_numIdELi16ELi32ELi8ELi1ELin1ELb1ELc78ELc85EKPKS1_KPS1_EviT_PT9_S7_lS9_S7_lPT10_S7_li,comdat
	.globl	_ZL37rocblas_syrkx_herkx_restricted_kernelIi19rocblas_complex_numIdELi16ELi32ELi8ELi1ELin1ELb1ELc78ELc85EKPKS1_KPS1_EviT_PT9_S7_lS9_S7_lPT10_S7_li ; -- Begin function _ZL37rocblas_syrkx_herkx_restricted_kernelIi19rocblas_complex_numIdELi16ELi32ELi8ELi1ELin1ELb1ELc78ELc85EKPKS1_KPS1_EviT_PT9_S7_lS9_S7_lPT10_S7_li
	.p2align	8
	.type	_ZL37rocblas_syrkx_herkx_restricted_kernelIi19rocblas_complex_numIdELi16ELi32ELi8ELi1ELin1ELb1ELc78ELc85EKPKS1_KPS1_EviT_PT9_S7_lS9_S7_lPT10_S7_li,@function
_ZL37rocblas_syrkx_herkx_restricted_kernelIi19rocblas_complex_numIdELi16ELi32ELi8ELi1ELin1ELb1ELc78ELc85EKPKS1_KPS1_EviT_PT9_S7_lS9_S7_lPT10_S7_li: ; @_ZL37rocblas_syrkx_herkx_restricted_kernelIi19rocblas_complex_numIdELi16ELi32ELi8ELi1ELin1ELb1ELc78ELc85EKPKS1_KPS1_EviT_PT9_S7_lS9_S7_lPT10_S7_li
; %bb.0:
	s_clause 0x1
	s_load_b64 s[4:5], s[0:1], 0x38
	s_load_b64 s[2:3], s[0:1], 0x0
	s_mov_b32 s6, s15
	s_mov_b32 s7, 0
	v_mov_b32_e32 v16, 0
	s_lshl_b64 s[8:9], s[6:7], 3
	v_dual_mov_b32 v17, 0 :: v_dual_and_b32 v20, 0x3ff, v0
	v_bfe_u32 v21, v0, 10, 10
	s_delay_alu instid0(VALU_DEP_3) | instskip(NEXT) | instid1(VALU_DEP_3)
	v_mov_b32_e32 v12, v16
	v_dual_mov_b32 v14, v16 :: v_dual_mov_b32 v15, v17
	v_dual_mov_b32 v19, v17 :: v_dual_mov_b32 v18, v16
	;; [unrolled: 1-line block ×5, first 2 shown]
	v_mov_b32_e32 v7, v17
	s_waitcnt lgkmcnt(0)
	s_add_u32 s4, s4, s8
	s_addc_u32 s5, s5, s9
	v_dual_mov_b32 v4, v16 :: v_dual_mov_b32 v5, v17
	s_load_b64 s[4:5], s[4:5], 0x0
	s_lshl_b32 s6, s13, 5
	s_lshl_b32 s12, s14, 5
	s_cmp_lt_i32 s3, 1
	s_cbranch_scc1 .LBB860_3
; %bb.1:
	s_clause 0x3
	s_load_b32 s10, s[0:1], 0x10
	s_load_b32 s14, s[0:1], 0x28
	s_load_b64 s[16:17], s[0:1], 0x8
	s_load_b64 s[18:19], s[0:1], 0x20
	v_lshl_add_u32 v0, v21, 4, v20
	v_and_b32_e32 v10, 7, v20
	v_lshl_add_u32 v23, v21, 7, 0x1000
	v_mov_b32_e32 v4, 0
	v_mov_b32_e32 v5, 0
	v_and_b32_e32 v9, 31, v0
	v_lshrrev_b32_e32 v8, 3, v0
	v_lshlrev_b32_e32 v12, 4, v10
	v_lshrrev_b32_e32 v11, 5, v0
	s_delay_alu instid0(VALU_DEP_4) | instskip(NEXT) | instid1(VALU_DEP_4)
	v_dual_mov_b32 v15, v5 :: v_dual_add_nc_u32 v2, s6, v9
	v_add_nc_u32_e32 v0, s12, v8
	v_lshlrev_b32_e32 v9, 4, v9
	v_lshl_or_b32 v8, v8, 7, v12
	v_lshlrev_b32_e32 v22, 4, v20
	v_dual_mov_b32 v14, v4 :: v_dual_mov_b32 v19, v5
	s_waitcnt lgkmcnt(0)
	s_ashr_i32 s11, s10, 31
	s_ashr_i32 s15, s14, 31
	s_add_u32 s16, s16, s8
	s_addc_u32 s17, s17, s9
	s_add_u32 s8, s18, s8
	s_load_b64 s[16:17], s[16:17], 0x0
	s_addc_u32 s9, s19, s9
	v_lshl_or_b32 v24, v11, 9, v9
	v_add_nc_u32_e32 v25, 0x1000, v8
	v_mov_b32_e32 v9, v5
	v_ashrrev_i32_e32 v3, 31, v2
	s_load_b64 s[8:9], s[8:9], 0x0
	v_ashrrev_i32_e32 v1, 31, v0
	v_dual_mov_b32 v8, v4 :: v_dual_mov_b32 v13, v5
	s_delay_alu instid0(VALU_DEP_3) | instskip(NEXT) | instid1(VALU_DEP_3)
	v_mad_i64_i32 v[6:7], null, s10, v11, v[2:3]
	v_mad_i64_i32 v[2:3], null, s14, v10, v[0:1]
	v_dual_mov_b32 v11, v5 :: v_dual_mov_b32 v12, v4
	v_dual_mov_b32 v17, v5 :: v_dual_mov_b32 v10, v4
	s_delay_alu instid0(VALU_DEP_4)
	v_lshlrev_b64 v[0:1], 4, v[6:7]
	v_mov_b32_e32 v7, v5
	v_lshlrev_b64 v[2:3], 4, v[2:3]
	v_mov_b32_e32 v6, v4
	v_mov_b32_e32 v18, v4
	;; [unrolled: 1-line block ×3, first 2 shown]
	s_waitcnt lgkmcnt(0)
	v_add_co_u32 v0, vcc_lo, v0, s16
	v_add_co_ci_u32_e32 v1, vcc_lo, s17, v1, vcc_lo
	v_add_co_u32 v2, vcc_lo, v2, s8
	v_add_co_ci_u32_e32 v3, vcc_lo, s9, v3, vcc_lo
	s_delay_alu instid0(VALU_DEP_4) | instskip(NEXT) | instid1(VALU_DEP_4)
	v_add_co_u32 v0, vcc_lo, v0, 8
	v_add_co_ci_u32_e32 v1, vcc_lo, 0, v1, vcc_lo
	s_delay_alu instid0(VALU_DEP_4) | instskip(NEXT) | instid1(VALU_DEP_4)
	v_add_co_u32 v2, vcc_lo, v2, 8
	v_add_co_ci_u32_e32 v3, vcc_lo, 0, v3, vcc_lo
	s_lshl_b64 s[8:9], s[10:11], 7
	s_lshl_b64 s[10:11], s[14:15], 7
.LBB860_2:                              ; =>This Inner Loop Header: Depth=1
	global_load_b128 v[26:29], v[2:3], off offset:-8
	global_load_b128 v[30:33], v[0:1], off offset:-8
	v_add_co_u32 v0, vcc_lo, v0, s8
	v_add_co_ci_u32_e32 v1, vcc_lo, s9, v1, vcc_lo
	v_add_co_u32 v2, vcc_lo, v2, s10
	v_add_co_ci_u32_e32 v3, vcc_lo, s11, v3, vcc_lo
	s_add_i32 s7, s7, 8
	s_delay_alu instid0(SALU_CYCLE_1)
	s_cmp_ge_i32 s7, s3
	s_waitcnt vmcnt(1)
	v_xor_b32_e32 v29, 0x80000000, v29
	s_waitcnt vmcnt(0)
	ds_store_b128 v24, v[30:33]
	ds_store_b128 v25, v[26:29]
	s_waitcnt lgkmcnt(0)
	s_barrier
	buffer_gl0_inv
	ds_load_b128 v[26:29], v23
	ds_load_b128 v[30:33], v22
	ds_load_b128 v[34:37], v22 offset:256
	ds_load_b128 v[38:41], v23 offset:2048
	;; [unrolled: 1-line block ×13, first 2 shown]
	s_waitcnt lgkmcnt(13)
	v_mul_f64 v[86:87], v[28:29], v[32:33]
	v_mul_f64 v[88:89], v[26:27], v[32:33]
	s_waitcnt lgkmcnt(12)
	v_mul_f64 v[90:91], v[28:29], v[36:37]
	v_mul_f64 v[92:93], v[26:27], v[36:37]
	;; [unrolled: 3-line block ×3, first 2 shown]
	v_mul_f64 v[96:97], v[40:41], v[36:37]
	v_mul_f64 v[36:37], v[38:39], v[36:37]
	s_waitcnt lgkmcnt(8)
	v_mul_f64 v[98:99], v[44:45], v[52:53]
	v_mul_f64 v[100:101], v[42:43], v[52:53]
	s_waitcnt lgkmcnt(7)
	v_mul_f64 v[102:103], v[44:45], v[56:57]
	v_mul_f64 v[104:105], v[42:43], v[56:57]
	;; [unrolled: 1-line block ×6, first 2 shown]
	s_waitcnt lgkmcnt(3)
	v_mul_f64 v[112:113], v[58:59], v[72:73]
	s_waitcnt lgkmcnt(2)
	v_mul_f64 v[114:115], v[76:77], v[68:69]
	v_mul_f64 v[116:117], v[76:77], v[72:73]
	v_fma_f64 v[86:87], v[26:27], v[30:31], -v[86:87]
	v_fma_f64 v[88:89], v[28:29], v[30:31], v[88:89]
	v_fma_f64 v[90:91], v[26:27], v[34:35], -v[90:91]
	v_fma_f64 v[92:93], v[28:29], v[34:35], v[92:93]
	;; [unrolled: 2-line block ×4, first 2 shown]
	v_mul_f64 v[36:37], v[60:61], v[68:69]
	v_mul_f64 v[40:41], v[58:59], v[68:69]
	;; [unrolled: 1-line block ×5, first 2 shown]
	v_fma_f64 v[98:99], v[42:43], v[50:51], -v[98:99]
	v_fma_f64 v[100:101], v[44:45], v[50:51], v[100:101]
	v_fma_f64 v[42:43], v[42:43], v[54:55], -v[102:103]
	v_fma_f64 v[44:45], v[44:45], v[54:55], v[104:105]
	;; [unrolled: 2-line block ×4, first 2 shown]
	ds_load_b128 v[26:29], v22 offset:1792
	ds_load_b128 v[30:33], v22 offset:2048
	s_waitcnt lgkmcnt(2)
	v_mul_f64 v[56:57], v[64:65], v[84:85]
	v_add_f64 v[16:17], v[16:17], v[86:87]
	v_add_f64 v[18:19], v[18:19], v[88:89]
	;; [unrolled: 1-line block ×8, first 2 shown]
	v_mul_f64 v[86:87], v[62:63], v[84:85]
	s_waitcnt lgkmcnt(1)
	v_mul_f64 v[88:89], v[64:65], v[28:29]
	v_mul_f64 v[90:91], v[62:63], v[28:29]
	;; [unrolled: 1-line block ×6, first 2 shown]
	v_fma_f64 v[104:105], v[58:59], v[66:67], -v[36:37]
	v_fma_f64 v[106:107], v[60:61], v[66:67], v[40:41]
	v_fma_f64 v[58:59], v[58:59], v[70:71], -v[96:97]
	v_fma_f64 v[60:61], v[60:61], v[70:71], v[112:113]
	;; [unrolled: 2-line block ×4, first 2 shown]
	ds_load_b128 v[4:7], v22 offset:2304
	ds_load_b128 v[8:11], v23 offset:64
	v_fma_f64 v[56:57], v[62:63], v[82:83], -v[56:57]
	v_add_f64 v[72:73], v[16:17], v[98:99]
	v_add_f64 v[74:75], v[18:19], v[100:101]
	;; [unrolled: 1-line block ×8, first 2 shown]
	ds_load_b128 v[12:15], v23 offset:2112
	ds_load_b128 v[16:19], v23 offset:80
	ds_load_b128 v[34:37], v23 offset:2128
	ds_load_b128 v[38:41], v22 offset:2560
	s_waitcnt lgkmcnt(4)
	v_mul_f64 v[54:55], v[10:11], v[32:33]
	v_mul_f64 v[76:77], v[8:9], v[32:33]
	;; [unrolled: 1-line block ×4, first 2 shown]
	v_fma_f64 v[86:87], v[64:65], v[82:83], v[86:87]
	v_fma_f64 v[62:63], v[62:63], v[26:27], -v[88:89]
	v_fma_f64 v[64:65], v[64:65], v[26:27], v[90:91]
	v_fma_f64 v[88:89], v[78:79], v[82:83], -v[92:93]
	;; [unrolled: 2-line block ×3, first 2 shown]
	v_fma_f64 v[80:81], v[80:81], v[26:27], v[28:29]
	s_waitcnt lgkmcnt(3)
	v_mul_f64 v[102:103], v[14:15], v[32:33]
	v_mul_f64 v[32:33], v[12:13], v[32:33]
	;; [unrolled: 1-line block ×4, first 2 shown]
	s_waitcnt lgkmcnt(0)
	v_mul_f64 v[90:91], v[18:19], v[40:41]
	v_mul_f64 v[92:93], v[16:17], v[40:41]
	v_add_f64 v[72:73], v[72:73], v[104:105]
	v_add_f64 v[74:75], v[74:75], v[106:107]
	;; [unrolled: 1-line block ×8, first 2 shown]
	ds_load_b128 v[26:29], v22 offset:2816
	ds_load_b128 v[42:45], v22 offset:3072
	;; [unrolled: 1-line block ×4, first 2 shown]
	v_mul_f64 v[104:105], v[36:37], v[40:41]
	v_mul_f64 v[40:41], v[34:35], v[40:41]
	v_fma_f64 v[54:55], v[8:9], v[30:31], -v[54:55]
	v_fma_f64 v[76:77], v[10:11], v[30:31], v[76:77]
	v_fma_f64 v[98:99], v[8:9], v[4:5], -v[98:99]
	v_fma_f64 v[100:101], v[10:11], v[4:5], v[100:101]
	s_waitcnt lgkmcnt(3)
	v_mul_f64 v[94:95], v[18:19], v[28:29]
	v_mul_f64 v[96:97], v[16:17], v[28:29]
	;; [unrolled: 1-line block ×4, first 2 shown]
	v_fma_f64 v[102:103], v[12:13], v[30:31], -v[102:103]
	v_fma_f64 v[32:33], v[14:15], v[30:31], v[32:33]
	v_fma_f64 v[108:109], v[12:13], v[4:5], -v[108:109]
	v_fma_f64 v[112:113], v[14:15], v[4:5], v[6:7]
	ds_load_b128 v[4:7], v23 offset:2144
	ds_load_b128 v[8:11], v23 offset:112
	;; [unrolled: 1-line block ×4, first 2 shown]
	v_add_f64 v[56:57], v[72:73], v[56:57]
	v_add_f64 v[72:73], v[74:75], v[86:87]
	;; [unrolled: 1-line block ×8, first 2 shown]
	s_waitcnt lgkmcnt(4)
	v_mul_f64 v[70:71], v[52:53], v[44:45]
	v_mul_f64 v[74:75], v[50:51], v[44:45]
	;; [unrolled: 1-line block ×4, first 2 shown]
	s_waitcnt lgkmcnt(3)
	v_mul_f64 v[82:83], v[6:7], v[44:45]
	v_mul_f64 v[44:45], v[4:5], v[44:45]
	;; [unrolled: 1-line block ×4, first 2 shown]
	v_fma_f64 v[86:87], v[16:17], v[38:39], -v[90:91]
	v_fma_f64 v[88:89], v[18:19], v[38:39], v[92:93]
	v_fma_f64 v[90:91], v[16:17], v[26:27], -v[94:95]
	v_fma_f64 v[92:93], v[18:19], v[26:27], v[96:97]
	;; [unrolled: 2-line block ×4, first 2 shown]
	ds_load_b128 v[16:19], v22 offset:3840
	s_waitcnt lgkmcnt(0)
	s_barrier
	buffer_gl0_inv
	v_add_f64 v[36:37], v[56:57], v[54:55]
	v_add_f64 v[40:41], v[72:73], v[76:77]
	;; [unrolled: 1-line block ×8, first 2 shown]
	v_mul_f64 v[64:65], v[10:11], v[30:31]
	v_mul_f64 v[66:67], v[8:9], v[30:31]
	;; [unrolled: 1-line block ×4, first 2 shown]
	v_fma_f64 v[70:71], v[50:51], v[42:43], -v[70:71]
	v_mul_f64 v[68:69], v[10:11], v[18:19]
	v_mul_f64 v[72:73], v[8:9], v[18:19]
	;; [unrolled: 1-line block ×4, first 2 shown]
	v_fma_f64 v[74:75], v[52:53], v[42:43], v[74:75]
	v_fma_f64 v[50:51], v[50:51], v[46:47], -v[78:79]
	v_fma_f64 v[52:53], v[52:53], v[46:47], v[80:81]
	v_fma_f64 v[78:79], v[4:5], v[42:43], -v[82:83]
	;; [unrolled: 2-line block ×3, first 2 shown]
	v_fma_f64 v[6:7], v[6:7], v[46:47], v[48:49]
	v_add_f64 v[36:37], v[36:37], v[86:87]
	v_add_f64 v[40:41], v[40:41], v[88:89]
	;; [unrolled: 1-line block ×8, first 2 shown]
	v_fma_f64 v[38:39], v[8:9], v[28:29], -v[64:65]
	v_fma_f64 v[54:55], v[10:11], v[28:29], v[66:67]
	v_fma_f64 v[56:57], v[12:13], v[28:29], -v[76:77]
	v_fma_f64 v[28:29], v[14:15], v[28:29], v[30:31]
	;; [unrolled: 2-line block ×4, first 2 shown]
	v_add_f64 v[12:13], v[36:37], v[70:71]
	v_add_f64 v[14:15], v[40:41], v[74:75]
	;; [unrolled: 1-line block ×16, first 2 shown]
	s_cbranch_scc0 .LBB860_2
.LBB860_3:
	s_load_b32 s3, s[0:1], 0x40
	v_add_nc_u32_e32 v21, s12, v21
	v_add_nc_u32_e32 v0, s6, v20
	s_delay_alu instid0(VALU_DEP_2) | instskip(NEXT) | instid1(VALU_DEP_2)
	v_cmp_gt_i32_e32 vcc_lo, s2, v21
	v_cmp_le_i32_e64 s0, v0, v21
	s_delay_alu instid0(VALU_DEP_1) | instskip(SKIP_2) | instid1(VALU_DEP_1)
	s_and_b32 s0, vcc_lo, s0
	s_waitcnt lgkmcnt(0)
	v_mad_i64_i32 v[1:2], null, v21, s3, 0
	v_lshlrev_b64 v[1:2], 4, v[1:2]
	s_delay_alu instid0(VALU_DEP_1) | instskip(NEXT) | instid1(VALU_DEP_1)
	v_add_co_u32 v20, s1, s4, v1
	v_add_co_ci_u32_e64 v22, s1, s5, v2, s1
	s_and_saveexec_b32 s1, s0
	s_cbranch_execz .LBB860_5
; %bb.4:
	v_ashrrev_i32_e32 v1, 31, v0
	s_delay_alu instid0(VALU_DEP_1) | instskip(NEXT) | instid1(VALU_DEP_1)
	v_lshlrev_b64 v[1:2], 4, v[0:1]
	v_add_co_u32 v1, s0, v20, v1
	s_delay_alu instid0(VALU_DEP_1)
	v_add_co_ci_u32_e64 v2, s0, v22, v2, s0
	v_cmp_ne_u32_e64 s0, v21, v0
	global_load_b128 v[23:26], v[1:2], off
	s_waitcnt vmcnt(0)
	v_add_f64 v[18:19], v[18:19], -v[25:26]
	v_add_f64 v[16:17], v[16:17], -v[23:24]
	s_delay_alu instid0(VALU_DEP_2) | instskip(NEXT) | instid1(VALU_DEP_3)
	v_cndmask_b32_e64 v19, 0, v19, s0
	v_cndmask_b32_e64 v18, 0, v18, s0
	global_store_b128 v[1:2], v[16:19], off
.LBB860_5:
	s_or_b32 exec_lo, exec_lo, s1
	v_add_nc_u32_e32 v2, 16, v0
	s_delay_alu instid0(VALU_DEP_1) | instskip(NEXT) | instid1(VALU_DEP_1)
	v_cmp_le_i32_e64 s0, v2, v21
	s_and_b32 s1, vcc_lo, s0
	s_delay_alu instid0(SALU_CYCLE_1)
	s_and_saveexec_b32 s0, s1
	s_cbranch_execz .LBB860_7
; %bb.6:
	v_ashrrev_i32_e32 v3, 31, v2
	s_delay_alu instid0(VALU_DEP_1) | instskip(NEXT) | instid1(VALU_DEP_1)
	v_lshlrev_b64 v[16:17], 4, v[2:3]
	v_add_co_u32 v23, vcc_lo, v20, v16
	s_delay_alu instid0(VALU_DEP_2)
	v_add_co_ci_u32_e32 v24, vcc_lo, v22, v17, vcc_lo
	v_cmp_ne_u32_e32 vcc_lo, v21, v2
	global_load_b128 v[16:19], v[23:24], off
	s_waitcnt vmcnt(0)
	v_add_f64 v[14:15], v[14:15], -v[18:19]
	v_add_f64 v[12:13], v[12:13], -v[16:17]
	s_delay_alu instid0(VALU_DEP_2)
	v_dual_cndmask_b32 v15, 0, v15 :: v_dual_cndmask_b32 v14, 0, v14
	global_store_b128 v[23:24], v[12:15], off
.LBB860_7:
	s_or_b32 exec_lo, exec_lo, s0
	v_add_nc_u32_e32 v3, 16, v21
	s_delay_alu instid0(VALU_DEP_1) | instskip(SKIP_2) | instid1(VALU_DEP_1)
	v_mad_i64_i32 v[12:13], null, v3, s3, 0
	v_cmp_gt_i32_e32 vcc_lo, s2, v3
	v_cmp_le_i32_e64 s0, v0, v3
	s_and_b32 s0, vcc_lo, s0
	s_delay_alu instid0(VALU_DEP_3) | instskip(NEXT) | instid1(VALU_DEP_1)
	v_lshlrev_b64 v[12:13], 4, v[12:13]
	v_add_co_u32 v12, s1, s4, v12
	s_delay_alu instid0(VALU_DEP_1)
	v_add_co_ci_u32_e64 v13, s1, s5, v13, s1
	s_and_saveexec_b32 s1, s0
	s_cbranch_execz .LBB860_9
; %bb.8:
	v_ashrrev_i32_e32 v1, 31, v0
	s_delay_alu instid0(VALU_DEP_1) | instskip(NEXT) | instid1(VALU_DEP_1)
	v_lshlrev_b64 v[14:15], 4, v[0:1]
	v_add_co_u32 v18, s0, v12, v14
	s_delay_alu instid0(VALU_DEP_1)
	v_add_co_ci_u32_e64 v19, s0, v13, v15, s0
	v_cmp_ne_u32_e64 s0, v3, v0
	global_load_b128 v[14:17], v[18:19], off
	s_waitcnt vmcnt(0)
	v_add_f64 v[10:11], v[10:11], -v[16:17]
	v_add_f64 v[8:9], v[8:9], -v[14:15]
	s_delay_alu instid0(VALU_DEP_2) | instskip(NEXT) | instid1(VALU_DEP_3)
	v_cndmask_b32_e64 v11, 0, v11, s0
	v_cndmask_b32_e64 v10, 0, v10, s0
	global_store_b128 v[18:19], v[8:11], off
.LBB860_9:
	s_or_b32 exec_lo, exec_lo, s1
	v_cmp_le_i32_e64 s0, v2, v3
	s_delay_alu instid0(VALU_DEP_1) | instskip(NEXT) | instid1(SALU_CYCLE_1)
	s_and_b32 s0, vcc_lo, s0
	s_and_saveexec_b32 s1, s0
	s_cbranch_execz .LBB860_11
; %bb.10:
	v_ashrrev_i32_e32 v3, 31, v2
	s_delay_alu instid0(VALU_DEP_1) | instskip(NEXT) | instid1(VALU_DEP_1)
	v_lshlrev_b64 v[1:2], 4, v[2:3]
	v_add_co_u32 v12, vcc_lo, v12, v1
	s_delay_alu instid0(VALU_DEP_2)
	v_add_co_ci_u32_e32 v13, vcc_lo, v13, v2, vcc_lo
	v_cmp_ne_u32_e32 vcc_lo, v21, v0
	global_load_b128 v[8:11], v[12:13], off
	s_waitcnt vmcnt(0)
	v_add_f64 v[3:4], v[4:5], -v[10:11]
	v_add_f64 v[1:2], v[6:7], -v[8:9]
	s_delay_alu instid0(VALU_DEP_2)
	v_dual_cndmask_b32 v4, 0, v4 :: v_dual_cndmask_b32 v3, 0, v3
	global_store_b128 v[12:13], v[1:4], off
.LBB860_11:
	s_nop 0
	s_sendmsg sendmsg(MSG_DEALLOC_VGPRS)
	s_endpgm
	.section	.rodata,"a",@progbits
	.p2align	6, 0x0
	.amdhsa_kernel _ZL37rocblas_syrkx_herkx_restricted_kernelIi19rocblas_complex_numIdELi16ELi32ELi8ELi1ELin1ELb1ELc78ELc85EKPKS1_KPS1_EviT_PT9_S7_lS9_S7_lPT10_S7_li
		.amdhsa_group_segment_fixed_size 8192
		.amdhsa_private_segment_fixed_size 0
		.amdhsa_kernarg_size 84
		.amdhsa_user_sgpr_count 13
		.amdhsa_user_sgpr_dispatch_ptr 0
		.amdhsa_user_sgpr_queue_ptr 0
		.amdhsa_user_sgpr_kernarg_segment_ptr 1
		.amdhsa_user_sgpr_dispatch_id 0
		.amdhsa_user_sgpr_private_segment_size 0
		.amdhsa_wavefront_size32 1
		.amdhsa_uses_dynamic_stack 0
		.amdhsa_enable_private_segment 0
		.amdhsa_system_sgpr_workgroup_id_x 1
		.amdhsa_system_sgpr_workgroup_id_y 1
		.amdhsa_system_sgpr_workgroup_id_z 1
		.amdhsa_system_sgpr_workgroup_info 0
		.amdhsa_system_vgpr_workitem_id 1
		.amdhsa_next_free_vgpr 118
		.amdhsa_next_free_sgpr 20
		.amdhsa_reserve_vcc 1
		.amdhsa_float_round_mode_32 0
		.amdhsa_float_round_mode_16_64 0
		.amdhsa_float_denorm_mode_32 3
		.amdhsa_float_denorm_mode_16_64 3
		.amdhsa_dx10_clamp 1
		.amdhsa_ieee_mode 1
		.amdhsa_fp16_overflow 0
		.amdhsa_workgroup_processor_mode 1
		.amdhsa_memory_ordered 1
		.amdhsa_forward_progress 0
		.amdhsa_shared_vgpr_count 0
		.amdhsa_exception_fp_ieee_invalid_op 0
		.amdhsa_exception_fp_denorm_src 0
		.amdhsa_exception_fp_ieee_div_zero 0
		.amdhsa_exception_fp_ieee_overflow 0
		.amdhsa_exception_fp_ieee_underflow 0
		.amdhsa_exception_fp_ieee_inexact 0
		.amdhsa_exception_int_div_zero 0
	.end_amdhsa_kernel
	.section	.text._ZL37rocblas_syrkx_herkx_restricted_kernelIi19rocblas_complex_numIdELi16ELi32ELi8ELi1ELin1ELb1ELc78ELc85EKPKS1_KPS1_EviT_PT9_S7_lS9_S7_lPT10_S7_li,"axG",@progbits,_ZL37rocblas_syrkx_herkx_restricted_kernelIi19rocblas_complex_numIdELi16ELi32ELi8ELi1ELin1ELb1ELc78ELc85EKPKS1_KPS1_EviT_PT9_S7_lS9_S7_lPT10_S7_li,comdat
.Lfunc_end860:
	.size	_ZL37rocblas_syrkx_herkx_restricted_kernelIi19rocblas_complex_numIdELi16ELi32ELi8ELi1ELin1ELb1ELc78ELc85EKPKS1_KPS1_EviT_PT9_S7_lS9_S7_lPT10_S7_li, .Lfunc_end860-_ZL37rocblas_syrkx_herkx_restricted_kernelIi19rocblas_complex_numIdELi16ELi32ELi8ELi1ELin1ELb1ELc78ELc85EKPKS1_KPS1_EviT_PT9_S7_lS9_S7_lPT10_S7_li
                                        ; -- End function
	.section	.AMDGPU.csdata,"",@progbits
; Kernel info:
; codeLenInByte = 3076
; NumSgprs: 22
; NumVgprs: 118
; ScratchSize: 0
; MemoryBound: 0
; FloatMode: 240
; IeeeMode: 1
; LDSByteSize: 8192 bytes/workgroup (compile time only)
; SGPRBlocks: 2
; VGPRBlocks: 14
; NumSGPRsForWavesPerEU: 22
; NumVGPRsForWavesPerEU: 118
; Occupancy: 12
; WaveLimiterHint : 1
; COMPUTE_PGM_RSRC2:SCRATCH_EN: 0
; COMPUTE_PGM_RSRC2:USER_SGPR: 13
; COMPUTE_PGM_RSRC2:TRAP_HANDLER: 0
; COMPUTE_PGM_RSRC2:TGID_X_EN: 1
; COMPUTE_PGM_RSRC2:TGID_Y_EN: 1
; COMPUTE_PGM_RSRC2:TGID_Z_EN: 1
; COMPUTE_PGM_RSRC2:TIDIG_COMP_CNT: 1
	.section	.text._ZL37rocblas_syrkx_herkx_restricted_kernelIi19rocblas_complex_numIdELi16ELi32ELi8ELi1ELi0ELb1ELc84ELc76EKPKS1_KPS1_EviT_PT9_S7_lS9_S7_lPT10_S7_li,"axG",@progbits,_ZL37rocblas_syrkx_herkx_restricted_kernelIi19rocblas_complex_numIdELi16ELi32ELi8ELi1ELi0ELb1ELc84ELc76EKPKS1_KPS1_EviT_PT9_S7_lS9_S7_lPT10_S7_li,comdat
	.globl	_ZL37rocblas_syrkx_herkx_restricted_kernelIi19rocblas_complex_numIdELi16ELi32ELi8ELi1ELi0ELb1ELc84ELc76EKPKS1_KPS1_EviT_PT9_S7_lS9_S7_lPT10_S7_li ; -- Begin function _ZL37rocblas_syrkx_herkx_restricted_kernelIi19rocblas_complex_numIdELi16ELi32ELi8ELi1ELi0ELb1ELc84ELc76EKPKS1_KPS1_EviT_PT9_S7_lS9_S7_lPT10_S7_li
	.p2align	8
	.type	_ZL37rocblas_syrkx_herkx_restricted_kernelIi19rocblas_complex_numIdELi16ELi32ELi8ELi1ELi0ELb1ELc84ELc76EKPKS1_KPS1_EviT_PT9_S7_lS9_S7_lPT10_S7_li,@function
_ZL37rocblas_syrkx_herkx_restricted_kernelIi19rocblas_complex_numIdELi16ELi32ELi8ELi1ELi0ELb1ELc84ELc76EKPKS1_KPS1_EviT_PT9_S7_lS9_S7_lPT10_S7_li: ; @_ZL37rocblas_syrkx_herkx_restricted_kernelIi19rocblas_complex_numIdELi16ELi32ELi8ELi1ELi0ELb1ELc84ELc76EKPKS1_KPS1_EviT_PT9_S7_lS9_S7_lPT10_S7_li
; %bb.0:
	s_clause 0x1
	s_load_b64 s[4:5], s[0:1], 0x38
	s_load_b64 s[2:3], s[0:1], 0x0
	s_mov_b32 s6, s15
	s_mov_b32 s7, 0
	v_mov_b32_e32 v6, 0
	s_lshl_b64 s[8:9], s[6:7], 3
	v_dual_mov_b32 v7, 0 :: v_dual_and_b32 v20, 0x3ff, v0
	v_bfe_u32 v21, v0, 10, 10
	s_delay_alu instid0(VALU_DEP_3) | instskip(NEXT) | instid1(VALU_DEP_3)
	v_mov_b32_e32 v4, v6
	v_dual_mov_b32 v2, v6 :: v_dual_mov_b32 v3, v7
	v_dual_mov_b32 v19, v7 :: v_dual_mov_b32 v18, v6
	v_mov_b32_e32 v5, v7
	v_dual_mov_b32 v17, v7 :: v_dual_mov_b32 v16, v6
	v_dual_mov_b32 v15, v7 :: v_dual_mov_b32 v14, v6
	;; [unrolled: 1-line block ×3, first 2 shown]
	s_waitcnt lgkmcnt(0)
	s_add_u32 s4, s4, s8
	s_addc_u32 s5, s5, s9
	v_dual_mov_b32 v13, v7 :: v_dual_mov_b32 v12, v6
	s_load_b64 s[4:5], s[4:5], 0x0
	s_lshl_b32 s6, s13, 5
	s_lshl_b32 s10, s14, 5
	s_cmp_lt_i32 s3, 1
	s_cbranch_scc1 .LBB861_3
; %bb.1:
	s_clause 0x3
	s_load_b64 s[12:13], s[0:1], 0x8
	s_load_b64 s[14:15], s[0:1], 0x20
	s_load_b32 s11, s[0:1], 0x10
	s_load_b32 s16, s[0:1], 0x28
	v_lshl_add_u32 v2, v21, 4, v20
	v_dual_mov_b32 v1, 0 :: v_dual_and_b32 v0, 7, v20
	v_mov_b32_e32 v12, 0
	v_dual_mov_b32 v13, 0 :: v_dual_lshlrev_b32 v22, 4, v20
	s_delay_alu instid0(VALU_DEP_4) | instskip(SKIP_3) | instid1(VALU_DEP_4)
	v_and_b32_e32 v9, 31, v2
	v_lshrrev_b32_e32 v8, 3, v2
	v_lshrrev_b32_e32 v2, 5, v2
	v_mov_b32_e32 v3, v1
	v_dual_mov_b32 v15, v13 :: v_dual_add_nc_u32 v6, s6, v9
	s_delay_alu instid0(VALU_DEP_4)
	v_add_nc_u32_e32 v10, s10, v8
	v_dual_mov_b32 v14, v12 :: v_dual_lshlrev_b32 v9, 4, v9
	v_mov_b32_e32 v17, v13
	s_waitcnt lgkmcnt(0)
	s_add_u32 s12, s12, s8
	s_addc_u32 s13, s13, s9
	s_add_u32 s8, s14, s8
	s_load_b64 s[12:13], s[12:13], 0x0
	s_addc_u32 s9, s15, s9
	v_mad_i64_i32 v[4:5], null, s11, v6, v[2:3]
	s_load_b64 s[8:9], s[8:9], 0x0
	v_lshlrev_b32_e32 v3, 4, v0
	v_mad_i64_i32 v[6:7], null, s16, v10, v[0:1]
	v_mov_b32_e32 v0, v12
	v_lshl_or_b32 v24, v2, 9, v9
	s_delay_alu instid0(VALU_DEP_4)
	v_lshl_or_b32 v8, v8, 7, v3
	v_lshlrev_b64 v[3:4], 4, v[4:5]
	v_mov_b32_e32 v19, v13
	v_lshl_add_u32 v23, v21, 7, 0x1000
	v_lshlrev_b64 v[5:6], 4, v[6:7]
	v_dual_mov_b32 v16, v12 :: v_dual_add_nc_u32 v25, 0x1000, v8
	v_dual_mov_b32 v1, v13 :: v_dual_mov_b32 v18, v12
	s_waitcnt lgkmcnt(0)
	v_add_co_u32 v2, vcc_lo, v3, s12
	v_add_co_ci_u32_e32 v3, vcc_lo, s13, v4, vcc_lo
	v_add_co_u32 v4, vcc_lo, v5, s8
	v_add_co_ci_u32_e32 v5, vcc_lo, s9, v6, vcc_lo
	s_delay_alu instid0(VALU_DEP_4) | instskip(NEXT) | instid1(VALU_DEP_4)
	v_add_co_u32 v8, vcc_lo, v2, 8
	v_add_co_ci_u32_e32 v9, vcc_lo, 0, v3, vcc_lo
	s_delay_alu instid0(VALU_DEP_4)
	v_add_co_u32 v10, vcc_lo, v4, 8
	v_mov_b32_e32 v2, v12
	v_add_co_ci_u32_e32 v11, vcc_lo, 0, v5, vcc_lo
	v_dual_mov_b32 v3, v13 :: v_dual_mov_b32 v4, v12
	v_dual_mov_b32 v5, v13 :: v_dual_mov_b32 v6, v12
	v_mov_b32_e32 v7, v13
.LBB861_2:                              ; =>This Inner Loop Header: Depth=1
	global_load_b128 v[26:29], v[8:9], off offset:-8
	global_load_b128 v[30:33], v[10:11], off offset:-8
	v_add_co_u32 v8, vcc_lo, 0x80, v8
	v_add_co_ci_u32_e32 v9, vcc_lo, 0, v9, vcc_lo
	v_add_co_u32 v10, vcc_lo, 0x80, v10
	v_add_co_ci_u32_e32 v11, vcc_lo, 0, v11, vcc_lo
	s_add_i32 s7, s7, 8
	s_waitcnt vmcnt(1)
	ds_store_b128 v24, v[26:29]
	s_waitcnt vmcnt(0)
	ds_store_b128 v25, v[30:33]
	s_waitcnt lgkmcnt(0)
	s_barrier
	buffer_gl0_inv
	ds_load_b128 v[26:29], v23
	ds_load_b128 v[30:33], v22
	ds_load_b128 v[34:37], v22 offset:256
	ds_load_b128 v[38:41], v23 offset:2048
	;; [unrolled: 1-line block ×13, first 2 shown]
	s_cmp_ge_i32 s7, s3
	s_waitcnt lgkmcnt(13)
	v_mul_f64 v[86:87], v[28:29], v[32:33]
	v_mul_f64 v[88:89], v[26:27], v[32:33]
	s_waitcnt lgkmcnt(12)
	v_mul_f64 v[90:91], v[28:29], v[36:37]
	v_mul_f64 v[92:93], v[26:27], v[36:37]
	;; [unrolled: 3-line block ×3, first 2 shown]
	v_mul_f64 v[96:97], v[40:41], v[36:37]
	v_mul_f64 v[36:37], v[38:39], v[36:37]
	s_waitcnt lgkmcnt(8)
	v_mul_f64 v[98:99], v[44:45], v[52:53]
	v_mul_f64 v[100:101], v[42:43], v[52:53]
	s_waitcnt lgkmcnt(7)
	v_mul_f64 v[102:103], v[44:45], v[56:57]
	v_mul_f64 v[104:105], v[42:43], v[56:57]
	;; [unrolled: 1-line block ×6, first 2 shown]
	s_waitcnt lgkmcnt(3)
	v_mul_f64 v[112:113], v[58:59], v[72:73]
	s_waitcnt lgkmcnt(2)
	v_mul_f64 v[114:115], v[76:77], v[68:69]
	v_mul_f64 v[116:117], v[76:77], v[72:73]
	v_fma_f64 v[86:87], v[26:27], v[30:31], -v[86:87]
	v_fma_f64 v[88:89], v[28:29], v[30:31], v[88:89]
	v_fma_f64 v[90:91], v[26:27], v[34:35], -v[90:91]
	v_fma_f64 v[92:93], v[28:29], v[34:35], v[92:93]
	;; [unrolled: 2-line block ×4, first 2 shown]
	v_mul_f64 v[36:37], v[60:61], v[68:69]
	v_mul_f64 v[40:41], v[58:59], v[68:69]
	;; [unrolled: 1-line block ×5, first 2 shown]
	v_fma_f64 v[98:99], v[42:43], v[50:51], -v[98:99]
	v_fma_f64 v[100:101], v[44:45], v[50:51], v[100:101]
	v_fma_f64 v[42:43], v[42:43], v[54:55], -v[102:103]
	v_fma_f64 v[44:45], v[44:45], v[54:55], v[104:105]
	;; [unrolled: 2-line block ×4, first 2 shown]
	ds_load_b128 v[26:29], v22 offset:1792
	ds_load_b128 v[30:33], v22 offset:2048
	v_add_f64 v[52:53], v[6:7], v[86:87]
	v_add_f64 v[18:19], v[18:19], v[88:89]
	;; [unrolled: 1-line block ×8, first 2 shown]
	s_waitcnt lgkmcnt(2)
	v_mul_f64 v[86:87], v[64:65], v[84:85]
	v_mul_f64 v[88:89], v[62:63], v[84:85]
	s_waitcnt lgkmcnt(1)
	v_mul_f64 v[90:91], v[64:65], v[28:29]
	v_mul_f64 v[92:93], v[62:63], v[28:29]
	;; [unrolled: 1-line block ×6, first 2 shown]
	v_fma_f64 v[106:107], v[58:59], v[66:67], -v[36:37]
	v_fma_f64 v[108:109], v[60:61], v[66:67], v[40:41]
	v_fma_f64 v[58:59], v[58:59], v[70:71], -v[96:97]
	v_fma_f64 v[60:61], v[60:61], v[70:71], v[112:113]
	;; [unrolled: 2-line block ×4, first 2 shown]
	ds_load_b128 v[0:3], v22 offset:2304
	ds_load_b128 v[4:7], v23 offset:64
	v_add_f64 v[52:53], v[52:53], v[98:99]
	v_add_f64 v[72:73], v[18:19], v[100:101]
	;; [unrolled: 1-line block ×8, first 2 shown]
	ds_load_b128 v[12:15], v23 offset:2112
	ds_load_b128 v[16:19], v23 offset:80
	;; [unrolled: 1-line block ×4, first 2 shown]
	s_waitcnt lgkmcnt(4)
	v_mul_f64 v[56:57], v[6:7], v[32:33]
	v_mul_f64 v[74:75], v[4:5], v[32:33]
	;; [unrolled: 1-line block ×4, first 2 shown]
	v_fma_f64 v[86:87], v[62:63], v[82:83], -v[86:87]
	v_fma_f64 v[88:89], v[64:65], v[82:83], v[88:89]
	v_fma_f64 v[62:63], v[62:63], v[26:27], -v[90:91]
	v_fma_f64 v[64:65], v[64:65], v[26:27], v[92:93]
	;; [unrolled: 2-line block ×4, first 2 shown]
	s_waitcnt lgkmcnt(3)
	v_mul_f64 v[100:101], v[14:15], v[32:33]
	v_mul_f64 v[32:33], v[12:13], v[32:33]
	;; [unrolled: 1-line block ×4, first 2 shown]
	s_waitcnt lgkmcnt(0)
	v_mul_f64 v[92:93], v[18:19], v[40:41]
	v_mul_f64 v[94:95], v[16:17], v[40:41]
	v_add_f64 v[84:85], v[52:53], v[106:107]
	v_add_f64 v[72:73], v[72:73], v[108:109]
	;; [unrolled: 1-line block ×8, first 2 shown]
	ds_load_b128 v[26:29], v22 offset:2816
	ds_load_b128 v[42:45], v22 offset:3072
	;; [unrolled: 1-line block ×4, first 2 shown]
	v_mul_f64 v[106:107], v[36:37], v[40:41]
	v_mul_f64 v[40:41], v[34:35], v[40:41]
	v_fma_f64 v[56:57], v[4:5], v[30:31], -v[56:57]
	v_fma_f64 v[74:75], v[6:7], v[30:31], v[74:75]
	v_fma_f64 v[76:77], v[4:5], v[0:1], -v[76:77]
	v_fma_f64 v[98:99], v[6:7], v[0:1], v[98:99]
	s_waitcnt lgkmcnt(3)
	v_mul_f64 v[96:97], v[18:19], v[28:29]
	v_mul_f64 v[104:105], v[16:17], v[28:29]
	v_mul_f64 v[108:109], v[36:37], v[28:29]
	v_mul_f64 v[110:111], v[34:35], v[28:29]
	v_fma_f64 v[100:101], v[12:13], v[30:31], -v[100:101]
	v_fma_f64 v[32:33], v[14:15], v[30:31], v[32:33]
	v_fma_f64 v[102:103], v[12:13], v[0:1], -v[102:103]
	v_fma_f64 v[112:113], v[14:15], v[0:1], v[2:3]
	ds_load_b128 v[0:3], v23 offset:2144
	ds_load_b128 v[4:7], v23 offset:112
	;; [unrolled: 1-line block ×4, first 2 shown]
	v_add_f64 v[84:85], v[84:85], v[86:87]
	v_add_f64 v[72:73], v[72:73], v[88:89]
	;; [unrolled: 1-line block ×8, first 2 shown]
	s_waitcnt lgkmcnt(4)
	v_mul_f64 v[68:69], v[52:53], v[44:45]
	v_mul_f64 v[70:71], v[50:51], v[44:45]
	;; [unrolled: 1-line block ×4, first 2 shown]
	s_waitcnt lgkmcnt(3)
	v_mul_f64 v[82:83], v[2:3], v[44:45]
	v_mul_f64 v[44:45], v[0:1], v[44:45]
	;; [unrolled: 1-line block ×4, first 2 shown]
	v_fma_f64 v[88:89], v[16:17], v[38:39], -v[92:93]
	v_fma_f64 v[90:91], v[18:19], v[38:39], v[94:95]
	v_fma_f64 v[92:93], v[16:17], v[26:27], -v[96:97]
	v_fma_f64 v[94:95], v[18:19], v[26:27], v[104:105]
	;; [unrolled: 2-line block ×4, first 2 shown]
	ds_load_b128 v[16:19], v22 offset:3840
	s_waitcnt lgkmcnt(0)
	s_barrier
	buffer_gl0_inv
	v_add_f64 v[36:37], v[84:85], v[56:57]
	v_add_f64 v[40:41], v[72:73], v[74:75]
	;; [unrolled: 1-line block ×8, first 2 shown]
	v_mul_f64 v[64:65], v[6:7], v[30:31]
	v_mul_f64 v[66:67], v[4:5], v[30:31]
	;; [unrolled: 1-line block ×4, first 2 shown]
	v_fma_f64 v[68:69], v[50:51], v[42:43], -v[68:69]
	v_mul_f64 v[72:73], v[6:7], v[18:19]
	v_mul_f64 v[74:75], v[4:5], v[18:19]
	v_mul_f64 v[84:85], v[14:15], v[18:19]
	v_mul_f64 v[18:19], v[12:13], v[18:19]
	v_fma_f64 v[70:71], v[52:53], v[42:43], v[70:71]
	v_fma_f64 v[50:51], v[50:51], v[46:47], -v[78:79]
	v_fma_f64 v[52:53], v[52:53], v[46:47], v[80:81]
	v_fma_f64 v[78:79], v[0:1], v[42:43], -v[82:83]
	;; [unrolled: 2-line block ×3, first 2 shown]
	v_fma_f64 v[2:3], v[2:3], v[46:47], v[48:49]
	v_add_f64 v[36:37], v[36:37], v[88:89]
	v_add_f64 v[40:41], v[40:41], v[90:91]
	;; [unrolled: 1-line block ×8, first 2 shown]
	v_fma_f64 v[38:39], v[4:5], v[28:29], -v[64:65]
	v_fma_f64 v[54:55], v[6:7], v[28:29], v[66:67]
	v_fma_f64 v[58:59], v[12:13], v[28:29], -v[76:77]
	v_fma_f64 v[28:29], v[14:15], v[28:29], v[30:31]
	v_fma_f64 v[4:5], v[4:5], v[16:17], -v[72:73]
	v_fma_f64 v[56:57], v[6:7], v[16:17], v[74:75]
	v_fma_f64 v[12:13], v[12:13], v[16:17], -v[84:85]
	v_fma_f64 v[30:31], v[14:15], v[16:17], v[18:19]
	v_add_f64 v[6:7], v[36:37], v[68:69]
	v_add_f64 v[14:15], v[40:41], v[70:71]
	;; [unrolled: 1-line block ×16, first 2 shown]
	s_cbranch_scc0 .LBB861_2
.LBB861_3:
	s_load_b32 s3, s[0:1], 0x40
	v_add_nc_u32_e32 v21, s10, v21
	v_add_nc_u32_e32 v10, s6, v20
	s_delay_alu instid0(VALU_DEP_1) | instskip(SKIP_1) | instid1(VALU_DEP_2)
	v_cmp_le_i32_e64 s0, v21, v10
	v_cmp_gt_i32_e32 vcc_lo, s2, v10
	s_and_b32 s0, s0, vcc_lo
	s_waitcnt lgkmcnt(0)
	v_mad_i64_i32 v[8:9], null, v21, s3, 0
	s_delay_alu instid0(VALU_DEP_1) | instskip(NEXT) | instid1(VALU_DEP_1)
	v_lshlrev_b64 v[8:9], 4, v[8:9]
	v_add_co_u32 v20, s1, s4, v8
	s_delay_alu instid0(VALU_DEP_1)
	v_add_co_ci_u32_e64 v22, s1, s5, v9, s1
	s_and_saveexec_b32 s6, s0
	s_cbranch_execz .LBB861_5
; %bb.4:
	v_ashrrev_i32_e32 v11, 31, v10
	v_cmp_ne_u32_e64 s0, v21, v10
	s_delay_alu instid0(VALU_DEP_2) | instskip(NEXT) | instid1(VALU_DEP_2)
	v_lshlrev_b64 v[23:24], 4, v[10:11]
	v_cndmask_b32_e64 v9, 0, v19, s0
	v_cndmask_b32_e64 v8, 0, v18, s0
	s_delay_alu instid0(VALU_DEP_3) | instskip(NEXT) | instid1(VALU_DEP_1)
	v_add_co_u32 v23, s1, v20, v23
	v_add_co_ci_u32_e64 v24, s1, v22, v24, s1
	global_store_b128 v[23:24], v[6:9], off
.LBB861_5:
	s_or_b32 exec_lo, exec_lo, s6
	v_add_nc_u32_e32 v8, 16, v10
	s_delay_alu instid0(VALU_DEP_1) | instskip(SKIP_1) | instid1(VALU_DEP_1)
	v_cmp_le_i32_e64 s1, v21, v8
	v_cmp_gt_i32_e64 s0, s2, v8
	s_and_b32 s1, s1, s0
	s_delay_alu instid0(SALU_CYCLE_1)
	s_and_saveexec_b32 s6, s1
	s_cbranch_execz .LBB861_7
; %bb.6:
	v_ashrrev_i32_e32 v9, 31, v8
	v_cmp_ne_u32_e64 s1, v21, v8
	s_delay_alu instid0(VALU_DEP_2) | instskip(NEXT) | instid1(VALU_DEP_2)
	v_lshlrev_b64 v[18:19], 4, v[8:9]
	v_cndmask_b32_e64 v7, 0, v17, s1
	v_cndmask_b32_e64 v6, 0, v16, s1
	s_delay_alu instid0(VALU_DEP_3) | instskip(NEXT) | instid1(VALU_DEP_1)
	v_add_co_u32 v17, s2, v20, v18
	v_add_co_ci_u32_e64 v18, s2, v22, v19, s2
	global_store_b128 v[17:18], v[4:7], off
.LBB861_7:
	s_or_b32 exec_lo, exec_lo, s6
	v_add_nc_u32_e32 v9, 16, v21
	s_delay_alu instid0(VALU_DEP_1) | instskip(SKIP_1) | instid1(VALU_DEP_1)
	v_mad_i64_i32 v[4:5], null, v9, s3, 0
	v_cmp_le_i32_e64 s1, v9, v10
	s_and_b32 s1, s1, vcc_lo
	s_delay_alu instid0(VALU_DEP_2) | instskip(NEXT) | instid1(VALU_DEP_1)
	v_lshlrev_b64 v[4:5], 4, v[4:5]
	v_add_co_u32 v6, s2, s4, v4
	s_delay_alu instid0(VALU_DEP_1)
	v_add_co_ci_u32_e64 v7, s2, s5, v5, s2
	s_and_saveexec_b32 s2, s1
	s_cbranch_execz .LBB861_9
; %bb.8:
	v_ashrrev_i32_e32 v11, 31, v10
	v_cmp_ne_u32_e32 vcc_lo, v9, v10
	s_delay_alu instid0(VALU_DEP_2) | instskip(SKIP_1) | instid1(VALU_DEP_2)
	v_lshlrev_b64 v[16:17], 4, v[10:11]
	v_dual_cndmask_b32 v5, 0, v15 :: v_dual_cndmask_b32 v4, 0, v14
	v_add_co_u32 v15, s1, v6, v16
	s_delay_alu instid0(VALU_DEP_1)
	v_add_co_ci_u32_e64 v16, s1, v7, v17, s1
	global_store_b128 v[15:16], v[2:5], off
.LBB861_9:
	s_or_b32 exec_lo, exec_lo, s2
	v_cmp_le_i32_e32 vcc_lo, v9, v8
	s_and_b32 s0, vcc_lo, s0
	s_delay_alu instid0(SALU_CYCLE_1)
	s_and_saveexec_b32 s1, s0
	s_cbranch_execz .LBB861_11
; %bb.10:
	v_ashrrev_i32_e32 v9, 31, v8
	v_cmp_ne_u32_e32 vcc_lo, v21, v10
	s_delay_alu instid0(VALU_DEP_2) | instskip(SKIP_1) | instid1(VALU_DEP_2)
	v_lshlrev_b64 v[4:5], 4, v[8:9]
	v_dual_cndmask_b32 v3, 0, v13 :: v_dual_cndmask_b32 v2, 0, v12
	v_add_co_u32 v4, s0, v6, v4
	s_delay_alu instid0(VALU_DEP_1)
	v_add_co_ci_u32_e64 v5, s0, v7, v5, s0
	global_store_b128 v[4:5], v[0:3], off
.LBB861_11:
	s_nop 0
	s_sendmsg sendmsg(MSG_DEALLOC_VGPRS)
	s_endpgm
	.section	.rodata,"a",@progbits
	.p2align	6, 0x0
	.amdhsa_kernel _ZL37rocblas_syrkx_herkx_restricted_kernelIi19rocblas_complex_numIdELi16ELi32ELi8ELi1ELi0ELb1ELc84ELc76EKPKS1_KPS1_EviT_PT9_S7_lS9_S7_lPT10_S7_li
		.amdhsa_group_segment_fixed_size 8192
		.amdhsa_private_segment_fixed_size 0
		.amdhsa_kernarg_size 84
		.amdhsa_user_sgpr_count 13
		.amdhsa_user_sgpr_dispatch_ptr 0
		.amdhsa_user_sgpr_queue_ptr 0
		.amdhsa_user_sgpr_kernarg_segment_ptr 1
		.amdhsa_user_sgpr_dispatch_id 0
		.amdhsa_user_sgpr_private_segment_size 0
		.amdhsa_wavefront_size32 1
		.amdhsa_uses_dynamic_stack 0
		.amdhsa_enable_private_segment 0
		.amdhsa_system_sgpr_workgroup_id_x 1
		.amdhsa_system_sgpr_workgroup_id_y 1
		.amdhsa_system_sgpr_workgroup_id_z 1
		.amdhsa_system_sgpr_workgroup_info 0
		.amdhsa_system_vgpr_workitem_id 1
		.amdhsa_next_free_vgpr 118
		.amdhsa_next_free_sgpr 17
		.amdhsa_reserve_vcc 1
		.amdhsa_float_round_mode_32 0
		.amdhsa_float_round_mode_16_64 0
		.amdhsa_float_denorm_mode_32 3
		.amdhsa_float_denorm_mode_16_64 3
		.amdhsa_dx10_clamp 1
		.amdhsa_ieee_mode 1
		.amdhsa_fp16_overflow 0
		.amdhsa_workgroup_processor_mode 1
		.amdhsa_memory_ordered 1
		.amdhsa_forward_progress 0
		.amdhsa_shared_vgpr_count 0
		.amdhsa_exception_fp_ieee_invalid_op 0
		.amdhsa_exception_fp_denorm_src 0
		.amdhsa_exception_fp_ieee_div_zero 0
		.amdhsa_exception_fp_ieee_overflow 0
		.amdhsa_exception_fp_ieee_underflow 0
		.amdhsa_exception_fp_ieee_inexact 0
		.amdhsa_exception_int_div_zero 0
	.end_amdhsa_kernel
	.section	.text._ZL37rocblas_syrkx_herkx_restricted_kernelIi19rocblas_complex_numIdELi16ELi32ELi8ELi1ELi0ELb1ELc84ELc76EKPKS1_KPS1_EviT_PT9_S7_lS9_S7_lPT10_S7_li,"axG",@progbits,_ZL37rocblas_syrkx_herkx_restricted_kernelIi19rocblas_complex_numIdELi16ELi32ELi8ELi1ELi0ELb1ELc84ELc76EKPKS1_KPS1_EviT_PT9_S7_lS9_S7_lPT10_S7_li,comdat
.Lfunc_end861:
	.size	_ZL37rocblas_syrkx_herkx_restricted_kernelIi19rocblas_complex_numIdELi16ELi32ELi8ELi1ELi0ELb1ELc84ELc76EKPKS1_KPS1_EviT_PT9_S7_lS9_S7_lPT10_S7_li, .Lfunc_end861-_ZL37rocblas_syrkx_herkx_restricted_kernelIi19rocblas_complex_numIdELi16ELi32ELi8ELi1ELi0ELb1ELc84ELc76EKPKS1_KPS1_EviT_PT9_S7_lS9_S7_lPT10_S7_li
                                        ; -- End function
	.section	.AMDGPU.csdata,"",@progbits
; Kernel info:
; codeLenInByte = 2936
; NumSgprs: 19
; NumVgprs: 118
; ScratchSize: 0
; MemoryBound: 0
; FloatMode: 240
; IeeeMode: 1
; LDSByteSize: 8192 bytes/workgroup (compile time only)
; SGPRBlocks: 2
; VGPRBlocks: 14
; NumSGPRsForWavesPerEU: 19
; NumVGPRsForWavesPerEU: 118
; Occupancy: 12
; WaveLimiterHint : 1
; COMPUTE_PGM_RSRC2:SCRATCH_EN: 0
; COMPUTE_PGM_RSRC2:USER_SGPR: 13
; COMPUTE_PGM_RSRC2:TRAP_HANDLER: 0
; COMPUTE_PGM_RSRC2:TGID_X_EN: 1
; COMPUTE_PGM_RSRC2:TGID_Y_EN: 1
; COMPUTE_PGM_RSRC2:TGID_Z_EN: 1
; COMPUTE_PGM_RSRC2:TIDIG_COMP_CNT: 1
	.section	.text._ZL37rocblas_syrkx_herkx_restricted_kernelIi19rocblas_complex_numIdELi16ELi32ELi8ELi1ELi0ELb1ELc67ELc76EKPKS1_KPS1_EviT_PT9_S7_lS9_S7_lPT10_S7_li,"axG",@progbits,_ZL37rocblas_syrkx_herkx_restricted_kernelIi19rocblas_complex_numIdELi16ELi32ELi8ELi1ELi0ELb1ELc67ELc76EKPKS1_KPS1_EviT_PT9_S7_lS9_S7_lPT10_S7_li,comdat
	.globl	_ZL37rocblas_syrkx_herkx_restricted_kernelIi19rocblas_complex_numIdELi16ELi32ELi8ELi1ELi0ELb1ELc67ELc76EKPKS1_KPS1_EviT_PT9_S7_lS9_S7_lPT10_S7_li ; -- Begin function _ZL37rocblas_syrkx_herkx_restricted_kernelIi19rocblas_complex_numIdELi16ELi32ELi8ELi1ELi0ELb1ELc67ELc76EKPKS1_KPS1_EviT_PT9_S7_lS9_S7_lPT10_S7_li
	.p2align	8
	.type	_ZL37rocblas_syrkx_herkx_restricted_kernelIi19rocblas_complex_numIdELi16ELi32ELi8ELi1ELi0ELb1ELc67ELc76EKPKS1_KPS1_EviT_PT9_S7_lS9_S7_lPT10_S7_li,@function
_ZL37rocblas_syrkx_herkx_restricted_kernelIi19rocblas_complex_numIdELi16ELi32ELi8ELi1ELi0ELb1ELc67ELc76EKPKS1_KPS1_EviT_PT9_S7_lS9_S7_lPT10_S7_li: ; @_ZL37rocblas_syrkx_herkx_restricted_kernelIi19rocblas_complex_numIdELi16ELi32ELi8ELi1ELi0ELb1ELc67ELc76EKPKS1_KPS1_EviT_PT9_S7_lS9_S7_lPT10_S7_li
; %bb.0:
	s_clause 0x1
	s_load_b64 s[4:5], s[0:1], 0x38
	s_load_b64 s[2:3], s[0:1], 0x0
	s_mov_b32 s6, s15
	s_mov_b32 s7, 0
	v_mov_b32_e32 v6, 0
	s_lshl_b64 s[8:9], s[6:7], 3
	v_dual_mov_b32 v7, 0 :: v_dual_and_b32 v20, 0x3ff, v0
	v_bfe_u32 v21, v0, 10, 10
	s_delay_alu instid0(VALU_DEP_3) | instskip(NEXT) | instid1(VALU_DEP_3)
	v_mov_b32_e32 v4, v6
	v_dual_mov_b32 v2, v6 :: v_dual_mov_b32 v3, v7
	v_dual_mov_b32 v19, v7 :: v_dual_mov_b32 v18, v6
	v_mov_b32_e32 v5, v7
	v_dual_mov_b32 v17, v7 :: v_dual_mov_b32 v16, v6
	v_dual_mov_b32 v15, v7 :: v_dual_mov_b32 v14, v6
	;; [unrolled: 1-line block ×3, first 2 shown]
	s_waitcnt lgkmcnt(0)
	s_add_u32 s4, s4, s8
	s_addc_u32 s5, s5, s9
	v_dual_mov_b32 v13, v7 :: v_dual_mov_b32 v12, v6
	s_load_b64 s[4:5], s[4:5], 0x0
	s_lshl_b32 s6, s13, 5
	s_lshl_b32 s10, s14, 5
	s_cmp_lt_i32 s3, 1
	s_cbranch_scc1 .LBB862_3
; %bb.1:
	s_clause 0x3
	s_load_b64 s[12:13], s[0:1], 0x8
	s_load_b64 s[14:15], s[0:1], 0x20
	s_load_b32 s11, s[0:1], 0x10
	s_load_b32 s16, s[0:1], 0x28
	v_lshl_add_u32 v2, v21, 4, v20
	v_dual_mov_b32 v1, 0 :: v_dual_and_b32 v0, 7, v20
	v_mov_b32_e32 v12, 0
	v_dual_mov_b32 v13, 0 :: v_dual_lshlrev_b32 v22, 4, v20
	s_delay_alu instid0(VALU_DEP_4) | instskip(SKIP_3) | instid1(VALU_DEP_4)
	v_and_b32_e32 v9, 31, v2
	v_lshrrev_b32_e32 v8, 3, v2
	v_lshrrev_b32_e32 v2, 5, v2
	v_mov_b32_e32 v3, v1
	v_dual_mov_b32 v15, v13 :: v_dual_add_nc_u32 v6, s6, v9
	s_delay_alu instid0(VALU_DEP_4)
	v_add_nc_u32_e32 v10, s10, v8
	v_dual_mov_b32 v14, v12 :: v_dual_lshlrev_b32 v9, 4, v9
	v_mov_b32_e32 v17, v13
	s_waitcnt lgkmcnt(0)
	s_add_u32 s12, s12, s8
	s_addc_u32 s13, s13, s9
	s_add_u32 s8, s14, s8
	s_load_b64 s[12:13], s[12:13], 0x0
	s_addc_u32 s9, s15, s9
	v_mad_i64_i32 v[4:5], null, s11, v6, v[2:3]
	s_load_b64 s[8:9], s[8:9], 0x0
	v_lshlrev_b32_e32 v3, 4, v0
	v_mad_i64_i32 v[6:7], null, s16, v10, v[0:1]
	v_mov_b32_e32 v0, v12
	v_lshl_or_b32 v24, v2, 9, v9
	s_delay_alu instid0(VALU_DEP_4)
	v_lshl_or_b32 v8, v8, 7, v3
	v_lshlrev_b64 v[3:4], 4, v[4:5]
	v_mov_b32_e32 v19, v13
	v_lshl_add_u32 v23, v21, 7, 0x1000
	v_lshlrev_b64 v[5:6], 4, v[6:7]
	v_dual_mov_b32 v16, v12 :: v_dual_add_nc_u32 v25, 0x1000, v8
	v_dual_mov_b32 v1, v13 :: v_dual_mov_b32 v18, v12
	s_waitcnt lgkmcnt(0)
	v_add_co_u32 v2, vcc_lo, v3, s12
	v_add_co_ci_u32_e32 v3, vcc_lo, s13, v4, vcc_lo
	v_add_co_u32 v4, vcc_lo, v5, s8
	v_add_co_ci_u32_e32 v5, vcc_lo, s9, v6, vcc_lo
	s_delay_alu instid0(VALU_DEP_4) | instskip(NEXT) | instid1(VALU_DEP_4)
	v_add_co_u32 v8, vcc_lo, v2, 8
	v_add_co_ci_u32_e32 v9, vcc_lo, 0, v3, vcc_lo
	s_delay_alu instid0(VALU_DEP_4)
	v_add_co_u32 v10, vcc_lo, v4, 8
	v_mov_b32_e32 v2, v12
	v_add_co_ci_u32_e32 v11, vcc_lo, 0, v5, vcc_lo
	v_dual_mov_b32 v3, v13 :: v_dual_mov_b32 v4, v12
	v_dual_mov_b32 v5, v13 :: v_dual_mov_b32 v6, v12
	v_mov_b32_e32 v7, v13
.LBB862_2:                              ; =>This Inner Loop Header: Depth=1
	global_load_b128 v[26:29], v[8:9], off offset:-8
	global_load_b128 v[30:33], v[10:11], off offset:-8
	v_add_co_u32 v8, vcc_lo, 0x80, v8
	v_add_co_ci_u32_e32 v9, vcc_lo, 0, v9, vcc_lo
	v_add_co_u32 v10, vcc_lo, 0x80, v10
	v_add_co_ci_u32_e32 v11, vcc_lo, 0, v11, vcc_lo
	s_add_i32 s7, s7, 8
	s_delay_alu instid0(SALU_CYCLE_1)
	s_cmp_ge_i32 s7, s3
	s_waitcnt vmcnt(1)
	v_xor_b32_e32 v29, 0x80000000, v29
	ds_store_b128 v24, v[26:29]
	s_waitcnt vmcnt(0)
	ds_store_b128 v25, v[30:33]
	s_waitcnt lgkmcnt(0)
	s_barrier
	buffer_gl0_inv
	ds_load_b128 v[26:29], v23
	ds_load_b128 v[30:33], v22
	ds_load_b128 v[34:37], v22 offset:256
	ds_load_b128 v[38:41], v23 offset:2048
	;; [unrolled: 1-line block ×13, first 2 shown]
	s_waitcnt lgkmcnt(13)
	v_mul_f64 v[86:87], v[28:29], v[32:33]
	v_mul_f64 v[88:89], v[26:27], v[32:33]
	s_waitcnt lgkmcnt(12)
	v_mul_f64 v[90:91], v[28:29], v[36:37]
	v_mul_f64 v[92:93], v[26:27], v[36:37]
	;; [unrolled: 3-line block ×3, first 2 shown]
	v_mul_f64 v[96:97], v[40:41], v[36:37]
	v_mul_f64 v[36:37], v[38:39], v[36:37]
	s_waitcnt lgkmcnt(8)
	v_mul_f64 v[98:99], v[44:45], v[52:53]
	v_mul_f64 v[100:101], v[42:43], v[52:53]
	s_waitcnt lgkmcnt(7)
	v_mul_f64 v[102:103], v[44:45], v[56:57]
	v_mul_f64 v[104:105], v[42:43], v[56:57]
	;; [unrolled: 1-line block ×6, first 2 shown]
	s_waitcnt lgkmcnt(3)
	v_mul_f64 v[112:113], v[58:59], v[72:73]
	s_waitcnt lgkmcnt(2)
	v_mul_f64 v[114:115], v[76:77], v[68:69]
	v_mul_f64 v[116:117], v[76:77], v[72:73]
	v_fma_f64 v[86:87], v[26:27], v[30:31], -v[86:87]
	v_fma_f64 v[88:89], v[28:29], v[30:31], v[88:89]
	v_fma_f64 v[90:91], v[26:27], v[34:35], -v[90:91]
	v_fma_f64 v[92:93], v[28:29], v[34:35], v[92:93]
	;; [unrolled: 2-line block ×4, first 2 shown]
	v_mul_f64 v[36:37], v[60:61], v[68:69]
	v_mul_f64 v[40:41], v[58:59], v[68:69]
	;; [unrolled: 1-line block ×5, first 2 shown]
	v_fma_f64 v[98:99], v[42:43], v[50:51], -v[98:99]
	v_fma_f64 v[100:101], v[44:45], v[50:51], v[100:101]
	v_fma_f64 v[42:43], v[42:43], v[54:55], -v[102:103]
	v_fma_f64 v[44:45], v[44:45], v[54:55], v[104:105]
	;; [unrolled: 2-line block ×4, first 2 shown]
	ds_load_b128 v[26:29], v22 offset:1792
	ds_load_b128 v[30:33], v22 offset:2048
	v_add_f64 v[52:53], v[6:7], v[86:87]
	v_add_f64 v[18:19], v[18:19], v[88:89]
	;; [unrolled: 1-line block ×8, first 2 shown]
	s_waitcnt lgkmcnt(2)
	v_mul_f64 v[86:87], v[64:65], v[84:85]
	v_mul_f64 v[88:89], v[62:63], v[84:85]
	s_waitcnt lgkmcnt(1)
	v_mul_f64 v[90:91], v[64:65], v[28:29]
	v_mul_f64 v[92:93], v[62:63], v[28:29]
	;; [unrolled: 1-line block ×6, first 2 shown]
	v_fma_f64 v[106:107], v[58:59], v[66:67], -v[36:37]
	v_fma_f64 v[108:109], v[60:61], v[66:67], v[40:41]
	v_fma_f64 v[58:59], v[58:59], v[70:71], -v[96:97]
	v_fma_f64 v[60:61], v[60:61], v[70:71], v[112:113]
	;; [unrolled: 2-line block ×4, first 2 shown]
	ds_load_b128 v[0:3], v22 offset:2304
	ds_load_b128 v[4:7], v23 offset:64
	v_add_f64 v[52:53], v[52:53], v[98:99]
	v_add_f64 v[72:73], v[18:19], v[100:101]
	v_add_f64 v[42:43], v[54:55], v[42:43]
	v_add_f64 v[44:45], v[16:17], v[44:45]
	v_add_f64 v[54:55], v[56:57], v[102:103]
	v_add_f64 v[50:51], v[14:15], v[50:51]
	v_add_f64 v[46:47], v[38:39], v[46:47]
	v_add_f64 v[48:49], v[12:13], v[48:49]
	ds_load_b128 v[12:15], v23 offset:2112
	ds_load_b128 v[16:19], v23 offset:80
	;; [unrolled: 1-line block ×4, first 2 shown]
	s_waitcnt lgkmcnt(4)
	v_mul_f64 v[56:57], v[6:7], v[32:33]
	v_mul_f64 v[74:75], v[4:5], v[32:33]
	;; [unrolled: 1-line block ×4, first 2 shown]
	v_fma_f64 v[86:87], v[62:63], v[82:83], -v[86:87]
	v_fma_f64 v[88:89], v[64:65], v[82:83], v[88:89]
	v_fma_f64 v[62:63], v[62:63], v[26:27], -v[90:91]
	v_fma_f64 v[64:65], v[64:65], v[26:27], v[92:93]
	;; [unrolled: 2-line block ×4, first 2 shown]
	s_waitcnt lgkmcnt(3)
	v_mul_f64 v[100:101], v[14:15], v[32:33]
	v_mul_f64 v[32:33], v[12:13], v[32:33]
	;; [unrolled: 1-line block ×4, first 2 shown]
	s_waitcnt lgkmcnt(0)
	v_mul_f64 v[92:93], v[18:19], v[40:41]
	v_mul_f64 v[94:95], v[16:17], v[40:41]
	v_add_f64 v[84:85], v[52:53], v[106:107]
	v_add_f64 v[72:73], v[72:73], v[108:109]
	;; [unrolled: 1-line block ×8, first 2 shown]
	ds_load_b128 v[26:29], v22 offset:2816
	ds_load_b128 v[42:45], v22 offset:3072
	ds_load_b128 v[46:49], v22 offset:3328
	ds_load_b128 v[50:53], v23 offset:96
	v_mul_f64 v[106:107], v[36:37], v[40:41]
	v_mul_f64 v[40:41], v[34:35], v[40:41]
	v_fma_f64 v[56:57], v[4:5], v[30:31], -v[56:57]
	v_fma_f64 v[74:75], v[6:7], v[30:31], v[74:75]
	v_fma_f64 v[76:77], v[4:5], v[0:1], -v[76:77]
	v_fma_f64 v[98:99], v[6:7], v[0:1], v[98:99]
	s_waitcnt lgkmcnt(3)
	v_mul_f64 v[96:97], v[18:19], v[28:29]
	v_mul_f64 v[104:105], v[16:17], v[28:29]
	;; [unrolled: 1-line block ×4, first 2 shown]
	v_fma_f64 v[100:101], v[12:13], v[30:31], -v[100:101]
	v_fma_f64 v[32:33], v[14:15], v[30:31], v[32:33]
	v_fma_f64 v[102:103], v[12:13], v[0:1], -v[102:103]
	v_fma_f64 v[112:113], v[14:15], v[0:1], v[2:3]
	ds_load_b128 v[0:3], v23 offset:2144
	ds_load_b128 v[4:7], v23 offset:112
	;; [unrolled: 1-line block ×4, first 2 shown]
	v_add_f64 v[84:85], v[84:85], v[86:87]
	v_add_f64 v[72:73], v[72:73], v[88:89]
	v_add_f64 v[58:59], v[58:59], v[62:63]
	v_add_f64 v[60:61], v[60:61], v[64:65]
	v_add_f64 v[54:55], v[54:55], v[90:91]
	v_add_f64 v[62:63], v[66:67], v[82:83]
	v_add_f64 v[64:65], v[68:69], v[78:79]
	v_add_f64 v[66:67], v[70:71], v[80:81]
	s_waitcnt lgkmcnt(4)
	v_mul_f64 v[68:69], v[52:53], v[44:45]
	v_mul_f64 v[70:71], v[50:51], v[44:45]
	;; [unrolled: 1-line block ×4, first 2 shown]
	s_waitcnt lgkmcnt(3)
	v_mul_f64 v[82:83], v[2:3], v[44:45]
	v_mul_f64 v[44:45], v[0:1], v[44:45]
	;; [unrolled: 1-line block ×4, first 2 shown]
	v_fma_f64 v[88:89], v[16:17], v[38:39], -v[92:93]
	v_fma_f64 v[90:91], v[18:19], v[38:39], v[94:95]
	v_fma_f64 v[92:93], v[16:17], v[26:27], -v[96:97]
	v_fma_f64 v[94:95], v[18:19], v[26:27], v[104:105]
	;; [unrolled: 2-line block ×4, first 2 shown]
	ds_load_b128 v[16:19], v22 offset:3840
	s_waitcnt lgkmcnt(0)
	s_barrier
	buffer_gl0_inv
	v_add_f64 v[36:37], v[84:85], v[56:57]
	v_add_f64 v[40:41], v[72:73], v[74:75]
	;; [unrolled: 1-line block ×8, first 2 shown]
	v_mul_f64 v[64:65], v[6:7], v[30:31]
	v_mul_f64 v[66:67], v[4:5], v[30:31]
	;; [unrolled: 1-line block ×4, first 2 shown]
	v_fma_f64 v[68:69], v[50:51], v[42:43], -v[68:69]
	v_mul_f64 v[72:73], v[6:7], v[18:19]
	v_mul_f64 v[74:75], v[4:5], v[18:19]
	;; [unrolled: 1-line block ×4, first 2 shown]
	v_fma_f64 v[70:71], v[52:53], v[42:43], v[70:71]
	v_fma_f64 v[50:51], v[50:51], v[46:47], -v[78:79]
	v_fma_f64 v[52:53], v[52:53], v[46:47], v[80:81]
	v_fma_f64 v[78:79], v[0:1], v[42:43], -v[82:83]
	v_fma_f64 v[42:43], v[2:3], v[42:43], v[44:45]
	v_fma_f64 v[0:1], v[0:1], v[46:47], -v[86:87]
	v_fma_f64 v[2:3], v[2:3], v[46:47], v[48:49]
	v_add_f64 v[36:37], v[36:37], v[88:89]
	v_add_f64 v[40:41], v[40:41], v[90:91]
	;; [unrolled: 1-line block ×8, first 2 shown]
	v_fma_f64 v[38:39], v[4:5], v[28:29], -v[64:65]
	v_fma_f64 v[54:55], v[6:7], v[28:29], v[66:67]
	v_fma_f64 v[58:59], v[12:13], v[28:29], -v[76:77]
	v_fma_f64 v[28:29], v[14:15], v[28:29], v[30:31]
	;; [unrolled: 2-line block ×4, first 2 shown]
	v_add_f64 v[6:7], v[36:37], v[68:69]
	v_add_f64 v[14:15], v[40:41], v[70:71]
	;; [unrolled: 1-line block ×16, first 2 shown]
	s_cbranch_scc0 .LBB862_2
.LBB862_3:
	s_load_b32 s3, s[0:1], 0x40
	v_add_nc_u32_e32 v21, s10, v21
	v_add_nc_u32_e32 v10, s6, v20
	s_delay_alu instid0(VALU_DEP_1) | instskip(SKIP_1) | instid1(VALU_DEP_2)
	v_cmp_le_i32_e64 s0, v21, v10
	v_cmp_gt_i32_e32 vcc_lo, s2, v10
	s_and_b32 s0, s0, vcc_lo
	s_waitcnt lgkmcnt(0)
	v_mad_i64_i32 v[8:9], null, v21, s3, 0
	s_delay_alu instid0(VALU_DEP_1) | instskip(NEXT) | instid1(VALU_DEP_1)
	v_lshlrev_b64 v[8:9], 4, v[8:9]
	v_add_co_u32 v20, s1, s4, v8
	s_delay_alu instid0(VALU_DEP_1)
	v_add_co_ci_u32_e64 v22, s1, s5, v9, s1
	s_and_saveexec_b32 s6, s0
	s_cbranch_execz .LBB862_5
; %bb.4:
	v_ashrrev_i32_e32 v11, 31, v10
	v_cmp_ne_u32_e64 s0, v21, v10
	s_delay_alu instid0(VALU_DEP_2) | instskip(NEXT) | instid1(VALU_DEP_2)
	v_lshlrev_b64 v[23:24], 4, v[10:11]
	v_cndmask_b32_e64 v9, 0, v19, s0
	v_cndmask_b32_e64 v8, 0, v18, s0
	s_delay_alu instid0(VALU_DEP_3) | instskip(NEXT) | instid1(VALU_DEP_1)
	v_add_co_u32 v23, s1, v20, v23
	v_add_co_ci_u32_e64 v24, s1, v22, v24, s1
	global_store_b128 v[23:24], v[6:9], off
.LBB862_5:
	s_or_b32 exec_lo, exec_lo, s6
	v_add_nc_u32_e32 v8, 16, v10
	s_delay_alu instid0(VALU_DEP_1) | instskip(SKIP_1) | instid1(VALU_DEP_1)
	v_cmp_le_i32_e64 s1, v21, v8
	v_cmp_gt_i32_e64 s0, s2, v8
	s_and_b32 s1, s1, s0
	s_delay_alu instid0(SALU_CYCLE_1)
	s_and_saveexec_b32 s6, s1
	s_cbranch_execz .LBB862_7
; %bb.6:
	v_ashrrev_i32_e32 v9, 31, v8
	v_cmp_ne_u32_e64 s1, v21, v8
	s_delay_alu instid0(VALU_DEP_2) | instskip(NEXT) | instid1(VALU_DEP_2)
	v_lshlrev_b64 v[18:19], 4, v[8:9]
	v_cndmask_b32_e64 v7, 0, v17, s1
	v_cndmask_b32_e64 v6, 0, v16, s1
	s_delay_alu instid0(VALU_DEP_3) | instskip(NEXT) | instid1(VALU_DEP_1)
	v_add_co_u32 v17, s2, v20, v18
	v_add_co_ci_u32_e64 v18, s2, v22, v19, s2
	global_store_b128 v[17:18], v[4:7], off
.LBB862_7:
	s_or_b32 exec_lo, exec_lo, s6
	v_add_nc_u32_e32 v9, 16, v21
	s_delay_alu instid0(VALU_DEP_1) | instskip(SKIP_1) | instid1(VALU_DEP_1)
	v_mad_i64_i32 v[4:5], null, v9, s3, 0
	v_cmp_le_i32_e64 s1, v9, v10
	s_and_b32 s1, s1, vcc_lo
	s_delay_alu instid0(VALU_DEP_2) | instskip(NEXT) | instid1(VALU_DEP_1)
	v_lshlrev_b64 v[4:5], 4, v[4:5]
	v_add_co_u32 v6, s2, s4, v4
	s_delay_alu instid0(VALU_DEP_1)
	v_add_co_ci_u32_e64 v7, s2, s5, v5, s2
	s_and_saveexec_b32 s2, s1
	s_cbranch_execz .LBB862_9
; %bb.8:
	v_ashrrev_i32_e32 v11, 31, v10
	v_cmp_ne_u32_e32 vcc_lo, v9, v10
	s_delay_alu instid0(VALU_DEP_2) | instskip(SKIP_1) | instid1(VALU_DEP_2)
	v_lshlrev_b64 v[16:17], 4, v[10:11]
	v_dual_cndmask_b32 v5, 0, v15 :: v_dual_cndmask_b32 v4, 0, v14
	v_add_co_u32 v15, s1, v6, v16
	s_delay_alu instid0(VALU_DEP_1)
	v_add_co_ci_u32_e64 v16, s1, v7, v17, s1
	global_store_b128 v[15:16], v[2:5], off
.LBB862_9:
	s_or_b32 exec_lo, exec_lo, s2
	v_cmp_le_i32_e32 vcc_lo, v9, v8
	s_and_b32 s0, vcc_lo, s0
	s_delay_alu instid0(SALU_CYCLE_1)
	s_and_saveexec_b32 s1, s0
	s_cbranch_execz .LBB862_11
; %bb.10:
	v_ashrrev_i32_e32 v9, 31, v8
	v_cmp_ne_u32_e32 vcc_lo, v21, v10
	s_delay_alu instid0(VALU_DEP_2) | instskip(SKIP_1) | instid1(VALU_DEP_2)
	v_lshlrev_b64 v[4:5], 4, v[8:9]
	v_dual_cndmask_b32 v3, 0, v13 :: v_dual_cndmask_b32 v2, 0, v12
	v_add_co_u32 v4, s0, v6, v4
	s_delay_alu instid0(VALU_DEP_1)
	v_add_co_ci_u32_e64 v5, s0, v7, v5, s0
	global_store_b128 v[4:5], v[0:3], off
.LBB862_11:
	s_nop 0
	s_sendmsg sendmsg(MSG_DEALLOC_VGPRS)
	s_endpgm
	.section	.rodata,"a",@progbits
	.p2align	6, 0x0
	.amdhsa_kernel _ZL37rocblas_syrkx_herkx_restricted_kernelIi19rocblas_complex_numIdELi16ELi32ELi8ELi1ELi0ELb1ELc67ELc76EKPKS1_KPS1_EviT_PT9_S7_lS9_S7_lPT10_S7_li
		.amdhsa_group_segment_fixed_size 8192
		.amdhsa_private_segment_fixed_size 0
		.amdhsa_kernarg_size 84
		.amdhsa_user_sgpr_count 13
		.amdhsa_user_sgpr_dispatch_ptr 0
		.amdhsa_user_sgpr_queue_ptr 0
		.amdhsa_user_sgpr_kernarg_segment_ptr 1
		.amdhsa_user_sgpr_dispatch_id 0
		.amdhsa_user_sgpr_private_segment_size 0
		.amdhsa_wavefront_size32 1
		.amdhsa_uses_dynamic_stack 0
		.amdhsa_enable_private_segment 0
		.amdhsa_system_sgpr_workgroup_id_x 1
		.amdhsa_system_sgpr_workgroup_id_y 1
		.amdhsa_system_sgpr_workgroup_id_z 1
		.amdhsa_system_sgpr_workgroup_info 0
		.amdhsa_system_vgpr_workitem_id 1
		.amdhsa_next_free_vgpr 118
		.amdhsa_next_free_sgpr 17
		.amdhsa_reserve_vcc 1
		.amdhsa_float_round_mode_32 0
		.amdhsa_float_round_mode_16_64 0
		.amdhsa_float_denorm_mode_32 3
		.amdhsa_float_denorm_mode_16_64 3
		.amdhsa_dx10_clamp 1
		.amdhsa_ieee_mode 1
		.amdhsa_fp16_overflow 0
		.amdhsa_workgroup_processor_mode 1
		.amdhsa_memory_ordered 1
		.amdhsa_forward_progress 0
		.amdhsa_shared_vgpr_count 0
		.amdhsa_exception_fp_ieee_invalid_op 0
		.amdhsa_exception_fp_denorm_src 0
		.amdhsa_exception_fp_ieee_div_zero 0
		.amdhsa_exception_fp_ieee_overflow 0
		.amdhsa_exception_fp_ieee_underflow 0
		.amdhsa_exception_fp_ieee_inexact 0
		.amdhsa_exception_int_div_zero 0
	.end_amdhsa_kernel
	.section	.text._ZL37rocblas_syrkx_herkx_restricted_kernelIi19rocblas_complex_numIdELi16ELi32ELi8ELi1ELi0ELb1ELc67ELc76EKPKS1_KPS1_EviT_PT9_S7_lS9_S7_lPT10_S7_li,"axG",@progbits,_ZL37rocblas_syrkx_herkx_restricted_kernelIi19rocblas_complex_numIdELi16ELi32ELi8ELi1ELi0ELb1ELc67ELc76EKPKS1_KPS1_EviT_PT9_S7_lS9_S7_lPT10_S7_li,comdat
.Lfunc_end862:
	.size	_ZL37rocblas_syrkx_herkx_restricted_kernelIi19rocblas_complex_numIdELi16ELi32ELi8ELi1ELi0ELb1ELc67ELc76EKPKS1_KPS1_EviT_PT9_S7_lS9_S7_lPT10_S7_li, .Lfunc_end862-_ZL37rocblas_syrkx_herkx_restricted_kernelIi19rocblas_complex_numIdELi16ELi32ELi8ELi1ELi0ELb1ELc67ELc76EKPKS1_KPS1_EviT_PT9_S7_lS9_S7_lPT10_S7_li
                                        ; -- End function
	.section	.AMDGPU.csdata,"",@progbits
; Kernel info:
; codeLenInByte = 2948
; NumSgprs: 19
; NumVgprs: 118
; ScratchSize: 0
; MemoryBound: 0
; FloatMode: 240
; IeeeMode: 1
; LDSByteSize: 8192 bytes/workgroup (compile time only)
; SGPRBlocks: 2
; VGPRBlocks: 14
; NumSGPRsForWavesPerEU: 19
; NumVGPRsForWavesPerEU: 118
; Occupancy: 12
; WaveLimiterHint : 1
; COMPUTE_PGM_RSRC2:SCRATCH_EN: 0
; COMPUTE_PGM_RSRC2:USER_SGPR: 13
; COMPUTE_PGM_RSRC2:TRAP_HANDLER: 0
; COMPUTE_PGM_RSRC2:TGID_X_EN: 1
; COMPUTE_PGM_RSRC2:TGID_Y_EN: 1
; COMPUTE_PGM_RSRC2:TGID_Z_EN: 1
; COMPUTE_PGM_RSRC2:TIDIG_COMP_CNT: 1
	.section	.text._ZL37rocblas_syrkx_herkx_restricted_kernelIi19rocblas_complex_numIdELi16ELi32ELi8ELi1ELi0ELb1ELc78ELc76EKPKS1_KPS1_EviT_PT9_S7_lS9_S7_lPT10_S7_li,"axG",@progbits,_ZL37rocblas_syrkx_herkx_restricted_kernelIi19rocblas_complex_numIdELi16ELi32ELi8ELi1ELi0ELb1ELc78ELc76EKPKS1_KPS1_EviT_PT9_S7_lS9_S7_lPT10_S7_li,comdat
	.globl	_ZL37rocblas_syrkx_herkx_restricted_kernelIi19rocblas_complex_numIdELi16ELi32ELi8ELi1ELi0ELb1ELc78ELc76EKPKS1_KPS1_EviT_PT9_S7_lS9_S7_lPT10_S7_li ; -- Begin function _ZL37rocblas_syrkx_herkx_restricted_kernelIi19rocblas_complex_numIdELi16ELi32ELi8ELi1ELi0ELb1ELc78ELc76EKPKS1_KPS1_EviT_PT9_S7_lS9_S7_lPT10_S7_li
	.p2align	8
	.type	_ZL37rocblas_syrkx_herkx_restricted_kernelIi19rocblas_complex_numIdELi16ELi32ELi8ELi1ELi0ELb1ELc78ELc76EKPKS1_KPS1_EviT_PT9_S7_lS9_S7_lPT10_S7_li,@function
_ZL37rocblas_syrkx_herkx_restricted_kernelIi19rocblas_complex_numIdELi16ELi32ELi8ELi1ELi0ELb1ELc78ELc76EKPKS1_KPS1_EviT_PT9_S7_lS9_S7_lPT10_S7_li: ; @_ZL37rocblas_syrkx_herkx_restricted_kernelIi19rocblas_complex_numIdELi16ELi32ELi8ELi1ELi0ELb1ELc78ELc76EKPKS1_KPS1_EviT_PT9_S7_lS9_S7_lPT10_S7_li
; %bb.0:
	s_clause 0x1
	s_load_b64 s[4:5], s[0:1], 0x38
	s_load_b64 s[2:3], s[0:1], 0x0
	s_mov_b32 s6, s15
	s_mov_b32 s7, 0
	v_mov_b32_e32 v6, 0
	s_lshl_b64 s[8:9], s[6:7], 3
	v_dual_mov_b32 v7, 0 :: v_dual_and_b32 v20, 0x3ff, v0
	v_bfe_u32 v21, v0, 10, 10
	s_delay_alu instid0(VALU_DEP_3) | instskip(NEXT) | instid1(VALU_DEP_3)
	v_mov_b32_e32 v4, v6
	v_dual_mov_b32 v2, v6 :: v_dual_mov_b32 v3, v7
	v_dual_mov_b32 v19, v7 :: v_dual_mov_b32 v18, v6
	v_mov_b32_e32 v5, v7
	v_dual_mov_b32 v17, v7 :: v_dual_mov_b32 v16, v6
	v_dual_mov_b32 v15, v7 :: v_dual_mov_b32 v14, v6
	;; [unrolled: 1-line block ×3, first 2 shown]
	s_waitcnt lgkmcnt(0)
	s_add_u32 s4, s4, s8
	s_addc_u32 s5, s5, s9
	v_dual_mov_b32 v13, v7 :: v_dual_mov_b32 v12, v6
	s_load_b64 s[4:5], s[4:5], 0x0
	s_lshl_b32 s6, s13, 5
	s_lshl_b32 s12, s14, 5
	s_cmp_lt_i32 s3, 1
	s_cbranch_scc1 .LBB863_3
; %bb.1:
	s_clause 0x3
	s_load_b32 s10, s[0:1], 0x10
	s_load_b32 s14, s[0:1], 0x28
	s_load_b64 s[16:17], s[0:1], 0x8
	s_load_b64 s[18:19], s[0:1], 0x20
	v_lshl_add_u32 v0, v21, 4, v20
	v_and_b32_e32 v8, 7, v20
	v_lshl_add_u32 v23, v21, 7, 0x1000
	v_mov_b32_e32 v12, 0
	v_mov_b32_e32 v13, 0
	v_and_b32_e32 v7, 31, v0
	v_lshrrev_b32_e32 v6, 3, v0
	v_lshrrev_b32_e32 v9, 5, v0
	s_delay_alu instid0(VALU_DEP_4) | instskip(NEXT) | instid1(VALU_DEP_4)
	v_dual_mov_b32 v17, v13 :: v_dual_lshlrev_b32 v10, 4, v8
	v_add_nc_u32_e32 v2, s6, v7
	s_delay_alu instid0(VALU_DEP_4) | instskip(SKIP_1) | instid1(VALU_DEP_4)
	v_dual_mov_b32 v15, v13 :: v_dual_add_nc_u32 v0, s12, v6
	v_lshlrev_b32_e32 v7, 4, v7
	v_lshl_or_b32 v6, v6, 7, v10
	s_delay_alu instid0(VALU_DEP_4)
	v_ashrrev_i32_e32 v3, 31, v2
	s_waitcnt lgkmcnt(0)
	s_ashr_i32 s11, s10, 31
	s_ashr_i32 s15, s14, 31
	s_add_u32 s16, s16, s8
	s_addc_u32 s17, s17, s9
	s_add_u32 s8, s18, s8
	s_load_b64 s[16:17], s[16:17], 0x0
	s_addc_u32 s9, s19, s9
	v_ashrrev_i32_e32 v1, 31, v0
	s_load_b64 s[8:9], s[8:9], 0x0
	v_mad_i64_i32 v[4:5], null, s10, v9, v[2:3]
	v_dual_mov_b32 v14, v12 :: v_dual_add_nc_u32 v25, 0x1000, v6
	s_delay_alu instid0(VALU_DEP_3)
	v_mad_i64_i32 v[2:3], null, s14, v8, v[0:1]
	v_mov_b32_e32 v0, v12
	v_lshl_or_b32 v24, v9, 9, v7
	v_lshlrev_b64 v[4:5], 4, v[4:5]
	v_dual_mov_b32 v16, v12 :: v_dual_mov_b32 v19, v13
	v_mov_b32_e32 v6, v12
	v_lshlrev_b64 v[2:3], 4, v[2:3]
	v_dual_mov_b32 v1, v13 :: v_dual_lshlrev_b32 v22, 4, v20
	v_mov_b32_e32 v18, v12
	s_waitcnt lgkmcnt(0)
	v_add_co_u32 v4, vcc_lo, v4, s16
	v_add_co_ci_u32_e32 v5, vcc_lo, s17, v5, vcc_lo
	v_add_co_u32 v2, vcc_lo, v2, s8
	v_add_co_ci_u32_e32 v3, vcc_lo, s9, v3, vcc_lo
	s_delay_alu instid0(VALU_DEP_4) | instskip(NEXT) | instid1(VALU_DEP_4)
	v_add_co_u32 v8, vcc_lo, v4, 8
	v_add_co_ci_u32_e32 v9, vcc_lo, 0, v5, vcc_lo
	s_delay_alu instid0(VALU_DEP_4) | instskip(NEXT) | instid1(VALU_DEP_4)
	v_add_co_u32 v10, vcc_lo, v2, 8
	v_add_co_ci_u32_e32 v11, vcc_lo, 0, v3, vcc_lo
	v_mov_b32_e32 v2, v12
	v_dual_mov_b32 v4, v12 :: v_dual_mov_b32 v7, v13
	v_mov_b32_e32 v3, v13
	v_mov_b32_e32 v5, v13
	s_lshl_b64 s[8:9], s[10:11], 7
	s_lshl_b64 s[10:11], s[14:15], 7
.LBB863_2:                              ; =>This Inner Loop Header: Depth=1
	global_load_b128 v[26:29], v[10:11], off offset:-8
	global_load_b128 v[30:33], v[8:9], off offset:-8
	v_add_co_u32 v8, vcc_lo, v8, s8
	v_add_co_ci_u32_e32 v9, vcc_lo, s9, v9, vcc_lo
	v_add_co_u32 v10, vcc_lo, v10, s10
	v_add_co_ci_u32_e32 v11, vcc_lo, s11, v11, vcc_lo
	s_add_i32 s7, s7, 8
	s_delay_alu instid0(SALU_CYCLE_1)
	s_cmp_ge_i32 s7, s3
	s_waitcnt vmcnt(1)
	v_xor_b32_e32 v29, 0x80000000, v29
	s_waitcnt vmcnt(0)
	ds_store_b128 v24, v[30:33]
	ds_store_b128 v25, v[26:29]
	s_waitcnt lgkmcnt(0)
	s_barrier
	buffer_gl0_inv
	ds_load_b128 v[26:29], v23
	ds_load_b128 v[30:33], v22
	ds_load_b128 v[34:37], v22 offset:256
	ds_load_b128 v[38:41], v23 offset:2048
	;; [unrolled: 1-line block ×13, first 2 shown]
	s_waitcnt lgkmcnt(13)
	v_mul_f64 v[86:87], v[28:29], v[32:33]
	v_mul_f64 v[88:89], v[26:27], v[32:33]
	s_waitcnt lgkmcnt(12)
	v_mul_f64 v[90:91], v[28:29], v[36:37]
	v_mul_f64 v[92:93], v[26:27], v[36:37]
	;; [unrolled: 3-line block ×3, first 2 shown]
	v_mul_f64 v[96:97], v[40:41], v[36:37]
	v_mul_f64 v[36:37], v[38:39], v[36:37]
	s_waitcnt lgkmcnt(8)
	v_mul_f64 v[98:99], v[44:45], v[52:53]
	v_mul_f64 v[100:101], v[42:43], v[52:53]
	s_waitcnt lgkmcnt(7)
	v_mul_f64 v[102:103], v[44:45], v[56:57]
	v_mul_f64 v[104:105], v[42:43], v[56:57]
	;; [unrolled: 1-line block ×6, first 2 shown]
	s_waitcnt lgkmcnt(3)
	v_mul_f64 v[112:113], v[58:59], v[72:73]
	s_waitcnt lgkmcnt(2)
	v_mul_f64 v[114:115], v[76:77], v[68:69]
	v_mul_f64 v[116:117], v[76:77], v[72:73]
	v_fma_f64 v[86:87], v[26:27], v[30:31], -v[86:87]
	v_fma_f64 v[88:89], v[28:29], v[30:31], v[88:89]
	v_fma_f64 v[90:91], v[26:27], v[34:35], -v[90:91]
	v_fma_f64 v[92:93], v[28:29], v[34:35], v[92:93]
	;; [unrolled: 2-line block ×4, first 2 shown]
	v_mul_f64 v[36:37], v[60:61], v[68:69]
	v_mul_f64 v[40:41], v[58:59], v[68:69]
	;; [unrolled: 1-line block ×5, first 2 shown]
	v_fma_f64 v[98:99], v[42:43], v[50:51], -v[98:99]
	v_fma_f64 v[100:101], v[44:45], v[50:51], v[100:101]
	v_fma_f64 v[42:43], v[42:43], v[54:55], -v[102:103]
	v_fma_f64 v[44:45], v[44:45], v[54:55], v[104:105]
	;; [unrolled: 2-line block ×4, first 2 shown]
	ds_load_b128 v[26:29], v22 offset:1792
	ds_load_b128 v[30:33], v22 offset:2048
	v_add_f64 v[52:53], v[6:7], v[86:87]
	v_add_f64 v[18:19], v[18:19], v[88:89]
	;; [unrolled: 1-line block ×8, first 2 shown]
	s_waitcnt lgkmcnt(2)
	v_mul_f64 v[86:87], v[64:65], v[84:85]
	v_mul_f64 v[88:89], v[62:63], v[84:85]
	s_waitcnt lgkmcnt(1)
	v_mul_f64 v[90:91], v[64:65], v[28:29]
	v_mul_f64 v[92:93], v[62:63], v[28:29]
	;; [unrolled: 1-line block ×6, first 2 shown]
	v_fma_f64 v[106:107], v[58:59], v[66:67], -v[36:37]
	v_fma_f64 v[108:109], v[60:61], v[66:67], v[40:41]
	v_fma_f64 v[58:59], v[58:59], v[70:71], -v[96:97]
	v_fma_f64 v[60:61], v[60:61], v[70:71], v[112:113]
	;; [unrolled: 2-line block ×4, first 2 shown]
	ds_load_b128 v[0:3], v22 offset:2304
	ds_load_b128 v[4:7], v23 offset:64
	v_add_f64 v[52:53], v[52:53], v[98:99]
	v_add_f64 v[72:73], v[18:19], v[100:101]
	;; [unrolled: 1-line block ×8, first 2 shown]
	ds_load_b128 v[12:15], v23 offset:2112
	ds_load_b128 v[16:19], v23 offset:80
	;; [unrolled: 1-line block ×4, first 2 shown]
	s_waitcnt lgkmcnt(4)
	v_mul_f64 v[56:57], v[6:7], v[32:33]
	v_mul_f64 v[74:75], v[4:5], v[32:33]
	;; [unrolled: 1-line block ×4, first 2 shown]
	v_fma_f64 v[86:87], v[62:63], v[82:83], -v[86:87]
	v_fma_f64 v[88:89], v[64:65], v[82:83], v[88:89]
	v_fma_f64 v[62:63], v[62:63], v[26:27], -v[90:91]
	v_fma_f64 v[64:65], v[64:65], v[26:27], v[92:93]
	;; [unrolled: 2-line block ×4, first 2 shown]
	s_waitcnt lgkmcnt(3)
	v_mul_f64 v[100:101], v[14:15], v[32:33]
	v_mul_f64 v[32:33], v[12:13], v[32:33]
	;; [unrolled: 1-line block ×4, first 2 shown]
	s_waitcnt lgkmcnt(0)
	v_mul_f64 v[92:93], v[18:19], v[40:41]
	v_mul_f64 v[94:95], v[16:17], v[40:41]
	v_add_f64 v[84:85], v[52:53], v[106:107]
	v_add_f64 v[72:73], v[72:73], v[108:109]
	;; [unrolled: 1-line block ×8, first 2 shown]
	ds_load_b128 v[26:29], v22 offset:2816
	ds_load_b128 v[42:45], v22 offset:3072
	;; [unrolled: 1-line block ×4, first 2 shown]
	v_mul_f64 v[106:107], v[36:37], v[40:41]
	v_mul_f64 v[40:41], v[34:35], v[40:41]
	v_fma_f64 v[56:57], v[4:5], v[30:31], -v[56:57]
	v_fma_f64 v[74:75], v[6:7], v[30:31], v[74:75]
	v_fma_f64 v[76:77], v[4:5], v[0:1], -v[76:77]
	v_fma_f64 v[98:99], v[6:7], v[0:1], v[98:99]
	s_waitcnt lgkmcnt(3)
	v_mul_f64 v[96:97], v[18:19], v[28:29]
	v_mul_f64 v[104:105], v[16:17], v[28:29]
	;; [unrolled: 1-line block ×4, first 2 shown]
	v_fma_f64 v[100:101], v[12:13], v[30:31], -v[100:101]
	v_fma_f64 v[32:33], v[14:15], v[30:31], v[32:33]
	v_fma_f64 v[102:103], v[12:13], v[0:1], -v[102:103]
	v_fma_f64 v[112:113], v[14:15], v[0:1], v[2:3]
	ds_load_b128 v[0:3], v23 offset:2144
	ds_load_b128 v[4:7], v23 offset:112
	;; [unrolled: 1-line block ×4, first 2 shown]
	v_add_f64 v[84:85], v[84:85], v[86:87]
	v_add_f64 v[72:73], v[72:73], v[88:89]
	;; [unrolled: 1-line block ×8, first 2 shown]
	s_waitcnt lgkmcnt(4)
	v_mul_f64 v[68:69], v[52:53], v[44:45]
	v_mul_f64 v[70:71], v[50:51], v[44:45]
	;; [unrolled: 1-line block ×4, first 2 shown]
	s_waitcnt lgkmcnt(3)
	v_mul_f64 v[82:83], v[2:3], v[44:45]
	v_mul_f64 v[44:45], v[0:1], v[44:45]
	v_mul_f64 v[86:87], v[2:3], v[48:49]
	v_mul_f64 v[48:49], v[0:1], v[48:49]
	v_fma_f64 v[88:89], v[16:17], v[38:39], -v[92:93]
	v_fma_f64 v[90:91], v[18:19], v[38:39], v[94:95]
	v_fma_f64 v[92:93], v[16:17], v[26:27], -v[96:97]
	v_fma_f64 v[94:95], v[18:19], v[26:27], v[104:105]
	;; [unrolled: 2-line block ×4, first 2 shown]
	ds_load_b128 v[16:19], v22 offset:3840
	s_waitcnt lgkmcnt(0)
	s_barrier
	buffer_gl0_inv
	v_add_f64 v[36:37], v[84:85], v[56:57]
	v_add_f64 v[40:41], v[72:73], v[74:75]
	;; [unrolled: 1-line block ×8, first 2 shown]
	v_mul_f64 v[64:65], v[6:7], v[30:31]
	v_mul_f64 v[66:67], v[4:5], v[30:31]
	;; [unrolled: 1-line block ×4, first 2 shown]
	v_fma_f64 v[68:69], v[50:51], v[42:43], -v[68:69]
	v_mul_f64 v[72:73], v[6:7], v[18:19]
	v_mul_f64 v[74:75], v[4:5], v[18:19]
	;; [unrolled: 1-line block ×4, first 2 shown]
	v_fma_f64 v[70:71], v[52:53], v[42:43], v[70:71]
	v_fma_f64 v[50:51], v[50:51], v[46:47], -v[78:79]
	v_fma_f64 v[52:53], v[52:53], v[46:47], v[80:81]
	v_fma_f64 v[78:79], v[0:1], v[42:43], -v[82:83]
	;; [unrolled: 2-line block ×3, first 2 shown]
	v_fma_f64 v[2:3], v[2:3], v[46:47], v[48:49]
	v_add_f64 v[36:37], v[36:37], v[88:89]
	v_add_f64 v[40:41], v[40:41], v[90:91]
	;; [unrolled: 1-line block ×8, first 2 shown]
	v_fma_f64 v[38:39], v[4:5], v[28:29], -v[64:65]
	v_fma_f64 v[54:55], v[6:7], v[28:29], v[66:67]
	v_fma_f64 v[58:59], v[12:13], v[28:29], -v[76:77]
	v_fma_f64 v[28:29], v[14:15], v[28:29], v[30:31]
	;; [unrolled: 2-line block ×4, first 2 shown]
	v_add_f64 v[6:7], v[36:37], v[68:69]
	v_add_f64 v[14:15], v[40:41], v[70:71]
	;; [unrolled: 1-line block ×16, first 2 shown]
	s_cbranch_scc0 .LBB863_2
.LBB863_3:
	s_load_b32 s3, s[0:1], 0x40
	v_add_nc_u32_e32 v21, s12, v21
	v_add_nc_u32_e32 v10, s6, v20
	s_delay_alu instid0(VALU_DEP_1) | instskip(SKIP_1) | instid1(VALU_DEP_2)
	v_cmp_le_i32_e64 s0, v21, v10
	v_cmp_gt_i32_e32 vcc_lo, s2, v10
	s_and_b32 s0, s0, vcc_lo
	s_waitcnt lgkmcnt(0)
	v_mad_i64_i32 v[8:9], null, v21, s3, 0
	s_delay_alu instid0(VALU_DEP_1) | instskip(NEXT) | instid1(VALU_DEP_1)
	v_lshlrev_b64 v[8:9], 4, v[8:9]
	v_add_co_u32 v20, s1, s4, v8
	s_delay_alu instid0(VALU_DEP_1)
	v_add_co_ci_u32_e64 v22, s1, s5, v9, s1
	s_and_saveexec_b32 s6, s0
	s_cbranch_execz .LBB863_5
; %bb.4:
	v_ashrrev_i32_e32 v11, 31, v10
	v_cmp_ne_u32_e64 s0, v21, v10
	s_delay_alu instid0(VALU_DEP_2) | instskip(NEXT) | instid1(VALU_DEP_2)
	v_lshlrev_b64 v[23:24], 4, v[10:11]
	v_cndmask_b32_e64 v9, 0, v19, s0
	v_cndmask_b32_e64 v8, 0, v18, s0
	s_delay_alu instid0(VALU_DEP_3) | instskip(NEXT) | instid1(VALU_DEP_1)
	v_add_co_u32 v23, s1, v20, v23
	v_add_co_ci_u32_e64 v24, s1, v22, v24, s1
	global_store_b128 v[23:24], v[6:9], off
.LBB863_5:
	s_or_b32 exec_lo, exec_lo, s6
	v_add_nc_u32_e32 v8, 16, v10
	s_delay_alu instid0(VALU_DEP_1) | instskip(SKIP_1) | instid1(VALU_DEP_1)
	v_cmp_le_i32_e64 s1, v21, v8
	v_cmp_gt_i32_e64 s0, s2, v8
	s_and_b32 s1, s1, s0
	s_delay_alu instid0(SALU_CYCLE_1)
	s_and_saveexec_b32 s6, s1
	s_cbranch_execz .LBB863_7
; %bb.6:
	v_ashrrev_i32_e32 v9, 31, v8
	v_cmp_ne_u32_e64 s1, v21, v8
	s_delay_alu instid0(VALU_DEP_2) | instskip(NEXT) | instid1(VALU_DEP_2)
	v_lshlrev_b64 v[18:19], 4, v[8:9]
	v_cndmask_b32_e64 v7, 0, v17, s1
	v_cndmask_b32_e64 v6, 0, v16, s1
	s_delay_alu instid0(VALU_DEP_3) | instskip(NEXT) | instid1(VALU_DEP_1)
	v_add_co_u32 v17, s2, v20, v18
	v_add_co_ci_u32_e64 v18, s2, v22, v19, s2
	global_store_b128 v[17:18], v[4:7], off
.LBB863_7:
	s_or_b32 exec_lo, exec_lo, s6
	v_add_nc_u32_e32 v9, 16, v21
	s_delay_alu instid0(VALU_DEP_1) | instskip(SKIP_1) | instid1(VALU_DEP_1)
	v_mad_i64_i32 v[4:5], null, v9, s3, 0
	v_cmp_le_i32_e64 s1, v9, v10
	s_and_b32 s1, s1, vcc_lo
	s_delay_alu instid0(VALU_DEP_2) | instskip(NEXT) | instid1(VALU_DEP_1)
	v_lshlrev_b64 v[4:5], 4, v[4:5]
	v_add_co_u32 v6, s2, s4, v4
	s_delay_alu instid0(VALU_DEP_1)
	v_add_co_ci_u32_e64 v7, s2, s5, v5, s2
	s_and_saveexec_b32 s2, s1
	s_cbranch_execz .LBB863_9
; %bb.8:
	v_ashrrev_i32_e32 v11, 31, v10
	v_cmp_ne_u32_e32 vcc_lo, v9, v10
	s_delay_alu instid0(VALU_DEP_2) | instskip(SKIP_1) | instid1(VALU_DEP_2)
	v_lshlrev_b64 v[16:17], 4, v[10:11]
	v_dual_cndmask_b32 v5, 0, v15 :: v_dual_cndmask_b32 v4, 0, v14
	v_add_co_u32 v15, s1, v6, v16
	s_delay_alu instid0(VALU_DEP_1)
	v_add_co_ci_u32_e64 v16, s1, v7, v17, s1
	global_store_b128 v[15:16], v[2:5], off
.LBB863_9:
	s_or_b32 exec_lo, exec_lo, s2
	v_cmp_le_i32_e32 vcc_lo, v9, v8
	s_and_b32 s0, vcc_lo, s0
	s_delay_alu instid0(SALU_CYCLE_1)
	s_and_saveexec_b32 s1, s0
	s_cbranch_execz .LBB863_11
; %bb.10:
	v_ashrrev_i32_e32 v9, 31, v8
	v_cmp_ne_u32_e32 vcc_lo, v21, v10
	s_delay_alu instid0(VALU_DEP_2) | instskip(SKIP_1) | instid1(VALU_DEP_2)
	v_lshlrev_b64 v[4:5], 4, v[8:9]
	v_dual_cndmask_b32 v3, 0, v13 :: v_dual_cndmask_b32 v2, 0, v12
	v_add_co_u32 v4, s0, v6, v4
	s_delay_alu instid0(VALU_DEP_1)
	v_add_co_ci_u32_e64 v5, s0, v7, v5, s0
	global_store_b128 v[4:5], v[0:3], off
.LBB863_11:
	s_nop 0
	s_sendmsg sendmsg(MSG_DEALLOC_VGPRS)
	s_endpgm
	.section	.rodata,"a",@progbits
	.p2align	6, 0x0
	.amdhsa_kernel _ZL37rocblas_syrkx_herkx_restricted_kernelIi19rocblas_complex_numIdELi16ELi32ELi8ELi1ELi0ELb1ELc78ELc76EKPKS1_KPS1_EviT_PT9_S7_lS9_S7_lPT10_S7_li
		.amdhsa_group_segment_fixed_size 8192
		.amdhsa_private_segment_fixed_size 0
		.amdhsa_kernarg_size 84
		.amdhsa_user_sgpr_count 13
		.amdhsa_user_sgpr_dispatch_ptr 0
		.amdhsa_user_sgpr_queue_ptr 0
		.amdhsa_user_sgpr_kernarg_segment_ptr 1
		.amdhsa_user_sgpr_dispatch_id 0
		.amdhsa_user_sgpr_private_segment_size 0
		.amdhsa_wavefront_size32 1
		.amdhsa_uses_dynamic_stack 0
		.amdhsa_enable_private_segment 0
		.amdhsa_system_sgpr_workgroup_id_x 1
		.amdhsa_system_sgpr_workgroup_id_y 1
		.amdhsa_system_sgpr_workgroup_id_z 1
		.amdhsa_system_sgpr_workgroup_info 0
		.amdhsa_system_vgpr_workitem_id 1
		.amdhsa_next_free_vgpr 118
		.amdhsa_next_free_sgpr 20
		.amdhsa_reserve_vcc 1
		.amdhsa_float_round_mode_32 0
		.amdhsa_float_round_mode_16_64 0
		.amdhsa_float_denorm_mode_32 3
		.amdhsa_float_denorm_mode_16_64 3
		.amdhsa_dx10_clamp 1
		.amdhsa_ieee_mode 1
		.amdhsa_fp16_overflow 0
		.amdhsa_workgroup_processor_mode 1
		.amdhsa_memory_ordered 1
		.amdhsa_forward_progress 0
		.amdhsa_shared_vgpr_count 0
		.amdhsa_exception_fp_ieee_invalid_op 0
		.amdhsa_exception_fp_denorm_src 0
		.amdhsa_exception_fp_ieee_div_zero 0
		.amdhsa_exception_fp_ieee_overflow 0
		.amdhsa_exception_fp_ieee_underflow 0
		.amdhsa_exception_fp_ieee_inexact 0
		.amdhsa_exception_int_div_zero 0
	.end_amdhsa_kernel
	.section	.text._ZL37rocblas_syrkx_herkx_restricted_kernelIi19rocblas_complex_numIdELi16ELi32ELi8ELi1ELi0ELb1ELc78ELc76EKPKS1_KPS1_EviT_PT9_S7_lS9_S7_lPT10_S7_li,"axG",@progbits,_ZL37rocblas_syrkx_herkx_restricted_kernelIi19rocblas_complex_numIdELi16ELi32ELi8ELi1ELi0ELb1ELc78ELc76EKPKS1_KPS1_EviT_PT9_S7_lS9_S7_lPT10_S7_li,comdat
.Lfunc_end863:
	.size	_ZL37rocblas_syrkx_herkx_restricted_kernelIi19rocblas_complex_numIdELi16ELi32ELi8ELi1ELi0ELb1ELc78ELc76EKPKS1_KPS1_EviT_PT9_S7_lS9_S7_lPT10_S7_li, .Lfunc_end863-_ZL37rocblas_syrkx_herkx_restricted_kernelIi19rocblas_complex_numIdELi16ELi32ELi8ELi1ELi0ELb1ELc78ELc76EKPKS1_KPS1_EviT_PT9_S7_lS9_S7_lPT10_S7_li
                                        ; -- End function
	.section	.AMDGPU.csdata,"",@progbits
; Kernel info:
; codeLenInByte = 2960
; NumSgprs: 22
; NumVgprs: 118
; ScratchSize: 0
; MemoryBound: 0
; FloatMode: 240
; IeeeMode: 1
; LDSByteSize: 8192 bytes/workgroup (compile time only)
; SGPRBlocks: 2
; VGPRBlocks: 14
; NumSGPRsForWavesPerEU: 22
; NumVGPRsForWavesPerEU: 118
; Occupancy: 12
; WaveLimiterHint : 1
; COMPUTE_PGM_RSRC2:SCRATCH_EN: 0
; COMPUTE_PGM_RSRC2:USER_SGPR: 13
; COMPUTE_PGM_RSRC2:TRAP_HANDLER: 0
; COMPUTE_PGM_RSRC2:TGID_X_EN: 1
; COMPUTE_PGM_RSRC2:TGID_Y_EN: 1
; COMPUTE_PGM_RSRC2:TGID_Z_EN: 1
; COMPUTE_PGM_RSRC2:TIDIG_COMP_CNT: 1
	.section	.text._ZL37rocblas_syrkx_herkx_restricted_kernelIi19rocblas_complex_numIdELi16ELi32ELi8ELi1ELi0ELb1ELc84ELc85EKPKS1_KPS1_EviT_PT9_S7_lS9_S7_lPT10_S7_li,"axG",@progbits,_ZL37rocblas_syrkx_herkx_restricted_kernelIi19rocblas_complex_numIdELi16ELi32ELi8ELi1ELi0ELb1ELc84ELc85EKPKS1_KPS1_EviT_PT9_S7_lS9_S7_lPT10_S7_li,comdat
	.globl	_ZL37rocblas_syrkx_herkx_restricted_kernelIi19rocblas_complex_numIdELi16ELi32ELi8ELi1ELi0ELb1ELc84ELc85EKPKS1_KPS1_EviT_PT9_S7_lS9_S7_lPT10_S7_li ; -- Begin function _ZL37rocblas_syrkx_herkx_restricted_kernelIi19rocblas_complex_numIdELi16ELi32ELi8ELi1ELi0ELb1ELc84ELc85EKPKS1_KPS1_EviT_PT9_S7_lS9_S7_lPT10_S7_li
	.p2align	8
	.type	_ZL37rocblas_syrkx_herkx_restricted_kernelIi19rocblas_complex_numIdELi16ELi32ELi8ELi1ELi0ELb1ELc84ELc85EKPKS1_KPS1_EviT_PT9_S7_lS9_S7_lPT10_S7_li,@function
_ZL37rocblas_syrkx_herkx_restricted_kernelIi19rocblas_complex_numIdELi16ELi32ELi8ELi1ELi0ELb1ELc84ELc85EKPKS1_KPS1_EviT_PT9_S7_lS9_S7_lPT10_S7_li: ; @_ZL37rocblas_syrkx_herkx_restricted_kernelIi19rocblas_complex_numIdELi16ELi32ELi8ELi1ELi0ELb1ELc84ELc85EKPKS1_KPS1_EviT_PT9_S7_lS9_S7_lPT10_S7_li
; %bb.0:
	s_clause 0x1
	s_load_b64 s[4:5], s[0:1], 0x38
	s_load_b64 s[2:3], s[0:1], 0x0
	s_mov_b32 s6, s15
	s_mov_b32 s7, 0
	v_mov_b32_e32 v6, 0
	s_lshl_b64 s[8:9], s[6:7], 3
	v_dual_mov_b32 v7, 0 :: v_dual_and_b32 v20, 0x3ff, v0
	v_bfe_u32 v21, v0, 10, 10
	s_delay_alu instid0(VALU_DEP_3) | instskip(NEXT) | instid1(VALU_DEP_3)
	v_mov_b32_e32 v4, v6
	v_dual_mov_b32 v2, v6 :: v_dual_mov_b32 v3, v7
	v_dual_mov_b32 v19, v7 :: v_dual_mov_b32 v18, v6
	v_mov_b32_e32 v5, v7
	v_dual_mov_b32 v17, v7 :: v_dual_mov_b32 v16, v6
	v_dual_mov_b32 v15, v7 :: v_dual_mov_b32 v14, v6
	;; [unrolled: 1-line block ×3, first 2 shown]
	s_waitcnt lgkmcnt(0)
	s_add_u32 s4, s4, s8
	s_addc_u32 s5, s5, s9
	v_dual_mov_b32 v13, v7 :: v_dual_mov_b32 v12, v6
	s_load_b64 s[4:5], s[4:5], 0x0
	s_lshl_b32 s6, s13, 5
	s_lshl_b32 s10, s14, 5
	s_cmp_lt_i32 s3, 1
	s_cbranch_scc1 .LBB864_3
; %bb.1:
	s_clause 0x3
	s_load_b64 s[12:13], s[0:1], 0x8
	s_load_b64 s[14:15], s[0:1], 0x20
	s_load_b32 s11, s[0:1], 0x10
	s_load_b32 s16, s[0:1], 0x28
	v_lshl_add_u32 v2, v21, 4, v20
	v_dual_mov_b32 v1, 0 :: v_dual_and_b32 v0, 7, v20
	v_mov_b32_e32 v12, 0
	v_dual_mov_b32 v13, 0 :: v_dual_lshlrev_b32 v22, 4, v20
	s_delay_alu instid0(VALU_DEP_4) | instskip(SKIP_3) | instid1(VALU_DEP_4)
	v_and_b32_e32 v9, 31, v2
	v_lshrrev_b32_e32 v8, 3, v2
	v_lshrrev_b32_e32 v2, 5, v2
	v_mov_b32_e32 v3, v1
	v_dual_mov_b32 v15, v13 :: v_dual_add_nc_u32 v6, s6, v9
	s_delay_alu instid0(VALU_DEP_4)
	v_add_nc_u32_e32 v10, s10, v8
	v_dual_mov_b32 v14, v12 :: v_dual_lshlrev_b32 v9, 4, v9
	v_mov_b32_e32 v17, v13
	s_waitcnt lgkmcnt(0)
	s_add_u32 s12, s12, s8
	s_addc_u32 s13, s13, s9
	s_add_u32 s8, s14, s8
	s_load_b64 s[12:13], s[12:13], 0x0
	s_addc_u32 s9, s15, s9
	v_mad_i64_i32 v[4:5], null, s11, v6, v[2:3]
	s_load_b64 s[8:9], s[8:9], 0x0
	v_lshlrev_b32_e32 v3, 4, v0
	v_mad_i64_i32 v[6:7], null, s16, v10, v[0:1]
	v_mov_b32_e32 v0, v12
	v_lshl_or_b32 v24, v2, 9, v9
	s_delay_alu instid0(VALU_DEP_4)
	v_lshl_or_b32 v8, v8, 7, v3
	v_lshlrev_b64 v[3:4], 4, v[4:5]
	v_mov_b32_e32 v19, v13
	v_lshl_add_u32 v23, v21, 7, 0x1000
	v_lshlrev_b64 v[5:6], 4, v[6:7]
	v_dual_mov_b32 v16, v12 :: v_dual_add_nc_u32 v25, 0x1000, v8
	v_dual_mov_b32 v1, v13 :: v_dual_mov_b32 v18, v12
	s_waitcnt lgkmcnt(0)
	v_add_co_u32 v2, vcc_lo, v3, s12
	v_add_co_ci_u32_e32 v3, vcc_lo, s13, v4, vcc_lo
	v_add_co_u32 v4, vcc_lo, v5, s8
	v_add_co_ci_u32_e32 v5, vcc_lo, s9, v6, vcc_lo
	s_delay_alu instid0(VALU_DEP_4) | instskip(NEXT) | instid1(VALU_DEP_4)
	v_add_co_u32 v8, vcc_lo, v2, 8
	v_add_co_ci_u32_e32 v9, vcc_lo, 0, v3, vcc_lo
	s_delay_alu instid0(VALU_DEP_4)
	v_add_co_u32 v10, vcc_lo, v4, 8
	v_mov_b32_e32 v2, v12
	v_add_co_ci_u32_e32 v11, vcc_lo, 0, v5, vcc_lo
	v_dual_mov_b32 v3, v13 :: v_dual_mov_b32 v4, v12
	v_dual_mov_b32 v5, v13 :: v_dual_mov_b32 v6, v12
	v_mov_b32_e32 v7, v13
.LBB864_2:                              ; =>This Inner Loop Header: Depth=1
	global_load_b128 v[26:29], v[8:9], off offset:-8
	global_load_b128 v[30:33], v[10:11], off offset:-8
	v_add_co_u32 v8, vcc_lo, 0x80, v8
	v_add_co_ci_u32_e32 v9, vcc_lo, 0, v9, vcc_lo
	v_add_co_u32 v10, vcc_lo, 0x80, v10
	v_add_co_ci_u32_e32 v11, vcc_lo, 0, v11, vcc_lo
	s_add_i32 s7, s7, 8
	s_waitcnt vmcnt(1)
	ds_store_b128 v24, v[26:29]
	s_waitcnt vmcnt(0)
	ds_store_b128 v25, v[30:33]
	s_waitcnt lgkmcnt(0)
	s_barrier
	buffer_gl0_inv
	ds_load_b128 v[26:29], v23
	ds_load_b128 v[30:33], v22
	ds_load_b128 v[34:37], v22 offset:256
	ds_load_b128 v[38:41], v23 offset:2048
	;; [unrolled: 1-line block ×13, first 2 shown]
	s_cmp_ge_i32 s7, s3
	s_waitcnt lgkmcnt(13)
	v_mul_f64 v[86:87], v[28:29], v[32:33]
	v_mul_f64 v[88:89], v[26:27], v[32:33]
	s_waitcnt lgkmcnt(12)
	v_mul_f64 v[90:91], v[28:29], v[36:37]
	v_mul_f64 v[92:93], v[26:27], v[36:37]
	;; [unrolled: 3-line block ×3, first 2 shown]
	v_mul_f64 v[96:97], v[40:41], v[36:37]
	v_mul_f64 v[36:37], v[38:39], v[36:37]
	s_waitcnt lgkmcnt(8)
	v_mul_f64 v[98:99], v[44:45], v[52:53]
	v_mul_f64 v[100:101], v[42:43], v[52:53]
	s_waitcnt lgkmcnt(7)
	v_mul_f64 v[102:103], v[44:45], v[56:57]
	v_mul_f64 v[104:105], v[42:43], v[56:57]
	;; [unrolled: 1-line block ×6, first 2 shown]
	s_waitcnt lgkmcnt(3)
	v_mul_f64 v[112:113], v[58:59], v[72:73]
	s_waitcnt lgkmcnt(2)
	v_mul_f64 v[114:115], v[76:77], v[68:69]
	v_mul_f64 v[116:117], v[76:77], v[72:73]
	v_fma_f64 v[86:87], v[26:27], v[30:31], -v[86:87]
	v_fma_f64 v[88:89], v[28:29], v[30:31], v[88:89]
	v_fma_f64 v[90:91], v[26:27], v[34:35], -v[90:91]
	v_fma_f64 v[92:93], v[28:29], v[34:35], v[92:93]
	;; [unrolled: 2-line block ×4, first 2 shown]
	v_mul_f64 v[36:37], v[60:61], v[68:69]
	v_mul_f64 v[40:41], v[58:59], v[68:69]
	;; [unrolled: 1-line block ×5, first 2 shown]
	v_fma_f64 v[98:99], v[42:43], v[50:51], -v[98:99]
	v_fma_f64 v[100:101], v[44:45], v[50:51], v[100:101]
	v_fma_f64 v[42:43], v[42:43], v[54:55], -v[102:103]
	v_fma_f64 v[44:45], v[44:45], v[54:55], v[104:105]
	;; [unrolled: 2-line block ×4, first 2 shown]
	ds_load_b128 v[26:29], v22 offset:1792
	ds_load_b128 v[30:33], v22 offset:2048
	v_add_f64 v[52:53], v[6:7], v[86:87]
	v_add_f64 v[18:19], v[18:19], v[88:89]
	;; [unrolled: 1-line block ×8, first 2 shown]
	s_waitcnt lgkmcnt(2)
	v_mul_f64 v[86:87], v[64:65], v[84:85]
	v_mul_f64 v[88:89], v[62:63], v[84:85]
	s_waitcnt lgkmcnt(1)
	v_mul_f64 v[90:91], v[64:65], v[28:29]
	v_mul_f64 v[92:93], v[62:63], v[28:29]
	;; [unrolled: 1-line block ×6, first 2 shown]
	v_fma_f64 v[106:107], v[58:59], v[66:67], -v[36:37]
	v_fma_f64 v[108:109], v[60:61], v[66:67], v[40:41]
	v_fma_f64 v[58:59], v[58:59], v[70:71], -v[96:97]
	v_fma_f64 v[60:61], v[60:61], v[70:71], v[112:113]
	;; [unrolled: 2-line block ×4, first 2 shown]
	ds_load_b128 v[0:3], v22 offset:2304
	ds_load_b128 v[4:7], v23 offset:64
	v_add_f64 v[52:53], v[52:53], v[98:99]
	v_add_f64 v[72:73], v[18:19], v[100:101]
	;; [unrolled: 1-line block ×8, first 2 shown]
	ds_load_b128 v[12:15], v23 offset:2112
	ds_load_b128 v[16:19], v23 offset:80
	;; [unrolled: 1-line block ×4, first 2 shown]
	s_waitcnt lgkmcnt(4)
	v_mul_f64 v[56:57], v[6:7], v[32:33]
	v_mul_f64 v[74:75], v[4:5], v[32:33]
	;; [unrolled: 1-line block ×4, first 2 shown]
	v_fma_f64 v[86:87], v[62:63], v[82:83], -v[86:87]
	v_fma_f64 v[88:89], v[64:65], v[82:83], v[88:89]
	v_fma_f64 v[62:63], v[62:63], v[26:27], -v[90:91]
	v_fma_f64 v[64:65], v[64:65], v[26:27], v[92:93]
	;; [unrolled: 2-line block ×4, first 2 shown]
	s_waitcnt lgkmcnt(3)
	v_mul_f64 v[100:101], v[14:15], v[32:33]
	v_mul_f64 v[32:33], v[12:13], v[32:33]
	;; [unrolled: 1-line block ×4, first 2 shown]
	s_waitcnt lgkmcnt(0)
	v_mul_f64 v[92:93], v[18:19], v[40:41]
	v_mul_f64 v[94:95], v[16:17], v[40:41]
	v_add_f64 v[84:85], v[52:53], v[106:107]
	v_add_f64 v[72:73], v[72:73], v[108:109]
	;; [unrolled: 1-line block ×8, first 2 shown]
	ds_load_b128 v[26:29], v22 offset:2816
	ds_load_b128 v[42:45], v22 offset:3072
	ds_load_b128 v[46:49], v22 offset:3328
	ds_load_b128 v[50:53], v23 offset:96
	v_mul_f64 v[106:107], v[36:37], v[40:41]
	v_mul_f64 v[40:41], v[34:35], v[40:41]
	v_fma_f64 v[56:57], v[4:5], v[30:31], -v[56:57]
	v_fma_f64 v[74:75], v[6:7], v[30:31], v[74:75]
	v_fma_f64 v[76:77], v[4:5], v[0:1], -v[76:77]
	v_fma_f64 v[98:99], v[6:7], v[0:1], v[98:99]
	s_waitcnt lgkmcnt(3)
	v_mul_f64 v[96:97], v[18:19], v[28:29]
	v_mul_f64 v[104:105], v[16:17], v[28:29]
	;; [unrolled: 1-line block ×4, first 2 shown]
	v_fma_f64 v[100:101], v[12:13], v[30:31], -v[100:101]
	v_fma_f64 v[32:33], v[14:15], v[30:31], v[32:33]
	v_fma_f64 v[102:103], v[12:13], v[0:1], -v[102:103]
	v_fma_f64 v[112:113], v[14:15], v[0:1], v[2:3]
	ds_load_b128 v[0:3], v23 offset:2144
	ds_load_b128 v[4:7], v23 offset:112
	;; [unrolled: 1-line block ×4, first 2 shown]
	v_add_f64 v[84:85], v[84:85], v[86:87]
	v_add_f64 v[72:73], v[72:73], v[88:89]
	;; [unrolled: 1-line block ×8, first 2 shown]
	s_waitcnt lgkmcnt(4)
	v_mul_f64 v[68:69], v[52:53], v[44:45]
	v_mul_f64 v[70:71], v[50:51], v[44:45]
	;; [unrolled: 1-line block ×4, first 2 shown]
	s_waitcnt lgkmcnt(3)
	v_mul_f64 v[82:83], v[2:3], v[44:45]
	v_mul_f64 v[44:45], v[0:1], v[44:45]
	;; [unrolled: 1-line block ×4, first 2 shown]
	v_fma_f64 v[88:89], v[16:17], v[38:39], -v[92:93]
	v_fma_f64 v[90:91], v[18:19], v[38:39], v[94:95]
	v_fma_f64 v[92:93], v[16:17], v[26:27], -v[96:97]
	v_fma_f64 v[94:95], v[18:19], v[26:27], v[104:105]
	;; [unrolled: 2-line block ×4, first 2 shown]
	ds_load_b128 v[16:19], v22 offset:3840
	s_waitcnt lgkmcnt(0)
	s_barrier
	buffer_gl0_inv
	v_add_f64 v[36:37], v[84:85], v[56:57]
	v_add_f64 v[40:41], v[72:73], v[74:75]
	;; [unrolled: 1-line block ×8, first 2 shown]
	v_mul_f64 v[64:65], v[6:7], v[30:31]
	v_mul_f64 v[66:67], v[4:5], v[30:31]
	;; [unrolled: 1-line block ×4, first 2 shown]
	v_fma_f64 v[68:69], v[50:51], v[42:43], -v[68:69]
	v_mul_f64 v[72:73], v[6:7], v[18:19]
	v_mul_f64 v[74:75], v[4:5], v[18:19]
	;; [unrolled: 1-line block ×4, first 2 shown]
	v_fma_f64 v[70:71], v[52:53], v[42:43], v[70:71]
	v_fma_f64 v[50:51], v[50:51], v[46:47], -v[78:79]
	v_fma_f64 v[52:53], v[52:53], v[46:47], v[80:81]
	v_fma_f64 v[78:79], v[0:1], v[42:43], -v[82:83]
	;; [unrolled: 2-line block ×3, first 2 shown]
	v_fma_f64 v[2:3], v[2:3], v[46:47], v[48:49]
	v_add_f64 v[36:37], v[36:37], v[88:89]
	v_add_f64 v[40:41], v[40:41], v[90:91]
	;; [unrolled: 1-line block ×8, first 2 shown]
	v_fma_f64 v[38:39], v[4:5], v[28:29], -v[64:65]
	v_fma_f64 v[54:55], v[6:7], v[28:29], v[66:67]
	v_fma_f64 v[58:59], v[12:13], v[28:29], -v[76:77]
	v_fma_f64 v[28:29], v[14:15], v[28:29], v[30:31]
	;; [unrolled: 2-line block ×4, first 2 shown]
	v_add_f64 v[6:7], v[36:37], v[68:69]
	v_add_f64 v[14:15], v[40:41], v[70:71]
	;; [unrolled: 1-line block ×16, first 2 shown]
	s_cbranch_scc0 .LBB864_2
.LBB864_3:
	s_load_b32 s3, s[0:1], 0x40
	v_add_nc_u32_e32 v21, s10, v21
	v_add_nc_u32_e32 v10, s6, v20
	s_delay_alu instid0(VALU_DEP_2) | instskip(NEXT) | instid1(VALU_DEP_2)
	v_cmp_gt_i32_e32 vcc_lo, s2, v21
	v_cmp_le_i32_e64 s0, v10, v21
	s_delay_alu instid0(VALU_DEP_1) | instskip(SKIP_2) | instid1(VALU_DEP_1)
	s_and_b32 s0, vcc_lo, s0
	s_waitcnt lgkmcnt(0)
	v_mad_i64_i32 v[8:9], null, v21, s3, 0
	v_lshlrev_b64 v[8:9], 4, v[8:9]
	s_delay_alu instid0(VALU_DEP_1) | instskip(NEXT) | instid1(VALU_DEP_1)
	v_add_co_u32 v20, s1, s4, v8
	v_add_co_ci_u32_e64 v22, s1, s5, v9, s1
	s_and_saveexec_b32 s6, s0
	s_cbranch_execz .LBB864_5
; %bb.4:
	v_ashrrev_i32_e32 v11, 31, v10
	v_cmp_ne_u32_e64 s0, v21, v10
	s_delay_alu instid0(VALU_DEP_2) | instskip(NEXT) | instid1(VALU_DEP_2)
	v_lshlrev_b64 v[23:24], 4, v[10:11]
	v_cndmask_b32_e64 v9, 0, v19, s0
	v_cndmask_b32_e64 v8, 0, v18, s0
	s_delay_alu instid0(VALU_DEP_3) | instskip(NEXT) | instid1(VALU_DEP_1)
	v_add_co_u32 v23, s1, v20, v23
	v_add_co_ci_u32_e64 v24, s1, v22, v24, s1
	global_store_b128 v[23:24], v[6:9], off
.LBB864_5:
	s_or_b32 exec_lo, exec_lo, s6
	v_add_nc_u32_e32 v8, 16, v10
	s_delay_alu instid0(VALU_DEP_1) | instskip(NEXT) | instid1(VALU_DEP_1)
	v_cmp_le_i32_e64 s0, v8, v21
	s_and_b32 s0, vcc_lo, s0
	s_delay_alu instid0(SALU_CYCLE_1)
	s_and_saveexec_b32 s1, s0
	s_cbranch_execz .LBB864_7
; %bb.6:
	v_ashrrev_i32_e32 v9, 31, v8
	v_cmp_ne_u32_e32 vcc_lo, v21, v8
	s_delay_alu instid0(VALU_DEP_2) | instskip(SKIP_1) | instid1(VALU_DEP_2)
	v_lshlrev_b64 v[18:19], 4, v[8:9]
	v_dual_cndmask_b32 v7, 0, v17 :: v_dual_cndmask_b32 v6, 0, v16
	v_add_co_u32 v17, s0, v20, v18
	s_delay_alu instid0(VALU_DEP_1)
	v_add_co_ci_u32_e64 v18, s0, v22, v19, s0
	global_store_b128 v[17:18], v[4:7], off
.LBB864_7:
	s_or_b32 exec_lo, exec_lo, s1
	v_add_nc_u32_e32 v9, 16, v21
	s_delay_alu instid0(VALU_DEP_1) | instskip(SKIP_2) | instid1(VALU_DEP_1)
	v_mad_i64_i32 v[4:5], null, v9, s3, 0
	v_cmp_gt_i32_e32 vcc_lo, s2, v9
	v_cmp_le_i32_e64 s0, v10, v9
	s_and_b32 s0, vcc_lo, s0
	s_delay_alu instid0(VALU_DEP_3) | instskip(NEXT) | instid1(VALU_DEP_1)
	v_lshlrev_b64 v[4:5], 4, v[4:5]
	v_add_co_u32 v6, s1, s4, v4
	s_delay_alu instid0(VALU_DEP_1)
	v_add_co_ci_u32_e64 v7, s1, s5, v5, s1
	s_and_saveexec_b32 s2, s0
	s_cbranch_execz .LBB864_9
; %bb.8:
	v_ashrrev_i32_e32 v11, 31, v10
	v_cmp_ne_u32_e64 s0, v9, v10
	s_delay_alu instid0(VALU_DEP_2) | instskip(NEXT) | instid1(VALU_DEP_2)
	v_lshlrev_b64 v[16:17], 4, v[10:11]
	v_cndmask_b32_e64 v5, 0, v15, s0
	v_cndmask_b32_e64 v4, 0, v14, s0
	s_delay_alu instid0(VALU_DEP_3) | instskip(NEXT) | instid1(VALU_DEP_1)
	v_add_co_u32 v15, s1, v6, v16
	v_add_co_ci_u32_e64 v16, s1, v7, v17, s1
	global_store_b128 v[15:16], v[2:5], off
.LBB864_9:
	s_or_b32 exec_lo, exec_lo, s2
	v_cmp_le_i32_e64 s0, v8, v9
	s_delay_alu instid0(VALU_DEP_1) | instskip(NEXT) | instid1(SALU_CYCLE_1)
	s_and_b32 s0, vcc_lo, s0
	s_and_saveexec_b32 s1, s0
	s_cbranch_execz .LBB864_11
; %bb.10:
	v_ashrrev_i32_e32 v9, 31, v8
	v_cmp_ne_u32_e32 vcc_lo, v21, v10
	s_delay_alu instid0(VALU_DEP_2) | instskip(SKIP_1) | instid1(VALU_DEP_2)
	v_lshlrev_b64 v[4:5], 4, v[8:9]
	v_dual_cndmask_b32 v3, 0, v13 :: v_dual_cndmask_b32 v2, 0, v12
	v_add_co_u32 v4, s0, v6, v4
	s_delay_alu instid0(VALU_DEP_1)
	v_add_co_ci_u32_e64 v5, s0, v7, v5, s0
	global_store_b128 v[4:5], v[0:3], off
.LBB864_11:
	s_nop 0
	s_sendmsg sendmsg(MSG_DEALLOC_VGPRS)
	s_endpgm
	.section	.rodata,"a",@progbits
	.p2align	6, 0x0
	.amdhsa_kernel _ZL37rocblas_syrkx_herkx_restricted_kernelIi19rocblas_complex_numIdELi16ELi32ELi8ELi1ELi0ELb1ELc84ELc85EKPKS1_KPS1_EviT_PT9_S7_lS9_S7_lPT10_S7_li
		.amdhsa_group_segment_fixed_size 8192
		.amdhsa_private_segment_fixed_size 0
		.amdhsa_kernarg_size 84
		.amdhsa_user_sgpr_count 13
		.amdhsa_user_sgpr_dispatch_ptr 0
		.amdhsa_user_sgpr_queue_ptr 0
		.amdhsa_user_sgpr_kernarg_segment_ptr 1
		.amdhsa_user_sgpr_dispatch_id 0
		.amdhsa_user_sgpr_private_segment_size 0
		.amdhsa_wavefront_size32 1
		.amdhsa_uses_dynamic_stack 0
		.amdhsa_enable_private_segment 0
		.amdhsa_system_sgpr_workgroup_id_x 1
		.amdhsa_system_sgpr_workgroup_id_y 1
		.amdhsa_system_sgpr_workgroup_id_z 1
		.amdhsa_system_sgpr_workgroup_info 0
		.amdhsa_system_vgpr_workitem_id 1
		.amdhsa_next_free_vgpr 118
		.amdhsa_next_free_sgpr 17
		.amdhsa_reserve_vcc 1
		.amdhsa_float_round_mode_32 0
		.amdhsa_float_round_mode_16_64 0
		.amdhsa_float_denorm_mode_32 3
		.amdhsa_float_denorm_mode_16_64 3
		.amdhsa_dx10_clamp 1
		.amdhsa_ieee_mode 1
		.amdhsa_fp16_overflow 0
		.amdhsa_workgroup_processor_mode 1
		.amdhsa_memory_ordered 1
		.amdhsa_forward_progress 0
		.amdhsa_shared_vgpr_count 0
		.amdhsa_exception_fp_ieee_invalid_op 0
		.amdhsa_exception_fp_denorm_src 0
		.amdhsa_exception_fp_ieee_div_zero 0
		.amdhsa_exception_fp_ieee_overflow 0
		.amdhsa_exception_fp_ieee_underflow 0
		.amdhsa_exception_fp_ieee_inexact 0
		.amdhsa_exception_int_div_zero 0
	.end_amdhsa_kernel
	.section	.text._ZL37rocblas_syrkx_herkx_restricted_kernelIi19rocblas_complex_numIdELi16ELi32ELi8ELi1ELi0ELb1ELc84ELc85EKPKS1_KPS1_EviT_PT9_S7_lS9_S7_lPT10_S7_li,"axG",@progbits,_ZL37rocblas_syrkx_herkx_restricted_kernelIi19rocblas_complex_numIdELi16ELi32ELi8ELi1ELi0ELb1ELc84ELc85EKPKS1_KPS1_EviT_PT9_S7_lS9_S7_lPT10_S7_li,comdat
.Lfunc_end864:
	.size	_ZL37rocblas_syrkx_herkx_restricted_kernelIi19rocblas_complex_numIdELi16ELi32ELi8ELi1ELi0ELb1ELc84ELc85EKPKS1_KPS1_EviT_PT9_S7_lS9_S7_lPT10_S7_li, .Lfunc_end864-_ZL37rocblas_syrkx_herkx_restricted_kernelIi19rocblas_complex_numIdELi16ELi32ELi8ELi1ELi0ELb1ELc84ELc85EKPKS1_KPS1_EviT_PT9_S7_lS9_S7_lPT10_S7_li
                                        ; -- End function
	.section	.AMDGPU.csdata,"",@progbits
; Kernel info:
; codeLenInByte = 2936
; NumSgprs: 19
; NumVgprs: 118
; ScratchSize: 0
; MemoryBound: 0
; FloatMode: 240
; IeeeMode: 1
; LDSByteSize: 8192 bytes/workgroup (compile time only)
; SGPRBlocks: 2
; VGPRBlocks: 14
; NumSGPRsForWavesPerEU: 19
; NumVGPRsForWavesPerEU: 118
; Occupancy: 12
; WaveLimiterHint : 1
; COMPUTE_PGM_RSRC2:SCRATCH_EN: 0
; COMPUTE_PGM_RSRC2:USER_SGPR: 13
; COMPUTE_PGM_RSRC2:TRAP_HANDLER: 0
; COMPUTE_PGM_RSRC2:TGID_X_EN: 1
; COMPUTE_PGM_RSRC2:TGID_Y_EN: 1
; COMPUTE_PGM_RSRC2:TGID_Z_EN: 1
; COMPUTE_PGM_RSRC2:TIDIG_COMP_CNT: 1
	.section	.text._ZL37rocblas_syrkx_herkx_restricted_kernelIi19rocblas_complex_numIdELi16ELi32ELi8ELi1ELi0ELb1ELc67ELc85EKPKS1_KPS1_EviT_PT9_S7_lS9_S7_lPT10_S7_li,"axG",@progbits,_ZL37rocblas_syrkx_herkx_restricted_kernelIi19rocblas_complex_numIdELi16ELi32ELi8ELi1ELi0ELb1ELc67ELc85EKPKS1_KPS1_EviT_PT9_S7_lS9_S7_lPT10_S7_li,comdat
	.globl	_ZL37rocblas_syrkx_herkx_restricted_kernelIi19rocblas_complex_numIdELi16ELi32ELi8ELi1ELi0ELb1ELc67ELc85EKPKS1_KPS1_EviT_PT9_S7_lS9_S7_lPT10_S7_li ; -- Begin function _ZL37rocblas_syrkx_herkx_restricted_kernelIi19rocblas_complex_numIdELi16ELi32ELi8ELi1ELi0ELb1ELc67ELc85EKPKS1_KPS1_EviT_PT9_S7_lS9_S7_lPT10_S7_li
	.p2align	8
	.type	_ZL37rocblas_syrkx_herkx_restricted_kernelIi19rocblas_complex_numIdELi16ELi32ELi8ELi1ELi0ELb1ELc67ELc85EKPKS1_KPS1_EviT_PT9_S7_lS9_S7_lPT10_S7_li,@function
_ZL37rocblas_syrkx_herkx_restricted_kernelIi19rocblas_complex_numIdELi16ELi32ELi8ELi1ELi0ELb1ELc67ELc85EKPKS1_KPS1_EviT_PT9_S7_lS9_S7_lPT10_S7_li: ; @_ZL37rocblas_syrkx_herkx_restricted_kernelIi19rocblas_complex_numIdELi16ELi32ELi8ELi1ELi0ELb1ELc67ELc85EKPKS1_KPS1_EviT_PT9_S7_lS9_S7_lPT10_S7_li
; %bb.0:
	s_clause 0x1
	s_load_b64 s[4:5], s[0:1], 0x38
	s_load_b64 s[2:3], s[0:1], 0x0
	s_mov_b32 s6, s15
	s_mov_b32 s7, 0
	v_mov_b32_e32 v6, 0
	s_lshl_b64 s[8:9], s[6:7], 3
	v_dual_mov_b32 v7, 0 :: v_dual_and_b32 v20, 0x3ff, v0
	v_bfe_u32 v21, v0, 10, 10
	s_delay_alu instid0(VALU_DEP_3) | instskip(NEXT) | instid1(VALU_DEP_3)
	v_mov_b32_e32 v4, v6
	v_dual_mov_b32 v2, v6 :: v_dual_mov_b32 v3, v7
	v_dual_mov_b32 v19, v7 :: v_dual_mov_b32 v18, v6
	v_mov_b32_e32 v5, v7
	v_dual_mov_b32 v17, v7 :: v_dual_mov_b32 v16, v6
	v_dual_mov_b32 v15, v7 :: v_dual_mov_b32 v14, v6
	;; [unrolled: 1-line block ×3, first 2 shown]
	s_waitcnt lgkmcnt(0)
	s_add_u32 s4, s4, s8
	s_addc_u32 s5, s5, s9
	v_dual_mov_b32 v13, v7 :: v_dual_mov_b32 v12, v6
	s_load_b64 s[4:5], s[4:5], 0x0
	s_lshl_b32 s6, s13, 5
	s_lshl_b32 s10, s14, 5
	s_cmp_lt_i32 s3, 1
	s_cbranch_scc1 .LBB865_3
; %bb.1:
	s_clause 0x3
	s_load_b64 s[12:13], s[0:1], 0x8
	s_load_b64 s[14:15], s[0:1], 0x20
	s_load_b32 s11, s[0:1], 0x10
	s_load_b32 s16, s[0:1], 0x28
	v_lshl_add_u32 v2, v21, 4, v20
	v_dual_mov_b32 v1, 0 :: v_dual_and_b32 v0, 7, v20
	v_mov_b32_e32 v12, 0
	v_dual_mov_b32 v13, 0 :: v_dual_lshlrev_b32 v22, 4, v20
	s_delay_alu instid0(VALU_DEP_4) | instskip(SKIP_3) | instid1(VALU_DEP_4)
	v_and_b32_e32 v9, 31, v2
	v_lshrrev_b32_e32 v8, 3, v2
	v_lshrrev_b32_e32 v2, 5, v2
	v_mov_b32_e32 v3, v1
	v_dual_mov_b32 v15, v13 :: v_dual_add_nc_u32 v6, s6, v9
	s_delay_alu instid0(VALU_DEP_4)
	v_add_nc_u32_e32 v10, s10, v8
	v_dual_mov_b32 v14, v12 :: v_dual_lshlrev_b32 v9, 4, v9
	v_mov_b32_e32 v17, v13
	s_waitcnt lgkmcnt(0)
	s_add_u32 s12, s12, s8
	s_addc_u32 s13, s13, s9
	s_add_u32 s8, s14, s8
	s_load_b64 s[12:13], s[12:13], 0x0
	s_addc_u32 s9, s15, s9
	v_mad_i64_i32 v[4:5], null, s11, v6, v[2:3]
	s_load_b64 s[8:9], s[8:9], 0x0
	v_lshlrev_b32_e32 v3, 4, v0
	v_mad_i64_i32 v[6:7], null, s16, v10, v[0:1]
	v_mov_b32_e32 v0, v12
	v_lshl_or_b32 v24, v2, 9, v9
	s_delay_alu instid0(VALU_DEP_4)
	v_lshl_or_b32 v8, v8, 7, v3
	v_lshlrev_b64 v[3:4], 4, v[4:5]
	v_mov_b32_e32 v19, v13
	v_lshl_add_u32 v23, v21, 7, 0x1000
	v_lshlrev_b64 v[5:6], 4, v[6:7]
	v_dual_mov_b32 v16, v12 :: v_dual_add_nc_u32 v25, 0x1000, v8
	v_dual_mov_b32 v1, v13 :: v_dual_mov_b32 v18, v12
	s_waitcnt lgkmcnt(0)
	v_add_co_u32 v2, vcc_lo, v3, s12
	v_add_co_ci_u32_e32 v3, vcc_lo, s13, v4, vcc_lo
	v_add_co_u32 v4, vcc_lo, v5, s8
	v_add_co_ci_u32_e32 v5, vcc_lo, s9, v6, vcc_lo
	s_delay_alu instid0(VALU_DEP_4) | instskip(NEXT) | instid1(VALU_DEP_4)
	v_add_co_u32 v8, vcc_lo, v2, 8
	v_add_co_ci_u32_e32 v9, vcc_lo, 0, v3, vcc_lo
	s_delay_alu instid0(VALU_DEP_4)
	v_add_co_u32 v10, vcc_lo, v4, 8
	v_mov_b32_e32 v2, v12
	v_add_co_ci_u32_e32 v11, vcc_lo, 0, v5, vcc_lo
	v_dual_mov_b32 v3, v13 :: v_dual_mov_b32 v4, v12
	v_dual_mov_b32 v5, v13 :: v_dual_mov_b32 v6, v12
	v_mov_b32_e32 v7, v13
.LBB865_2:                              ; =>This Inner Loop Header: Depth=1
	global_load_b128 v[26:29], v[8:9], off offset:-8
	global_load_b128 v[30:33], v[10:11], off offset:-8
	v_add_co_u32 v8, vcc_lo, 0x80, v8
	v_add_co_ci_u32_e32 v9, vcc_lo, 0, v9, vcc_lo
	v_add_co_u32 v10, vcc_lo, 0x80, v10
	v_add_co_ci_u32_e32 v11, vcc_lo, 0, v11, vcc_lo
	s_add_i32 s7, s7, 8
	s_delay_alu instid0(SALU_CYCLE_1)
	s_cmp_ge_i32 s7, s3
	s_waitcnt vmcnt(1)
	v_xor_b32_e32 v29, 0x80000000, v29
	ds_store_b128 v24, v[26:29]
	s_waitcnt vmcnt(0)
	ds_store_b128 v25, v[30:33]
	s_waitcnt lgkmcnt(0)
	s_barrier
	buffer_gl0_inv
	ds_load_b128 v[26:29], v23
	ds_load_b128 v[30:33], v22
	ds_load_b128 v[34:37], v22 offset:256
	ds_load_b128 v[38:41], v23 offset:2048
	;; [unrolled: 1-line block ×13, first 2 shown]
	s_waitcnt lgkmcnt(13)
	v_mul_f64 v[86:87], v[28:29], v[32:33]
	v_mul_f64 v[88:89], v[26:27], v[32:33]
	s_waitcnt lgkmcnt(12)
	v_mul_f64 v[90:91], v[28:29], v[36:37]
	v_mul_f64 v[92:93], v[26:27], v[36:37]
	;; [unrolled: 3-line block ×3, first 2 shown]
	v_mul_f64 v[96:97], v[40:41], v[36:37]
	v_mul_f64 v[36:37], v[38:39], v[36:37]
	s_waitcnt lgkmcnt(8)
	v_mul_f64 v[98:99], v[44:45], v[52:53]
	v_mul_f64 v[100:101], v[42:43], v[52:53]
	s_waitcnt lgkmcnt(7)
	v_mul_f64 v[102:103], v[44:45], v[56:57]
	v_mul_f64 v[104:105], v[42:43], v[56:57]
	;; [unrolled: 1-line block ×6, first 2 shown]
	s_waitcnt lgkmcnt(3)
	v_mul_f64 v[112:113], v[58:59], v[72:73]
	s_waitcnt lgkmcnt(2)
	v_mul_f64 v[114:115], v[76:77], v[68:69]
	v_mul_f64 v[116:117], v[76:77], v[72:73]
	v_fma_f64 v[86:87], v[26:27], v[30:31], -v[86:87]
	v_fma_f64 v[88:89], v[28:29], v[30:31], v[88:89]
	v_fma_f64 v[90:91], v[26:27], v[34:35], -v[90:91]
	v_fma_f64 v[92:93], v[28:29], v[34:35], v[92:93]
	;; [unrolled: 2-line block ×4, first 2 shown]
	v_mul_f64 v[36:37], v[60:61], v[68:69]
	v_mul_f64 v[40:41], v[58:59], v[68:69]
	;; [unrolled: 1-line block ×5, first 2 shown]
	v_fma_f64 v[98:99], v[42:43], v[50:51], -v[98:99]
	v_fma_f64 v[100:101], v[44:45], v[50:51], v[100:101]
	v_fma_f64 v[42:43], v[42:43], v[54:55], -v[102:103]
	v_fma_f64 v[44:45], v[44:45], v[54:55], v[104:105]
	;; [unrolled: 2-line block ×4, first 2 shown]
	ds_load_b128 v[26:29], v22 offset:1792
	ds_load_b128 v[30:33], v22 offset:2048
	v_add_f64 v[52:53], v[6:7], v[86:87]
	v_add_f64 v[18:19], v[18:19], v[88:89]
	;; [unrolled: 1-line block ×8, first 2 shown]
	s_waitcnt lgkmcnt(2)
	v_mul_f64 v[86:87], v[64:65], v[84:85]
	v_mul_f64 v[88:89], v[62:63], v[84:85]
	s_waitcnt lgkmcnt(1)
	v_mul_f64 v[90:91], v[64:65], v[28:29]
	v_mul_f64 v[92:93], v[62:63], v[28:29]
	;; [unrolled: 1-line block ×6, first 2 shown]
	v_fma_f64 v[106:107], v[58:59], v[66:67], -v[36:37]
	v_fma_f64 v[108:109], v[60:61], v[66:67], v[40:41]
	v_fma_f64 v[58:59], v[58:59], v[70:71], -v[96:97]
	v_fma_f64 v[60:61], v[60:61], v[70:71], v[112:113]
	;; [unrolled: 2-line block ×4, first 2 shown]
	ds_load_b128 v[0:3], v22 offset:2304
	ds_load_b128 v[4:7], v23 offset:64
	v_add_f64 v[52:53], v[52:53], v[98:99]
	v_add_f64 v[72:73], v[18:19], v[100:101]
	;; [unrolled: 1-line block ×8, first 2 shown]
	ds_load_b128 v[12:15], v23 offset:2112
	ds_load_b128 v[16:19], v23 offset:80
	;; [unrolled: 1-line block ×4, first 2 shown]
	s_waitcnt lgkmcnt(4)
	v_mul_f64 v[56:57], v[6:7], v[32:33]
	v_mul_f64 v[74:75], v[4:5], v[32:33]
	;; [unrolled: 1-line block ×4, first 2 shown]
	v_fma_f64 v[86:87], v[62:63], v[82:83], -v[86:87]
	v_fma_f64 v[88:89], v[64:65], v[82:83], v[88:89]
	v_fma_f64 v[62:63], v[62:63], v[26:27], -v[90:91]
	v_fma_f64 v[64:65], v[64:65], v[26:27], v[92:93]
	;; [unrolled: 2-line block ×4, first 2 shown]
	s_waitcnt lgkmcnt(3)
	v_mul_f64 v[100:101], v[14:15], v[32:33]
	v_mul_f64 v[32:33], v[12:13], v[32:33]
	;; [unrolled: 1-line block ×4, first 2 shown]
	s_waitcnt lgkmcnt(0)
	v_mul_f64 v[92:93], v[18:19], v[40:41]
	v_mul_f64 v[94:95], v[16:17], v[40:41]
	v_add_f64 v[84:85], v[52:53], v[106:107]
	v_add_f64 v[72:73], v[72:73], v[108:109]
	;; [unrolled: 1-line block ×8, first 2 shown]
	ds_load_b128 v[26:29], v22 offset:2816
	ds_load_b128 v[42:45], v22 offset:3072
	;; [unrolled: 1-line block ×4, first 2 shown]
	v_mul_f64 v[106:107], v[36:37], v[40:41]
	v_mul_f64 v[40:41], v[34:35], v[40:41]
	v_fma_f64 v[56:57], v[4:5], v[30:31], -v[56:57]
	v_fma_f64 v[74:75], v[6:7], v[30:31], v[74:75]
	v_fma_f64 v[76:77], v[4:5], v[0:1], -v[76:77]
	v_fma_f64 v[98:99], v[6:7], v[0:1], v[98:99]
	s_waitcnt lgkmcnt(3)
	v_mul_f64 v[96:97], v[18:19], v[28:29]
	v_mul_f64 v[104:105], v[16:17], v[28:29]
	v_mul_f64 v[108:109], v[36:37], v[28:29]
	v_mul_f64 v[110:111], v[34:35], v[28:29]
	v_fma_f64 v[100:101], v[12:13], v[30:31], -v[100:101]
	v_fma_f64 v[32:33], v[14:15], v[30:31], v[32:33]
	v_fma_f64 v[102:103], v[12:13], v[0:1], -v[102:103]
	v_fma_f64 v[112:113], v[14:15], v[0:1], v[2:3]
	ds_load_b128 v[0:3], v23 offset:2144
	ds_load_b128 v[4:7], v23 offset:112
	;; [unrolled: 1-line block ×4, first 2 shown]
	v_add_f64 v[84:85], v[84:85], v[86:87]
	v_add_f64 v[72:73], v[72:73], v[88:89]
	v_add_f64 v[58:59], v[58:59], v[62:63]
	v_add_f64 v[60:61], v[60:61], v[64:65]
	v_add_f64 v[54:55], v[54:55], v[90:91]
	v_add_f64 v[62:63], v[66:67], v[82:83]
	v_add_f64 v[64:65], v[68:69], v[78:79]
	v_add_f64 v[66:67], v[70:71], v[80:81]
	s_waitcnt lgkmcnt(4)
	v_mul_f64 v[68:69], v[52:53], v[44:45]
	v_mul_f64 v[70:71], v[50:51], v[44:45]
	;; [unrolled: 1-line block ×4, first 2 shown]
	s_waitcnt lgkmcnt(3)
	v_mul_f64 v[82:83], v[2:3], v[44:45]
	v_mul_f64 v[44:45], v[0:1], v[44:45]
	;; [unrolled: 1-line block ×4, first 2 shown]
	v_fma_f64 v[88:89], v[16:17], v[38:39], -v[92:93]
	v_fma_f64 v[90:91], v[18:19], v[38:39], v[94:95]
	v_fma_f64 v[92:93], v[16:17], v[26:27], -v[96:97]
	v_fma_f64 v[94:95], v[18:19], v[26:27], v[104:105]
	;; [unrolled: 2-line block ×4, first 2 shown]
	ds_load_b128 v[16:19], v22 offset:3840
	s_waitcnt lgkmcnt(0)
	s_barrier
	buffer_gl0_inv
	v_add_f64 v[36:37], v[84:85], v[56:57]
	v_add_f64 v[40:41], v[72:73], v[74:75]
	;; [unrolled: 1-line block ×8, first 2 shown]
	v_mul_f64 v[64:65], v[6:7], v[30:31]
	v_mul_f64 v[66:67], v[4:5], v[30:31]
	v_mul_f64 v[76:77], v[14:15], v[30:31]
	v_mul_f64 v[30:31], v[12:13], v[30:31]
	v_fma_f64 v[68:69], v[50:51], v[42:43], -v[68:69]
	v_mul_f64 v[72:73], v[6:7], v[18:19]
	v_mul_f64 v[74:75], v[4:5], v[18:19]
	;; [unrolled: 1-line block ×4, first 2 shown]
	v_fma_f64 v[70:71], v[52:53], v[42:43], v[70:71]
	v_fma_f64 v[50:51], v[50:51], v[46:47], -v[78:79]
	v_fma_f64 v[52:53], v[52:53], v[46:47], v[80:81]
	v_fma_f64 v[78:79], v[0:1], v[42:43], -v[82:83]
	;; [unrolled: 2-line block ×3, first 2 shown]
	v_fma_f64 v[2:3], v[2:3], v[46:47], v[48:49]
	v_add_f64 v[36:37], v[36:37], v[88:89]
	v_add_f64 v[40:41], v[40:41], v[90:91]
	;; [unrolled: 1-line block ×8, first 2 shown]
	v_fma_f64 v[38:39], v[4:5], v[28:29], -v[64:65]
	v_fma_f64 v[54:55], v[6:7], v[28:29], v[66:67]
	v_fma_f64 v[58:59], v[12:13], v[28:29], -v[76:77]
	v_fma_f64 v[28:29], v[14:15], v[28:29], v[30:31]
	;; [unrolled: 2-line block ×4, first 2 shown]
	v_add_f64 v[6:7], v[36:37], v[68:69]
	v_add_f64 v[14:15], v[40:41], v[70:71]
	;; [unrolled: 1-line block ×16, first 2 shown]
	s_cbranch_scc0 .LBB865_2
.LBB865_3:
	s_load_b32 s3, s[0:1], 0x40
	v_add_nc_u32_e32 v21, s10, v21
	v_add_nc_u32_e32 v10, s6, v20
	s_delay_alu instid0(VALU_DEP_2) | instskip(NEXT) | instid1(VALU_DEP_2)
	v_cmp_gt_i32_e32 vcc_lo, s2, v21
	v_cmp_le_i32_e64 s0, v10, v21
	s_delay_alu instid0(VALU_DEP_1) | instskip(SKIP_2) | instid1(VALU_DEP_1)
	s_and_b32 s0, vcc_lo, s0
	s_waitcnt lgkmcnt(0)
	v_mad_i64_i32 v[8:9], null, v21, s3, 0
	v_lshlrev_b64 v[8:9], 4, v[8:9]
	s_delay_alu instid0(VALU_DEP_1) | instskip(NEXT) | instid1(VALU_DEP_1)
	v_add_co_u32 v20, s1, s4, v8
	v_add_co_ci_u32_e64 v22, s1, s5, v9, s1
	s_and_saveexec_b32 s6, s0
	s_cbranch_execz .LBB865_5
; %bb.4:
	v_ashrrev_i32_e32 v11, 31, v10
	v_cmp_ne_u32_e64 s0, v21, v10
	s_delay_alu instid0(VALU_DEP_2) | instskip(NEXT) | instid1(VALU_DEP_2)
	v_lshlrev_b64 v[23:24], 4, v[10:11]
	v_cndmask_b32_e64 v9, 0, v19, s0
	v_cndmask_b32_e64 v8, 0, v18, s0
	s_delay_alu instid0(VALU_DEP_3) | instskip(NEXT) | instid1(VALU_DEP_1)
	v_add_co_u32 v23, s1, v20, v23
	v_add_co_ci_u32_e64 v24, s1, v22, v24, s1
	global_store_b128 v[23:24], v[6:9], off
.LBB865_5:
	s_or_b32 exec_lo, exec_lo, s6
	v_add_nc_u32_e32 v8, 16, v10
	s_delay_alu instid0(VALU_DEP_1) | instskip(NEXT) | instid1(VALU_DEP_1)
	v_cmp_le_i32_e64 s0, v8, v21
	s_and_b32 s0, vcc_lo, s0
	s_delay_alu instid0(SALU_CYCLE_1)
	s_and_saveexec_b32 s1, s0
	s_cbranch_execz .LBB865_7
; %bb.6:
	v_ashrrev_i32_e32 v9, 31, v8
	v_cmp_ne_u32_e32 vcc_lo, v21, v8
	s_delay_alu instid0(VALU_DEP_2) | instskip(SKIP_1) | instid1(VALU_DEP_2)
	v_lshlrev_b64 v[18:19], 4, v[8:9]
	v_dual_cndmask_b32 v7, 0, v17 :: v_dual_cndmask_b32 v6, 0, v16
	v_add_co_u32 v17, s0, v20, v18
	s_delay_alu instid0(VALU_DEP_1)
	v_add_co_ci_u32_e64 v18, s0, v22, v19, s0
	global_store_b128 v[17:18], v[4:7], off
.LBB865_7:
	s_or_b32 exec_lo, exec_lo, s1
	v_add_nc_u32_e32 v9, 16, v21
	s_delay_alu instid0(VALU_DEP_1) | instskip(SKIP_2) | instid1(VALU_DEP_1)
	v_mad_i64_i32 v[4:5], null, v9, s3, 0
	v_cmp_gt_i32_e32 vcc_lo, s2, v9
	v_cmp_le_i32_e64 s0, v10, v9
	s_and_b32 s0, vcc_lo, s0
	s_delay_alu instid0(VALU_DEP_3) | instskip(NEXT) | instid1(VALU_DEP_1)
	v_lshlrev_b64 v[4:5], 4, v[4:5]
	v_add_co_u32 v6, s1, s4, v4
	s_delay_alu instid0(VALU_DEP_1)
	v_add_co_ci_u32_e64 v7, s1, s5, v5, s1
	s_and_saveexec_b32 s2, s0
	s_cbranch_execz .LBB865_9
; %bb.8:
	v_ashrrev_i32_e32 v11, 31, v10
	v_cmp_ne_u32_e64 s0, v9, v10
	s_delay_alu instid0(VALU_DEP_2) | instskip(NEXT) | instid1(VALU_DEP_2)
	v_lshlrev_b64 v[16:17], 4, v[10:11]
	v_cndmask_b32_e64 v5, 0, v15, s0
	v_cndmask_b32_e64 v4, 0, v14, s0
	s_delay_alu instid0(VALU_DEP_3) | instskip(NEXT) | instid1(VALU_DEP_1)
	v_add_co_u32 v15, s1, v6, v16
	v_add_co_ci_u32_e64 v16, s1, v7, v17, s1
	global_store_b128 v[15:16], v[2:5], off
.LBB865_9:
	s_or_b32 exec_lo, exec_lo, s2
	v_cmp_le_i32_e64 s0, v8, v9
	s_delay_alu instid0(VALU_DEP_1) | instskip(NEXT) | instid1(SALU_CYCLE_1)
	s_and_b32 s0, vcc_lo, s0
	s_and_saveexec_b32 s1, s0
	s_cbranch_execz .LBB865_11
; %bb.10:
	v_ashrrev_i32_e32 v9, 31, v8
	v_cmp_ne_u32_e32 vcc_lo, v21, v10
	s_delay_alu instid0(VALU_DEP_2) | instskip(SKIP_1) | instid1(VALU_DEP_2)
	v_lshlrev_b64 v[4:5], 4, v[8:9]
	v_dual_cndmask_b32 v3, 0, v13 :: v_dual_cndmask_b32 v2, 0, v12
	v_add_co_u32 v4, s0, v6, v4
	s_delay_alu instid0(VALU_DEP_1)
	v_add_co_ci_u32_e64 v5, s0, v7, v5, s0
	global_store_b128 v[4:5], v[0:3], off
.LBB865_11:
	s_nop 0
	s_sendmsg sendmsg(MSG_DEALLOC_VGPRS)
	s_endpgm
	.section	.rodata,"a",@progbits
	.p2align	6, 0x0
	.amdhsa_kernel _ZL37rocblas_syrkx_herkx_restricted_kernelIi19rocblas_complex_numIdELi16ELi32ELi8ELi1ELi0ELb1ELc67ELc85EKPKS1_KPS1_EviT_PT9_S7_lS9_S7_lPT10_S7_li
		.amdhsa_group_segment_fixed_size 8192
		.amdhsa_private_segment_fixed_size 0
		.amdhsa_kernarg_size 84
		.amdhsa_user_sgpr_count 13
		.amdhsa_user_sgpr_dispatch_ptr 0
		.amdhsa_user_sgpr_queue_ptr 0
		.amdhsa_user_sgpr_kernarg_segment_ptr 1
		.amdhsa_user_sgpr_dispatch_id 0
		.amdhsa_user_sgpr_private_segment_size 0
		.amdhsa_wavefront_size32 1
		.amdhsa_uses_dynamic_stack 0
		.amdhsa_enable_private_segment 0
		.amdhsa_system_sgpr_workgroup_id_x 1
		.amdhsa_system_sgpr_workgroup_id_y 1
		.amdhsa_system_sgpr_workgroup_id_z 1
		.amdhsa_system_sgpr_workgroup_info 0
		.amdhsa_system_vgpr_workitem_id 1
		.amdhsa_next_free_vgpr 118
		.amdhsa_next_free_sgpr 17
		.amdhsa_reserve_vcc 1
		.amdhsa_float_round_mode_32 0
		.amdhsa_float_round_mode_16_64 0
		.amdhsa_float_denorm_mode_32 3
		.amdhsa_float_denorm_mode_16_64 3
		.amdhsa_dx10_clamp 1
		.amdhsa_ieee_mode 1
		.amdhsa_fp16_overflow 0
		.amdhsa_workgroup_processor_mode 1
		.amdhsa_memory_ordered 1
		.amdhsa_forward_progress 0
		.amdhsa_shared_vgpr_count 0
		.amdhsa_exception_fp_ieee_invalid_op 0
		.amdhsa_exception_fp_denorm_src 0
		.amdhsa_exception_fp_ieee_div_zero 0
		.amdhsa_exception_fp_ieee_overflow 0
		.amdhsa_exception_fp_ieee_underflow 0
		.amdhsa_exception_fp_ieee_inexact 0
		.amdhsa_exception_int_div_zero 0
	.end_amdhsa_kernel
	.section	.text._ZL37rocblas_syrkx_herkx_restricted_kernelIi19rocblas_complex_numIdELi16ELi32ELi8ELi1ELi0ELb1ELc67ELc85EKPKS1_KPS1_EviT_PT9_S7_lS9_S7_lPT10_S7_li,"axG",@progbits,_ZL37rocblas_syrkx_herkx_restricted_kernelIi19rocblas_complex_numIdELi16ELi32ELi8ELi1ELi0ELb1ELc67ELc85EKPKS1_KPS1_EviT_PT9_S7_lS9_S7_lPT10_S7_li,comdat
.Lfunc_end865:
	.size	_ZL37rocblas_syrkx_herkx_restricted_kernelIi19rocblas_complex_numIdELi16ELi32ELi8ELi1ELi0ELb1ELc67ELc85EKPKS1_KPS1_EviT_PT9_S7_lS9_S7_lPT10_S7_li, .Lfunc_end865-_ZL37rocblas_syrkx_herkx_restricted_kernelIi19rocblas_complex_numIdELi16ELi32ELi8ELi1ELi0ELb1ELc67ELc85EKPKS1_KPS1_EviT_PT9_S7_lS9_S7_lPT10_S7_li
                                        ; -- End function
	.section	.AMDGPU.csdata,"",@progbits
; Kernel info:
; codeLenInByte = 2948
; NumSgprs: 19
; NumVgprs: 118
; ScratchSize: 0
; MemoryBound: 0
; FloatMode: 240
; IeeeMode: 1
; LDSByteSize: 8192 bytes/workgroup (compile time only)
; SGPRBlocks: 2
; VGPRBlocks: 14
; NumSGPRsForWavesPerEU: 19
; NumVGPRsForWavesPerEU: 118
; Occupancy: 12
; WaveLimiterHint : 1
; COMPUTE_PGM_RSRC2:SCRATCH_EN: 0
; COMPUTE_PGM_RSRC2:USER_SGPR: 13
; COMPUTE_PGM_RSRC2:TRAP_HANDLER: 0
; COMPUTE_PGM_RSRC2:TGID_X_EN: 1
; COMPUTE_PGM_RSRC2:TGID_Y_EN: 1
; COMPUTE_PGM_RSRC2:TGID_Z_EN: 1
; COMPUTE_PGM_RSRC2:TIDIG_COMP_CNT: 1
	.section	.text._ZL37rocblas_syrkx_herkx_restricted_kernelIi19rocblas_complex_numIdELi16ELi32ELi8ELi1ELi0ELb1ELc78ELc85EKPKS1_KPS1_EviT_PT9_S7_lS9_S7_lPT10_S7_li,"axG",@progbits,_ZL37rocblas_syrkx_herkx_restricted_kernelIi19rocblas_complex_numIdELi16ELi32ELi8ELi1ELi0ELb1ELc78ELc85EKPKS1_KPS1_EviT_PT9_S7_lS9_S7_lPT10_S7_li,comdat
	.globl	_ZL37rocblas_syrkx_herkx_restricted_kernelIi19rocblas_complex_numIdELi16ELi32ELi8ELi1ELi0ELb1ELc78ELc85EKPKS1_KPS1_EviT_PT9_S7_lS9_S7_lPT10_S7_li ; -- Begin function _ZL37rocblas_syrkx_herkx_restricted_kernelIi19rocblas_complex_numIdELi16ELi32ELi8ELi1ELi0ELb1ELc78ELc85EKPKS1_KPS1_EviT_PT9_S7_lS9_S7_lPT10_S7_li
	.p2align	8
	.type	_ZL37rocblas_syrkx_herkx_restricted_kernelIi19rocblas_complex_numIdELi16ELi32ELi8ELi1ELi0ELb1ELc78ELc85EKPKS1_KPS1_EviT_PT9_S7_lS9_S7_lPT10_S7_li,@function
_ZL37rocblas_syrkx_herkx_restricted_kernelIi19rocblas_complex_numIdELi16ELi32ELi8ELi1ELi0ELb1ELc78ELc85EKPKS1_KPS1_EviT_PT9_S7_lS9_S7_lPT10_S7_li: ; @_ZL37rocblas_syrkx_herkx_restricted_kernelIi19rocblas_complex_numIdELi16ELi32ELi8ELi1ELi0ELb1ELc78ELc85EKPKS1_KPS1_EviT_PT9_S7_lS9_S7_lPT10_S7_li
; %bb.0:
	s_clause 0x1
	s_load_b64 s[4:5], s[0:1], 0x38
	s_load_b64 s[2:3], s[0:1], 0x0
	s_mov_b32 s6, s15
	s_mov_b32 s7, 0
	v_mov_b32_e32 v6, 0
	s_lshl_b64 s[8:9], s[6:7], 3
	v_dual_mov_b32 v7, 0 :: v_dual_and_b32 v20, 0x3ff, v0
	v_bfe_u32 v21, v0, 10, 10
	s_delay_alu instid0(VALU_DEP_3) | instskip(NEXT) | instid1(VALU_DEP_3)
	v_mov_b32_e32 v4, v6
	v_dual_mov_b32 v2, v6 :: v_dual_mov_b32 v3, v7
	v_dual_mov_b32 v19, v7 :: v_dual_mov_b32 v18, v6
	v_mov_b32_e32 v5, v7
	v_dual_mov_b32 v17, v7 :: v_dual_mov_b32 v16, v6
	v_dual_mov_b32 v15, v7 :: v_dual_mov_b32 v14, v6
	;; [unrolled: 1-line block ×3, first 2 shown]
	s_waitcnt lgkmcnt(0)
	s_add_u32 s4, s4, s8
	s_addc_u32 s5, s5, s9
	v_dual_mov_b32 v13, v7 :: v_dual_mov_b32 v12, v6
	s_load_b64 s[4:5], s[4:5], 0x0
	s_lshl_b32 s6, s13, 5
	s_lshl_b32 s12, s14, 5
	s_cmp_lt_i32 s3, 1
	s_cbranch_scc1 .LBB866_3
; %bb.1:
	s_clause 0x3
	s_load_b32 s10, s[0:1], 0x10
	s_load_b32 s14, s[0:1], 0x28
	s_load_b64 s[16:17], s[0:1], 0x8
	s_load_b64 s[18:19], s[0:1], 0x20
	v_lshl_add_u32 v0, v21, 4, v20
	v_and_b32_e32 v8, 7, v20
	v_lshl_add_u32 v23, v21, 7, 0x1000
	v_mov_b32_e32 v12, 0
	v_mov_b32_e32 v13, 0
	v_and_b32_e32 v7, 31, v0
	v_lshrrev_b32_e32 v6, 3, v0
	v_lshrrev_b32_e32 v9, 5, v0
	s_delay_alu instid0(VALU_DEP_4) | instskip(NEXT) | instid1(VALU_DEP_4)
	v_dual_mov_b32 v17, v13 :: v_dual_lshlrev_b32 v10, 4, v8
	v_add_nc_u32_e32 v2, s6, v7
	s_delay_alu instid0(VALU_DEP_4) | instskip(SKIP_1) | instid1(VALU_DEP_4)
	v_dual_mov_b32 v15, v13 :: v_dual_add_nc_u32 v0, s12, v6
	v_lshlrev_b32_e32 v7, 4, v7
	v_lshl_or_b32 v6, v6, 7, v10
	s_delay_alu instid0(VALU_DEP_4)
	v_ashrrev_i32_e32 v3, 31, v2
	s_waitcnt lgkmcnt(0)
	s_ashr_i32 s11, s10, 31
	s_ashr_i32 s15, s14, 31
	s_add_u32 s16, s16, s8
	s_addc_u32 s17, s17, s9
	s_add_u32 s8, s18, s8
	s_load_b64 s[16:17], s[16:17], 0x0
	s_addc_u32 s9, s19, s9
	v_ashrrev_i32_e32 v1, 31, v0
	s_load_b64 s[8:9], s[8:9], 0x0
	v_mad_i64_i32 v[4:5], null, s10, v9, v[2:3]
	v_dual_mov_b32 v14, v12 :: v_dual_add_nc_u32 v25, 0x1000, v6
	s_delay_alu instid0(VALU_DEP_3)
	v_mad_i64_i32 v[2:3], null, s14, v8, v[0:1]
	v_mov_b32_e32 v0, v12
	v_lshl_or_b32 v24, v9, 9, v7
	v_lshlrev_b64 v[4:5], 4, v[4:5]
	v_dual_mov_b32 v16, v12 :: v_dual_mov_b32 v19, v13
	v_mov_b32_e32 v6, v12
	v_lshlrev_b64 v[2:3], 4, v[2:3]
	v_dual_mov_b32 v1, v13 :: v_dual_lshlrev_b32 v22, 4, v20
	v_mov_b32_e32 v18, v12
	s_waitcnt lgkmcnt(0)
	v_add_co_u32 v4, vcc_lo, v4, s16
	v_add_co_ci_u32_e32 v5, vcc_lo, s17, v5, vcc_lo
	v_add_co_u32 v2, vcc_lo, v2, s8
	v_add_co_ci_u32_e32 v3, vcc_lo, s9, v3, vcc_lo
	s_delay_alu instid0(VALU_DEP_4) | instskip(NEXT) | instid1(VALU_DEP_4)
	v_add_co_u32 v8, vcc_lo, v4, 8
	v_add_co_ci_u32_e32 v9, vcc_lo, 0, v5, vcc_lo
	s_delay_alu instid0(VALU_DEP_4) | instskip(NEXT) | instid1(VALU_DEP_4)
	v_add_co_u32 v10, vcc_lo, v2, 8
	v_add_co_ci_u32_e32 v11, vcc_lo, 0, v3, vcc_lo
	v_mov_b32_e32 v2, v12
	v_dual_mov_b32 v4, v12 :: v_dual_mov_b32 v7, v13
	v_mov_b32_e32 v3, v13
	v_mov_b32_e32 v5, v13
	s_lshl_b64 s[8:9], s[10:11], 7
	s_lshl_b64 s[10:11], s[14:15], 7
.LBB866_2:                              ; =>This Inner Loop Header: Depth=1
	global_load_b128 v[26:29], v[10:11], off offset:-8
	global_load_b128 v[30:33], v[8:9], off offset:-8
	v_add_co_u32 v8, vcc_lo, v8, s8
	v_add_co_ci_u32_e32 v9, vcc_lo, s9, v9, vcc_lo
	v_add_co_u32 v10, vcc_lo, v10, s10
	v_add_co_ci_u32_e32 v11, vcc_lo, s11, v11, vcc_lo
	s_add_i32 s7, s7, 8
	s_delay_alu instid0(SALU_CYCLE_1)
	s_cmp_ge_i32 s7, s3
	s_waitcnt vmcnt(1)
	v_xor_b32_e32 v29, 0x80000000, v29
	s_waitcnt vmcnt(0)
	ds_store_b128 v24, v[30:33]
	ds_store_b128 v25, v[26:29]
	s_waitcnt lgkmcnt(0)
	s_barrier
	buffer_gl0_inv
	ds_load_b128 v[26:29], v23
	ds_load_b128 v[30:33], v22
	ds_load_b128 v[34:37], v22 offset:256
	ds_load_b128 v[38:41], v23 offset:2048
	;; [unrolled: 1-line block ×13, first 2 shown]
	s_waitcnt lgkmcnt(13)
	v_mul_f64 v[86:87], v[28:29], v[32:33]
	v_mul_f64 v[88:89], v[26:27], v[32:33]
	s_waitcnt lgkmcnt(12)
	v_mul_f64 v[90:91], v[28:29], v[36:37]
	v_mul_f64 v[92:93], v[26:27], v[36:37]
	;; [unrolled: 3-line block ×3, first 2 shown]
	v_mul_f64 v[96:97], v[40:41], v[36:37]
	v_mul_f64 v[36:37], v[38:39], v[36:37]
	s_waitcnt lgkmcnt(8)
	v_mul_f64 v[98:99], v[44:45], v[52:53]
	v_mul_f64 v[100:101], v[42:43], v[52:53]
	s_waitcnt lgkmcnt(7)
	v_mul_f64 v[102:103], v[44:45], v[56:57]
	v_mul_f64 v[104:105], v[42:43], v[56:57]
	;; [unrolled: 1-line block ×6, first 2 shown]
	s_waitcnt lgkmcnt(3)
	v_mul_f64 v[112:113], v[58:59], v[72:73]
	s_waitcnt lgkmcnt(2)
	v_mul_f64 v[114:115], v[76:77], v[68:69]
	v_mul_f64 v[116:117], v[76:77], v[72:73]
	v_fma_f64 v[86:87], v[26:27], v[30:31], -v[86:87]
	v_fma_f64 v[88:89], v[28:29], v[30:31], v[88:89]
	v_fma_f64 v[90:91], v[26:27], v[34:35], -v[90:91]
	v_fma_f64 v[92:93], v[28:29], v[34:35], v[92:93]
	;; [unrolled: 2-line block ×4, first 2 shown]
	v_mul_f64 v[36:37], v[60:61], v[68:69]
	v_mul_f64 v[40:41], v[58:59], v[68:69]
	;; [unrolled: 1-line block ×5, first 2 shown]
	v_fma_f64 v[98:99], v[42:43], v[50:51], -v[98:99]
	v_fma_f64 v[100:101], v[44:45], v[50:51], v[100:101]
	v_fma_f64 v[42:43], v[42:43], v[54:55], -v[102:103]
	v_fma_f64 v[44:45], v[44:45], v[54:55], v[104:105]
	;; [unrolled: 2-line block ×4, first 2 shown]
	ds_load_b128 v[26:29], v22 offset:1792
	ds_load_b128 v[30:33], v22 offset:2048
	v_add_f64 v[52:53], v[6:7], v[86:87]
	v_add_f64 v[18:19], v[18:19], v[88:89]
	;; [unrolled: 1-line block ×8, first 2 shown]
	s_waitcnt lgkmcnt(2)
	v_mul_f64 v[86:87], v[64:65], v[84:85]
	v_mul_f64 v[88:89], v[62:63], v[84:85]
	s_waitcnt lgkmcnt(1)
	v_mul_f64 v[90:91], v[64:65], v[28:29]
	v_mul_f64 v[92:93], v[62:63], v[28:29]
	v_mul_f64 v[94:95], v[80:81], v[84:85]
	v_mul_f64 v[84:85], v[78:79], v[84:85]
	v_mul_f64 v[104:105], v[80:81], v[28:29]
	v_mul_f64 v[28:29], v[78:79], v[28:29]
	v_fma_f64 v[106:107], v[58:59], v[66:67], -v[36:37]
	v_fma_f64 v[108:109], v[60:61], v[66:67], v[40:41]
	v_fma_f64 v[58:59], v[58:59], v[70:71], -v[96:97]
	v_fma_f64 v[60:61], v[60:61], v[70:71], v[112:113]
	;; [unrolled: 2-line block ×4, first 2 shown]
	ds_load_b128 v[0:3], v22 offset:2304
	ds_load_b128 v[4:7], v23 offset:64
	v_add_f64 v[52:53], v[52:53], v[98:99]
	v_add_f64 v[72:73], v[18:19], v[100:101]
	v_add_f64 v[42:43], v[54:55], v[42:43]
	v_add_f64 v[44:45], v[16:17], v[44:45]
	v_add_f64 v[54:55], v[56:57], v[102:103]
	v_add_f64 v[50:51], v[14:15], v[50:51]
	v_add_f64 v[46:47], v[38:39], v[46:47]
	v_add_f64 v[48:49], v[12:13], v[48:49]
	ds_load_b128 v[12:15], v23 offset:2112
	ds_load_b128 v[16:19], v23 offset:80
	;; [unrolled: 1-line block ×4, first 2 shown]
	s_waitcnt lgkmcnt(4)
	v_mul_f64 v[56:57], v[6:7], v[32:33]
	v_mul_f64 v[74:75], v[4:5], v[32:33]
	v_mul_f64 v[76:77], v[6:7], v[2:3]
	v_mul_f64 v[98:99], v[4:5], v[2:3]
	v_fma_f64 v[86:87], v[62:63], v[82:83], -v[86:87]
	v_fma_f64 v[88:89], v[64:65], v[82:83], v[88:89]
	v_fma_f64 v[62:63], v[62:63], v[26:27], -v[90:91]
	v_fma_f64 v[64:65], v[64:65], v[26:27], v[92:93]
	;; [unrolled: 2-line block ×4, first 2 shown]
	s_waitcnt lgkmcnt(3)
	v_mul_f64 v[100:101], v[14:15], v[32:33]
	v_mul_f64 v[32:33], v[12:13], v[32:33]
	;; [unrolled: 1-line block ×4, first 2 shown]
	s_waitcnt lgkmcnt(0)
	v_mul_f64 v[92:93], v[18:19], v[40:41]
	v_mul_f64 v[94:95], v[16:17], v[40:41]
	v_add_f64 v[84:85], v[52:53], v[106:107]
	v_add_f64 v[72:73], v[72:73], v[108:109]
	;; [unrolled: 1-line block ×8, first 2 shown]
	ds_load_b128 v[26:29], v22 offset:2816
	ds_load_b128 v[42:45], v22 offset:3072
	;; [unrolled: 1-line block ×4, first 2 shown]
	v_mul_f64 v[106:107], v[36:37], v[40:41]
	v_mul_f64 v[40:41], v[34:35], v[40:41]
	v_fma_f64 v[56:57], v[4:5], v[30:31], -v[56:57]
	v_fma_f64 v[74:75], v[6:7], v[30:31], v[74:75]
	v_fma_f64 v[76:77], v[4:5], v[0:1], -v[76:77]
	v_fma_f64 v[98:99], v[6:7], v[0:1], v[98:99]
	s_waitcnt lgkmcnt(3)
	v_mul_f64 v[96:97], v[18:19], v[28:29]
	v_mul_f64 v[104:105], v[16:17], v[28:29]
	;; [unrolled: 1-line block ×4, first 2 shown]
	v_fma_f64 v[100:101], v[12:13], v[30:31], -v[100:101]
	v_fma_f64 v[32:33], v[14:15], v[30:31], v[32:33]
	v_fma_f64 v[102:103], v[12:13], v[0:1], -v[102:103]
	v_fma_f64 v[112:113], v[14:15], v[0:1], v[2:3]
	ds_load_b128 v[0:3], v23 offset:2144
	ds_load_b128 v[4:7], v23 offset:112
	;; [unrolled: 1-line block ×4, first 2 shown]
	v_add_f64 v[84:85], v[84:85], v[86:87]
	v_add_f64 v[72:73], v[72:73], v[88:89]
	;; [unrolled: 1-line block ×8, first 2 shown]
	s_waitcnt lgkmcnt(4)
	v_mul_f64 v[68:69], v[52:53], v[44:45]
	v_mul_f64 v[70:71], v[50:51], v[44:45]
	;; [unrolled: 1-line block ×4, first 2 shown]
	s_waitcnt lgkmcnt(3)
	v_mul_f64 v[82:83], v[2:3], v[44:45]
	v_mul_f64 v[44:45], v[0:1], v[44:45]
	;; [unrolled: 1-line block ×4, first 2 shown]
	v_fma_f64 v[88:89], v[16:17], v[38:39], -v[92:93]
	v_fma_f64 v[90:91], v[18:19], v[38:39], v[94:95]
	v_fma_f64 v[92:93], v[16:17], v[26:27], -v[96:97]
	v_fma_f64 v[94:95], v[18:19], v[26:27], v[104:105]
	;; [unrolled: 2-line block ×4, first 2 shown]
	ds_load_b128 v[16:19], v22 offset:3840
	s_waitcnt lgkmcnt(0)
	s_barrier
	buffer_gl0_inv
	v_add_f64 v[36:37], v[84:85], v[56:57]
	v_add_f64 v[40:41], v[72:73], v[74:75]
	;; [unrolled: 1-line block ×8, first 2 shown]
	v_mul_f64 v[64:65], v[6:7], v[30:31]
	v_mul_f64 v[66:67], v[4:5], v[30:31]
	;; [unrolled: 1-line block ×4, first 2 shown]
	v_fma_f64 v[68:69], v[50:51], v[42:43], -v[68:69]
	v_mul_f64 v[72:73], v[6:7], v[18:19]
	v_mul_f64 v[74:75], v[4:5], v[18:19]
	;; [unrolled: 1-line block ×4, first 2 shown]
	v_fma_f64 v[70:71], v[52:53], v[42:43], v[70:71]
	v_fma_f64 v[50:51], v[50:51], v[46:47], -v[78:79]
	v_fma_f64 v[52:53], v[52:53], v[46:47], v[80:81]
	v_fma_f64 v[78:79], v[0:1], v[42:43], -v[82:83]
	;; [unrolled: 2-line block ×3, first 2 shown]
	v_fma_f64 v[2:3], v[2:3], v[46:47], v[48:49]
	v_add_f64 v[36:37], v[36:37], v[88:89]
	v_add_f64 v[40:41], v[40:41], v[90:91]
	;; [unrolled: 1-line block ×8, first 2 shown]
	v_fma_f64 v[38:39], v[4:5], v[28:29], -v[64:65]
	v_fma_f64 v[54:55], v[6:7], v[28:29], v[66:67]
	v_fma_f64 v[58:59], v[12:13], v[28:29], -v[76:77]
	v_fma_f64 v[28:29], v[14:15], v[28:29], v[30:31]
	;; [unrolled: 2-line block ×4, first 2 shown]
	v_add_f64 v[6:7], v[36:37], v[68:69]
	v_add_f64 v[14:15], v[40:41], v[70:71]
	v_add_f64 v[16:17], v[44:45], v[50:51]
	v_add_f64 v[36:37], v[46:47], v[52:53]
	v_add_f64 v[40:41], v[48:49], v[78:79]
	v_add_f64 v[32:33], v[32:33], v[42:43]
	v_add_f64 v[0:1], v[34:35], v[0:1]
	v_add_f64 v[26:27], v[26:27], v[2:3]
	v_add_f64 v[6:7], v[6:7], v[38:39]
	v_add_f64 v[18:19], v[14:15], v[54:55]
	v_add_f64 v[4:5], v[16:17], v[4:5]
	v_add_f64 v[16:17], v[36:37], v[56:57]
	v_add_f64 v[2:3], v[40:41], v[58:59]
	v_add_f64 v[14:15], v[32:33], v[28:29]
	v_add_f64 v[0:1], v[0:1], v[12:13]
	v_add_f64 v[12:13], v[26:27], v[30:31]
	s_cbranch_scc0 .LBB866_2
.LBB866_3:
	s_load_b32 s3, s[0:1], 0x40
	v_add_nc_u32_e32 v21, s12, v21
	v_add_nc_u32_e32 v10, s6, v20
	s_delay_alu instid0(VALU_DEP_2) | instskip(NEXT) | instid1(VALU_DEP_2)
	v_cmp_gt_i32_e32 vcc_lo, s2, v21
	v_cmp_le_i32_e64 s0, v10, v21
	s_delay_alu instid0(VALU_DEP_1) | instskip(SKIP_2) | instid1(VALU_DEP_1)
	s_and_b32 s0, vcc_lo, s0
	s_waitcnt lgkmcnt(0)
	v_mad_i64_i32 v[8:9], null, v21, s3, 0
	v_lshlrev_b64 v[8:9], 4, v[8:9]
	s_delay_alu instid0(VALU_DEP_1) | instskip(NEXT) | instid1(VALU_DEP_1)
	v_add_co_u32 v20, s1, s4, v8
	v_add_co_ci_u32_e64 v22, s1, s5, v9, s1
	s_and_saveexec_b32 s6, s0
	s_cbranch_execz .LBB866_5
; %bb.4:
	v_ashrrev_i32_e32 v11, 31, v10
	v_cmp_ne_u32_e64 s0, v21, v10
	s_delay_alu instid0(VALU_DEP_2) | instskip(NEXT) | instid1(VALU_DEP_2)
	v_lshlrev_b64 v[23:24], 4, v[10:11]
	v_cndmask_b32_e64 v9, 0, v19, s0
	v_cndmask_b32_e64 v8, 0, v18, s0
	s_delay_alu instid0(VALU_DEP_3) | instskip(NEXT) | instid1(VALU_DEP_1)
	v_add_co_u32 v23, s1, v20, v23
	v_add_co_ci_u32_e64 v24, s1, v22, v24, s1
	global_store_b128 v[23:24], v[6:9], off
.LBB866_5:
	s_or_b32 exec_lo, exec_lo, s6
	v_add_nc_u32_e32 v8, 16, v10
	s_delay_alu instid0(VALU_DEP_1) | instskip(NEXT) | instid1(VALU_DEP_1)
	v_cmp_le_i32_e64 s0, v8, v21
	s_and_b32 s0, vcc_lo, s0
	s_delay_alu instid0(SALU_CYCLE_1)
	s_and_saveexec_b32 s1, s0
	s_cbranch_execz .LBB866_7
; %bb.6:
	v_ashrrev_i32_e32 v9, 31, v8
	v_cmp_ne_u32_e32 vcc_lo, v21, v8
	s_delay_alu instid0(VALU_DEP_2) | instskip(SKIP_1) | instid1(VALU_DEP_2)
	v_lshlrev_b64 v[18:19], 4, v[8:9]
	v_dual_cndmask_b32 v7, 0, v17 :: v_dual_cndmask_b32 v6, 0, v16
	v_add_co_u32 v17, s0, v20, v18
	s_delay_alu instid0(VALU_DEP_1)
	v_add_co_ci_u32_e64 v18, s0, v22, v19, s0
	global_store_b128 v[17:18], v[4:7], off
.LBB866_7:
	s_or_b32 exec_lo, exec_lo, s1
	v_add_nc_u32_e32 v9, 16, v21
	s_delay_alu instid0(VALU_DEP_1) | instskip(SKIP_2) | instid1(VALU_DEP_1)
	v_mad_i64_i32 v[4:5], null, v9, s3, 0
	v_cmp_gt_i32_e32 vcc_lo, s2, v9
	v_cmp_le_i32_e64 s0, v10, v9
	s_and_b32 s0, vcc_lo, s0
	s_delay_alu instid0(VALU_DEP_3) | instskip(NEXT) | instid1(VALU_DEP_1)
	v_lshlrev_b64 v[4:5], 4, v[4:5]
	v_add_co_u32 v6, s1, s4, v4
	s_delay_alu instid0(VALU_DEP_1)
	v_add_co_ci_u32_e64 v7, s1, s5, v5, s1
	s_and_saveexec_b32 s2, s0
	s_cbranch_execz .LBB866_9
; %bb.8:
	v_ashrrev_i32_e32 v11, 31, v10
	v_cmp_ne_u32_e64 s0, v9, v10
	s_delay_alu instid0(VALU_DEP_2) | instskip(NEXT) | instid1(VALU_DEP_2)
	v_lshlrev_b64 v[16:17], 4, v[10:11]
	v_cndmask_b32_e64 v5, 0, v15, s0
	v_cndmask_b32_e64 v4, 0, v14, s0
	s_delay_alu instid0(VALU_DEP_3) | instskip(NEXT) | instid1(VALU_DEP_1)
	v_add_co_u32 v15, s1, v6, v16
	v_add_co_ci_u32_e64 v16, s1, v7, v17, s1
	global_store_b128 v[15:16], v[2:5], off
.LBB866_9:
	s_or_b32 exec_lo, exec_lo, s2
	v_cmp_le_i32_e64 s0, v8, v9
	s_delay_alu instid0(VALU_DEP_1) | instskip(NEXT) | instid1(SALU_CYCLE_1)
	s_and_b32 s0, vcc_lo, s0
	s_and_saveexec_b32 s1, s0
	s_cbranch_execz .LBB866_11
; %bb.10:
	v_ashrrev_i32_e32 v9, 31, v8
	v_cmp_ne_u32_e32 vcc_lo, v21, v10
	s_delay_alu instid0(VALU_DEP_2) | instskip(SKIP_1) | instid1(VALU_DEP_2)
	v_lshlrev_b64 v[4:5], 4, v[8:9]
	v_dual_cndmask_b32 v3, 0, v13 :: v_dual_cndmask_b32 v2, 0, v12
	v_add_co_u32 v4, s0, v6, v4
	s_delay_alu instid0(VALU_DEP_1)
	v_add_co_ci_u32_e64 v5, s0, v7, v5, s0
	global_store_b128 v[4:5], v[0:3], off
.LBB866_11:
	s_nop 0
	s_sendmsg sendmsg(MSG_DEALLOC_VGPRS)
	s_endpgm
	.section	.rodata,"a",@progbits
	.p2align	6, 0x0
	.amdhsa_kernel _ZL37rocblas_syrkx_herkx_restricted_kernelIi19rocblas_complex_numIdELi16ELi32ELi8ELi1ELi0ELb1ELc78ELc85EKPKS1_KPS1_EviT_PT9_S7_lS9_S7_lPT10_S7_li
		.amdhsa_group_segment_fixed_size 8192
		.amdhsa_private_segment_fixed_size 0
		.amdhsa_kernarg_size 84
		.amdhsa_user_sgpr_count 13
		.amdhsa_user_sgpr_dispatch_ptr 0
		.amdhsa_user_sgpr_queue_ptr 0
		.amdhsa_user_sgpr_kernarg_segment_ptr 1
		.amdhsa_user_sgpr_dispatch_id 0
		.amdhsa_user_sgpr_private_segment_size 0
		.amdhsa_wavefront_size32 1
		.amdhsa_uses_dynamic_stack 0
		.amdhsa_enable_private_segment 0
		.amdhsa_system_sgpr_workgroup_id_x 1
		.amdhsa_system_sgpr_workgroup_id_y 1
		.amdhsa_system_sgpr_workgroup_id_z 1
		.amdhsa_system_sgpr_workgroup_info 0
		.amdhsa_system_vgpr_workitem_id 1
		.amdhsa_next_free_vgpr 118
		.amdhsa_next_free_sgpr 20
		.amdhsa_reserve_vcc 1
		.amdhsa_float_round_mode_32 0
		.amdhsa_float_round_mode_16_64 0
		.amdhsa_float_denorm_mode_32 3
		.amdhsa_float_denorm_mode_16_64 3
		.amdhsa_dx10_clamp 1
		.amdhsa_ieee_mode 1
		.amdhsa_fp16_overflow 0
		.amdhsa_workgroup_processor_mode 1
		.amdhsa_memory_ordered 1
		.amdhsa_forward_progress 0
		.amdhsa_shared_vgpr_count 0
		.amdhsa_exception_fp_ieee_invalid_op 0
		.amdhsa_exception_fp_denorm_src 0
		.amdhsa_exception_fp_ieee_div_zero 0
		.amdhsa_exception_fp_ieee_overflow 0
		.amdhsa_exception_fp_ieee_underflow 0
		.amdhsa_exception_fp_ieee_inexact 0
		.amdhsa_exception_int_div_zero 0
	.end_amdhsa_kernel
	.section	.text._ZL37rocblas_syrkx_herkx_restricted_kernelIi19rocblas_complex_numIdELi16ELi32ELi8ELi1ELi0ELb1ELc78ELc85EKPKS1_KPS1_EviT_PT9_S7_lS9_S7_lPT10_S7_li,"axG",@progbits,_ZL37rocblas_syrkx_herkx_restricted_kernelIi19rocblas_complex_numIdELi16ELi32ELi8ELi1ELi0ELb1ELc78ELc85EKPKS1_KPS1_EviT_PT9_S7_lS9_S7_lPT10_S7_li,comdat
.Lfunc_end866:
	.size	_ZL37rocblas_syrkx_herkx_restricted_kernelIi19rocblas_complex_numIdELi16ELi32ELi8ELi1ELi0ELb1ELc78ELc85EKPKS1_KPS1_EviT_PT9_S7_lS9_S7_lPT10_S7_li, .Lfunc_end866-_ZL37rocblas_syrkx_herkx_restricted_kernelIi19rocblas_complex_numIdELi16ELi32ELi8ELi1ELi0ELb1ELc78ELc85EKPKS1_KPS1_EviT_PT9_S7_lS9_S7_lPT10_S7_li
                                        ; -- End function
	.section	.AMDGPU.csdata,"",@progbits
; Kernel info:
; codeLenInByte = 2960
; NumSgprs: 22
; NumVgprs: 118
; ScratchSize: 0
; MemoryBound: 0
; FloatMode: 240
; IeeeMode: 1
; LDSByteSize: 8192 bytes/workgroup (compile time only)
; SGPRBlocks: 2
; VGPRBlocks: 14
; NumSGPRsForWavesPerEU: 22
; NumVGPRsForWavesPerEU: 118
; Occupancy: 12
; WaveLimiterHint : 1
; COMPUTE_PGM_RSRC2:SCRATCH_EN: 0
; COMPUTE_PGM_RSRC2:USER_SGPR: 13
; COMPUTE_PGM_RSRC2:TRAP_HANDLER: 0
; COMPUTE_PGM_RSRC2:TGID_X_EN: 1
; COMPUTE_PGM_RSRC2:TGID_Y_EN: 1
; COMPUTE_PGM_RSRC2:TGID_Z_EN: 1
; COMPUTE_PGM_RSRC2:TIDIG_COMP_CNT: 1
	.section	.text._ZL37rocblas_syrkx_herkx_restricted_kernelIi19rocblas_complex_numIdELi16ELi32ELi8ELin1ELi0ELb1ELc84ELc76EKPKS1_KPS1_EviT_PT9_S7_lS9_S7_lPT10_S7_li,"axG",@progbits,_ZL37rocblas_syrkx_herkx_restricted_kernelIi19rocblas_complex_numIdELi16ELi32ELi8ELin1ELi0ELb1ELc84ELc76EKPKS1_KPS1_EviT_PT9_S7_lS9_S7_lPT10_S7_li,comdat
	.globl	_ZL37rocblas_syrkx_herkx_restricted_kernelIi19rocblas_complex_numIdELi16ELi32ELi8ELin1ELi0ELb1ELc84ELc76EKPKS1_KPS1_EviT_PT9_S7_lS9_S7_lPT10_S7_li ; -- Begin function _ZL37rocblas_syrkx_herkx_restricted_kernelIi19rocblas_complex_numIdELi16ELi32ELi8ELin1ELi0ELb1ELc84ELc76EKPKS1_KPS1_EviT_PT9_S7_lS9_S7_lPT10_S7_li
	.p2align	8
	.type	_ZL37rocblas_syrkx_herkx_restricted_kernelIi19rocblas_complex_numIdELi16ELi32ELi8ELin1ELi0ELb1ELc84ELc76EKPKS1_KPS1_EviT_PT9_S7_lS9_S7_lPT10_S7_li,@function
_ZL37rocblas_syrkx_herkx_restricted_kernelIi19rocblas_complex_numIdELi16ELi32ELi8ELin1ELi0ELb1ELc84ELc76EKPKS1_KPS1_EviT_PT9_S7_lS9_S7_lPT10_S7_li: ; @_ZL37rocblas_syrkx_herkx_restricted_kernelIi19rocblas_complex_numIdELi16ELi32ELi8ELin1ELi0ELb1ELc84ELc76EKPKS1_KPS1_EviT_PT9_S7_lS9_S7_lPT10_S7_li
; %bb.0:
	s_clause 0x1
	s_load_b64 s[4:5], s[0:1], 0x38
	s_load_b64 s[2:3], s[0:1], 0x0
	s_mov_b32 s6, s15
	s_mov_b32 s7, 0
	v_mov_b32_e32 v6, 0
	s_lshl_b64 s[8:9], s[6:7], 3
	v_dual_mov_b32 v7, 0 :: v_dual_and_b32 v20, 0x3ff, v0
	v_bfe_u32 v21, v0, 10, 10
	s_delay_alu instid0(VALU_DEP_3) | instskip(NEXT) | instid1(VALU_DEP_3)
	v_mov_b32_e32 v4, v6
	v_dual_mov_b32 v2, v6 :: v_dual_mov_b32 v3, v7
	v_dual_mov_b32 v19, v7 :: v_dual_mov_b32 v18, v6
	v_mov_b32_e32 v5, v7
	v_dual_mov_b32 v17, v7 :: v_dual_mov_b32 v16, v6
	v_dual_mov_b32 v15, v7 :: v_dual_mov_b32 v14, v6
	;; [unrolled: 1-line block ×3, first 2 shown]
	s_waitcnt lgkmcnt(0)
	s_add_u32 s4, s4, s8
	s_addc_u32 s5, s5, s9
	v_dual_mov_b32 v13, v7 :: v_dual_mov_b32 v12, v6
	s_load_b64 s[4:5], s[4:5], 0x0
	s_lshl_b32 s6, s13, 5
	s_lshl_b32 s10, s14, 5
	s_cmp_lt_i32 s3, 1
	s_cbranch_scc1 .LBB867_3
; %bb.1:
	s_clause 0x3
	s_load_b64 s[12:13], s[0:1], 0x8
	s_load_b64 s[14:15], s[0:1], 0x20
	s_load_b32 s11, s[0:1], 0x10
	s_load_b32 s16, s[0:1], 0x28
	v_lshl_add_u32 v2, v21, 4, v20
	v_dual_mov_b32 v1, 0 :: v_dual_and_b32 v0, 7, v20
	v_mov_b32_e32 v12, 0
	v_dual_mov_b32 v13, 0 :: v_dual_lshlrev_b32 v22, 4, v20
	s_delay_alu instid0(VALU_DEP_4) | instskip(SKIP_3) | instid1(VALU_DEP_4)
	v_and_b32_e32 v9, 31, v2
	v_lshrrev_b32_e32 v8, 3, v2
	v_lshrrev_b32_e32 v2, 5, v2
	v_mov_b32_e32 v3, v1
	v_dual_mov_b32 v15, v13 :: v_dual_add_nc_u32 v6, s6, v9
	s_delay_alu instid0(VALU_DEP_4)
	v_add_nc_u32_e32 v10, s10, v8
	v_dual_mov_b32 v14, v12 :: v_dual_lshlrev_b32 v9, 4, v9
	v_mov_b32_e32 v17, v13
	s_waitcnt lgkmcnt(0)
	s_add_u32 s12, s12, s8
	s_addc_u32 s13, s13, s9
	s_add_u32 s8, s14, s8
	s_load_b64 s[12:13], s[12:13], 0x0
	s_addc_u32 s9, s15, s9
	v_mad_i64_i32 v[4:5], null, s11, v6, v[2:3]
	s_load_b64 s[8:9], s[8:9], 0x0
	v_lshlrev_b32_e32 v3, 4, v0
	v_mad_i64_i32 v[6:7], null, s16, v10, v[0:1]
	v_mov_b32_e32 v0, v12
	v_lshl_or_b32 v24, v2, 9, v9
	s_delay_alu instid0(VALU_DEP_4)
	v_lshl_or_b32 v8, v8, 7, v3
	v_lshlrev_b64 v[3:4], 4, v[4:5]
	v_mov_b32_e32 v19, v13
	v_lshl_add_u32 v23, v21, 7, 0x1000
	v_lshlrev_b64 v[5:6], 4, v[6:7]
	v_dual_mov_b32 v16, v12 :: v_dual_add_nc_u32 v25, 0x1000, v8
	v_dual_mov_b32 v1, v13 :: v_dual_mov_b32 v18, v12
	s_waitcnt lgkmcnt(0)
	v_add_co_u32 v2, vcc_lo, v3, s12
	v_add_co_ci_u32_e32 v3, vcc_lo, s13, v4, vcc_lo
	v_add_co_u32 v4, vcc_lo, v5, s8
	v_add_co_ci_u32_e32 v5, vcc_lo, s9, v6, vcc_lo
	s_delay_alu instid0(VALU_DEP_4) | instskip(NEXT) | instid1(VALU_DEP_4)
	v_add_co_u32 v8, vcc_lo, v2, 8
	v_add_co_ci_u32_e32 v9, vcc_lo, 0, v3, vcc_lo
	s_delay_alu instid0(VALU_DEP_4)
	v_add_co_u32 v10, vcc_lo, v4, 8
	v_mov_b32_e32 v2, v12
	v_add_co_ci_u32_e32 v11, vcc_lo, 0, v5, vcc_lo
	v_dual_mov_b32 v3, v13 :: v_dual_mov_b32 v4, v12
	v_dual_mov_b32 v5, v13 :: v_dual_mov_b32 v6, v12
	v_mov_b32_e32 v7, v13
.LBB867_2:                              ; =>This Inner Loop Header: Depth=1
	global_load_b128 v[26:29], v[8:9], off offset:-8
	global_load_b128 v[30:33], v[10:11], off offset:-8
	v_add_co_u32 v8, vcc_lo, 0x80, v8
	v_add_co_ci_u32_e32 v9, vcc_lo, 0, v9, vcc_lo
	v_add_co_u32 v10, vcc_lo, 0x80, v10
	v_add_co_ci_u32_e32 v11, vcc_lo, 0, v11, vcc_lo
	s_add_i32 s7, s7, 8
	s_waitcnt vmcnt(1)
	ds_store_b128 v24, v[26:29]
	s_waitcnt vmcnt(0)
	ds_store_b128 v25, v[30:33]
	s_waitcnt lgkmcnt(0)
	s_barrier
	buffer_gl0_inv
	ds_load_b128 v[26:29], v23
	ds_load_b128 v[30:33], v22
	ds_load_b128 v[34:37], v22 offset:256
	ds_load_b128 v[38:41], v23 offset:2048
	;; [unrolled: 1-line block ×13, first 2 shown]
	s_cmp_ge_i32 s7, s3
	s_waitcnt lgkmcnt(13)
	v_mul_f64 v[86:87], v[28:29], v[32:33]
	v_mul_f64 v[88:89], v[26:27], v[32:33]
	s_waitcnt lgkmcnt(12)
	v_mul_f64 v[90:91], v[28:29], v[36:37]
	v_mul_f64 v[92:93], v[26:27], v[36:37]
	;; [unrolled: 3-line block ×3, first 2 shown]
	v_mul_f64 v[96:97], v[40:41], v[36:37]
	v_mul_f64 v[36:37], v[38:39], v[36:37]
	s_waitcnt lgkmcnt(8)
	v_mul_f64 v[98:99], v[44:45], v[52:53]
	v_mul_f64 v[100:101], v[42:43], v[52:53]
	s_waitcnt lgkmcnt(7)
	v_mul_f64 v[102:103], v[44:45], v[56:57]
	v_mul_f64 v[104:105], v[42:43], v[56:57]
	;; [unrolled: 1-line block ×6, first 2 shown]
	s_waitcnt lgkmcnt(3)
	v_mul_f64 v[112:113], v[58:59], v[72:73]
	s_waitcnt lgkmcnt(2)
	v_mul_f64 v[114:115], v[76:77], v[68:69]
	v_mul_f64 v[116:117], v[76:77], v[72:73]
	v_fma_f64 v[86:87], v[26:27], v[30:31], -v[86:87]
	v_fma_f64 v[88:89], v[28:29], v[30:31], v[88:89]
	v_fma_f64 v[90:91], v[26:27], v[34:35], -v[90:91]
	v_fma_f64 v[92:93], v[28:29], v[34:35], v[92:93]
	v_fma_f64 v[94:95], v[38:39], v[30:31], -v[94:95]
	v_fma_f64 v[110:111], v[40:41], v[30:31], v[32:33]
	v_fma_f64 v[38:39], v[38:39], v[34:35], -v[96:97]
	v_fma_f64 v[34:35], v[40:41], v[34:35], v[36:37]
	v_mul_f64 v[36:37], v[60:61], v[68:69]
	v_mul_f64 v[40:41], v[58:59], v[68:69]
	;; [unrolled: 1-line block ×5, first 2 shown]
	v_fma_f64 v[98:99], v[42:43], v[50:51], -v[98:99]
	v_fma_f64 v[100:101], v[44:45], v[50:51], v[100:101]
	v_fma_f64 v[42:43], v[42:43], v[54:55], -v[102:103]
	v_fma_f64 v[44:45], v[44:45], v[54:55], v[104:105]
	;; [unrolled: 2-line block ×4, first 2 shown]
	ds_load_b128 v[26:29], v22 offset:1792
	ds_load_b128 v[30:33], v22 offset:2048
	v_add_f64 v[52:53], v[6:7], v[86:87]
	v_add_f64 v[18:19], v[18:19], v[88:89]
	;; [unrolled: 1-line block ×8, first 2 shown]
	s_waitcnt lgkmcnt(2)
	v_mul_f64 v[86:87], v[64:65], v[84:85]
	v_mul_f64 v[88:89], v[62:63], v[84:85]
	s_waitcnt lgkmcnt(1)
	v_mul_f64 v[90:91], v[64:65], v[28:29]
	v_mul_f64 v[92:93], v[62:63], v[28:29]
	;; [unrolled: 1-line block ×6, first 2 shown]
	v_fma_f64 v[106:107], v[58:59], v[66:67], -v[36:37]
	v_fma_f64 v[108:109], v[60:61], v[66:67], v[40:41]
	v_fma_f64 v[58:59], v[58:59], v[70:71], -v[96:97]
	v_fma_f64 v[60:61], v[60:61], v[70:71], v[112:113]
	;; [unrolled: 2-line block ×4, first 2 shown]
	ds_load_b128 v[0:3], v22 offset:2304
	ds_load_b128 v[4:7], v23 offset:64
	v_add_f64 v[52:53], v[52:53], v[98:99]
	v_add_f64 v[72:73], v[18:19], v[100:101]
	;; [unrolled: 1-line block ×8, first 2 shown]
	ds_load_b128 v[12:15], v23 offset:2112
	ds_load_b128 v[16:19], v23 offset:80
	;; [unrolled: 1-line block ×4, first 2 shown]
	s_waitcnt lgkmcnt(4)
	v_mul_f64 v[56:57], v[6:7], v[32:33]
	v_mul_f64 v[74:75], v[4:5], v[32:33]
	;; [unrolled: 1-line block ×4, first 2 shown]
	v_fma_f64 v[86:87], v[62:63], v[82:83], -v[86:87]
	v_fma_f64 v[88:89], v[64:65], v[82:83], v[88:89]
	v_fma_f64 v[62:63], v[62:63], v[26:27], -v[90:91]
	v_fma_f64 v[64:65], v[64:65], v[26:27], v[92:93]
	;; [unrolled: 2-line block ×4, first 2 shown]
	s_waitcnt lgkmcnt(3)
	v_mul_f64 v[100:101], v[14:15], v[32:33]
	v_mul_f64 v[32:33], v[12:13], v[32:33]
	v_mul_f64 v[102:103], v[14:15], v[2:3]
	v_mul_f64 v[2:3], v[12:13], v[2:3]
	s_waitcnt lgkmcnt(0)
	v_mul_f64 v[92:93], v[18:19], v[40:41]
	v_mul_f64 v[94:95], v[16:17], v[40:41]
	v_add_f64 v[84:85], v[52:53], v[106:107]
	v_add_f64 v[72:73], v[72:73], v[108:109]
	;; [unrolled: 1-line block ×8, first 2 shown]
	ds_load_b128 v[26:29], v22 offset:2816
	ds_load_b128 v[42:45], v22 offset:3072
	;; [unrolled: 1-line block ×4, first 2 shown]
	v_mul_f64 v[106:107], v[36:37], v[40:41]
	v_mul_f64 v[40:41], v[34:35], v[40:41]
	v_fma_f64 v[56:57], v[4:5], v[30:31], -v[56:57]
	v_fma_f64 v[74:75], v[6:7], v[30:31], v[74:75]
	v_fma_f64 v[76:77], v[4:5], v[0:1], -v[76:77]
	v_fma_f64 v[98:99], v[6:7], v[0:1], v[98:99]
	s_waitcnt lgkmcnt(3)
	v_mul_f64 v[96:97], v[18:19], v[28:29]
	v_mul_f64 v[104:105], v[16:17], v[28:29]
	v_mul_f64 v[108:109], v[36:37], v[28:29]
	v_mul_f64 v[110:111], v[34:35], v[28:29]
	v_fma_f64 v[100:101], v[12:13], v[30:31], -v[100:101]
	v_fma_f64 v[32:33], v[14:15], v[30:31], v[32:33]
	v_fma_f64 v[102:103], v[12:13], v[0:1], -v[102:103]
	v_fma_f64 v[112:113], v[14:15], v[0:1], v[2:3]
	ds_load_b128 v[0:3], v23 offset:2144
	ds_load_b128 v[4:7], v23 offset:112
	;; [unrolled: 1-line block ×4, first 2 shown]
	v_add_f64 v[84:85], v[84:85], v[86:87]
	v_add_f64 v[72:73], v[72:73], v[88:89]
	;; [unrolled: 1-line block ×8, first 2 shown]
	s_waitcnt lgkmcnt(4)
	v_mul_f64 v[68:69], v[52:53], v[44:45]
	v_mul_f64 v[70:71], v[50:51], v[44:45]
	v_mul_f64 v[78:79], v[52:53], v[48:49]
	v_mul_f64 v[80:81], v[50:51], v[48:49]
	s_waitcnt lgkmcnt(3)
	v_mul_f64 v[82:83], v[2:3], v[44:45]
	v_mul_f64 v[44:45], v[0:1], v[44:45]
	;; [unrolled: 1-line block ×4, first 2 shown]
	v_fma_f64 v[88:89], v[16:17], v[38:39], -v[92:93]
	v_fma_f64 v[90:91], v[18:19], v[38:39], v[94:95]
	v_fma_f64 v[92:93], v[16:17], v[26:27], -v[96:97]
	v_fma_f64 v[94:95], v[18:19], v[26:27], v[104:105]
	;; [unrolled: 2-line block ×4, first 2 shown]
	ds_load_b128 v[16:19], v22 offset:3840
	s_waitcnt lgkmcnt(0)
	s_barrier
	buffer_gl0_inv
	v_add_f64 v[36:37], v[84:85], v[56:57]
	v_add_f64 v[40:41], v[72:73], v[74:75]
	;; [unrolled: 1-line block ×8, first 2 shown]
	v_mul_f64 v[64:65], v[6:7], v[30:31]
	v_mul_f64 v[66:67], v[4:5], v[30:31]
	;; [unrolled: 1-line block ×4, first 2 shown]
	v_fma_f64 v[68:69], v[50:51], v[42:43], -v[68:69]
	v_mul_f64 v[72:73], v[6:7], v[18:19]
	v_mul_f64 v[74:75], v[4:5], v[18:19]
	;; [unrolled: 1-line block ×4, first 2 shown]
	v_fma_f64 v[70:71], v[52:53], v[42:43], v[70:71]
	v_fma_f64 v[50:51], v[50:51], v[46:47], -v[78:79]
	v_fma_f64 v[52:53], v[52:53], v[46:47], v[80:81]
	v_fma_f64 v[78:79], v[0:1], v[42:43], -v[82:83]
	;; [unrolled: 2-line block ×3, first 2 shown]
	v_fma_f64 v[2:3], v[2:3], v[46:47], v[48:49]
	v_add_f64 v[36:37], v[36:37], v[88:89]
	v_add_f64 v[40:41], v[40:41], v[90:91]
	;; [unrolled: 1-line block ×8, first 2 shown]
	v_fma_f64 v[38:39], v[4:5], v[28:29], -v[64:65]
	v_fma_f64 v[54:55], v[6:7], v[28:29], v[66:67]
	v_fma_f64 v[58:59], v[12:13], v[28:29], -v[76:77]
	v_fma_f64 v[28:29], v[14:15], v[28:29], v[30:31]
	;; [unrolled: 2-line block ×4, first 2 shown]
	v_add_f64 v[6:7], v[36:37], v[68:69]
	v_add_f64 v[14:15], v[40:41], v[70:71]
	;; [unrolled: 1-line block ×16, first 2 shown]
	s_cbranch_scc0 .LBB867_2
.LBB867_3:
	s_load_b32 s3, s[0:1], 0x40
	v_add_nc_u32_e32 v21, s10, v21
	v_add_nc_u32_e32 v10, s6, v20
	s_delay_alu instid0(VALU_DEP_1) | instskip(SKIP_1) | instid1(VALU_DEP_2)
	v_cmp_le_i32_e64 s0, v21, v10
	v_cmp_gt_i32_e32 vcc_lo, s2, v10
	s_and_b32 s0, s0, vcc_lo
	s_waitcnt lgkmcnt(0)
	v_mad_i64_i32 v[8:9], null, v21, s3, 0
	s_delay_alu instid0(VALU_DEP_1) | instskip(NEXT) | instid1(VALU_DEP_1)
	v_lshlrev_b64 v[8:9], 4, v[8:9]
	v_add_co_u32 v20, s1, s4, v8
	s_delay_alu instid0(VALU_DEP_1)
	v_add_co_ci_u32_e64 v22, s1, s5, v9, s1
	s_and_saveexec_b32 s6, s0
	s_cbranch_execz .LBB867_5
; %bb.4:
	v_ashrrev_i32_e32 v11, 31, v10
	v_cmp_ne_u32_e64 s0, v21, v10
	v_xor_b32_e32 v7, 0x80000000, v7
	s_delay_alu instid0(VALU_DEP_3) | instskip(NEXT) | instid1(VALU_DEP_3)
	v_lshlrev_b64 v[23:24], 4, v[10:11]
	v_cndmask_b32_e64 v9, 0, -v19, s0
	v_cndmask_b32_e64 v8, 0, v18, s0
	s_delay_alu instid0(VALU_DEP_3) | instskip(NEXT) | instid1(VALU_DEP_1)
	v_add_co_u32 v23, s1, v20, v23
	v_add_co_ci_u32_e64 v24, s1, v22, v24, s1
	global_store_b128 v[23:24], v[6:9], off
.LBB867_5:
	s_or_b32 exec_lo, exec_lo, s6
	v_add_nc_u32_e32 v8, 16, v10
	s_delay_alu instid0(VALU_DEP_1) | instskip(SKIP_1) | instid1(VALU_DEP_1)
	v_cmp_le_i32_e64 s1, v21, v8
	v_cmp_gt_i32_e64 s0, s2, v8
	s_and_b32 s1, s1, s0
	s_delay_alu instid0(SALU_CYCLE_1)
	s_and_saveexec_b32 s6, s1
	s_cbranch_execz .LBB867_7
; %bb.6:
	v_ashrrev_i32_e32 v9, 31, v8
	v_cmp_ne_u32_e64 s1, v21, v8
	v_xor_b32_e32 v5, 0x80000000, v5
	s_delay_alu instid0(VALU_DEP_3) | instskip(NEXT) | instid1(VALU_DEP_3)
	v_lshlrev_b64 v[18:19], 4, v[8:9]
	v_cndmask_b32_e64 v7, 0, -v17, s1
	v_cndmask_b32_e64 v6, 0, v16, s1
	s_delay_alu instid0(VALU_DEP_3) | instskip(NEXT) | instid1(VALU_DEP_1)
	v_add_co_u32 v17, s2, v20, v18
	v_add_co_ci_u32_e64 v18, s2, v22, v19, s2
	global_store_b128 v[17:18], v[4:7], off
.LBB867_7:
	s_or_b32 exec_lo, exec_lo, s6
	v_add_nc_u32_e32 v9, 16, v21
	s_delay_alu instid0(VALU_DEP_1) | instskip(SKIP_1) | instid1(VALU_DEP_1)
	v_mad_i64_i32 v[4:5], null, v9, s3, 0
	v_cmp_le_i32_e64 s1, v9, v10
	s_and_b32 s1, s1, vcc_lo
	s_delay_alu instid0(VALU_DEP_2) | instskip(NEXT) | instid1(VALU_DEP_1)
	v_lshlrev_b64 v[4:5], 4, v[4:5]
	v_add_co_u32 v6, s2, s4, v4
	s_delay_alu instid0(VALU_DEP_1)
	v_add_co_ci_u32_e64 v7, s2, s5, v5, s2
	s_and_saveexec_b32 s2, s1
	s_cbranch_execz .LBB867_9
; %bb.8:
	v_ashrrev_i32_e32 v11, 31, v10
	v_cmp_ne_u32_e32 vcc_lo, v9, v10
	v_xor_b32_e32 v3, 0x80000000, v3
	s_delay_alu instid0(VALU_DEP_3) | instskip(SKIP_2) | instid1(VALU_DEP_3)
	v_lshlrev_b64 v[16:17], 4, v[10:11]
	v_cndmask_b32_e64 v5, 0, -v15, vcc_lo
	v_cndmask_b32_e32 v4, 0, v14, vcc_lo
	v_add_co_u32 v15, s1, v6, v16
	s_delay_alu instid0(VALU_DEP_1)
	v_add_co_ci_u32_e64 v16, s1, v7, v17, s1
	global_store_b128 v[15:16], v[2:5], off
.LBB867_9:
	s_or_b32 exec_lo, exec_lo, s2
	v_cmp_le_i32_e32 vcc_lo, v9, v8
	s_and_b32 s0, vcc_lo, s0
	s_delay_alu instid0(SALU_CYCLE_1)
	s_and_saveexec_b32 s1, s0
	s_cbranch_execz .LBB867_11
; %bb.10:
	v_ashrrev_i32_e32 v9, 31, v8
	v_cmp_ne_u32_e32 vcc_lo, v21, v10
	v_xor_b32_e32 v1, 0x80000000, v1
	s_delay_alu instid0(VALU_DEP_3) | instskip(SKIP_2) | instid1(VALU_DEP_3)
	v_lshlrev_b64 v[4:5], 4, v[8:9]
	v_cndmask_b32_e64 v3, 0, -v13, vcc_lo
	v_cndmask_b32_e32 v2, 0, v12, vcc_lo
	v_add_co_u32 v4, s0, v6, v4
	s_delay_alu instid0(VALU_DEP_1)
	v_add_co_ci_u32_e64 v5, s0, v7, v5, s0
	global_store_b128 v[4:5], v[0:3], off
.LBB867_11:
	s_nop 0
	s_sendmsg sendmsg(MSG_DEALLOC_VGPRS)
	s_endpgm
	.section	.rodata,"a",@progbits
	.p2align	6, 0x0
	.amdhsa_kernel _ZL37rocblas_syrkx_herkx_restricted_kernelIi19rocblas_complex_numIdELi16ELi32ELi8ELin1ELi0ELb1ELc84ELc76EKPKS1_KPS1_EviT_PT9_S7_lS9_S7_lPT10_S7_li
		.amdhsa_group_segment_fixed_size 8192
		.amdhsa_private_segment_fixed_size 0
		.amdhsa_kernarg_size 84
		.amdhsa_user_sgpr_count 13
		.amdhsa_user_sgpr_dispatch_ptr 0
		.amdhsa_user_sgpr_queue_ptr 0
		.amdhsa_user_sgpr_kernarg_segment_ptr 1
		.amdhsa_user_sgpr_dispatch_id 0
		.amdhsa_user_sgpr_private_segment_size 0
		.amdhsa_wavefront_size32 1
		.amdhsa_uses_dynamic_stack 0
		.amdhsa_enable_private_segment 0
		.amdhsa_system_sgpr_workgroup_id_x 1
		.amdhsa_system_sgpr_workgroup_id_y 1
		.amdhsa_system_sgpr_workgroup_id_z 1
		.amdhsa_system_sgpr_workgroup_info 0
		.amdhsa_system_vgpr_workitem_id 1
		.amdhsa_next_free_vgpr 118
		.amdhsa_next_free_sgpr 17
		.amdhsa_reserve_vcc 1
		.amdhsa_float_round_mode_32 0
		.amdhsa_float_round_mode_16_64 0
		.amdhsa_float_denorm_mode_32 3
		.amdhsa_float_denorm_mode_16_64 3
		.amdhsa_dx10_clamp 1
		.amdhsa_ieee_mode 1
		.amdhsa_fp16_overflow 0
		.amdhsa_workgroup_processor_mode 1
		.amdhsa_memory_ordered 1
		.amdhsa_forward_progress 0
		.amdhsa_shared_vgpr_count 0
		.amdhsa_exception_fp_ieee_invalid_op 0
		.amdhsa_exception_fp_denorm_src 0
		.amdhsa_exception_fp_ieee_div_zero 0
		.amdhsa_exception_fp_ieee_overflow 0
		.amdhsa_exception_fp_ieee_underflow 0
		.amdhsa_exception_fp_ieee_inexact 0
		.amdhsa_exception_int_div_zero 0
	.end_amdhsa_kernel
	.section	.text._ZL37rocblas_syrkx_herkx_restricted_kernelIi19rocblas_complex_numIdELi16ELi32ELi8ELin1ELi0ELb1ELc84ELc76EKPKS1_KPS1_EviT_PT9_S7_lS9_S7_lPT10_S7_li,"axG",@progbits,_ZL37rocblas_syrkx_herkx_restricted_kernelIi19rocblas_complex_numIdELi16ELi32ELi8ELin1ELi0ELb1ELc84ELc76EKPKS1_KPS1_EviT_PT9_S7_lS9_S7_lPT10_S7_li,comdat
.Lfunc_end867:
	.size	_ZL37rocblas_syrkx_herkx_restricted_kernelIi19rocblas_complex_numIdELi16ELi32ELi8ELin1ELi0ELb1ELc84ELc76EKPKS1_KPS1_EviT_PT9_S7_lS9_S7_lPT10_S7_li, .Lfunc_end867-_ZL37rocblas_syrkx_herkx_restricted_kernelIi19rocblas_complex_numIdELi16ELi32ELi8ELin1ELi0ELb1ELc84ELc76EKPKS1_KPS1_EviT_PT9_S7_lS9_S7_lPT10_S7_li
                                        ; -- End function
	.section	.AMDGPU.csdata,"",@progbits
; Kernel info:
; codeLenInByte = 2976
; NumSgprs: 19
; NumVgprs: 118
; ScratchSize: 0
; MemoryBound: 0
; FloatMode: 240
; IeeeMode: 1
; LDSByteSize: 8192 bytes/workgroup (compile time only)
; SGPRBlocks: 2
; VGPRBlocks: 14
; NumSGPRsForWavesPerEU: 19
; NumVGPRsForWavesPerEU: 118
; Occupancy: 12
; WaveLimiterHint : 1
; COMPUTE_PGM_RSRC2:SCRATCH_EN: 0
; COMPUTE_PGM_RSRC2:USER_SGPR: 13
; COMPUTE_PGM_RSRC2:TRAP_HANDLER: 0
; COMPUTE_PGM_RSRC2:TGID_X_EN: 1
; COMPUTE_PGM_RSRC2:TGID_Y_EN: 1
; COMPUTE_PGM_RSRC2:TGID_Z_EN: 1
; COMPUTE_PGM_RSRC2:TIDIG_COMP_CNT: 1
	.section	.text._ZL37rocblas_syrkx_herkx_restricted_kernelIi19rocblas_complex_numIdELi16ELi32ELi8ELin1ELi0ELb1ELc67ELc76EKPKS1_KPS1_EviT_PT9_S7_lS9_S7_lPT10_S7_li,"axG",@progbits,_ZL37rocblas_syrkx_herkx_restricted_kernelIi19rocblas_complex_numIdELi16ELi32ELi8ELin1ELi0ELb1ELc67ELc76EKPKS1_KPS1_EviT_PT9_S7_lS9_S7_lPT10_S7_li,comdat
	.globl	_ZL37rocblas_syrkx_herkx_restricted_kernelIi19rocblas_complex_numIdELi16ELi32ELi8ELin1ELi0ELb1ELc67ELc76EKPKS1_KPS1_EviT_PT9_S7_lS9_S7_lPT10_S7_li ; -- Begin function _ZL37rocblas_syrkx_herkx_restricted_kernelIi19rocblas_complex_numIdELi16ELi32ELi8ELin1ELi0ELb1ELc67ELc76EKPKS1_KPS1_EviT_PT9_S7_lS9_S7_lPT10_S7_li
	.p2align	8
	.type	_ZL37rocblas_syrkx_herkx_restricted_kernelIi19rocblas_complex_numIdELi16ELi32ELi8ELin1ELi0ELb1ELc67ELc76EKPKS1_KPS1_EviT_PT9_S7_lS9_S7_lPT10_S7_li,@function
_ZL37rocblas_syrkx_herkx_restricted_kernelIi19rocblas_complex_numIdELi16ELi32ELi8ELin1ELi0ELb1ELc67ELc76EKPKS1_KPS1_EviT_PT9_S7_lS9_S7_lPT10_S7_li: ; @_ZL37rocblas_syrkx_herkx_restricted_kernelIi19rocblas_complex_numIdELi16ELi32ELi8ELin1ELi0ELb1ELc67ELc76EKPKS1_KPS1_EviT_PT9_S7_lS9_S7_lPT10_S7_li
; %bb.0:
	s_clause 0x1
	s_load_b64 s[4:5], s[0:1], 0x38
	s_load_b64 s[2:3], s[0:1], 0x0
	s_mov_b32 s6, s15
	s_mov_b32 s7, 0
	v_mov_b32_e32 v6, 0
	s_lshl_b64 s[8:9], s[6:7], 3
	v_dual_mov_b32 v7, 0 :: v_dual_and_b32 v20, 0x3ff, v0
	v_bfe_u32 v21, v0, 10, 10
	s_delay_alu instid0(VALU_DEP_3) | instskip(NEXT) | instid1(VALU_DEP_3)
	v_mov_b32_e32 v4, v6
	v_dual_mov_b32 v2, v6 :: v_dual_mov_b32 v3, v7
	v_dual_mov_b32 v19, v7 :: v_dual_mov_b32 v18, v6
	v_mov_b32_e32 v5, v7
	v_dual_mov_b32 v17, v7 :: v_dual_mov_b32 v16, v6
	v_dual_mov_b32 v15, v7 :: v_dual_mov_b32 v14, v6
	v_dual_mov_b32 v0, v6 :: v_dual_mov_b32 v1, v7
	s_waitcnt lgkmcnt(0)
	s_add_u32 s4, s4, s8
	s_addc_u32 s5, s5, s9
	v_dual_mov_b32 v13, v7 :: v_dual_mov_b32 v12, v6
	s_load_b64 s[4:5], s[4:5], 0x0
	s_lshl_b32 s6, s13, 5
	s_lshl_b32 s10, s14, 5
	s_cmp_lt_i32 s3, 1
	s_cbranch_scc1 .LBB868_3
; %bb.1:
	s_clause 0x3
	s_load_b64 s[12:13], s[0:1], 0x8
	s_load_b64 s[14:15], s[0:1], 0x20
	s_load_b32 s11, s[0:1], 0x10
	s_load_b32 s16, s[0:1], 0x28
	v_lshl_add_u32 v2, v21, 4, v20
	v_dual_mov_b32 v1, 0 :: v_dual_and_b32 v0, 7, v20
	v_mov_b32_e32 v12, 0
	v_dual_mov_b32 v13, 0 :: v_dual_lshlrev_b32 v22, 4, v20
	s_delay_alu instid0(VALU_DEP_4) | instskip(SKIP_3) | instid1(VALU_DEP_4)
	v_and_b32_e32 v9, 31, v2
	v_lshrrev_b32_e32 v8, 3, v2
	v_lshrrev_b32_e32 v2, 5, v2
	v_mov_b32_e32 v3, v1
	v_dual_mov_b32 v15, v13 :: v_dual_add_nc_u32 v6, s6, v9
	s_delay_alu instid0(VALU_DEP_4)
	v_add_nc_u32_e32 v10, s10, v8
	v_dual_mov_b32 v14, v12 :: v_dual_lshlrev_b32 v9, 4, v9
	v_mov_b32_e32 v17, v13
	s_waitcnt lgkmcnt(0)
	s_add_u32 s12, s12, s8
	s_addc_u32 s13, s13, s9
	s_add_u32 s8, s14, s8
	s_load_b64 s[12:13], s[12:13], 0x0
	s_addc_u32 s9, s15, s9
	v_mad_i64_i32 v[4:5], null, s11, v6, v[2:3]
	s_load_b64 s[8:9], s[8:9], 0x0
	v_lshlrev_b32_e32 v3, 4, v0
	v_mad_i64_i32 v[6:7], null, s16, v10, v[0:1]
	v_mov_b32_e32 v0, v12
	v_lshl_or_b32 v24, v2, 9, v9
	s_delay_alu instid0(VALU_DEP_4)
	v_lshl_or_b32 v8, v8, 7, v3
	v_lshlrev_b64 v[3:4], 4, v[4:5]
	v_mov_b32_e32 v19, v13
	v_lshl_add_u32 v23, v21, 7, 0x1000
	v_lshlrev_b64 v[5:6], 4, v[6:7]
	v_dual_mov_b32 v16, v12 :: v_dual_add_nc_u32 v25, 0x1000, v8
	v_dual_mov_b32 v1, v13 :: v_dual_mov_b32 v18, v12
	s_waitcnt lgkmcnt(0)
	v_add_co_u32 v2, vcc_lo, v3, s12
	v_add_co_ci_u32_e32 v3, vcc_lo, s13, v4, vcc_lo
	v_add_co_u32 v4, vcc_lo, v5, s8
	v_add_co_ci_u32_e32 v5, vcc_lo, s9, v6, vcc_lo
	s_delay_alu instid0(VALU_DEP_4) | instskip(NEXT) | instid1(VALU_DEP_4)
	v_add_co_u32 v8, vcc_lo, v2, 8
	v_add_co_ci_u32_e32 v9, vcc_lo, 0, v3, vcc_lo
	s_delay_alu instid0(VALU_DEP_4)
	v_add_co_u32 v10, vcc_lo, v4, 8
	v_mov_b32_e32 v2, v12
	v_add_co_ci_u32_e32 v11, vcc_lo, 0, v5, vcc_lo
	v_dual_mov_b32 v3, v13 :: v_dual_mov_b32 v4, v12
	v_dual_mov_b32 v5, v13 :: v_dual_mov_b32 v6, v12
	v_mov_b32_e32 v7, v13
.LBB868_2:                              ; =>This Inner Loop Header: Depth=1
	global_load_b128 v[26:29], v[8:9], off offset:-8
	global_load_b128 v[30:33], v[10:11], off offset:-8
	v_add_co_u32 v8, vcc_lo, 0x80, v8
	v_add_co_ci_u32_e32 v9, vcc_lo, 0, v9, vcc_lo
	v_add_co_u32 v10, vcc_lo, 0x80, v10
	v_add_co_ci_u32_e32 v11, vcc_lo, 0, v11, vcc_lo
	s_add_i32 s7, s7, 8
	s_delay_alu instid0(SALU_CYCLE_1)
	s_cmp_ge_i32 s7, s3
	s_waitcnt vmcnt(1)
	v_xor_b32_e32 v29, 0x80000000, v29
	ds_store_b128 v24, v[26:29]
	s_waitcnt vmcnt(0)
	ds_store_b128 v25, v[30:33]
	s_waitcnt lgkmcnt(0)
	s_barrier
	buffer_gl0_inv
	ds_load_b128 v[26:29], v23
	ds_load_b128 v[30:33], v22
	ds_load_b128 v[34:37], v22 offset:256
	ds_load_b128 v[38:41], v23 offset:2048
	;; [unrolled: 1-line block ×13, first 2 shown]
	s_waitcnt lgkmcnt(13)
	v_mul_f64 v[86:87], v[28:29], v[32:33]
	v_mul_f64 v[88:89], v[26:27], v[32:33]
	s_waitcnt lgkmcnt(12)
	v_mul_f64 v[90:91], v[28:29], v[36:37]
	v_mul_f64 v[92:93], v[26:27], v[36:37]
	;; [unrolled: 3-line block ×3, first 2 shown]
	v_mul_f64 v[96:97], v[40:41], v[36:37]
	v_mul_f64 v[36:37], v[38:39], v[36:37]
	s_waitcnt lgkmcnt(8)
	v_mul_f64 v[98:99], v[44:45], v[52:53]
	v_mul_f64 v[100:101], v[42:43], v[52:53]
	s_waitcnt lgkmcnt(7)
	v_mul_f64 v[102:103], v[44:45], v[56:57]
	v_mul_f64 v[104:105], v[42:43], v[56:57]
	;; [unrolled: 1-line block ×6, first 2 shown]
	s_waitcnt lgkmcnt(3)
	v_mul_f64 v[112:113], v[58:59], v[72:73]
	s_waitcnt lgkmcnt(2)
	v_mul_f64 v[114:115], v[76:77], v[68:69]
	v_mul_f64 v[116:117], v[76:77], v[72:73]
	v_fma_f64 v[86:87], v[26:27], v[30:31], -v[86:87]
	v_fma_f64 v[88:89], v[28:29], v[30:31], v[88:89]
	v_fma_f64 v[90:91], v[26:27], v[34:35], -v[90:91]
	v_fma_f64 v[92:93], v[28:29], v[34:35], v[92:93]
	;; [unrolled: 2-line block ×4, first 2 shown]
	v_mul_f64 v[36:37], v[60:61], v[68:69]
	v_mul_f64 v[40:41], v[58:59], v[68:69]
	;; [unrolled: 1-line block ×5, first 2 shown]
	v_fma_f64 v[98:99], v[42:43], v[50:51], -v[98:99]
	v_fma_f64 v[100:101], v[44:45], v[50:51], v[100:101]
	v_fma_f64 v[42:43], v[42:43], v[54:55], -v[102:103]
	v_fma_f64 v[44:45], v[44:45], v[54:55], v[104:105]
	;; [unrolled: 2-line block ×4, first 2 shown]
	ds_load_b128 v[26:29], v22 offset:1792
	ds_load_b128 v[30:33], v22 offset:2048
	v_add_f64 v[52:53], v[6:7], v[86:87]
	v_add_f64 v[18:19], v[18:19], v[88:89]
	v_add_f64 v[54:55], v[4:5], v[90:91]
	v_add_f64 v[16:17], v[16:17], v[92:93]
	v_add_f64 v[56:57], v[2:3], v[94:95]
	v_add_f64 v[14:15], v[14:15], v[110:111]
	v_add_f64 v[38:39], v[0:1], v[38:39]
	v_add_f64 v[12:13], v[12:13], v[34:35]
	s_waitcnt lgkmcnt(2)
	v_mul_f64 v[86:87], v[64:65], v[84:85]
	v_mul_f64 v[88:89], v[62:63], v[84:85]
	s_waitcnt lgkmcnt(1)
	v_mul_f64 v[90:91], v[64:65], v[28:29]
	v_mul_f64 v[92:93], v[62:63], v[28:29]
	;; [unrolled: 1-line block ×6, first 2 shown]
	v_fma_f64 v[106:107], v[58:59], v[66:67], -v[36:37]
	v_fma_f64 v[108:109], v[60:61], v[66:67], v[40:41]
	v_fma_f64 v[58:59], v[58:59], v[70:71], -v[96:97]
	v_fma_f64 v[60:61], v[60:61], v[70:71], v[112:113]
	;; [unrolled: 2-line block ×4, first 2 shown]
	ds_load_b128 v[0:3], v22 offset:2304
	ds_load_b128 v[4:7], v23 offset:64
	v_add_f64 v[52:53], v[52:53], v[98:99]
	v_add_f64 v[72:73], v[18:19], v[100:101]
	;; [unrolled: 1-line block ×8, first 2 shown]
	ds_load_b128 v[12:15], v23 offset:2112
	ds_load_b128 v[16:19], v23 offset:80
	;; [unrolled: 1-line block ×4, first 2 shown]
	s_waitcnt lgkmcnt(4)
	v_mul_f64 v[56:57], v[6:7], v[32:33]
	v_mul_f64 v[74:75], v[4:5], v[32:33]
	;; [unrolled: 1-line block ×4, first 2 shown]
	v_fma_f64 v[86:87], v[62:63], v[82:83], -v[86:87]
	v_fma_f64 v[88:89], v[64:65], v[82:83], v[88:89]
	v_fma_f64 v[62:63], v[62:63], v[26:27], -v[90:91]
	v_fma_f64 v[64:65], v[64:65], v[26:27], v[92:93]
	v_fma_f64 v[90:91], v[78:79], v[82:83], -v[94:95]
	v_fma_f64 v[82:83], v[80:81], v[82:83], v[84:85]
	v_fma_f64 v[78:79], v[78:79], v[26:27], -v[104:105]
	v_fma_f64 v[80:81], v[80:81], v[26:27], v[28:29]
	s_waitcnt lgkmcnt(3)
	v_mul_f64 v[100:101], v[14:15], v[32:33]
	v_mul_f64 v[32:33], v[12:13], v[32:33]
	;; [unrolled: 1-line block ×4, first 2 shown]
	s_waitcnt lgkmcnt(0)
	v_mul_f64 v[92:93], v[18:19], v[40:41]
	v_mul_f64 v[94:95], v[16:17], v[40:41]
	v_add_f64 v[84:85], v[52:53], v[106:107]
	v_add_f64 v[72:73], v[72:73], v[108:109]
	;; [unrolled: 1-line block ×8, first 2 shown]
	ds_load_b128 v[26:29], v22 offset:2816
	ds_load_b128 v[42:45], v22 offset:3072
	;; [unrolled: 1-line block ×4, first 2 shown]
	v_mul_f64 v[106:107], v[36:37], v[40:41]
	v_mul_f64 v[40:41], v[34:35], v[40:41]
	v_fma_f64 v[56:57], v[4:5], v[30:31], -v[56:57]
	v_fma_f64 v[74:75], v[6:7], v[30:31], v[74:75]
	v_fma_f64 v[76:77], v[4:5], v[0:1], -v[76:77]
	v_fma_f64 v[98:99], v[6:7], v[0:1], v[98:99]
	s_waitcnt lgkmcnt(3)
	v_mul_f64 v[96:97], v[18:19], v[28:29]
	v_mul_f64 v[104:105], v[16:17], v[28:29]
	;; [unrolled: 1-line block ×4, first 2 shown]
	v_fma_f64 v[100:101], v[12:13], v[30:31], -v[100:101]
	v_fma_f64 v[32:33], v[14:15], v[30:31], v[32:33]
	v_fma_f64 v[102:103], v[12:13], v[0:1], -v[102:103]
	v_fma_f64 v[112:113], v[14:15], v[0:1], v[2:3]
	ds_load_b128 v[0:3], v23 offset:2144
	ds_load_b128 v[4:7], v23 offset:112
	ds_load_b128 v[12:15], v23 offset:2160
	ds_load_b128 v[28:31], v22 offset:3584
	v_add_f64 v[84:85], v[84:85], v[86:87]
	v_add_f64 v[72:73], v[72:73], v[88:89]
	;; [unrolled: 1-line block ×8, first 2 shown]
	s_waitcnt lgkmcnt(4)
	v_mul_f64 v[68:69], v[52:53], v[44:45]
	v_mul_f64 v[70:71], v[50:51], v[44:45]
	v_mul_f64 v[78:79], v[52:53], v[48:49]
	v_mul_f64 v[80:81], v[50:51], v[48:49]
	s_waitcnt lgkmcnt(3)
	v_mul_f64 v[82:83], v[2:3], v[44:45]
	v_mul_f64 v[44:45], v[0:1], v[44:45]
	;; [unrolled: 1-line block ×4, first 2 shown]
	v_fma_f64 v[88:89], v[16:17], v[38:39], -v[92:93]
	v_fma_f64 v[90:91], v[18:19], v[38:39], v[94:95]
	v_fma_f64 v[92:93], v[16:17], v[26:27], -v[96:97]
	v_fma_f64 v[94:95], v[18:19], v[26:27], v[104:105]
	;; [unrolled: 2-line block ×4, first 2 shown]
	ds_load_b128 v[16:19], v22 offset:3840
	s_waitcnt lgkmcnt(0)
	s_barrier
	buffer_gl0_inv
	v_add_f64 v[36:37], v[84:85], v[56:57]
	v_add_f64 v[40:41], v[72:73], v[74:75]
	;; [unrolled: 1-line block ×8, first 2 shown]
	v_mul_f64 v[64:65], v[6:7], v[30:31]
	v_mul_f64 v[66:67], v[4:5], v[30:31]
	;; [unrolled: 1-line block ×4, first 2 shown]
	v_fma_f64 v[68:69], v[50:51], v[42:43], -v[68:69]
	v_mul_f64 v[72:73], v[6:7], v[18:19]
	v_mul_f64 v[74:75], v[4:5], v[18:19]
	;; [unrolled: 1-line block ×4, first 2 shown]
	v_fma_f64 v[70:71], v[52:53], v[42:43], v[70:71]
	v_fma_f64 v[50:51], v[50:51], v[46:47], -v[78:79]
	v_fma_f64 v[52:53], v[52:53], v[46:47], v[80:81]
	v_fma_f64 v[78:79], v[0:1], v[42:43], -v[82:83]
	;; [unrolled: 2-line block ×3, first 2 shown]
	v_fma_f64 v[2:3], v[2:3], v[46:47], v[48:49]
	v_add_f64 v[36:37], v[36:37], v[88:89]
	v_add_f64 v[40:41], v[40:41], v[90:91]
	;; [unrolled: 1-line block ×8, first 2 shown]
	v_fma_f64 v[38:39], v[4:5], v[28:29], -v[64:65]
	v_fma_f64 v[54:55], v[6:7], v[28:29], v[66:67]
	v_fma_f64 v[58:59], v[12:13], v[28:29], -v[76:77]
	v_fma_f64 v[28:29], v[14:15], v[28:29], v[30:31]
	;; [unrolled: 2-line block ×4, first 2 shown]
	v_add_f64 v[6:7], v[36:37], v[68:69]
	v_add_f64 v[14:15], v[40:41], v[70:71]
	;; [unrolled: 1-line block ×16, first 2 shown]
	s_cbranch_scc0 .LBB868_2
.LBB868_3:
	s_load_b32 s3, s[0:1], 0x40
	v_add_nc_u32_e32 v21, s10, v21
	v_add_nc_u32_e32 v10, s6, v20
	s_delay_alu instid0(VALU_DEP_1) | instskip(SKIP_1) | instid1(VALU_DEP_2)
	v_cmp_le_i32_e64 s0, v21, v10
	v_cmp_gt_i32_e32 vcc_lo, s2, v10
	s_and_b32 s0, s0, vcc_lo
	s_waitcnt lgkmcnt(0)
	v_mad_i64_i32 v[8:9], null, v21, s3, 0
	s_delay_alu instid0(VALU_DEP_1) | instskip(NEXT) | instid1(VALU_DEP_1)
	v_lshlrev_b64 v[8:9], 4, v[8:9]
	v_add_co_u32 v20, s1, s4, v8
	s_delay_alu instid0(VALU_DEP_1)
	v_add_co_ci_u32_e64 v22, s1, s5, v9, s1
	s_and_saveexec_b32 s6, s0
	s_cbranch_execz .LBB868_5
; %bb.4:
	v_ashrrev_i32_e32 v11, 31, v10
	v_cmp_ne_u32_e64 s0, v21, v10
	v_xor_b32_e32 v7, 0x80000000, v7
	s_delay_alu instid0(VALU_DEP_3) | instskip(NEXT) | instid1(VALU_DEP_3)
	v_lshlrev_b64 v[23:24], 4, v[10:11]
	v_cndmask_b32_e64 v9, 0, -v19, s0
	v_cndmask_b32_e64 v8, 0, v18, s0
	s_delay_alu instid0(VALU_DEP_3) | instskip(NEXT) | instid1(VALU_DEP_1)
	v_add_co_u32 v23, s1, v20, v23
	v_add_co_ci_u32_e64 v24, s1, v22, v24, s1
	global_store_b128 v[23:24], v[6:9], off
.LBB868_5:
	s_or_b32 exec_lo, exec_lo, s6
	v_add_nc_u32_e32 v8, 16, v10
	s_delay_alu instid0(VALU_DEP_1) | instskip(SKIP_1) | instid1(VALU_DEP_1)
	v_cmp_le_i32_e64 s1, v21, v8
	v_cmp_gt_i32_e64 s0, s2, v8
	s_and_b32 s1, s1, s0
	s_delay_alu instid0(SALU_CYCLE_1)
	s_and_saveexec_b32 s6, s1
	s_cbranch_execz .LBB868_7
; %bb.6:
	v_ashrrev_i32_e32 v9, 31, v8
	v_cmp_ne_u32_e64 s1, v21, v8
	v_xor_b32_e32 v5, 0x80000000, v5
	s_delay_alu instid0(VALU_DEP_3) | instskip(NEXT) | instid1(VALU_DEP_3)
	v_lshlrev_b64 v[18:19], 4, v[8:9]
	v_cndmask_b32_e64 v7, 0, -v17, s1
	v_cndmask_b32_e64 v6, 0, v16, s1
	s_delay_alu instid0(VALU_DEP_3) | instskip(NEXT) | instid1(VALU_DEP_1)
	v_add_co_u32 v17, s2, v20, v18
	v_add_co_ci_u32_e64 v18, s2, v22, v19, s2
	global_store_b128 v[17:18], v[4:7], off
.LBB868_7:
	s_or_b32 exec_lo, exec_lo, s6
	v_add_nc_u32_e32 v9, 16, v21
	s_delay_alu instid0(VALU_DEP_1) | instskip(SKIP_1) | instid1(VALU_DEP_1)
	v_mad_i64_i32 v[4:5], null, v9, s3, 0
	v_cmp_le_i32_e64 s1, v9, v10
	s_and_b32 s1, s1, vcc_lo
	s_delay_alu instid0(VALU_DEP_2) | instskip(NEXT) | instid1(VALU_DEP_1)
	v_lshlrev_b64 v[4:5], 4, v[4:5]
	v_add_co_u32 v6, s2, s4, v4
	s_delay_alu instid0(VALU_DEP_1)
	v_add_co_ci_u32_e64 v7, s2, s5, v5, s2
	s_and_saveexec_b32 s2, s1
	s_cbranch_execz .LBB868_9
; %bb.8:
	v_ashrrev_i32_e32 v11, 31, v10
	v_cmp_ne_u32_e32 vcc_lo, v9, v10
	v_xor_b32_e32 v3, 0x80000000, v3
	s_delay_alu instid0(VALU_DEP_3) | instskip(SKIP_2) | instid1(VALU_DEP_3)
	v_lshlrev_b64 v[16:17], 4, v[10:11]
	v_cndmask_b32_e64 v5, 0, -v15, vcc_lo
	v_cndmask_b32_e32 v4, 0, v14, vcc_lo
	v_add_co_u32 v15, s1, v6, v16
	s_delay_alu instid0(VALU_DEP_1)
	v_add_co_ci_u32_e64 v16, s1, v7, v17, s1
	global_store_b128 v[15:16], v[2:5], off
.LBB868_9:
	s_or_b32 exec_lo, exec_lo, s2
	v_cmp_le_i32_e32 vcc_lo, v9, v8
	s_and_b32 s0, vcc_lo, s0
	s_delay_alu instid0(SALU_CYCLE_1)
	s_and_saveexec_b32 s1, s0
	s_cbranch_execz .LBB868_11
; %bb.10:
	v_ashrrev_i32_e32 v9, 31, v8
	v_cmp_ne_u32_e32 vcc_lo, v21, v10
	v_xor_b32_e32 v1, 0x80000000, v1
	s_delay_alu instid0(VALU_DEP_3) | instskip(SKIP_2) | instid1(VALU_DEP_3)
	v_lshlrev_b64 v[4:5], 4, v[8:9]
	v_cndmask_b32_e64 v3, 0, -v13, vcc_lo
	v_cndmask_b32_e32 v2, 0, v12, vcc_lo
	v_add_co_u32 v4, s0, v6, v4
	s_delay_alu instid0(VALU_DEP_1)
	v_add_co_ci_u32_e64 v5, s0, v7, v5, s0
	global_store_b128 v[4:5], v[0:3], off
.LBB868_11:
	s_nop 0
	s_sendmsg sendmsg(MSG_DEALLOC_VGPRS)
	s_endpgm
	.section	.rodata,"a",@progbits
	.p2align	6, 0x0
	.amdhsa_kernel _ZL37rocblas_syrkx_herkx_restricted_kernelIi19rocblas_complex_numIdELi16ELi32ELi8ELin1ELi0ELb1ELc67ELc76EKPKS1_KPS1_EviT_PT9_S7_lS9_S7_lPT10_S7_li
		.amdhsa_group_segment_fixed_size 8192
		.amdhsa_private_segment_fixed_size 0
		.amdhsa_kernarg_size 84
		.amdhsa_user_sgpr_count 13
		.amdhsa_user_sgpr_dispatch_ptr 0
		.amdhsa_user_sgpr_queue_ptr 0
		.amdhsa_user_sgpr_kernarg_segment_ptr 1
		.amdhsa_user_sgpr_dispatch_id 0
		.amdhsa_user_sgpr_private_segment_size 0
		.amdhsa_wavefront_size32 1
		.amdhsa_uses_dynamic_stack 0
		.amdhsa_enable_private_segment 0
		.amdhsa_system_sgpr_workgroup_id_x 1
		.amdhsa_system_sgpr_workgroup_id_y 1
		.amdhsa_system_sgpr_workgroup_id_z 1
		.amdhsa_system_sgpr_workgroup_info 0
		.amdhsa_system_vgpr_workitem_id 1
		.amdhsa_next_free_vgpr 118
		.amdhsa_next_free_sgpr 17
		.amdhsa_reserve_vcc 1
		.amdhsa_float_round_mode_32 0
		.amdhsa_float_round_mode_16_64 0
		.amdhsa_float_denorm_mode_32 3
		.amdhsa_float_denorm_mode_16_64 3
		.amdhsa_dx10_clamp 1
		.amdhsa_ieee_mode 1
		.amdhsa_fp16_overflow 0
		.amdhsa_workgroup_processor_mode 1
		.amdhsa_memory_ordered 1
		.amdhsa_forward_progress 0
		.amdhsa_shared_vgpr_count 0
		.amdhsa_exception_fp_ieee_invalid_op 0
		.amdhsa_exception_fp_denorm_src 0
		.amdhsa_exception_fp_ieee_div_zero 0
		.amdhsa_exception_fp_ieee_overflow 0
		.amdhsa_exception_fp_ieee_underflow 0
		.amdhsa_exception_fp_ieee_inexact 0
		.amdhsa_exception_int_div_zero 0
	.end_amdhsa_kernel
	.section	.text._ZL37rocblas_syrkx_herkx_restricted_kernelIi19rocblas_complex_numIdELi16ELi32ELi8ELin1ELi0ELb1ELc67ELc76EKPKS1_KPS1_EviT_PT9_S7_lS9_S7_lPT10_S7_li,"axG",@progbits,_ZL37rocblas_syrkx_herkx_restricted_kernelIi19rocblas_complex_numIdELi16ELi32ELi8ELin1ELi0ELb1ELc67ELc76EKPKS1_KPS1_EviT_PT9_S7_lS9_S7_lPT10_S7_li,comdat
.Lfunc_end868:
	.size	_ZL37rocblas_syrkx_herkx_restricted_kernelIi19rocblas_complex_numIdELi16ELi32ELi8ELin1ELi0ELb1ELc67ELc76EKPKS1_KPS1_EviT_PT9_S7_lS9_S7_lPT10_S7_li, .Lfunc_end868-_ZL37rocblas_syrkx_herkx_restricted_kernelIi19rocblas_complex_numIdELi16ELi32ELi8ELin1ELi0ELb1ELc67ELc76EKPKS1_KPS1_EviT_PT9_S7_lS9_S7_lPT10_S7_li
                                        ; -- End function
	.section	.AMDGPU.csdata,"",@progbits
; Kernel info:
; codeLenInByte = 2988
; NumSgprs: 19
; NumVgprs: 118
; ScratchSize: 0
; MemoryBound: 0
; FloatMode: 240
; IeeeMode: 1
; LDSByteSize: 8192 bytes/workgroup (compile time only)
; SGPRBlocks: 2
; VGPRBlocks: 14
; NumSGPRsForWavesPerEU: 19
; NumVGPRsForWavesPerEU: 118
; Occupancy: 12
; WaveLimiterHint : 1
; COMPUTE_PGM_RSRC2:SCRATCH_EN: 0
; COMPUTE_PGM_RSRC2:USER_SGPR: 13
; COMPUTE_PGM_RSRC2:TRAP_HANDLER: 0
; COMPUTE_PGM_RSRC2:TGID_X_EN: 1
; COMPUTE_PGM_RSRC2:TGID_Y_EN: 1
; COMPUTE_PGM_RSRC2:TGID_Z_EN: 1
; COMPUTE_PGM_RSRC2:TIDIG_COMP_CNT: 1
	.section	.text._ZL37rocblas_syrkx_herkx_restricted_kernelIi19rocblas_complex_numIdELi16ELi32ELi8ELin1ELi0ELb1ELc78ELc76EKPKS1_KPS1_EviT_PT9_S7_lS9_S7_lPT10_S7_li,"axG",@progbits,_ZL37rocblas_syrkx_herkx_restricted_kernelIi19rocblas_complex_numIdELi16ELi32ELi8ELin1ELi0ELb1ELc78ELc76EKPKS1_KPS1_EviT_PT9_S7_lS9_S7_lPT10_S7_li,comdat
	.globl	_ZL37rocblas_syrkx_herkx_restricted_kernelIi19rocblas_complex_numIdELi16ELi32ELi8ELin1ELi0ELb1ELc78ELc76EKPKS1_KPS1_EviT_PT9_S7_lS9_S7_lPT10_S7_li ; -- Begin function _ZL37rocblas_syrkx_herkx_restricted_kernelIi19rocblas_complex_numIdELi16ELi32ELi8ELin1ELi0ELb1ELc78ELc76EKPKS1_KPS1_EviT_PT9_S7_lS9_S7_lPT10_S7_li
	.p2align	8
	.type	_ZL37rocblas_syrkx_herkx_restricted_kernelIi19rocblas_complex_numIdELi16ELi32ELi8ELin1ELi0ELb1ELc78ELc76EKPKS1_KPS1_EviT_PT9_S7_lS9_S7_lPT10_S7_li,@function
_ZL37rocblas_syrkx_herkx_restricted_kernelIi19rocblas_complex_numIdELi16ELi32ELi8ELin1ELi0ELb1ELc78ELc76EKPKS1_KPS1_EviT_PT9_S7_lS9_S7_lPT10_S7_li: ; @_ZL37rocblas_syrkx_herkx_restricted_kernelIi19rocblas_complex_numIdELi16ELi32ELi8ELin1ELi0ELb1ELc78ELc76EKPKS1_KPS1_EviT_PT9_S7_lS9_S7_lPT10_S7_li
; %bb.0:
	s_clause 0x1
	s_load_b64 s[4:5], s[0:1], 0x38
	s_load_b64 s[2:3], s[0:1], 0x0
	s_mov_b32 s6, s15
	s_mov_b32 s7, 0
	v_mov_b32_e32 v6, 0
	s_lshl_b64 s[8:9], s[6:7], 3
	v_dual_mov_b32 v7, 0 :: v_dual_and_b32 v20, 0x3ff, v0
	v_bfe_u32 v21, v0, 10, 10
	s_delay_alu instid0(VALU_DEP_3) | instskip(NEXT) | instid1(VALU_DEP_3)
	v_mov_b32_e32 v4, v6
	v_dual_mov_b32 v2, v6 :: v_dual_mov_b32 v3, v7
	v_dual_mov_b32 v19, v7 :: v_dual_mov_b32 v18, v6
	v_mov_b32_e32 v5, v7
	v_dual_mov_b32 v17, v7 :: v_dual_mov_b32 v16, v6
	v_dual_mov_b32 v15, v7 :: v_dual_mov_b32 v14, v6
	;; [unrolled: 1-line block ×3, first 2 shown]
	s_waitcnt lgkmcnt(0)
	s_add_u32 s4, s4, s8
	s_addc_u32 s5, s5, s9
	v_dual_mov_b32 v13, v7 :: v_dual_mov_b32 v12, v6
	s_load_b64 s[4:5], s[4:5], 0x0
	s_lshl_b32 s6, s13, 5
	s_lshl_b32 s12, s14, 5
	s_cmp_lt_i32 s3, 1
	s_cbranch_scc1 .LBB869_3
; %bb.1:
	s_clause 0x3
	s_load_b32 s10, s[0:1], 0x10
	s_load_b32 s14, s[0:1], 0x28
	s_load_b64 s[16:17], s[0:1], 0x8
	s_load_b64 s[18:19], s[0:1], 0x20
	v_lshl_add_u32 v0, v21, 4, v20
	v_and_b32_e32 v8, 7, v20
	v_lshl_add_u32 v23, v21, 7, 0x1000
	v_mov_b32_e32 v12, 0
	v_mov_b32_e32 v13, 0
	v_and_b32_e32 v7, 31, v0
	v_lshrrev_b32_e32 v6, 3, v0
	v_lshrrev_b32_e32 v9, 5, v0
	s_delay_alu instid0(VALU_DEP_4) | instskip(NEXT) | instid1(VALU_DEP_4)
	v_dual_mov_b32 v17, v13 :: v_dual_lshlrev_b32 v10, 4, v8
	v_add_nc_u32_e32 v2, s6, v7
	s_delay_alu instid0(VALU_DEP_4) | instskip(SKIP_1) | instid1(VALU_DEP_4)
	v_dual_mov_b32 v15, v13 :: v_dual_add_nc_u32 v0, s12, v6
	v_lshlrev_b32_e32 v7, 4, v7
	v_lshl_or_b32 v6, v6, 7, v10
	s_delay_alu instid0(VALU_DEP_4)
	v_ashrrev_i32_e32 v3, 31, v2
	s_waitcnt lgkmcnt(0)
	s_ashr_i32 s11, s10, 31
	s_ashr_i32 s15, s14, 31
	s_add_u32 s16, s16, s8
	s_addc_u32 s17, s17, s9
	s_add_u32 s8, s18, s8
	s_load_b64 s[16:17], s[16:17], 0x0
	s_addc_u32 s9, s19, s9
	v_ashrrev_i32_e32 v1, 31, v0
	s_load_b64 s[8:9], s[8:9], 0x0
	v_mad_i64_i32 v[4:5], null, s10, v9, v[2:3]
	v_dual_mov_b32 v14, v12 :: v_dual_add_nc_u32 v25, 0x1000, v6
	s_delay_alu instid0(VALU_DEP_3)
	v_mad_i64_i32 v[2:3], null, s14, v8, v[0:1]
	v_mov_b32_e32 v0, v12
	v_lshl_or_b32 v24, v9, 9, v7
	v_lshlrev_b64 v[4:5], 4, v[4:5]
	v_dual_mov_b32 v16, v12 :: v_dual_mov_b32 v19, v13
	v_mov_b32_e32 v6, v12
	v_lshlrev_b64 v[2:3], 4, v[2:3]
	v_dual_mov_b32 v1, v13 :: v_dual_lshlrev_b32 v22, 4, v20
	v_mov_b32_e32 v18, v12
	s_waitcnt lgkmcnt(0)
	v_add_co_u32 v4, vcc_lo, v4, s16
	v_add_co_ci_u32_e32 v5, vcc_lo, s17, v5, vcc_lo
	v_add_co_u32 v2, vcc_lo, v2, s8
	v_add_co_ci_u32_e32 v3, vcc_lo, s9, v3, vcc_lo
	s_delay_alu instid0(VALU_DEP_4) | instskip(NEXT) | instid1(VALU_DEP_4)
	v_add_co_u32 v8, vcc_lo, v4, 8
	v_add_co_ci_u32_e32 v9, vcc_lo, 0, v5, vcc_lo
	s_delay_alu instid0(VALU_DEP_4) | instskip(NEXT) | instid1(VALU_DEP_4)
	v_add_co_u32 v10, vcc_lo, v2, 8
	v_add_co_ci_u32_e32 v11, vcc_lo, 0, v3, vcc_lo
	v_mov_b32_e32 v2, v12
	v_dual_mov_b32 v4, v12 :: v_dual_mov_b32 v7, v13
	v_mov_b32_e32 v3, v13
	v_mov_b32_e32 v5, v13
	s_lshl_b64 s[8:9], s[10:11], 7
	s_lshl_b64 s[10:11], s[14:15], 7
.LBB869_2:                              ; =>This Inner Loop Header: Depth=1
	global_load_b128 v[26:29], v[10:11], off offset:-8
	global_load_b128 v[30:33], v[8:9], off offset:-8
	v_add_co_u32 v8, vcc_lo, v8, s8
	v_add_co_ci_u32_e32 v9, vcc_lo, s9, v9, vcc_lo
	v_add_co_u32 v10, vcc_lo, v10, s10
	v_add_co_ci_u32_e32 v11, vcc_lo, s11, v11, vcc_lo
	s_add_i32 s7, s7, 8
	s_delay_alu instid0(SALU_CYCLE_1)
	s_cmp_ge_i32 s7, s3
	s_waitcnt vmcnt(1)
	v_xor_b32_e32 v29, 0x80000000, v29
	s_waitcnt vmcnt(0)
	ds_store_b128 v24, v[30:33]
	ds_store_b128 v25, v[26:29]
	s_waitcnt lgkmcnt(0)
	s_barrier
	buffer_gl0_inv
	ds_load_b128 v[26:29], v23
	ds_load_b128 v[30:33], v22
	ds_load_b128 v[34:37], v22 offset:256
	ds_load_b128 v[38:41], v23 offset:2048
	;; [unrolled: 1-line block ×13, first 2 shown]
	s_waitcnt lgkmcnt(13)
	v_mul_f64 v[86:87], v[28:29], v[32:33]
	v_mul_f64 v[88:89], v[26:27], v[32:33]
	s_waitcnt lgkmcnt(12)
	v_mul_f64 v[90:91], v[28:29], v[36:37]
	v_mul_f64 v[92:93], v[26:27], v[36:37]
	s_waitcnt lgkmcnt(11)
	v_mul_f64 v[94:95], v[40:41], v[32:33]
	v_mul_f64 v[32:33], v[38:39], v[32:33]
	v_mul_f64 v[96:97], v[40:41], v[36:37]
	v_mul_f64 v[36:37], v[38:39], v[36:37]
	s_waitcnt lgkmcnt(8)
	v_mul_f64 v[98:99], v[44:45], v[52:53]
	v_mul_f64 v[100:101], v[42:43], v[52:53]
	s_waitcnt lgkmcnt(7)
	v_mul_f64 v[102:103], v[44:45], v[56:57]
	v_mul_f64 v[104:105], v[42:43], v[56:57]
	;; [unrolled: 1-line block ×6, first 2 shown]
	s_waitcnt lgkmcnt(3)
	v_mul_f64 v[112:113], v[58:59], v[72:73]
	s_waitcnt lgkmcnt(2)
	v_mul_f64 v[114:115], v[76:77], v[68:69]
	v_mul_f64 v[116:117], v[76:77], v[72:73]
	v_fma_f64 v[86:87], v[26:27], v[30:31], -v[86:87]
	v_fma_f64 v[88:89], v[28:29], v[30:31], v[88:89]
	v_fma_f64 v[90:91], v[26:27], v[34:35], -v[90:91]
	v_fma_f64 v[92:93], v[28:29], v[34:35], v[92:93]
	;; [unrolled: 2-line block ×4, first 2 shown]
	v_mul_f64 v[36:37], v[60:61], v[68:69]
	v_mul_f64 v[40:41], v[58:59], v[68:69]
	;; [unrolled: 1-line block ×5, first 2 shown]
	v_fma_f64 v[98:99], v[42:43], v[50:51], -v[98:99]
	v_fma_f64 v[100:101], v[44:45], v[50:51], v[100:101]
	v_fma_f64 v[42:43], v[42:43], v[54:55], -v[102:103]
	v_fma_f64 v[44:45], v[44:45], v[54:55], v[104:105]
	;; [unrolled: 2-line block ×4, first 2 shown]
	ds_load_b128 v[26:29], v22 offset:1792
	ds_load_b128 v[30:33], v22 offset:2048
	v_add_f64 v[52:53], v[6:7], v[86:87]
	v_add_f64 v[18:19], v[18:19], v[88:89]
	;; [unrolled: 1-line block ×8, first 2 shown]
	s_waitcnt lgkmcnt(2)
	v_mul_f64 v[86:87], v[64:65], v[84:85]
	v_mul_f64 v[88:89], v[62:63], v[84:85]
	s_waitcnt lgkmcnt(1)
	v_mul_f64 v[90:91], v[64:65], v[28:29]
	v_mul_f64 v[92:93], v[62:63], v[28:29]
	;; [unrolled: 1-line block ×6, first 2 shown]
	v_fma_f64 v[106:107], v[58:59], v[66:67], -v[36:37]
	v_fma_f64 v[108:109], v[60:61], v[66:67], v[40:41]
	v_fma_f64 v[58:59], v[58:59], v[70:71], -v[96:97]
	v_fma_f64 v[60:61], v[60:61], v[70:71], v[112:113]
	;; [unrolled: 2-line block ×4, first 2 shown]
	ds_load_b128 v[0:3], v22 offset:2304
	ds_load_b128 v[4:7], v23 offset:64
	v_add_f64 v[52:53], v[52:53], v[98:99]
	v_add_f64 v[72:73], v[18:19], v[100:101]
	;; [unrolled: 1-line block ×8, first 2 shown]
	ds_load_b128 v[12:15], v23 offset:2112
	ds_load_b128 v[16:19], v23 offset:80
	;; [unrolled: 1-line block ×4, first 2 shown]
	s_waitcnt lgkmcnt(4)
	v_mul_f64 v[56:57], v[6:7], v[32:33]
	v_mul_f64 v[74:75], v[4:5], v[32:33]
	;; [unrolled: 1-line block ×4, first 2 shown]
	v_fma_f64 v[86:87], v[62:63], v[82:83], -v[86:87]
	v_fma_f64 v[88:89], v[64:65], v[82:83], v[88:89]
	v_fma_f64 v[62:63], v[62:63], v[26:27], -v[90:91]
	v_fma_f64 v[64:65], v[64:65], v[26:27], v[92:93]
	;; [unrolled: 2-line block ×4, first 2 shown]
	s_waitcnt lgkmcnt(3)
	v_mul_f64 v[100:101], v[14:15], v[32:33]
	v_mul_f64 v[32:33], v[12:13], v[32:33]
	;; [unrolled: 1-line block ×4, first 2 shown]
	s_waitcnt lgkmcnt(0)
	v_mul_f64 v[92:93], v[18:19], v[40:41]
	v_mul_f64 v[94:95], v[16:17], v[40:41]
	v_add_f64 v[84:85], v[52:53], v[106:107]
	v_add_f64 v[72:73], v[72:73], v[108:109]
	;; [unrolled: 1-line block ×8, first 2 shown]
	ds_load_b128 v[26:29], v22 offset:2816
	ds_load_b128 v[42:45], v22 offset:3072
	;; [unrolled: 1-line block ×4, first 2 shown]
	v_mul_f64 v[106:107], v[36:37], v[40:41]
	v_mul_f64 v[40:41], v[34:35], v[40:41]
	v_fma_f64 v[56:57], v[4:5], v[30:31], -v[56:57]
	v_fma_f64 v[74:75], v[6:7], v[30:31], v[74:75]
	v_fma_f64 v[76:77], v[4:5], v[0:1], -v[76:77]
	v_fma_f64 v[98:99], v[6:7], v[0:1], v[98:99]
	s_waitcnt lgkmcnt(3)
	v_mul_f64 v[96:97], v[18:19], v[28:29]
	v_mul_f64 v[104:105], v[16:17], v[28:29]
	;; [unrolled: 1-line block ×4, first 2 shown]
	v_fma_f64 v[100:101], v[12:13], v[30:31], -v[100:101]
	v_fma_f64 v[32:33], v[14:15], v[30:31], v[32:33]
	v_fma_f64 v[102:103], v[12:13], v[0:1], -v[102:103]
	v_fma_f64 v[112:113], v[14:15], v[0:1], v[2:3]
	ds_load_b128 v[0:3], v23 offset:2144
	ds_load_b128 v[4:7], v23 offset:112
	;; [unrolled: 1-line block ×4, first 2 shown]
	v_add_f64 v[84:85], v[84:85], v[86:87]
	v_add_f64 v[72:73], v[72:73], v[88:89]
	;; [unrolled: 1-line block ×8, first 2 shown]
	s_waitcnt lgkmcnt(4)
	v_mul_f64 v[68:69], v[52:53], v[44:45]
	v_mul_f64 v[70:71], v[50:51], v[44:45]
	;; [unrolled: 1-line block ×4, first 2 shown]
	s_waitcnt lgkmcnt(3)
	v_mul_f64 v[82:83], v[2:3], v[44:45]
	v_mul_f64 v[44:45], v[0:1], v[44:45]
	v_mul_f64 v[86:87], v[2:3], v[48:49]
	v_mul_f64 v[48:49], v[0:1], v[48:49]
	v_fma_f64 v[88:89], v[16:17], v[38:39], -v[92:93]
	v_fma_f64 v[90:91], v[18:19], v[38:39], v[94:95]
	v_fma_f64 v[92:93], v[16:17], v[26:27], -v[96:97]
	v_fma_f64 v[94:95], v[18:19], v[26:27], v[104:105]
	;; [unrolled: 2-line block ×4, first 2 shown]
	ds_load_b128 v[16:19], v22 offset:3840
	s_waitcnt lgkmcnt(0)
	s_barrier
	buffer_gl0_inv
	v_add_f64 v[36:37], v[84:85], v[56:57]
	v_add_f64 v[40:41], v[72:73], v[74:75]
	;; [unrolled: 1-line block ×8, first 2 shown]
	v_mul_f64 v[64:65], v[6:7], v[30:31]
	v_mul_f64 v[66:67], v[4:5], v[30:31]
	;; [unrolled: 1-line block ×4, first 2 shown]
	v_fma_f64 v[68:69], v[50:51], v[42:43], -v[68:69]
	v_mul_f64 v[72:73], v[6:7], v[18:19]
	v_mul_f64 v[74:75], v[4:5], v[18:19]
	;; [unrolled: 1-line block ×4, first 2 shown]
	v_fma_f64 v[70:71], v[52:53], v[42:43], v[70:71]
	v_fma_f64 v[50:51], v[50:51], v[46:47], -v[78:79]
	v_fma_f64 v[52:53], v[52:53], v[46:47], v[80:81]
	v_fma_f64 v[78:79], v[0:1], v[42:43], -v[82:83]
	;; [unrolled: 2-line block ×3, first 2 shown]
	v_fma_f64 v[2:3], v[2:3], v[46:47], v[48:49]
	v_add_f64 v[36:37], v[36:37], v[88:89]
	v_add_f64 v[40:41], v[40:41], v[90:91]
	;; [unrolled: 1-line block ×8, first 2 shown]
	v_fma_f64 v[38:39], v[4:5], v[28:29], -v[64:65]
	v_fma_f64 v[54:55], v[6:7], v[28:29], v[66:67]
	v_fma_f64 v[58:59], v[12:13], v[28:29], -v[76:77]
	v_fma_f64 v[28:29], v[14:15], v[28:29], v[30:31]
	v_fma_f64 v[4:5], v[4:5], v[16:17], -v[72:73]
	v_fma_f64 v[56:57], v[6:7], v[16:17], v[74:75]
	v_fma_f64 v[12:13], v[12:13], v[16:17], -v[84:85]
	v_fma_f64 v[30:31], v[14:15], v[16:17], v[18:19]
	v_add_f64 v[6:7], v[36:37], v[68:69]
	v_add_f64 v[14:15], v[40:41], v[70:71]
	;; [unrolled: 1-line block ×16, first 2 shown]
	s_cbranch_scc0 .LBB869_2
.LBB869_3:
	s_load_b32 s3, s[0:1], 0x40
	v_add_nc_u32_e32 v21, s12, v21
	v_add_nc_u32_e32 v10, s6, v20
	s_delay_alu instid0(VALU_DEP_1) | instskip(SKIP_1) | instid1(VALU_DEP_2)
	v_cmp_le_i32_e64 s0, v21, v10
	v_cmp_gt_i32_e32 vcc_lo, s2, v10
	s_and_b32 s0, s0, vcc_lo
	s_waitcnt lgkmcnt(0)
	v_mad_i64_i32 v[8:9], null, v21, s3, 0
	s_delay_alu instid0(VALU_DEP_1) | instskip(NEXT) | instid1(VALU_DEP_1)
	v_lshlrev_b64 v[8:9], 4, v[8:9]
	v_add_co_u32 v20, s1, s4, v8
	s_delay_alu instid0(VALU_DEP_1)
	v_add_co_ci_u32_e64 v22, s1, s5, v9, s1
	s_and_saveexec_b32 s6, s0
	s_cbranch_execz .LBB869_5
; %bb.4:
	v_ashrrev_i32_e32 v11, 31, v10
	v_cmp_ne_u32_e64 s0, v21, v10
	v_xor_b32_e32 v7, 0x80000000, v7
	s_delay_alu instid0(VALU_DEP_3) | instskip(NEXT) | instid1(VALU_DEP_3)
	v_lshlrev_b64 v[23:24], 4, v[10:11]
	v_cndmask_b32_e64 v9, 0, -v19, s0
	v_cndmask_b32_e64 v8, 0, v18, s0
	s_delay_alu instid0(VALU_DEP_3) | instskip(NEXT) | instid1(VALU_DEP_1)
	v_add_co_u32 v23, s1, v20, v23
	v_add_co_ci_u32_e64 v24, s1, v22, v24, s1
	global_store_b128 v[23:24], v[6:9], off
.LBB869_5:
	s_or_b32 exec_lo, exec_lo, s6
	v_add_nc_u32_e32 v8, 16, v10
	s_delay_alu instid0(VALU_DEP_1) | instskip(SKIP_1) | instid1(VALU_DEP_1)
	v_cmp_le_i32_e64 s1, v21, v8
	v_cmp_gt_i32_e64 s0, s2, v8
	s_and_b32 s1, s1, s0
	s_delay_alu instid0(SALU_CYCLE_1)
	s_and_saveexec_b32 s6, s1
	s_cbranch_execz .LBB869_7
; %bb.6:
	v_ashrrev_i32_e32 v9, 31, v8
	v_cmp_ne_u32_e64 s1, v21, v8
	v_xor_b32_e32 v5, 0x80000000, v5
	s_delay_alu instid0(VALU_DEP_3) | instskip(NEXT) | instid1(VALU_DEP_3)
	v_lshlrev_b64 v[18:19], 4, v[8:9]
	v_cndmask_b32_e64 v7, 0, -v17, s1
	v_cndmask_b32_e64 v6, 0, v16, s1
	s_delay_alu instid0(VALU_DEP_3) | instskip(NEXT) | instid1(VALU_DEP_1)
	v_add_co_u32 v17, s2, v20, v18
	v_add_co_ci_u32_e64 v18, s2, v22, v19, s2
	global_store_b128 v[17:18], v[4:7], off
.LBB869_7:
	s_or_b32 exec_lo, exec_lo, s6
	v_add_nc_u32_e32 v9, 16, v21
	s_delay_alu instid0(VALU_DEP_1) | instskip(SKIP_1) | instid1(VALU_DEP_1)
	v_mad_i64_i32 v[4:5], null, v9, s3, 0
	v_cmp_le_i32_e64 s1, v9, v10
	s_and_b32 s1, s1, vcc_lo
	s_delay_alu instid0(VALU_DEP_2) | instskip(NEXT) | instid1(VALU_DEP_1)
	v_lshlrev_b64 v[4:5], 4, v[4:5]
	v_add_co_u32 v6, s2, s4, v4
	s_delay_alu instid0(VALU_DEP_1)
	v_add_co_ci_u32_e64 v7, s2, s5, v5, s2
	s_and_saveexec_b32 s2, s1
	s_cbranch_execz .LBB869_9
; %bb.8:
	v_ashrrev_i32_e32 v11, 31, v10
	v_cmp_ne_u32_e32 vcc_lo, v9, v10
	v_xor_b32_e32 v3, 0x80000000, v3
	s_delay_alu instid0(VALU_DEP_3) | instskip(SKIP_2) | instid1(VALU_DEP_3)
	v_lshlrev_b64 v[16:17], 4, v[10:11]
	v_cndmask_b32_e64 v5, 0, -v15, vcc_lo
	v_cndmask_b32_e32 v4, 0, v14, vcc_lo
	v_add_co_u32 v15, s1, v6, v16
	s_delay_alu instid0(VALU_DEP_1)
	v_add_co_ci_u32_e64 v16, s1, v7, v17, s1
	global_store_b128 v[15:16], v[2:5], off
.LBB869_9:
	s_or_b32 exec_lo, exec_lo, s2
	v_cmp_le_i32_e32 vcc_lo, v9, v8
	s_and_b32 s0, vcc_lo, s0
	s_delay_alu instid0(SALU_CYCLE_1)
	s_and_saveexec_b32 s1, s0
	s_cbranch_execz .LBB869_11
; %bb.10:
	v_ashrrev_i32_e32 v9, 31, v8
	v_cmp_ne_u32_e32 vcc_lo, v21, v10
	v_xor_b32_e32 v1, 0x80000000, v1
	s_delay_alu instid0(VALU_DEP_3) | instskip(SKIP_2) | instid1(VALU_DEP_3)
	v_lshlrev_b64 v[4:5], 4, v[8:9]
	v_cndmask_b32_e64 v3, 0, -v13, vcc_lo
	v_cndmask_b32_e32 v2, 0, v12, vcc_lo
	v_add_co_u32 v4, s0, v6, v4
	s_delay_alu instid0(VALU_DEP_1)
	v_add_co_ci_u32_e64 v5, s0, v7, v5, s0
	global_store_b128 v[4:5], v[0:3], off
.LBB869_11:
	s_nop 0
	s_sendmsg sendmsg(MSG_DEALLOC_VGPRS)
	s_endpgm
	.section	.rodata,"a",@progbits
	.p2align	6, 0x0
	.amdhsa_kernel _ZL37rocblas_syrkx_herkx_restricted_kernelIi19rocblas_complex_numIdELi16ELi32ELi8ELin1ELi0ELb1ELc78ELc76EKPKS1_KPS1_EviT_PT9_S7_lS9_S7_lPT10_S7_li
		.amdhsa_group_segment_fixed_size 8192
		.amdhsa_private_segment_fixed_size 0
		.amdhsa_kernarg_size 84
		.amdhsa_user_sgpr_count 13
		.amdhsa_user_sgpr_dispatch_ptr 0
		.amdhsa_user_sgpr_queue_ptr 0
		.amdhsa_user_sgpr_kernarg_segment_ptr 1
		.amdhsa_user_sgpr_dispatch_id 0
		.amdhsa_user_sgpr_private_segment_size 0
		.amdhsa_wavefront_size32 1
		.amdhsa_uses_dynamic_stack 0
		.amdhsa_enable_private_segment 0
		.amdhsa_system_sgpr_workgroup_id_x 1
		.amdhsa_system_sgpr_workgroup_id_y 1
		.amdhsa_system_sgpr_workgroup_id_z 1
		.amdhsa_system_sgpr_workgroup_info 0
		.amdhsa_system_vgpr_workitem_id 1
		.amdhsa_next_free_vgpr 118
		.amdhsa_next_free_sgpr 20
		.amdhsa_reserve_vcc 1
		.amdhsa_float_round_mode_32 0
		.amdhsa_float_round_mode_16_64 0
		.amdhsa_float_denorm_mode_32 3
		.amdhsa_float_denorm_mode_16_64 3
		.amdhsa_dx10_clamp 1
		.amdhsa_ieee_mode 1
		.amdhsa_fp16_overflow 0
		.amdhsa_workgroup_processor_mode 1
		.amdhsa_memory_ordered 1
		.amdhsa_forward_progress 0
		.amdhsa_shared_vgpr_count 0
		.amdhsa_exception_fp_ieee_invalid_op 0
		.amdhsa_exception_fp_denorm_src 0
		.amdhsa_exception_fp_ieee_div_zero 0
		.amdhsa_exception_fp_ieee_overflow 0
		.amdhsa_exception_fp_ieee_underflow 0
		.amdhsa_exception_fp_ieee_inexact 0
		.amdhsa_exception_int_div_zero 0
	.end_amdhsa_kernel
	.section	.text._ZL37rocblas_syrkx_herkx_restricted_kernelIi19rocblas_complex_numIdELi16ELi32ELi8ELin1ELi0ELb1ELc78ELc76EKPKS1_KPS1_EviT_PT9_S7_lS9_S7_lPT10_S7_li,"axG",@progbits,_ZL37rocblas_syrkx_herkx_restricted_kernelIi19rocblas_complex_numIdELi16ELi32ELi8ELin1ELi0ELb1ELc78ELc76EKPKS1_KPS1_EviT_PT9_S7_lS9_S7_lPT10_S7_li,comdat
.Lfunc_end869:
	.size	_ZL37rocblas_syrkx_herkx_restricted_kernelIi19rocblas_complex_numIdELi16ELi32ELi8ELin1ELi0ELb1ELc78ELc76EKPKS1_KPS1_EviT_PT9_S7_lS9_S7_lPT10_S7_li, .Lfunc_end869-_ZL37rocblas_syrkx_herkx_restricted_kernelIi19rocblas_complex_numIdELi16ELi32ELi8ELin1ELi0ELb1ELc78ELc76EKPKS1_KPS1_EviT_PT9_S7_lS9_S7_lPT10_S7_li
                                        ; -- End function
	.section	.AMDGPU.csdata,"",@progbits
; Kernel info:
; codeLenInByte = 3000
; NumSgprs: 22
; NumVgprs: 118
; ScratchSize: 0
; MemoryBound: 0
; FloatMode: 240
; IeeeMode: 1
; LDSByteSize: 8192 bytes/workgroup (compile time only)
; SGPRBlocks: 2
; VGPRBlocks: 14
; NumSGPRsForWavesPerEU: 22
; NumVGPRsForWavesPerEU: 118
; Occupancy: 12
; WaveLimiterHint : 1
; COMPUTE_PGM_RSRC2:SCRATCH_EN: 0
; COMPUTE_PGM_RSRC2:USER_SGPR: 13
; COMPUTE_PGM_RSRC2:TRAP_HANDLER: 0
; COMPUTE_PGM_RSRC2:TGID_X_EN: 1
; COMPUTE_PGM_RSRC2:TGID_Y_EN: 1
; COMPUTE_PGM_RSRC2:TGID_Z_EN: 1
; COMPUTE_PGM_RSRC2:TIDIG_COMP_CNT: 1
	.section	.text._ZL37rocblas_syrkx_herkx_restricted_kernelIi19rocblas_complex_numIdELi16ELi32ELi8ELin1ELi0ELb1ELc84ELc85EKPKS1_KPS1_EviT_PT9_S7_lS9_S7_lPT10_S7_li,"axG",@progbits,_ZL37rocblas_syrkx_herkx_restricted_kernelIi19rocblas_complex_numIdELi16ELi32ELi8ELin1ELi0ELb1ELc84ELc85EKPKS1_KPS1_EviT_PT9_S7_lS9_S7_lPT10_S7_li,comdat
	.globl	_ZL37rocblas_syrkx_herkx_restricted_kernelIi19rocblas_complex_numIdELi16ELi32ELi8ELin1ELi0ELb1ELc84ELc85EKPKS1_KPS1_EviT_PT9_S7_lS9_S7_lPT10_S7_li ; -- Begin function _ZL37rocblas_syrkx_herkx_restricted_kernelIi19rocblas_complex_numIdELi16ELi32ELi8ELin1ELi0ELb1ELc84ELc85EKPKS1_KPS1_EviT_PT9_S7_lS9_S7_lPT10_S7_li
	.p2align	8
	.type	_ZL37rocblas_syrkx_herkx_restricted_kernelIi19rocblas_complex_numIdELi16ELi32ELi8ELin1ELi0ELb1ELc84ELc85EKPKS1_KPS1_EviT_PT9_S7_lS9_S7_lPT10_S7_li,@function
_ZL37rocblas_syrkx_herkx_restricted_kernelIi19rocblas_complex_numIdELi16ELi32ELi8ELin1ELi0ELb1ELc84ELc85EKPKS1_KPS1_EviT_PT9_S7_lS9_S7_lPT10_S7_li: ; @_ZL37rocblas_syrkx_herkx_restricted_kernelIi19rocblas_complex_numIdELi16ELi32ELi8ELin1ELi0ELb1ELc84ELc85EKPKS1_KPS1_EviT_PT9_S7_lS9_S7_lPT10_S7_li
; %bb.0:
	s_clause 0x1
	s_load_b64 s[4:5], s[0:1], 0x38
	s_load_b64 s[2:3], s[0:1], 0x0
	s_mov_b32 s6, s15
	s_mov_b32 s7, 0
	v_mov_b32_e32 v6, 0
	s_lshl_b64 s[8:9], s[6:7], 3
	v_dual_mov_b32 v7, 0 :: v_dual_and_b32 v20, 0x3ff, v0
	v_bfe_u32 v21, v0, 10, 10
	s_delay_alu instid0(VALU_DEP_3) | instskip(NEXT) | instid1(VALU_DEP_3)
	v_mov_b32_e32 v4, v6
	v_dual_mov_b32 v2, v6 :: v_dual_mov_b32 v3, v7
	v_dual_mov_b32 v19, v7 :: v_dual_mov_b32 v18, v6
	v_mov_b32_e32 v5, v7
	v_dual_mov_b32 v17, v7 :: v_dual_mov_b32 v16, v6
	v_dual_mov_b32 v15, v7 :: v_dual_mov_b32 v14, v6
	;; [unrolled: 1-line block ×3, first 2 shown]
	s_waitcnt lgkmcnt(0)
	s_add_u32 s4, s4, s8
	s_addc_u32 s5, s5, s9
	v_dual_mov_b32 v13, v7 :: v_dual_mov_b32 v12, v6
	s_load_b64 s[4:5], s[4:5], 0x0
	s_lshl_b32 s6, s13, 5
	s_lshl_b32 s10, s14, 5
	s_cmp_lt_i32 s3, 1
	s_cbranch_scc1 .LBB870_3
; %bb.1:
	s_clause 0x3
	s_load_b64 s[12:13], s[0:1], 0x8
	s_load_b64 s[14:15], s[0:1], 0x20
	s_load_b32 s11, s[0:1], 0x10
	s_load_b32 s16, s[0:1], 0x28
	v_lshl_add_u32 v2, v21, 4, v20
	v_dual_mov_b32 v1, 0 :: v_dual_and_b32 v0, 7, v20
	v_mov_b32_e32 v12, 0
	v_dual_mov_b32 v13, 0 :: v_dual_lshlrev_b32 v22, 4, v20
	s_delay_alu instid0(VALU_DEP_4) | instskip(SKIP_3) | instid1(VALU_DEP_4)
	v_and_b32_e32 v9, 31, v2
	v_lshrrev_b32_e32 v8, 3, v2
	v_lshrrev_b32_e32 v2, 5, v2
	v_mov_b32_e32 v3, v1
	v_dual_mov_b32 v15, v13 :: v_dual_add_nc_u32 v6, s6, v9
	s_delay_alu instid0(VALU_DEP_4)
	v_add_nc_u32_e32 v10, s10, v8
	v_dual_mov_b32 v14, v12 :: v_dual_lshlrev_b32 v9, 4, v9
	v_mov_b32_e32 v17, v13
	s_waitcnt lgkmcnt(0)
	s_add_u32 s12, s12, s8
	s_addc_u32 s13, s13, s9
	s_add_u32 s8, s14, s8
	s_load_b64 s[12:13], s[12:13], 0x0
	s_addc_u32 s9, s15, s9
	v_mad_i64_i32 v[4:5], null, s11, v6, v[2:3]
	s_load_b64 s[8:9], s[8:9], 0x0
	v_lshlrev_b32_e32 v3, 4, v0
	v_mad_i64_i32 v[6:7], null, s16, v10, v[0:1]
	v_mov_b32_e32 v0, v12
	v_lshl_or_b32 v24, v2, 9, v9
	s_delay_alu instid0(VALU_DEP_4)
	v_lshl_or_b32 v8, v8, 7, v3
	v_lshlrev_b64 v[3:4], 4, v[4:5]
	v_mov_b32_e32 v19, v13
	v_lshl_add_u32 v23, v21, 7, 0x1000
	v_lshlrev_b64 v[5:6], 4, v[6:7]
	v_dual_mov_b32 v16, v12 :: v_dual_add_nc_u32 v25, 0x1000, v8
	v_dual_mov_b32 v1, v13 :: v_dual_mov_b32 v18, v12
	s_waitcnt lgkmcnt(0)
	v_add_co_u32 v2, vcc_lo, v3, s12
	v_add_co_ci_u32_e32 v3, vcc_lo, s13, v4, vcc_lo
	v_add_co_u32 v4, vcc_lo, v5, s8
	v_add_co_ci_u32_e32 v5, vcc_lo, s9, v6, vcc_lo
	s_delay_alu instid0(VALU_DEP_4) | instskip(NEXT) | instid1(VALU_DEP_4)
	v_add_co_u32 v8, vcc_lo, v2, 8
	v_add_co_ci_u32_e32 v9, vcc_lo, 0, v3, vcc_lo
	s_delay_alu instid0(VALU_DEP_4)
	v_add_co_u32 v10, vcc_lo, v4, 8
	v_mov_b32_e32 v2, v12
	v_add_co_ci_u32_e32 v11, vcc_lo, 0, v5, vcc_lo
	v_dual_mov_b32 v3, v13 :: v_dual_mov_b32 v4, v12
	v_dual_mov_b32 v5, v13 :: v_dual_mov_b32 v6, v12
	v_mov_b32_e32 v7, v13
.LBB870_2:                              ; =>This Inner Loop Header: Depth=1
	global_load_b128 v[26:29], v[8:9], off offset:-8
	global_load_b128 v[30:33], v[10:11], off offset:-8
	v_add_co_u32 v8, vcc_lo, 0x80, v8
	v_add_co_ci_u32_e32 v9, vcc_lo, 0, v9, vcc_lo
	v_add_co_u32 v10, vcc_lo, 0x80, v10
	v_add_co_ci_u32_e32 v11, vcc_lo, 0, v11, vcc_lo
	s_add_i32 s7, s7, 8
	s_waitcnt vmcnt(1)
	ds_store_b128 v24, v[26:29]
	s_waitcnt vmcnt(0)
	ds_store_b128 v25, v[30:33]
	s_waitcnt lgkmcnt(0)
	s_barrier
	buffer_gl0_inv
	ds_load_b128 v[26:29], v23
	ds_load_b128 v[30:33], v22
	ds_load_b128 v[34:37], v22 offset:256
	ds_load_b128 v[38:41], v23 offset:2048
	;; [unrolled: 1-line block ×13, first 2 shown]
	s_cmp_ge_i32 s7, s3
	s_waitcnt lgkmcnt(13)
	v_mul_f64 v[86:87], v[28:29], v[32:33]
	v_mul_f64 v[88:89], v[26:27], v[32:33]
	s_waitcnt lgkmcnt(12)
	v_mul_f64 v[90:91], v[28:29], v[36:37]
	v_mul_f64 v[92:93], v[26:27], v[36:37]
	s_waitcnt lgkmcnt(11)
	v_mul_f64 v[94:95], v[40:41], v[32:33]
	v_mul_f64 v[32:33], v[38:39], v[32:33]
	v_mul_f64 v[96:97], v[40:41], v[36:37]
	v_mul_f64 v[36:37], v[38:39], v[36:37]
	s_waitcnt lgkmcnt(8)
	v_mul_f64 v[98:99], v[44:45], v[52:53]
	v_mul_f64 v[100:101], v[42:43], v[52:53]
	s_waitcnt lgkmcnt(7)
	v_mul_f64 v[102:103], v[44:45], v[56:57]
	v_mul_f64 v[104:105], v[42:43], v[56:57]
	;; [unrolled: 1-line block ×6, first 2 shown]
	s_waitcnt lgkmcnt(3)
	v_mul_f64 v[112:113], v[58:59], v[72:73]
	s_waitcnt lgkmcnt(2)
	v_mul_f64 v[114:115], v[76:77], v[68:69]
	v_mul_f64 v[116:117], v[76:77], v[72:73]
	v_fma_f64 v[86:87], v[26:27], v[30:31], -v[86:87]
	v_fma_f64 v[88:89], v[28:29], v[30:31], v[88:89]
	v_fma_f64 v[90:91], v[26:27], v[34:35], -v[90:91]
	v_fma_f64 v[92:93], v[28:29], v[34:35], v[92:93]
	;; [unrolled: 2-line block ×4, first 2 shown]
	v_mul_f64 v[36:37], v[60:61], v[68:69]
	v_mul_f64 v[40:41], v[58:59], v[68:69]
	;; [unrolled: 1-line block ×5, first 2 shown]
	v_fma_f64 v[98:99], v[42:43], v[50:51], -v[98:99]
	v_fma_f64 v[100:101], v[44:45], v[50:51], v[100:101]
	v_fma_f64 v[42:43], v[42:43], v[54:55], -v[102:103]
	v_fma_f64 v[44:45], v[44:45], v[54:55], v[104:105]
	;; [unrolled: 2-line block ×4, first 2 shown]
	ds_load_b128 v[26:29], v22 offset:1792
	ds_load_b128 v[30:33], v22 offset:2048
	v_add_f64 v[52:53], v[6:7], v[86:87]
	v_add_f64 v[18:19], v[18:19], v[88:89]
	;; [unrolled: 1-line block ×8, first 2 shown]
	s_waitcnt lgkmcnt(2)
	v_mul_f64 v[86:87], v[64:65], v[84:85]
	v_mul_f64 v[88:89], v[62:63], v[84:85]
	s_waitcnt lgkmcnt(1)
	v_mul_f64 v[90:91], v[64:65], v[28:29]
	v_mul_f64 v[92:93], v[62:63], v[28:29]
	;; [unrolled: 1-line block ×6, first 2 shown]
	v_fma_f64 v[106:107], v[58:59], v[66:67], -v[36:37]
	v_fma_f64 v[108:109], v[60:61], v[66:67], v[40:41]
	v_fma_f64 v[58:59], v[58:59], v[70:71], -v[96:97]
	v_fma_f64 v[60:61], v[60:61], v[70:71], v[112:113]
	;; [unrolled: 2-line block ×4, first 2 shown]
	ds_load_b128 v[0:3], v22 offset:2304
	ds_load_b128 v[4:7], v23 offset:64
	v_add_f64 v[52:53], v[52:53], v[98:99]
	v_add_f64 v[72:73], v[18:19], v[100:101]
	;; [unrolled: 1-line block ×8, first 2 shown]
	ds_load_b128 v[12:15], v23 offset:2112
	ds_load_b128 v[16:19], v23 offset:80
	;; [unrolled: 1-line block ×4, first 2 shown]
	s_waitcnt lgkmcnt(4)
	v_mul_f64 v[56:57], v[6:7], v[32:33]
	v_mul_f64 v[74:75], v[4:5], v[32:33]
	v_mul_f64 v[76:77], v[6:7], v[2:3]
	v_mul_f64 v[98:99], v[4:5], v[2:3]
	v_fma_f64 v[86:87], v[62:63], v[82:83], -v[86:87]
	v_fma_f64 v[88:89], v[64:65], v[82:83], v[88:89]
	v_fma_f64 v[62:63], v[62:63], v[26:27], -v[90:91]
	v_fma_f64 v[64:65], v[64:65], v[26:27], v[92:93]
	;; [unrolled: 2-line block ×4, first 2 shown]
	s_waitcnt lgkmcnt(3)
	v_mul_f64 v[100:101], v[14:15], v[32:33]
	v_mul_f64 v[32:33], v[12:13], v[32:33]
	;; [unrolled: 1-line block ×4, first 2 shown]
	s_waitcnt lgkmcnt(0)
	v_mul_f64 v[92:93], v[18:19], v[40:41]
	v_mul_f64 v[94:95], v[16:17], v[40:41]
	v_add_f64 v[84:85], v[52:53], v[106:107]
	v_add_f64 v[72:73], v[72:73], v[108:109]
	;; [unrolled: 1-line block ×8, first 2 shown]
	ds_load_b128 v[26:29], v22 offset:2816
	ds_load_b128 v[42:45], v22 offset:3072
	ds_load_b128 v[46:49], v22 offset:3328
	ds_load_b128 v[50:53], v23 offset:96
	v_mul_f64 v[106:107], v[36:37], v[40:41]
	v_mul_f64 v[40:41], v[34:35], v[40:41]
	v_fma_f64 v[56:57], v[4:5], v[30:31], -v[56:57]
	v_fma_f64 v[74:75], v[6:7], v[30:31], v[74:75]
	v_fma_f64 v[76:77], v[4:5], v[0:1], -v[76:77]
	v_fma_f64 v[98:99], v[6:7], v[0:1], v[98:99]
	s_waitcnt lgkmcnt(3)
	v_mul_f64 v[96:97], v[18:19], v[28:29]
	v_mul_f64 v[104:105], v[16:17], v[28:29]
	;; [unrolled: 1-line block ×4, first 2 shown]
	v_fma_f64 v[100:101], v[12:13], v[30:31], -v[100:101]
	v_fma_f64 v[32:33], v[14:15], v[30:31], v[32:33]
	v_fma_f64 v[102:103], v[12:13], v[0:1], -v[102:103]
	v_fma_f64 v[112:113], v[14:15], v[0:1], v[2:3]
	ds_load_b128 v[0:3], v23 offset:2144
	ds_load_b128 v[4:7], v23 offset:112
	;; [unrolled: 1-line block ×4, first 2 shown]
	v_add_f64 v[84:85], v[84:85], v[86:87]
	v_add_f64 v[72:73], v[72:73], v[88:89]
	;; [unrolled: 1-line block ×8, first 2 shown]
	s_waitcnt lgkmcnt(4)
	v_mul_f64 v[68:69], v[52:53], v[44:45]
	v_mul_f64 v[70:71], v[50:51], v[44:45]
	;; [unrolled: 1-line block ×4, first 2 shown]
	s_waitcnt lgkmcnt(3)
	v_mul_f64 v[82:83], v[2:3], v[44:45]
	v_mul_f64 v[44:45], v[0:1], v[44:45]
	;; [unrolled: 1-line block ×4, first 2 shown]
	v_fma_f64 v[88:89], v[16:17], v[38:39], -v[92:93]
	v_fma_f64 v[90:91], v[18:19], v[38:39], v[94:95]
	v_fma_f64 v[92:93], v[16:17], v[26:27], -v[96:97]
	v_fma_f64 v[94:95], v[18:19], v[26:27], v[104:105]
	;; [unrolled: 2-line block ×4, first 2 shown]
	ds_load_b128 v[16:19], v22 offset:3840
	s_waitcnt lgkmcnt(0)
	s_barrier
	buffer_gl0_inv
	v_add_f64 v[36:37], v[84:85], v[56:57]
	v_add_f64 v[40:41], v[72:73], v[74:75]
	;; [unrolled: 1-line block ×8, first 2 shown]
	v_mul_f64 v[64:65], v[6:7], v[30:31]
	v_mul_f64 v[66:67], v[4:5], v[30:31]
	v_mul_f64 v[76:77], v[14:15], v[30:31]
	v_mul_f64 v[30:31], v[12:13], v[30:31]
	v_fma_f64 v[68:69], v[50:51], v[42:43], -v[68:69]
	v_mul_f64 v[72:73], v[6:7], v[18:19]
	v_mul_f64 v[74:75], v[4:5], v[18:19]
	;; [unrolled: 1-line block ×4, first 2 shown]
	v_fma_f64 v[70:71], v[52:53], v[42:43], v[70:71]
	v_fma_f64 v[50:51], v[50:51], v[46:47], -v[78:79]
	v_fma_f64 v[52:53], v[52:53], v[46:47], v[80:81]
	v_fma_f64 v[78:79], v[0:1], v[42:43], -v[82:83]
	;; [unrolled: 2-line block ×3, first 2 shown]
	v_fma_f64 v[2:3], v[2:3], v[46:47], v[48:49]
	v_add_f64 v[36:37], v[36:37], v[88:89]
	v_add_f64 v[40:41], v[40:41], v[90:91]
	;; [unrolled: 1-line block ×8, first 2 shown]
	v_fma_f64 v[38:39], v[4:5], v[28:29], -v[64:65]
	v_fma_f64 v[54:55], v[6:7], v[28:29], v[66:67]
	v_fma_f64 v[58:59], v[12:13], v[28:29], -v[76:77]
	v_fma_f64 v[28:29], v[14:15], v[28:29], v[30:31]
	;; [unrolled: 2-line block ×4, first 2 shown]
	v_add_f64 v[6:7], v[36:37], v[68:69]
	v_add_f64 v[14:15], v[40:41], v[70:71]
	v_add_f64 v[16:17], v[44:45], v[50:51]
	v_add_f64 v[36:37], v[46:47], v[52:53]
	v_add_f64 v[40:41], v[48:49], v[78:79]
	v_add_f64 v[32:33], v[32:33], v[42:43]
	v_add_f64 v[0:1], v[34:35], v[0:1]
	v_add_f64 v[26:27], v[26:27], v[2:3]
	v_add_f64 v[6:7], v[6:7], v[38:39]
	v_add_f64 v[18:19], v[14:15], v[54:55]
	v_add_f64 v[4:5], v[16:17], v[4:5]
	v_add_f64 v[16:17], v[36:37], v[56:57]
	v_add_f64 v[2:3], v[40:41], v[58:59]
	v_add_f64 v[14:15], v[32:33], v[28:29]
	v_add_f64 v[0:1], v[0:1], v[12:13]
	v_add_f64 v[12:13], v[26:27], v[30:31]
	s_cbranch_scc0 .LBB870_2
.LBB870_3:
	s_load_b32 s3, s[0:1], 0x40
	v_add_nc_u32_e32 v21, s10, v21
	v_add_nc_u32_e32 v10, s6, v20
	s_delay_alu instid0(VALU_DEP_2) | instskip(NEXT) | instid1(VALU_DEP_2)
	v_cmp_gt_i32_e32 vcc_lo, s2, v21
	v_cmp_le_i32_e64 s0, v10, v21
	s_delay_alu instid0(VALU_DEP_1) | instskip(SKIP_2) | instid1(VALU_DEP_1)
	s_and_b32 s0, vcc_lo, s0
	s_waitcnt lgkmcnt(0)
	v_mad_i64_i32 v[8:9], null, v21, s3, 0
	v_lshlrev_b64 v[8:9], 4, v[8:9]
	s_delay_alu instid0(VALU_DEP_1) | instskip(NEXT) | instid1(VALU_DEP_1)
	v_add_co_u32 v20, s1, s4, v8
	v_add_co_ci_u32_e64 v22, s1, s5, v9, s1
	s_and_saveexec_b32 s6, s0
	s_cbranch_execz .LBB870_5
; %bb.4:
	v_ashrrev_i32_e32 v11, 31, v10
	v_cmp_ne_u32_e64 s0, v21, v10
	v_xor_b32_e32 v7, 0x80000000, v7
	s_delay_alu instid0(VALU_DEP_3) | instskip(NEXT) | instid1(VALU_DEP_3)
	v_lshlrev_b64 v[23:24], 4, v[10:11]
	v_cndmask_b32_e64 v9, 0, -v19, s0
	v_cndmask_b32_e64 v8, 0, v18, s0
	s_delay_alu instid0(VALU_DEP_3) | instskip(NEXT) | instid1(VALU_DEP_1)
	v_add_co_u32 v23, s1, v20, v23
	v_add_co_ci_u32_e64 v24, s1, v22, v24, s1
	global_store_b128 v[23:24], v[6:9], off
.LBB870_5:
	s_or_b32 exec_lo, exec_lo, s6
	v_add_nc_u32_e32 v8, 16, v10
	s_delay_alu instid0(VALU_DEP_1) | instskip(NEXT) | instid1(VALU_DEP_1)
	v_cmp_le_i32_e64 s0, v8, v21
	s_and_b32 s0, vcc_lo, s0
	s_delay_alu instid0(SALU_CYCLE_1)
	s_and_saveexec_b32 s1, s0
	s_cbranch_execz .LBB870_7
; %bb.6:
	v_ashrrev_i32_e32 v9, 31, v8
	v_cmp_ne_u32_e32 vcc_lo, v21, v8
	v_xor_b32_e32 v5, 0x80000000, v5
	s_delay_alu instid0(VALU_DEP_3) | instskip(SKIP_2) | instid1(VALU_DEP_3)
	v_lshlrev_b64 v[18:19], 4, v[8:9]
	v_cndmask_b32_e64 v7, 0, -v17, vcc_lo
	v_cndmask_b32_e32 v6, 0, v16, vcc_lo
	v_add_co_u32 v17, s0, v20, v18
	s_delay_alu instid0(VALU_DEP_1)
	v_add_co_ci_u32_e64 v18, s0, v22, v19, s0
	global_store_b128 v[17:18], v[4:7], off
.LBB870_7:
	s_or_b32 exec_lo, exec_lo, s1
	v_add_nc_u32_e32 v9, 16, v21
	s_delay_alu instid0(VALU_DEP_1) | instskip(SKIP_2) | instid1(VALU_DEP_1)
	v_mad_i64_i32 v[4:5], null, v9, s3, 0
	v_cmp_gt_i32_e32 vcc_lo, s2, v9
	v_cmp_le_i32_e64 s0, v10, v9
	s_and_b32 s0, vcc_lo, s0
	s_delay_alu instid0(VALU_DEP_3) | instskip(NEXT) | instid1(VALU_DEP_1)
	v_lshlrev_b64 v[4:5], 4, v[4:5]
	v_add_co_u32 v6, s1, s4, v4
	s_delay_alu instid0(VALU_DEP_1)
	v_add_co_ci_u32_e64 v7, s1, s5, v5, s1
	s_and_saveexec_b32 s2, s0
	s_cbranch_execz .LBB870_9
; %bb.8:
	v_ashrrev_i32_e32 v11, 31, v10
	v_cmp_ne_u32_e64 s0, v9, v10
	v_xor_b32_e32 v3, 0x80000000, v3
	s_delay_alu instid0(VALU_DEP_3) | instskip(NEXT) | instid1(VALU_DEP_3)
	v_lshlrev_b64 v[16:17], 4, v[10:11]
	v_cndmask_b32_e64 v5, 0, -v15, s0
	v_cndmask_b32_e64 v4, 0, v14, s0
	s_delay_alu instid0(VALU_DEP_3) | instskip(NEXT) | instid1(VALU_DEP_1)
	v_add_co_u32 v15, s1, v6, v16
	v_add_co_ci_u32_e64 v16, s1, v7, v17, s1
	global_store_b128 v[15:16], v[2:5], off
.LBB870_9:
	s_or_b32 exec_lo, exec_lo, s2
	v_cmp_le_i32_e64 s0, v8, v9
	s_delay_alu instid0(VALU_DEP_1) | instskip(NEXT) | instid1(SALU_CYCLE_1)
	s_and_b32 s0, vcc_lo, s0
	s_and_saveexec_b32 s1, s0
	s_cbranch_execz .LBB870_11
; %bb.10:
	v_ashrrev_i32_e32 v9, 31, v8
	v_cmp_ne_u32_e32 vcc_lo, v21, v10
	v_xor_b32_e32 v1, 0x80000000, v1
	s_delay_alu instid0(VALU_DEP_3) | instskip(SKIP_2) | instid1(VALU_DEP_3)
	v_lshlrev_b64 v[4:5], 4, v[8:9]
	v_cndmask_b32_e64 v3, 0, -v13, vcc_lo
	v_cndmask_b32_e32 v2, 0, v12, vcc_lo
	v_add_co_u32 v4, s0, v6, v4
	s_delay_alu instid0(VALU_DEP_1)
	v_add_co_ci_u32_e64 v5, s0, v7, v5, s0
	global_store_b128 v[4:5], v[0:3], off
.LBB870_11:
	s_nop 0
	s_sendmsg sendmsg(MSG_DEALLOC_VGPRS)
	s_endpgm
	.section	.rodata,"a",@progbits
	.p2align	6, 0x0
	.amdhsa_kernel _ZL37rocblas_syrkx_herkx_restricted_kernelIi19rocblas_complex_numIdELi16ELi32ELi8ELin1ELi0ELb1ELc84ELc85EKPKS1_KPS1_EviT_PT9_S7_lS9_S7_lPT10_S7_li
		.amdhsa_group_segment_fixed_size 8192
		.amdhsa_private_segment_fixed_size 0
		.amdhsa_kernarg_size 84
		.amdhsa_user_sgpr_count 13
		.amdhsa_user_sgpr_dispatch_ptr 0
		.amdhsa_user_sgpr_queue_ptr 0
		.amdhsa_user_sgpr_kernarg_segment_ptr 1
		.amdhsa_user_sgpr_dispatch_id 0
		.amdhsa_user_sgpr_private_segment_size 0
		.amdhsa_wavefront_size32 1
		.amdhsa_uses_dynamic_stack 0
		.amdhsa_enable_private_segment 0
		.amdhsa_system_sgpr_workgroup_id_x 1
		.amdhsa_system_sgpr_workgroup_id_y 1
		.amdhsa_system_sgpr_workgroup_id_z 1
		.amdhsa_system_sgpr_workgroup_info 0
		.amdhsa_system_vgpr_workitem_id 1
		.amdhsa_next_free_vgpr 118
		.amdhsa_next_free_sgpr 17
		.amdhsa_reserve_vcc 1
		.amdhsa_float_round_mode_32 0
		.amdhsa_float_round_mode_16_64 0
		.amdhsa_float_denorm_mode_32 3
		.amdhsa_float_denorm_mode_16_64 3
		.amdhsa_dx10_clamp 1
		.amdhsa_ieee_mode 1
		.amdhsa_fp16_overflow 0
		.amdhsa_workgroup_processor_mode 1
		.amdhsa_memory_ordered 1
		.amdhsa_forward_progress 0
		.amdhsa_shared_vgpr_count 0
		.amdhsa_exception_fp_ieee_invalid_op 0
		.amdhsa_exception_fp_denorm_src 0
		.amdhsa_exception_fp_ieee_div_zero 0
		.amdhsa_exception_fp_ieee_overflow 0
		.amdhsa_exception_fp_ieee_underflow 0
		.amdhsa_exception_fp_ieee_inexact 0
		.amdhsa_exception_int_div_zero 0
	.end_amdhsa_kernel
	.section	.text._ZL37rocblas_syrkx_herkx_restricted_kernelIi19rocblas_complex_numIdELi16ELi32ELi8ELin1ELi0ELb1ELc84ELc85EKPKS1_KPS1_EviT_PT9_S7_lS9_S7_lPT10_S7_li,"axG",@progbits,_ZL37rocblas_syrkx_herkx_restricted_kernelIi19rocblas_complex_numIdELi16ELi32ELi8ELin1ELi0ELb1ELc84ELc85EKPKS1_KPS1_EviT_PT9_S7_lS9_S7_lPT10_S7_li,comdat
.Lfunc_end870:
	.size	_ZL37rocblas_syrkx_herkx_restricted_kernelIi19rocblas_complex_numIdELi16ELi32ELi8ELin1ELi0ELb1ELc84ELc85EKPKS1_KPS1_EviT_PT9_S7_lS9_S7_lPT10_S7_li, .Lfunc_end870-_ZL37rocblas_syrkx_herkx_restricted_kernelIi19rocblas_complex_numIdELi16ELi32ELi8ELin1ELi0ELb1ELc84ELc85EKPKS1_KPS1_EviT_PT9_S7_lS9_S7_lPT10_S7_li
                                        ; -- End function
	.section	.AMDGPU.csdata,"",@progbits
; Kernel info:
; codeLenInByte = 2976
; NumSgprs: 19
; NumVgprs: 118
; ScratchSize: 0
; MemoryBound: 0
; FloatMode: 240
; IeeeMode: 1
; LDSByteSize: 8192 bytes/workgroup (compile time only)
; SGPRBlocks: 2
; VGPRBlocks: 14
; NumSGPRsForWavesPerEU: 19
; NumVGPRsForWavesPerEU: 118
; Occupancy: 12
; WaveLimiterHint : 1
; COMPUTE_PGM_RSRC2:SCRATCH_EN: 0
; COMPUTE_PGM_RSRC2:USER_SGPR: 13
; COMPUTE_PGM_RSRC2:TRAP_HANDLER: 0
; COMPUTE_PGM_RSRC2:TGID_X_EN: 1
; COMPUTE_PGM_RSRC2:TGID_Y_EN: 1
; COMPUTE_PGM_RSRC2:TGID_Z_EN: 1
; COMPUTE_PGM_RSRC2:TIDIG_COMP_CNT: 1
	.section	.text._ZL37rocblas_syrkx_herkx_restricted_kernelIi19rocblas_complex_numIdELi16ELi32ELi8ELin1ELi0ELb1ELc67ELc85EKPKS1_KPS1_EviT_PT9_S7_lS9_S7_lPT10_S7_li,"axG",@progbits,_ZL37rocblas_syrkx_herkx_restricted_kernelIi19rocblas_complex_numIdELi16ELi32ELi8ELin1ELi0ELb1ELc67ELc85EKPKS1_KPS1_EviT_PT9_S7_lS9_S7_lPT10_S7_li,comdat
	.globl	_ZL37rocblas_syrkx_herkx_restricted_kernelIi19rocblas_complex_numIdELi16ELi32ELi8ELin1ELi0ELb1ELc67ELc85EKPKS1_KPS1_EviT_PT9_S7_lS9_S7_lPT10_S7_li ; -- Begin function _ZL37rocblas_syrkx_herkx_restricted_kernelIi19rocblas_complex_numIdELi16ELi32ELi8ELin1ELi0ELb1ELc67ELc85EKPKS1_KPS1_EviT_PT9_S7_lS9_S7_lPT10_S7_li
	.p2align	8
	.type	_ZL37rocblas_syrkx_herkx_restricted_kernelIi19rocblas_complex_numIdELi16ELi32ELi8ELin1ELi0ELb1ELc67ELc85EKPKS1_KPS1_EviT_PT9_S7_lS9_S7_lPT10_S7_li,@function
_ZL37rocblas_syrkx_herkx_restricted_kernelIi19rocblas_complex_numIdELi16ELi32ELi8ELin1ELi0ELb1ELc67ELc85EKPKS1_KPS1_EviT_PT9_S7_lS9_S7_lPT10_S7_li: ; @_ZL37rocblas_syrkx_herkx_restricted_kernelIi19rocblas_complex_numIdELi16ELi32ELi8ELin1ELi0ELb1ELc67ELc85EKPKS1_KPS1_EviT_PT9_S7_lS9_S7_lPT10_S7_li
; %bb.0:
	s_clause 0x1
	s_load_b64 s[4:5], s[0:1], 0x38
	s_load_b64 s[2:3], s[0:1], 0x0
	s_mov_b32 s6, s15
	s_mov_b32 s7, 0
	v_mov_b32_e32 v6, 0
	s_lshl_b64 s[8:9], s[6:7], 3
	v_dual_mov_b32 v7, 0 :: v_dual_and_b32 v20, 0x3ff, v0
	v_bfe_u32 v21, v0, 10, 10
	s_delay_alu instid0(VALU_DEP_3) | instskip(NEXT) | instid1(VALU_DEP_3)
	v_mov_b32_e32 v4, v6
	v_dual_mov_b32 v2, v6 :: v_dual_mov_b32 v3, v7
	v_dual_mov_b32 v19, v7 :: v_dual_mov_b32 v18, v6
	v_mov_b32_e32 v5, v7
	v_dual_mov_b32 v17, v7 :: v_dual_mov_b32 v16, v6
	v_dual_mov_b32 v15, v7 :: v_dual_mov_b32 v14, v6
	v_dual_mov_b32 v0, v6 :: v_dual_mov_b32 v1, v7
	s_waitcnt lgkmcnt(0)
	s_add_u32 s4, s4, s8
	s_addc_u32 s5, s5, s9
	v_dual_mov_b32 v13, v7 :: v_dual_mov_b32 v12, v6
	s_load_b64 s[4:5], s[4:5], 0x0
	s_lshl_b32 s6, s13, 5
	s_lshl_b32 s10, s14, 5
	s_cmp_lt_i32 s3, 1
	s_cbranch_scc1 .LBB871_3
; %bb.1:
	s_clause 0x3
	s_load_b64 s[12:13], s[0:1], 0x8
	s_load_b64 s[14:15], s[0:1], 0x20
	s_load_b32 s11, s[0:1], 0x10
	s_load_b32 s16, s[0:1], 0x28
	v_lshl_add_u32 v2, v21, 4, v20
	v_dual_mov_b32 v1, 0 :: v_dual_and_b32 v0, 7, v20
	v_mov_b32_e32 v12, 0
	v_dual_mov_b32 v13, 0 :: v_dual_lshlrev_b32 v22, 4, v20
	s_delay_alu instid0(VALU_DEP_4) | instskip(SKIP_3) | instid1(VALU_DEP_4)
	v_and_b32_e32 v9, 31, v2
	v_lshrrev_b32_e32 v8, 3, v2
	v_lshrrev_b32_e32 v2, 5, v2
	v_mov_b32_e32 v3, v1
	v_dual_mov_b32 v15, v13 :: v_dual_add_nc_u32 v6, s6, v9
	s_delay_alu instid0(VALU_DEP_4)
	v_add_nc_u32_e32 v10, s10, v8
	v_dual_mov_b32 v14, v12 :: v_dual_lshlrev_b32 v9, 4, v9
	v_mov_b32_e32 v17, v13
	s_waitcnt lgkmcnt(0)
	s_add_u32 s12, s12, s8
	s_addc_u32 s13, s13, s9
	s_add_u32 s8, s14, s8
	s_load_b64 s[12:13], s[12:13], 0x0
	s_addc_u32 s9, s15, s9
	v_mad_i64_i32 v[4:5], null, s11, v6, v[2:3]
	s_load_b64 s[8:9], s[8:9], 0x0
	v_lshlrev_b32_e32 v3, 4, v0
	v_mad_i64_i32 v[6:7], null, s16, v10, v[0:1]
	v_mov_b32_e32 v0, v12
	v_lshl_or_b32 v24, v2, 9, v9
	s_delay_alu instid0(VALU_DEP_4)
	v_lshl_or_b32 v8, v8, 7, v3
	v_lshlrev_b64 v[3:4], 4, v[4:5]
	v_mov_b32_e32 v19, v13
	v_lshl_add_u32 v23, v21, 7, 0x1000
	v_lshlrev_b64 v[5:6], 4, v[6:7]
	v_dual_mov_b32 v16, v12 :: v_dual_add_nc_u32 v25, 0x1000, v8
	v_dual_mov_b32 v1, v13 :: v_dual_mov_b32 v18, v12
	s_waitcnt lgkmcnt(0)
	v_add_co_u32 v2, vcc_lo, v3, s12
	v_add_co_ci_u32_e32 v3, vcc_lo, s13, v4, vcc_lo
	v_add_co_u32 v4, vcc_lo, v5, s8
	v_add_co_ci_u32_e32 v5, vcc_lo, s9, v6, vcc_lo
	s_delay_alu instid0(VALU_DEP_4) | instskip(NEXT) | instid1(VALU_DEP_4)
	v_add_co_u32 v8, vcc_lo, v2, 8
	v_add_co_ci_u32_e32 v9, vcc_lo, 0, v3, vcc_lo
	s_delay_alu instid0(VALU_DEP_4)
	v_add_co_u32 v10, vcc_lo, v4, 8
	v_mov_b32_e32 v2, v12
	v_add_co_ci_u32_e32 v11, vcc_lo, 0, v5, vcc_lo
	v_dual_mov_b32 v3, v13 :: v_dual_mov_b32 v4, v12
	v_dual_mov_b32 v5, v13 :: v_dual_mov_b32 v6, v12
	v_mov_b32_e32 v7, v13
.LBB871_2:                              ; =>This Inner Loop Header: Depth=1
	global_load_b128 v[26:29], v[8:9], off offset:-8
	global_load_b128 v[30:33], v[10:11], off offset:-8
	v_add_co_u32 v8, vcc_lo, 0x80, v8
	v_add_co_ci_u32_e32 v9, vcc_lo, 0, v9, vcc_lo
	v_add_co_u32 v10, vcc_lo, 0x80, v10
	v_add_co_ci_u32_e32 v11, vcc_lo, 0, v11, vcc_lo
	s_add_i32 s7, s7, 8
	s_delay_alu instid0(SALU_CYCLE_1)
	s_cmp_ge_i32 s7, s3
	s_waitcnt vmcnt(1)
	v_xor_b32_e32 v29, 0x80000000, v29
	ds_store_b128 v24, v[26:29]
	s_waitcnt vmcnt(0)
	ds_store_b128 v25, v[30:33]
	s_waitcnt lgkmcnt(0)
	s_barrier
	buffer_gl0_inv
	ds_load_b128 v[26:29], v23
	ds_load_b128 v[30:33], v22
	ds_load_b128 v[34:37], v22 offset:256
	ds_load_b128 v[38:41], v23 offset:2048
	;; [unrolled: 1-line block ×13, first 2 shown]
	s_waitcnt lgkmcnt(13)
	v_mul_f64 v[86:87], v[28:29], v[32:33]
	v_mul_f64 v[88:89], v[26:27], v[32:33]
	s_waitcnt lgkmcnt(12)
	v_mul_f64 v[90:91], v[28:29], v[36:37]
	v_mul_f64 v[92:93], v[26:27], v[36:37]
	;; [unrolled: 3-line block ×3, first 2 shown]
	v_mul_f64 v[96:97], v[40:41], v[36:37]
	v_mul_f64 v[36:37], v[38:39], v[36:37]
	s_waitcnt lgkmcnt(8)
	v_mul_f64 v[98:99], v[44:45], v[52:53]
	v_mul_f64 v[100:101], v[42:43], v[52:53]
	s_waitcnt lgkmcnt(7)
	v_mul_f64 v[102:103], v[44:45], v[56:57]
	v_mul_f64 v[104:105], v[42:43], v[56:57]
	;; [unrolled: 1-line block ×6, first 2 shown]
	s_waitcnt lgkmcnt(3)
	v_mul_f64 v[112:113], v[58:59], v[72:73]
	s_waitcnt lgkmcnt(2)
	v_mul_f64 v[114:115], v[76:77], v[68:69]
	v_mul_f64 v[116:117], v[76:77], v[72:73]
	v_fma_f64 v[86:87], v[26:27], v[30:31], -v[86:87]
	v_fma_f64 v[88:89], v[28:29], v[30:31], v[88:89]
	v_fma_f64 v[90:91], v[26:27], v[34:35], -v[90:91]
	v_fma_f64 v[92:93], v[28:29], v[34:35], v[92:93]
	;; [unrolled: 2-line block ×4, first 2 shown]
	v_mul_f64 v[36:37], v[60:61], v[68:69]
	v_mul_f64 v[40:41], v[58:59], v[68:69]
	;; [unrolled: 1-line block ×5, first 2 shown]
	v_fma_f64 v[98:99], v[42:43], v[50:51], -v[98:99]
	v_fma_f64 v[100:101], v[44:45], v[50:51], v[100:101]
	v_fma_f64 v[42:43], v[42:43], v[54:55], -v[102:103]
	v_fma_f64 v[44:45], v[44:45], v[54:55], v[104:105]
	;; [unrolled: 2-line block ×4, first 2 shown]
	ds_load_b128 v[26:29], v22 offset:1792
	ds_load_b128 v[30:33], v22 offset:2048
	v_add_f64 v[52:53], v[6:7], v[86:87]
	v_add_f64 v[18:19], v[18:19], v[88:89]
	;; [unrolled: 1-line block ×8, first 2 shown]
	s_waitcnt lgkmcnt(2)
	v_mul_f64 v[86:87], v[64:65], v[84:85]
	v_mul_f64 v[88:89], v[62:63], v[84:85]
	s_waitcnt lgkmcnt(1)
	v_mul_f64 v[90:91], v[64:65], v[28:29]
	v_mul_f64 v[92:93], v[62:63], v[28:29]
	;; [unrolled: 1-line block ×6, first 2 shown]
	v_fma_f64 v[106:107], v[58:59], v[66:67], -v[36:37]
	v_fma_f64 v[108:109], v[60:61], v[66:67], v[40:41]
	v_fma_f64 v[58:59], v[58:59], v[70:71], -v[96:97]
	v_fma_f64 v[60:61], v[60:61], v[70:71], v[112:113]
	;; [unrolled: 2-line block ×4, first 2 shown]
	ds_load_b128 v[0:3], v22 offset:2304
	ds_load_b128 v[4:7], v23 offset:64
	v_add_f64 v[52:53], v[52:53], v[98:99]
	v_add_f64 v[72:73], v[18:19], v[100:101]
	;; [unrolled: 1-line block ×8, first 2 shown]
	ds_load_b128 v[12:15], v23 offset:2112
	ds_load_b128 v[16:19], v23 offset:80
	;; [unrolled: 1-line block ×4, first 2 shown]
	s_waitcnt lgkmcnt(4)
	v_mul_f64 v[56:57], v[6:7], v[32:33]
	v_mul_f64 v[74:75], v[4:5], v[32:33]
	;; [unrolled: 1-line block ×4, first 2 shown]
	v_fma_f64 v[86:87], v[62:63], v[82:83], -v[86:87]
	v_fma_f64 v[88:89], v[64:65], v[82:83], v[88:89]
	v_fma_f64 v[62:63], v[62:63], v[26:27], -v[90:91]
	v_fma_f64 v[64:65], v[64:65], v[26:27], v[92:93]
	;; [unrolled: 2-line block ×4, first 2 shown]
	s_waitcnt lgkmcnt(3)
	v_mul_f64 v[100:101], v[14:15], v[32:33]
	v_mul_f64 v[32:33], v[12:13], v[32:33]
	;; [unrolled: 1-line block ×4, first 2 shown]
	s_waitcnt lgkmcnt(0)
	v_mul_f64 v[92:93], v[18:19], v[40:41]
	v_mul_f64 v[94:95], v[16:17], v[40:41]
	v_add_f64 v[84:85], v[52:53], v[106:107]
	v_add_f64 v[72:73], v[72:73], v[108:109]
	;; [unrolled: 1-line block ×8, first 2 shown]
	ds_load_b128 v[26:29], v22 offset:2816
	ds_load_b128 v[42:45], v22 offset:3072
	ds_load_b128 v[46:49], v22 offset:3328
	ds_load_b128 v[50:53], v23 offset:96
	v_mul_f64 v[106:107], v[36:37], v[40:41]
	v_mul_f64 v[40:41], v[34:35], v[40:41]
	v_fma_f64 v[56:57], v[4:5], v[30:31], -v[56:57]
	v_fma_f64 v[74:75], v[6:7], v[30:31], v[74:75]
	v_fma_f64 v[76:77], v[4:5], v[0:1], -v[76:77]
	v_fma_f64 v[98:99], v[6:7], v[0:1], v[98:99]
	s_waitcnt lgkmcnt(3)
	v_mul_f64 v[96:97], v[18:19], v[28:29]
	v_mul_f64 v[104:105], v[16:17], v[28:29]
	;; [unrolled: 1-line block ×4, first 2 shown]
	v_fma_f64 v[100:101], v[12:13], v[30:31], -v[100:101]
	v_fma_f64 v[32:33], v[14:15], v[30:31], v[32:33]
	v_fma_f64 v[102:103], v[12:13], v[0:1], -v[102:103]
	v_fma_f64 v[112:113], v[14:15], v[0:1], v[2:3]
	ds_load_b128 v[0:3], v23 offset:2144
	ds_load_b128 v[4:7], v23 offset:112
	;; [unrolled: 1-line block ×4, first 2 shown]
	v_add_f64 v[84:85], v[84:85], v[86:87]
	v_add_f64 v[72:73], v[72:73], v[88:89]
	;; [unrolled: 1-line block ×8, first 2 shown]
	s_waitcnt lgkmcnt(4)
	v_mul_f64 v[68:69], v[52:53], v[44:45]
	v_mul_f64 v[70:71], v[50:51], v[44:45]
	;; [unrolled: 1-line block ×4, first 2 shown]
	s_waitcnt lgkmcnt(3)
	v_mul_f64 v[82:83], v[2:3], v[44:45]
	v_mul_f64 v[44:45], v[0:1], v[44:45]
	;; [unrolled: 1-line block ×4, first 2 shown]
	v_fma_f64 v[88:89], v[16:17], v[38:39], -v[92:93]
	v_fma_f64 v[90:91], v[18:19], v[38:39], v[94:95]
	v_fma_f64 v[92:93], v[16:17], v[26:27], -v[96:97]
	v_fma_f64 v[94:95], v[18:19], v[26:27], v[104:105]
	;; [unrolled: 2-line block ×4, first 2 shown]
	ds_load_b128 v[16:19], v22 offset:3840
	s_waitcnt lgkmcnt(0)
	s_barrier
	buffer_gl0_inv
	v_add_f64 v[36:37], v[84:85], v[56:57]
	v_add_f64 v[40:41], v[72:73], v[74:75]
	v_add_f64 v[56:57], v[58:59], v[76:77]
	v_add_f64 v[58:59], v[60:61], v[98:99]
	v_add_f64 v[54:55], v[54:55], v[100:101]
	v_add_f64 v[32:33], v[62:63], v[32:33]
	v_add_f64 v[60:61], v[64:65], v[102:103]
	v_add_f64 v[62:63], v[66:67], v[112:113]
	v_mul_f64 v[64:65], v[6:7], v[30:31]
	v_mul_f64 v[66:67], v[4:5], v[30:31]
	;; [unrolled: 1-line block ×4, first 2 shown]
	v_fma_f64 v[68:69], v[50:51], v[42:43], -v[68:69]
	v_mul_f64 v[72:73], v[6:7], v[18:19]
	v_mul_f64 v[74:75], v[4:5], v[18:19]
	;; [unrolled: 1-line block ×4, first 2 shown]
	v_fma_f64 v[70:71], v[52:53], v[42:43], v[70:71]
	v_fma_f64 v[50:51], v[50:51], v[46:47], -v[78:79]
	v_fma_f64 v[52:53], v[52:53], v[46:47], v[80:81]
	v_fma_f64 v[78:79], v[0:1], v[42:43], -v[82:83]
	;; [unrolled: 2-line block ×3, first 2 shown]
	v_fma_f64 v[2:3], v[2:3], v[46:47], v[48:49]
	v_add_f64 v[36:37], v[36:37], v[88:89]
	v_add_f64 v[40:41], v[40:41], v[90:91]
	;; [unrolled: 1-line block ×8, first 2 shown]
	v_fma_f64 v[38:39], v[4:5], v[28:29], -v[64:65]
	v_fma_f64 v[54:55], v[6:7], v[28:29], v[66:67]
	v_fma_f64 v[58:59], v[12:13], v[28:29], -v[76:77]
	v_fma_f64 v[28:29], v[14:15], v[28:29], v[30:31]
	;; [unrolled: 2-line block ×4, first 2 shown]
	v_add_f64 v[6:7], v[36:37], v[68:69]
	v_add_f64 v[14:15], v[40:41], v[70:71]
	;; [unrolled: 1-line block ×16, first 2 shown]
	s_cbranch_scc0 .LBB871_2
.LBB871_3:
	s_load_b32 s3, s[0:1], 0x40
	v_add_nc_u32_e32 v21, s10, v21
	v_add_nc_u32_e32 v10, s6, v20
	s_delay_alu instid0(VALU_DEP_2) | instskip(NEXT) | instid1(VALU_DEP_2)
	v_cmp_gt_i32_e32 vcc_lo, s2, v21
	v_cmp_le_i32_e64 s0, v10, v21
	s_delay_alu instid0(VALU_DEP_1) | instskip(SKIP_2) | instid1(VALU_DEP_1)
	s_and_b32 s0, vcc_lo, s0
	s_waitcnt lgkmcnt(0)
	v_mad_i64_i32 v[8:9], null, v21, s3, 0
	v_lshlrev_b64 v[8:9], 4, v[8:9]
	s_delay_alu instid0(VALU_DEP_1) | instskip(NEXT) | instid1(VALU_DEP_1)
	v_add_co_u32 v20, s1, s4, v8
	v_add_co_ci_u32_e64 v22, s1, s5, v9, s1
	s_and_saveexec_b32 s6, s0
	s_cbranch_execz .LBB871_5
; %bb.4:
	v_ashrrev_i32_e32 v11, 31, v10
	v_cmp_ne_u32_e64 s0, v21, v10
	v_xor_b32_e32 v7, 0x80000000, v7
	s_delay_alu instid0(VALU_DEP_3) | instskip(NEXT) | instid1(VALU_DEP_3)
	v_lshlrev_b64 v[23:24], 4, v[10:11]
	v_cndmask_b32_e64 v9, 0, -v19, s0
	v_cndmask_b32_e64 v8, 0, v18, s0
	s_delay_alu instid0(VALU_DEP_3) | instskip(NEXT) | instid1(VALU_DEP_1)
	v_add_co_u32 v23, s1, v20, v23
	v_add_co_ci_u32_e64 v24, s1, v22, v24, s1
	global_store_b128 v[23:24], v[6:9], off
.LBB871_5:
	s_or_b32 exec_lo, exec_lo, s6
	v_add_nc_u32_e32 v8, 16, v10
	s_delay_alu instid0(VALU_DEP_1) | instskip(NEXT) | instid1(VALU_DEP_1)
	v_cmp_le_i32_e64 s0, v8, v21
	s_and_b32 s0, vcc_lo, s0
	s_delay_alu instid0(SALU_CYCLE_1)
	s_and_saveexec_b32 s1, s0
	s_cbranch_execz .LBB871_7
; %bb.6:
	v_ashrrev_i32_e32 v9, 31, v8
	v_cmp_ne_u32_e32 vcc_lo, v21, v8
	v_xor_b32_e32 v5, 0x80000000, v5
	s_delay_alu instid0(VALU_DEP_3) | instskip(SKIP_2) | instid1(VALU_DEP_3)
	v_lshlrev_b64 v[18:19], 4, v[8:9]
	v_cndmask_b32_e64 v7, 0, -v17, vcc_lo
	v_cndmask_b32_e32 v6, 0, v16, vcc_lo
	v_add_co_u32 v17, s0, v20, v18
	s_delay_alu instid0(VALU_DEP_1)
	v_add_co_ci_u32_e64 v18, s0, v22, v19, s0
	global_store_b128 v[17:18], v[4:7], off
.LBB871_7:
	s_or_b32 exec_lo, exec_lo, s1
	v_add_nc_u32_e32 v9, 16, v21
	s_delay_alu instid0(VALU_DEP_1) | instskip(SKIP_2) | instid1(VALU_DEP_1)
	v_mad_i64_i32 v[4:5], null, v9, s3, 0
	v_cmp_gt_i32_e32 vcc_lo, s2, v9
	v_cmp_le_i32_e64 s0, v10, v9
	s_and_b32 s0, vcc_lo, s0
	s_delay_alu instid0(VALU_DEP_3) | instskip(NEXT) | instid1(VALU_DEP_1)
	v_lshlrev_b64 v[4:5], 4, v[4:5]
	v_add_co_u32 v6, s1, s4, v4
	s_delay_alu instid0(VALU_DEP_1)
	v_add_co_ci_u32_e64 v7, s1, s5, v5, s1
	s_and_saveexec_b32 s2, s0
	s_cbranch_execz .LBB871_9
; %bb.8:
	v_ashrrev_i32_e32 v11, 31, v10
	v_cmp_ne_u32_e64 s0, v9, v10
	v_xor_b32_e32 v3, 0x80000000, v3
	s_delay_alu instid0(VALU_DEP_3) | instskip(NEXT) | instid1(VALU_DEP_3)
	v_lshlrev_b64 v[16:17], 4, v[10:11]
	v_cndmask_b32_e64 v5, 0, -v15, s0
	v_cndmask_b32_e64 v4, 0, v14, s0
	s_delay_alu instid0(VALU_DEP_3) | instskip(NEXT) | instid1(VALU_DEP_1)
	v_add_co_u32 v15, s1, v6, v16
	v_add_co_ci_u32_e64 v16, s1, v7, v17, s1
	global_store_b128 v[15:16], v[2:5], off
.LBB871_9:
	s_or_b32 exec_lo, exec_lo, s2
	v_cmp_le_i32_e64 s0, v8, v9
	s_delay_alu instid0(VALU_DEP_1) | instskip(NEXT) | instid1(SALU_CYCLE_1)
	s_and_b32 s0, vcc_lo, s0
	s_and_saveexec_b32 s1, s0
	s_cbranch_execz .LBB871_11
; %bb.10:
	v_ashrrev_i32_e32 v9, 31, v8
	v_cmp_ne_u32_e32 vcc_lo, v21, v10
	v_xor_b32_e32 v1, 0x80000000, v1
	s_delay_alu instid0(VALU_DEP_3) | instskip(SKIP_2) | instid1(VALU_DEP_3)
	v_lshlrev_b64 v[4:5], 4, v[8:9]
	v_cndmask_b32_e64 v3, 0, -v13, vcc_lo
	v_cndmask_b32_e32 v2, 0, v12, vcc_lo
	v_add_co_u32 v4, s0, v6, v4
	s_delay_alu instid0(VALU_DEP_1)
	v_add_co_ci_u32_e64 v5, s0, v7, v5, s0
	global_store_b128 v[4:5], v[0:3], off
.LBB871_11:
	s_nop 0
	s_sendmsg sendmsg(MSG_DEALLOC_VGPRS)
	s_endpgm
	.section	.rodata,"a",@progbits
	.p2align	6, 0x0
	.amdhsa_kernel _ZL37rocblas_syrkx_herkx_restricted_kernelIi19rocblas_complex_numIdELi16ELi32ELi8ELin1ELi0ELb1ELc67ELc85EKPKS1_KPS1_EviT_PT9_S7_lS9_S7_lPT10_S7_li
		.amdhsa_group_segment_fixed_size 8192
		.amdhsa_private_segment_fixed_size 0
		.amdhsa_kernarg_size 84
		.amdhsa_user_sgpr_count 13
		.amdhsa_user_sgpr_dispatch_ptr 0
		.amdhsa_user_sgpr_queue_ptr 0
		.amdhsa_user_sgpr_kernarg_segment_ptr 1
		.amdhsa_user_sgpr_dispatch_id 0
		.amdhsa_user_sgpr_private_segment_size 0
		.amdhsa_wavefront_size32 1
		.amdhsa_uses_dynamic_stack 0
		.amdhsa_enable_private_segment 0
		.amdhsa_system_sgpr_workgroup_id_x 1
		.amdhsa_system_sgpr_workgroup_id_y 1
		.amdhsa_system_sgpr_workgroup_id_z 1
		.amdhsa_system_sgpr_workgroup_info 0
		.amdhsa_system_vgpr_workitem_id 1
		.amdhsa_next_free_vgpr 118
		.amdhsa_next_free_sgpr 17
		.amdhsa_reserve_vcc 1
		.amdhsa_float_round_mode_32 0
		.amdhsa_float_round_mode_16_64 0
		.amdhsa_float_denorm_mode_32 3
		.amdhsa_float_denorm_mode_16_64 3
		.amdhsa_dx10_clamp 1
		.amdhsa_ieee_mode 1
		.amdhsa_fp16_overflow 0
		.amdhsa_workgroup_processor_mode 1
		.amdhsa_memory_ordered 1
		.amdhsa_forward_progress 0
		.amdhsa_shared_vgpr_count 0
		.amdhsa_exception_fp_ieee_invalid_op 0
		.amdhsa_exception_fp_denorm_src 0
		.amdhsa_exception_fp_ieee_div_zero 0
		.amdhsa_exception_fp_ieee_overflow 0
		.amdhsa_exception_fp_ieee_underflow 0
		.amdhsa_exception_fp_ieee_inexact 0
		.amdhsa_exception_int_div_zero 0
	.end_amdhsa_kernel
	.section	.text._ZL37rocblas_syrkx_herkx_restricted_kernelIi19rocblas_complex_numIdELi16ELi32ELi8ELin1ELi0ELb1ELc67ELc85EKPKS1_KPS1_EviT_PT9_S7_lS9_S7_lPT10_S7_li,"axG",@progbits,_ZL37rocblas_syrkx_herkx_restricted_kernelIi19rocblas_complex_numIdELi16ELi32ELi8ELin1ELi0ELb1ELc67ELc85EKPKS1_KPS1_EviT_PT9_S7_lS9_S7_lPT10_S7_li,comdat
.Lfunc_end871:
	.size	_ZL37rocblas_syrkx_herkx_restricted_kernelIi19rocblas_complex_numIdELi16ELi32ELi8ELin1ELi0ELb1ELc67ELc85EKPKS1_KPS1_EviT_PT9_S7_lS9_S7_lPT10_S7_li, .Lfunc_end871-_ZL37rocblas_syrkx_herkx_restricted_kernelIi19rocblas_complex_numIdELi16ELi32ELi8ELin1ELi0ELb1ELc67ELc85EKPKS1_KPS1_EviT_PT9_S7_lS9_S7_lPT10_S7_li
                                        ; -- End function
	.section	.AMDGPU.csdata,"",@progbits
; Kernel info:
; codeLenInByte = 2988
; NumSgprs: 19
; NumVgprs: 118
; ScratchSize: 0
; MemoryBound: 0
; FloatMode: 240
; IeeeMode: 1
; LDSByteSize: 8192 bytes/workgroup (compile time only)
; SGPRBlocks: 2
; VGPRBlocks: 14
; NumSGPRsForWavesPerEU: 19
; NumVGPRsForWavesPerEU: 118
; Occupancy: 12
; WaveLimiterHint : 1
; COMPUTE_PGM_RSRC2:SCRATCH_EN: 0
; COMPUTE_PGM_RSRC2:USER_SGPR: 13
; COMPUTE_PGM_RSRC2:TRAP_HANDLER: 0
; COMPUTE_PGM_RSRC2:TGID_X_EN: 1
; COMPUTE_PGM_RSRC2:TGID_Y_EN: 1
; COMPUTE_PGM_RSRC2:TGID_Z_EN: 1
; COMPUTE_PGM_RSRC2:TIDIG_COMP_CNT: 1
	.section	.text._ZL37rocblas_syrkx_herkx_restricted_kernelIi19rocblas_complex_numIdELi16ELi32ELi8ELin1ELi0ELb1ELc78ELc85EKPKS1_KPS1_EviT_PT9_S7_lS9_S7_lPT10_S7_li,"axG",@progbits,_ZL37rocblas_syrkx_herkx_restricted_kernelIi19rocblas_complex_numIdELi16ELi32ELi8ELin1ELi0ELb1ELc78ELc85EKPKS1_KPS1_EviT_PT9_S7_lS9_S7_lPT10_S7_li,comdat
	.globl	_ZL37rocblas_syrkx_herkx_restricted_kernelIi19rocblas_complex_numIdELi16ELi32ELi8ELin1ELi0ELb1ELc78ELc85EKPKS1_KPS1_EviT_PT9_S7_lS9_S7_lPT10_S7_li ; -- Begin function _ZL37rocblas_syrkx_herkx_restricted_kernelIi19rocblas_complex_numIdELi16ELi32ELi8ELin1ELi0ELb1ELc78ELc85EKPKS1_KPS1_EviT_PT9_S7_lS9_S7_lPT10_S7_li
	.p2align	8
	.type	_ZL37rocblas_syrkx_herkx_restricted_kernelIi19rocblas_complex_numIdELi16ELi32ELi8ELin1ELi0ELb1ELc78ELc85EKPKS1_KPS1_EviT_PT9_S7_lS9_S7_lPT10_S7_li,@function
_ZL37rocblas_syrkx_herkx_restricted_kernelIi19rocblas_complex_numIdELi16ELi32ELi8ELin1ELi0ELb1ELc78ELc85EKPKS1_KPS1_EviT_PT9_S7_lS9_S7_lPT10_S7_li: ; @_ZL37rocblas_syrkx_herkx_restricted_kernelIi19rocblas_complex_numIdELi16ELi32ELi8ELin1ELi0ELb1ELc78ELc85EKPKS1_KPS1_EviT_PT9_S7_lS9_S7_lPT10_S7_li
; %bb.0:
	s_clause 0x1
	s_load_b64 s[4:5], s[0:1], 0x38
	s_load_b64 s[2:3], s[0:1], 0x0
	s_mov_b32 s6, s15
	s_mov_b32 s7, 0
	v_mov_b32_e32 v6, 0
	s_lshl_b64 s[8:9], s[6:7], 3
	v_dual_mov_b32 v7, 0 :: v_dual_and_b32 v20, 0x3ff, v0
	v_bfe_u32 v21, v0, 10, 10
	s_delay_alu instid0(VALU_DEP_3) | instskip(NEXT) | instid1(VALU_DEP_3)
	v_mov_b32_e32 v4, v6
	v_dual_mov_b32 v2, v6 :: v_dual_mov_b32 v3, v7
	v_dual_mov_b32 v19, v7 :: v_dual_mov_b32 v18, v6
	v_mov_b32_e32 v5, v7
	v_dual_mov_b32 v17, v7 :: v_dual_mov_b32 v16, v6
	v_dual_mov_b32 v15, v7 :: v_dual_mov_b32 v14, v6
	;; [unrolled: 1-line block ×3, first 2 shown]
	s_waitcnt lgkmcnt(0)
	s_add_u32 s4, s4, s8
	s_addc_u32 s5, s5, s9
	v_dual_mov_b32 v13, v7 :: v_dual_mov_b32 v12, v6
	s_load_b64 s[4:5], s[4:5], 0x0
	s_lshl_b32 s6, s13, 5
	s_lshl_b32 s12, s14, 5
	s_cmp_lt_i32 s3, 1
	s_cbranch_scc1 .LBB872_3
; %bb.1:
	s_clause 0x3
	s_load_b32 s10, s[0:1], 0x10
	s_load_b32 s14, s[0:1], 0x28
	s_load_b64 s[16:17], s[0:1], 0x8
	s_load_b64 s[18:19], s[0:1], 0x20
	v_lshl_add_u32 v0, v21, 4, v20
	v_and_b32_e32 v8, 7, v20
	v_lshl_add_u32 v23, v21, 7, 0x1000
	v_mov_b32_e32 v12, 0
	v_mov_b32_e32 v13, 0
	v_and_b32_e32 v7, 31, v0
	v_lshrrev_b32_e32 v6, 3, v0
	v_lshrrev_b32_e32 v9, 5, v0
	s_delay_alu instid0(VALU_DEP_4) | instskip(NEXT) | instid1(VALU_DEP_4)
	v_dual_mov_b32 v17, v13 :: v_dual_lshlrev_b32 v10, 4, v8
	v_add_nc_u32_e32 v2, s6, v7
	s_delay_alu instid0(VALU_DEP_4) | instskip(SKIP_1) | instid1(VALU_DEP_4)
	v_dual_mov_b32 v15, v13 :: v_dual_add_nc_u32 v0, s12, v6
	v_lshlrev_b32_e32 v7, 4, v7
	v_lshl_or_b32 v6, v6, 7, v10
	s_delay_alu instid0(VALU_DEP_4)
	v_ashrrev_i32_e32 v3, 31, v2
	s_waitcnt lgkmcnt(0)
	s_ashr_i32 s11, s10, 31
	s_ashr_i32 s15, s14, 31
	s_add_u32 s16, s16, s8
	s_addc_u32 s17, s17, s9
	s_add_u32 s8, s18, s8
	s_load_b64 s[16:17], s[16:17], 0x0
	s_addc_u32 s9, s19, s9
	v_ashrrev_i32_e32 v1, 31, v0
	s_load_b64 s[8:9], s[8:9], 0x0
	v_mad_i64_i32 v[4:5], null, s10, v9, v[2:3]
	v_dual_mov_b32 v14, v12 :: v_dual_add_nc_u32 v25, 0x1000, v6
	s_delay_alu instid0(VALU_DEP_3)
	v_mad_i64_i32 v[2:3], null, s14, v8, v[0:1]
	v_mov_b32_e32 v0, v12
	v_lshl_or_b32 v24, v9, 9, v7
	v_lshlrev_b64 v[4:5], 4, v[4:5]
	v_dual_mov_b32 v16, v12 :: v_dual_mov_b32 v19, v13
	v_mov_b32_e32 v6, v12
	v_lshlrev_b64 v[2:3], 4, v[2:3]
	v_dual_mov_b32 v1, v13 :: v_dual_lshlrev_b32 v22, 4, v20
	v_mov_b32_e32 v18, v12
	s_waitcnt lgkmcnt(0)
	v_add_co_u32 v4, vcc_lo, v4, s16
	v_add_co_ci_u32_e32 v5, vcc_lo, s17, v5, vcc_lo
	v_add_co_u32 v2, vcc_lo, v2, s8
	v_add_co_ci_u32_e32 v3, vcc_lo, s9, v3, vcc_lo
	s_delay_alu instid0(VALU_DEP_4) | instskip(NEXT) | instid1(VALU_DEP_4)
	v_add_co_u32 v8, vcc_lo, v4, 8
	v_add_co_ci_u32_e32 v9, vcc_lo, 0, v5, vcc_lo
	s_delay_alu instid0(VALU_DEP_4) | instskip(NEXT) | instid1(VALU_DEP_4)
	v_add_co_u32 v10, vcc_lo, v2, 8
	v_add_co_ci_u32_e32 v11, vcc_lo, 0, v3, vcc_lo
	v_mov_b32_e32 v2, v12
	v_dual_mov_b32 v4, v12 :: v_dual_mov_b32 v7, v13
	v_mov_b32_e32 v3, v13
	v_mov_b32_e32 v5, v13
	s_lshl_b64 s[8:9], s[10:11], 7
	s_lshl_b64 s[10:11], s[14:15], 7
.LBB872_2:                              ; =>This Inner Loop Header: Depth=1
	global_load_b128 v[26:29], v[10:11], off offset:-8
	global_load_b128 v[30:33], v[8:9], off offset:-8
	v_add_co_u32 v8, vcc_lo, v8, s8
	v_add_co_ci_u32_e32 v9, vcc_lo, s9, v9, vcc_lo
	v_add_co_u32 v10, vcc_lo, v10, s10
	v_add_co_ci_u32_e32 v11, vcc_lo, s11, v11, vcc_lo
	s_add_i32 s7, s7, 8
	s_delay_alu instid0(SALU_CYCLE_1)
	s_cmp_ge_i32 s7, s3
	s_waitcnt vmcnt(1)
	v_xor_b32_e32 v29, 0x80000000, v29
	s_waitcnt vmcnt(0)
	ds_store_b128 v24, v[30:33]
	ds_store_b128 v25, v[26:29]
	s_waitcnt lgkmcnt(0)
	s_barrier
	buffer_gl0_inv
	ds_load_b128 v[26:29], v23
	ds_load_b128 v[30:33], v22
	ds_load_b128 v[34:37], v22 offset:256
	ds_load_b128 v[38:41], v23 offset:2048
	;; [unrolled: 1-line block ×13, first 2 shown]
	s_waitcnt lgkmcnt(13)
	v_mul_f64 v[86:87], v[28:29], v[32:33]
	v_mul_f64 v[88:89], v[26:27], v[32:33]
	s_waitcnt lgkmcnt(12)
	v_mul_f64 v[90:91], v[28:29], v[36:37]
	v_mul_f64 v[92:93], v[26:27], v[36:37]
	;; [unrolled: 3-line block ×3, first 2 shown]
	v_mul_f64 v[96:97], v[40:41], v[36:37]
	v_mul_f64 v[36:37], v[38:39], v[36:37]
	s_waitcnt lgkmcnt(8)
	v_mul_f64 v[98:99], v[44:45], v[52:53]
	v_mul_f64 v[100:101], v[42:43], v[52:53]
	s_waitcnt lgkmcnt(7)
	v_mul_f64 v[102:103], v[44:45], v[56:57]
	v_mul_f64 v[104:105], v[42:43], v[56:57]
	;; [unrolled: 1-line block ×6, first 2 shown]
	s_waitcnt lgkmcnt(3)
	v_mul_f64 v[112:113], v[58:59], v[72:73]
	s_waitcnt lgkmcnt(2)
	v_mul_f64 v[114:115], v[76:77], v[68:69]
	v_mul_f64 v[116:117], v[76:77], v[72:73]
	v_fma_f64 v[86:87], v[26:27], v[30:31], -v[86:87]
	v_fma_f64 v[88:89], v[28:29], v[30:31], v[88:89]
	v_fma_f64 v[90:91], v[26:27], v[34:35], -v[90:91]
	v_fma_f64 v[92:93], v[28:29], v[34:35], v[92:93]
	;; [unrolled: 2-line block ×4, first 2 shown]
	v_mul_f64 v[36:37], v[60:61], v[68:69]
	v_mul_f64 v[40:41], v[58:59], v[68:69]
	;; [unrolled: 1-line block ×5, first 2 shown]
	v_fma_f64 v[98:99], v[42:43], v[50:51], -v[98:99]
	v_fma_f64 v[100:101], v[44:45], v[50:51], v[100:101]
	v_fma_f64 v[42:43], v[42:43], v[54:55], -v[102:103]
	v_fma_f64 v[44:45], v[44:45], v[54:55], v[104:105]
	;; [unrolled: 2-line block ×4, first 2 shown]
	ds_load_b128 v[26:29], v22 offset:1792
	ds_load_b128 v[30:33], v22 offset:2048
	v_add_f64 v[52:53], v[6:7], v[86:87]
	v_add_f64 v[18:19], v[18:19], v[88:89]
	v_add_f64 v[54:55], v[4:5], v[90:91]
	v_add_f64 v[16:17], v[16:17], v[92:93]
	v_add_f64 v[56:57], v[2:3], v[94:95]
	v_add_f64 v[14:15], v[14:15], v[110:111]
	v_add_f64 v[38:39], v[0:1], v[38:39]
	v_add_f64 v[12:13], v[12:13], v[34:35]
	s_waitcnt lgkmcnt(2)
	v_mul_f64 v[86:87], v[64:65], v[84:85]
	v_mul_f64 v[88:89], v[62:63], v[84:85]
	s_waitcnt lgkmcnt(1)
	v_mul_f64 v[90:91], v[64:65], v[28:29]
	v_mul_f64 v[92:93], v[62:63], v[28:29]
	;; [unrolled: 1-line block ×6, first 2 shown]
	v_fma_f64 v[106:107], v[58:59], v[66:67], -v[36:37]
	v_fma_f64 v[108:109], v[60:61], v[66:67], v[40:41]
	v_fma_f64 v[58:59], v[58:59], v[70:71], -v[96:97]
	v_fma_f64 v[60:61], v[60:61], v[70:71], v[112:113]
	;; [unrolled: 2-line block ×4, first 2 shown]
	ds_load_b128 v[0:3], v22 offset:2304
	ds_load_b128 v[4:7], v23 offset:64
	v_add_f64 v[52:53], v[52:53], v[98:99]
	v_add_f64 v[72:73], v[18:19], v[100:101]
	;; [unrolled: 1-line block ×8, first 2 shown]
	ds_load_b128 v[12:15], v23 offset:2112
	ds_load_b128 v[16:19], v23 offset:80
	;; [unrolled: 1-line block ×4, first 2 shown]
	s_waitcnt lgkmcnt(4)
	v_mul_f64 v[56:57], v[6:7], v[32:33]
	v_mul_f64 v[74:75], v[4:5], v[32:33]
	;; [unrolled: 1-line block ×4, first 2 shown]
	v_fma_f64 v[86:87], v[62:63], v[82:83], -v[86:87]
	v_fma_f64 v[88:89], v[64:65], v[82:83], v[88:89]
	v_fma_f64 v[62:63], v[62:63], v[26:27], -v[90:91]
	v_fma_f64 v[64:65], v[64:65], v[26:27], v[92:93]
	;; [unrolled: 2-line block ×4, first 2 shown]
	s_waitcnt lgkmcnt(3)
	v_mul_f64 v[100:101], v[14:15], v[32:33]
	v_mul_f64 v[32:33], v[12:13], v[32:33]
	;; [unrolled: 1-line block ×4, first 2 shown]
	s_waitcnt lgkmcnt(0)
	v_mul_f64 v[92:93], v[18:19], v[40:41]
	v_mul_f64 v[94:95], v[16:17], v[40:41]
	v_add_f64 v[84:85], v[52:53], v[106:107]
	v_add_f64 v[72:73], v[72:73], v[108:109]
	;; [unrolled: 1-line block ×8, first 2 shown]
	ds_load_b128 v[26:29], v22 offset:2816
	ds_load_b128 v[42:45], v22 offset:3072
	;; [unrolled: 1-line block ×4, first 2 shown]
	v_mul_f64 v[106:107], v[36:37], v[40:41]
	v_mul_f64 v[40:41], v[34:35], v[40:41]
	v_fma_f64 v[56:57], v[4:5], v[30:31], -v[56:57]
	v_fma_f64 v[74:75], v[6:7], v[30:31], v[74:75]
	v_fma_f64 v[76:77], v[4:5], v[0:1], -v[76:77]
	v_fma_f64 v[98:99], v[6:7], v[0:1], v[98:99]
	s_waitcnt lgkmcnt(3)
	v_mul_f64 v[96:97], v[18:19], v[28:29]
	v_mul_f64 v[104:105], v[16:17], v[28:29]
	;; [unrolled: 1-line block ×4, first 2 shown]
	v_fma_f64 v[100:101], v[12:13], v[30:31], -v[100:101]
	v_fma_f64 v[32:33], v[14:15], v[30:31], v[32:33]
	v_fma_f64 v[102:103], v[12:13], v[0:1], -v[102:103]
	v_fma_f64 v[112:113], v[14:15], v[0:1], v[2:3]
	ds_load_b128 v[0:3], v23 offset:2144
	ds_load_b128 v[4:7], v23 offset:112
	;; [unrolled: 1-line block ×4, first 2 shown]
	v_add_f64 v[84:85], v[84:85], v[86:87]
	v_add_f64 v[72:73], v[72:73], v[88:89]
	;; [unrolled: 1-line block ×8, first 2 shown]
	s_waitcnt lgkmcnt(4)
	v_mul_f64 v[68:69], v[52:53], v[44:45]
	v_mul_f64 v[70:71], v[50:51], v[44:45]
	;; [unrolled: 1-line block ×4, first 2 shown]
	s_waitcnt lgkmcnt(3)
	v_mul_f64 v[82:83], v[2:3], v[44:45]
	v_mul_f64 v[44:45], v[0:1], v[44:45]
	;; [unrolled: 1-line block ×4, first 2 shown]
	v_fma_f64 v[88:89], v[16:17], v[38:39], -v[92:93]
	v_fma_f64 v[90:91], v[18:19], v[38:39], v[94:95]
	v_fma_f64 v[92:93], v[16:17], v[26:27], -v[96:97]
	v_fma_f64 v[94:95], v[18:19], v[26:27], v[104:105]
	;; [unrolled: 2-line block ×4, first 2 shown]
	ds_load_b128 v[16:19], v22 offset:3840
	s_waitcnt lgkmcnt(0)
	s_barrier
	buffer_gl0_inv
	v_add_f64 v[36:37], v[84:85], v[56:57]
	v_add_f64 v[40:41], v[72:73], v[74:75]
	v_add_f64 v[56:57], v[58:59], v[76:77]
	v_add_f64 v[58:59], v[60:61], v[98:99]
	v_add_f64 v[54:55], v[54:55], v[100:101]
	v_add_f64 v[32:33], v[62:63], v[32:33]
	v_add_f64 v[60:61], v[64:65], v[102:103]
	v_add_f64 v[62:63], v[66:67], v[112:113]
	v_mul_f64 v[64:65], v[6:7], v[30:31]
	v_mul_f64 v[66:67], v[4:5], v[30:31]
	;; [unrolled: 1-line block ×4, first 2 shown]
	v_fma_f64 v[68:69], v[50:51], v[42:43], -v[68:69]
	v_mul_f64 v[72:73], v[6:7], v[18:19]
	v_mul_f64 v[74:75], v[4:5], v[18:19]
	;; [unrolled: 1-line block ×4, first 2 shown]
	v_fma_f64 v[70:71], v[52:53], v[42:43], v[70:71]
	v_fma_f64 v[50:51], v[50:51], v[46:47], -v[78:79]
	v_fma_f64 v[52:53], v[52:53], v[46:47], v[80:81]
	v_fma_f64 v[78:79], v[0:1], v[42:43], -v[82:83]
	;; [unrolled: 2-line block ×3, first 2 shown]
	v_fma_f64 v[2:3], v[2:3], v[46:47], v[48:49]
	v_add_f64 v[36:37], v[36:37], v[88:89]
	v_add_f64 v[40:41], v[40:41], v[90:91]
	;; [unrolled: 1-line block ×8, first 2 shown]
	v_fma_f64 v[38:39], v[4:5], v[28:29], -v[64:65]
	v_fma_f64 v[54:55], v[6:7], v[28:29], v[66:67]
	v_fma_f64 v[58:59], v[12:13], v[28:29], -v[76:77]
	v_fma_f64 v[28:29], v[14:15], v[28:29], v[30:31]
	;; [unrolled: 2-line block ×4, first 2 shown]
	v_add_f64 v[6:7], v[36:37], v[68:69]
	v_add_f64 v[14:15], v[40:41], v[70:71]
	;; [unrolled: 1-line block ×16, first 2 shown]
	s_cbranch_scc0 .LBB872_2
.LBB872_3:
	s_load_b32 s3, s[0:1], 0x40
	v_add_nc_u32_e32 v21, s12, v21
	v_add_nc_u32_e32 v10, s6, v20
	s_delay_alu instid0(VALU_DEP_2) | instskip(NEXT) | instid1(VALU_DEP_2)
	v_cmp_gt_i32_e32 vcc_lo, s2, v21
	v_cmp_le_i32_e64 s0, v10, v21
	s_delay_alu instid0(VALU_DEP_1) | instskip(SKIP_2) | instid1(VALU_DEP_1)
	s_and_b32 s0, vcc_lo, s0
	s_waitcnt lgkmcnt(0)
	v_mad_i64_i32 v[8:9], null, v21, s3, 0
	v_lshlrev_b64 v[8:9], 4, v[8:9]
	s_delay_alu instid0(VALU_DEP_1) | instskip(NEXT) | instid1(VALU_DEP_1)
	v_add_co_u32 v20, s1, s4, v8
	v_add_co_ci_u32_e64 v22, s1, s5, v9, s1
	s_and_saveexec_b32 s6, s0
	s_cbranch_execz .LBB872_5
; %bb.4:
	v_ashrrev_i32_e32 v11, 31, v10
	v_cmp_ne_u32_e64 s0, v21, v10
	v_xor_b32_e32 v7, 0x80000000, v7
	s_delay_alu instid0(VALU_DEP_3) | instskip(NEXT) | instid1(VALU_DEP_3)
	v_lshlrev_b64 v[23:24], 4, v[10:11]
	v_cndmask_b32_e64 v9, 0, -v19, s0
	v_cndmask_b32_e64 v8, 0, v18, s0
	s_delay_alu instid0(VALU_DEP_3) | instskip(NEXT) | instid1(VALU_DEP_1)
	v_add_co_u32 v23, s1, v20, v23
	v_add_co_ci_u32_e64 v24, s1, v22, v24, s1
	global_store_b128 v[23:24], v[6:9], off
.LBB872_5:
	s_or_b32 exec_lo, exec_lo, s6
	v_add_nc_u32_e32 v8, 16, v10
	s_delay_alu instid0(VALU_DEP_1) | instskip(NEXT) | instid1(VALU_DEP_1)
	v_cmp_le_i32_e64 s0, v8, v21
	s_and_b32 s0, vcc_lo, s0
	s_delay_alu instid0(SALU_CYCLE_1)
	s_and_saveexec_b32 s1, s0
	s_cbranch_execz .LBB872_7
; %bb.6:
	v_ashrrev_i32_e32 v9, 31, v8
	v_cmp_ne_u32_e32 vcc_lo, v21, v8
	v_xor_b32_e32 v5, 0x80000000, v5
	s_delay_alu instid0(VALU_DEP_3) | instskip(SKIP_2) | instid1(VALU_DEP_3)
	v_lshlrev_b64 v[18:19], 4, v[8:9]
	v_cndmask_b32_e64 v7, 0, -v17, vcc_lo
	v_cndmask_b32_e32 v6, 0, v16, vcc_lo
	v_add_co_u32 v17, s0, v20, v18
	s_delay_alu instid0(VALU_DEP_1)
	v_add_co_ci_u32_e64 v18, s0, v22, v19, s0
	global_store_b128 v[17:18], v[4:7], off
.LBB872_7:
	s_or_b32 exec_lo, exec_lo, s1
	v_add_nc_u32_e32 v9, 16, v21
	s_delay_alu instid0(VALU_DEP_1) | instskip(SKIP_2) | instid1(VALU_DEP_1)
	v_mad_i64_i32 v[4:5], null, v9, s3, 0
	v_cmp_gt_i32_e32 vcc_lo, s2, v9
	v_cmp_le_i32_e64 s0, v10, v9
	s_and_b32 s0, vcc_lo, s0
	s_delay_alu instid0(VALU_DEP_3) | instskip(NEXT) | instid1(VALU_DEP_1)
	v_lshlrev_b64 v[4:5], 4, v[4:5]
	v_add_co_u32 v6, s1, s4, v4
	s_delay_alu instid0(VALU_DEP_1)
	v_add_co_ci_u32_e64 v7, s1, s5, v5, s1
	s_and_saveexec_b32 s2, s0
	s_cbranch_execz .LBB872_9
; %bb.8:
	v_ashrrev_i32_e32 v11, 31, v10
	v_cmp_ne_u32_e64 s0, v9, v10
	v_xor_b32_e32 v3, 0x80000000, v3
	s_delay_alu instid0(VALU_DEP_3) | instskip(NEXT) | instid1(VALU_DEP_3)
	v_lshlrev_b64 v[16:17], 4, v[10:11]
	v_cndmask_b32_e64 v5, 0, -v15, s0
	v_cndmask_b32_e64 v4, 0, v14, s0
	s_delay_alu instid0(VALU_DEP_3) | instskip(NEXT) | instid1(VALU_DEP_1)
	v_add_co_u32 v15, s1, v6, v16
	v_add_co_ci_u32_e64 v16, s1, v7, v17, s1
	global_store_b128 v[15:16], v[2:5], off
.LBB872_9:
	s_or_b32 exec_lo, exec_lo, s2
	v_cmp_le_i32_e64 s0, v8, v9
	s_delay_alu instid0(VALU_DEP_1) | instskip(NEXT) | instid1(SALU_CYCLE_1)
	s_and_b32 s0, vcc_lo, s0
	s_and_saveexec_b32 s1, s0
	s_cbranch_execz .LBB872_11
; %bb.10:
	v_ashrrev_i32_e32 v9, 31, v8
	v_cmp_ne_u32_e32 vcc_lo, v21, v10
	v_xor_b32_e32 v1, 0x80000000, v1
	s_delay_alu instid0(VALU_DEP_3) | instskip(SKIP_2) | instid1(VALU_DEP_3)
	v_lshlrev_b64 v[4:5], 4, v[8:9]
	v_cndmask_b32_e64 v3, 0, -v13, vcc_lo
	v_cndmask_b32_e32 v2, 0, v12, vcc_lo
	v_add_co_u32 v4, s0, v6, v4
	s_delay_alu instid0(VALU_DEP_1)
	v_add_co_ci_u32_e64 v5, s0, v7, v5, s0
	global_store_b128 v[4:5], v[0:3], off
.LBB872_11:
	s_nop 0
	s_sendmsg sendmsg(MSG_DEALLOC_VGPRS)
	s_endpgm
	.section	.rodata,"a",@progbits
	.p2align	6, 0x0
	.amdhsa_kernel _ZL37rocblas_syrkx_herkx_restricted_kernelIi19rocblas_complex_numIdELi16ELi32ELi8ELin1ELi0ELb1ELc78ELc85EKPKS1_KPS1_EviT_PT9_S7_lS9_S7_lPT10_S7_li
		.amdhsa_group_segment_fixed_size 8192
		.amdhsa_private_segment_fixed_size 0
		.amdhsa_kernarg_size 84
		.amdhsa_user_sgpr_count 13
		.amdhsa_user_sgpr_dispatch_ptr 0
		.amdhsa_user_sgpr_queue_ptr 0
		.amdhsa_user_sgpr_kernarg_segment_ptr 1
		.amdhsa_user_sgpr_dispatch_id 0
		.amdhsa_user_sgpr_private_segment_size 0
		.amdhsa_wavefront_size32 1
		.amdhsa_uses_dynamic_stack 0
		.amdhsa_enable_private_segment 0
		.amdhsa_system_sgpr_workgroup_id_x 1
		.amdhsa_system_sgpr_workgroup_id_y 1
		.amdhsa_system_sgpr_workgroup_id_z 1
		.amdhsa_system_sgpr_workgroup_info 0
		.amdhsa_system_vgpr_workitem_id 1
		.amdhsa_next_free_vgpr 118
		.amdhsa_next_free_sgpr 20
		.amdhsa_reserve_vcc 1
		.amdhsa_float_round_mode_32 0
		.amdhsa_float_round_mode_16_64 0
		.amdhsa_float_denorm_mode_32 3
		.amdhsa_float_denorm_mode_16_64 3
		.amdhsa_dx10_clamp 1
		.amdhsa_ieee_mode 1
		.amdhsa_fp16_overflow 0
		.amdhsa_workgroup_processor_mode 1
		.amdhsa_memory_ordered 1
		.amdhsa_forward_progress 0
		.amdhsa_shared_vgpr_count 0
		.amdhsa_exception_fp_ieee_invalid_op 0
		.amdhsa_exception_fp_denorm_src 0
		.amdhsa_exception_fp_ieee_div_zero 0
		.amdhsa_exception_fp_ieee_overflow 0
		.amdhsa_exception_fp_ieee_underflow 0
		.amdhsa_exception_fp_ieee_inexact 0
		.amdhsa_exception_int_div_zero 0
	.end_amdhsa_kernel
	.section	.text._ZL37rocblas_syrkx_herkx_restricted_kernelIi19rocblas_complex_numIdELi16ELi32ELi8ELin1ELi0ELb1ELc78ELc85EKPKS1_KPS1_EviT_PT9_S7_lS9_S7_lPT10_S7_li,"axG",@progbits,_ZL37rocblas_syrkx_herkx_restricted_kernelIi19rocblas_complex_numIdELi16ELi32ELi8ELin1ELi0ELb1ELc78ELc85EKPKS1_KPS1_EviT_PT9_S7_lS9_S7_lPT10_S7_li,comdat
.Lfunc_end872:
	.size	_ZL37rocblas_syrkx_herkx_restricted_kernelIi19rocblas_complex_numIdELi16ELi32ELi8ELin1ELi0ELb1ELc78ELc85EKPKS1_KPS1_EviT_PT9_S7_lS9_S7_lPT10_S7_li, .Lfunc_end872-_ZL37rocblas_syrkx_herkx_restricted_kernelIi19rocblas_complex_numIdELi16ELi32ELi8ELin1ELi0ELb1ELc78ELc85EKPKS1_KPS1_EviT_PT9_S7_lS9_S7_lPT10_S7_li
                                        ; -- End function
	.section	.AMDGPU.csdata,"",@progbits
; Kernel info:
; codeLenInByte = 3000
; NumSgprs: 22
; NumVgprs: 118
; ScratchSize: 0
; MemoryBound: 0
; FloatMode: 240
; IeeeMode: 1
; LDSByteSize: 8192 bytes/workgroup (compile time only)
; SGPRBlocks: 2
; VGPRBlocks: 14
; NumSGPRsForWavesPerEU: 22
; NumVGPRsForWavesPerEU: 118
; Occupancy: 12
; WaveLimiterHint : 1
; COMPUTE_PGM_RSRC2:SCRATCH_EN: 0
; COMPUTE_PGM_RSRC2:USER_SGPR: 13
; COMPUTE_PGM_RSRC2:TRAP_HANDLER: 0
; COMPUTE_PGM_RSRC2:TGID_X_EN: 1
; COMPUTE_PGM_RSRC2:TGID_Y_EN: 1
; COMPUTE_PGM_RSRC2:TGID_Z_EN: 1
; COMPUTE_PGM_RSRC2:TIDIG_COMP_CNT: 1
	.section	.text._ZL37rocblas_syrkx_herkx_restricted_kernelIi19rocblas_complex_numIdELi16ELi32ELi8ELb1ELb1ELc84ELc76EKPKS1_KPS1_EviT_T0_PT8_S7_lSA_S7_lS8_PT9_S7_li,"axG",@progbits,_ZL37rocblas_syrkx_herkx_restricted_kernelIi19rocblas_complex_numIdELi16ELi32ELi8ELb1ELb1ELc84ELc76EKPKS1_KPS1_EviT_T0_PT8_S7_lSA_S7_lS8_PT9_S7_li,comdat
	.globl	_ZL37rocblas_syrkx_herkx_restricted_kernelIi19rocblas_complex_numIdELi16ELi32ELi8ELb1ELb1ELc84ELc76EKPKS1_KPS1_EviT_T0_PT8_S7_lSA_S7_lS8_PT9_S7_li ; -- Begin function _ZL37rocblas_syrkx_herkx_restricted_kernelIi19rocblas_complex_numIdELi16ELi32ELi8ELb1ELb1ELc84ELc76EKPKS1_KPS1_EviT_T0_PT8_S7_lSA_S7_lS8_PT9_S7_li
	.p2align	8
	.type	_ZL37rocblas_syrkx_herkx_restricted_kernelIi19rocblas_complex_numIdELi16ELi32ELi8ELb1ELb1ELc84ELc76EKPKS1_KPS1_EviT_T0_PT8_S7_lSA_S7_lS8_PT9_S7_li,@function
_ZL37rocblas_syrkx_herkx_restricted_kernelIi19rocblas_complex_numIdELi16ELi32ELi8ELb1ELb1ELc84ELc76EKPKS1_KPS1_EviT_T0_PT8_S7_lSA_S7_lS8_PT9_S7_li: ; @_ZL37rocblas_syrkx_herkx_restricted_kernelIi19rocblas_complex_numIdELi16ELi32ELi8ELb1ELb1ELc84ELc76EKPKS1_KPS1_EviT_T0_PT8_S7_lSA_S7_lS8_PT9_S7_li
; %bb.0:
	s_clause 0x2
	s_load_b64 s[4:5], s[0:1], 0x58
	s_load_b64 s[18:19], s[0:1], 0x18
	;; [unrolled: 1-line block ×3, first 2 shown]
	s_mov_b32 s10, s15
	s_mov_b32 s11, 0
	v_mov_b32_e32 v16, 0
	s_lshl_b64 s[16:17], s[10:11], 3
	v_dual_mov_b32 v17, 0 :: v_dual_and_b32 v20, 0x3ff, v0
	v_bfe_u32 v21, v0, 10, 10
	s_delay_alu instid0(VALU_DEP_3) | instskip(NEXT) | instid1(VALU_DEP_3)
	v_mov_b32_e32 v12, v16
	v_dual_mov_b32 v14, v16 :: v_dual_mov_b32 v15, v17
	v_dual_mov_b32 v19, v17 :: v_dual_mov_b32 v18, v16
	;; [unrolled: 1-line block ×4, first 2 shown]
	v_mov_b32_e32 v11, v17
	s_waitcnt lgkmcnt(0)
	s_add_u32 s8, s4, s16
	s_addc_u32 s9, s5, s17
	s_load_b128 s[4:7], s[0:1], 0x8
	s_load_b64 s[8:9], s[8:9], 0x0
	v_dual_mov_b32 v6, v16 :: v_dual_mov_b32 v7, v17
	v_dual_mov_b32 v4, v16 :: v_dual_mov_b32 v5, v17
	s_lshl_b32 s10, s13, 5
	s_lshl_b32 s12, s14, 5
	s_cmp_lt_i32 s3, 1
	s_cbranch_scc1 .LBB873_3
; %bb.1:
	s_clause 0x2
	s_load_b64 s[14:15], s[0:1], 0x30
	s_load_b32 s13, s[0:1], 0x20
	s_load_b32 s20, s[0:1], 0x38
	v_lshl_add_u32 v2, v21, 4, v20
	v_dual_mov_b32 v1, 0 :: v_dual_and_b32 v0, 7, v20
	s_add_u32 s18, s18, s16
	v_lshlrev_b32_e32 v22, 4, v20
	s_delay_alu instid0(VALU_DEP_3) | instskip(SKIP_3) | instid1(VALU_DEP_3)
	v_and_b32_e32 v10, 31, v2
	s_addc_u32 s19, s19, s17
	v_lshrrev_b32_e32 v11, 3, v2
	v_lshrrev_b32_e32 v2, 5, v2
	v_dual_mov_b32 v3, v1 :: v_dual_add_nc_u32 v4, s10, v10
	s_load_b64 s[18:19], s[18:19], 0x0
	v_lshl_add_u32 v23, v21, 7, 0x1000
	s_waitcnt lgkmcnt(0)
	s_add_u32 s14, s14, s16
	s_addc_u32 s15, s15, s17
	v_mad_i64_i32 v[6:7], null, s13, v4, v[2:3]
	s_load_b64 s[14:15], s[14:15], 0x0
	v_dual_mov_b32 v4, 0 :: v_dual_lshlrev_b32 v3, 4, v0
	v_dual_mov_b32 v5, 0 :: v_dual_add_nc_u32 v12, s12, v11
	v_lshlrev_b32_e32 v10, 4, v10
	s_delay_alu instid0(VALU_DEP_3) | instskip(NEXT) | instid1(VALU_DEP_3)
	v_lshl_or_b32 v3, v11, 7, v3
	v_mov_b32_e32 v15, v5
	s_delay_alu instid0(VALU_DEP_4)
	v_mad_i64_i32 v[8:9], null, s20, v12, v[0:1]
	v_lshlrev_b64 v[0:1], 4, v[6:7]
	v_dual_mov_b32 v7, v5 :: v_dual_mov_b32 v6, v4
	v_add_nc_u32_e32 v25, 0x1000, v3
	v_lshl_or_b32 v24, v2, 9, v10
	v_dual_mov_b32 v14, v4 :: v_dual_mov_b32 v13, v5
	v_lshlrev_b64 v[2:3], 4, v[8:9]
	v_add_co_u32 v0, vcc_lo, v0, s18
	v_add_co_ci_u32_e32 v1, vcc_lo, s19, v1, vcc_lo
	v_mov_b32_e32 v9, v5
	s_waitcnt lgkmcnt(0)
	s_delay_alu instid0(VALU_DEP_4)
	v_add_co_u32 v2, vcc_lo, v2, s14
	v_add_co_ci_u32_e32 v3, vcc_lo, s15, v3, vcc_lo
	v_add_co_u32 v0, vcc_lo, v0, 8
	v_mov_b32_e32 v8, v4
	v_add_co_ci_u32_e32 v1, vcc_lo, 0, v1, vcc_lo
	v_add_co_u32 v2, vcc_lo, v2, 8
	v_dual_mov_b32 v12, v4 :: v_dual_mov_b32 v19, v5
	v_dual_mov_b32 v18, v4 :: v_dual_mov_b32 v17, v5
	v_add_co_ci_u32_e32 v3, vcc_lo, 0, v3, vcc_lo
	v_dual_mov_b32 v11, v5 :: v_dual_mov_b32 v10, v4
	v_mov_b32_e32 v16, v4
.LBB873_2:                              ; =>This Inner Loop Header: Depth=1
	global_load_b128 v[26:29], v[0:1], off offset:-8
	global_load_b128 v[30:33], v[2:3], off offset:-8
	v_add_co_u32 v0, vcc_lo, 0x80, v0
	v_add_co_ci_u32_e32 v1, vcc_lo, 0, v1, vcc_lo
	v_add_co_u32 v2, vcc_lo, 0x80, v2
	v_add_co_ci_u32_e32 v3, vcc_lo, 0, v3, vcc_lo
	s_add_i32 s11, s11, 8
	s_waitcnt vmcnt(1)
	ds_store_b128 v24, v[26:29]
	s_waitcnt vmcnt(0)
	ds_store_b128 v25, v[30:33]
	s_waitcnt lgkmcnt(0)
	s_barrier
	buffer_gl0_inv
	ds_load_b128 v[26:29], v23
	ds_load_b128 v[30:33], v22
	ds_load_b128 v[34:37], v22 offset:256
	ds_load_b128 v[38:41], v23 offset:2048
	;; [unrolled: 1-line block ×13, first 2 shown]
	s_cmp_ge_i32 s11, s3
	s_waitcnt lgkmcnt(13)
	v_mul_f64 v[86:87], v[28:29], v[32:33]
	v_mul_f64 v[88:89], v[26:27], v[32:33]
	s_waitcnt lgkmcnt(12)
	v_mul_f64 v[90:91], v[28:29], v[36:37]
	v_mul_f64 v[92:93], v[26:27], v[36:37]
	;; [unrolled: 3-line block ×3, first 2 shown]
	v_mul_f64 v[96:97], v[40:41], v[36:37]
	v_mul_f64 v[36:37], v[38:39], v[36:37]
	s_waitcnt lgkmcnt(8)
	v_mul_f64 v[98:99], v[44:45], v[52:53]
	v_mul_f64 v[100:101], v[42:43], v[52:53]
	s_waitcnt lgkmcnt(7)
	v_mul_f64 v[102:103], v[44:45], v[56:57]
	v_mul_f64 v[104:105], v[42:43], v[56:57]
	;; [unrolled: 1-line block ×6, first 2 shown]
	s_waitcnt lgkmcnt(3)
	v_mul_f64 v[112:113], v[58:59], v[72:73]
	s_waitcnt lgkmcnt(2)
	v_mul_f64 v[114:115], v[76:77], v[68:69]
	v_mul_f64 v[116:117], v[76:77], v[72:73]
	v_fma_f64 v[86:87], v[26:27], v[30:31], -v[86:87]
	v_fma_f64 v[88:89], v[28:29], v[30:31], v[88:89]
	v_fma_f64 v[90:91], v[26:27], v[34:35], -v[90:91]
	v_fma_f64 v[92:93], v[28:29], v[34:35], v[92:93]
	;; [unrolled: 2-line block ×4, first 2 shown]
	v_mul_f64 v[36:37], v[60:61], v[68:69]
	v_mul_f64 v[40:41], v[58:59], v[68:69]
	v_mul_f64 v[96:97], v[60:61], v[72:73]
	v_mul_f64 v[68:69], v[74:75], v[68:69]
	v_mul_f64 v[72:73], v[74:75], v[72:73]
	v_fma_f64 v[98:99], v[42:43], v[50:51], -v[98:99]
	v_fma_f64 v[100:101], v[44:45], v[50:51], v[100:101]
	v_fma_f64 v[42:43], v[42:43], v[54:55], -v[102:103]
	v_fma_f64 v[44:45], v[44:45], v[54:55], v[104:105]
	;; [unrolled: 2-line block ×4, first 2 shown]
	ds_load_b128 v[26:29], v22 offset:1792
	ds_load_b128 v[30:33], v22 offset:2048
	s_waitcnt lgkmcnt(2)
	v_mul_f64 v[56:57], v[64:65], v[84:85]
	v_add_f64 v[16:17], v[16:17], v[86:87]
	v_add_f64 v[18:19], v[18:19], v[88:89]
	v_add_f64 v[12:13], v[12:13], v[90:91]
	v_add_f64 v[14:15], v[14:15], v[92:93]
	v_add_f64 v[52:53], v[8:9], v[94:95]
	v_add_f64 v[54:55], v[10:11], v[110:111]
	v_add_f64 v[38:39], v[6:7], v[38:39]
	v_add_f64 v[34:35], v[4:5], v[34:35]
	v_mul_f64 v[86:87], v[62:63], v[84:85]
	s_waitcnt lgkmcnt(1)
	v_mul_f64 v[88:89], v[64:65], v[28:29]
	v_mul_f64 v[90:91], v[62:63], v[28:29]
	;; [unrolled: 1-line block ×6, first 2 shown]
	v_fma_f64 v[104:105], v[58:59], v[66:67], -v[36:37]
	v_fma_f64 v[106:107], v[60:61], v[66:67], v[40:41]
	v_fma_f64 v[58:59], v[58:59], v[70:71], -v[96:97]
	v_fma_f64 v[60:61], v[60:61], v[70:71], v[112:113]
	;; [unrolled: 2-line block ×4, first 2 shown]
	ds_load_b128 v[4:7], v22 offset:2304
	ds_load_b128 v[8:11], v23 offset:64
	v_fma_f64 v[56:57], v[62:63], v[82:83], -v[56:57]
	v_add_f64 v[72:73], v[16:17], v[98:99]
	v_add_f64 v[74:75], v[18:19], v[100:101]
	;; [unrolled: 1-line block ×8, first 2 shown]
	ds_load_b128 v[12:15], v23 offset:2112
	ds_load_b128 v[16:19], v23 offset:80
	;; [unrolled: 1-line block ×4, first 2 shown]
	s_waitcnt lgkmcnt(4)
	v_mul_f64 v[54:55], v[10:11], v[32:33]
	v_mul_f64 v[76:77], v[8:9], v[32:33]
	;; [unrolled: 1-line block ×4, first 2 shown]
	v_fma_f64 v[86:87], v[64:65], v[82:83], v[86:87]
	v_fma_f64 v[62:63], v[62:63], v[26:27], -v[88:89]
	v_fma_f64 v[64:65], v[64:65], v[26:27], v[90:91]
	v_fma_f64 v[88:89], v[78:79], v[82:83], -v[92:93]
	;; [unrolled: 2-line block ×3, first 2 shown]
	v_fma_f64 v[80:81], v[80:81], v[26:27], v[28:29]
	s_waitcnt lgkmcnt(3)
	v_mul_f64 v[102:103], v[14:15], v[32:33]
	v_mul_f64 v[32:33], v[12:13], v[32:33]
	;; [unrolled: 1-line block ×4, first 2 shown]
	s_waitcnt lgkmcnt(0)
	v_mul_f64 v[90:91], v[18:19], v[40:41]
	v_mul_f64 v[92:93], v[16:17], v[40:41]
	v_add_f64 v[72:73], v[72:73], v[104:105]
	v_add_f64 v[74:75], v[74:75], v[106:107]
	;; [unrolled: 1-line block ×8, first 2 shown]
	ds_load_b128 v[26:29], v22 offset:2816
	ds_load_b128 v[42:45], v22 offset:3072
	;; [unrolled: 1-line block ×4, first 2 shown]
	v_mul_f64 v[104:105], v[36:37], v[40:41]
	v_mul_f64 v[40:41], v[34:35], v[40:41]
	v_fma_f64 v[54:55], v[8:9], v[30:31], -v[54:55]
	v_fma_f64 v[76:77], v[10:11], v[30:31], v[76:77]
	v_fma_f64 v[98:99], v[8:9], v[4:5], -v[98:99]
	v_fma_f64 v[100:101], v[10:11], v[4:5], v[100:101]
	s_waitcnt lgkmcnt(3)
	v_mul_f64 v[94:95], v[18:19], v[28:29]
	v_mul_f64 v[96:97], v[16:17], v[28:29]
	;; [unrolled: 1-line block ×4, first 2 shown]
	v_fma_f64 v[102:103], v[12:13], v[30:31], -v[102:103]
	v_fma_f64 v[32:33], v[14:15], v[30:31], v[32:33]
	v_fma_f64 v[108:109], v[12:13], v[4:5], -v[108:109]
	v_fma_f64 v[112:113], v[14:15], v[4:5], v[6:7]
	ds_load_b128 v[4:7], v23 offset:2144
	ds_load_b128 v[8:11], v23 offset:112
	;; [unrolled: 1-line block ×4, first 2 shown]
	v_add_f64 v[56:57], v[72:73], v[56:57]
	v_add_f64 v[72:73], v[74:75], v[86:87]
	;; [unrolled: 1-line block ×8, first 2 shown]
	s_waitcnt lgkmcnt(4)
	v_mul_f64 v[70:71], v[52:53], v[44:45]
	v_mul_f64 v[74:75], v[50:51], v[44:45]
	;; [unrolled: 1-line block ×4, first 2 shown]
	s_waitcnt lgkmcnt(3)
	v_mul_f64 v[82:83], v[6:7], v[44:45]
	v_mul_f64 v[44:45], v[4:5], v[44:45]
	;; [unrolled: 1-line block ×4, first 2 shown]
	v_fma_f64 v[86:87], v[16:17], v[38:39], -v[90:91]
	v_fma_f64 v[88:89], v[18:19], v[38:39], v[92:93]
	v_fma_f64 v[90:91], v[16:17], v[26:27], -v[94:95]
	v_fma_f64 v[92:93], v[18:19], v[26:27], v[96:97]
	v_fma_f64 v[94:95], v[34:35], v[38:39], -v[104:105]
	v_fma_f64 v[38:39], v[36:37], v[38:39], v[40:41]
	v_fma_f64 v[34:35], v[34:35], v[26:27], -v[106:107]
	v_fma_f64 v[26:27], v[36:37], v[26:27], v[110:111]
	ds_load_b128 v[16:19], v22 offset:3840
	s_waitcnt lgkmcnt(0)
	s_barrier
	buffer_gl0_inv
	v_add_f64 v[36:37], v[56:57], v[54:55]
	v_add_f64 v[40:41], v[72:73], v[76:77]
	;; [unrolled: 1-line block ×8, first 2 shown]
	v_mul_f64 v[64:65], v[10:11], v[30:31]
	v_mul_f64 v[66:67], v[8:9], v[30:31]
	;; [unrolled: 1-line block ×4, first 2 shown]
	v_fma_f64 v[70:71], v[50:51], v[42:43], -v[70:71]
	v_mul_f64 v[68:69], v[10:11], v[18:19]
	v_mul_f64 v[72:73], v[8:9], v[18:19]
	;; [unrolled: 1-line block ×4, first 2 shown]
	v_fma_f64 v[74:75], v[52:53], v[42:43], v[74:75]
	v_fma_f64 v[50:51], v[50:51], v[46:47], -v[78:79]
	v_fma_f64 v[52:53], v[52:53], v[46:47], v[80:81]
	v_fma_f64 v[78:79], v[4:5], v[42:43], -v[82:83]
	;; [unrolled: 2-line block ×3, first 2 shown]
	v_fma_f64 v[6:7], v[6:7], v[46:47], v[48:49]
	v_add_f64 v[36:37], v[36:37], v[86:87]
	v_add_f64 v[40:41], v[40:41], v[88:89]
	;; [unrolled: 1-line block ×8, first 2 shown]
	v_fma_f64 v[38:39], v[8:9], v[28:29], -v[64:65]
	v_fma_f64 v[54:55], v[10:11], v[28:29], v[66:67]
	v_fma_f64 v[56:57], v[12:13], v[28:29], -v[76:77]
	v_fma_f64 v[28:29], v[14:15], v[28:29], v[30:31]
	;; [unrolled: 2-line block ×4, first 2 shown]
	v_add_f64 v[12:13], v[36:37], v[70:71]
	v_add_f64 v[14:15], v[40:41], v[74:75]
	;; [unrolled: 1-line block ×16, first 2 shown]
	s_cbranch_scc0 .LBB873_2
.LBB873_3:
	s_load_b32 s3, s[0:1], 0x60
	v_add_nc_u32_e32 v21, s12, v21
	v_add_nc_u32_e32 v0, s10, v20
	s_delay_alu instid0(VALU_DEP_1) | instskip(SKIP_1) | instid1(VALU_DEP_2)
	v_cmp_le_i32_e64 s0, v21, v0
	v_cmp_gt_i32_e32 vcc_lo, s2, v0
	s_and_b32 s0, s0, vcc_lo
	s_waitcnt lgkmcnt(0)
	v_mad_i64_i32 v[1:2], null, v21, s3, 0
	s_delay_alu instid0(VALU_DEP_1) | instskip(NEXT) | instid1(VALU_DEP_1)
	v_lshlrev_b64 v[1:2], 4, v[1:2]
	v_add_co_u32 v20, s1, s8, v1
	s_delay_alu instid0(VALU_DEP_1)
	v_add_co_ci_u32_e64 v22, s1, s9, v2, s1
	s_and_saveexec_b32 s10, s0
	s_cbranch_execz .LBB873_5
; %bb.4:
	v_mul_f64 v[1:2], s[4:5], v[18:19]
	v_mul_f64 v[18:19], s[6:7], v[18:19]
	v_cmp_ne_u32_e64 s0, v21, v0
	s_delay_alu instid0(VALU_DEP_3) | instskip(NEXT) | instid1(VALU_DEP_3)
	v_fma_f64 v[2:3], s[6:7], v[16:17], v[1:2]
	v_fma_f64 v[16:17], s[4:5], v[16:17], -v[18:19]
	v_ashrrev_i32_e32 v1, 31, v0
	s_delay_alu instid0(VALU_DEP_1) | instskip(NEXT) | instid1(VALU_DEP_1)
	v_lshlrev_b64 v[18:19], 4, v[0:1]
	v_add_co_u32 v23, s1, v20, v18
	s_delay_alu instid0(VALU_DEP_1)
	v_add_co_ci_u32_e64 v24, s1, v22, v19, s1
	v_cndmask_b32_e64 v19, 0, v3, s0
	v_cndmask_b32_e64 v18, 0, v2, s0
	global_store_b128 v[23:24], v[16:19], off
.LBB873_5:
	s_or_b32 exec_lo, exec_lo, s10
	v_add_nc_u32_e32 v2, 16, v0
	s_delay_alu instid0(VALU_DEP_1) | instskip(SKIP_1) | instid1(VALU_DEP_1)
	v_cmp_le_i32_e64 s1, v21, v2
	v_cmp_gt_i32_e64 s0, s2, v2
	s_and_b32 s1, s1, s0
	s_delay_alu instid0(SALU_CYCLE_1)
	s_and_saveexec_b32 s10, s1
	s_cbranch_execz .LBB873_7
; %bb.6:
	v_mul_f64 v[16:17], s[4:5], v[14:15]
	v_mul_f64 v[14:15], s[6:7], v[14:15]
	v_ashrrev_i32_e32 v3, 31, v2
	v_cmp_ne_u32_e64 s1, v21, v2
	s_delay_alu instid0(VALU_DEP_4) | instskip(NEXT) | instid1(VALU_DEP_4)
	v_fma_f64 v[16:17], s[6:7], v[12:13], v[16:17]
	v_fma_f64 v[12:13], s[4:5], v[12:13], -v[14:15]
	s_delay_alu instid0(VALU_DEP_4) | instskip(NEXT) | instid1(VALU_DEP_1)
	v_lshlrev_b64 v[14:15], 4, v[2:3]
	v_add_co_u32 v18, s2, v20, v14
	s_delay_alu instid0(VALU_DEP_1)
	v_add_co_ci_u32_e64 v19, s2, v22, v15, s2
	v_cndmask_b32_e64 v15, 0, v17, s1
	v_cndmask_b32_e64 v14, 0, v16, s1
	global_store_b128 v[18:19], v[12:15], off
.LBB873_7:
	s_or_b32 exec_lo, exec_lo, s10
	v_add_nc_u32_e32 v3, 16, v21
	s_delay_alu instid0(VALU_DEP_1) | instskip(SKIP_1) | instid1(VALU_DEP_1)
	v_mad_i64_i32 v[12:13], null, v3, s3, 0
	v_cmp_le_i32_e64 s1, v3, v0
	s_and_b32 s1, s1, vcc_lo
	s_delay_alu instid0(VALU_DEP_2) | instskip(NEXT) | instid1(VALU_DEP_1)
	v_lshlrev_b64 v[12:13], 4, v[12:13]
	v_add_co_u32 v12, s2, s8, v12
	s_delay_alu instid0(VALU_DEP_1)
	v_add_co_ci_u32_e64 v13, s2, s9, v13, s2
	s_and_saveexec_b32 s2, s1
	s_cbranch_execz .LBB873_9
; %bb.8:
	v_mul_f64 v[14:15], s[4:5], v[10:11]
	v_mul_f64 v[10:11], s[6:7], v[10:11]
	v_ashrrev_i32_e32 v1, 31, v0
	v_cmp_ne_u32_e32 vcc_lo, v3, v0
	s_delay_alu instid0(VALU_DEP_4) | instskip(NEXT) | instid1(VALU_DEP_4)
	v_fma_f64 v[14:15], s[6:7], v[8:9], v[14:15]
	v_fma_f64 v[8:9], s[4:5], v[8:9], -v[10:11]
	s_delay_alu instid0(VALU_DEP_4) | instskip(NEXT) | instid1(VALU_DEP_1)
	v_lshlrev_b64 v[10:11], 4, v[0:1]
	v_add_co_u32 v16, s1, v12, v10
	s_delay_alu instid0(VALU_DEP_1)
	v_add_co_ci_u32_e64 v17, s1, v13, v11, s1
	v_dual_cndmask_b32 v11, 0, v15 :: v_dual_cndmask_b32 v10, 0, v14
	global_store_b128 v[16:17], v[8:11], off
.LBB873_9:
	s_or_b32 exec_lo, exec_lo, s2
	v_cmp_le_i32_e32 vcc_lo, v3, v2
	s_and_b32 s0, vcc_lo, s0
	s_delay_alu instid0(SALU_CYCLE_1)
	s_and_saveexec_b32 s1, s0
	s_cbranch_execz .LBB873_11
; %bb.10:
	v_mul_f64 v[8:9], s[4:5], v[4:5]
	v_mul_f64 v[3:4], s[6:7], v[4:5]
	v_cmp_ne_u32_e32 vcc_lo, v21, v0
	s_delay_alu instid0(VALU_DEP_3) | instskip(NEXT) | instid1(VALU_DEP_3)
	v_fma_f64 v[8:9], s[6:7], v[6:7], v[8:9]
	v_fma_f64 v[4:5], s[4:5], v[6:7], -v[3:4]
	v_ashrrev_i32_e32 v3, 31, v2
	s_delay_alu instid0(VALU_DEP_1) | instskip(NEXT) | instid1(VALU_DEP_1)
	v_lshlrev_b64 v[1:2], 4, v[2:3]
	v_add_co_u32 v0, s0, v12, v1
	s_delay_alu instid0(VALU_DEP_1)
	v_add_co_ci_u32_e64 v1, s0, v13, v2, s0
	v_dual_cndmask_b32 v7, 0, v9 :: v_dual_cndmask_b32 v6, 0, v8
	global_store_b128 v[0:1], v[4:7], off
.LBB873_11:
	s_nop 0
	s_sendmsg sendmsg(MSG_DEALLOC_VGPRS)
	s_endpgm
	.section	.rodata,"a",@progbits
	.p2align	6, 0x0
	.amdhsa_kernel _ZL37rocblas_syrkx_herkx_restricted_kernelIi19rocblas_complex_numIdELi16ELi32ELi8ELb1ELb1ELc84ELc76EKPKS1_KPS1_EviT_T0_PT8_S7_lSA_S7_lS8_PT9_S7_li
		.amdhsa_group_segment_fixed_size 8192
		.amdhsa_private_segment_fixed_size 0
		.amdhsa_kernarg_size 116
		.amdhsa_user_sgpr_count 13
		.amdhsa_user_sgpr_dispatch_ptr 0
		.amdhsa_user_sgpr_queue_ptr 0
		.amdhsa_user_sgpr_kernarg_segment_ptr 1
		.amdhsa_user_sgpr_dispatch_id 0
		.amdhsa_user_sgpr_private_segment_size 0
		.amdhsa_wavefront_size32 1
		.amdhsa_uses_dynamic_stack 0
		.amdhsa_enable_private_segment 0
		.amdhsa_system_sgpr_workgroup_id_x 1
		.amdhsa_system_sgpr_workgroup_id_y 1
		.amdhsa_system_sgpr_workgroup_id_z 1
		.amdhsa_system_sgpr_workgroup_info 0
		.amdhsa_system_vgpr_workitem_id 1
		.amdhsa_next_free_vgpr 118
		.amdhsa_next_free_sgpr 21
		.amdhsa_reserve_vcc 1
		.amdhsa_float_round_mode_32 0
		.amdhsa_float_round_mode_16_64 0
		.amdhsa_float_denorm_mode_32 3
		.amdhsa_float_denorm_mode_16_64 3
		.amdhsa_dx10_clamp 1
		.amdhsa_ieee_mode 1
		.amdhsa_fp16_overflow 0
		.amdhsa_workgroup_processor_mode 1
		.amdhsa_memory_ordered 1
		.amdhsa_forward_progress 0
		.amdhsa_shared_vgpr_count 0
		.amdhsa_exception_fp_ieee_invalid_op 0
		.amdhsa_exception_fp_denorm_src 0
		.amdhsa_exception_fp_ieee_div_zero 0
		.amdhsa_exception_fp_ieee_overflow 0
		.amdhsa_exception_fp_ieee_underflow 0
		.amdhsa_exception_fp_ieee_inexact 0
		.amdhsa_exception_int_div_zero 0
	.end_amdhsa_kernel
	.section	.text._ZL37rocblas_syrkx_herkx_restricted_kernelIi19rocblas_complex_numIdELi16ELi32ELi8ELb1ELb1ELc84ELc76EKPKS1_KPS1_EviT_T0_PT8_S7_lSA_S7_lS8_PT9_S7_li,"axG",@progbits,_ZL37rocblas_syrkx_herkx_restricted_kernelIi19rocblas_complex_numIdELi16ELi32ELi8ELb1ELb1ELc84ELc76EKPKS1_KPS1_EviT_T0_PT8_S7_lSA_S7_lS8_PT9_S7_li,comdat
.Lfunc_end873:
	.size	_ZL37rocblas_syrkx_herkx_restricted_kernelIi19rocblas_complex_numIdELi16ELi32ELi8ELb1ELb1ELc84ELc76EKPKS1_KPS1_EviT_T0_PT8_S7_lSA_S7_lS8_PT9_S7_li, .Lfunc_end873-_ZL37rocblas_syrkx_herkx_restricted_kernelIi19rocblas_complex_numIdELi16ELi32ELi8ELb1ELb1ELc84ELc76EKPKS1_KPS1_EviT_T0_PT8_S7_lSA_S7_lS8_PT9_S7_li
                                        ; -- End function
	.section	.AMDGPU.csdata,"",@progbits
; Kernel info:
; codeLenInByte = 3084
; NumSgprs: 23
; NumVgprs: 118
; ScratchSize: 0
; MemoryBound: 0
; FloatMode: 240
; IeeeMode: 1
; LDSByteSize: 8192 bytes/workgroup (compile time only)
; SGPRBlocks: 2
; VGPRBlocks: 14
; NumSGPRsForWavesPerEU: 23
; NumVGPRsForWavesPerEU: 118
; Occupancy: 12
; WaveLimiterHint : 1
; COMPUTE_PGM_RSRC2:SCRATCH_EN: 0
; COMPUTE_PGM_RSRC2:USER_SGPR: 13
; COMPUTE_PGM_RSRC2:TRAP_HANDLER: 0
; COMPUTE_PGM_RSRC2:TGID_X_EN: 1
; COMPUTE_PGM_RSRC2:TGID_Y_EN: 1
; COMPUTE_PGM_RSRC2:TGID_Z_EN: 1
; COMPUTE_PGM_RSRC2:TIDIG_COMP_CNT: 1
	.section	.text._ZL37rocblas_syrkx_herkx_restricted_kernelIi19rocblas_complex_numIdELi16ELi32ELi8ELb1ELb1ELc67ELc76EKPKS1_KPS1_EviT_T0_PT8_S7_lSA_S7_lS8_PT9_S7_li,"axG",@progbits,_ZL37rocblas_syrkx_herkx_restricted_kernelIi19rocblas_complex_numIdELi16ELi32ELi8ELb1ELb1ELc67ELc76EKPKS1_KPS1_EviT_T0_PT8_S7_lSA_S7_lS8_PT9_S7_li,comdat
	.globl	_ZL37rocblas_syrkx_herkx_restricted_kernelIi19rocblas_complex_numIdELi16ELi32ELi8ELb1ELb1ELc67ELc76EKPKS1_KPS1_EviT_T0_PT8_S7_lSA_S7_lS8_PT9_S7_li ; -- Begin function _ZL37rocblas_syrkx_herkx_restricted_kernelIi19rocblas_complex_numIdELi16ELi32ELi8ELb1ELb1ELc67ELc76EKPKS1_KPS1_EviT_T0_PT8_S7_lSA_S7_lS8_PT9_S7_li
	.p2align	8
	.type	_ZL37rocblas_syrkx_herkx_restricted_kernelIi19rocblas_complex_numIdELi16ELi32ELi8ELb1ELb1ELc67ELc76EKPKS1_KPS1_EviT_T0_PT8_S7_lSA_S7_lS8_PT9_S7_li,@function
_ZL37rocblas_syrkx_herkx_restricted_kernelIi19rocblas_complex_numIdELi16ELi32ELi8ELb1ELb1ELc67ELc76EKPKS1_KPS1_EviT_T0_PT8_S7_lSA_S7_lS8_PT9_S7_li: ; @_ZL37rocblas_syrkx_herkx_restricted_kernelIi19rocblas_complex_numIdELi16ELi32ELi8ELb1ELb1ELc67ELc76EKPKS1_KPS1_EviT_T0_PT8_S7_lSA_S7_lS8_PT9_S7_li
; %bb.0:
	s_clause 0x2
	s_load_b64 s[4:5], s[0:1], 0x58
	s_load_b64 s[18:19], s[0:1], 0x18
	;; [unrolled: 1-line block ×3, first 2 shown]
	s_mov_b32 s10, s15
	s_mov_b32 s11, 0
	v_mov_b32_e32 v16, 0
	s_lshl_b64 s[16:17], s[10:11], 3
	v_dual_mov_b32 v17, 0 :: v_dual_and_b32 v20, 0x3ff, v0
	v_bfe_u32 v21, v0, 10, 10
	s_delay_alu instid0(VALU_DEP_3) | instskip(NEXT) | instid1(VALU_DEP_3)
	v_mov_b32_e32 v12, v16
	v_dual_mov_b32 v14, v16 :: v_dual_mov_b32 v15, v17
	v_dual_mov_b32 v19, v17 :: v_dual_mov_b32 v18, v16
	v_dual_mov_b32 v13, v17 :: v_dual_mov_b32 v8, v16
	v_dual_mov_b32 v9, v17 :: v_dual_mov_b32 v10, v16
	v_mov_b32_e32 v11, v17
	s_waitcnt lgkmcnt(0)
	s_add_u32 s8, s4, s16
	s_addc_u32 s9, s5, s17
	s_load_b128 s[4:7], s[0:1], 0x8
	s_load_b64 s[8:9], s[8:9], 0x0
	v_dual_mov_b32 v6, v16 :: v_dual_mov_b32 v7, v17
	v_dual_mov_b32 v4, v16 :: v_dual_mov_b32 v5, v17
	s_lshl_b32 s10, s13, 5
	s_lshl_b32 s12, s14, 5
	s_cmp_lt_i32 s3, 1
	s_cbranch_scc1 .LBB874_3
; %bb.1:
	s_clause 0x2
	s_load_b64 s[14:15], s[0:1], 0x30
	s_load_b32 s13, s[0:1], 0x20
	s_load_b32 s20, s[0:1], 0x38
	v_lshl_add_u32 v2, v21, 4, v20
	v_dual_mov_b32 v1, 0 :: v_dual_and_b32 v0, 7, v20
	s_add_u32 s18, s18, s16
	v_lshlrev_b32_e32 v22, 4, v20
	s_delay_alu instid0(VALU_DEP_3) | instskip(SKIP_3) | instid1(VALU_DEP_3)
	v_and_b32_e32 v10, 31, v2
	s_addc_u32 s19, s19, s17
	v_lshrrev_b32_e32 v11, 3, v2
	v_lshrrev_b32_e32 v2, 5, v2
	v_dual_mov_b32 v3, v1 :: v_dual_add_nc_u32 v4, s10, v10
	s_load_b64 s[18:19], s[18:19], 0x0
	v_lshl_add_u32 v23, v21, 7, 0x1000
	s_waitcnt lgkmcnt(0)
	s_add_u32 s14, s14, s16
	s_addc_u32 s15, s15, s17
	v_mad_i64_i32 v[6:7], null, s13, v4, v[2:3]
	s_load_b64 s[14:15], s[14:15], 0x0
	v_dual_mov_b32 v4, 0 :: v_dual_lshlrev_b32 v3, 4, v0
	v_dual_mov_b32 v5, 0 :: v_dual_add_nc_u32 v12, s12, v11
	v_lshlrev_b32_e32 v10, 4, v10
	s_delay_alu instid0(VALU_DEP_3) | instskip(NEXT) | instid1(VALU_DEP_3)
	v_lshl_or_b32 v3, v11, 7, v3
	v_mov_b32_e32 v15, v5
	s_delay_alu instid0(VALU_DEP_4)
	v_mad_i64_i32 v[8:9], null, s20, v12, v[0:1]
	v_lshlrev_b64 v[0:1], 4, v[6:7]
	v_dual_mov_b32 v7, v5 :: v_dual_mov_b32 v6, v4
	v_add_nc_u32_e32 v25, 0x1000, v3
	v_lshl_or_b32 v24, v2, 9, v10
	v_dual_mov_b32 v14, v4 :: v_dual_mov_b32 v13, v5
	v_lshlrev_b64 v[2:3], 4, v[8:9]
	v_add_co_u32 v0, vcc_lo, v0, s18
	v_add_co_ci_u32_e32 v1, vcc_lo, s19, v1, vcc_lo
	v_mov_b32_e32 v9, v5
	s_waitcnt lgkmcnt(0)
	s_delay_alu instid0(VALU_DEP_4)
	v_add_co_u32 v2, vcc_lo, v2, s14
	v_add_co_ci_u32_e32 v3, vcc_lo, s15, v3, vcc_lo
	v_add_co_u32 v0, vcc_lo, v0, 8
	v_mov_b32_e32 v8, v4
	v_add_co_ci_u32_e32 v1, vcc_lo, 0, v1, vcc_lo
	v_add_co_u32 v2, vcc_lo, v2, 8
	v_dual_mov_b32 v12, v4 :: v_dual_mov_b32 v19, v5
	v_dual_mov_b32 v18, v4 :: v_dual_mov_b32 v17, v5
	v_add_co_ci_u32_e32 v3, vcc_lo, 0, v3, vcc_lo
	v_dual_mov_b32 v11, v5 :: v_dual_mov_b32 v10, v4
	v_mov_b32_e32 v16, v4
.LBB874_2:                              ; =>This Inner Loop Header: Depth=1
	global_load_b128 v[26:29], v[0:1], off offset:-8
	global_load_b128 v[30:33], v[2:3], off offset:-8
	v_add_co_u32 v0, vcc_lo, 0x80, v0
	v_add_co_ci_u32_e32 v1, vcc_lo, 0, v1, vcc_lo
	v_add_co_u32 v2, vcc_lo, 0x80, v2
	v_add_co_ci_u32_e32 v3, vcc_lo, 0, v3, vcc_lo
	s_add_i32 s11, s11, 8
	s_delay_alu instid0(SALU_CYCLE_1)
	s_cmp_ge_i32 s11, s3
	s_waitcnt vmcnt(1)
	v_xor_b32_e32 v29, 0x80000000, v29
	ds_store_b128 v24, v[26:29]
	s_waitcnt vmcnt(0)
	ds_store_b128 v25, v[30:33]
	s_waitcnt lgkmcnt(0)
	s_barrier
	buffer_gl0_inv
	ds_load_b128 v[26:29], v23
	ds_load_b128 v[30:33], v22
	ds_load_b128 v[34:37], v22 offset:256
	ds_load_b128 v[38:41], v23 offset:2048
	;; [unrolled: 1-line block ×13, first 2 shown]
	s_waitcnt lgkmcnt(13)
	v_mul_f64 v[86:87], v[28:29], v[32:33]
	v_mul_f64 v[88:89], v[26:27], v[32:33]
	s_waitcnt lgkmcnt(12)
	v_mul_f64 v[90:91], v[28:29], v[36:37]
	v_mul_f64 v[92:93], v[26:27], v[36:37]
	;; [unrolled: 3-line block ×3, first 2 shown]
	v_mul_f64 v[96:97], v[40:41], v[36:37]
	v_mul_f64 v[36:37], v[38:39], v[36:37]
	s_waitcnt lgkmcnt(8)
	v_mul_f64 v[98:99], v[44:45], v[52:53]
	v_mul_f64 v[100:101], v[42:43], v[52:53]
	s_waitcnt lgkmcnt(7)
	v_mul_f64 v[102:103], v[44:45], v[56:57]
	v_mul_f64 v[104:105], v[42:43], v[56:57]
	;; [unrolled: 1-line block ×6, first 2 shown]
	s_waitcnt lgkmcnt(3)
	v_mul_f64 v[112:113], v[58:59], v[72:73]
	s_waitcnt lgkmcnt(2)
	v_mul_f64 v[114:115], v[76:77], v[68:69]
	v_mul_f64 v[116:117], v[76:77], v[72:73]
	v_fma_f64 v[86:87], v[26:27], v[30:31], -v[86:87]
	v_fma_f64 v[88:89], v[28:29], v[30:31], v[88:89]
	v_fma_f64 v[90:91], v[26:27], v[34:35], -v[90:91]
	v_fma_f64 v[92:93], v[28:29], v[34:35], v[92:93]
	;; [unrolled: 2-line block ×4, first 2 shown]
	v_mul_f64 v[36:37], v[60:61], v[68:69]
	v_mul_f64 v[40:41], v[58:59], v[68:69]
	;; [unrolled: 1-line block ×5, first 2 shown]
	v_fma_f64 v[98:99], v[42:43], v[50:51], -v[98:99]
	v_fma_f64 v[100:101], v[44:45], v[50:51], v[100:101]
	v_fma_f64 v[42:43], v[42:43], v[54:55], -v[102:103]
	v_fma_f64 v[44:45], v[44:45], v[54:55], v[104:105]
	;; [unrolled: 2-line block ×4, first 2 shown]
	ds_load_b128 v[26:29], v22 offset:1792
	ds_load_b128 v[30:33], v22 offset:2048
	s_waitcnt lgkmcnt(2)
	v_mul_f64 v[56:57], v[64:65], v[84:85]
	v_add_f64 v[16:17], v[16:17], v[86:87]
	v_add_f64 v[18:19], v[18:19], v[88:89]
	;; [unrolled: 1-line block ×8, first 2 shown]
	v_mul_f64 v[86:87], v[62:63], v[84:85]
	s_waitcnt lgkmcnt(1)
	v_mul_f64 v[88:89], v[64:65], v[28:29]
	v_mul_f64 v[90:91], v[62:63], v[28:29]
	;; [unrolled: 1-line block ×6, first 2 shown]
	v_fma_f64 v[104:105], v[58:59], v[66:67], -v[36:37]
	v_fma_f64 v[106:107], v[60:61], v[66:67], v[40:41]
	v_fma_f64 v[58:59], v[58:59], v[70:71], -v[96:97]
	v_fma_f64 v[60:61], v[60:61], v[70:71], v[112:113]
	;; [unrolled: 2-line block ×4, first 2 shown]
	ds_load_b128 v[4:7], v22 offset:2304
	ds_load_b128 v[8:11], v23 offset:64
	v_fma_f64 v[56:57], v[62:63], v[82:83], -v[56:57]
	v_add_f64 v[72:73], v[16:17], v[98:99]
	v_add_f64 v[74:75], v[18:19], v[100:101]
	;; [unrolled: 1-line block ×8, first 2 shown]
	ds_load_b128 v[12:15], v23 offset:2112
	ds_load_b128 v[16:19], v23 offset:80
	;; [unrolled: 1-line block ×4, first 2 shown]
	s_waitcnt lgkmcnt(4)
	v_mul_f64 v[54:55], v[10:11], v[32:33]
	v_mul_f64 v[76:77], v[8:9], v[32:33]
	;; [unrolled: 1-line block ×4, first 2 shown]
	v_fma_f64 v[86:87], v[64:65], v[82:83], v[86:87]
	v_fma_f64 v[62:63], v[62:63], v[26:27], -v[88:89]
	v_fma_f64 v[64:65], v[64:65], v[26:27], v[90:91]
	v_fma_f64 v[88:89], v[78:79], v[82:83], -v[92:93]
	;; [unrolled: 2-line block ×3, first 2 shown]
	v_fma_f64 v[80:81], v[80:81], v[26:27], v[28:29]
	s_waitcnt lgkmcnt(3)
	v_mul_f64 v[102:103], v[14:15], v[32:33]
	v_mul_f64 v[32:33], v[12:13], v[32:33]
	v_mul_f64 v[108:109], v[14:15], v[6:7]
	v_mul_f64 v[6:7], v[12:13], v[6:7]
	s_waitcnt lgkmcnt(0)
	v_mul_f64 v[90:91], v[18:19], v[40:41]
	v_mul_f64 v[92:93], v[16:17], v[40:41]
	v_add_f64 v[72:73], v[72:73], v[104:105]
	v_add_f64 v[74:75], v[74:75], v[106:107]
	;; [unrolled: 1-line block ×8, first 2 shown]
	ds_load_b128 v[26:29], v22 offset:2816
	ds_load_b128 v[42:45], v22 offset:3072
	;; [unrolled: 1-line block ×4, first 2 shown]
	v_mul_f64 v[104:105], v[36:37], v[40:41]
	v_mul_f64 v[40:41], v[34:35], v[40:41]
	v_fma_f64 v[54:55], v[8:9], v[30:31], -v[54:55]
	v_fma_f64 v[76:77], v[10:11], v[30:31], v[76:77]
	v_fma_f64 v[98:99], v[8:9], v[4:5], -v[98:99]
	v_fma_f64 v[100:101], v[10:11], v[4:5], v[100:101]
	s_waitcnt lgkmcnt(3)
	v_mul_f64 v[94:95], v[18:19], v[28:29]
	v_mul_f64 v[96:97], v[16:17], v[28:29]
	;; [unrolled: 1-line block ×4, first 2 shown]
	v_fma_f64 v[102:103], v[12:13], v[30:31], -v[102:103]
	v_fma_f64 v[32:33], v[14:15], v[30:31], v[32:33]
	v_fma_f64 v[108:109], v[12:13], v[4:5], -v[108:109]
	v_fma_f64 v[112:113], v[14:15], v[4:5], v[6:7]
	ds_load_b128 v[4:7], v23 offset:2144
	ds_load_b128 v[8:11], v23 offset:112
	;; [unrolled: 1-line block ×4, first 2 shown]
	v_add_f64 v[56:57], v[72:73], v[56:57]
	v_add_f64 v[72:73], v[74:75], v[86:87]
	;; [unrolled: 1-line block ×8, first 2 shown]
	s_waitcnt lgkmcnt(4)
	v_mul_f64 v[70:71], v[52:53], v[44:45]
	v_mul_f64 v[74:75], v[50:51], v[44:45]
	;; [unrolled: 1-line block ×4, first 2 shown]
	s_waitcnt lgkmcnt(3)
	v_mul_f64 v[82:83], v[6:7], v[44:45]
	v_mul_f64 v[44:45], v[4:5], v[44:45]
	;; [unrolled: 1-line block ×4, first 2 shown]
	v_fma_f64 v[86:87], v[16:17], v[38:39], -v[90:91]
	v_fma_f64 v[88:89], v[18:19], v[38:39], v[92:93]
	v_fma_f64 v[90:91], v[16:17], v[26:27], -v[94:95]
	v_fma_f64 v[92:93], v[18:19], v[26:27], v[96:97]
	;; [unrolled: 2-line block ×4, first 2 shown]
	ds_load_b128 v[16:19], v22 offset:3840
	s_waitcnt lgkmcnt(0)
	s_barrier
	buffer_gl0_inv
	v_add_f64 v[36:37], v[56:57], v[54:55]
	v_add_f64 v[40:41], v[72:73], v[76:77]
	;; [unrolled: 1-line block ×8, first 2 shown]
	v_mul_f64 v[64:65], v[10:11], v[30:31]
	v_mul_f64 v[66:67], v[8:9], v[30:31]
	v_mul_f64 v[76:77], v[14:15], v[30:31]
	v_mul_f64 v[30:31], v[12:13], v[30:31]
	v_fma_f64 v[70:71], v[50:51], v[42:43], -v[70:71]
	v_mul_f64 v[68:69], v[10:11], v[18:19]
	v_mul_f64 v[72:73], v[8:9], v[18:19]
	;; [unrolled: 1-line block ×4, first 2 shown]
	v_fma_f64 v[74:75], v[52:53], v[42:43], v[74:75]
	v_fma_f64 v[50:51], v[50:51], v[46:47], -v[78:79]
	v_fma_f64 v[52:53], v[52:53], v[46:47], v[80:81]
	v_fma_f64 v[78:79], v[4:5], v[42:43], -v[82:83]
	;; [unrolled: 2-line block ×3, first 2 shown]
	v_fma_f64 v[6:7], v[6:7], v[46:47], v[48:49]
	v_add_f64 v[36:37], v[36:37], v[86:87]
	v_add_f64 v[40:41], v[40:41], v[88:89]
	;; [unrolled: 1-line block ×8, first 2 shown]
	v_fma_f64 v[38:39], v[8:9], v[28:29], -v[64:65]
	v_fma_f64 v[54:55], v[10:11], v[28:29], v[66:67]
	v_fma_f64 v[56:57], v[12:13], v[28:29], -v[76:77]
	v_fma_f64 v[28:29], v[14:15], v[28:29], v[30:31]
	;; [unrolled: 2-line block ×4, first 2 shown]
	v_add_f64 v[12:13], v[36:37], v[70:71]
	v_add_f64 v[14:15], v[40:41], v[74:75]
	;; [unrolled: 1-line block ×16, first 2 shown]
	s_cbranch_scc0 .LBB874_2
.LBB874_3:
	s_load_b32 s3, s[0:1], 0x60
	v_add_nc_u32_e32 v21, s12, v21
	v_add_nc_u32_e32 v0, s10, v20
	s_delay_alu instid0(VALU_DEP_1) | instskip(SKIP_1) | instid1(VALU_DEP_2)
	v_cmp_le_i32_e64 s0, v21, v0
	v_cmp_gt_i32_e32 vcc_lo, s2, v0
	s_and_b32 s0, s0, vcc_lo
	s_waitcnt lgkmcnt(0)
	v_mad_i64_i32 v[1:2], null, v21, s3, 0
	s_delay_alu instid0(VALU_DEP_1) | instskip(NEXT) | instid1(VALU_DEP_1)
	v_lshlrev_b64 v[1:2], 4, v[1:2]
	v_add_co_u32 v20, s1, s8, v1
	s_delay_alu instid0(VALU_DEP_1)
	v_add_co_ci_u32_e64 v22, s1, s9, v2, s1
	s_and_saveexec_b32 s10, s0
	s_cbranch_execz .LBB874_5
; %bb.4:
	v_mul_f64 v[1:2], s[4:5], v[18:19]
	v_mul_f64 v[18:19], s[6:7], v[18:19]
	v_cmp_ne_u32_e64 s0, v21, v0
	s_delay_alu instid0(VALU_DEP_3) | instskip(NEXT) | instid1(VALU_DEP_3)
	v_fma_f64 v[2:3], s[6:7], v[16:17], v[1:2]
	v_fma_f64 v[16:17], s[4:5], v[16:17], -v[18:19]
	v_ashrrev_i32_e32 v1, 31, v0
	s_delay_alu instid0(VALU_DEP_1) | instskip(NEXT) | instid1(VALU_DEP_1)
	v_lshlrev_b64 v[18:19], 4, v[0:1]
	v_add_co_u32 v23, s1, v20, v18
	s_delay_alu instid0(VALU_DEP_1)
	v_add_co_ci_u32_e64 v24, s1, v22, v19, s1
	v_cndmask_b32_e64 v19, 0, v3, s0
	v_cndmask_b32_e64 v18, 0, v2, s0
	global_store_b128 v[23:24], v[16:19], off
.LBB874_5:
	s_or_b32 exec_lo, exec_lo, s10
	v_add_nc_u32_e32 v2, 16, v0
	s_delay_alu instid0(VALU_DEP_1) | instskip(SKIP_1) | instid1(VALU_DEP_1)
	v_cmp_le_i32_e64 s1, v21, v2
	v_cmp_gt_i32_e64 s0, s2, v2
	s_and_b32 s1, s1, s0
	s_delay_alu instid0(SALU_CYCLE_1)
	s_and_saveexec_b32 s10, s1
	s_cbranch_execz .LBB874_7
; %bb.6:
	v_mul_f64 v[16:17], s[4:5], v[14:15]
	v_mul_f64 v[14:15], s[6:7], v[14:15]
	v_ashrrev_i32_e32 v3, 31, v2
	v_cmp_ne_u32_e64 s1, v21, v2
	s_delay_alu instid0(VALU_DEP_4) | instskip(NEXT) | instid1(VALU_DEP_4)
	v_fma_f64 v[16:17], s[6:7], v[12:13], v[16:17]
	v_fma_f64 v[12:13], s[4:5], v[12:13], -v[14:15]
	s_delay_alu instid0(VALU_DEP_4) | instskip(NEXT) | instid1(VALU_DEP_1)
	v_lshlrev_b64 v[14:15], 4, v[2:3]
	v_add_co_u32 v18, s2, v20, v14
	s_delay_alu instid0(VALU_DEP_1)
	v_add_co_ci_u32_e64 v19, s2, v22, v15, s2
	v_cndmask_b32_e64 v15, 0, v17, s1
	v_cndmask_b32_e64 v14, 0, v16, s1
	global_store_b128 v[18:19], v[12:15], off
.LBB874_7:
	s_or_b32 exec_lo, exec_lo, s10
	v_add_nc_u32_e32 v3, 16, v21
	s_delay_alu instid0(VALU_DEP_1) | instskip(SKIP_1) | instid1(VALU_DEP_1)
	v_mad_i64_i32 v[12:13], null, v3, s3, 0
	v_cmp_le_i32_e64 s1, v3, v0
	s_and_b32 s1, s1, vcc_lo
	s_delay_alu instid0(VALU_DEP_2) | instskip(NEXT) | instid1(VALU_DEP_1)
	v_lshlrev_b64 v[12:13], 4, v[12:13]
	v_add_co_u32 v12, s2, s8, v12
	s_delay_alu instid0(VALU_DEP_1)
	v_add_co_ci_u32_e64 v13, s2, s9, v13, s2
	s_and_saveexec_b32 s2, s1
	s_cbranch_execz .LBB874_9
; %bb.8:
	v_mul_f64 v[14:15], s[4:5], v[10:11]
	v_mul_f64 v[10:11], s[6:7], v[10:11]
	v_ashrrev_i32_e32 v1, 31, v0
	v_cmp_ne_u32_e32 vcc_lo, v3, v0
	s_delay_alu instid0(VALU_DEP_4) | instskip(NEXT) | instid1(VALU_DEP_4)
	v_fma_f64 v[14:15], s[6:7], v[8:9], v[14:15]
	v_fma_f64 v[8:9], s[4:5], v[8:9], -v[10:11]
	s_delay_alu instid0(VALU_DEP_4) | instskip(NEXT) | instid1(VALU_DEP_1)
	v_lshlrev_b64 v[10:11], 4, v[0:1]
	v_add_co_u32 v16, s1, v12, v10
	s_delay_alu instid0(VALU_DEP_1)
	v_add_co_ci_u32_e64 v17, s1, v13, v11, s1
	v_dual_cndmask_b32 v11, 0, v15 :: v_dual_cndmask_b32 v10, 0, v14
	global_store_b128 v[16:17], v[8:11], off
.LBB874_9:
	s_or_b32 exec_lo, exec_lo, s2
	v_cmp_le_i32_e32 vcc_lo, v3, v2
	s_and_b32 s0, vcc_lo, s0
	s_delay_alu instid0(SALU_CYCLE_1)
	s_and_saveexec_b32 s1, s0
	s_cbranch_execz .LBB874_11
; %bb.10:
	v_mul_f64 v[8:9], s[4:5], v[4:5]
	v_mul_f64 v[3:4], s[6:7], v[4:5]
	v_cmp_ne_u32_e32 vcc_lo, v21, v0
	s_delay_alu instid0(VALU_DEP_3) | instskip(NEXT) | instid1(VALU_DEP_3)
	v_fma_f64 v[8:9], s[6:7], v[6:7], v[8:9]
	v_fma_f64 v[4:5], s[4:5], v[6:7], -v[3:4]
	v_ashrrev_i32_e32 v3, 31, v2
	s_delay_alu instid0(VALU_DEP_1) | instskip(NEXT) | instid1(VALU_DEP_1)
	v_lshlrev_b64 v[1:2], 4, v[2:3]
	v_add_co_u32 v0, s0, v12, v1
	s_delay_alu instid0(VALU_DEP_1)
	v_add_co_ci_u32_e64 v1, s0, v13, v2, s0
	v_dual_cndmask_b32 v7, 0, v9 :: v_dual_cndmask_b32 v6, 0, v8
	global_store_b128 v[0:1], v[4:7], off
.LBB874_11:
	s_nop 0
	s_sendmsg sendmsg(MSG_DEALLOC_VGPRS)
	s_endpgm
	.section	.rodata,"a",@progbits
	.p2align	6, 0x0
	.amdhsa_kernel _ZL37rocblas_syrkx_herkx_restricted_kernelIi19rocblas_complex_numIdELi16ELi32ELi8ELb1ELb1ELc67ELc76EKPKS1_KPS1_EviT_T0_PT8_S7_lSA_S7_lS8_PT9_S7_li
		.amdhsa_group_segment_fixed_size 8192
		.amdhsa_private_segment_fixed_size 0
		.amdhsa_kernarg_size 116
		.amdhsa_user_sgpr_count 13
		.amdhsa_user_sgpr_dispatch_ptr 0
		.amdhsa_user_sgpr_queue_ptr 0
		.amdhsa_user_sgpr_kernarg_segment_ptr 1
		.amdhsa_user_sgpr_dispatch_id 0
		.amdhsa_user_sgpr_private_segment_size 0
		.amdhsa_wavefront_size32 1
		.amdhsa_uses_dynamic_stack 0
		.amdhsa_enable_private_segment 0
		.amdhsa_system_sgpr_workgroup_id_x 1
		.amdhsa_system_sgpr_workgroup_id_y 1
		.amdhsa_system_sgpr_workgroup_id_z 1
		.amdhsa_system_sgpr_workgroup_info 0
		.amdhsa_system_vgpr_workitem_id 1
		.amdhsa_next_free_vgpr 118
		.amdhsa_next_free_sgpr 21
		.amdhsa_reserve_vcc 1
		.amdhsa_float_round_mode_32 0
		.amdhsa_float_round_mode_16_64 0
		.amdhsa_float_denorm_mode_32 3
		.amdhsa_float_denorm_mode_16_64 3
		.amdhsa_dx10_clamp 1
		.amdhsa_ieee_mode 1
		.amdhsa_fp16_overflow 0
		.amdhsa_workgroup_processor_mode 1
		.amdhsa_memory_ordered 1
		.amdhsa_forward_progress 0
		.amdhsa_shared_vgpr_count 0
		.amdhsa_exception_fp_ieee_invalid_op 0
		.amdhsa_exception_fp_denorm_src 0
		.amdhsa_exception_fp_ieee_div_zero 0
		.amdhsa_exception_fp_ieee_overflow 0
		.amdhsa_exception_fp_ieee_underflow 0
		.amdhsa_exception_fp_ieee_inexact 0
		.amdhsa_exception_int_div_zero 0
	.end_amdhsa_kernel
	.section	.text._ZL37rocblas_syrkx_herkx_restricted_kernelIi19rocblas_complex_numIdELi16ELi32ELi8ELb1ELb1ELc67ELc76EKPKS1_KPS1_EviT_T0_PT8_S7_lSA_S7_lS8_PT9_S7_li,"axG",@progbits,_ZL37rocblas_syrkx_herkx_restricted_kernelIi19rocblas_complex_numIdELi16ELi32ELi8ELb1ELb1ELc67ELc76EKPKS1_KPS1_EviT_T0_PT8_S7_lSA_S7_lS8_PT9_S7_li,comdat
.Lfunc_end874:
	.size	_ZL37rocblas_syrkx_herkx_restricted_kernelIi19rocblas_complex_numIdELi16ELi32ELi8ELb1ELb1ELc67ELc76EKPKS1_KPS1_EviT_T0_PT8_S7_lSA_S7_lS8_PT9_S7_li, .Lfunc_end874-_ZL37rocblas_syrkx_herkx_restricted_kernelIi19rocblas_complex_numIdELi16ELi32ELi8ELb1ELb1ELc67ELc76EKPKS1_KPS1_EviT_T0_PT8_S7_lSA_S7_lS8_PT9_S7_li
                                        ; -- End function
	.section	.AMDGPU.csdata,"",@progbits
; Kernel info:
; codeLenInByte = 3096
; NumSgprs: 23
; NumVgprs: 118
; ScratchSize: 0
; MemoryBound: 0
; FloatMode: 240
; IeeeMode: 1
; LDSByteSize: 8192 bytes/workgroup (compile time only)
; SGPRBlocks: 2
; VGPRBlocks: 14
; NumSGPRsForWavesPerEU: 23
; NumVGPRsForWavesPerEU: 118
; Occupancy: 12
; WaveLimiterHint : 1
; COMPUTE_PGM_RSRC2:SCRATCH_EN: 0
; COMPUTE_PGM_RSRC2:USER_SGPR: 13
; COMPUTE_PGM_RSRC2:TRAP_HANDLER: 0
; COMPUTE_PGM_RSRC2:TGID_X_EN: 1
; COMPUTE_PGM_RSRC2:TGID_Y_EN: 1
; COMPUTE_PGM_RSRC2:TGID_Z_EN: 1
; COMPUTE_PGM_RSRC2:TIDIG_COMP_CNT: 1
	.section	.text._ZL37rocblas_syrkx_herkx_restricted_kernelIi19rocblas_complex_numIdELi16ELi32ELi8ELb1ELb1ELc78ELc76EKPKS1_KPS1_EviT_T0_PT8_S7_lSA_S7_lS8_PT9_S7_li,"axG",@progbits,_ZL37rocblas_syrkx_herkx_restricted_kernelIi19rocblas_complex_numIdELi16ELi32ELi8ELb1ELb1ELc78ELc76EKPKS1_KPS1_EviT_T0_PT8_S7_lSA_S7_lS8_PT9_S7_li,comdat
	.globl	_ZL37rocblas_syrkx_herkx_restricted_kernelIi19rocblas_complex_numIdELi16ELi32ELi8ELb1ELb1ELc78ELc76EKPKS1_KPS1_EviT_T0_PT8_S7_lSA_S7_lS8_PT9_S7_li ; -- Begin function _ZL37rocblas_syrkx_herkx_restricted_kernelIi19rocblas_complex_numIdELi16ELi32ELi8ELb1ELb1ELc78ELc76EKPKS1_KPS1_EviT_T0_PT8_S7_lSA_S7_lS8_PT9_S7_li
	.p2align	8
	.type	_ZL37rocblas_syrkx_herkx_restricted_kernelIi19rocblas_complex_numIdELi16ELi32ELi8ELb1ELb1ELc78ELc76EKPKS1_KPS1_EviT_T0_PT8_S7_lSA_S7_lS8_PT9_S7_li,@function
_ZL37rocblas_syrkx_herkx_restricted_kernelIi19rocblas_complex_numIdELi16ELi32ELi8ELb1ELb1ELc78ELc76EKPKS1_KPS1_EviT_T0_PT8_S7_lSA_S7_lS8_PT9_S7_li: ; @_ZL37rocblas_syrkx_herkx_restricted_kernelIi19rocblas_complex_numIdELi16ELi32ELi8ELb1ELb1ELc78ELc76EKPKS1_KPS1_EviT_T0_PT8_S7_lSA_S7_lS8_PT9_S7_li
; %bb.0:
	s_clause 0x2
	s_load_b64 s[4:5], s[0:1], 0x58
	s_load_b64 s[18:19], s[0:1], 0x18
	;; [unrolled: 1-line block ×3, first 2 shown]
	s_mov_b32 s10, s15
	s_mov_b32 s11, 0
	v_mov_b32_e32 v16, 0
	s_lshl_b64 s[16:17], s[10:11], 3
	v_dual_mov_b32 v17, 0 :: v_dual_and_b32 v20, 0x3ff, v0
	v_bfe_u32 v21, v0, 10, 10
	s_delay_alu instid0(VALU_DEP_3) | instskip(NEXT) | instid1(VALU_DEP_3)
	v_mov_b32_e32 v12, v16
	v_dual_mov_b32 v14, v16 :: v_dual_mov_b32 v15, v17
	v_dual_mov_b32 v19, v17 :: v_dual_mov_b32 v18, v16
	;; [unrolled: 1-line block ×4, first 2 shown]
	v_mov_b32_e32 v9, v17
	s_waitcnt lgkmcnt(0)
	s_add_u32 s8, s4, s16
	s_addc_u32 s9, s5, s17
	s_load_b128 s[4:7], s[0:1], 0x8
	s_load_b64 s[8:9], s[8:9], 0x0
	v_dual_mov_b32 v6, v16 :: v_dual_mov_b32 v7, v17
	v_dual_mov_b32 v4, v16 :: v_dual_mov_b32 v5, v17
	s_lshl_b32 s10, s13, 5
	s_lshl_b32 s20, s14, 5
	s_cmp_lt_i32 s3, 1
	s_cbranch_scc1 .LBB875_3
; %bb.1:
	s_clause 0x2
	s_load_b32 s12, s[0:1], 0x20
	s_load_b32 s14, s[0:1], 0x38
	s_load_b64 s[22:23], s[0:1], 0x30
	v_lshl_add_u32 v0, v21, 4, v20
	v_mov_b32_e32 v4, 0
	v_dual_mov_b32 v5, 0 :: v_dual_and_b32 v6, 7, v20
	v_lshlrev_b32_e32 v22, 4, v20
	s_delay_alu instid0(VALU_DEP_4) | instskip(SKIP_3) | instid1(VALU_DEP_4)
	v_and_b32_e32 v10, 31, v0
	v_lshrrev_b32_e32 v7, 3, v0
	v_lshrrev_b32_e32 v11, 5, v0
	v_dual_mov_b32 v19, v5 :: v_dual_lshlrev_b32 v12, 4, v6
	v_dual_mov_b32 v15, v5 :: v_dual_add_nc_u32 v2, s10, v10
	s_delay_alu instid0(VALU_DEP_4) | instskip(NEXT) | instid1(VALU_DEP_3)
	v_add_nc_u32_e32 v0, s20, v7
	v_lshl_or_b32 v12, v7, 7, v12
	v_lshl_add_u32 v23, v21, 7, 0x1000
	s_delay_alu instid0(VALU_DEP_4)
	v_ashrrev_i32_e32 v3, 31, v2
	v_mov_b32_e32 v14, v4
	s_waitcnt lgkmcnt(0)
	s_ashr_i32 s13, s12, 31
	s_ashr_i32 s15, s14, 31
	s_add_u32 s18, s18, s16
	s_addc_u32 s19, s19, s17
	s_add_u32 s16, s22, s16
	s_load_b64 s[18:19], s[18:19], 0x0
	s_addc_u32 s17, s23, s17
	v_ashrrev_i32_e32 v1, 31, v0
	s_load_b64 s[16:17], s[16:17], 0x0
	v_mad_i64_i32 v[8:9], null, s12, v11, v[2:3]
	v_add_nc_u32_e32 v25, 0x1000, v12
	s_delay_alu instid0(VALU_DEP_3)
	v_mad_i64_i32 v[2:3], null, s14, v6, v[0:1]
	v_dual_mov_b32 v7, v5 :: v_dual_lshlrev_b32 v10, 4, v10
	v_mov_b32_e32 v13, v5
	v_lshlrev_b64 v[0:1], 4, v[8:9]
	v_dual_mov_b32 v6, v4 :: v_dual_mov_b32 v17, v5
	v_lshlrev_b64 v[2:3], 4, v[2:3]
	v_mov_b32_e32 v9, v5
	v_lshl_or_b32 v24, v11, 9, v10
	v_dual_mov_b32 v11, v5 :: v_dual_mov_b32 v8, v4
	s_waitcnt lgkmcnt(0)
	v_add_co_u32 v0, vcc_lo, v0, s18
	v_add_co_ci_u32_e32 v1, vcc_lo, s19, v1, vcc_lo
	v_add_co_u32 v2, vcc_lo, v2, s16
	v_add_co_ci_u32_e32 v3, vcc_lo, s17, v3, vcc_lo
	s_delay_alu instid0(VALU_DEP_4) | instskip(NEXT) | instid1(VALU_DEP_4)
	v_add_co_u32 v0, vcc_lo, v0, 8
	v_add_co_ci_u32_e32 v1, vcc_lo, 0, v1, vcc_lo
	s_delay_alu instid0(VALU_DEP_4) | instskip(NEXT) | instid1(VALU_DEP_4)
	v_add_co_u32 v2, vcc_lo, v2, 8
	v_add_co_ci_u32_e32 v3, vcc_lo, 0, v3, vcc_lo
	v_mov_b32_e32 v10, v4
	v_mov_b32_e32 v12, v4
	;; [unrolled: 1-line block ×4, first 2 shown]
	s_lshl_b64 s[12:13], s[12:13], 7
	s_lshl_b64 s[14:15], s[14:15], 7
.LBB875_2:                              ; =>This Inner Loop Header: Depth=1
	global_load_b128 v[26:29], v[2:3], off offset:-8
	global_load_b128 v[30:33], v[0:1], off offset:-8
	v_add_co_u32 v0, vcc_lo, v0, s12
	v_add_co_ci_u32_e32 v1, vcc_lo, s13, v1, vcc_lo
	v_add_co_u32 v2, vcc_lo, v2, s14
	v_add_co_ci_u32_e32 v3, vcc_lo, s15, v3, vcc_lo
	s_add_i32 s11, s11, 8
	s_delay_alu instid0(SALU_CYCLE_1)
	s_cmp_ge_i32 s11, s3
	s_waitcnt vmcnt(1)
	v_xor_b32_e32 v29, 0x80000000, v29
	s_waitcnt vmcnt(0)
	ds_store_b128 v24, v[30:33]
	ds_store_b128 v25, v[26:29]
	s_waitcnt lgkmcnt(0)
	s_barrier
	buffer_gl0_inv
	ds_load_b128 v[26:29], v23
	ds_load_b128 v[30:33], v22
	ds_load_b128 v[34:37], v22 offset:256
	ds_load_b128 v[38:41], v23 offset:2048
	;; [unrolled: 1-line block ×13, first 2 shown]
	s_waitcnt lgkmcnt(13)
	v_mul_f64 v[86:87], v[28:29], v[32:33]
	v_mul_f64 v[88:89], v[26:27], v[32:33]
	s_waitcnt lgkmcnt(12)
	v_mul_f64 v[90:91], v[28:29], v[36:37]
	v_mul_f64 v[92:93], v[26:27], v[36:37]
	;; [unrolled: 3-line block ×3, first 2 shown]
	v_mul_f64 v[96:97], v[40:41], v[36:37]
	v_mul_f64 v[36:37], v[38:39], v[36:37]
	s_waitcnt lgkmcnt(8)
	v_mul_f64 v[98:99], v[44:45], v[52:53]
	v_mul_f64 v[100:101], v[42:43], v[52:53]
	s_waitcnt lgkmcnt(7)
	v_mul_f64 v[102:103], v[44:45], v[56:57]
	v_mul_f64 v[104:105], v[42:43], v[56:57]
	;; [unrolled: 1-line block ×6, first 2 shown]
	s_waitcnt lgkmcnt(3)
	v_mul_f64 v[112:113], v[58:59], v[72:73]
	s_waitcnt lgkmcnt(2)
	v_mul_f64 v[114:115], v[76:77], v[68:69]
	v_mul_f64 v[116:117], v[76:77], v[72:73]
	v_fma_f64 v[86:87], v[26:27], v[30:31], -v[86:87]
	v_fma_f64 v[88:89], v[28:29], v[30:31], v[88:89]
	v_fma_f64 v[90:91], v[26:27], v[34:35], -v[90:91]
	v_fma_f64 v[92:93], v[28:29], v[34:35], v[92:93]
	;; [unrolled: 2-line block ×4, first 2 shown]
	v_mul_f64 v[36:37], v[60:61], v[68:69]
	v_mul_f64 v[40:41], v[58:59], v[68:69]
	v_mul_f64 v[96:97], v[60:61], v[72:73]
	v_mul_f64 v[68:69], v[74:75], v[68:69]
	v_mul_f64 v[72:73], v[74:75], v[72:73]
	v_fma_f64 v[98:99], v[42:43], v[50:51], -v[98:99]
	v_fma_f64 v[100:101], v[44:45], v[50:51], v[100:101]
	v_fma_f64 v[42:43], v[42:43], v[54:55], -v[102:103]
	v_fma_f64 v[44:45], v[44:45], v[54:55], v[104:105]
	v_fma_f64 v[102:103], v[46:47], v[50:51], -v[106:107]
	v_fma_f64 v[50:51], v[48:49], v[50:51], v[52:53]
	v_fma_f64 v[46:47], v[46:47], v[54:55], -v[108:109]
	v_fma_f64 v[48:49], v[48:49], v[54:55], v[56:57]
	ds_load_b128 v[26:29], v22 offset:1792
	ds_load_b128 v[30:33], v22 offset:2048
	s_waitcnt lgkmcnt(2)
	v_mul_f64 v[56:57], v[64:65], v[84:85]
	v_add_f64 v[16:17], v[16:17], v[86:87]
	v_add_f64 v[18:19], v[18:19], v[88:89]
	;; [unrolled: 1-line block ×8, first 2 shown]
	v_mul_f64 v[86:87], v[62:63], v[84:85]
	s_waitcnt lgkmcnt(1)
	v_mul_f64 v[88:89], v[64:65], v[28:29]
	v_mul_f64 v[90:91], v[62:63], v[28:29]
	;; [unrolled: 1-line block ×6, first 2 shown]
	v_fma_f64 v[104:105], v[58:59], v[66:67], -v[36:37]
	v_fma_f64 v[106:107], v[60:61], v[66:67], v[40:41]
	v_fma_f64 v[58:59], v[58:59], v[70:71], -v[96:97]
	v_fma_f64 v[60:61], v[60:61], v[70:71], v[112:113]
	;; [unrolled: 2-line block ×4, first 2 shown]
	ds_load_b128 v[4:7], v22 offset:2304
	ds_load_b128 v[8:11], v23 offset:64
	v_fma_f64 v[56:57], v[62:63], v[82:83], -v[56:57]
	v_add_f64 v[72:73], v[16:17], v[98:99]
	v_add_f64 v[74:75], v[18:19], v[100:101]
	;; [unrolled: 1-line block ×8, first 2 shown]
	ds_load_b128 v[12:15], v23 offset:2112
	ds_load_b128 v[16:19], v23 offset:80
	;; [unrolled: 1-line block ×4, first 2 shown]
	s_waitcnt lgkmcnt(4)
	v_mul_f64 v[54:55], v[10:11], v[32:33]
	v_mul_f64 v[76:77], v[8:9], v[32:33]
	;; [unrolled: 1-line block ×4, first 2 shown]
	v_fma_f64 v[86:87], v[64:65], v[82:83], v[86:87]
	v_fma_f64 v[62:63], v[62:63], v[26:27], -v[88:89]
	v_fma_f64 v[64:65], v[64:65], v[26:27], v[90:91]
	v_fma_f64 v[88:89], v[78:79], v[82:83], -v[92:93]
	;; [unrolled: 2-line block ×3, first 2 shown]
	v_fma_f64 v[80:81], v[80:81], v[26:27], v[28:29]
	s_waitcnt lgkmcnt(3)
	v_mul_f64 v[102:103], v[14:15], v[32:33]
	v_mul_f64 v[32:33], v[12:13], v[32:33]
	;; [unrolled: 1-line block ×4, first 2 shown]
	s_waitcnt lgkmcnt(0)
	v_mul_f64 v[90:91], v[18:19], v[40:41]
	v_mul_f64 v[92:93], v[16:17], v[40:41]
	v_add_f64 v[72:73], v[72:73], v[104:105]
	v_add_f64 v[74:75], v[74:75], v[106:107]
	;; [unrolled: 1-line block ×8, first 2 shown]
	ds_load_b128 v[26:29], v22 offset:2816
	ds_load_b128 v[42:45], v22 offset:3072
	;; [unrolled: 1-line block ×4, first 2 shown]
	v_mul_f64 v[104:105], v[36:37], v[40:41]
	v_mul_f64 v[40:41], v[34:35], v[40:41]
	v_fma_f64 v[54:55], v[8:9], v[30:31], -v[54:55]
	v_fma_f64 v[76:77], v[10:11], v[30:31], v[76:77]
	v_fma_f64 v[98:99], v[8:9], v[4:5], -v[98:99]
	v_fma_f64 v[100:101], v[10:11], v[4:5], v[100:101]
	s_waitcnt lgkmcnt(3)
	v_mul_f64 v[94:95], v[18:19], v[28:29]
	v_mul_f64 v[96:97], v[16:17], v[28:29]
	;; [unrolled: 1-line block ×4, first 2 shown]
	v_fma_f64 v[102:103], v[12:13], v[30:31], -v[102:103]
	v_fma_f64 v[32:33], v[14:15], v[30:31], v[32:33]
	v_fma_f64 v[108:109], v[12:13], v[4:5], -v[108:109]
	v_fma_f64 v[112:113], v[14:15], v[4:5], v[6:7]
	ds_load_b128 v[4:7], v23 offset:2144
	ds_load_b128 v[8:11], v23 offset:112
	;; [unrolled: 1-line block ×4, first 2 shown]
	v_add_f64 v[56:57], v[72:73], v[56:57]
	v_add_f64 v[72:73], v[74:75], v[86:87]
	;; [unrolled: 1-line block ×8, first 2 shown]
	s_waitcnt lgkmcnt(4)
	v_mul_f64 v[70:71], v[52:53], v[44:45]
	v_mul_f64 v[74:75], v[50:51], v[44:45]
	;; [unrolled: 1-line block ×4, first 2 shown]
	s_waitcnt lgkmcnt(3)
	v_mul_f64 v[82:83], v[6:7], v[44:45]
	v_mul_f64 v[44:45], v[4:5], v[44:45]
	;; [unrolled: 1-line block ×4, first 2 shown]
	v_fma_f64 v[86:87], v[16:17], v[38:39], -v[90:91]
	v_fma_f64 v[88:89], v[18:19], v[38:39], v[92:93]
	v_fma_f64 v[90:91], v[16:17], v[26:27], -v[94:95]
	v_fma_f64 v[92:93], v[18:19], v[26:27], v[96:97]
	;; [unrolled: 2-line block ×4, first 2 shown]
	ds_load_b128 v[16:19], v22 offset:3840
	s_waitcnt lgkmcnt(0)
	s_barrier
	buffer_gl0_inv
	v_add_f64 v[36:37], v[56:57], v[54:55]
	v_add_f64 v[40:41], v[72:73], v[76:77]
	;; [unrolled: 1-line block ×8, first 2 shown]
	v_mul_f64 v[64:65], v[10:11], v[30:31]
	v_mul_f64 v[66:67], v[8:9], v[30:31]
	;; [unrolled: 1-line block ×4, first 2 shown]
	v_fma_f64 v[70:71], v[50:51], v[42:43], -v[70:71]
	v_mul_f64 v[68:69], v[10:11], v[18:19]
	v_mul_f64 v[72:73], v[8:9], v[18:19]
	;; [unrolled: 1-line block ×4, first 2 shown]
	v_fma_f64 v[74:75], v[52:53], v[42:43], v[74:75]
	v_fma_f64 v[50:51], v[50:51], v[46:47], -v[78:79]
	v_fma_f64 v[52:53], v[52:53], v[46:47], v[80:81]
	v_fma_f64 v[78:79], v[4:5], v[42:43], -v[82:83]
	;; [unrolled: 2-line block ×3, first 2 shown]
	v_fma_f64 v[6:7], v[6:7], v[46:47], v[48:49]
	v_add_f64 v[36:37], v[36:37], v[86:87]
	v_add_f64 v[40:41], v[40:41], v[88:89]
	;; [unrolled: 1-line block ×8, first 2 shown]
	v_fma_f64 v[38:39], v[8:9], v[28:29], -v[64:65]
	v_fma_f64 v[54:55], v[10:11], v[28:29], v[66:67]
	v_fma_f64 v[56:57], v[12:13], v[28:29], -v[76:77]
	v_fma_f64 v[28:29], v[14:15], v[28:29], v[30:31]
	;; [unrolled: 2-line block ×4, first 2 shown]
	v_add_f64 v[12:13], v[36:37], v[70:71]
	v_add_f64 v[14:15], v[40:41], v[74:75]
	;; [unrolled: 1-line block ×16, first 2 shown]
	s_cbranch_scc0 .LBB875_2
.LBB875_3:
	s_load_b32 s3, s[0:1], 0x60
	v_add_nc_u32_e32 v21, s20, v21
	v_add_nc_u32_e32 v0, s10, v20
	s_delay_alu instid0(VALU_DEP_1) | instskip(SKIP_1) | instid1(VALU_DEP_2)
	v_cmp_le_i32_e64 s0, v21, v0
	v_cmp_gt_i32_e32 vcc_lo, s2, v0
	s_and_b32 s0, s0, vcc_lo
	s_waitcnt lgkmcnt(0)
	v_mad_i64_i32 v[1:2], null, v21, s3, 0
	s_delay_alu instid0(VALU_DEP_1) | instskip(NEXT) | instid1(VALU_DEP_1)
	v_lshlrev_b64 v[1:2], 4, v[1:2]
	v_add_co_u32 v20, s1, s8, v1
	s_delay_alu instid0(VALU_DEP_1)
	v_add_co_ci_u32_e64 v22, s1, s9, v2, s1
	s_and_saveexec_b32 s10, s0
	s_cbranch_execz .LBB875_5
; %bb.4:
	v_mul_f64 v[1:2], s[4:5], v[18:19]
	v_mul_f64 v[18:19], s[6:7], v[18:19]
	v_cmp_ne_u32_e64 s0, v21, v0
	s_delay_alu instid0(VALU_DEP_3) | instskip(NEXT) | instid1(VALU_DEP_3)
	v_fma_f64 v[2:3], s[6:7], v[16:17], v[1:2]
	v_fma_f64 v[16:17], s[4:5], v[16:17], -v[18:19]
	v_ashrrev_i32_e32 v1, 31, v0
	s_delay_alu instid0(VALU_DEP_1) | instskip(NEXT) | instid1(VALU_DEP_1)
	v_lshlrev_b64 v[18:19], 4, v[0:1]
	v_add_co_u32 v23, s1, v20, v18
	s_delay_alu instid0(VALU_DEP_1)
	v_add_co_ci_u32_e64 v24, s1, v22, v19, s1
	v_cndmask_b32_e64 v19, 0, v3, s0
	v_cndmask_b32_e64 v18, 0, v2, s0
	global_store_b128 v[23:24], v[16:19], off
.LBB875_5:
	s_or_b32 exec_lo, exec_lo, s10
	v_add_nc_u32_e32 v2, 16, v0
	s_delay_alu instid0(VALU_DEP_1) | instskip(SKIP_1) | instid1(VALU_DEP_1)
	v_cmp_le_i32_e64 s1, v21, v2
	v_cmp_gt_i32_e64 s0, s2, v2
	s_and_b32 s1, s1, s0
	s_delay_alu instid0(SALU_CYCLE_1)
	s_and_saveexec_b32 s10, s1
	s_cbranch_execz .LBB875_7
; %bb.6:
	v_mul_f64 v[16:17], s[4:5], v[14:15]
	v_mul_f64 v[14:15], s[6:7], v[14:15]
	v_ashrrev_i32_e32 v3, 31, v2
	v_cmp_ne_u32_e64 s1, v21, v2
	s_delay_alu instid0(VALU_DEP_4) | instskip(NEXT) | instid1(VALU_DEP_4)
	v_fma_f64 v[16:17], s[6:7], v[12:13], v[16:17]
	v_fma_f64 v[12:13], s[4:5], v[12:13], -v[14:15]
	s_delay_alu instid0(VALU_DEP_4) | instskip(NEXT) | instid1(VALU_DEP_1)
	v_lshlrev_b64 v[14:15], 4, v[2:3]
	v_add_co_u32 v18, s2, v20, v14
	s_delay_alu instid0(VALU_DEP_1)
	v_add_co_ci_u32_e64 v19, s2, v22, v15, s2
	v_cndmask_b32_e64 v15, 0, v17, s1
	v_cndmask_b32_e64 v14, 0, v16, s1
	global_store_b128 v[18:19], v[12:15], off
.LBB875_7:
	s_or_b32 exec_lo, exec_lo, s10
	v_add_nc_u32_e32 v3, 16, v21
	s_delay_alu instid0(VALU_DEP_1) | instskip(SKIP_1) | instid1(VALU_DEP_1)
	v_mad_i64_i32 v[12:13], null, v3, s3, 0
	v_cmp_le_i32_e64 s1, v3, v0
	s_and_b32 s1, s1, vcc_lo
	s_delay_alu instid0(VALU_DEP_2) | instskip(NEXT) | instid1(VALU_DEP_1)
	v_lshlrev_b64 v[12:13], 4, v[12:13]
	v_add_co_u32 v12, s2, s8, v12
	s_delay_alu instid0(VALU_DEP_1)
	v_add_co_ci_u32_e64 v13, s2, s9, v13, s2
	s_and_saveexec_b32 s2, s1
	s_cbranch_execz .LBB875_9
; %bb.8:
	v_mul_f64 v[14:15], s[4:5], v[8:9]
	v_mul_f64 v[8:9], s[6:7], v[8:9]
	v_ashrrev_i32_e32 v1, 31, v0
	v_cmp_ne_u32_e32 vcc_lo, v3, v0
	s_delay_alu instid0(VALU_DEP_4) | instskip(NEXT) | instid1(VALU_DEP_4)
	v_fma_f64 v[14:15], s[6:7], v[10:11], v[14:15]
	v_fma_f64 v[8:9], s[4:5], v[10:11], -v[8:9]
	s_delay_alu instid0(VALU_DEP_4) | instskip(NEXT) | instid1(VALU_DEP_1)
	v_lshlrev_b64 v[10:11], 4, v[0:1]
	v_add_co_u32 v16, s1, v12, v10
	s_delay_alu instid0(VALU_DEP_1)
	v_add_co_ci_u32_e64 v17, s1, v13, v11, s1
	v_dual_cndmask_b32 v11, 0, v15 :: v_dual_cndmask_b32 v10, 0, v14
	global_store_b128 v[16:17], v[8:11], off
.LBB875_9:
	s_or_b32 exec_lo, exec_lo, s2
	v_cmp_le_i32_e32 vcc_lo, v3, v2
	s_and_b32 s0, vcc_lo, s0
	s_delay_alu instid0(SALU_CYCLE_1)
	s_and_saveexec_b32 s1, s0
	s_cbranch_execz .LBB875_11
; %bb.10:
	v_mul_f64 v[8:9], s[4:5], v[4:5]
	v_mul_f64 v[3:4], s[6:7], v[4:5]
	v_cmp_ne_u32_e32 vcc_lo, v21, v0
	s_delay_alu instid0(VALU_DEP_3) | instskip(NEXT) | instid1(VALU_DEP_3)
	v_fma_f64 v[8:9], s[6:7], v[6:7], v[8:9]
	v_fma_f64 v[4:5], s[4:5], v[6:7], -v[3:4]
	v_ashrrev_i32_e32 v3, 31, v2
	s_delay_alu instid0(VALU_DEP_1) | instskip(NEXT) | instid1(VALU_DEP_1)
	v_lshlrev_b64 v[1:2], 4, v[2:3]
	v_add_co_u32 v0, s0, v12, v1
	s_delay_alu instid0(VALU_DEP_1)
	v_add_co_ci_u32_e64 v1, s0, v13, v2, s0
	v_dual_cndmask_b32 v7, 0, v9 :: v_dual_cndmask_b32 v6, 0, v8
	global_store_b128 v[0:1], v[4:7], off
.LBB875_11:
	s_nop 0
	s_sendmsg sendmsg(MSG_DEALLOC_VGPRS)
	s_endpgm
	.section	.rodata,"a",@progbits
	.p2align	6, 0x0
	.amdhsa_kernel _ZL37rocblas_syrkx_herkx_restricted_kernelIi19rocblas_complex_numIdELi16ELi32ELi8ELb1ELb1ELc78ELc76EKPKS1_KPS1_EviT_T0_PT8_S7_lSA_S7_lS8_PT9_S7_li
		.amdhsa_group_segment_fixed_size 8192
		.amdhsa_private_segment_fixed_size 0
		.amdhsa_kernarg_size 116
		.amdhsa_user_sgpr_count 13
		.amdhsa_user_sgpr_dispatch_ptr 0
		.amdhsa_user_sgpr_queue_ptr 0
		.amdhsa_user_sgpr_kernarg_segment_ptr 1
		.amdhsa_user_sgpr_dispatch_id 0
		.amdhsa_user_sgpr_private_segment_size 0
		.amdhsa_wavefront_size32 1
		.amdhsa_uses_dynamic_stack 0
		.amdhsa_enable_private_segment 0
		.amdhsa_system_sgpr_workgroup_id_x 1
		.amdhsa_system_sgpr_workgroup_id_y 1
		.amdhsa_system_sgpr_workgroup_id_z 1
		.amdhsa_system_sgpr_workgroup_info 0
		.amdhsa_system_vgpr_workitem_id 1
		.amdhsa_next_free_vgpr 118
		.amdhsa_next_free_sgpr 24
		.amdhsa_reserve_vcc 1
		.amdhsa_float_round_mode_32 0
		.amdhsa_float_round_mode_16_64 0
		.amdhsa_float_denorm_mode_32 3
		.amdhsa_float_denorm_mode_16_64 3
		.amdhsa_dx10_clamp 1
		.amdhsa_ieee_mode 1
		.amdhsa_fp16_overflow 0
		.amdhsa_workgroup_processor_mode 1
		.amdhsa_memory_ordered 1
		.amdhsa_forward_progress 0
		.amdhsa_shared_vgpr_count 0
		.amdhsa_exception_fp_ieee_invalid_op 0
		.amdhsa_exception_fp_denorm_src 0
		.amdhsa_exception_fp_ieee_div_zero 0
		.amdhsa_exception_fp_ieee_overflow 0
		.amdhsa_exception_fp_ieee_underflow 0
		.amdhsa_exception_fp_ieee_inexact 0
		.amdhsa_exception_int_div_zero 0
	.end_amdhsa_kernel
	.section	.text._ZL37rocblas_syrkx_herkx_restricted_kernelIi19rocblas_complex_numIdELi16ELi32ELi8ELb1ELb1ELc78ELc76EKPKS1_KPS1_EviT_T0_PT8_S7_lSA_S7_lS8_PT9_S7_li,"axG",@progbits,_ZL37rocblas_syrkx_herkx_restricted_kernelIi19rocblas_complex_numIdELi16ELi32ELi8ELb1ELb1ELc78ELc76EKPKS1_KPS1_EviT_T0_PT8_S7_lSA_S7_lS8_PT9_S7_li,comdat
.Lfunc_end875:
	.size	_ZL37rocblas_syrkx_herkx_restricted_kernelIi19rocblas_complex_numIdELi16ELi32ELi8ELb1ELb1ELc78ELc76EKPKS1_KPS1_EviT_T0_PT8_S7_lSA_S7_lS8_PT9_S7_li, .Lfunc_end875-_ZL37rocblas_syrkx_herkx_restricted_kernelIi19rocblas_complex_numIdELi16ELi32ELi8ELb1ELb1ELc78ELc76EKPKS1_KPS1_EviT_T0_PT8_S7_lSA_S7_lS8_PT9_S7_li
                                        ; -- End function
	.section	.AMDGPU.csdata,"",@progbits
; Kernel info:
; codeLenInByte = 3112
; NumSgprs: 26
; NumVgprs: 118
; ScratchSize: 0
; MemoryBound: 0
; FloatMode: 240
; IeeeMode: 1
; LDSByteSize: 8192 bytes/workgroup (compile time only)
; SGPRBlocks: 3
; VGPRBlocks: 14
; NumSGPRsForWavesPerEU: 26
; NumVGPRsForWavesPerEU: 118
; Occupancy: 12
; WaveLimiterHint : 1
; COMPUTE_PGM_RSRC2:SCRATCH_EN: 0
; COMPUTE_PGM_RSRC2:USER_SGPR: 13
; COMPUTE_PGM_RSRC2:TRAP_HANDLER: 0
; COMPUTE_PGM_RSRC2:TGID_X_EN: 1
; COMPUTE_PGM_RSRC2:TGID_Y_EN: 1
; COMPUTE_PGM_RSRC2:TGID_Z_EN: 1
; COMPUTE_PGM_RSRC2:TIDIG_COMP_CNT: 1
	.section	.text._ZL37rocblas_syrkx_herkx_restricted_kernelIi19rocblas_complex_numIdELi16ELi32ELi8ELb1ELb1ELc84ELc85EKPKS1_KPS1_EviT_T0_PT8_S7_lSA_S7_lS8_PT9_S7_li,"axG",@progbits,_ZL37rocblas_syrkx_herkx_restricted_kernelIi19rocblas_complex_numIdELi16ELi32ELi8ELb1ELb1ELc84ELc85EKPKS1_KPS1_EviT_T0_PT8_S7_lSA_S7_lS8_PT9_S7_li,comdat
	.globl	_ZL37rocblas_syrkx_herkx_restricted_kernelIi19rocblas_complex_numIdELi16ELi32ELi8ELb1ELb1ELc84ELc85EKPKS1_KPS1_EviT_T0_PT8_S7_lSA_S7_lS8_PT9_S7_li ; -- Begin function _ZL37rocblas_syrkx_herkx_restricted_kernelIi19rocblas_complex_numIdELi16ELi32ELi8ELb1ELb1ELc84ELc85EKPKS1_KPS1_EviT_T0_PT8_S7_lSA_S7_lS8_PT9_S7_li
	.p2align	8
	.type	_ZL37rocblas_syrkx_herkx_restricted_kernelIi19rocblas_complex_numIdELi16ELi32ELi8ELb1ELb1ELc84ELc85EKPKS1_KPS1_EviT_T0_PT8_S7_lSA_S7_lS8_PT9_S7_li,@function
_ZL37rocblas_syrkx_herkx_restricted_kernelIi19rocblas_complex_numIdELi16ELi32ELi8ELb1ELb1ELc84ELc85EKPKS1_KPS1_EviT_T0_PT8_S7_lSA_S7_lS8_PT9_S7_li: ; @_ZL37rocblas_syrkx_herkx_restricted_kernelIi19rocblas_complex_numIdELi16ELi32ELi8ELb1ELb1ELc84ELc85EKPKS1_KPS1_EviT_T0_PT8_S7_lSA_S7_lS8_PT9_S7_li
; %bb.0:
	s_clause 0x2
	s_load_b64 s[4:5], s[0:1], 0x58
	s_load_b64 s[18:19], s[0:1], 0x18
	;; [unrolled: 1-line block ×3, first 2 shown]
	s_mov_b32 s10, s15
	s_mov_b32 s11, 0
	v_mov_b32_e32 v16, 0
	s_lshl_b64 s[16:17], s[10:11], 3
	v_dual_mov_b32 v17, 0 :: v_dual_and_b32 v20, 0x3ff, v0
	v_bfe_u32 v21, v0, 10, 10
	s_delay_alu instid0(VALU_DEP_3) | instskip(NEXT) | instid1(VALU_DEP_3)
	v_mov_b32_e32 v12, v16
	v_dual_mov_b32 v14, v16 :: v_dual_mov_b32 v15, v17
	v_dual_mov_b32 v19, v17 :: v_dual_mov_b32 v18, v16
	;; [unrolled: 1-line block ×4, first 2 shown]
	v_mov_b32_e32 v11, v17
	s_waitcnt lgkmcnt(0)
	s_add_u32 s8, s4, s16
	s_addc_u32 s9, s5, s17
	s_load_b128 s[4:7], s[0:1], 0x8
	s_load_b64 s[8:9], s[8:9], 0x0
	v_dual_mov_b32 v6, v16 :: v_dual_mov_b32 v7, v17
	v_dual_mov_b32 v4, v16 :: v_dual_mov_b32 v5, v17
	s_lshl_b32 s10, s13, 5
	s_lshl_b32 s12, s14, 5
	s_cmp_lt_i32 s3, 1
	s_cbranch_scc1 .LBB876_3
; %bb.1:
	s_clause 0x2
	s_load_b64 s[14:15], s[0:1], 0x30
	s_load_b32 s13, s[0:1], 0x20
	s_load_b32 s20, s[0:1], 0x38
	v_lshl_add_u32 v2, v21, 4, v20
	v_dual_mov_b32 v1, 0 :: v_dual_and_b32 v0, 7, v20
	s_add_u32 s18, s18, s16
	v_lshlrev_b32_e32 v22, 4, v20
	s_delay_alu instid0(VALU_DEP_3) | instskip(SKIP_3) | instid1(VALU_DEP_3)
	v_and_b32_e32 v10, 31, v2
	s_addc_u32 s19, s19, s17
	v_lshrrev_b32_e32 v11, 3, v2
	v_lshrrev_b32_e32 v2, 5, v2
	v_dual_mov_b32 v3, v1 :: v_dual_add_nc_u32 v4, s10, v10
	s_load_b64 s[18:19], s[18:19], 0x0
	v_lshl_add_u32 v23, v21, 7, 0x1000
	s_waitcnt lgkmcnt(0)
	s_add_u32 s14, s14, s16
	s_addc_u32 s15, s15, s17
	v_mad_i64_i32 v[6:7], null, s13, v4, v[2:3]
	s_load_b64 s[14:15], s[14:15], 0x0
	v_dual_mov_b32 v4, 0 :: v_dual_lshlrev_b32 v3, 4, v0
	v_dual_mov_b32 v5, 0 :: v_dual_add_nc_u32 v12, s12, v11
	v_lshlrev_b32_e32 v10, 4, v10
	s_delay_alu instid0(VALU_DEP_3) | instskip(NEXT) | instid1(VALU_DEP_3)
	v_lshl_or_b32 v3, v11, 7, v3
	v_mov_b32_e32 v15, v5
	s_delay_alu instid0(VALU_DEP_4)
	v_mad_i64_i32 v[8:9], null, s20, v12, v[0:1]
	v_lshlrev_b64 v[0:1], 4, v[6:7]
	v_dual_mov_b32 v7, v5 :: v_dual_mov_b32 v6, v4
	v_add_nc_u32_e32 v25, 0x1000, v3
	v_lshl_or_b32 v24, v2, 9, v10
	v_dual_mov_b32 v14, v4 :: v_dual_mov_b32 v13, v5
	v_lshlrev_b64 v[2:3], 4, v[8:9]
	v_add_co_u32 v0, vcc_lo, v0, s18
	v_add_co_ci_u32_e32 v1, vcc_lo, s19, v1, vcc_lo
	v_mov_b32_e32 v9, v5
	s_waitcnt lgkmcnt(0)
	s_delay_alu instid0(VALU_DEP_4)
	v_add_co_u32 v2, vcc_lo, v2, s14
	v_add_co_ci_u32_e32 v3, vcc_lo, s15, v3, vcc_lo
	v_add_co_u32 v0, vcc_lo, v0, 8
	v_mov_b32_e32 v8, v4
	v_add_co_ci_u32_e32 v1, vcc_lo, 0, v1, vcc_lo
	v_add_co_u32 v2, vcc_lo, v2, 8
	v_dual_mov_b32 v12, v4 :: v_dual_mov_b32 v19, v5
	v_dual_mov_b32 v18, v4 :: v_dual_mov_b32 v17, v5
	v_add_co_ci_u32_e32 v3, vcc_lo, 0, v3, vcc_lo
	v_dual_mov_b32 v11, v5 :: v_dual_mov_b32 v10, v4
	v_mov_b32_e32 v16, v4
.LBB876_2:                              ; =>This Inner Loop Header: Depth=1
	global_load_b128 v[26:29], v[0:1], off offset:-8
	global_load_b128 v[30:33], v[2:3], off offset:-8
	v_add_co_u32 v0, vcc_lo, 0x80, v0
	v_add_co_ci_u32_e32 v1, vcc_lo, 0, v1, vcc_lo
	v_add_co_u32 v2, vcc_lo, 0x80, v2
	v_add_co_ci_u32_e32 v3, vcc_lo, 0, v3, vcc_lo
	s_add_i32 s11, s11, 8
	s_waitcnt vmcnt(1)
	ds_store_b128 v24, v[26:29]
	s_waitcnt vmcnt(0)
	ds_store_b128 v25, v[30:33]
	s_waitcnt lgkmcnt(0)
	s_barrier
	buffer_gl0_inv
	ds_load_b128 v[26:29], v23
	ds_load_b128 v[30:33], v22
	ds_load_b128 v[34:37], v22 offset:256
	ds_load_b128 v[38:41], v23 offset:2048
	;; [unrolled: 1-line block ×13, first 2 shown]
	s_cmp_ge_i32 s11, s3
	s_waitcnt lgkmcnt(13)
	v_mul_f64 v[86:87], v[28:29], v[32:33]
	v_mul_f64 v[88:89], v[26:27], v[32:33]
	s_waitcnt lgkmcnt(12)
	v_mul_f64 v[90:91], v[28:29], v[36:37]
	v_mul_f64 v[92:93], v[26:27], v[36:37]
	;; [unrolled: 3-line block ×3, first 2 shown]
	v_mul_f64 v[96:97], v[40:41], v[36:37]
	v_mul_f64 v[36:37], v[38:39], v[36:37]
	s_waitcnt lgkmcnt(8)
	v_mul_f64 v[98:99], v[44:45], v[52:53]
	v_mul_f64 v[100:101], v[42:43], v[52:53]
	s_waitcnt lgkmcnt(7)
	v_mul_f64 v[102:103], v[44:45], v[56:57]
	v_mul_f64 v[104:105], v[42:43], v[56:57]
	;; [unrolled: 1-line block ×6, first 2 shown]
	s_waitcnt lgkmcnt(3)
	v_mul_f64 v[112:113], v[58:59], v[72:73]
	s_waitcnt lgkmcnt(2)
	v_mul_f64 v[114:115], v[76:77], v[68:69]
	v_mul_f64 v[116:117], v[76:77], v[72:73]
	v_fma_f64 v[86:87], v[26:27], v[30:31], -v[86:87]
	v_fma_f64 v[88:89], v[28:29], v[30:31], v[88:89]
	v_fma_f64 v[90:91], v[26:27], v[34:35], -v[90:91]
	v_fma_f64 v[92:93], v[28:29], v[34:35], v[92:93]
	;; [unrolled: 2-line block ×4, first 2 shown]
	v_mul_f64 v[36:37], v[60:61], v[68:69]
	v_mul_f64 v[40:41], v[58:59], v[68:69]
	;; [unrolled: 1-line block ×5, first 2 shown]
	v_fma_f64 v[98:99], v[42:43], v[50:51], -v[98:99]
	v_fma_f64 v[100:101], v[44:45], v[50:51], v[100:101]
	v_fma_f64 v[42:43], v[42:43], v[54:55], -v[102:103]
	v_fma_f64 v[44:45], v[44:45], v[54:55], v[104:105]
	;; [unrolled: 2-line block ×4, first 2 shown]
	ds_load_b128 v[26:29], v22 offset:1792
	ds_load_b128 v[30:33], v22 offset:2048
	s_waitcnt lgkmcnt(2)
	v_mul_f64 v[56:57], v[64:65], v[84:85]
	v_add_f64 v[16:17], v[16:17], v[86:87]
	v_add_f64 v[18:19], v[18:19], v[88:89]
	;; [unrolled: 1-line block ×8, first 2 shown]
	v_mul_f64 v[86:87], v[62:63], v[84:85]
	s_waitcnt lgkmcnt(1)
	v_mul_f64 v[88:89], v[64:65], v[28:29]
	v_mul_f64 v[90:91], v[62:63], v[28:29]
	;; [unrolled: 1-line block ×6, first 2 shown]
	v_fma_f64 v[104:105], v[58:59], v[66:67], -v[36:37]
	v_fma_f64 v[106:107], v[60:61], v[66:67], v[40:41]
	v_fma_f64 v[58:59], v[58:59], v[70:71], -v[96:97]
	v_fma_f64 v[60:61], v[60:61], v[70:71], v[112:113]
	;; [unrolled: 2-line block ×4, first 2 shown]
	ds_load_b128 v[4:7], v22 offset:2304
	ds_load_b128 v[8:11], v23 offset:64
	v_fma_f64 v[56:57], v[62:63], v[82:83], -v[56:57]
	v_add_f64 v[72:73], v[16:17], v[98:99]
	v_add_f64 v[74:75], v[18:19], v[100:101]
	;; [unrolled: 1-line block ×8, first 2 shown]
	ds_load_b128 v[12:15], v23 offset:2112
	ds_load_b128 v[16:19], v23 offset:80
	;; [unrolled: 1-line block ×4, first 2 shown]
	s_waitcnt lgkmcnt(4)
	v_mul_f64 v[54:55], v[10:11], v[32:33]
	v_mul_f64 v[76:77], v[8:9], v[32:33]
	;; [unrolled: 1-line block ×4, first 2 shown]
	v_fma_f64 v[86:87], v[64:65], v[82:83], v[86:87]
	v_fma_f64 v[62:63], v[62:63], v[26:27], -v[88:89]
	v_fma_f64 v[64:65], v[64:65], v[26:27], v[90:91]
	v_fma_f64 v[88:89], v[78:79], v[82:83], -v[92:93]
	v_fma_f64 v[82:83], v[80:81], v[82:83], v[84:85]
	v_fma_f64 v[78:79], v[78:79], v[26:27], -v[94:95]
	v_fma_f64 v[80:81], v[80:81], v[26:27], v[28:29]
	s_waitcnt lgkmcnt(3)
	v_mul_f64 v[102:103], v[14:15], v[32:33]
	v_mul_f64 v[32:33], v[12:13], v[32:33]
	;; [unrolled: 1-line block ×4, first 2 shown]
	s_waitcnt lgkmcnt(0)
	v_mul_f64 v[90:91], v[18:19], v[40:41]
	v_mul_f64 v[92:93], v[16:17], v[40:41]
	v_add_f64 v[72:73], v[72:73], v[104:105]
	v_add_f64 v[74:75], v[74:75], v[106:107]
	;; [unrolled: 1-line block ×8, first 2 shown]
	ds_load_b128 v[26:29], v22 offset:2816
	ds_load_b128 v[42:45], v22 offset:3072
	;; [unrolled: 1-line block ×4, first 2 shown]
	v_mul_f64 v[104:105], v[36:37], v[40:41]
	v_mul_f64 v[40:41], v[34:35], v[40:41]
	v_fma_f64 v[54:55], v[8:9], v[30:31], -v[54:55]
	v_fma_f64 v[76:77], v[10:11], v[30:31], v[76:77]
	v_fma_f64 v[98:99], v[8:9], v[4:5], -v[98:99]
	v_fma_f64 v[100:101], v[10:11], v[4:5], v[100:101]
	s_waitcnt lgkmcnt(3)
	v_mul_f64 v[94:95], v[18:19], v[28:29]
	v_mul_f64 v[96:97], v[16:17], v[28:29]
	;; [unrolled: 1-line block ×4, first 2 shown]
	v_fma_f64 v[102:103], v[12:13], v[30:31], -v[102:103]
	v_fma_f64 v[32:33], v[14:15], v[30:31], v[32:33]
	v_fma_f64 v[108:109], v[12:13], v[4:5], -v[108:109]
	v_fma_f64 v[112:113], v[14:15], v[4:5], v[6:7]
	ds_load_b128 v[4:7], v23 offset:2144
	ds_load_b128 v[8:11], v23 offset:112
	;; [unrolled: 1-line block ×4, first 2 shown]
	v_add_f64 v[56:57], v[72:73], v[56:57]
	v_add_f64 v[72:73], v[74:75], v[86:87]
	;; [unrolled: 1-line block ×8, first 2 shown]
	s_waitcnt lgkmcnt(4)
	v_mul_f64 v[70:71], v[52:53], v[44:45]
	v_mul_f64 v[74:75], v[50:51], v[44:45]
	;; [unrolled: 1-line block ×4, first 2 shown]
	s_waitcnt lgkmcnt(3)
	v_mul_f64 v[82:83], v[6:7], v[44:45]
	v_mul_f64 v[44:45], v[4:5], v[44:45]
	;; [unrolled: 1-line block ×4, first 2 shown]
	v_fma_f64 v[86:87], v[16:17], v[38:39], -v[90:91]
	v_fma_f64 v[88:89], v[18:19], v[38:39], v[92:93]
	v_fma_f64 v[90:91], v[16:17], v[26:27], -v[94:95]
	v_fma_f64 v[92:93], v[18:19], v[26:27], v[96:97]
	v_fma_f64 v[94:95], v[34:35], v[38:39], -v[104:105]
	v_fma_f64 v[38:39], v[36:37], v[38:39], v[40:41]
	v_fma_f64 v[34:35], v[34:35], v[26:27], -v[106:107]
	v_fma_f64 v[26:27], v[36:37], v[26:27], v[110:111]
	ds_load_b128 v[16:19], v22 offset:3840
	s_waitcnt lgkmcnt(0)
	s_barrier
	buffer_gl0_inv
	v_add_f64 v[36:37], v[56:57], v[54:55]
	v_add_f64 v[40:41], v[72:73], v[76:77]
	;; [unrolled: 1-line block ×8, first 2 shown]
	v_mul_f64 v[64:65], v[10:11], v[30:31]
	v_mul_f64 v[66:67], v[8:9], v[30:31]
	;; [unrolled: 1-line block ×4, first 2 shown]
	v_fma_f64 v[70:71], v[50:51], v[42:43], -v[70:71]
	v_mul_f64 v[68:69], v[10:11], v[18:19]
	v_mul_f64 v[72:73], v[8:9], v[18:19]
	;; [unrolled: 1-line block ×4, first 2 shown]
	v_fma_f64 v[74:75], v[52:53], v[42:43], v[74:75]
	v_fma_f64 v[50:51], v[50:51], v[46:47], -v[78:79]
	v_fma_f64 v[52:53], v[52:53], v[46:47], v[80:81]
	v_fma_f64 v[78:79], v[4:5], v[42:43], -v[82:83]
	;; [unrolled: 2-line block ×3, first 2 shown]
	v_fma_f64 v[6:7], v[6:7], v[46:47], v[48:49]
	v_add_f64 v[36:37], v[36:37], v[86:87]
	v_add_f64 v[40:41], v[40:41], v[88:89]
	v_add_f64 v[44:45], v[54:55], v[90:91]
	v_add_f64 v[46:47], v[56:57], v[92:93]
	v_add_f64 v[48:49], v[58:59], v[94:95]
	v_add_f64 v[32:33], v[32:33], v[38:39]
	v_add_f64 v[34:35], v[60:61], v[34:35]
	v_add_f64 v[26:27], v[62:63], v[26:27]
	v_fma_f64 v[38:39], v[8:9], v[28:29], -v[64:65]
	v_fma_f64 v[54:55], v[10:11], v[28:29], v[66:67]
	v_fma_f64 v[56:57], v[12:13], v[28:29], -v[76:77]
	v_fma_f64 v[28:29], v[14:15], v[28:29], v[30:31]
	;; [unrolled: 2-line block ×4, first 2 shown]
	v_add_f64 v[12:13], v[36:37], v[70:71]
	v_add_f64 v[14:15], v[40:41], v[74:75]
	v_add_f64 v[36:37], v[44:45], v[50:51]
	v_add_f64 v[40:41], v[46:47], v[52:53]
	v_add_f64 v[44:45], v[48:49], v[78:79]
	v_add_f64 v[32:33], v[32:33], v[42:43]
	v_add_f64 v[4:5], v[34:35], v[4:5]
	v_add_f64 v[26:27], v[26:27], v[6:7]
	v_add_f64 v[16:17], v[12:13], v[38:39]
	v_add_f64 v[18:19], v[14:15], v[54:55]
	v_add_f64 v[12:13], v[36:37], v[8:9]
	v_add_f64 v[14:15], v[40:41], v[10:11]
	v_add_f64 v[8:9], v[44:45], v[56:57]
	v_add_f64 v[10:11], v[32:33], v[28:29]
	v_add_f64 v[6:7], v[4:5], v[30:31]
	v_add_f64 v[4:5], v[26:27], v[58:59]
	s_cbranch_scc0 .LBB876_2
.LBB876_3:
	s_load_b32 s3, s[0:1], 0x60
	v_add_nc_u32_e32 v21, s12, v21
	v_add_nc_u32_e32 v0, s10, v20
	s_delay_alu instid0(VALU_DEP_2) | instskip(NEXT) | instid1(VALU_DEP_2)
	v_cmp_gt_i32_e32 vcc_lo, s2, v21
	v_cmp_le_i32_e64 s0, v0, v21
	s_delay_alu instid0(VALU_DEP_1) | instskip(SKIP_2) | instid1(VALU_DEP_1)
	s_and_b32 s0, vcc_lo, s0
	s_waitcnt lgkmcnt(0)
	v_mad_i64_i32 v[1:2], null, v21, s3, 0
	v_lshlrev_b64 v[1:2], 4, v[1:2]
	s_delay_alu instid0(VALU_DEP_1) | instskip(NEXT) | instid1(VALU_DEP_1)
	v_add_co_u32 v20, s1, s8, v1
	v_add_co_ci_u32_e64 v22, s1, s9, v2, s1
	s_and_saveexec_b32 s10, s0
	s_cbranch_execz .LBB876_5
; %bb.4:
	v_mul_f64 v[1:2], s[4:5], v[18:19]
	v_mul_f64 v[18:19], s[6:7], v[18:19]
	v_cmp_ne_u32_e64 s0, v21, v0
	s_delay_alu instid0(VALU_DEP_3) | instskip(NEXT) | instid1(VALU_DEP_3)
	v_fma_f64 v[2:3], s[6:7], v[16:17], v[1:2]
	v_fma_f64 v[16:17], s[4:5], v[16:17], -v[18:19]
	v_ashrrev_i32_e32 v1, 31, v0
	s_delay_alu instid0(VALU_DEP_1) | instskip(NEXT) | instid1(VALU_DEP_1)
	v_lshlrev_b64 v[18:19], 4, v[0:1]
	v_add_co_u32 v23, s1, v20, v18
	s_delay_alu instid0(VALU_DEP_1)
	v_add_co_ci_u32_e64 v24, s1, v22, v19, s1
	v_cndmask_b32_e64 v19, 0, v3, s0
	v_cndmask_b32_e64 v18, 0, v2, s0
	global_store_b128 v[23:24], v[16:19], off
.LBB876_5:
	s_or_b32 exec_lo, exec_lo, s10
	v_add_nc_u32_e32 v2, 16, v0
	s_delay_alu instid0(VALU_DEP_1) | instskip(NEXT) | instid1(VALU_DEP_1)
	v_cmp_le_i32_e64 s0, v2, v21
	s_and_b32 s0, vcc_lo, s0
	s_delay_alu instid0(SALU_CYCLE_1)
	s_and_saveexec_b32 s1, s0
	s_cbranch_execz .LBB876_7
; %bb.6:
	v_mul_f64 v[16:17], s[4:5], v[14:15]
	v_mul_f64 v[14:15], s[6:7], v[14:15]
	v_ashrrev_i32_e32 v3, 31, v2
	v_cmp_ne_u32_e32 vcc_lo, v21, v2
	s_delay_alu instid0(VALU_DEP_4) | instskip(NEXT) | instid1(VALU_DEP_4)
	v_fma_f64 v[16:17], s[6:7], v[12:13], v[16:17]
	v_fma_f64 v[12:13], s[4:5], v[12:13], -v[14:15]
	s_delay_alu instid0(VALU_DEP_4) | instskip(NEXT) | instid1(VALU_DEP_1)
	v_lshlrev_b64 v[14:15], 4, v[2:3]
	v_add_co_u32 v18, s0, v20, v14
	s_delay_alu instid0(VALU_DEP_1)
	v_add_co_ci_u32_e64 v19, s0, v22, v15, s0
	v_dual_cndmask_b32 v15, 0, v17 :: v_dual_cndmask_b32 v14, 0, v16
	global_store_b128 v[18:19], v[12:15], off
.LBB876_7:
	s_or_b32 exec_lo, exec_lo, s1
	v_add_nc_u32_e32 v3, 16, v21
	s_delay_alu instid0(VALU_DEP_1) | instskip(SKIP_2) | instid1(VALU_DEP_1)
	v_mad_i64_i32 v[12:13], null, v3, s3, 0
	v_cmp_gt_i32_e32 vcc_lo, s2, v3
	v_cmp_le_i32_e64 s0, v0, v3
	s_and_b32 s0, vcc_lo, s0
	s_delay_alu instid0(VALU_DEP_3) | instskip(NEXT) | instid1(VALU_DEP_1)
	v_lshlrev_b64 v[12:13], 4, v[12:13]
	v_add_co_u32 v12, s1, s8, v12
	s_delay_alu instid0(VALU_DEP_1)
	v_add_co_ci_u32_e64 v13, s1, s9, v13, s1
	s_and_saveexec_b32 s2, s0
	s_cbranch_execz .LBB876_9
; %bb.8:
	v_mul_f64 v[14:15], s[4:5], v[10:11]
	v_mul_f64 v[10:11], s[6:7], v[10:11]
	v_ashrrev_i32_e32 v1, 31, v0
	v_cmp_ne_u32_e64 s0, v3, v0
	s_delay_alu instid0(VALU_DEP_4) | instskip(NEXT) | instid1(VALU_DEP_4)
	v_fma_f64 v[14:15], s[6:7], v[8:9], v[14:15]
	v_fma_f64 v[8:9], s[4:5], v[8:9], -v[10:11]
	s_delay_alu instid0(VALU_DEP_4) | instskip(NEXT) | instid1(VALU_DEP_1)
	v_lshlrev_b64 v[10:11], 4, v[0:1]
	v_add_co_u32 v16, s1, v12, v10
	s_delay_alu instid0(VALU_DEP_1)
	v_add_co_ci_u32_e64 v17, s1, v13, v11, s1
	v_cndmask_b32_e64 v11, 0, v15, s0
	v_cndmask_b32_e64 v10, 0, v14, s0
	global_store_b128 v[16:17], v[8:11], off
.LBB876_9:
	s_or_b32 exec_lo, exec_lo, s2
	v_cmp_le_i32_e64 s0, v2, v3
	s_delay_alu instid0(VALU_DEP_1) | instskip(NEXT) | instid1(SALU_CYCLE_1)
	s_and_b32 s0, vcc_lo, s0
	s_and_saveexec_b32 s1, s0
	s_cbranch_execz .LBB876_11
; %bb.10:
	v_mul_f64 v[8:9], s[4:5], v[4:5]
	v_mul_f64 v[3:4], s[6:7], v[4:5]
	v_cmp_ne_u32_e32 vcc_lo, v21, v0
	s_delay_alu instid0(VALU_DEP_3) | instskip(NEXT) | instid1(VALU_DEP_3)
	v_fma_f64 v[8:9], s[6:7], v[6:7], v[8:9]
	v_fma_f64 v[4:5], s[4:5], v[6:7], -v[3:4]
	v_ashrrev_i32_e32 v3, 31, v2
	s_delay_alu instid0(VALU_DEP_1) | instskip(NEXT) | instid1(VALU_DEP_1)
	v_lshlrev_b64 v[1:2], 4, v[2:3]
	v_add_co_u32 v0, s0, v12, v1
	s_delay_alu instid0(VALU_DEP_1)
	v_add_co_ci_u32_e64 v1, s0, v13, v2, s0
	v_dual_cndmask_b32 v7, 0, v9 :: v_dual_cndmask_b32 v6, 0, v8
	global_store_b128 v[0:1], v[4:7], off
.LBB876_11:
	s_nop 0
	s_sendmsg sendmsg(MSG_DEALLOC_VGPRS)
	s_endpgm
	.section	.rodata,"a",@progbits
	.p2align	6, 0x0
	.amdhsa_kernel _ZL37rocblas_syrkx_herkx_restricted_kernelIi19rocblas_complex_numIdELi16ELi32ELi8ELb1ELb1ELc84ELc85EKPKS1_KPS1_EviT_T0_PT8_S7_lSA_S7_lS8_PT9_S7_li
		.amdhsa_group_segment_fixed_size 8192
		.amdhsa_private_segment_fixed_size 0
		.amdhsa_kernarg_size 116
		.amdhsa_user_sgpr_count 13
		.amdhsa_user_sgpr_dispatch_ptr 0
		.amdhsa_user_sgpr_queue_ptr 0
		.amdhsa_user_sgpr_kernarg_segment_ptr 1
		.amdhsa_user_sgpr_dispatch_id 0
		.amdhsa_user_sgpr_private_segment_size 0
		.amdhsa_wavefront_size32 1
		.amdhsa_uses_dynamic_stack 0
		.amdhsa_enable_private_segment 0
		.amdhsa_system_sgpr_workgroup_id_x 1
		.amdhsa_system_sgpr_workgroup_id_y 1
		.amdhsa_system_sgpr_workgroup_id_z 1
		.amdhsa_system_sgpr_workgroup_info 0
		.amdhsa_system_vgpr_workitem_id 1
		.amdhsa_next_free_vgpr 118
		.amdhsa_next_free_sgpr 21
		.amdhsa_reserve_vcc 1
		.amdhsa_float_round_mode_32 0
		.amdhsa_float_round_mode_16_64 0
		.amdhsa_float_denorm_mode_32 3
		.amdhsa_float_denorm_mode_16_64 3
		.amdhsa_dx10_clamp 1
		.amdhsa_ieee_mode 1
		.amdhsa_fp16_overflow 0
		.amdhsa_workgroup_processor_mode 1
		.amdhsa_memory_ordered 1
		.amdhsa_forward_progress 0
		.amdhsa_shared_vgpr_count 0
		.amdhsa_exception_fp_ieee_invalid_op 0
		.amdhsa_exception_fp_denorm_src 0
		.amdhsa_exception_fp_ieee_div_zero 0
		.amdhsa_exception_fp_ieee_overflow 0
		.amdhsa_exception_fp_ieee_underflow 0
		.amdhsa_exception_fp_ieee_inexact 0
		.amdhsa_exception_int_div_zero 0
	.end_amdhsa_kernel
	.section	.text._ZL37rocblas_syrkx_herkx_restricted_kernelIi19rocblas_complex_numIdELi16ELi32ELi8ELb1ELb1ELc84ELc85EKPKS1_KPS1_EviT_T0_PT8_S7_lSA_S7_lS8_PT9_S7_li,"axG",@progbits,_ZL37rocblas_syrkx_herkx_restricted_kernelIi19rocblas_complex_numIdELi16ELi32ELi8ELb1ELb1ELc84ELc85EKPKS1_KPS1_EviT_T0_PT8_S7_lSA_S7_lS8_PT9_S7_li,comdat
.Lfunc_end876:
	.size	_ZL37rocblas_syrkx_herkx_restricted_kernelIi19rocblas_complex_numIdELi16ELi32ELi8ELb1ELb1ELc84ELc85EKPKS1_KPS1_EviT_T0_PT8_S7_lSA_S7_lS8_PT9_S7_li, .Lfunc_end876-_ZL37rocblas_syrkx_herkx_restricted_kernelIi19rocblas_complex_numIdELi16ELi32ELi8ELb1ELb1ELc84ELc85EKPKS1_KPS1_EviT_T0_PT8_S7_lSA_S7_lS8_PT9_S7_li
                                        ; -- End function
	.section	.AMDGPU.csdata,"",@progbits
; Kernel info:
; codeLenInByte = 3084
; NumSgprs: 23
; NumVgprs: 118
; ScratchSize: 0
; MemoryBound: 0
; FloatMode: 240
; IeeeMode: 1
; LDSByteSize: 8192 bytes/workgroup (compile time only)
; SGPRBlocks: 2
; VGPRBlocks: 14
; NumSGPRsForWavesPerEU: 23
; NumVGPRsForWavesPerEU: 118
; Occupancy: 12
; WaveLimiterHint : 1
; COMPUTE_PGM_RSRC2:SCRATCH_EN: 0
; COMPUTE_PGM_RSRC2:USER_SGPR: 13
; COMPUTE_PGM_RSRC2:TRAP_HANDLER: 0
; COMPUTE_PGM_RSRC2:TGID_X_EN: 1
; COMPUTE_PGM_RSRC2:TGID_Y_EN: 1
; COMPUTE_PGM_RSRC2:TGID_Z_EN: 1
; COMPUTE_PGM_RSRC2:TIDIG_COMP_CNT: 1
	.section	.text._ZL37rocblas_syrkx_herkx_restricted_kernelIi19rocblas_complex_numIdELi16ELi32ELi8ELb1ELb1ELc67ELc85EKPKS1_KPS1_EviT_T0_PT8_S7_lSA_S7_lS8_PT9_S7_li,"axG",@progbits,_ZL37rocblas_syrkx_herkx_restricted_kernelIi19rocblas_complex_numIdELi16ELi32ELi8ELb1ELb1ELc67ELc85EKPKS1_KPS1_EviT_T0_PT8_S7_lSA_S7_lS8_PT9_S7_li,comdat
	.globl	_ZL37rocblas_syrkx_herkx_restricted_kernelIi19rocblas_complex_numIdELi16ELi32ELi8ELb1ELb1ELc67ELc85EKPKS1_KPS1_EviT_T0_PT8_S7_lSA_S7_lS8_PT9_S7_li ; -- Begin function _ZL37rocblas_syrkx_herkx_restricted_kernelIi19rocblas_complex_numIdELi16ELi32ELi8ELb1ELb1ELc67ELc85EKPKS1_KPS1_EviT_T0_PT8_S7_lSA_S7_lS8_PT9_S7_li
	.p2align	8
	.type	_ZL37rocblas_syrkx_herkx_restricted_kernelIi19rocblas_complex_numIdELi16ELi32ELi8ELb1ELb1ELc67ELc85EKPKS1_KPS1_EviT_T0_PT8_S7_lSA_S7_lS8_PT9_S7_li,@function
_ZL37rocblas_syrkx_herkx_restricted_kernelIi19rocblas_complex_numIdELi16ELi32ELi8ELb1ELb1ELc67ELc85EKPKS1_KPS1_EviT_T0_PT8_S7_lSA_S7_lS8_PT9_S7_li: ; @_ZL37rocblas_syrkx_herkx_restricted_kernelIi19rocblas_complex_numIdELi16ELi32ELi8ELb1ELb1ELc67ELc85EKPKS1_KPS1_EviT_T0_PT8_S7_lSA_S7_lS8_PT9_S7_li
; %bb.0:
	s_clause 0x2
	s_load_b64 s[4:5], s[0:1], 0x58
	s_load_b64 s[18:19], s[0:1], 0x18
	;; [unrolled: 1-line block ×3, first 2 shown]
	s_mov_b32 s10, s15
	s_mov_b32 s11, 0
	v_mov_b32_e32 v16, 0
	s_lshl_b64 s[16:17], s[10:11], 3
	v_dual_mov_b32 v17, 0 :: v_dual_and_b32 v20, 0x3ff, v0
	v_bfe_u32 v21, v0, 10, 10
	s_delay_alu instid0(VALU_DEP_3) | instskip(NEXT) | instid1(VALU_DEP_3)
	v_mov_b32_e32 v12, v16
	v_dual_mov_b32 v14, v16 :: v_dual_mov_b32 v15, v17
	v_dual_mov_b32 v19, v17 :: v_dual_mov_b32 v18, v16
	;; [unrolled: 1-line block ×4, first 2 shown]
	v_mov_b32_e32 v11, v17
	s_waitcnt lgkmcnt(0)
	s_add_u32 s8, s4, s16
	s_addc_u32 s9, s5, s17
	s_load_b128 s[4:7], s[0:1], 0x8
	s_load_b64 s[8:9], s[8:9], 0x0
	v_dual_mov_b32 v6, v16 :: v_dual_mov_b32 v7, v17
	v_dual_mov_b32 v4, v16 :: v_dual_mov_b32 v5, v17
	s_lshl_b32 s10, s13, 5
	s_lshl_b32 s12, s14, 5
	s_cmp_lt_i32 s3, 1
	s_cbranch_scc1 .LBB877_3
; %bb.1:
	s_clause 0x2
	s_load_b64 s[14:15], s[0:1], 0x30
	s_load_b32 s13, s[0:1], 0x20
	s_load_b32 s20, s[0:1], 0x38
	v_lshl_add_u32 v2, v21, 4, v20
	v_dual_mov_b32 v1, 0 :: v_dual_and_b32 v0, 7, v20
	s_add_u32 s18, s18, s16
	v_lshlrev_b32_e32 v22, 4, v20
	s_delay_alu instid0(VALU_DEP_3) | instskip(SKIP_3) | instid1(VALU_DEP_3)
	v_and_b32_e32 v10, 31, v2
	s_addc_u32 s19, s19, s17
	v_lshrrev_b32_e32 v11, 3, v2
	v_lshrrev_b32_e32 v2, 5, v2
	v_dual_mov_b32 v3, v1 :: v_dual_add_nc_u32 v4, s10, v10
	s_load_b64 s[18:19], s[18:19], 0x0
	v_lshl_add_u32 v23, v21, 7, 0x1000
	s_waitcnt lgkmcnt(0)
	s_add_u32 s14, s14, s16
	s_addc_u32 s15, s15, s17
	v_mad_i64_i32 v[6:7], null, s13, v4, v[2:3]
	s_load_b64 s[14:15], s[14:15], 0x0
	v_dual_mov_b32 v4, 0 :: v_dual_lshlrev_b32 v3, 4, v0
	v_dual_mov_b32 v5, 0 :: v_dual_add_nc_u32 v12, s12, v11
	v_lshlrev_b32_e32 v10, 4, v10
	s_delay_alu instid0(VALU_DEP_3) | instskip(NEXT) | instid1(VALU_DEP_3)
	v_lshl_or_b32 v3, v11, 7, v3
	v_mov_b32_e32 v15, v5
	s_delay_alu instid0(VALU_DEP_4)
	v_mad_i64_i32 v[8:9], null, s20, v12, v[0:1]
	v_lshlrev_b64 v[0:1], 4, v[6:7]
	v_dual_mov_b32 v7, v5 :: v_dual_mov_b32 v6, v4
	v_add_nc_u32_e32 v25, 0x1000, v3
	v_lshl_or_b32 v24, v2, 9, v10
	v_dual_mov_b32 v14, v4 :: v_dual_mov_b32 v13, v5
	v_lshlrev_b64 v[2:3], 4, v[8:9]
	v_add_co_u32 v0, vcc_lo, v0, s18
	v_add_co_ci_u32_e32 v1, vcc_lo, s19, v1, vcc_lo
	v_mov_b32_e32 v9, v5
	s_waitcnt lgkmcnt(0)
	s_delay_alu instid0(VALU_DEP_4)
	v_add_co_u32 v2, vcc_lo, v2, s14
	v_add_co_ci_u32_e32 v3, vcc_lo, s15, v3, vcc_lo
	v_add_co_u32 v0, vcc_lo, v0, 8
	v_mov_b32_e32 v8, v4
	v_add_co_ci_u32_e32 v1, vcc_lo, 0, v1, vcc_lo
	v_add_co_u32 v2, vcc_lo, v2, 8
	v_dual_mov_b32 v12, v4 :: v_dual_mov_b32 v19, v5
	v_dual_mov_b32 v18, v4 :: v_dual_mov_b32 v17, v5
	v_add_co_ci_u32_e32 v3, vcc_lo, 0, v3, vcc_lo
	v_dual_mov_b32 v11, v5 :: v_dual_mov_b32 v10, v4
	v_mov_b32_e32 v16, v4
.LBB877_2:                              ; =>This Inner Loop Header: Depth=1
	global_load_b128 v[26:29], v[0:1], off offset:-8
	global_load_b128 v[30:33], v[2:3], off offset:-8
	v_add_co_u32 v0, vcc_lo, 0x80, v0
	v_add_co_ci_u32_e32 v1, vcc_lo, 0, v1, vcc_lo
	v_add_co_u32 v2, vcc_lo, 0x80, v2
	v_add_co_ci_u32_e32 v3, vcc_lo, 0, v3, vcc_lo
	s_add_i32 s11, s11, 8
	s_delay_alu instid0(SALU_CYCLE_1)
	s_cmp_ge_i32 s11, s3
	s_waitcnt vmcnt(1)
	v_xor_b32_e32 v29, 0x80000000, v29
	ds_store_b128 v24, v[26:29]
	s_waitcnt vmcnt(0)
	ds_store_b128 v25, v[30:33]
	s_waitcnt lgkmcnt(0)
	s_barrier
	buffer_gl0_inv
	ds_load_b128 v[26:29], v23
	ds_load_b128 v[30:33], v22
	ds_load_b128 v[34:37], v22 offset:256
	ds_load_b128 v[38:41], v23 offset:2048
	;; [unrolled: 1-line block ×13, first 2 shown]
	s_waitcnt lgkmcnt(13)
	v_mul_f64 v[86:87], v[28:29], v[32:33]
	v_mul_f64 v[88:89], v[26:27], v[32:33]
	s_waitcnt lgkmcnt(12)
	v_mul_f64 v[90:91], v[28:29], v[36:37]
	v_mul_f64 v[92:93], v[26:27], v[36:37]
	;; [unrolled: 3-line block ×3, first 2 shown]
	v_mul_f64 v[96:97], v[40:41], v[36:37]
	v_mul_f64 v[36:37], v[38:39], v[36:37]
	s_waitcnt lgkmcnt(8)
	v_mul_f64 v[98:99], v[44:45], v[52:53]
	v_mul_f64 v[100:101], v[42:43], v[52:53]
	s_waitcnt lgkmcnt(7)
	v_mul_f64 v[102:103], v[44:45], v[56:57]
	v_mul_f64 v[104:105], v[42:43], v[56:57]
	;; [unrolled: 1-line block ×6, first 2 shown]
	s_waitcnt lgkmcnt(3)
	v_mul_f64 v[112:113], v[58:59], v[72:73]
	s_waitcnt lgkmcnt(2)
	v_mul_f64 v[114:115], v[76:77], v[68:69]
	v_mul_f64 v[116:117], v[76:77], v[72:73]
	v_fma_f64 v[86:87], v[26:27], v[30:31], -v[86:87]
	v_fma_f64 v[88:89], v[28:29], v[30:31], v[88:89]
	v_fma_f64 v[90:91], v[26:27], v[34:35], -v[90:91]
	v_fma_f64 v[92:93], v[28:29], v[34:35], v[92:93]
	;; [unrolled: 2-line block ×4, first 2 shown]
	v_mul_f64 v[36:37], v[60:61], v[68:69]
	v_mul_f64 v[40:41], v[58:59], v[68:69]
	v_mul_f64 v[96:97], v[60:61], v[72:73]
	v_mul_f64 v[68:69], v[74:75], v[68:69]
	v_mul_f64 v[72:73], v[74:75], v[72:73]
	v_fma_f64 v[98:99], v[42:43], v[50:51], -v[98:99]
	v_fma_f64 v[100:101], v[44:45], v[50:51], v[100:101]
	v_fma_f64 v[42:43], v[42:43], v[54:55], -v[102:103]
	v_fma_f64 v[44:45], v[44:45], v[54:55], v[104:105]
	;; [unrolled: 2-line block ×4, first 2 shown]
	ds_load_b128 v[26:29], v22 offset:1792
	ds_load_b128 v[30:33], v22 offset:2048
	s_waitcnt lgkmcnt(2)
	v_mul_f64 v[56:57], v[64:65], v[84:85]
	v_add_f64 v[16:17], v[16:17], v[86:87]
	v_add_f64 v[18:19], v[18:19], v[88:89]
	v_add_f64 v[12:13], v[12:13], v[90:91]
	v_add_f64 v[14:15], v[14:15], v[92:93]
	v_add_f64 v[52:53], v[8:9], v[94:95]
	v_add_f64 v[54:55], v[10:11], v[110:111]
	v_add_f64 v[38:39], v[6:7], v[38:39]
	v_add_f64 v[34:35], v[4:5], v[34:35]
	v_mul_f64 v[86:87], v[62:63], v[84:85]
	s_waitcnt lgkmcnt(1)
	v_mul_f64 v[88:89], v[64:65], v[28:29]
	v_mul_f64 v[90:91], v[62:63], v[28:29]
	;; [unrolled: 1-line block ×6, first 2 shown]
	v_fma_f64 v[104:105], v[58:59], v[66:67], -v[36:37]
	v_fma_f64 v[106:107], v[60:61], v[66:67], v[40:41]
	v_fma_f64 v[58:59], v[58:59], v[70:71], -v[96:97]
	v_fma_f64 v[60:61], v[60:61], v[70:71], v[112:113]
	;; [unrolled: 2-line block ×4, first 2 shown]
	ds_load_b128 v[4:7], v22 offset:2304
	ds_load_b128 v[8:11], v23 offset:64
	v_fma_f64 v[56:57], v[62:63], v[82:83], -v[56:57]
	v_add_f64 v[72:73], v[16:17], v[98:99]
	v_add_f64 v[74:75], v[18:19], v[100:101]
	;; [unrolled: 1-line block ×8, first 2 shown]
	ds_load_b128 v[12:15], v23 offset:2112
	ds_load_b128 v[16:19], v23 offset:80
	;; [unrolled: 1-line block ×4, first 2 shown]
	s_waitcnt lgkmcnt(4)
	v_mul_f64 v[54:55], v[10:11], v[32:33]
	v_mul_f64 v[76:77], v[8:9], v[32:33]
	;; [unrolled: 1-line block ×4, first 2 shown]
	v_fma_f64 v[86:87], v[64:65], v[82:83], v[86:87]
	v_fma_f64 v[62:63], v[62:63], v[26:27], -v[88:89]
	v_fma_f64 v[64:65], v[64:65], v[26:27], v[90:91]
	v_fma_f64 v[88:89], v[78:79], v[82:83], -v[92:93]
	;; [unrolled: 2-line block ×3, first 2 shown]
	v_fma_f64 v[80:81], v[80:81], v[26:27], v[28:29]
	s_waitcnt lgkmcnt(3)
	v_mul_f64 v[102:103], v[14:15], v[32:33]
	v_mul_f64 v[32:33], v[12:13], v[32:33]
	v_mul_f64 v[108:109], v[14:15], v[6:7]
	v_mul_f64 v[6:7], v[12:13], v[6:7]
	s_waitcnt lgkmcnt(0)
	v_mul_f64 v[90:91], v[18:19], v[40:41]
	v_mul_f64 v[92:93], v[16:17], v[40:41]
	v_add_f64 v[72:73], v[72:73], v[104:105]
	v_add_f64 v[74:75], v[74:75], v[106:107]
	;; [unrolled: 1-line block ×8, first 2 shown]
	ds_load_b128 v[26:29], v22 offset:2816
	ds_load_b128 v[42:45], v22 offset:3072
	;; [unrolled: 1-line block ×4, first 2 shown]
	v_mul_f64 v[104:105], v[36:37], v[40:41]
	v_mul_f64 v[40:41], v[34:35], v[40:41]
	v_fma_f64 v[54:55], v[8:9], v[30:31], -v[54:55]
	v_fma_f64 v[76:77], v[10:11], v[30:31], v[76:77]
	v_fma_f64 v[98:99], v[8:9], v[4:5], -v[98:99]
	v_fma_f64 v[100:101], v[10:11], v[4:5], v[100:101]
	s_waitcnt lgkmcnt(3)
	v_mul_f64 v[94:95], v[18:19], v[28:29]
	v_mul_f64 v[96:97], v[16:17], v[28:29]
	;; [unrolled: 1-line block ×4, first 2 shown]
	v_fma_f64 v[102:103], v[12:13], v[30:31], -v[102:103]
	v_fma_f64 v[32:33], v[14:15], v[30:31], v[32:33]
	v_fma_f64 v[108:109], v[12:13], v[4:5], -v[108:109]
	v_fma_f64 v[112:113], v[14:15], v[4:5], v[6:7]
	ds_load_b128 v[4:7], v23 offset:2144
	ds_load_b128 v[8:11], v23 offset:112
	;; [unrolled: 1-line block ×4, first 2 shown]
	v_add_f64 v[56:57], v[72:73], v[56:57]
	v_add_f64 v[72:73], v[74:75], v[86:87]
	v_add_f64 v[58:59], v[58:59], v[62:63]
	v_add_f64 v[60:61], v[60:61], v[64:65]
	v_add_f64 v[62:63], v[84:85], v[88:89]
	v_add_f64 v[64:65], v[66:67], v[82:83]
	v_add_f64 v[66:67], v[68:69], v[78:79]
	v_add_f64 v[68:69], v[70:71], v[80:81]
	s_waitcnt lgkmcnt(4)
	v_mul_f64 v[70:71], v[52:53], v[44:45]
	v_mul_f64 v[74:75], v[50:51], v[44:45]
	;; [unrolled: 1-line block ×4, first 2 shown]
	s_waitcnt lgkmcnt(3)
	v_mul_f64 v[82:83], v[6:7], v[44:45]
	v_mul_f64 v[44:45], v[4:5], v[44:45]
	;; [unrolled: 1-line block ×4, first 2 shown]
	v_fma_f64 v[86:87], v[16:17], v[38:39], -v[90:91]
	v_fma_f64 v[88:89], v[18:19], v[38:39], v[92:93]
	v_fma_f64 v[90:91], v[16:17], v[26:27], -v[94:95]
	v_fma_f64 v[92:93], v[18:19], v[26:27], v[96:97]
	;; [unrolled: 2-line block ×4, first 2 shown]
	ds_load_b128 v[16:19], v22 offset:3840
	s_waitcnt lgkmcnt(0)
	s_barrier
	buffer_gl0_inv
	v_add_f64 v[36:37], v[56:57], v[54:55]
	v_add_f64 v[40:41], v[72:73], v[76:77]
	;; [unrolled: 1-line block ×8, first 2 shown]
	v_mul_f64 v[64:65], v[10:11], v[30:31]
	v_mul_f64 v[66:67], v[8:9], v[30:31]
	;; [unrolled: 1-line block ×4, first 2 shown]
	v_fma_f64 v[70:71], v[50:51], v[42:43], -v[70:71]
	v_mul_f64 v[68:69], v[10:11], v[18:19]
	v_mul_f64 v[72:73], v[8:9], v[18:19]
	;; [unrolled: 1-line block ×4, first 2 shown]
	v_fma_f64 v[74:75], v[52:53], v[42:43], v[74:75]
	v_fma_f64 v[50:51], v[50:51], v[46:47], -v[78:79]
	v_fma_f64 v[52:53], v[52:53], v[46:47], v[80:81]
	v_fma_f64 v[78:79], v[4:5], v[42:43], -v[82:83]
	;; [unrolled: 2-line block ×3, first 2 shown]
	v_fma_f64 v[6:7], v[6:7], v[46:47], v[48:49]
	v_add_f64 v[36:37], v[36:37], v[86:87]
	v_add_f64 v[40:41], v[40:41], v[88:89]
	;; [unrolled: 1-line block ×8, first 2 shown]
	v_fma_f64 v[38:39], v[8:9], v[28:29], -v[64:65]
	v_fma_f64 v[54:55], v[10:11], v[28:29], v[66:67]
	v_fma_f64 v[56:57], v[12:13], v[28:29], -v[76:77]
	v_fma_f64 v[28:29], v[14:15], v[28:29], v[30:31]
	;; [unrolled: 2-line block ×4, first 2 shown]
	v_add_f64 v[12:13], v[36:37], v[70:71]
	v_add_f64 v[14:15], v[40:41], v[74:75]
	;; [unrolled: 1-line block ×16, first 2 shown]
	s_cbranch_scc0 .LBB877_2
.LBB877_3:
	s_load_b32 s3, s[0:1], 0x60
	v_add_nc_u32_e32 v21, s12, v21
	v_add_nc_u32_e32 v0, s10, v20
	s_delay_alu instid0(VALU_DEP_2) | instskip(NEXT) | instid1(VALU_DEP_2)
	v_cmp_gt_i32_e32 vcc_lo, s2, v21
	v_cmp_le_i32_e64 s0, v0, v21
	s_delay_alu instid0(VALU_DEP_1) | instskip(SKIP_2) | instid1(VALU_DEP_1)
	s_and_b32 s0, vcc_lo, s0
	s_waitcnt lgkmcnt(0)
	v_mad_i64_i32 v[1:2], null, v21, s3, 0
	v_lshlrev_b64 v[1:2], 4, v[1:2]
	s_delay_alu instid0(VALU_DEP_1) | instskip(NEXT) | instid1(VALU_DEP_1)
	v_add_co_u32 v20, s1, s8, v1
	v_add_co_ci_u32_e64 v22, s1, s9, v2, s1
	s_and_saveexec_b32 s10, s0
	s_cbranch_execz .LBB877_5
; %bb.4:
	v_mul_f64 v[1:2], s[4:5], v[18:19]
	v_mul_f64 v[18:19], s[6:7], v[18:19]
	v_cmp_ne_u32_e64 s0, v21, v0
	s_delay_alu instid0(VALU_DEP_3) | instskip(NEXT) | instid1(VALU_DEP_3)
	v_fma_f64 v[2:3], s[6:7], v[16:17], v[1:2]
	v_fma_f64 v[16:17], s[4:5], v[16:17], -v[18:19]
	v_ashrrev_i32_e32 v1, 31, v0
	s_delay_alu instid0(VALU_DEP_1) | instskip(NEXT) | instid1(VALU_DEP_1)
	v_lshlrev_b64 v[18:19], 4, v[0:1]
	v_add_co_u32 v23, s1, v20, v18
	s_delay_alu instid0(VALU_DEP_1)
	v_add_co_ci_u32_e64 v24, s1, v22, v19, s1
	v_cndmask_b32_e64 v19, 0, v3, s0
	v_cndmask_b32_e64 v18, 0, v2, s0
	global_store_b128 v[23:24], v[16:19], off
.LBB877_5:
	s_or_b32 exec_lo, exec_lo, s10
	v_add_nc_u32_e32 v2, 16, v0
	s_delay_alu instid0(VALU_DEP_1) | instskip(NEXT) | instid1(VALU_DEP_1)
	v_cmp_le_i32_e64 s0, v2, v21
	s_and_b32 s0, vcc_lo, s0
	s_delay_alu instid0(SALU_CYCLE_1)
	s_and_saveexec_b32 s1, s0
	s_cbranch_execz .LBB877_7
; %bb.6:
	v_mul_f64 v[16:17], s[4:5], v[14:15]
	v_mul_f64 v[14:15], s[6:7], v[14:15]
	v_ashrrev_i32_e32 v3, 31, v2
	v_cmp_ne_u32_e32 vcc_lo, v21, v2
	s_delay_alu instid0(VALU_DEP_4) | instskip(NEXT) | instid1(VALU_DEP_4)
	v_fma_f64 v[16:17], s[6:7], v[12:13], v[16:17]
	v_fma_f64 v[12:13], s[4:5], v[12:13], -v[14:15]
	s_delay_alu instid0(VALU_DEP_4) | instskip(NEXT) | instid1(VALU_DEP_1)
	v_lshlrev_b64 v[14:15], 4, v[2:3]
	v_add_co_u32 v18, s0, v20, v14
	s_delay_alu instid0(VALU_DEP_1)
	v_add_co_ci_u32_e64 v19, s0, v22, v15, s0
	v_dual_cndmask_b32 v15, 0, v17 :: v_dual_cndmask_b32 v14, 0, v16
	global_store_b128 v[18:19], v[12:15], off
.LBB877_7:
	s_or_b32 exec_lo, exec_lo, s1
	v_add_nc_u32_e32 v3, 16, v21
	s_delay_alu instid0(VALU_DEP_1) | instskip(SKIP_2) | instid1(VALU_DEP_1)
	v_mad_i64_i32 v[12:13], null, v3, s3, 0
	v_cmp_gt_i32_e32 vcc_lo, s2, v3
	v_cmp_le_i32_e64 s0, v0, v3
	s_and_b32 s0, vcc_lo, s0
	s_delay_alu instid0(VALU_DEP_3) | instskip(NEXT) | instid1(VALU_DEP_1)
	v_lshlrev_b64 v[12:13], 4, v[12:13]
	v_add_co_u32 v12, s1, s8, v12
	s_delay_alu instid0(VALU_DEP_1)
	v_add_co_ci_u32_e64 v13, s1, s9, v13, s1
	s_and_saveexec_b32 s2, s0
	s_cbranch_execz .LBB877_9
; %bb.8:
	v_mul_f64 v[14:15], s[4:5], v[10:11]
	v_mul_f64 v[10:11], s[6:7], v[10:11]
	v_ashrrev_i32_e32 v1, 31, v0
	v_cmp_ne_u32_e64 s0, v3, v0
	s_delay_alu instid0(VALU_DEP_4) | instskip(NEXT) | instid1(VALU_DEP_4)
	v_fma_f64 v[14:15], s[6:7], v[8:9], v[14:15]
	v_fma_f64 v[8:9], s[4:5], v[8:9], -v[10:11]
	s_delay_alu instid0(VALU_DEP_4) | instskip(NEXT) | instid1(VALU_DEP_1)
	v_lshlrev_b64 v[10:11], 4, v[0:1]
	v_add_co_u32 v16, s1, v12, v10
	s_delay_alu instid0(VALU_DEP_1)
	v_add_co_ci_u32_e64 v17, s1, v13, v11, s1
	v_cndmask_b32_e64 v11, 0, v15, s0
	v_cndmask_b32_e64 v10, 0, v14, s0
	global_store_b128 v[16:17], v[8:11], off
.LBB877_9:
	s_or_b32 exec_lo, exec_lo, s2
	v_cmp_le_i32_e64 s0, v2, v3
	s_delay_alu instid0(VALU_DEP_1) | instskip(NEXT) | instid1(SALU_CYCLE_1)
	s_and_b32 s0, vcc_lo, s0
	s_and_saveexec_b32 s1, s0
	s_cbranch_execz .LBB877_11
; %bb.10:
	v_mul_f64 v[8:9], s[4:5], v[4:5]
	v_mul_f64 v[3:4], s[6:7], v[4:5]
	v_cmp_ne_u32_e32 vcc_lo, v21, v0
	s_delay_alu instid0(VALU_DEP_3) | instskip(NEXT) | instid1(VALU_DEP_3)
	v_fma_f64 v[8:9], s[6:7], v[6:7], v[8:9]
	v_fma_f64 v[4:5], s[4:5], v[6:7], -v[3:4]
	v_ashrrev_i32_e32 v3, 31, v2
	s_delay_alu instid0(VALU_DEP_1) | instskip(NEXT) | instid1(VALU_DEP_1)
	v_lshlrev_b64 v[1:2], 4, v[2:3]
	v_add_co_u32 v0, s0, v12, v1
	s_delay_alu instid0(VALU_DEP_1)
	v_add_co_ci_u32_e64 v1, s0, v13, v2, s0
	v_dual_cndmask_b32 v7, 0, v9 :: v_dual_cndmask_b32 v6, 0, v8
	global_store_b128 v[0:1], v[4:7], off
.LBB877_11:
	s_nop 0
	s_sendmsg sendmsg(MSG_DEALLOC_VGPRS)
	s_endpgm
	.section	.rodata,"a",@progbits
	.p2align	6, 0x0
	.amdhsa_kernel _ZL37rocblas_syrkx_herkx_restricted_kernelIi19rocblas_complex_numIdELi16ELi32ELi8ELb1ELb1ELc67ELc85EKPKS1_KPS1_EviT_T0_PT8_S7_lSA_S7_lS8_PT9_S7_li
		.amdhsa_group_segment_fixed_size 8192
		.amdhsa_private_segment_fixed_size 0
		.amdhsa_kernarg_size 116
		.amdhsa_user_sgpr_count 13
		.amdhsa_user_sgpr_dispatch_ptr 0
		.amdhsa_user_sgpr_queue_ptr 0
		.amdhsa_user_sgpr_kernarg_segment_ptr 1
		.amdhsa_user_sgpr_dispatch_id 0
		.amdhsa_user_sgpr_private_segment_size 0
		.amdhsa_wavefront_size32 1
		.amdhsa_uses_dynamic_stack 0
		.amdhsa_enable_private_segment 0
		.amdhsa_system_sgpr_workgroup_id_x 1
		.amdhsa_system_sgpr_workgroup_id_y 1
		.amdhsa_system_sgpr_workgroup_id_z 1
		.amdhsa_system_sgpr_workgroup_info 0
		.amdhsa_system_vgpr_workitem_id 1
		.amdhsa_next_free_vgpr 118
		.amdhsa_next_free_sgpr 21
		.amdhsa_reserve_vcc 1
		.amdhsa_float_round_mode_32 0
		.amdhsa_float_round_mode_16_64 0
		.amdhsa_float_denorm_mode_32 3
		.amdhsa_float_denorm_mode_16_64 3
		.amdhsa_dx10_clamp 1
		.amdhsa_ieee_mode 1
		.amdhsa_fp16_overflow 0
		.amdhsa_workgroup_processor_mode 1
		.amdhsa_memory_ordered 1
		.amdhsa_forward_progress 0
		.amdhsa_shared_vgpr_count 0
		.amdhsa_exception_fp_ieee_invalid_op 0
		.amdhsa_exception_fp_denorm_src 0
		.amdhsa_exception_fp_ieee_div_zero 0
		.amdhsa_exception_fp_ieee_overflow 0
		.amdhsa_exception_fp_ieee_underflow 0
		.amdhsa_exception_fp_ieee_inexact 0
		.amdhsa_exception_int_div_zero 0
	.end_amdhsa_kernel
	.section	.text._ZL37rocblas_syrkx_herkx_restricted_kernelIi19rocblas_complex_numIdELi16ELi32ELi8ELb1ELb1ELc67ELc85EKPKS1_KPS1_EviT_T0_PT8_S7_lSA_S7_lS8_PT9_S7_li,"axG",@progbits,_ZL37rocblas_syrkx_herkx_restricted_kernelIi19rocblas_complex_numIdELi16ELi32ELi8ELb1ELb1ELc67ELc85EKPKS1_KPS1_EviT_T0_PT8_S7_lSA_S7_lS8_PT9_S7_li,comdat
.Lfunc_end877:
	.size	_ZL37rocblas_syrkx_herkx_restricted_kernelIi19rocblas_complex_numIdELi16ELi32ELi8ELb1ELb1ELc67ELc85EKPKS1_KPS1_EviT_T0_PT8_S7_lSA_S7_lS8_PT9_S7_li, .Lfunc_end877-_ZL37rocblas_syrkx_herkx_restricted_kernelIi19rocblas_complex_numIdELi16ELi32ELi8ELb1ELb1ELc67ELc85EKPKS1_KPS1_EviT_T0_PT8_S7_lSA_S7_lS8_PT9_S7_li
                                        ; -- End function
	.section	.AMDGPU.csdata,"",@progbits
; Kernel info:
; codeLenInByte = 3096
; NumSgprs: 23
; NumVgprs: 118
; ScratchSize: 0
; MemoryBound: 0
; FloatMode: 240
; IeeeMode: 1
; LDSByteSize: 8192 bytes/workgroup (compile time only)
; SGPRBlocks: 2
; VGPRBlocks: 14
; NumSGPRsForWavesPerEU: 23
; NumVGPRsForWavesPerEU: 118
; Occupancy: 12
; WaveLimiterHint : 1
; COMPUTE_PGM_RSRC2:SCRATCH_EN: 0
; COMPUTE_PGM_RSRC2:USER_SGPR: 13
; COMPUTE_PGM_RSRC2:TRAP_HANDLER: 0
; COMPUTE_PGM_RSRC2:TGID_X_EN: 1
; COMPUTE_PGM_RSRC2:TGID_Y_EN: 1
; COMPUTE_PGM_RSRC2:TGID_Z_EN: 1
; COMPUTE_PGM_RSRC2:TIDIG_COMP_CNT: 1
	.section	.text._ZL37rocblas_syrkx_herkx_restricted_kernelIi19rocblas_complex_numIdELi16ELi32ELi8ELb1ELb1ELc78ELc85EKPKS1_KPS1_EviT_T0_PT8_S7_lSA_S7_lS8_PT9_S7_li,"axG",@progbits,_ZL37rocblas_syrkx_herkx_restricted_kernelIi19rocblas_complex_numIdELi16ELi32ELi8ELb1ELb1ELc78ELc85EKPKS1_KPS1_EviT_T0_PT8_S7_lSA_S7_lS8_PT9_S7_li,comdat
	.globl	_ZL37rocblas_syrkx_herkx_restricted_kernelIi19rocblas_complex_numIdELi16ELi32ELi8ELb1ELb1ELc78ELc85EKPKS1_KPS1_EviT_T0_PT8_S7_lSA_S7_lS8_PT9_S7_li ; -- Begin function _ZL37rocblas_syrkx_herkx_restricted_kernelIi19rocblas_complex_numIdELi16ELi32ELi8ELb1ELb1ELc78ELc85EKPKS1_KPS1_EviT_T0_PT8_S7_lSA_S7_lS8_PT9_S7_li
	.p2align	8
	.type	_ZL37rocblas_syrkx_herkx_restricted_kernelIi19rocblas_complex_numIdELi16ELi32ELi8ELb1ELb1ELc78ELc85EKPKS1_KPS1_EviT_T0_PT8_S7_lSA_S7_lS8_PT9_S7_li,@function
_ZL37rocblas_syrkx_herkx_restricted_kernelIi19rocblas_complex_numIdELi16ELi32ELi8ELb1ELb1ELc78ELc85EKPKS1_KPS1_EviT_T0_PT8_S7_lSA_S7_lS8_PT9_S7_li: ; @_ZL37rocblas_syrkx_herkx_restricted_kernelIi19rocblas_complex_numIdELi16ELi32ELi8ELb1ELb1ELc78ELc85EKPKS1_KPS1_EviT_T0_PT8_S7_lSA_S7_lS8_PT9_S7_li
; %bb.0:
	s_clause 0x2
	s_load_b64 s[4:5], s[0:1], 0x58
	s_load_b64 s[18:19], s[0:1], 0x18
	;; [unrolled: 1-line block ×3, first 2 shown]
	s_mov_b32 s10, s15
	s_mov_b32 s11, 0
	v_mov_b32_e32 v16, 0
	s_lshl_b64 s[16:17], s[10:11], 3
	v_dual_mov_b32 v17, 0 :: v_dual_and_b32 v20, 0x3ff, v0
	v_bfe_u32 v21, v0, 10, 10
	s_delay_alu instid0(VALU_DEP_3) | instskip(NEXT) | instid1(VALU_DEP_3)
	v_mov_b32_e32 v12, v16
	v_dual_mov_b32 v14, v16 :: v_dual_mov_b32 v15, v17
	v_dual_mov_b32 v19, v17 :: v_dual_mov_b32 v18, v16
	;; [unrolled: 1-line block ×4, first 2 shown]
	v_mov_b32_e32 v9, v17
	s_waitcnt lgkmcnt(0)
	s_add_u32 s8, s4, s16
	s_addc_u32 s9, s5, s17
	s_load_b128 s[4:7], s[0:1], 0x8
	s_load_b64 s[8:9], s[8:9], 0x0
	v_dual_mov_b32 v6, v16 :: v_dual_mov_b32 v7, v17
	v_dual_mov_b32 v4, v16 :: v_dual_mov_b32 v5, v17
	s_lshl_b32 s10, s13, 5
	s_lshl_b32 s20, s14, 5
	s_cmp_lt_i32 s3, 1
	s_cbranch_scc1 .LBB878_3
; %bb.1:
	s_clause 0x2
	s_load_b32 s12, s[0:1], 0x20
	s_load_b32 s14, s[0:1], 0x38
	s_load_b64 s[22:23], s[0:1], 0x30
	v_lshl_add_u32 v0, v21, 4, v20
	v_mov_b32_e32 v4, 0
	v_dual_mov_b32 v5, 0 :: v_dual_and_b32 v6, 7, v20
	v_lshlrev_b32_e32 v22, 4, v20
	s_delay_alu instid0(VALU_DEP_4) | instskip(SKIP_3) | instid1(VALU_DEP_4)
	v_and_b32_e32 v10, 31, v0
	v_lshrrev_b32_e32 v7, 3, v0
	v_lshrrev_b32_e32 v11, 5, v0
	v_dual_mov_b32 v19, v5 :: v_dual_lshlrev_b32 v12, 4, v6
	v_dual_mov_b32 v15, v5 :: v_dual_add_nc_u32 v2, s10, v10
	s_delay_alu instid0(VALU_DEP_4) | instskip(NEXT) | instid1(VALU_DEP_3)
	v_add_nc_u32_e32 v0, s20, v7
	v_lshl_or_b32 v12, v7, 7, v12
	v_lshl_add_u32 v23, v21, 7, 0x1000
	s_delay_alu instid0(VALU_DEP_4)
	v_ashrrev_i32_e32 v3, 31, v2
	v_mov_b32_e32 v14, v4
	s_waitcnt lgkmcnt(0)
	s_ashr_i32 s13, s12, 31
	s_ashr_i32 s15, s14, 31
	s_add_u32 s18, s18, s16
	s_addc_u32 s19, s19, s17
	s_add_u32 s16, s22, s16
	s_load_b64 s[18:19], s[18:19], 0x0
	s_addc_u32 s17, s23, s17
	v_ashrrev_i32_e32 v1, 31, v0
	s_load_b64 s[16:17], s[16:17], 0x0
	v_mad_i64_i32 v[8:9], null, s12, v11, v[2:3]
	v_add_nc_u32_e32 v25, 0x1000, v12
	s_delay_alu instid0(VALU_DEP_3)
	v_mad_i64_i32 v[2:3], null, s14, v6, v[0:1]
	v_dual_mov_b32 v7, v5 :: v_dual_lshlrev_b32 v10, 4, v10
	v_mov_b32_e32 v13, v5
	v_lshlrev_b64 v[0:1], 4, v[8:9]
	v_dual_mov_b32 v6, v4 :: v_dual_mov_b32 v17, v5
	v_lshlrev_b64 v[2:3], 4, v[2:3]
	v_mov_b32_e32 v9, v5
	v_lshl_or_b32 v24, v11, 9, v10
	v_dual_mov_b32 v11, v5 :: v_dual_mov_b32 v8, v4
	s_waitcnt lgkmcnt(0)
	v_add_co_u32 v0, vcc_lo, v0, s18
	v_add_co_ci_u32_e32 v1, vcc_lo, s19, v1, vcc_lo
	v_add_co_u32 v2, vcc_lo, v2, s16
	v_add_co_ci_u32_e32 v3, vcc_lo, s17, v3, vcc_lo
	s_delay_alu instid0(VALU_DEP_4) | instskip(NEXT) | instid1(VALU_DEP_4)
	v_add_co_u32 v0, vcc_lo, v0, 8
	v_add_co_ci_u32_e32 v1, vcc_lo, 0, v1, vcc_lo
	s_delay_alu instid0(VALU_DEP_4) | instskip(NEXT) | instid1(VALU_DEP_4)
	v_add_co_u32 v2, vcc_lo, v2, 8
	v_add_co_ci_u32_e32 v3, vcc_lo, 0, v3, vcc_lo
	v_mov_b32_e32 v10, v4
	v_mov_b32_e32 v12, v4
	;; [unrolled: 1-line block ×4, first 2 shown]
	s_lshl_b64 s[12:13], s[12:13], 7
	s_lshl_b64 s[14:15], s[14:15], 7
.LBB878_2:                              ; =>This Inner Loop Header: Depth=1
	global_load_b128 v[26:29], v[2:3], off offset:-8
	global_load_b128 v[30:33], v[0:1], off offset:-8
	v_add_co_u32 v0, vcc_lo, v0, s12
	v_add_co_ci_u32_e32 v1, vcc_lo, s13, v1, vcc_lo
	v_add_co_u32 v2, vcc_lo, v2, s14
	v_add_co_ci_u32_e32 v3, vcc_lo, s15, v3, vcc_lo
	s_add_i32 s11, s11, 8
	s_delay_alu instid0(SALU_CYCLE_1)
	s_cmp_ge_i32 s11, s3
	s_waitcnt vmcnt(1)
	v_xor_b32_e32 v29, 0x80000000, v29
	s_waitcnt vmcnt(0)
	ds_store_b128 v24, v[30:33]
	ds_store_b128 v25, v[26:29]
	s_waitcnt lgkmcnt(0)
	s_barrier
	buffer_gl0_inv
	ds_load_b128 v[26:29], v23
	ds_load_b128 v[30:33], v22
	ds_load_b128 v[34:37], v22 offset:256
	ds_load_b128 v[38:41], v23 offset:2048
	ds_load_b128 v[42:45], v23 offset:16
	ds_load_b128 v[46:49], v23 offset:2064
	ds_load_b128 v[50:53], v22 offset:512
	ds_load_b128 v[54:57], v22 offset:768
	ds_load_b128 v[58:61], v23 offset:32
	ds_load_b128 v[62:65], v23 offset:48
	ds_load_b128 v[66:69], v22 offset:1024
	ds_load_b128 v[70:73], v22 offset:1280
	ds_load_b128 v[74:77], v23 offset:2080
	ds_load_b128 v[78:81], v23 offset:2096
	ds_load_b128 v[82:85], v22 offset:1536
	s_waitcnt lgkmcnt(13)
	v_mul_f64 v[86:87], v[28:29], v[32:33]
	v_mul_f64 v[88:89], v[26:27], v[32:33]
	s_waitcnt lgkmcnt(12)
	v_mul_f64 v[90:91], v[28:29], v[36:37]
	v_mul_f64 v[92:93], v[26:27], v[36:37]
	;; [unrolled: 3-line block ×3, first 2 shown]
	v_mul_f64 v[96:97], v[40:41], v[36:37]
	v_mul_f64 v[36:37], v[38:39], v[36:37]
	s_waitcnt lgkmcnt(8)
	v_mul_f64 v[98:99], v[44:45], v[52:53]
	v_mul_f64 v[100:101], v[42:43], v[52:53]
	s_waitcnt lgkmcnt(7)
	v_mul_f64 v[102:103], v[44:45], v[56:57]
	v_mul_f64 v[104:105], v[42:43], v[56:57]
	;; [unrolled: 1-line block ×6, first 2 shown]
	s_waitcnt lgkmcnt(3)
	v_mul_f64 v[112:113], v[58:59], v[72:73]
	s_waitcnt lgkmcnt(2)
	v_mul_f64 v[114:115], v[76:77], v[68:69]
	v_mul_f64 v[116:117], v[76:77], v[72:73]
	v_fma_f64 v[86:87], v[26:27], v[30:31], -v[86:87]
	v_fma_f64 v[88:89], v[28:29], v[30:31], v[88:89]
	v_fma_f64 v[90:91], v[26:27], v[34:35], -v[90:91]
	v_fma_f64 v[92:93], v[28:29], v[34:35], v[92:93]
	;; [unrolled: 2-line block ×4, first 2 shown]
	v_mul_f64 v[36:37], v[60:61], v[68:69]
	v_mul_f64 v[40:41], v[58:59], v[68:69]
	;; [unrolled: 1-line block ×5, first 2 shown]
	v_fma_f64 v[98:99], v[42:43], v[50:51], -v[98:99]
	v_fma_f64 v[100:101], v[44:45], v[50:51], v[100:101]
	v_fma_f64 v[42:43], v[42:43], v[54:55], -v[102:103]
	v_fma_f64 v[44:45], v[44:45], v[54:55], v[104:105]
	;; [unrolled: 2-line block ×4, first 2 shown]
	ds_load_b128 v[26:29], v22 offset:1792
	ds_load_b128 v[30:33], v22 offset:2048
	s_waitcnt lgkmcnt(2)
	v_mul_f64 v[56:57], v[64:65], v[84:85]
	v_add_f64 v[16:17], v[16:17], v[86:87]
	v_add_f64 v[18:19], v[18:19], v[88:89]
	;; [unrolled: 1-line block ×8, first 2 shown]
	v_mul_f64 v[86:87], v[62:63], v[84:85]
	s_waitcnt lgkmcnt(1)
	v_mul_f64 v[88:89], v[64:65], v[28:29]
	v_mul_f64 v[90:91], v[62:63], v[28:29]
	;; [unrolled: 1-line block ×6, first 2 shown]
	v_fma_f64 v[104:105], v[58:59], v[66:67], -v[36:37]
	v_fma_f64 v[106:107], v[60:61], v[66:67], v[40:41]
	v_fma_f64 v[58:59], v[58:59], v[70:71], -v[96:97]
	v_fma_f64 v[60:61], v[60:61], v[70:71], v[112:113]
	;; [unrolled: 2-line block ×4, first 2 shown]
	ds_load_b128 v[4:7], v22 offset:2304
	ds_load_b128 v[8:11], v23 offset:64
	v_fma_f64 v[56:57], v[62:63], v[82:83], -v[56:57]
	v_add_f64 v[72:73], v[16:17], v[98:99]
	v_add_f64 v[74:75], v[18:19], v[100:101]
	;; [unrolled: 1-line block ×8, first 2 shown]
	ds_load_b128 v[12:15], v23 offset:2112
	ds_load_b128 v[16:19], v23 offset:80
	;; [unrolled: 1-line block ×4, first 2 shown]
	s_waitcnt lgkmcnt(4)
	v_mul_f64 v[54:55], v[10:11], v[32:33]
	v_mul_f64 v[76:77], v[8:9], v[32:33]
	;; [unrolled: 1-line block ×4, first 2 shown]
	v_fma_f64 v[86:87], v[64:65], v[82:83], v[86:87]
	v_fma_f64 v[62:63], v[62:63], v[26:27], -v[88:89]
	v_fma_f64 v[64:65], v[64:65], v[26:27], v[90:91]
	v_fma_f64 v[88:89], v[78:79], v[82:83], -v[92:93]
	;; [unrolled: 2-line block ×3, first 2 shown]
	v_fma_f64 v[80:81], v[80:81], v[26:27], v[28:29]
	s_waitcnt lgkmcnt(3)
	v_mul_f64 v[102:103], v[14:15], v[32:33]
	v_mul_f64 v[32:33], v[12:13], v[32:33]
	;; [unrolled: 1-line block ×4, first 2 shown]
	s_waitcnt lgkmcnt(0)
	v_mul_f64 v[90:91], v[18:19], v[40:41]
	v_mul_f64 v[92:93], v[16:17], v[40:41]
	v_add_f64 v[72:73], v[72:73], v[104:105]
	v_add_f64 v[74:75], v[74:75], v[106:107]
	;; [unrolled: 1-line block ×8, first 2 shown]
	ds_load_b128 v[26:29], v22 offset:2816
	ds_load_b128 v[42:45], v22 offset:3072
	;; [unrolled: 1-line block ×4, first 2 shown]
	v_mul_f64 v[104:105], v[36:37], v[40:41]
	v_mul_f64 v[40:41], v[34:35], v[40:41]
	v_fma_f64 v[54:55], v[8:9], v[30:31], -v[54:55]
	v_fma_f64 v[76:77], v[10:11], v[30:31], v[76:77]
	v_fma_f64 v[98:99], v[8:9], v[4:5], -v[98:99]
	v_fma_f64 v[100:101], v[10:11], v[4:5], v[100:101]
	s_waitcnt lgkmcnt(3)
	v_mul_f64 v[94:95], v[18:19], v[28:29]
	v_mul_f64 v[96:97], v[16:17], v[28:29]
	;; [unrolled: 1-line block ×4, first 2 shown]
	v_fma_f64 v[102:103], v[12:13], v[30:31], -v[102:103]
	v_fma_f64 v[32:33], v[14:15], v[30:31], v[32:33]
	v_fma_f64 v[108:109], v[12:13], v[4:5], -v[108:109]
	v_fma_f64 v[112:113], v[14:15], v[4:5], v[6:7]
	ds_load_b128 v[4:7], v23 offset:2144
	ds_load_b128 v[8:11], v23 offset:112
	;; [unrolled: 1-line block ×4, first 2 shown]
	v_add_f64 v[56:57], v[72:73], v[56:57]
	v_add_f64 v[72:73], v[74:75], v[86:87]
	;; [unrolled: 1-line block ×8, first 2 shown]
	s_waitcnt lgkmcnt(4)
	v_mul_f64 v[70:71], v[52:53], v[44:45]
	v_mul_f64 v[74:75], v[50:51], v[44:45]
	;; [unrolled: 1-line block ×4, first 2 shown]
	s_waitcnt lgkmcnt(3)
	v_mul_f64 v[82:83], v[6:7], v[44:45]
	v_mul_f64 v[44:45], v[4:5], v[44:45]
	v_mul_f64 v[84:85], v[6:7], v[48:49]
	v_mul_f64 v[48:49], v[4:5], v[48:49]
	v_fma_f64 v[86:87], v[16:17], v[38:39], -v[90:91]
	v_fma_f64 v[88:89], v[18:19], v[38:39], v[92:93]
	v_fma_f64 v[90:91], v[16:17], v[26:27], -v[94:95]
	v_fma_f64 v[92:93], v[18:19], v[26:27], v[96:97]
	;; [unrolled: 2-line block ×4, first 2 shown]
	ds_load_b128 v[16:19], v22 offset:3840
	s_waitcnt lgkmcnt(0)
	s_barrier
	buffer_gl0_inv
	v_add_f64 v[36:37], v[56:57], v[54:55]
	v_add_f64 v[40:41], v[72:73], v[76:77]
	;; [unrolled: 1-line block ×8, first 2 shown]
	v_mul_f64 v[64:65], v[10:11], v[30:31]
	v_mul_f64 v[66:67], v[8:9], v[30:31]
	;; [unrolled: 1-line block ×4, first 2 shown]
	v_fma_f64 v[70:71], v[50:51], v[42:43], -v[70:71]
	v_mul_f64 v[68:69], v[10:11], v[18:19]
	v_mul_f64 v[72:73], v[8:9], v[18:19]
	;; [unrolled: 1-line block ×4, first 2 shown]
	v_fma_f64 v[74:75], v[52:53], v[42:43], v[74:75]
	v_fma_f64 v[50:51], v[50:51], v[46:47], -v[78:79]
	v_fma_f64 v[52:53], v[52:53], v[46:47], v[80:81]
	v_fma_f64 v[78:79], v[4:5], v[42:43], -v[82:83]
	;; [unrolled: 2-line block ×3, first 2 shown]
	v_fma_f64 v[6:7], v[6:7], v[46:47], v[48:49]
	v_add_f64 v[36:37], v[36:37], v[86:87]
	v_add_f64 v[40:41], v[40:41], v[88:89]
	;; [unrolled: 1-line block ×8, first 2 shown]
	v_fma_f64 v[38:39], v[8:9], v[28:29], -v[64:65]
	v_fma_f64 v[54:55], v[10:11], v[28:29], v[66:67]
	v_fma_f64 v[56:57], v[12:13], v[28:29], -v[76:77]
	v_fma_f64 v[28:29], v[14:15], v[28:29], v[30:31]
	;; [unrolled: 2-line block ×4, first 2 shown]
	v_add_f64 v[12:13], v[36:37], v[70:71]
	v_add_f64 v[14:15], v[40:41], v[74:75]
	;; [unrolled: 1-line block ×16, first 2 shown]
	s_cbranch_scc0 .LBB878_2
.LBB878_3:
	s_load_b32 s3, s[0:1], 0x60
	v_add_nc_u32_e32 v21, s20, v21
	v_add_nc_u32_e32 v0, s10, v20
	s_delay_alu instid0(VALU_DEP_2) | instskip(NEXT) | instid1(VALU_DEP_2)
	v_cmp_gt_i32_e32 vcc_lo, s2, v21
	v_cmp_le_i32_e64 s0, v0, v21
	s_delay_alu instid0(VALU_DEP_1) | instskip(SKIP_2) | instid1(VALU_DEP_1)
	s_and_b32 s0, vcc_lo, s0
	s_waitcnt lgkmcnt(0)
	v_mad_i64_i32 v[1:2], null, v21, s3, 0
	v_lshlrev_b64 v[1:2], 4, v[1:2]
	s_delay_alu instid0(VALU_DEP_1) | instskip(NEXT) | instid1(VALU_DEP_1)
	v_add_co_u32 v20, s1, s8, v1
	v_add_co_ci_u32_e64 v22, s1, s9, v2, s1
	s_and_saveexec_b32 s10, s0
	s_cbranch_execz .LBB878_5
; %bb.4:
	v_mul_f64 v[1:2], s[4:5], v[18:19]
	v_mul_f64 v[18:19], s[6:7], v[18:19]
	v_cmp_ne_u32_e64 s0, v21, v0
	s_delay_alu instid0(VALU_DEP_3) | instskip(NEXT) | instid1(VALU_DEP_3)
	v_fma_f64 v[2:3], s[6:7], v[16:17], v[1:2]
	v_fma_f64 v[16:17], s[4:5], v[16:17], -v[18:19]
	v_ashrrev_i32_e32 v1, 31, v0
	s_delay_alu instid0(VALU_DEP_1) | instskip(NEXT) | instid1(VALU_DEP_1)
	v_lshlrev_b64 v[18:19], 4, v[0:1]
	v_add_co_u32 v23, s1, v20, v18
	s_delay_alu instid0(VALU_DEP_1)
	v_add_co_ci_u32_e64 v24, s1, v22, v19, s1
	v_cndmask_b32_e64 v19, 0, v3, s0
	v_cndmask_b32_e64 v18, 0, v2, s0
	global_store_b128 v[23:24], v[16:19], off
.LBB878_5:
	s_or_b32 exec_lo, exec_lo, s10
	v_add_nc_u32_e32 v2, 16, v0
	s_delay_alu instid0(VALU_DEP_1) | instskip(NEXT) | instid1(VALU_DEP_1)
	v_cmp_le_i32_e64 s0, v2, v21
	s_and_b32 s0, vcc_lo, s0
	s_delay_alu instid0(SALU_CYCLE_1)
	s_and_saveexec_b32 s1, s0
	s_cbranch_execz .LBB878_7
; %bb.6:
	v_mul_f64 v[16:17], s[4:5], v[14:15]
	v_mul_f64 v[14:15], s[6:7], v[14:15]
	v_ashrrev_i32_e32 v3, 31, v2
	v_cmp_ne_u32_e32 vcc_lo, v21, v2
	s_delay_alu instid0(VALU_DEP_4) | instskip(NEXT) | instid1(VALU_DEP_4)
	v_fma_f64 v[16:17], s[6:7], v[12:13], v[16:17]
	v_fma_f64 v[12:13], s[4:5], v[12:13], -v[14:15]
	s_delay_alu instid0(VALU_DEP_4) | instskip(NEXT) | instid1(VALU_DEP_1)
	v_lshlrev_b64 v[14:15], 4, v[2:3]
	v_add_co_u32 v18, s0, v20, v14
	s_delay_alu instid0(VALU_DEP_1)
	v_add_co_ci_u32_e64 v19, s0, v22, v15, s0
	v_dual_cndmask_b32 v15, 0, v17 :: v_dual_cndmask_b32 v14, 0, v16
	global_store_b128 v[18:19], v[12:15], off
.LBB878_7:
	s_or_b32 exec_lo, exec_lo, s1
	v_add_nc_u32_e32 v3, 16, v21
	s_delay_alu instid0(VALU_DEP_1) | instskip(SKIP_2) | instid1(VALU_DEP_1)
	v_mad_i64_i32 v[12:13], null, v3, s3, 0
	v_cmp_gt_i32_e32 vcc_lo, s2, v3
	v_cmp_le_i32_e64 s0, v0, v3
	s_and_b32 s0, vcc_lo, s0
	s_delay_alu instid0(VALU_DEP_3) | instskip(NEXT) | instid1(VALU_DEP_1)
	v_lshlrev_b64 v[12:13], 4, v[12:13]
	v_add_co_u32 v12, s1, s8, v12
	s_delay_alu instid0(VALU_DEP_1)
	v_add_co_ci_u32_e64 v13, s1, s9, v13, s1
	s_and_saveexec_b32 s2, s0
	s_cbranch_execz .LBB878_9
; %bb.8:
	v_mul_f64 v[14:15], s[4:5], v[8:9]
	v_mul_f64 v[8:9], s[6:7], v[8:9]
	v_ashrrev_i32_e32 v1, 31, v0
	v_cmp_ne_u32_e64 s0, v3, v0
	s_delay_alu instid0(VALU_DEP_4) | instskip(NEXT) | instid1(VALU_DEP_4)
	v_fma_f64 v[14:15], s[6:7], v[10:11], v[14:15]
	v_fma_f64 v[8:9], s[4:5], v[10:11], -v[8:9]
	s_delay_alu instid0(VALU_DEP_4) | instskip(NEXT) | instid1(VALU_DEP_1)
	v_lshlrev_b64 v[10:11], 4, v[0:1]
	v_add_co_u32 v16, s1, v12, v10
	s_delay_alu instid0(VALU_DEP_1)
	v_add_co_ci_u32_e64 v17, s1, v13, v11, s1
	v_cndmask_b32_e64 v11, 0, v15, s0
	v_cndmask_b32_e64 v10, 0, v14, s0
	global_store_b128 v[16:17], v[8:11], off
.LBB878_9:
	s_or_b32 exec_lo, exec_lo, s2
	v_cmp_le_i32_e64 s0, v2, v3
	s_delay_alu instid0(VALU_DEP_1) | instskip(NEXT) | instid1(SALU_CYCLE_1)
	s_and_b32 s0, vcc_lo, s0
	s_and_saveexec_b32 s1, s0
	s_cbranch_execz .LBB878_11
; %bb.10:
	v_mul_f64 v[8:9], s[4:5], v[4:5]
	v_mul_f64 v[3:4], s[6:7], v[4:5]
	v_cmp_ne_u32_e32 vcc_lo, v21, v0
	s_delay_alu instid0(VALU_DEP_3) | instskip(NEXT) | instid1(VALU_DEP_3)
	v_fma_f64 v[8:9], s[6:7], v[6:7], v[8:9]
	v_fma_f64 v[4:5], s[4:5], v[6:7], -v[3:4]
	v_ashrrev_i32_e32 v3, 31, v2
	s_delay_alu instid0(VALU_DEP_1) | instskip(NEXT) | instid1(VALU_DEP_1)
	v_lshlrev_b64 v[1:2], 4, v[2:3]
	v_add_co_u32 v0, s0, v12, v1
	s_delay_alu instid0(VALU_DEP_1)
	v_add_co_ci_u32_e64 v1, s0, v13, v2, s0
	v_dual_cndmask_b32 v7, 0, v9 :: v_dual_cndmask_b32 v6, 0, v8
	global_store_b128 v[0:1], v[4:7], off
.LBB878_11:
	s_nop 0
	s_sendmsg sendmsg(MSG_DEALLOC_VGPRS)
	s_endpgm
	.section	.rodata,"a",@progbits
	.p2align	6, 0x0
	.amdhsa_kernel _ZL37rocblas_syrkx_herkx_restricted_kernelIi19rocblas_complex_numIdELi16ELi32ELi8ELb1ELb1ELc78ELc85EKPKS1_KPS1_EviT_T0_PT8_S7_lSA_S7_lS8_PT9_S7_li
		.amdhsa_group_segment_fixed_size 8192
		.amdhsa_private_segment_fixed_size 0
		.amdhsa_kernarg_size 116
		.amdhsa_user_sgpr_count 13
		.amdhsa_user_sgpr_dispatch_ptr 0
		.amdhsa_user_sgpr_queue_ptr 0
		.amdhsa_user_sgpr_kernarg_segment_ptr 1
		.amdhsa_user_sgpr_dispatch_id 0
		.amdhsa_user_sgpr_private_segment_size 0
		.amdhsa_wavefront_size32 1
		.amdhsa_uses_dynamic_stack 0
		.amdhsa_enable_private_segment 0
		.amdhsa_system_sgpr_workgroup_id_x 1
		.amdhsa_system_sgpr_workgroup_id_y 1
		.amdhsa_system_sgpr_workgroup_id_z 1
		.amdhsa_system_sgpr_workgroup_info 0
		.amdhsa_system_vgpr_workitem_id 1
		.amdhsa_next_free_vgpr 118
		.amdhsa_next_free_sgpr 24
		.amdhsa_reserve_vcc 1
		.amdhsa_float_round_mode_32 0
		.amdhsa_float_round_mode_16_64 0
		.amdhsa_float_denorm_mode_32 3
		.amdhsa_float_denorm_mode_16_64 3
		.amdhsa_dx10_clamp 1
		.amdhsa_ieee_mode 1
		.amdhsa_fp16_overflow 0
		.amdhsa_workgroup_processor_mode 1
		.amdhsa_memory_ordered 1
		.amdhsa_forward_progress 0
		.amdhsa_shared_vgpr_count 0
		.amdhsa_exception_fp_ieee_invalid_op 0
		.amdhsa_exception_fp_denorm_src 0
		.amdhsa_exception_fp_ieee_div_zero 0
		.amdhsa_exception_fp_ieee_overflow 0
		.amdhsa_exception_fp_ieee_underflow 0
		.amdhsa_exception_fp_ieee_inexact 0
		.amdhsa_exception_int_div_zero 0
	.end_amdhsa_kernel
	.section	.text._ZL37rocblas_syrkx_herkx_restricted_kernelIi19rocblas_complex_numIdELi16ELi32ELi8ELb1ELb1ELc78ELc85EKPKS1_KPS1_EviT_T0_PT8_S7_lSA_S7_lS8_PT9_S7_li,"axG",@progbits,_ZL37rocblas_syrkx_herkx_restricted_kernelIi19rocblas_complex_numIdELi16ELi32ELi8ELb1ELb1ELc78ELc85EKPKS1_KPS1_EviT_T0_PT8_S7_lSA_S7_lS8_PT9_S7_li,comdat
.Lfunc_end878:
	.size	_ZL37rocblas_syrkx_herkx_restricted_kernelIi19rocblas_complex_numIdELi16ELi32ELi8ELb1ELb1ELc78ELc85EKPKS1_KPS1_EviT_T0_PT8_S7_lSA_S7_lS8_PT9_S7_li, .Lfunc_end878-_ZL37rocblas_syrkx_herkx_restricted_kernelIi19rocblas_complex_numIdELi16ELi32ELi8ELb1ELb1ELc78ELc85EKPKS1_KPS1_EviT_T0_PT8_S7_lSA_S7_lS8_PT9_S7_li
                                        ; -- End function
	.section	.AMDGPU.csdata,"",@progbits
; Kernel info:
; codeLenInByte = 3112
; NumSgprs: 26
; NumVgprs: 118
; ScratchSize: 0
; MemoryBound: 0
; FloatMode: 240
; IeeeMode: 1
; LDSByteSize: 8192 bytes/workgroup (compile time only)
; SGPRBlocks: 3
; VGPRBlocks: 14
; NumSGPRsForWavesPerEU: 26
; NumVGPRsForWavesPerEU: 118
; Occupancy: 12
; WaveLimiterHint : 1
; COMPUTE_PGM_RSRC2:SCRATCH_EN: 0
; COMPUTE_PGM_RSRC2:USER_SGPR: 13
; COMPUTE_PGM_RSRC2:TRAP_HANDLER: 0
; COMPUTE_PGM_RSRC2:TGID_X_EN: 1
; COMPUTE_PGM_RSRC2:TGID_Y_EN: 1
; COMPUTE_PGM_RSRC2:TGID_Z_EN: 1
; COMPUTE_PGM_RSRC2:TIDIG_COMP_CNT: 1
	.section	.text._ZL37rocblas_syrkx_herkx_restricted_kernelIi19rocblas_complex_numIdELi16ELi32ELi8ELb0ELb1ELc84ELc76EKPKS1_KPS1_EviT_T0_PT8_S7_lSA_S7_lS8_PT9_S7_li,"axG",@progbits,_ZL37rocblas_syrkx_herkx_restricted_kernelIi19rocblas_complex_numIdELi16ELi32ELi8ELb0ELb1ELc84ELc76EKPKS1_KPS1_EviT_T0_PT8_S7_lSA_S7_lS8_PT9_S7_li,comdat
	.globl	_ZL37rocblas_syrkx_herkx_restricted_kernelIi19rocblas_complex_numIdELi16ELi32ELi8ELb0ELb1ELc84ELc76EKPKS1_KPS1_EviT_T0_PT8_S7_lSA_S7_lS8_PT9_S7_li ; -- Begin function _ZL37rocblas_syrkx_herkx_restricted_kernelIi19rocblas_complex_numIdELi16ELi32ELi8ELb0ELb1ELc84ELc76EKPKS1_KPS1_EviT_T0_PT8_S7_lSA_S7_lS8_PT9_S7_li
	.p2align	8
	.type	_ZL37rocblas_syrkx_herkx_restricted_kernelIi19rocblas_complex_numIdELi16ELi32ELi8ELb0ELb1ELc84ELc76EKPKS1_KPS1_EviT_T0_PT8_S7_lSA_S7_lS8_PT9_S7_li,@function
_ZL37rocblas_syrkx_herkx_restricted_kernelIi19rocblas_complex_numIdELi16ELi32ELi8ELb0ELb1ELc84ELc76EKPKS1_KPS1_EviT_T0_PT8_S7_lSA_S7_lS8_PT9_S7_li: ; @_ZL37rocblas_syrkx_herkx_restricted_kernelIi19rocblas_complex_numIdELi16ELi32ELi8ELb0ELb1ELc84ELc76EKPKS1_KPS1_EviT_T0_PT8_S7_lSA_S7_lS8_PT9_S7_li
; %bb.0:
	s_load_b64 s[2:3], s[0:1], 0x58
	s_mov_b32 s18, s15
	s_mov_b32 s19, 0
	s_clause 0x1
	s_load_b64 s[16:17], s[0:1], 0x0
	s_load_b128 s[4:7], s[0:1], 0x8
	s_lshl_b64 s[20:21], s[18:19], 3
	v_mov_b32_e32 v16, 0
	v_dual_mov_b32 v17, 0 :: v_dual_and_b32 v20, 0x3ff, v0
	v_bfe_u32 v21, v0, 10, 10
	s_delay_alu instid0(VALU_DEP_3) | instskip(NEXT) | instid1(VALU_DEP_3)
	v_mov_b32_e32 v12, v16
	v_dual_mov_b32 v14, v16 :: v_dual_mov_b32 v15, v17
	v_dual_mov_b32 v19, v17 :: v_dual_mov_b32 v18, v16
	;; [unrolled: 1-line block ×5, first 2 shown]
	v_mov_b32_e32 v7, v17
	s_waitcnt lgkmcnt(0)
	s_add_u32 s2, s2, s20
	s_addc_u32 s3, s3, s21
	s_clause 0x1
	s_load_b64 s[22:23], s[0:1], 0x18
	s_load_b128 s[8:11], s[0:1], 0x48
	s_load_b64 s[2:3], s[2:3], 0x0
	v_dual_mov_b32 v4, v16 :: v_dual_mov_b32 v5, v17
	s_lshl_b32 s12, s13, 5
	s_lshl_b32 s13, s14, 5
	s_cmp_lt_i32 s17, 1
	s_cbranch_scc1 .LBB879_3
; %bb.1:
	s_clause 0x2
	s_load_b64 s[14:15], s[0:1], 0x30
	s_load_b32 s18, s[0:1], 0x20
	s_load_b32 s24, s[0:1], 0x38
	v_lshl_add_u32 v2, v21, 4, v20
	v_dual_mov_b32 v1, 0 :: v_dual_and_b32 v0, 7, v20
	s_waitcnt lgkmcnt(0)
	s_add_u32 s22, s22, s20
	v_lshlrev_b32_e32 v22, 4, v20
	v_and_b32_e32 v10, 31, v2
	s_addc_u32 s23, s23, s21
	v_lshrrev_b32_e32 v11, 3, v2
	v_lshrrev_b32_e32 v2, 5, v2
	s_delay_alu instid0(VALU_DEP_3)
	v_dual_mov_b32 v3, v1 :: v_dual_add_nc_u32 v4, s12, v10
	s_load_b64 s[22:23], s[22:23], 0x0
	v_lshl_add_u32 v23, v21, 7, 0x1000
	s_add_u32 s14, s14, s20
	s_addc_u32 s15, s15, s21
	v_mad_i64_i32 v[6:7], null, s18, v4, v[2:3]
	s_load_b64 s[14:15], s[14:15], 0x0
	v_dual_mov_b32 v4, 0 :: v_dual_lshlrev_b32 v3, 4, v0
	v_dual_mov_b32 v5, 0 :: v_dual_add_nc_u32 v12, s13, v11
	v_lshlrev_b32_e32 v10, 4, v10
	s_delay_alu instid0(VALU_DEP_3) | instskip(NEXT) | instid1(VALU_DEP_3)
	v_lshl_or_b32 v3, v11, 7, v3
	v_mov_b32_e32 v15, v5
	s_delay_alu instid0(VALU_DEP_4)
	v_mad_i64_i32 v[8:9], null, s24, v12, v[0:1]
	v_lshlrev_b64 v[0:1], 4, v[6:7]
	v_dual_mov_b32 v7, v5 :: v_dual_mov_b32 v6, v4
	v_add_nc_u32_e32 v25, 0x1000, v3
	v_lshl_or_b32 v24, v2, 9, v10
	v_dual_mov_b32 v14, v4 :: v_dual_mov_b32 v13, v5
	v_lshlrev_b64 v[2:3], 4, v[8:9]
	s_waitcnt lgkmcnt(0)
	v_add_co_u32 v0, vcc_lo, v0, s22
	v_add_co_ci_u32_e32 v1, vcc_lo, s23, v1, vcc_lo
	v_mov_b32_e32 v9, v5
	s_delay_alu instid0(VALU_DEP_4)
	v_add_co_u32 v2, vcc_lo, v2, s14
	v_add_co_ci_u32_e32 v3, vcc_lo, s15, v3, vcc_lo
	v_add_co_u32 v0, vcc_lo, v0, 8
	v_mov_b32_e32 v8, v4
	v_add_co_ci_u32_e32 v1, vcc_lo, 0, v1, vcc_lo
	v_add_co_u32 v2, vcc_lo, v2, 8
	v_dual_mov_b32 v12, v4 :: v_dual_mov_b32 v19, v5
	v_dual_mov_b32 v18, v4 :: v_dual_mov_b32 v17, v5
	v_add_co_ci_u32_e32 v3, vcc_lo, 0, v3, vcc_lo
	v_dual_mov_b32 v11, v5 :: v_dual_mov_b32 v10, v4
	v_mov_b32_e32 v16, v4
.LBB879_2:                              ; =>This Inner Loop Header: Depth=1
	global_load_b128 v[26:29], v[0:1], off offset:-8
	global_load_b128 v[30:33], v[2:3], off offset:-8
	v_add_co_u32 v0, vcc_lo, 0x80, v0
	v_add_co_ci_u32_e32 v1, vcc_lo, 0, v1, vcc_lo
	v_add_co_u32 v2, vcc_lo, 0x80, v2
	v_add_co_ci_u32_e32 v3, vcc_lo, 0, v3, vcc_lo
	s_add_i32 s19, s19, 8
	s_waitcnt vmcnt(1)
	ds_store_b128 v24, v[26:29]
	s_waitcnt vmcnt(0)
	ds_store_b128 v25, v[30:33]
	s_waitcnt lgkmcnt(0)
	s_barrier
	buffer_gl0_inv
	ds_load_b128 v[26:29], v23
	ds_load_b128 v[30:33], v22
	ds_load_b128 v[34:37], v22 offset:256
	ds_load_b128 v[38:41], v23 offset:2048
	;; [unrolled: 1-line block ×13, first 2 shown]
	s_cmp_ge_i32 s19, s17
	s_waitcnt lgkmcnt(13)
	v_mul_f64 v[86:87], v[28:29], v[32:33]
	v_mul_f64 v[88:89], v[26:27], v[32:33]
	s_waitcnt lgkmcnt(12)
	v_mul_f64 v[90:91], v[28:29], v[36:37]
	v_mul_f64 v[92:93], v[26:27], v[36:37]
	;; [unrolled: 3-line block ×3, first 2 shown]
	v_mul_f64 v[96:97], v[40:41], v[36:37]
	v_mul_f64 v[36:37], v[38:39], v[36:37]
	s_waitcnt lgkmcnt(8)
	v_mul_f64 v[98:99], v[44:45], v[52:53]
	v_mul_f64 v[100:101], v[42:43], v[52:53]
	s_waitcnt lgkmcnt(7)
	v_mul_f64 v[102:103], v[44:45], v[56:57]
	v_mul_f64 v[104:105], v[42:43], v[56:57]
	;; [unrolled: 1-line block ×6, first 2 shown]
	s_waitcnt lgkmcnt(3)
	v_mul_f64 v[112:113], v[58:59], v[72:73]
	s_waitcnt lgkmcnt(2)
	v_mul_f64 v[114:115], v[76:77], v[68:69]
	v_mul_f64 v[116:117], v[76:77], v[72:73]
	v_fma_f64 v[86:87], v[26:27], v[30:31], -v[86:87]
	v_fma_f64 v[88:89], v[28:29], v[30:31], v[88:89]
	v_fma_f64 v[90:91], v[26:27], v[34:35], -v[90:91]
	v_fma_f64 v[92:93], v[28:29], v[34:35], v[92:93]
	;; [unrolled: 2-line block ×4, first 2 shown]
	v_mul_f64 v[36:37], v[60:61], v[68:69]
	v_mul_f64 v[40:41], v[58:59], v[68:69]
	;; [unrolled: 1-line block ×5, first 2 shown]
	v_fma_f64 v[98:99], v[42:43], v[50:51], -v[98:99]
	v_fma_f64 v[100:101], v[44:45], v[50:51], v[100:101]
	v_fma_f64 v[42:43], v[42:43], v[54:55], -v[102:103]
	v_fma_f64 v[44:45], v[44:45], v[54:55], v[104:105]
	v_fma_f64 v[102:103], v[46:47], v[50:51], -v[106:107]
	v_fma_f64 v[50:51], v[48:49], v[50:51], v[52:53]
	v_fma_f64 v[46:47], v[46:47], v[54:55], -v[108:109]
	v_fma_f64 v[48:49], v[48:49], v[54:55], v[56:57]
	ds_load_b128 v[26:29], v22 offset:1792
	ds_load_b128 v[30:33], v22 offset:2048
	s_waitcnt lgkmcnt(2)
	v_mul_f64 v[56:57], v[64:65], v[84:85]
	v_add_f64 v[16:17], v[16:17], v[86:87]
	v_add_f64 v[18:19], v[18:19], v[88:89]
	;; [unrolled: 1-line block ×8, first 2 shown]
	v_mul_f64 v[86:87], v[62:63], v[84:85]
	s_waitcnt lgkmcnt(1)
	v_mul_f64 v[88:89], v[64:65], v[28:29]
	v_mul_f64 v[90:91], v[62:63], v[28:29]
	;; [unrolled: 1-line block ×6, first 2 shown]
	v_fma_f64 v[104:105], v[58:59], v[66:67], -v[36:37]
	v_fma_f64 v[106:107], v[60:61], v[66:67], v[40:41]
	v_fma_f64 v[58:59], v[58:59], v[70:71], -v[96:97]
	v_fma_f64 v[60:61], v[60:61], v[70:71], v[112:113]
	;; [unrolled: 2-line block ×4, first 2 shown]
	ds_load_b128 v[4:7], v22 offset:2304
	ds_load_b128 v[8:11], v23 offset:64
	v_fma_f64 v[56:57], v[62:63], v[82:83], -v[56:57]
	v_add_f64 v[72:73], v[16:17], v[98:99]
	v_add_f64 v[74:75], v[18:19], v[100:101]
	v_add_f64 v[42:43], v[12:13], v[42:43]
	v_add_f64 v[44:45], v[14:15], v[44:45]
	v_add_f64 v[52:53], v[52:53], v[102:103]
	v_add_f64 v[50:51], v[54:55], v[50:51]
	v_add_f64 v[46:47], v[38:39], v[46:47]
	v_add_f64 v[48:49], v[34:35], v[48:49]
	ds_load_b128 v[12:15], v23 offset:2112
	ds_load_b128 v[16:19], v23 offset:80
	;; [unrolled: 1-line block ×4, first 2 shown]
	s_waitcnt lgkmcnt(4)
	v_mul_f64 v[54:55], v[10:11], v[32:33]
	v_mul_f64 v[76:77], v[8:9], v[32:33]
	;; [unrolled: 1-line block ×4, first 2 shown]
	v_fma_f64 v[86:87], v[64:65], v[82:83], v[86:87]
	v_fma_f64 v[62:63], v[62:63], v[26:27], -v[88:89]
	v_fma_f64 v[64:65], v[64:65], v[26:27], v[90:91]
	v_fma_f64 v[88:89], v[78:79], v[82:83], -v[92:93]
	;; [unrolled: 2-line block ×3, first 2 shown]
	v_fma_f64 v[80:81], v[80:81], v[26:27], v[28:29]
	s_waitcnt lgkmcnt(3)
	v_mul_f64 v[102:103], v[14:15], v[32:33]
	v_mul_f64 v[32:33], v[12:13], v[32:33]
	;; [unrolled: 1-line block ×4, first 2 shown]
	s_waitcnt lgkmcnt(0)
	v_mul_f64 v[90:91], v[18:19], v[40:41]
	v_mul_f64 v[92:93], v[16:17], v[40:41]
	v_add_f64 v[72:73], v[72:73], v[104:105]
	v_add_f64 v[74:75], v[74:75], v[106:107]
	;; [unrolled: 1-line block ×8, first 2 shown]
	ds_load_b128 v[26:29], v22 offset:2816
	ds_load_b128 v[42:45], v22 offset:3072
	;; [unrolled: 1-line block ×4, first 2 shown]
	v_mul_f64 v[104:105], v[36:37], v[40:41]
	v_mul_f64 v[40:41], v[34:35], v[40:41]
	v_fma_f64 v[54:55], v[8:9], v[30:31], -v[54:55]
	v_fma_f64 v[76:77], v[10:11], v[30:31], v[76:77]
	v_fma_f64 v[98:99], v[8:9], v[4:5], -v[98:99]
	v_fma_f64 v[100:101], v[10:11], v[4:5], v[100:101]
	s_waitcnt lgkmcnt(3)
	v_mul_f64 v[94:95], v[18:19], v[28:29]
	v_mul_f64 v[96:97], v[16:17], v[28:29]
	;; [unrolled: 1-line block ×4, first 2 shown]
	v_fma_f64 v[102:103], v[12:13], v[30:31], -v[102:103]
	v_fma_f64 v[32:33], v[14:15], v[30:31], v[32:33]
	v_fma_f64 v[108:109], v[12:13], v[4:5], -v[108:109]
	v_fma_f64 v[112:113], v[14:15], v[4:5], v[6:7]
	ds_load_b128 v[4:7], v23 offset:2144
	ds_load_b128 v[8:11], v23 offset:112
	;; [unrolled: 1-line block ×4, first 2 shown]
	v_add_f64 v[56:57], v[72:73], v[56:57]
	v_add_f64 v[72:73], v[74:75], v[86:87]
	;; [unrolled: 1-line block ×8, first 2 shown]
	s_waitcnt lgkmcnt(4)
	v_mul_f64 v[70:71], v[52:53], v[44:45]
	v_mul_f64 v[74:75], v[50:51], v[44:45]
	;; [unrolled: 1-line block ×4, first 2 shown]
	s_waitcnt lgkmcnt(3)
	v_mul_f64 v[82:83], v[6:7], v[44:45]
	v_mul_f64 v[44:45], v[4:5], v[44:45]
	v_mul_f64 v[84:85], v[6:7], v[48:49]
	v_mul_f64 v[48:49], v[4:5], v[48:49]
	v_fma_f64 v[86:87], v[16:17], v[38:39], -v[90:91]
	v_fma_f64 v[88:89], v[18:19], v[38:39], v[92:93]
	v_fma_f64 v[90:91], v[16:17], v[26:27], -v[94:95]
	v_fma_f64 v[92:93], v[18:19], v[26:27], v[96:97]
	;; [unrolled: 2-line block ×4, first 2 shown]
	ds_load_b128 v[16:19], v22 offset:3840
	s_waitcnt lgkmcnt(0)
	s_barrier
	buffer_gl0_inv
	v_add_f64 v[36:37], v[56:57], v[54:55]
	v_add_f64 v[40:41], v[72:73], v[76:77]
	;; [unrolled: 1-line block ×8, first 2 shown]
	v_mul_f64 v[64:65], v[10:11], v[30:31]
	v_mul_f64 v[66:67], v[8:9], v[30:31]
	;; [unrolled: 1-line block ×4, first 2 shown]
	v_fma_f64 v[70:71], v[50:51], v[42:43], -v[70:71]
	v_mul_f64 v[68:69], v[10:11], v[18:19]
	v_mul_f64 v[72:73], v[8:9], v[18:19]
	;; [unrolled: 1-line block ×4, first 2 shown]
	v_fma_f64 v[74:75], v[52:53], v[42:43], v[74:75]
	v_fma_f64 v[50:51], v[50:51], v[46:47], -v[78:79]
	v_fma_f64 v[52:53], v[52:53], v[46:47], v[80:81]
	v_fma_f64 v[78:79], v[4:5], v[42:43], -v[82:83]
	v_fma_f64 v[42:43], v[6:7], v[42:43], v[44:45]
	v_fma_f64 v[4:5], v[4:5], v[46:47], -v[84:85]
	v_fma_f64 v[6:7], v[6:7], v[46:47], v[48:49]
	v_add_f64 v[36:37], v[36:37], v[86:87]
	v_add_f64 v[40:41], v[40:41], v[88:89]
	;; [unrolled: 1-line block ×8, first 2 shown]
	v_fma_f64 v[38:39], v[8:9], v[28:29], -v[64:65]
	v_fma_f64 v[54:55], v[10:11], v[28:29], v[66:67]
	v_fma_f64 v[56:57], v[12:13], v[28:29], -v[76:77]
	v_fma_f64 v[28:29], v[14:15], v[28:29], v[30:31]
	;; [unrolled: 2-line block ×4, first 2 shown]
	v_add_f64 v[12:13], v[36:37], v[70:71]
	v_add_f64 v[14:15], v[40:41], v[74:75]
	v_add_f64 v[36:37], v[44:45], v[50:51]
	v_add_f64 v[40:41], v[46:47], v[52:53]
	v_add_f64 v[44:45], v[48:49], v[78:79]
	v_add_f64 v[32:33], v[32:33], v[42:43]
	v_add_f64 v[4:5], v[34:35], v[4:5]
	v_add_f64 v[26:27], v[26:27], v[6:7]
	v_add_f64 v[16:17], v[12:13], v[38:39]
	v_add_f64 v[18:19], v[14:15], v[54:55]
	v_add_f64 v[12:13], v[36:37], v[8:9]
	v_add_f64 v[14:15], v[40:41], v[10:11]
	v_add_f64 v[8:9], v[44:45], v[56:57]
	v_add_f64 v[10:11], v[32:33], v[28:29]
	v_add_f64 v[6:7], v[4:5], v[30:31]
	v_add_f64 v[4:5], v[26:27], v[58:59]
	s_cbranch_scc0 .LBB879_2
.LBB879_3:
	s_load_b32 s14, s[0:1], 0x60
	v_add_nc_u32_e32 v21, s13, v21
	v_add_nc_u32_e32 v0, s12, v20
	s_delay_alu instid0(VALU_DEP_1) | instskip(SKIP_1) | instid1(VALU_DEP_2)
	v_cmp_le_i32_e64 s0, v21, v0
	v_cmp_gt_i32_e32 vcc_lo, s16, v0
	s_and_b32 s0, s0, vcc_lo
	s_waitcnt lgkmcnt(0)
	v_mad_i64_i32 v[1:2], null, v21, s14, 0
	s_delay_alu instid0(VALU_DEP_1) | instskip(NEXT) | instid1(VALU_DEP_1)
	v_lshlrev_b64 v[1:2], 4, v[1:2]
	v_add_co_u32 v20, s1, s2, v1
	s_delay_alu instid0(VALU_DEP_1)
	v_add_co_ci_u32_e64 v22, s1, s3, v2, s1
	s_and_saveexec_b32 s1, s0
	s_cbranch_execz .LBB879_5
; %bb.4:
	v_ashrrev_i32_e32 v1, 31, v0
	v_mul_f64 v[27:28], s[4:5], v[18:19]
	v_mul_f64 v[18:19], s[6:7], v[18:19]
	s_delay_alu instid0(VALU_DEP_3) | instskip(NEXT) | instid1(VALU_DEP_1)
	v_lshlrev_b64 v[1:2], 4, v[0:1]
	v_add_co_u32 v1, s0, v20, v1
	s_delay_alu instid0(VALU_DEP_1)
	v_add_co_ci_u32_e64 v2, s0, v22, v2, s0
	v_cmp_ne_u32_e64 s0, v21, v0
	global_load_b128 v[23:26], v[1:2], off
	v_fma_f64 v[27:28], s[6:7], v[16:17], v[27:28]
	v_fma_f64 v[16:17], s[4:5], v[16:17], -v[18:19]
	s_waitcnt vmcnt(0)
	v_mul_f64 v[29:30], s[8:9], v[25:26]
	v_mul_f64 v[25:26], s[10:11], v[25:26]
	s_delay_alu instid0(VALU_DEP_2) | instskip(NEXT) | instid1(VALU_DEP_2)
	v_fma_f64 v[29:30], s[10:11], v[23:24], v[29:30]
	v_fma_f64 v[18:19], s[8:9], v[23:24], -v[25:26]
	s_delay_alu instid0(VALU_DEP_2) | instskip(NEXT) | instid1(VALU_DEP_2)
	v_add_f64 v[23:24], v[27:28], v[29:30]
	v_add_f64 v[16:17], v[16:17], v[18:19]
	s_delay_alu instid0(VALU_DEP_2) | instskip(NEXT) | instid1(VALU_DEP_3)
	v_cndmask_b32_e64 v19, 0, v24, s0
	v_cndmask_b32_e64 v18, 0, v23, s0
	global_store_b128 v[1:2], v[16:19], off
.LBB879_5:
	s_or_b32 exec_lo, exec_lo, s1
	v_add_nc_u32_e32 v2, 16, v0
	s_delay_alu instid0(VALU_DEP_1) | instskip(SKIP_1) | instid1(VALU_DEP_1)
	v_cmp_le_i32_e64 s1, v21, v2
	v_cmp_gt_i32_e64 s0, s16, v2
	s_and_b32 s1, s1, s0
	s_delay_alu instid0(SALU_CYCLE_1)
	s_and_saveexec_b32 s12, s1
	s_cbranch_execz .LBB879_7
; %bb.6:
	v_ashrrev_i32_e32 v3, 31, v2
	v_mul_f64 v[25:26], s[4:5], v[14:15]
	v_mul_f64 v[14:15], s[6:7], v[14:15]
	s_delay_alu instid0(VALU_DEP_3) | instskip(NEXT) | instid1(VALU_DEP_1)
	v_lshlrev_b64 v[16:17], 4, v[2:3]
	v_add_co_u32 v23, s1, v20, v16
	s_delay_alu instid0(VALU_DEP_1)
	v_add_co_ci_u32_e64 v24, s1, v22, v17, s1
	v_cmp_ne_u32_e64 s1, v21, v2
	global_load_b128 v[16:19], v[23:24], off
	v_fma_f64 v[25:26], s[6:7], v[12:13], v[25:26]
	v_fma_f64 v[12:13], s[4:5], v[12:13], -v[14:15]
	s_waitcnt vmcnt(0)
	v_mul_f64 v[27:28], s[8:9], v[18:19]
	v_mul_f64 v[18:19], s[10:11], v[18:19]
	s_delay_alu instid0(VALU_DEP_2) | instskip(NEXT) | instid1(VALU_DEP_2)
	v_fma_f64 v[27:28], s[10:11], v[16:17], v[27:28]
	v_fma_f64 v[14:15], s[8:9], v[16:17], -v[18:19]
	s_delay_alu instid0(VALU_DEP_2) | instskip(NEXT) | instid1(VALU_DEP_2)
	v_add_f64 v[16:17], v[25:26], v[27:28]
	v_add_f64 v[12:13], v[12:13], v[14:15]
	s_delay_alu instid0(VALU_DEP_2) | instskip(NEXT) | instid1(VALU_DEP_3)
	v_cndmask_b32_e64 v15, 0, v17, s1
	v_cndmask_b32_e64 v14, 0, v16, s1
	global_store_b128 v[23:24], v[12:15], off
.LBB879_7:
	s_or_b32 exec_lo, exec_lo, s12
	v_add_nc_u32_e32 v3, 16, v21
	s_delay_alu instid0(VALU_DEP_1) | instskip(SKIP_1) | instid1(VALU_DEP_2)
	v_mad_i64_i32 v[12:13], null, v3, s14, 0
	v_cmp_le_i32_e64 s1, v3, v0
	v_lshlrev_b64 v[12:13], 4, v[12:13]
	s_delay_alu instid0(VALU_DEP_1) | instskip(NEXT) | instid1(VALU_DEP_1)
	v_add_co_u32 v12, s2, s2, v12
	v_add_co_ci_u32_e64 v13, s2, s3, v13, s2
	s_delay_alu instid0(VALU_DEP_4) | instskip(NEXT) | instid1(SALU_CYCLE_1)
	s_and_b32 s2, s1, vcc_lo
	s_and_saveexec_b32 s1, s2
	s_cbranch_execz .LBB879_9
; %bb.8:
	v_ashrrev_i32_e32 v1, 31, v0
	v_mul_f64 v[22:23], s[4:5], v[10:11]
	v_mul_f64 v[10:11], s[6:7], v[10:11]
	s_delay_alu instid0(VALU_DEP_3) | instskip(NEXT) | instid1(VALU_DEP_1)
	v_lshlrev_b64 v[14:15], 4, v[0:1]
	v_add_co_u32 v18, vcc_lo, v12, v14
	s_delay_alu instid0(VALU_DEP_2)
	v_add_co_ci_u32_e32 v19, vcc_lo, v13, v15, vcc_lo
	v_cmp_ne_u32_e32 vcc_lo, v3, v0
	global_load_b128 v[14:17], v[18:19], off
	v_fma_f64 v[22:23], s[6:7], v[8:9], v[22:23]
	v_fma_f64 v[8:9], s[4:5], v[8:9], -v[10:11]
	s_waitcnt vmcnt(0)
	v_mul_f64 v[24:25], s[8:9], v[16:17]
	v_mul_f64 v[16:17], s[10:11], v[16:17]
	s_delay_alu instid0(VALU_DEP_2) | instskip(NEXT) | instid1(VALU_DEP_2)
	v_fma_f64 v[24:25], s[10:11], v[14:15], v[24:25]
	v_fma_f64 v[10:11], s[8:9], v[14:15], -v[16:17]
	s_delay_alu instid0(VALU_DEP_2) | instskip(NEXT) | instid1(VALU_DEP_2)
	v_add_f64 v[14:15], v[22:23], v[24:25]
	v_add_f64 v[8:9], v[8:9], v[10:11]
	s_delay_alu instid0(VALU_DEP_2)
	v_dual_cndmask_b32 v11, 0, v15 :: v_dual_cndmask_b32 v10, 0, v14
	global_store_b128 v[18:19], v[8:11], off
.LBB879_9:
	s_or_b32 exec_lo, exec_lo, s1
	v_cmp_le_i32_e32 vcc_lo, v3, v2
	s_and_b32 s0, vcc_lo, s0
	s_delay_alu instid0(SALU_CYCLE_1)
	s_and_saveexec_b32 s1, s0
	s_cbranch_execz .LBB879_11
; %bb.10:
	v_ashrrev_i32_e32 v3, 31, v2
	s_delay_alu instid0(VALU_DEP_1) | instskip(NEXT) | instid1(VALU_DEP_1)
	v_lshlrev_b64 v[1:2], 4, v[2:3]
	v_add_co_u32 v12, vcc_lo, v12, v1
	s_delay_alu instid0(VALU_DEP_2)
	v_add_co_ci_u32_e32 v13, vcc_lo, v13, v2, vcc_lo
	v_mul_f64 v[1:2], s[4:5], v[4:5]
	v_mul_f64 v[3:4], s[6:7], v[4:5]
	v_cmp_ne_u32_e32 vcc_lo, v21, v0
	global_load_b128 v[8:11], v[12:13], off
	v_fma_f64 v[1:2], s[6:7], v[6:7], v[1:2]
	v_fma_f64 v[3:4], s[4:5], v[6:7], -v[3:4]
	s_waitcnt vmcnt(0)
	v_mul_f64 v[14:15], s[8:9], v[10:11]
	v_mul_f64 v[10:11], s[10:11], v[10:11]
	s_delay_alu instid0(VALU_DEP_2) | instskip(NEXT) | instid1(VALU_DEP_2)
	v_fma_f64 v[14:15], s[10:11], v[8:9], v[14:15]
	v_fma_f64 v[5:6], s[8:9], v[8:9], -v[10:11]
	s_delay_alu instid0(VALU_DEP_2) | instskip(NEXT) | instid1(VALU_DEP_2)
	v_add_f64 v[7:8], v[1:2], v[14:15]
	v_add_f64 v[1:2], v[3:4], v[5:6]
	s_delay_alu instid0(VALU_DEP_2)
	v_dual_cndmask_b32 v4, 0, v8 :: v_dual_cndmask_b32 v3, 0, v7
	global_store_b128 v[12:13], v[1:4], off
.LBB879_11:
	s_nop 0
	s_sendmsg sendmsg(MSG_DEALLOC_VGPRS)
	s_endpgm
	.section	.rodata,"a",@progbits
	.p2align	6, 0x0
	.amdhsa_kernel _ZL37rocblas_syrkx_herkx_restricted_kernelIi19rocblas_complex_numIdELi16ELi32ELi8ELb0ELb1ELc84ELc76EKPKS1_KPS1_EviT_T0_PT8_S7_lSA_S7_lS8_PT9_S7_li
		.amdhsa_group_segment_fixed_size 8192
		.amdhsa_private_segment_fixed_size 0
		.amdhsa_kernarg_size 116
		.amdhsa_user_sgpr_count 13
		.amdhsa_user_sgpr_dispatch_ptr 0
		.amdhsa_user_sgpr_queue_ptr 0
		.amdhsa_user_sgpr_kernarg_segment_ptr 1
		.amdhsa_user_sgpr_dispatch_id 0
		.amdhsa_user_sgpr_private_segment_size 0
		.amdhsa_wavefront_size32 1
		.amdhsa_uses_dynamic_stack 0
		.amdhsa_enable_private_segment 0
		.amdhsa_system_sgpr_workgroup_id_x 1
		.amdhsa_system_sgpr_workgroup_id_y 1
		.amdhsa_system_sgpr_workgroup_id_z 1
		.amdhsa_system_sgpr_workgroup_info 0
		.amdhsa_system_vgpr_workitem_id 1
		.amdhsa_next_free_vgpr 118
		.amdhsa_next_free_sgpr 25
		.amdhsa_reserve_vcc 1
		.amdhsa_float_round_mode_32 0
		.amdhsa_float_round_mode_16_64 0
		.amdhsa_float_denorm_mode_32 3
		.amdhsa_float_denorm_mode_16_64 3
		.amdhsa_dx10_clamp 1
		.amdhsa_ieee_mode 1
		.amdhsa_fp16_overflow 0
		.amdhsa_workgroup_processor_mode 1
		.amdhsa_memory_ordered 1
		.amdhsa_forward_progress 0
		.amdhsa_shared_vgpr_count 0
		.amdhsa_exception_fp_ieee_invalid_op 0
		.amdhsa_exception_fp_denorm_src 0
		.amdhsa_exception_fp_ieee_div_zero 0
		.amdhsa_exception_fp_ieee_overflow 0
		.amdhsa_exception_fp_ieee_underflow 0
		.amdhsa_exception_fp_ieee_inexact 0
		.amdhsa_exception_int_div_zero 0
	.end_amdhsa_kernel
	.section	.text._ZL37rocblas_syrkx_herkx_restricted_kernelIi19rocblas_complex_numIdELi16ELi32ELi8ELb0ELb1ELc84ELc76EKPKS1_KPS1_EviT_T0_PT8_S7_lSA_S7_lS8_PT9_S7_li,"axG",@progbits,_ZL37rocblas_syrkx_herkx_restricted_kernelIi19rocblas_complex_numIdELi16ELi32ELi8ELb0ELb1ELc84ELc76EKPKS1_KPS1_EviT_T0_PT8_S7_lSA_S7_lS8_PT9_S7_li,comdat
.Lfunc_end879:
	.size	_ZL37rocblas_syrkx_herkx_restricted_kernelIi19rocblas_complex_numIdELi16ELi32ELi8ELb0ELb1ELc84ELc76EKPKS1_KPS1_EviT_T0_PT8_S7_lSA_S7_lS8_PT9_S7_li, .Lfunc_end879-_ZL37rocblas_syrkx_herkx_restricted_kernelIi19rocblas_complex_numIdELi16ELi32ELi8ELb0ELb1ELc84ELc76EKPKS1_KPS1_EviT_T0_PT8_S7_lSA_S7_lS8_PT9_S7_li
                                        ; -- End function
	.section	.AMDGPU.csdata,"",@progbits
; Kernel info:
; codeLenInByte = 3360
; NumSgprs: 27
; NumVgprs: 118
; ScratchSize: 0
; MemoryBound: 0
; FloatMode: 240
; IeeeMode: 1
; LDSByteSize: 8192 bytes/workgroup (compile time only)
; SGPRBlocks: 3
; VGPRBlocks: 14
; NumSGPRsForWavesPerEU: 27
; NumVGPRsForWavesPerEU: 118
; Occupancy: 12
; WaveLimiterHint : 1
; COMPUTE_PGM_RSRC2:SCRATCH_EN: 0
; COMPUTE_PGM_RSRC2:USER_SGPR: 13
; COMPUTE_PGM_RSRC2:TRAP_HANDLER: 0
; COMPUTE_PGM_RSRC2:TGID_X_EN: 1
; COMPUTE_PGM_RSRC2:TGID_Y_EN: 1
; COMPUTE_PGM_RSRC2:TGID_Z_EN: 1
; COMPUTE_PGM_RSRC2:TIDIG_COMP_CNT: 1
	.section	.text._ZL37rocblas_syrkx_herkx_restricted_kernelIi19rocblas_complex_numIdELi16ELi32ELi8ELb0ELb1ELc67ELc76EKPKS1_KPS1_EviT_T0_PT8_S7_lSA_S7_lS8_PT9_S7_li,"axG",@progbits,_ZL37rocblas_syrkx_herkx_restricted_kernelIi19rocblas_complex_numIdELi16ELi32ELi8ELb0ELb1ELc67ELc76EKPKS1_KPS1_EviT_T0_PT8_S7_lSA_S7_lS8_PT9_S7_li,comdat
	.globl	_ZL37rocblas_syrkx_herkx_restricted_kernelIi19rocblas_complex_numIdELi16ELi32ELi8ELb0ELb1ELc67ELc76EKPKS1_KPS1_EviT_T0_PT8_S7_lSA_S7_lS8_PT9_S7_li ; -- Begin function _ZL37rocblas_syrkx_herkx_restricted_kernelIi19rocblas_complex_numIdELi16ELi32ELi8ELb0ELb1ELc67ELc76EKPKS1_KPS1_EviT_T0_PT8_S7_lSA_S7_lS8_PT9_S7_li
	.p2align	8
	.type	_ZL37rocblas_syrkx_herkx_restricted_kernelIi19rocblas_complex_numIdELi16ELi32ELi8ELb0ELb1ELc67ELc76EKPKS1_KPS1_EviT_T0_PT8_S7_lSA_S7_lS8_PT9_S7_li,@function
_ZL37rocblas_syrkx_herkx_restricted_kernelIi19rocblas_complex_numIdELi16ELi32ELi8ELb0ELb1ELc67ELc76EKPKS1_KPS1_EviT_T0_PT8_S7_lSA_S7_lS8_PT9_S7_li: ; @_ZL37rocblas_syrkx_herkx_restricted_kernelIi19rocblas_complex_numIdELi16ELi32ELi8ELb0ELb1ELc67ELc76EKPKS1_KPS1_EviT_T0_PT8_S7_lSA_S7_lS8_PT9_S7_li
; %bb.0:
	s_load_b64 s[2:3], s[0:1], 0x58
	s_mov_b32 s18, s15
	s_mov_b32 s19, 0
	s_clause 0x1
	s_load_b64 s[16:17], s[0:1], 0x0
	s_load_b128 s[4:7], s[0:1], 0x8
	s_lshl_b64 s[20:21], s[18:19], 3
	v_mov_b32_e32 v16, 0
	v_dual_mov_b32 v17, 0 :: v_dual_and_b32 v20, 0x3ff, v0
	v_bfe_u32 v21, v0, 10, 10
	s_delay_alu instid0(VALU_DEP_3) | instskip(NEXT) | instid1(VALU_DEP_3)
	v_mov_b32_e32 v12, v16
	v_dual_mov_b32 v14, v16 :: v_dual_mov_b32 v15, v17
	v_dual_mov_b32 v19, v17 :: v_dual_mov_b32 v18, v16
	;; [unrolled: 1-line block ×5, first 2 shown]
	v_mov_b32_e32 v7, v17
	s_waitcnt lgkmcnt(0)
	s_add_u32 s2, s2, s20
	s_addc_u32 s3, s3, s21
	s_clause 0x1
	s_load_b64 s[22:23], s[0:1], 0x18
	s_load_b128 s[8:11], s[0:1], 0x48
	s_load_b64 s[2:3], s[2:3], 0x0
	v_dual_mov_b32 v4, v16 :: v_dual_mov_b32 v5, v17
	s_lshl_b32 s12, s13, 5
	s_lshl_b32 s13, s14, 5
	s_cmp_lt_i32 s17, 1
	s_cbranch_scc1 .LBB880_3
; %bb.1:
	s_clause 0x2
	s_load_b64 s[14:15], s[0:1], 0x30
	s_load_b32 s18, s[0:1], 0x20
	s_load_b32 s24, s[0:1], 0x38
	v_lshl_add_u32 v2, v21, 4, v20
	v_dual_mov_b32 v1, 0 :: v_dual_and_b32 v0, 7, v20
	s_waitcnt lgkmcnt(0)
	s_add_u32 s22, s22, s20
	v_lshlrev_b32_e32 v22, 4, v20
	v_and_b32_e32 v10, 31, v2
	s_addc_u32 s23, s23, s21
	v_lshrrev_b32_e32 v11, 3, v2
	v_lshrrev_b32_e32 v2, 5, v2
	s_delay_alu instid0(VALU_DEP_3)
	v_dual_mov_b32 v3, v1 :: v_dual_add_nc_u32 v4, s12, v10
	s_load_b64 s[22:23], s[22:23], 0x0
	v_lshl_add_u32 v23, v21, 7, 0x1000
	s_add_u32 s14, s14, s20
	s_addc_u32 s15, s15, s21
	v_mad_i64_i32 v[6:7], null, s18, v4, v[2:3]
	s_load_b64 s[14:15], s[14:15], 0x0
	v_dual_mov_b32 v4, 0 :: v_dual_lshlrev_b32 v3, 4, v0
	v_dual_mov_b32 v5, 0 :: v_dual_add_nc_u32 v12, s13, v11
	v_lshlrev_b32_e32 v10, 4, v10
	s_delay_alu instid0(VALU_DEP_3) | instskip(NEXT) | instid1(VALU_DEP_3)
	v_lshl_or_b32 v3, v11, 7, v3
	v_mov_b32_e32 v15, v5
	s_delay_alu instid0(VALU_DEP_4)
	v_mad_i64_i32 v[8:9], null, s24, v12, v[0:1]
	v_lshlrev_b64 v[0:1], 4, v[6:7]
	v_dual_mov_b32 v7, v5 :: v_dual_mov_b32 v6, v4
	v_add_nc_u32_e32 v25, 0x1000, v3
	v_lshl_or_b32 v24, v2, 9, v10
	v_dual_mov_b32 v14, v4 :: v_dual_mov_b32 v13, v5
	v_lshlrev_b64 v[2:3], 4, v[8:9]
	s_waitcnt lgkmcnt(0)
	v_add_co_u32 v0, vcc_lo, v0, s22
	v_add_co_ci_u32_e32 v1, vcc_lo, s23, v1, vcc_lo
	v_mov_b32_e32 v9, v5
	s_delay_alu instid0(VALU_DEP_4)
	v_add_co_u32 v2, vcc_lo, v2, s14
	v_add_co_ci_u32_e32 v3, vcc_lo, s15, v3, vcc_lo
	v_add_co_u32 v0, vcc_lo, v0, 8
	v_mov_b32_e32 v8, v4
	v_add_co_ci_u32_e32 v1, vcc_lo, 0, v1, vcc_lo
	v_add_co_u32 v2, vcc_lo, v2, 8
	v_dual_mov_b32 v12, v4 :: v_dual_mov_b32 v19, v5
	v_dual_mov_b32 v18, v4 :: v_dual_mov_b32 v17, v5
	v_add_co_ci_u32_e32 v3, vcc_lo, 0, v3, vcc_lo
	v_dual_mov_b32 v11, v5 :: v_dual_mov_b32 v10, v4
	v_mov_b32_e32 v16, v4
.LBB880_2:                              ; =>This Inner Loop Header: Depth=1
	global_load_b128 v[26:29], v[0:1], off offset:-8
	global_load_b128 v[30:33], v[2:3], off offset:-8
	v_add_co_u32 v0, vcc_lo, 0x80, v0
	v_add_co_ci_u32_e32 v1, vcc_lo, 0, v1, vcc_lo
	v_add_co_u32 v2, vcc_lo, 0x80, v2
	v_add_co_ci_u32_e32 v3, vcc_lo, 0, v3, vcc_lo
	s_add_i32 s19, s19, 8
	s_delay_alu instid0(SALU_CYCLE_1)
	s_cmp_ge_i32 s19, s17
	s_waitcnt vmcnt(1)
	v_xor_b32_e32 v29, 0x80000000, v29
	ds_store_b128 v24, v[26:29]
	s_waitcnt vmcnt(0)
	ds_store_b128 v25, v[30:33]
	s_waitcnt lgkmcnt(0)
	s_barrier
	buffer_gl0_inv
	ds_load_b128 v[26:29], v23
	ds_load_b128 v[30:33], v22
	ds_load_b128 v[34:37], v22 offset:256
	ds_load_b128 v[38:41], v23 offset:2048
	;; [unrolled: 1-line block ×13, first 2 shown]
	s_waitcnt lgkmcnt(13)
	v_mul_f64 v[86:87], v[28:29], v[32:33]
	v_mul_f64 v[88:89], v[26:27], v[32:33]
	s_waitcnt lgkmcnt(12)
	v_mul_f64 v[90:91], v[28:29], v[36:37]
	v_mul_f64 v[92:93], v[26:27], v[36:37]
	;; [unrolled: 3-line block ×3, first 2 shown]
	v_mul_f64 v[96:97], v[40:41], v[36:37]
	v_mul_f64 v[36:37], v[38:39], v[36:37]
	s_waitcnt lgkmcnt(8)
	v_mul_f64 v[98:99], v[44:45], v[52:53]
	v_mul_f64 v[100:101], v[42:43], v[52:53]
	s_waitcnt lgkmcnt(7)
	v_mul_f64 v[102:103], v[44:45], v[56:57]
	v_mul_f64 v[104:105], v[42:43], v[56:57]
	;; [unrolled: 1-line block ×6, first 2 shown]
	s_waitcnt lgkmcnt(3)
	v_mul_f64 v[112:113], v[58:59], v[72:73]
	s_waitcnt lgkmcnt(2)
	v_mul_f64 v[114:115], v[76:77], v[68:69]
	v_mul_f64 v[116:117], v[76:77], v[72:73]
	v_fma_f64 v[86:87], v[26:27], v[30:31], -v[86:87]
	v_fma_f64 v[88:89], v[28:29], v[30:31], v[88:89]
	v_fma_f64 v[90:91], v[26:27], v[34:35], -v[90:91]
	v_fma_f64 v[92:93], v[28:29], v[34:35], v[92:93]
	;; [unrolled: 2-line block ×4, first 2 shown]
	v_mul_f64 v[36:37], v[60:61], v[68:69]
	v_mul_f64 v[40:41], v[58:59], v[68:69]
	v_mul_f64 v[96:97], v[60:61], v[72:73]
	v_mul_f64 v[68:69], v[74:75], v[68:69]
	v_mul_f64 v[72:73], v[74:75], v[72:73]
	v_fma_f64 v[98:99], v[42:43], v[50:51], -v[98:99]
	v_fma_f64 v[100:101], v[44:45], v[50:51], v[100:101]
	v_fma_f64 v[42:43], v[42:43], v[54:55], -v[102:103]
	v_fma_f64 v[44:45], v[44:45], v[54:55], v[104:105]
	;; [unrolled: 2-line block ×4, first 2 shown]
	ds_load_b128 v[26:29], v22 offset:1792
	ds_load_b128 v[30:33], v22 offset:2048
	s_waitcnt lgkmcnt(2)
	v_mul_f64 v[56:57], v[64:65], v[84:85]
	v_add_f64 v[16:17], v[16:17], v[86:87]
	v_add_f64 v[18:19], v[18:19], v[88:89]
	;; [unrolled: 1-line block ×8, first 2 shown]
	v_mul_f64 v[86:87], v[62:63], v[84:85]
	s_waitcnt lgkmcnt(1)
	v_mul_f64 v[88:89], v[64:65], v[28:29]
	v_mul_f64 v[90:91], v[62:63], v[28:29]
	;; [unrolled: 1-line block ×6, first 2 shown]
	v_fma_f64 v[104:105], v[58:59], v[66:67], -v[36:37]
	v_fma_f64 v[106:107], v[60:61], v[66:67], v[40:41]
	v_fma_f64 v[58:59], v[58:59], v[70:71], -v[96:97]
	v_fma_f64 v[60:61], v[60:61], v[70:71], v[112:113]
	;; [unrolled: 2-line block ×4, first 2 shown]
	ds_load_b128 v[4:7], v22 offset:2304
	ds_load_b128 v[8:11], v23 offset:64
	v_fma_f64 v[56:57], v[62:63], v[82:83], -v[56:57]
	v_add_f64 v[72:73], v[16:17], v[98:99]
	v_add_f64 v[74:75], v[18:19], v[100:101]
	;; [unrolled: 1-line block ×8, first 2 shown]
	ds_load_b128 v[12:15], v23 offset:2112
	ds_load_b128 v[16:19], v23 offset:80
	;; [unrolled: 1-line block ×4, first 2 shown]
	s_waitcnt lgkmcnt(4)
	v_mul_f64 v[54:55], v[10:11], v[32:33]
	v_mul_f64 v[76:77], v[8:9], v[32:33]
	;; [unrolled: 1-line block ×4, first 2 shown]
	v_fma_f64 v[86:87], v[64:65], v[82:83], v[86:87]
	v_fma_f64 v[62:63], v[62:63], v[26:27], -v[88:89]
	v_fma_f64 v[64:65], v[64:65], v[26:27], v[90:91]
	v_fma_f64 v[88:89], v[78:79], v[82:83], -v[92:93]
	;; [unrolled: 2-line block ×3, first 2 shown]
	v_fma_f64 v[80:81], v[80:81], v[26:27], v[28:29]
	s_waitcnt lgkmcnt(3)
	v_mul_f64 v[102:103], v[14:15], v[32:33]
	v_mul_f64 v[32:33], v[12:13], v[32:33]
	;; [unrolled: 1-line block ×4, first 2 shown]
	s_waitcnt lgkmcnt(0)
	v_mul_f64 v[90:91], v[18:19], v[40:41]
	v_mul_f64 v[92:93], v[16:17], v[40:41]
	v_add_f64 v[72:73], v[72:73], v[104:105]
	v_add_f64 v[74:75], v[74:75], v[106:107]
	;; [unrolled: 1-line block ×8, first 2 shown]
	ds_load_b128 v[26:29], v22 offset:2816
	ds_load_b128 v[42:45], v22 offset:3072
	;; [unrolled: 1-line block ×4, first 2 shown]
	v_mul_f64 v[104:105], v[36:37], v[40:41]
	v_mul_f64 v[40:41], v[34:35], v[40:41]
	v_fma_f64 v[54:55], v[8:9], v[30:31], -v[54:55]
	v_fma_f64 v[76:77], v[10:11], v[30:31], v[76:77]
	v_fma_f64 v[98:99], v[8:9], v[4:5], -v[98:99]
	v_fma_f64 v[100:101], v[10:11], v[4:5], v[100:101]
	s_waitcnt lgkmcnt(3)
	v_mul_f64 v[94:95], v[18:19], v[28:29]
	v_mul_f64 v[96:97], v[16:17], v[28:29]
	;; [unrolled: 1-line block ×4, first 2 shown]
	v_fma_f64 v[102:103], v[12:13], v[30:31], -v[102:103]
	v_fma_f64 v[32:33], v[14:15], v[30:31], v[32:33]
	v_fma_f64 v[108:109], v[12:13], v[4:5], -v[108:109]
	v_fma_f64 v[112:113], v[14:15], v[4:5], v[6:7]
	ds_load_b128 v[4:7], v23 offset:2144
	ds_load_b128 v[8:11], v23 offset:112
	;; [unrolled: 1-line block ×4, first 2 shown]
	v_add_f64 v[56:57], v[72:73], v[56:57]
	v_add_f64 v[72:73], v[74:75], v[86:87]
	v_add_f64 v[58:59], v[58:59], v[62:63]
	v_add_f64 v[60:61], v[60:61], v[64:65]
	v_add_f64 v[62:63], v[84:85], v[88:89]
	v_add_f64 v[64:65], v[66:67], v[82:83]
	v_add_f64 v[66:67], v[68:69], v[78:79]
	v_add_f64 v[68:69], v[70:71], v[80:81]
	s_waitcnt lgkmcnt(4)
	v_mul_f64 v[70:71], v[52:53], v[44:45]
	v_mul_f64 v[74:75], v[50:51], v[44:45]
	;; [unrolled: 1-line block ×4, first 2 shown]
	s_waitcnt lgkmcnt(3)
	v_mul_f64 v[82:83], v[6:7], v[44:45]
	v_mul_f64 v[44:45], v[4:5], v[44:45]
	;; [unrolled: 1-line block ×4, first 2 shown]
	v_fma_f64 v[86:87], v[16:17], v[38:39], -v[90:91]
	v_fma_f64 v[88:89], v[18:19], v[38:39], v[92:93]
	v_fma_f64 v[90:91], v[16:17], v[26:27], -v[94:95]
	v_fma_f64 v[92:93], v[18:19], v[26:27], v[96:97]
	;; [unrolled: 2-line block ×4, first 2 shown]
	ds_load_b128 v[16:19], v22 offset:3840
	s_waitcnt lgkmcnt(0)
	s_barrier
	buffer_gl0_inv
	v_add_f64 v[36:37], v[56:57], v[54:55]
	v_add_f64 v[40:41], v[72:73], v[76:77]
	;; [unrolled: 1-line block ×8, first 2 shown]
	v_mul_f64 v[64:65], v[10:11], v[30:31]
	v_mul_f64 v[66:67], v[8:9], v[30:31]
	;; [unrolled: 1-line block ×4, first 2 shown]
	v_fma_f64 v[70:71], v[50:51], v[42:43], -v[70:71]
	v_mul_f64 v[68:69], v[10:11], v[18:19]
	v_mul_f64 v[72:73], v[8:9], v[18:19]
	;; [unrolled: 1-line block ×4, first 2 shown]
	v_fma_f64 v[74:75], v[52:53], v[42:43], v[74:75]
	v_fma_f64 v[50:51], v[50:51], v[46:47], -v[78:79]
	v_fma_f64 v[52:53], v[52:53], v[46:47], v[80:81]
	v_fma_f64 v[78:79], v[4:5], v[42:43], -v[82:83]
	;; [unrolled: 2-line block ×3, first 2 shown]
	v_fma_f64 v[6:7], v[6:7], v[46:47], v[48:49]
	v_add_f64 v[36:37], v[36:37], v[86:87]
	v_add_f64 v[40:41], v[40:41], v[88:89]
	;; [unrolled: 1-line block ×8, first 2 shown]
	v_fma_f64 v[38:39], v[8:9], v[28:29], -v[64:65]
	v_fma_f64 v[54:55], v[10:11], v[28:29], v[66:67]
	v_fma_f64 v[56:57], v[12:13], v[28:29], -v[76:77]
	v_fma_f64 v[28:29], v[14:15], v[28:29], v[30:31]
	;; [unrolled: 2-line block ×4, first 2 shown]
	v_add_f64 v[12:13], v[36:37], v[70:71]
	v_add_f64 v[14:15], v[40:41], v[74:75]
	;; [unrolled: 1-line block ×16, first 2 shown]
	s_cbranch_scc0 .LBB880_2
.LBB880_3:
	s_load_b32 s14, s[0:1], 0x60
	v_add_nc_u32_e32 v21, s13, v21
	v_add_nc_u32_e32 v0, s12, v20
	s_delay_alu instid0(VALU_DEP_1) | instskip(SKIP_1) | instid1(VALU_DEP_2)
	v_cmp_le_i32_e64 s0, v21, v0
	v_cmp_gt_i32_e32 vcc_lo, s16, v0
	s_and_b32 s0, s0, vcc_lo
	s_waitcnt lgkmcnt(0)
	v_mad_i64_i32 v[1:2], null, v21, s14, 0
	s_delay_alu instid0(VALU_DEP_1) | instskip(NEXT) | instid1(VALU_DEP_1)
	v_lshlrev_b64 v[1:2], 4, v[1:2]
	v_add_co_u32 v20, s1, s2, v1
	s_delay_alu instid0(VALU_DEP_1)
	v_add_co_ci_u32_e64 v22, s1, s3, v2, s1
	s_and_saveexec_b32 s1, s0
	s_cbranch_execz .LBB880_5
; %bb.4:
	v_ashrrev_i32_e32 v1, 31, v0
	v_mul_f64 v[27:28], s[4:5], v[18:19]
	v_mul_f64 v[18:19], s[6:7], v[18:19]
	s_delay_alu instid0(VALU_DEP_3) | instskip(NEXT) | instid1(VALU_DEP_1)
	v_lshlrev_b64 v[1:2], 4, v[0:1]
	v_add_co_u32 v1, s0, v20, v1
	s_delay_alu instid0(VALU_DEP_1)
	v_add_co_ci_u32_e64 v2, s0, v22, v2, s0
	v_cmp_ne_u32_e64 s0, v21, v0
	global_load_b128 v[23:26], v[1:2], off
	v_fma_f64 v[27:28], s[6:7], v[16:17], v[27:28]
	v_fma_f64 v[16:17], s[4:5], v[16:17], -v[18:19]
	s_waitcnt vmcnt(0)
	v_mul_f64 v[29:30], s[8:9], v[25:26]
	v_mul_f64 v[25:26], s[10:11], v[25:26]
	s_delay_alu instid0(VALU_DEP_2) | instskip(NEXT) | instid1(VALU_DEP_2)
	v_fma_f64 v[29:30], s[10:11], v[23:24], v[29:30]
	v_fma_f64 v[18:19], s[8:9], v[23:24], -v[25:26]
	s_delay_alu instid0(VALU_DEP_2) | instskip(NEXT) | instid1(VALU_DEP_2)
	v_add_f64 v[23:24], v[27:28], v[29:30]
	v_add_f64 v[16:17], v[16:17], v[18:19]
	s_delay_alu instid0(VALU_DEP_2) | instskip(NEXT) | instid1(VALU_DEP_3)
	v_cndmask_b32_e64 v19, 0, v24, s0
	v_cndmask_b32_e64 v18, 0, v23, s0
	global_store_b128 v[1:2], v[16:19], off
.LBB880_5:
	s_or_b32 exec_lo, exec_lo, s1
	v_add_nc_u32_e32 v2, 16, v0
	s_delay_alu instid0(VALU_DEP_1) | instskip(SKIP_1) | instid1(VALU_DEP_1)
	v_cmp_le_i32_e64 s1, v21, v2
	v_cmp_gt_i32_e64 s0, s16, v2
	s_and_b32 s1, s1, s0
	s_delay_alu instid0(SALU_CYCLE_1)
	s_and_saveexec_b32 s12, s1
	s_cbranch_execz .LBB880_7
; %bb.6:
	v_ashrrev_i32_e32 v3, 31, v2
	v_mul_f64 v[25:26], s[4:5], v[14:15]
	v_mul_f64 v[14:15], s[6:7], v[14:15]
	s_delay_alu instid0(VALU_DEP_3) | instskip(NEXT) | instid1(VALU_DEP_1)
	v_lshlrev_b64 v[16:17], 4, v[2:3]
	v_add_co_u32 v23, s1, v20, v16
	s_delay_alu instid0(VALU_DEP_1)
	v_add_co_ci_u32_e64 v24, s1, v22, v17, s1
	v_cmp_ne_u32_e64 s1, v21, v2
	global_load_b128 v[16:19], v[23:24], off
	v_fma_f64 v[25:26], s[6:7], v[12:13], v[25:26]
	v_fma_f64 v[12:13], s[4:5], v[12:13], -v[14:15]
	s_waitcnt vmcnt(0)
	v_mul_f64 v[27:28], s[8:9], v[18:19]
	v_mul_f64 v[18:19], s[10:11], v[18:19]
	s_delay_alu instid0(VALU_DEP_2) | instskip(NEXT) | instid1(VALU_DEP_2)
	v_fma_f64 v[27:28], s[10:11], v[16:17], v[27:28]
	v_fma_f64 v[14:15], s[8:9], v[16:17], -v[18:19]
	s_delay_alu instid0(VALU_DEP_2) | instskip(NEXT) | instid1(VALU_DEP_2)
	v_add_f64 v[16:17], v[25:26], v[27:28]
	v_add_f64 v[12:13], v[12:13], v[14:15]
	s_delay_alu instid0(VALU_DEP_2) | instskip(NEXT) | instid1(VALU_DEP_3)
	v_cndmask_b32_e64 v15, 0, v17, s1
	v_cndmask_b32_e64 v14, 0, v16, s1
	global_store_b128 v[23:24], v[12:15], off
.LBB880_7:
	s_or_b32 exec_lo, exec_lo, s12
	v_add_nc_u32_e32 v3, 16, v21
	s_delay_alu instid0(VALU_DEP_1) | instskip(SKIP_1) | instid1(VALU_DEP_2)
	v_mad_i64_i32 v[12:13], null, v3, s14, 0
	v_cmp_le_i32_e64 s1, v3, v0
	v_lshlrev_b64 v[12:13], 4, v[12:13]
	s_delay_alu instid0(VALU_DEP_1) | instskip(NEXT) | instid1(VALU_DEP_1)
	v_add_co_u32 v12, s2, s2, v12
	v_add_co_ci_u32_e64 v13, s2, s3, v13, s2
	s_delay_alu instid0(VALU_DEP_4) | instskip(NEXT) | instid1(SALU_CYCLE_1)
	s_and_b32 s2, s1, vcc_lo
	s_and_saveexec_b32 s1, s2
	s_cbranch_execz .LBB880_9
; %bb.8:
	v_ashrrev_i32_e32 v1, 31, v0
	v_mul_f64 v[22:23], s[4:5], v[10:11]
	v_mul_f64 v[10:11], s[6:7], v[10:11]
	s_delay_alu instid0(VALU_DEP_3) | instskip(NEXT) | instid1(VALU_DEP_1)
	v_lshlrev_b64 v[14:15], 4, v[0:1]
	v_add_co_u32 v18, vcc_lo, v12, v14
	s_delay_alu instid0(VALU_DEP_2)
	v_add_co_ci_u32_e32 v19, vcc_lo, v13, v15, vcc_lo
	v_cmp_ne_u32_e32 vcc_lo, v3, v0
	global_load_b128 v[14:17], v[18:19], off
	v_fma_f64 v[22:23], s[6:7], v[8:9], v[22:23]
	v_fma_f64 v[8:9], s[4:5], v[8:9], -v[10:11]
	s_waitcnt vmcnt(0)
	v_mul_f64 v[24:25], s[8:9], v[16:17]
	v_mul_f64 v[16:17], s[10:11], v[16:17]
	s_delay_alu instid0(VALU_DEP_2) | instskip(NEXT) | instid1(VALU_DEP_2)
	v_fma_f64 v[24:25], s[10:11], v[14:15], v[24:25]
	v_fma_f64 v[10:11], s[8:9], v[14:15], -v[16:17]
	s_delay_alu instid0(VALU_DEP_2) | instskip(NEXT) | instid1(VALU_DEP_2)
	v_add_f64 v[14:15], v[22:23], v[24:25]
	v_add_f64 v[8:9], v[8:9], v[10:11]
	s_delay_alu instid0(VALU_DEP_2)
	v_dual_cndmask_b32 v11, 0, v15 :: v_dual_cndmask_b32 v10, 0, v14
	global_store_b128 v[18:19], v[8:11], off
.LBB880_9:
	s_or_b32 exec_lo, exec_lo, s1
	v_cmp_le_i32_e32 vcc_lo, v3, v2
	s_and_b32 s0, vcc_lo, s0
	s_delay_alu instid0(SALU_CYCLE_1)
	s_and_saveexec_b32 s1, s0
	s_cbranch_execz .LBB880_11
; %bb.10:
	v_ashrrev_i32_e32 v3, 31, v2
	s_delay_alu instid0(VALU_DEP_1) | instskip(NEXT) | instid1(VALU_DEP_1)
	v_lshlrev_b64 v[1:2], 4, v[2:3]
	v_add_co_u32 v12, vcc_lo, v12, v1
	s_delay_alu instid0(VALU_DEP_2)
	v_add_co_ci_u32_e32 v13, vcc_lo, v13, v2, vcc_lo
	v_mul_f64 v[1:2], s[4:5], v[4:5]
	v_mul_f64 v[3:4], s[6:7], v[4:5]
	v_cmp_ne_u32_e32 vcc_lo, v21, v0
	global_load_b128 v[8:11], v[12:13], off
	v_fma_f64 v[1:2], s[6:7], v[6:7], v[1:2]
	v_fma_f64 v[3:4], s[4:5], v[6:7], -v[3:4]
	s_waitcnt vmcnt(0)
	v_mul_f64 v[14:15], s[8:9], v[10:11]
	v_mul_f64 v[10:11], s[10:11], v[10:11]
	s_delay_alu instid0(VALU_DEP_2) | instskip(NEXT) | instid1(VALU_DEP_2)
	v_fma_f64 v[14:15], s[10:11], v[8:9], v[14:15]
	v_fma_f64 v[5:6], s[8:9], v[8:9], -v[10:11]
	s_delay_alu instid0(VALU_DEP_2) | instskip(NEXT) | instid1(VALU_DEP_2)
	v_add_f64 v[7:8], v[1:2], v[14:15]
	v_add_f64 v[1:2], v[3:4], v[5:6]
	s_delay_alu instid0(VALU_DEP_2)
	v_dual_cndmask_b32 v4, 0, v8 :: v_dual_cndmask_b32 v3, 0, v7
	global_store_b128 v[12:13], v[1:4], off
.LBB880_11:
	s_nop 0
	s_sendmsg sendmsg(MSG_DEALLOC_VGPRS)
	s_endpgm
	.section	.rodata,"a",@progbits
	.p2align	6, 0x0
	.amdhsa_kernel _ZL37rocblas_syrkx_herkx_restricted_kernelIi19rocblas_complex_numIdELi16ELi32ELi8ELb0ELb1ELc67ELc76EKPKS1_KPS1_EviT_T0_PT8_S7_lSA_S7_lS8_PT9_S7_li
		.amdhsa_group_segment_fixed_size 8192
		.amdhsa_private_segment_fixed_size 0
		.amdhsa_kernarg_size 116
		.amdhsa_user_sgpr_count 13
		.amdhsa_user_sgpr_dispatch_ptr 0
		.amdhsa_user_sgpr_queue_ptr 0
		.amdhsa_user_sgpr_kernarg_segment_ptr 1
		.amdhsa_user_sgpr_dispatch_id 0
		.amdhsa_user_sgpr_private_segment_size 0
		.amdhsa_wavefront_size32 1
		.amdhsa_uses_dynamic_stack 0
		.amdhsa_enable_private_segment 0
		.amdhsa_system_sgpr_workgroup_id_x 1
		.amdhsa_system_sgpr_workgroup_id_y 1
		.amdhsa_system_sgpr_workgroup_id_z 1
		.amdhsa_system_sgpr_workgroup_info 0
		.amdhsa_system_vgpr_workitem_id 1
		.amdhsa_next_free_vgpr 118
		.amdhsa_next_free_sgpr 25
		.amdhsa_reserve_vcc 1
		.amdhsa_float_round_mode_32 0
		.amdhsa_float_round_mode_16_64 0
		.amdhsa_float_denorm_mode_32 3
		.amdhsa_float_denorm_mode_16_64 3
		.amdhsa_dx10_clamp 1
		.amdhsa_ieee_mode 1
		.amdhsa_fp16_overflow 0
		.amdhsa_workgroup_processor_mode 1
		.amdhsa_memory_ordered 1
		.amdhsa_forward_progress 0
		.amdhsa_shared_vgpr_count 0
		.amdhsa_exception_fp_ieee_invalid_op 0
		.amdhsa_exception_fp_denorm_src 0
		.amdhsa_exception_fp_ieee_div_zero 0
		.amdhsa_exception_fp_ieee_overflow 0
		.amdhsa_exception_fp_ieee_underflow 0
		.amdhsa_exception_fp_ieee_inexact 0
		.amdhsa_exception_int_div_zero 0
	.end_amdhsa_kernel
	.section	.text._ZL37rocblas_syrkx_herkx_restricted_kernelIi19rocblas_complex_numIdELi16ELi32ELi8ELb0ELb1ELc67ELc76EKPKS1_KPS1_EviT_T0_PT8_S7_lSA_S7_lS8_PT9_S7_li,"axG",@progbits,_ZL37rocblas_syrkx_herkx_restricted_kernelIi19rocblas_complex_numIdELi16ELi32ELi8ELb0ELb1ELc67ELc76EKPKS1_KPS1_EviT_T0_PT8_S7_lSA_S7_lS8_PT9_S7_li,comdat
.Lfunc_end880:
	.size	_ZL37rocblas_syrkx_herkx_restricted_kernelIi19rocblas_complex_numIdELi16ELi32ELi8ELb0ELb1ELc67ELc76EKPKS1_KPS1_EviT_T0_PT8_S7_lSA_S7_lS8_PT9_S7_li, .Lfunc_end880-_ZL37rocblas_syrkx_herkx_restricted_kernelIi19rocblas_complex_numIdELi16ELi32ELi8ELb0ELb1ELc67ELc76EKPKS1_KPS1_EviT_T0_PT8_S7_lSA_S7_lS8_PT9_S7_li
                                        ; -- End function
	.section	.AMDGPU.csdata,"",@progbits
; Kernel info:
; codeLenInByte = 3372
; NumSgprs: 27
; NumVgprs: 118
; ScratchSize: 0
; MemoryBound: 0
; FloatMode: 240
; IeeeMode: 1
; LDSByteSize: 8192 bytes/workgroup (compile time only)
; SGPRBlocks: 3
; VGPRBlocks: 14
; NumSGPRsForWavesPerEU: 27
; NumVGPRsForWavesPerEU: 118
; Occupancy: 12
; WaveLimiterHint : 1
; COMPUTE_PGM_RSRC2:SCRATCH_EN: 0
; COMPUTE_PGM_RSRC2:USER_SGPR: 13
; COMPUTE_PGM_RSRC2:TRAP_HANDLER: 0
; COMPUTE_PGM_RSRC2:TGID_X_EN: 1
; COMPUTE_PGM_RSRC2:TGID_Y_EN: 1
; COMPUTE_PGM_RSRC2:TGID_Z_EN: 1
; COMPUTE_PGM_RSRC2:TIDIG_COMP_CNT: 1
	.section	.text._ZL37rocblas_syrkx_herkx_restricted_kernelIi19rocblas_complex_numIdELi16ELi32ELi8ELb0ELb1ELc78ELc76EKPKS1_KPS1_EviT_T0_PT8_S7_lSA_S7_lS8_PT9_S7_li,"axG",@progbits,_ZL37rocblas_syrkx_herkx_restricted_kernelIi19rocblas_complex_numIdELi16ELi32ELi8ELb0ELb1ELc78ELc76EKPKS1_KPS1_EviT_T0_PT8_S7_lSA_S7_lS8_PT9_S7_li,comdat
	.globl	_ZL37rocblas_syrkx_herkx_restricted_kernelIi19rocblas_complex_numIdELi16ELi32ELi8ELb0ELb1ELc78ELc76EKPKS1_KPS1_EviT_T0_PT8_S7_lSA_S7_lS8_PT9_S7_li ; -- Begin function _ZL37rocblas_syrkx_herkx_restricted_kernelIi19rocblas_complex_numIdELi16ELi32ELi8ELb0ELb1ELc78ELc76EKPKS1_KPS1_EviT_T0_PT8_S7_lSA_S7_lS8_PT9_S7_li
	.p2align	8
	.type	_ZL37rocblas_syrkx_herkx_restricted_kernelIi19rocblas_complex_numIdELi16ELi32ELi8ELb0ELb1ELc78ELc76EKPKS1_KPS1_EviT_T0_PT8_S7_lSA_S7_lS8_PT9_S7_li,@function
_ZL37rocblas_syrkx_herkx_restricted_kernelIi19rocblas_complex_numIdELi16ELi32ELi8ELb0ELb1ELc78ELc76EKPKS1_KPS1_EviT_T0_PT8_S7_lSA_S7_lS8_PT9_S7_li: ; @_ZL37rocblas_syrkx_herkx_restricted_kernelIi19rocblas_complex_numIdELi16ELi32ELi8ELb0ELb1ELc78ELc76EKPKS1_KPS1_EviT_T0_PT8_S7_lSA_S7_lS8_PT9_S7_li
; %bb.0:
	s_load_b64 s[2:3], s[0:1], 0x58
	s_mov_b32 s18, s15
	s_mov_b32 s19, 0
	s_clause 0x1
	s_load_b64 s[16:17], s[0:1], 0x0
	s_load_b128 s[4:7], s[0:1], 0x8
	s_lshl_b64 s[20:21], s[18:19], 3
	v_mov_b32_e32 v16, 0
	v_dual_mov_b32 v17, 0 :: v_dual_and_b32 v20, 0x3ff, v0
	v_bfe_u32 v21, v0, 10, 10
	s_delay_alu instid0(VALU_DEP_3) | instskip(NEXT) | instid1(VALU_DEP_3)
	v_mov_b32_e32 v12, v16
	v_dual_mov_b32 v14, v16 :: v_dual_mov_b32 v15, v17
	v_dual_mov_b32 v19, v17 :: v_dual_mov_b32 v18, v16
	;; [unrolled: 1-line block ×5, first 2 shown]
	v_mov_b32_e32 v7, v17
	s_waitcnt lgkmcnt(0)
	s_add_u32 s2, s2, s20
	s_addc_u32 s3, s3, s21
	s_clause 0x1
	s_load_b64 s[22:23], s[0:1], 0x18
	s_load_b128 s[8:11], s[0:1], 0x48
	s_load_b64 s[2:3], s[2:3], 0x0
	v_dual_mov_b32 v4, v16 :: v_dual_mov_b32 v5, v17
	s_lshl_b32 s18, s13, 5
	s_lshl_b32 s24, s14, 5
	s_cmp_lt_i32 s17, 1
	s_cbranch_scc1 .LBB881_3
; %bb.1:
	s_clause 0x2
	s_load_b32 s12, s[0:1], 0x20
	s_load_b32 s14, s[0:1], 0x38
	s_load_b64 s[26:27], s[0:1], 0x30
	v_lshl_add_u32 v0, v21, 4, v20
	v_mov_b32_e32 v4, 0
	v_dual_mov_b32 v5, 0 :: v_dual_and_b32 v6, 7, v20
	v_lshlrev_b32_e32 v22, 4, v20
	s_delay_alu instid0(VALU_DEP_4) | instskip(SKIP_3) | instid1(VALU_DEP_4)
	v_and_b32_e32 v10, 31, v0
	v_lshrrev_b32_e32 v7, 3, v0
	v_lshrrev_b32_e32 v11, 5, v0
	v_dual_mov_b32 v19, v5 :: v_dual_lshlrev_b32 v12, 4, v6
	v_dual_mov_b32 v15, v5 :: v_dual_add_nc_u32 v2, s18, v10
	s_delay_alu instid0(VALU_DEP_4) | instskip(NEXT) | instid1(VALU_DEP_3)
	v_add_nc_u32_e32 v0, s24, v7
	v_lshl_or_b32 v12, v7, 7, v12
	v_lshl_add_u32 v23, v21, 7, 0x1000
	s_delay_alu instid0(VALU_DEP_4)
	v_ashrrev_i32_e32 v3, 31, v2
	v_mov_b32_e32 v14, v4
	s_waitcnt lgkmcnt(0)
	s_ashr_i32 s13, s12, 31
	s_ashr_i32 s15, s14, 31
	s_add_u32 s22, s22, s20
	s_addc_u32 s23, s23, s21
	s_add_u32 s20, s26, s20
	s_load_b64 s[22:23], s[22:23], 0x0
	s_addc_u32 s21, s27, s21
	v_ashrrev_i32_e32 v1, 31, v0
	s_load_b64 s[20:21], s[20:21], 0x0
	v_mad_i64_i32 v[8:9], null, s12, v11, v[2:3]
	v_add_nc_u32_e32 v25, 0x1000, v12
	s_delay_alu instid0(VALU_DEP_3)
	v_mad_i64_i32 v[2:3], null, s14, v6, v[0:1]
	v_dual_mov_b32 v7, v5 :: v_dual_lshlrev_b32 v10, 4, v10
	v_mov_b32_e32 v13, v5
	v_lshlrev_b64 v[0:1], 4, v[8:9]
	v_dual_mov_b32 v6, v4 :: v_dual_mov_b32 v17, v5
	v_lshlrev_b64 v[2:3], 4, v[2:3]
	v_mov_b32_e32 v9, v5
	v_lshl_or_b32 v24, v11, 9, v10
	v_dual_mov_b32 v11, v5 :: v_dual_mov_b32 v8, v4
	s_waitcnt lgkmcnt(0)
	v_add_co_u32 v0, vcc_lo, v0, s22
	v_add_co_ci_u32_e32 v1, vcc_lo, s23, v1, vcc_lo
	v_add_co_u32 v2, vcc_lo, v2, s20
	v_add_co_ci_u32_e32 v3, vcc_lo, s21, v3, vcc_lo
	s_delay_alu instid0(VALU_DEP_4) | instskip(NEXT) | instid1(VALU_DEP_4)
	v_add_co_u32 v0, vcc_lo, v0, 8
	v_add_co_ci_u32_e32 v1, vcc_lo, 0, v1, vcc_lo
	s_delay_alu instid0(VALU_DEP_4) | instskip(NEXT) | instid1(VALU_DEP_4)
	v_add_co_u32 v2, vcc_lo, v2, 8
	v_add_co_ci_u32_e32 v3, vcc_lo, 0, v3, vcc_lo
	v_mov_b32_e32 v10, v4
	v_mov_b32_e32 v12, v4
	v_mov_b32_e32 v18, v4
	v_mov_b32_e32 v16, v4
	s_lshl_b64 s[12:13], s[12:13], 7
	s_lshl_b64 s[14:15], s[14:15], 7
.LBB881_2:                              ; =>This Inner Loop Header: Depth=1
	global_load_b128 v[26:29], v[2:3], off offset:-8
	global_load_b128 v[30:33], v[0:1], off offset:-8
	v_add_co_u32 v0, vcc_lo, v0, s12
	v_add_co_ci_u32_e32 v1, vcc_lo, s13, v1, vcc_lo
	v_add_co_u32 v2, vcc_lo, v2, s14
	v_add_co_ci_u32_e32 v3, vcc_lo, s15, v3, vcc_lo
	s_add_i32 s19, s19, 8
	s_delay_alu instid0(SALU_CYCLE_1)
	s_cmp_ge_i32 s19, s17
	s_waitcnt vmcnt(1)
	v_xor_b32_e32 v29, 0x80000000, v29
	s_waitcnt vmcnt(0)
	ds_store_b128 v24, v[30:33]
	ds_store_b128 v25, v[26:29]
	s_waitcnt lgkmcnt(0)
	s_barrier
	buffer_gl0_inv
	ds_load_b128 v[26:29], v23
	ds_load_b128 v[30:33], v22
	ds_load_b128 v[34:37], v22 offset:256
	ds_load_b128 v[38:41], v23 offset:2048
	;; [unrolled: 1-line block ×13, first 2 shown]
	s_waitcnt lgkmcnt(13)
	v_mul_f64 v[86:87], v[28:29], v[32:33]
	v_mul_f64 v[88:89], v[26:27], v[32:33]
	s_waitcnt lgkmcnt(12)
	v_mul_f64 v[90:91], v[28:29], v[36:37]
	v_mul_f64 v[92:93], v[26:27], v[36:37]
	;; [unrolled: 3-line block ×3, first 2 shown]
	v_mul_f64 v[96:97], v[40:41], v[36:37]
	v_mul_f64 v[36:37], v[38:39], v[36:37]
	s_waitcnt lgkmcnt(8)
	v_mul_f64 v[98:99], v[44:45], v[52:53]
	v_mul_f64 v[100:101], v[42:43], v[52:53]
	s_waitcnt lgkmcnt(7)
	v_mul_f64 v[102:103], v[44:45], v[56:57]
	v_mul_f64 v[104:105], v[42:43], v[56:57]
	;; [unrolled: 1-line block ×6, first 2 shown]
	s_waitcnt lgkmcnt(3)
	v_mul_f64 v[112:113], v[58:59], v[72:73]
	s_waitcnt lgkmcnt(2)
	v_mul_f64 v[114:115], v[76:77], v[68:69]
	v_mul_f64 v[116:117], v[76:77], v[72:73]
	v_fma_f64 v[86:87], v[26:27], v[30:31], -v[86:87]
	v_fma_f64 v[88:89], v[28:29], v[30:31], v[88:89]
	v_fma_f64 v[90:91], v[26:27], v[34:35], -v[90:91]
	v_fma_f64 v[92:93], v[28:29], v[34:35], v[92:93]
	v_fma_f64 v[94:95], v[38:39], v[30:31], -v[94:95]
	v_fma_f64 v[110:111], v[40:41], v[30:31], v[32:33]
	v_fma_f64 v[38:39], v[38:39], v[34:35], -v[96:97]
	v_fma_f64 v[34:35], v[40:41], v[34:35], v[36:37]
	v_mul_f64 v[36:37], v[60:61], v[68:69]
	v_mul_f64 v[40:41], v[58:59], v[68:69]
	;; [unrolled: 1-line block ×5, first 2 shown]
	v_fma_f64 v[98:99], v[42:43], v[50:51], -v[98:99]
	v_fma_f64 v[100:101], v[44:45], v[50:51], v[100:101]
	v_fma_f64 v[42:43], v[42:43], v[54:55], -v[102:103]
	v_fma_f64 v[44:45], v[44:45], v[54:55], v[104:105]
	;; [unrolled: 2-line block ×4, first 2 shown]
	ds_load_b128 v[26:29], v22 offset:1792
	ds_load_b128 v[30:33], v22 offset:2048
	s_waitcnt lgkmcnt(2)
	v_mul_f64 v[56:57], v[64:65], v[84:85]
	v_add_f64 v[16:17], v[16:17], v[86:87]
	v_add_f64 v[18:19], v[18:19], v[88:89]
	;; [unrolled: 1-line block ×8, first 2 shown]
	v_mul_f64 v[86:87], v[62:63], v[84:85]
	s_waitcnt lgkmcnt(1)
	v_mul_f64 v[88:89], v[64:65], v[28:29]
	v_mul_f64 v[90:91], v[62:63], v[28:29]
	;; [unrolled: 1-line block ×6, first 2 shown]
	v_fma_f64 v[104:105], v[58:59], v[66:67], -v[36:37]
	v_fma_f64 v[106:107], v[60:61], v[66:67], v[40:41]
	v_fma_f64 v[58:59], v[58:59], v[70:71], -v[96:97]
	v_fma_f64 v[60:61], v[60:61], v[70:71], v[112:113]
	;; [unrolled: 2-line block ×4, first 2 shown]
	ds_load_b128 v[4:7], v22 offset:2304
	ds_load_b128 v[8:11], v23 offset:64
	v_fma_f64 v[56:57], v[62:63], v[82:83], -v[56:57]
	v_add_f64 v[72:73], v[16:17], v[98:99]
	v_add_f64 v[74:75], v[18:19], v[100:101]
	;; [unrolled: 1-line block ×8, first 2 shown]
	ds_load_b128 v[12:15], v23 offset:2112
	ds_load_b128 v[16:19], v23 offset:80
	;; [unrolled: 1-line block ×4, first 2 shown]
	s_waitcnt lgkmcnt(4)
	v_mul_f64 v[54:55], v[10:11], v[32:33]
	v_mul_f64 v[76:77], v[8:9], v[32:33]
	;; [unrolled: 1-line block ×4, first 2 shown]
	v_fma_f64 v[86:87], v[64:65], v[82:83], v[86:87]
	v_fma_f64 v[62:63], v[62:63], v[26:27], -v[88:89]
	v_fma_f64 v[64:65], v[64:65], v[26:27], v[90:91]
	v_fma_f64 v[88:89], v[78:79], v[82:83], -v[92:93]
	v_fma_f64 v[82:83], v[80:81], v[82:83], v[84:85]
	v_fma_f64 v[78:79], v[78:79], v[26:27], -v[94:95]
	v_fma_f64 v[80:81], v[80:81], v[26:27], v[28:29]
	s_waitcnt lgkmcnt(3)
	v_mul_f64 v[102:103], v[14:15], v[32:33]
	v_mul_f64 v[32:33], v[12:13], v[32:33]
	;; [unrolled: 1-line block ×4, first 2 shown]
	s_waitcnt lgkmcnt(0)
	v_mul_f64 v[90:91], v[18:19], v[40:41]
	v_mul_f64 v[92:93], v[16:17], v[40:41]
	v_add_f64 v[72:73], v[72:73], v[104:105]
	v_add_f64 v[74:75], v[74:75], v[106:107]
	;; [unrolled: 1-line block ×8, first 2 shown]
	ds_load_b128 v[26:29], v22 offset:2816
	ds_load_b128 v[42:45], v22 offset:3072
	ds_load_b128 v[46:49], v22 offset:3328
	ds_load_b128 v[50:53], v23 offset:96
	v_mul_f64 v[104:105], v[36:37], v[40:41]
	v_mul_f64 v[40:41], v[34:35], v[40:41]
	v_fma_f64 v[54:55], v[8:9], v[30:31], -v[54:55]
	v_fma_f64 v[76:77], v[10:11], v[30:31], v[76:77]
	v_fma_f64 v[98:99], v[8:9], v[4:5], -v[98:99]
	v_fma_f64 v[100:101], v[10:11], v[4:5], v[100:101]
	s_waitcnt lgkmcnt(3)
	v_mul_f64 v[94:95], v[18:19], v[28:29]
	v_mul_f64 v[96:97], v[16:17], v[28:29]
	;; [unrolled: 1-line block ×4, first 2 shown]
	v_fma_f64 v[102:103], v[12:13], v[30:31], -v[102:103]
	v_fma_f64 v[32:33], v[14:15], v[30:31], v[32:33]
	v_fma_f64 v[108:109], v[12:13], v[4:5], -v[108:109]
	v_fma_f64 v[112:113], v[14:15], v[4:5], v[6:7]
	ds_load_b128 v[4:7], v23 offset:2144
	ds_load_b128 v[8:11], v23 offset:112
	;; [unrolled: 1-line block ×4, first 2 shown]
	v_add_f64 v[56:57], v[72:73], v[56:57]
	v_add_f64 v[72:73], v[74:75], v[86:87]
	;; [unrolled: 1-line block ×8, first 2 shown]
	s_waitcnt lgkmcnt(4)
	v_mul_f64 v[70:71], v[52:53], v[44:45]
	v_mul_f64 v[74:75], v[50:51], v[44:45]
	;; [unrolled: 1-line block ×4, first 2 shown]
	s_waitcnt lgkmcnt(3)
	v_mul_f64 v[82:83], v[6:7], v[44:45]
	v_mul_f64 v[44:45], v[4:5], v[44:45]
	;; [unrolled: 1-line block ×4, first 2 shown]
	v_fma_f64 v[86:87], v[16:17], v[38:39], -v[90:91]
	v_fma_f64 v[88:89], v[18:19], v[38:39], v[92:93]
	v_fma_f64 v[90:91], v[16:17], v[26:27], -v[94:95]
	v_fma_f64 v[92:93], v[18:19], v[26:27], v[96:97]
	;; [unrolled: 2-line block ×4, first 2 shown]
	ds_load_b128 v[16:19], v22 offset:3840
	s_waitcnt lgkmcnt(0)
	s_barrier
	buffer_gl0_inv
	v_add_f64 v[36:37], v[56:57], v[54:55]
	v_add_f64 v[40:41], v[72:73], v[76:77]
	;; [unrolled: 1-line block ×8, first 2 shown]
	v_mul_f64 v[64:65], v[10:11], v[30:31]
	v_mul_f64 v[66:67], v[8:9], v[30:31]
	;; [unrolled: 1-line block ×4, first 2 shown]
	v_fma_f64 v[70:71], v[50:51], v[42:43], -v[70:71]
	v_mul_f64 v[68:69], v[10:11], v[18:19]
	v_mul_f64 v[72:73], v[8:9], v[18:19]
	;; [unrolled: 1-line block ×4, first 2 shown]
	v_fma_f64 v[74:75], v[52:53], v[42:43], v[74:75]
	v_fma_f64 v[50:51], v[50:51], v[46:47], -v[78:79]
	v_fma_f64 v[52:53], v[52:53], v[46:47], v[80:81]
	v_fma_f64 v[78:79], v[4:5], v[42:43], -v[82:83]
	;; [unrolled: 2-line block ×3, first 2 shown]
	v_fma_f64 v[6:7], v[6:7], v[46:47], v[48:49]
	v_add_f64 v[36:37], v[36:37], v[86:87]
	v_add_f64 v[40:41], v[40:41], v[88:89]
	;; [unrolled: 1-line block ×8, first 2 shown]
	v_fma_f64 v[38:39], v[8:9], v[28:29], -v[64:65]
	v_fma_f64 v[54:55], v[10:11], v[28:29], v[66:67]
	v_fma_f64 v[56:57], v[12:13], v[28:29], -v[76:77]
	v_fma_f64 v[28:29], v[14:15], v[28:29], v[30:31]
	;; [unrolled: 2-line block ×4, first 2 shown]
	v_add_f64 v[12:13], v[36:37], v[70:71]
	v_add_f64 v[14:15], v[40:41], v[74:75]
	v_add_f64 v[36:37], v[44:45], v[50:51]
	v_add_f64 v[40:41], v[46:47], v[52:53]
	v_add_f64 v[44:45], v[48:49], v[78:79]
	v_add_f64 v[32:33], v[32:33], v[42:43]
	v_add_f64 v[4:5], v[34:35], v[4:5]
	v_add_f64 v[26:27], v[26:27], v[6:7]
	v_add_f64 v[16:17], v[12:13], v[38:39]
	v_add_f64 v[18:19], v[14:15], v[54:55]
	v_add_f64 v[12:13], v[36:37], v[8:9]
	v_add_f64 v[14:15], v[40:41], v[10:11]
	v_add_f64 v[10:11], v[44:45], v[56:57]
	v_add_f64 v[8:9], v[32:33], v[28:29]
	v_add_f64 v[6:7], v[4:5], v[30:31]
	v_add_f64 v[4:5], v[26:27], v[58:59]
	s_cbranch_scc0 .LBB881_2
.LBB881_3:
	s_load_b32 s12, s[0:1], 0x60
	v_add_nc_u32_e32 v21, s24, v21
	v_add_nc_u32_e32 v0, s18, v20
	s_delay_alu instid0(VALU_DEP_1) | instskip(SKIP_1) | instid1(VALU_DEP_2)
	v_cmp_le_i32_e64 s0, v21, v0
	v_cmp_gt_i32_e32 vcc_lo, s16, v0
	s_and_b32 s0, s0, vcc_lo
	s_waitcnt lgkmcnt(0)
	v_mad_i64_i32 v[1:2], null, v21, s12, 0
	s_delay_alu instid0(VALU_DEP_1) | instskip(NEXT) | instid1(VALU_DEP_1)
	v_lshlrev_b64 v[1:2], 4, v[1:2]
	v_add_co_u32 v20, s1, s2, v1
	s_delay_alu instid0(VALU_DEP_1)
	v_add_co_ci_u32_e64 v22, s1, s3, v2, s1
	s_and_saveexec_b32 s1, s0
	s_cbranch_execz .LBB881_5
; %bb.4:
	v_ashrrev_i32_e32 v1, 31, v0
	v_mul_f64 v[27:28], s[4:5], v[18:19]
	v_mul_f64 v[18:19], s[6:7], v[18:19]
	s_delay_alu instid0(VALU_DEP_3) | instskip(NEXT) | instid1(VALU_DEP_1)
	v_lshlrev_b64 v[1:2], 4, v[0:1]
	v_add_co_u32 v1, s0, v20, v1
	s_delay_alu instid0(VALU_DEP_1)
	v_add_co_ci_u32_e64 v2, s0, v22, v2, s0
	v_cmp_ne_u32_e64 s0, v21, v0
	global_load_b128 v[23:26], v[1:2], off
	v_fma_f64 v[27:28], s[6:7], v[16:17], v[27:28]
	v_fma_f64 v[16:17], s[4:5], v[16:17], -v[18:19]
	s_waitcnt vmcnt(0)
	v_mul_f64 v[29:30], s[8:9], v[25:26]
	v_mul_f64 v[25:26], s[10:11], v[25:26]
	s_delay_alu instid0(VALU_DEP_2) | instskip(NEXT) | instid1(VALU_DEP_2)
	v_fma_f64 v[29:30], s[10:11], v[23:24], v[29:30]
	v_fma_f64 v[18:19], s[8:9], v[23:24], -v[25:26]
	s_delay_alu instid0(VALU_DEP_2) | instskip(NEXT) | instid1(VALU_DEP_2)
	v_add_f64 v[23:24], v[27:28], v[29:30]
	v_add_f64 v[16:17], v[16:17], v[18:19]
	s_delay_alu instid0(VALU_DEP_2) | instskip(NEXT) | instid1(VALU_DEP_3)
	v_cndmask_b32_e64 v19, 0, v24, s0
	v_cndmask_b32_e64 v18, 0, v23, s0
	global_store_b128 v[1:2], v[16:19], off
.LBB881_5:
	s_or_b32 exec_lo, exec_lo, s1
	v_add_nc_u32_e32 v2, 16, v0
	s_delay_alu instid0(VALU_DEP_1) | instskip(SKIP_1) | instid1(VALU_DEP_1)
	v_cmp_le_i32_e64 s1, v21, v2
	v_cmp_gt_i32_e64 s0, s16, v2
	s_and_b32 s1, s1, s0
	s_delay_alu instid0(SALU_CYCLE_1)
	s_and_saveexec_b32 s13, s1
	s_cbranch_execz .LBB881_7
; %bb.6:
	v_ashrrev_i32_e32 v3, 31, v2
	v_mul_f64 v[25:26], s[4:5], v[14:15]
	v_mul_f64 v[14:15], s[6:7], v[14:15]
	s_delay_alu instid0(VALU_DEP_3) | instskip(NEXT) | instid1(VALU_DEP_1)
	v_lshlrev_b64 v[16:17], 4, v[2:3]
	v_add_co_u32 v23, s1, v20, v16
	s_delay_alu instid0(VALU_DEP_1)
	v_add_co_ci_u32_e64 v24, s1, v22, v17, s1
	v_cmp_ne_u32_e64 s1, v21, v2
	global_load_b128 v[16:19], v[23:24], off
	v_fma_f64 v[25:26], s[6:7], v[12:13], v[25:26]
	v_fma_f64 v[12:13], s[4:5], v[12:13], -v[14:15]
	s_waitcnt vmcnt(0)
	v_mul_f64 v[27:28], s[8:9], v[18:19]
	v_mul_f64 v[18:19], s[10:11], v[18:19]
	s_delay_alu instid0(VALU_DEP_2) | instskip(NEXT) | instid1(VALU_DEP_2)
	v_fma_f64 v[27:28], s[10:11], v[16:17], v[27:28]
	v_fma_f64 v[14:15], s[8:9], v[16:17], -v[18:19]
	s_delay_alu instid0(VALU_DEP_2) | instskip(NEXT) | instid1(VALU_DEP_2)
	v_add_f64 v[16:17], v[25:26], v[27:28]
	v_add_f64 v[12:13], v[12:13], v[14:15]
	s_delay_alu instid0(VALU_DEP_2) | instskip(NEXT) | instid1(VALU_DEP_3)
	v_cndmask_b32_e64 v15, 0, v17, s1
	v_cndmask_b32_e64 v14, 0, v16, s1
	global_store_b128 v[23:24], v[12:15], off
.LBB881_7:
	s_or_b32 exec_lo, exec_lo, s13
	v_add_nc_u32_e32 v3, 16, v21
	s_delay_alu instid0(VALU_DEP_1) | instskip(SKIP_1) | instid1(VALU_DEP_2)
	v_mad_i64_i32 v[12:13], null, v3, s12, 0
	v_cmp_le_i32_e64 s1, v3, v0
	v_lshlrev_b64 v[12:13], 4, v[12:13]
	s_delay_alu instid0(VALU_DEP_1) | instskip(NEXT) | instid1(VALU_DEP_1)
	v_add_co_u32 v12, s2, s2, v12
	v_add_co_ci_u32_e64 v13, s2, s3, v13, s2
	s_delay_alu instid0(VALU_DEP_4) | instskip(NEXT) | instid1(SALU_CYCLE_1)
	s_and_b32 s2, s1, vcc_lo
	s_and_saveexec_b32 s1, s2
	s_cbranch_execz .LBB881_9
; %bb.8:
	v_ashrrev_i32_e32 v1, 31, v0
	v_mul_f64 v[22:23], s[4:5], v[8:9]
	v_mul_f64 v[8:9], s[6:7], v[8:9]
	s_delay_alu instid0(VALU_DEP_3) | instskip(NEXT) | instid1(VALU_DEP_1)
	v_lshlrev_b64 v[14:15], 4, v[0:1]
	v_add_co_u32 v18, vcc_lo, v12, v14
	s_delay_alu instid0(VALU_DEP_2)
	v_add_co_ci_u32_e32 v19, vcc_lo, v13, v15, vcc_lo
	v_cmp_ne_u32_e32 vcc_lo, v3, v0
	global_load_b128 v[14:17], v[18:19], off
	v_fma_f64 v[22:23], s[6:7], v[10:11], v[22:23]
	v_fma_f64 v[8:9], s[4:5], v[10:11], -v[8:9]
	s_waitcnt vmcnt(0)
	v_mul_f64 v[24:25], s[8:9], v[16:17]
	v_mul_f64 v[16:17], s[10:11], v[16:17]
	s_delay_alu instid0(VALU_DEP_2) | instskip(NEXT) | instid1(VALU_DEP_2)
	v_fma_f64 v[24:25], s[10:11], v[14:15], v[24:25]
	v_fma_f64 v[10:11], s[8:9], v[14:15], -v[16:17]
	s_delay_alu instid0(VALU_DEP_2) | instskip(NEXT) | instid1(VALU_DEP_2)
	v_add_f64 v[14:15], v[22:23], v[24:25]
	v_add_f64 v[8:9], v[8:9], v[10:11]
	s_delay_alu instid0(VALU_DEP_2)
	v_dual_cndmask_b32 v11, 0, v15 :: v_dual_cndmask_b32 v10, 0, v14
	global_store_b128 v[18:19], v[8:11], off
.LBB881_9:
	s_or_b32 exec_lo, exec_lo, s1
	v_cmp_le_i32_e32 vcc_lo, v3, v2
	s_and_b32 s0, vcc_lo, s0
	s_delay_alu instid0(SALU_CYCLE_1)
	s_and_saveexec_b32 s1, s0
	s_cbranch_execz .LBB881_11
; %bb.10:
	v_ashrrev_i32_e32 v3, 31, v2
	s_delay_alu instid0(VALU_DEP_1) | instskip(NEXT) | instid1(VALU_DEP_1)
	v_lshlrev_b64 v[1:2], 4, v[2:3]
	v_add_co_u32 v12, vcc_lo, v12, v1
	s_delay_alu instid0(VALU_DEP_2)
	v_add_co_ci_u32_e32 v13, vcc_lo, v13, v2, vcc_lo
	v_mul_f64 v[1:2], s[4:5], v[4:5]
	v_mul_f64 v[3:4], s[6:7], v[4:5]
	v_cmp_ne_u32_e32 vcc_lo, v21, v0
	global_load_b128 v[8:11], v[12:13], off
	v_fma_f64 v[1:2], s[6:7], v[6:7], v[1:2]
	v_fma_f64 v[3:4], s[4:5], v[6:7], -v[3:4]
	s_waitcnt vmcnt(0)
	v_mul_f64 v[14:15], s[8:9], v[10:11]
	v_mul_f64 v[10:11], s[10:11], v[10:11]
	s_delay_alu instid0(VALU_DEP_2) | instskip(NEXT) | instid1(VALU_DEP_2)
	v_fma_f64 v[14:15], s[10:11], v[8:9], v[14:15]
	v_fma_f64 v[5:6], s[8:9], v[8:9], -v[10:11]
	s_delay_alu instid0(VALU_DEP_2) | instskip(NEXT) | instid1(VALU_DEP_2)
	v_add_f64 v[7:8], v[1:2], v[14:15]
	v_add_f64 v[1:2], v[3:4], v[5:6]
	s_delay_alu instid0(VALU_DEP_2)
	v_dual_cndmask_b32 v4, 0, v8 :: v_dual_cndmask_b32 v3, 0, v7
	global_store_b128 v[12:13], v[1:4], off
.LBB881_11:
	s_nop 0
	s_sendmsg sendmsg(MSG_DEALLOC_VGPRS)
	s_endpgm
	.section	.rodata,"a",@progbits
	.p2align	6, 0x0
	.amdhsa_kernel _ZL37rocblas_syrkx_herkx_restricted_kernelIi19rocblas_complex_numIdELi16ELi32ELi8ELb0ELb1ELc78ELc76EKPKS1_KPS1_EviT_T0_PT8_S7_lSA_S7_lS8_PT9_S7_li
		.amdhsa_group_segment_fixed_size 8192
		.amdhsa_private_segment_fixed_size 0
		.amdhsa_kernarg_size 116
		.amdhsa_user_sgpr_count 13
		.amdhsa_user_sgpr_dispatch_ptr 0
		.amdhsa_user_sgpr_queue_ptr 0
		.amdhsa_user_sgpr_kernarg_segment_ptr 1
		.amdhsa_user_sgpr_dispatch_id 0
		.amdhsa_user_sgpr_private_segment_size 0
		.amdhsa_wavefront_size32 1
		.amdhsa_uses_dynamic_stack 0
		.amdhsa_enable_private_segment 0
		.amdhsa_system_sgpr_workgroup_id_x 1
		.amdhsa_system_sgpr_workgroup_id_y 1
		.amdhsa_system_sgpr_workgroup_id_z 1
		.amdhsa_system_sgpr_workgroup_info 0
		.amdhsa_system_vgpr_workitem_id 1
		.amdhsa_next_free_vgpr 118
		.amdhsa_next_free_sgpr 28
		.amdhsa_reserve_vcc 1
		.amdhsa_float_round_mode_32 0
		.amdhsa_float_round_mode_16_64 0
		.amdhsa_float_denorm_mode_32 3
		.amdhsa_float_denorm_mode_16_64 3
		.amdhsa_dx10_clamp 1
		.amdhsa_ieee_mode 1
		.amdhsa_fp16_overflow 0
		.amdhsa_workgroup_processor_mode 1
		.amdhsa_memory_ordered 1
		.amdhsa_forward_progress 0
		.amdhsa_shared_vgpr_count 0
		.amdhsa_exception_fp_ieee_invalid_op 0
		.amdhsa_exception_fp_denorm_src 0
		.amdhsa_exception_fp_ieee_div_zero 0
		.amdhsa_exception_fp_ieee_overflow 0
		.amdhsa_exception_fp_ieee_underflow 0
		.amdhsa_exception_fp_ieee_inexact 0
		.amdhsa_exception_int_div_zero 0
	.end_amdhsa_kernel
	.section	.text._ZL37rocblas_syrkx_herkx_restricted_kernelIi19rocblas_complex_numIdELi16ELi32ELi8ELb0ELb1ELc78ELc76EKPKS1_KPS1_EviT_T0_PT8_S7_lSA_S7_lS8_PT9_S7_li,"axG",@progbits,_ZL37rocblas_syrkx_herkx_restricted_kernelIi19rocblas_complex_numIdELi16ELi32ELi8ELb0ELb1ELc78ELc76EKPKS1_KPS1_EviT_T0_PT8_S7_lSA_S7_lS8_PT9_S7_li,comdat
.Lfunc_end881:
	.size	_ZL37rocblas_syrkx_herkx_restricted_kernelIi19rocblas_complex_numIdELi16ELi32ELi8ELb0ELb1ELc78ELc76EKPKS1_KPS1_EviT_T0_PT8_S7_lSA_S7_lS8_PT9_S7_li, .Lfunc_end881-_ZL37rocblas_syrkx_herkx_restricted_kernelIi19rocblas_complex_numIdELi16ELi32ELi8ELb0ELb1ELc78ELc76EKPKS1_KPS1_EviT_T0_PT8_S7_lSA_S7_lS8_PT9_S7_li
                                        ; -- End function
	.section	.AMDGPU.csdata,"",@progbits
; Kernel info:
; codeLenInByte = 3388
; NumSgprs: 30
; NumVgprs: 118
; ScratchSize: 0
; MemoryBound: 0
; FloatMode: 240
; IeeeMode: 1
; LDSByteSize: 8192 bytes/workgroup (compile time only)
; SGPRBlocks: 3
; VGPRBlocks: 14
; NumSGPRsForWavesPerEU: 30
; NumVGPRsForWavesPerEU: 118
; Occupancy: 12
; WaveLimiterHint : 1
; COMPUTE_PGM_RSRC2:SCRATCH_EN: 0
; COMPUTE_PGM_RSRC2:USER_SGPR: 13
; COMPUTE_PGM_RSRC2:TRAP_HANDLER: 0
; COMPUTE_PGM_RSRC2:TGID_X_EN: 1
; COMPUTE_PGM_RSRC2:TGID_Y_EN: 1
; COMPUTE_PGM_RSRC2:TGID_Z_EN: 1
; COMPUTE_PGM_RSRC2:TIDIG_COMP_CNT: 1
	.section	.text._ZL37rocblas_syrkx_herkx_restricted_kernelIi19rocblas_complex_numIdELi16ELi32ELi8ELb0ELb1ELc84ELc85EKPKS1_KPS1_EviT_T0_PT8_S7_lSA_S7_lS8_PT9_S7_li,"axG",@progbits,_ZL37rocblas_syrkx_herkx_restricted_kernelIi19rocblas_complex_numIdELi16ELi32ELi8ELb0ELb1ELc84ELc85EKPKS1_KPS1_EviT_T0_PT8_S7_lSA_S7_lS8_PT9_S7_li,comdat
	.globl	_ZL37rocblas_syrkx_herkx_restricted_kernelIi19rocblas_complex_numIdELi16ELi32ELi8ELb0ELb1ELc84ELc85EKPKS1_KPS1_EviT_T0_PT8_S7_lSA_S7_lS8_PT9_S7_li ; -- Begin function _ZL37rocblas_syrkx_herkx_restricted_kernelIi19rocblas_complex_numIdELi16ELi32ELi8ELb0ELb1ELc84ELc85EKPKS1_KPS1_EviT_T0_PT8_S7_lSA_S7_lS8_PT9_S7_li
	.p2align	8
	.type	_ZL37rocblas_syrkx_herkx_restricted_kernelIi19rocblas_complex_numIdELi16ELi32ELi8ELb0ELb1ELc84ELc85EKPKS1_KPS1_EviT_T0_PT8_S7_lSA_S7_lS8_PT9_S7_li,@function
_ZL37rocblas_syrkx_herkx_restricted_kernelIi19rocblas_complex_numIdELi16ELi32ELi8ELb0ELb1ELc84ELc85EKPKS1_KPS1_EviT_T0_PT8_S7_lSA_S7_lS8_PT9_S7_li: ; @_ZL37rocblas_syrkx_herkx_restricted_kernelIi19rocblas_complex_numIdELi16ELi32ELi8ELb0ELb1ELc84ELc85EKPKS1_KPS1_EviT_T0_PT8_S7_lSA_S7_lS8_PT9_S7_li
; %bb.0:
	s_load_b64 s[8:9], s[0:1], 0x58
	s_mov_b32 s18, s15
	s_mov_b32 s19, 0
	s_clause 0x1
	s_load_b64 s[2:3], s[0:1], 0x0
	s_load_b128 s[4:7], s[0:1], 0x8
	s_lshl_b64 s[20:21], s[18:19], 3
	v_mov_b32_e32 v16, 0
	v_dual_mov_b32 v17, 0 :: v_dual_and_b32 v20, 0x3ff, v0
	v_bfe_u32 v21, v0, 10, 10
	s_delay_alu instid0(VALU_DEP_3) | instskip(NEXT) | instid1(VALU_DEP_3)
	v_mov_b32_e32 v12, v16
	v_dual_mov_b32 v14, v16 :: v_dual_mov_b32 v15, v17
	v_dual_mov_b32 v19, v17 :: v_dual_mov_b32 v18, v16
	;; [unrolled: 1-line block ×5, first 2 shown]
	v_mov_b32_e32 v7, v17
	s_waitcnt lgkmcnt(0)
	s_add_u32 s16, s8, s20
	s_addc_u32 s17, s9, s21
	s_clause 0x1
	s_load_b64 s[22:23], s[0:1], 0x18
	s_load_b128 s[8:11], s[0:1], 0x48
	s_load_b64 s[16:17], s[16:17], 0x0
	v_dual_mov_b32 v4, v16 :: v_dual_mov_b32 v5, v17
	s_lshl_b32 s12, s13, 5
	s_lshl_b32 s13, s14, 5
	s_cmp_lt_i32 s3, 1
	s_cbranch_scc1 .LBB882_3
; %bb.1:
	s_clause 0x2
	s_load_b64 s[14:15], s[0:1], 0x30
	s_load_b32 s18, s[0:1], 0x20
	s_load_b32 s24, s[0:1], 0x38
	v_lshl_add_u32 v2, v21, 4, v20
	v_dual_mov_b32 v1, 0 :: v_dual_and_b32 v0, 7, v20
	s_waitcnt lgkmcnt(0)
	s_add_u32 s22, s22, s20
	v_lshlrev_b32_e32 v22, 4, v20
	v_and_b32_e32 v10, 31, v2
	s_addc_u32 s23, s23, s21
	v_lshrrev_b32_e32 v11, 3, v2
	v_lshrrev_b32_e32 v2, 5, v2
	s_delay_alu instid0(VALU_DEP_3)
	v_dual_mov_b32 v3, v1 :: v_dual_add_nc_u32 v4, s12, v10
	s_load_b64 s[22:23], s[22:23], 0x0
	v_lshl_add_u32 v23, v21, 7, 0x1000
	s_add_u32 s14, s14, s20
	s_addc_u32 s15, s15, s21
	v_mad_i64_i32 v[6:7], null, s18, v4, v[2:3]
	s_load_b64 s[14:15], s[14:15], 0x0
	v_dual_mov_b32 v4, 0 :: v_dual_lshlrev_b32 v3, 4, v0
	v_dual_mov_b32 v5, 0 :: v_dual_add_nc_u32 v12, s13, v11
	v_lshlrev_b32_e32 v10, 4, v10
	s_delay_alu instid0(VALU_DEP_3) | instskip(NEXT) | instid1(VALU_DEP_3)
	v_lshl_or_b32 v3, v11, 7, v3
	v_mov_b32_e32 v15, v5
	s_delay_alu instid0(VALU_DEP_4)
	v_mad_i64_i32 v[8:9], null, s24, v12, v[0:1]
	v_lshlrev_b64 v[0:1], 4, v[6:7]
	v_dual_mov_b32 v7, v5 :: v_dual_mov_b32 v6, v4
	v_add_nc_u32_e32 v25, 0x1000, v3
	v_lshl_or_b32 v24, v2, 9, v10
	v_dual_mov_b32 v14, v4 :: v_dual_mov_b32 v13, v5
	v_lshlrev_b64 v[2:3], 4, v[8:9]
	s_waitcnt lgkmcnt(0)
	v_add_co_u32 v0, vcc_lo, v0, s22
	v_add_co_ci_u32_e32 v1, vcc_lo, s23, v1, vcc_lo
	v_mov_b32_e32 v9, v5
	s_delay_alu instid0(VALU_DEP_4)
	v_add_co_u32 v2, vcc_lo, v2, s14
	v_add_co_ci_u32_e32 v3, vcc_lo, s15, v3, vcc_lo
	v_add_co_u32 v0, vcc_lo, v0, 8
	v_mov_b32_e32 v8, v4
	v_add_co_ci_u32_e32 v1, vcc_lo, 0, v1, vcc_lo
	v_add_co_u32 v2, vcc_lo, v2, 8
	v_dual_mov_b32 v12, v4 :: v_dual_mov_b32 v19, v5
	v_dual_mov_b32 v18, v4 :: v_dual_mov_b32 v17, v5
	v_add_co_ci_u32_e32 v3, vcc_lo, 0, v3, vcc_lo
	v_dual_mov_b32 v11, v5 :: v_dual_mov_b32 v10, v4
	v_mov_b32_e32 v16, v4
.LBB882_2:                              ; =>This Inner Loop Header: Depth=1
	global_load_b128 v[26:29], v[0:1], off offset:-8
	global_load_b128 v[30:33], v[2:3], off offset:-8
	v_add_co_u32 v0, vcc_lo, 0x80, v0
	v_add_co_ci_u32_e32 v1, vcc_lo, 0, v1, vcc_lo
	v_add_co_u32 v2, vcc_lo, 0x80, v2
	v_add_co_ci_u32_e32 v3, vcc_lo, 0, v3, vcc_lo
	s_add_i32 s19, s19, 8
	s_waitcnt vmcnt(1)
	ds_store_b128 v24, v[26:29]
	s_waitcnt vmcnt(0)
	ds_store_b128 v25, v[30:33]
	s_waitcnt lgkmcnt(0)
	s_barrier
	buffer_gl0_inv
	ds_load_b128 v[26:29], v23
	ds_load_b128 v[30:33], v22
	ds_load_b128 v[34:37], v22 offset:256
	ds_load_b128 v[38:41], v23 offset:2048
	ds_load_b128 v[42:45], v23 offset:16
	ds_load_b128 v[46:49], v23 offset:2064
	ds_load_b128 v[50:53], v22 offset:512
	ds_load_b128 v[54:57], v22 offset:768
	ds_load_b128 v[58:61], v23 offset:32
	ds_load_b128 v[62:65], v23 offset:48
	ds_load_b128 v[66:69], v22 offset:1024
	ds_load_b128 v[70:73], v22 offset:1280
	ds_load_b128 v[74:77], v23 offset:2080
	ds_load_b128 v[78:81], v23 offset:2096
	ds_load_b128 v[82:85], v22 offset:1536
	s_cmp_ge_i32 s19, s3
	s_waitcnt lgkmcnt(13)
	v_mul_f64 v[86:87], v[28:29], v[32:33]
	v_mul_f64 v[88:89], v[26:27], v[32:33]
	s_waitcnt lgkmcnt(12)
	v_mul_f64 v[90:91], v[28:29], v[36:37]
	v_mul_f64 v[92:93], v[26:27], v[36:37]
	;; [unrolled: 3-line block ×3, first 2 shown]
	v_mul_f64 v[96:97], v[40:41], v[36:37]
	v_mul_f64 v[36:37], v[38:39], v[36:37]
	s_waitcnt lgkmcnt(8)
	v_mul_f64 v[98:99], v[44:45], v[52:53]
	v_mul_f64 v[100:101], v[42:43], v[52:53]
	s_waitcnt lgkmcnt(7)
	v_mul_f64 v[102:103], v[44:45], v[56:57]
	v_mul_f64 v[104:105], v[42:43], v[56:57]
	;; [unrolled: 1-line block ×6, first 2 shown]
	s_waitcnt lgkmcnt(3)
	v_mul_f64 v[112:113], v[58:59], v[72:73]
	s_waitcnt lgkmcnt(2)
	v_mul_f64 v[114:115], v[76:77], v[68:69]
	v_mul_f64 v[116:117], v[76:77], v[72:73]
	v_fma_f64 v[86:87], v[26:27], v[30:31], -v[86:87]
	v_fma_f64 v[88:89], v[28:29], v[30:31], v[88:89]
	v_fma_f64 v[90:91], v[26:27], v[34:35], -v[90:91]
	v_fma_f64 v[92:93], v[28:29], v[34:35], v[92:93]
	;; [unrolled: 2-line block ×4, first 2 shown]
	v_mul_f64 v[36:37], v[60:61], v[68:69]
	v_mul_f64 v[40:41], v[58:59], v[68:69]
	;; [unrolled: 1-line block ×5, first 2 shown]
	v_fma_f64 v[98:99], v[42:43], v[50:51], -v[98:99]
	v_fma_f64 v[100:101], v[44:45], v[50:51], v[100:101]
	v_fma_f64 v[42:43], v[42:43], v[54:55], -v[102:103]
	v_fma_f64 v[44:45], v[44:45], v[54:55], v[104:105]
	v_fma_f64 v[102:103], v[46:47], v[50:51], -v[106:107]
	v_fma_f64 v[50:51], v[48:49], v[50:51], v[52:53]
	v_fma_f64 v[46:47], v[46:47], v[54:55], -v[108:109]
	v_fma_f64 v[48:49], v[48:49], v[54:55], v[56:57]
	ds_load_b128 v[26:29], v22 offset:1792
	ds_load_b128 v[30:33], v22 offset:2048
	s_waitcnt lgkmcnt(2)
	v_mul_f64 v[56:57], v[64:65], v[84:85]
	v_add_f64 v[16:17], v[16:17], v[86:87]
	v_add_f64 v[18:19], v[18:19], v[88:89]
	;; [unrolled: 1-line block ×8, first 2 shown]
	v_mul_f64 v[86:87], v[62:63], v[84:85]
	s_waitcnt lgkmcnt(1)
	v_mul_f64 v[88:89], v[64:65], v[28:29]
	v_mul_f64 v[90:91], v[62:63], v[28:29]
	;; [unrolled: 1-line block ×6, first 2 shown]
	v_fma_f64 v[104:105], v[58:59], v[66:67], -v[36:37]
	v_fma_f64 v[106:107], v[60:61], v[66:67], v[40:41]
	v_fma_f64 v[58:59], v[58:59], v[70:71], -v[96:97]
	v_fma_f64 v[60:61], v[60:61], v[70:71], v[112:113]
	;; [unrolled: 2-line block ×4, first 2 shown]
	ds_load_b128 v[4:7], v22 offset:2304
	ds_load_b128 v[8:11], v23 offset:64
	v_fma_f64 v[56:57], v[62:63], v[82:83], -v[56:57]
	v_add_f64 v[72:73], v[16:17], v[98:99]
	v_add_f64 v[74:75], v[18:19], v[100:101]
	;; [unrolled: 1-line block ×8, first 2 shown]
	ds_load_b128 v[12:15], v23 offset:2112
	ds_load_b128 v[16:19], v23 offset:80
	;; [unrolled: 1-line block ×4, first 2 shown]
	s_waitcnt lgkmcnt(4)
	v_mul_f64 v[54:55], v[10:11], v[32:33]
	v_mul_f64 v[76:77], v[8:9], v[32:33]
	;; [unrolled: 1-line block ×4, first 2 shown]
	v_fma_f64 v[86:87], v[64:65], v[82:83], v[86:87]
	v_fma_f64 v[62:63], v[62:63], v[26:27], -v[88:89]
	v_fma_f64 v[64:65], v[64:65], v[26:27], v[90:91]
	v_fma_f64 v[88:89], v[78:79], v[82:83], -v[92:93]
	;; [unrolled: 2-line block ×3, first 2 shown]
	v_fma_f64 v[80:81], v[80:81], v[26:27], v[28:29]
	s_waitcnt lgkmcnt(3)
	v_mul_f64 v[102:103], v[14:15], v[32:33]
	v_mul_f64 v[32:33], v[12:13], v[32:33]
	;; [unrolled: 1-line block ×4, first 2 shown]
	s_waitcnt lgkmcnt(0)
	v_mul_f64 v[90:91], v[18:19], v[40:41]
	v_mul_f64 v[92:93], v[16:17], v[40:41]
	v_add_f64 v[72:73], v[72:73], v[104:105]
	v_add_f64 v[74:75], v[74:75], v[106:107]
	;; [unrolled: 1-line block ×8, first 2 shown]
	ds_load_b128 v[26:29], v22 offset:2816
	ds_load_b128 v[42:45], v22 offset:3072
	;; [unrolled: 1-line block ×4, first 2 shown]
	v_mul_f64 v[104:105], v[36:37], v[40:41]
	v_mul_f64 v[40:41], v[34:35], v[40:41]
	v_fma_f64 v[54:55], v[8:9], v[30:31], -v[54:55]
	v_fma_f64 v[76:77], v[10:11], v[30:31], v[76:77]
	v_fma_f64 v[98:99], v[8:9], v[4:5], -v[98:99]
	v_fma_f64 v[100:101], v[10:11], v[4:5], v[100:101]
	s_waitcnt lgkmcnt(3)
	v_mul_f64 v[94:95], v[18:19], v[28:29]
	v_mul_f64 v[96:97], v[16:17], v[28:29]
	;; [unrolled: 1-line block ×4, first 2 shown]
	v_fma_f64 v[102:103], v[12:13], v[30:31], -v[102:103]
	v_fma_f64 v[32:33], v[14:15], v[30:31], v[32:33]
	v_fma_f64 v[108:109], v[12:13], v[4:5], -v[108:109]
	v_fma_f64 v[112:113], v[14:15], v[4:5], v[6:7]
	ds_load_b128 v[4:7], v23 offset:2144
	ds_load_b128 v[8:11], v23 offset:112
	;; [unrolled: 1-line block ×4, first 2 shown]
	v_add_f64 v[56:57], v[72:73], v[56:57]
	v_add_f64 v[72:73], v[74:75], v[86:87]
	;; [unrolled: 1-line block ×8, first 2 shown]
	s_waitcnt lgkmcnt(4)
	v_mul_f64 v[70:71], v[52:53], v[44:45]
	v_mul_f64 v[74:75], v[50:51], v[44:45]
	;; [unrolled: 1-line block ×4, first 2 shown]
	s_waitcnt lgkmcnt(3)
	v_mul_f64 v[82:83], v[6:7], v[44:45]
	v_mul_f64 v[44:45], v[4:5], v[44:45]
	;; [unrolled: 1-line block ×4, first 2 shown]
	v_fma_f64 v[86:87], v[16:17], v[38:39], -v[90:91]
	v_fma_f64 v[88:89], v[18:19], v[38:39], v[92:93]
	v_fma_f64 v[90:91], v[16:17], v[26:27], -v[94:95]
	v_fma_f64 v[92:93], v[18:19], v[26:27], v[96:97]
	;; [unrolled: 2-line block ×4, first 2 shown]
	ds_load_b128 v[16:19], v22 offset:3840
	s_waitcnt lgkmcnt(0)
	s_barrier
	buffer_gl0_inv
	v_add_f64 v[36:37], v[56:57], v[54:55]
	v_add_f64 v[40:41], v[72:73], v[76:77]
	v_add_f64 v[54:55], v[58:59], v[98:99]
	v_add_f64 v[56:57], v[60:61], v[100:101]
	v_add_f64 v[58:59], v[62:63], v[102:103]
	v_add_f64 v[32:33], v[64:65], v[32:33]
	v_add_f64 v[60:61], v[66:67], v[108:109]
	v_add_f64 v[62:63], v[68:69], v[112:113]
	v_mul_f64 v[64:65], v[10:11], v[30:31]
	v_mul_f64 v[66:67], v[8:9], v[30:31]
	;; [unrolled: 1-line block ×4, first 2 shown]
	v_fma_f64 v[70:71], v[50:51], v[42:43], -v[70:71]
	v_mul_f64 v[68:69], v[10:11], v[18:19]
	v_mul_f64 v[72:73], v[8:9], v[18:19]
	;; [unrolled: 1-line block ×4, first 2 shown]
	v_fma_f64 v[74:75], v[52:53], v[42:43], v[74:75]
	v_fma_f64 v[50:51], v[50:51], v[46:47], -v[78:79]
	v_fma_f64 v[52:53], v[52:53], v[46:47], v[80:81]
	v_fma_f64 v[78:79], v[4:5], v[42:43], -v[82:83]
	;; [unrolled: 2-line block ×3, first 2 shown]
	v_fma_f64 v[6:7], v[6:7], v[46:47], v[48:49]
	v_add_f64 v[36:37], v[36:37], v[86:87]
	v_add_f64 v[40:41], v[40:41], v[88:89]
	;; [unrolled: 1-line block ×8, first 2 shown]
	v_fma_f64 v[38:39], v[8:9], v[28:29], -v[64:65]
	v_fma_f64 v[54:55], v[10:11], v[28:29], v[66:67]
	v_fma_f64 v[56:57], v[12:13], v[28:29], -v[76:77]
	v_fma_f64 v[28:29], v[14:15], v[28:29], v[30:31]
	;; [unrolled: 2-line block ×4, first 2 shown]
	v_add_f64 v[12:13], v[36:37], v[70:71]
	v_add_f64 v[14:15], v[40:41], v[74:75]
	;; [unrolled: 1-line block ×16, first 2 shown]
	s_cbranch_scc0 .LBB882_2
.LBB882_3:
	s_load_b32 s3, s[0:1], 0x60
	v_add_nc_u32_e32 v21, s13, v21
	v_add_nc_u32_e32 v0, s12, v20
	s_delay_alu instid0(VALU_DEP_2) | instskip(NEXT) | instid1(VALU_DEP_2)
	v_cmp_gt_i32_e32 vcc_lo, s2, v21
	v_cmp_le_i32_e64 s0, v0, v21
	s_delay_alu instid0(VALU_DEP_1) | instskip(SKIP_2) | instid1(VALU_DEP_1)
	s_and_b32 s0, vcc_lo, s0
	s_waitcnt lgkmcnt(0)
	v_mad_i64_i32 v[1:2], null, v21, s3, 0
	v_lshlrev_b64 v[1:2], 4, v[1:2]
	s_delay_alu instid0(VALU_DEP_1) | instskip(NEXT) | instid1(VALU_DEP_1)
	v_add_co_u32 v20, s1, s16, v1
	v_add_co_ci_u32_e64 v22, s1, s17, v2, s1
	s_and_saveexec_b32 s1, s0
	s_cbranch_execz .LBB882_5
; %bb.4:
	v_ashrrev_i32_e32 v1, 31, v0
	v_mul_f64 v[27:28], s[4:5], v[18:19]
	v_mul_f64 v[18:19], s[6:7], v[18:19]
	s_delay_alu instid0(VALU_DEP_3) | instskip(NEXT) | instid1(VALU_DEP_1)
	v_lshlrev_b64 v[1:2], 4, v[0:1]
	v_add_co_u32 v1, s0, v20, v1
	s_delay_alu instid0(VALU_DEP_1)
	v_add_co_ci_u32_e64 v2, s0, v22, v2, s0
	v_cmp_ne_u32_e64 s0, v21, v0
	global_load_b128 v[23:26], v[1:2], off
	v_fma_f64 v[27:28], s[6:7], v[16:17], v[27:28]
	v_fma_f64 v[16:17], s[4:5], v[16:17], -v[18:19]
	s_waitcnt vmcnt(0)
	v_mul_f64 v[29:30], s[8:9], v[25:26]
	v_mul_f64 v[25:26], s[10:11], v[25:26]
	s_delay_alu instid0(VALU_DEP_2) | instskip(NEXT) | instid1(VALU_DEP_2)
	v_fma_f64 v[29:30], s[10:11], v[23:24], v[29:30]
	v_fma_f64 v[18:19], s[8:9], v[23:24], -v[25:26]
	s_delay_alu instid0(VALU_DEP_2) | instskip(NEXT) | instid1(VALU_DEP_2)
	v_add_f64 v[23:24], v[27:28], v[29:30]
	v_add_f64 v[16:17], v[16:17], v[18:19]
	s_delay_alu instid0(VALU_DEP_2) | instskip(NEXT) | instid1(VALU_DEP_3)
	v_cndmask_b32_e64 v19, 0, v24, s0
	v_cndmask_b32_e64 v18, 0, v23, s0
	global_store_b128 v[1:2], v[16:19], off
.LBB882_5:
	s_or_b32 exec_lo, exec_lo, s1
	v_add_nc_u32_e32 v2, 16, v0
	s_delay_alu instid0(VALU_DEP_1) | instskip(NEXT) | instid1(VALU_DEP_1)
	v_cmp_le_i32_e64 s0, v2, v21
	s_and_b32 s1, vcc_lo, s0
	s_delay_alu instid0(SALU_CYCLE_1)
	s_and_saveexec_b32 s0, s1
	s_cbranch_execz .LBB882_7
; %bb.6:
	v_ashrrev_i32_e32 v3, 31, v2
	v_mul_f64 v[25:26], s[4:5], v[14:15]
	v_mul_f64 v[14:15], s[6:7], v[14:15]
	s_delay_alu instid0(VALU_DEP_3) | instskip(NEXT) | instid1(VALU_DEP_1)
	v_lshlrev_b64 v[16:17], 4, v[2:3]
	v_add_co_u32 v23, vcc_lo, v20, v16
	s_delay_alu instid0(VALU_DEP_2)
	v_add_co_ci_u32_e32 v24, vcc_lo, v22, v17, vcc_lo
	v_cmp_ne_u32_e32 vcc_lo, v21, v2
	global_load_b128 v[16:19], v[23:24], off
	v_fma_f64 v[25:26], s[6:7], v[12:13], v[25:26]
	v_fma_f64 v[12:13], s[4:5], v[12:13], -v[14:15]
	s_waitcnt vmcnt(0)
	v_mul_f64 v[27:28], s[8:9], v[18:19]
	v_mul_f64 v[18:19], s[10:11], v[18:19]
	s_delay_alu instid0(VALU_DEP_2) | instskip(NEXT) | instid1(VALU_DEP_2)
	v_fma_f64 v[27:28], s[10:11], v[16:17], v[27:28]
	v_fma_f64 v[14:15], s[8:9], v[16:17], -v[18:19]
	s_delay_alu instid0(VALU_DEP_2) | instskip(NEXT) | instid1(VALU_DEP_2)
	v_add_f64 v[16:17], v[25:26], v[27:28]
	v_add_f64 v[12:13], v[12:13], v[14:15]
	s_delay_alu instid0(VALU_DEP_2)
	v_dual_cndmask_b32 v15, 0, v17 :: v_dual_cndmask_b32 v14, 0, v16
	global_store_b128 v[23:24], v[12:15], off
.LBB882_7:
	s_or_b32 exec_lo, exec_lo, s0
	v_add_nc_u32_e32 v3, 16, v21
	s_delay_alu instid0(VALU_DEP_1) | instskip(SKIP_2) | instid1(VALU_DEP_1)
	v_mad_i64_i32 v[12:13], null, v3, s3, 0
	v_cmp_gt_i32_e32 vcc_lo, s2, v3
	v_cmp_le_i32_e64 s0, v0, v3
	s_and_b32 s0, vcc_lo, s0
	s_delay_alu instid0(VALU_DEP_3) | instskip(NEXT) | instid1(VALU_DEP_1)
	v_lshlrev_b64 v[12:13], 4, v[12:13]
	v_add_co_u32 v12, s1, s16, v12
	s_delay_alu instid0(VALU_DEP_1)
	v_add_co_ci_u32_e64 v13, s1, s17, v13, s1
	s_and_saveexec_b32 s1, s0
	s_cbranch_execz .LBB882_9
; %bb.8:
	v_ashrrev_i32_e32 v1, 31, v0
	v_mul_f64 v[22:23], s[4:5], v[10:11]
	v_mul_f64 v[10:11], s[6:7], v[10:11]
	s_delay_alu instid0(VALU_DEP_3) | instskip(NEXT) | instid1(VALU_DEP_1)
	v_lshlrev_b64 v[14:15], 4, v[0:1]
	v_add_co_u32 v18, s0, v12, v14
	s_delay_alu instid0(VALU_DEP_1)
	v_add_co_ci_u32_e64 v19, s0, v13, v15, s0
	v_cmp_ne_u32_e64 s0, v3, v0
	global_load_b128 v[14:17], v[18:19], off
	v_fma_f64 v[22:23], s[6:7], v[8:9], v[22:23]
	v_fma_f64 v[8:9], s[4:5], v[8:9], -v[10:11]
	s_waitcnt vmcnt(0)
	v_mul_f64 v[24:25], s[8:9], v[16:17]
	v_mul_f64 v[16:17], s[10:11], v[16:17]
	s_delay_alu instid0(VALU_DEP_2) | instskip(NEXT) | instid1(VALU_DEP_2)
	v_fma_f64 v[24:25], s[10:11], v[14:15], v[24:25]
	v_fma_f64 v[10:11], s[8:9], v[14:15], -v[16:17]
	s_delay_alu instid0(VALU_DEP_2) | instskip(NEXT) | instid1(VALU_DEP_2)
	v_add_f64 v[14:15], v[22:23], v[24:25]
	v_add_f64 v[8:9], v[8:9], v[10:11]
	s_delay_alu instid0(VALU_DEP_2) | instskip(NEXT) | instid1(VALU_DEP_3)
	v_cndmask_b32_e64 v11, 0, v15, s0
	v_cndmask_b32_e64 v10, 0, v14, s0
	global_store_b128 v[18:19], v[8:11], off
.LBB882_9:
	s_or_b32 exec_lo, exec_lo, s1
	v_cmp_le_i32_e64 s0, v2, v3
	s_delay_alu instid0(VALU_DEP_1) | instskip(NEXT) | instid1(SALU_CYCLE_1)
	s_and_b32 s0, vcc_lo, s0
	s_and_saveexec_b32 s1, s0
	s_cbranch_execz .LBB882_11
; %bb.10:
	v_ashrrev_i32_e32 v3, 31, v2
	s_delay_alu instid0(VALU_DEP_1) | instskip(NEXT) | instid1(VALU_DEP_1)
	v_lshlrev_b64 v[1:2], 4, v[2:3]
	v_add_co_u32 v12, vcc_lo, v12, v1
	s_delay_alu instid0(VALU_DEP_2)
	v_add_co_ci_u32_e32 v13, vcc_lo, v13, v2, vcc_lo
	v_mul_f64 v[1:2], s[4:5], v[4:5]
	v_mul_f64 v[3:4], s[6:7], v[4:5]
	v_cmp_ne_u32_e32 vcc_lo, v21, v0
	global_load_b128 v[8:11], v[12:13], off
	v_fma_f64 v[1:2], s[6:7], v[6:7], v[1:2]
	v_fma_f64 v[3:4], s[4:5], v[6:7], -v[3:4]
	s_waitcnt vmcnt(0)
	v_mul_f64 v[14:15], s[8:9], v[10:11]
	v_mul_f64 v[10:11], s[10:11], v[10:11]
	s_delay_alu instid0(VALU_DEP_2) | instskip(NEXT) | instid1(VALU_DEP_2)
	v_fma_f64 v[14:15], s[10:11], v[8:9], v[14:15]
	v_fma_f64 v[5:6], s[8:9], v[8:9], -v[10:11]
	s_delay_alu instid0(VALU_DEP_2) | instskip(NEXT) | instid1(VALU_DEP_2)
	v_add_f64 v[7:8], v[1:2], v[14:15]
	v_add_f64 v[1:2], v[3:4], v[5:6]
	s_delay_alu instid0(VALU_DEP_2)
	v_dual_cndmask_b32 v4, 0, v8 :: v_dual_cndmask_b32 v3, 0, v7
	global_store_b128 v[12:13], v[1:4], off
.LBB882_11:
	s_nop 0
	s_sendmsg sendmsg(MSG_DEALLOC_VGPRS)
	s_endpgm
	.section	.rodata,"a",@progbits
	.p2align	6, 0x0
	.amdhsa_kernel _ZL37rocblas_syrkx_herkx_restricted_kernelIi19rocblas_complex_numIdELi16ELi32ELi8ELb0ELb1ELc84ELc85EKPKS1_KPS1_EviT_T0_PT8_S7_lSA_S7_lS8_PT9_S7_li
		.amdhsa_group_segment_fixed_size 8192
		.amdhsa_private_segment_fixed_size 0
		.amdhsa_kernarg_size 116
		.amdhsa_user_sgpr_count 13
		.amdhsa_user_sgpr_dispatch_ptr 0
		.amdhsa_user_sgpr_queue_ptr 0
		.amdhsa_user_sgpr_kernarg_segment_ptr 1
		.amdhsa_user_sgpr_dispatch_id 0
		.amdhsa_user_sgpr_private_segment_size 0
		.amdhsa_wavefront_size32 1
		.amdhsa_uses_dynamic_stack 0
		.amdhsa_enable_private_segment 0
		.amdhsa_system_sgpr_workgroup_id_x 1
		.amdhsa_system_sgpr_workgroup_id_y 1
		.amdhsa_system_sgpr_workgroup_id_z 1
		.amdhsa_system_sgpr_workgroup_info 0
		.amdhsa_system_vgpr_workitem_id 1
		.amdhsa_next_free_vgpr 118
		.amdhsa_next_free_sgpr 25
		.amdhsa_reserve_vcc 1
		.amdhsa_float_round_mode_32 0
		.amdhsa_float_round_mode_16_64 0
		.amdhsa_float_denorm_mode_32 3
		.amdhsa_float_denorm_mode_16_64 3
		.amdhsa_dx10_clamp 1
		.amdhsa_ieee_mode 1
		.amdhsa_fp16_overflow 0
		.amdhsa_workgroup_processor_mode 1
		.amdhsa_memory_ordered 1
		.amdhsa_forward_progress 0
		.amdhsa_shared_vgpr_count 0
		.amdhsa_exception_fp_ieee_invalid_op 0
		.amdhsa_exception_fp_denorm_src 0
		.amdhsa_exception_fp_ieee_div_zero 0
		.amdhsa_exception_fp_ieee_overflow 0
		.amdhsa_exception_fp_ieee_underflow 0
		.amdhsa_exception_fp_ieee_inexact 0
		.amdhsa_exception_int_div_zero 0
	.end_amdhsa_kernel
	.section	.text._ZL37rocblas_syrkx_herkx_restricted_kernelIi19rocblas_complex_numIdELi16ELi32ELi8ELb0ELb1ELc84ELc85EKPKS1_KPS1_EviT_T0_PT8_S7_lSA_S7_lS8_PT9_S7_li,"axG",@progbits,_ZL37rocblas_syrkx_herkx_restricted_kernelIi19rocblas_complex_numIdELi16ELi32ELi8ELb0ELb1ELc84ELc85EKPKS1_KPS1_EviT_T0_PT8_S7_lSA_S7_lS8_PT9_S7_li,comdat
.Lfunc_end882:
	.size	_ZL37rocblas_syrkx_herkx_restricted_kernelIi19rocblas_complex_numIdELi16ELi32ELi8ELb0ELb1ELc84ELc85EKPKS1_KPS1_EviT_T0_PT8_S7_lSA_S7_lS8_PT9_S7_li, .Lfunc_end882-_ZL37rocblas_syrkx_herkx_restricted_kernelIi19rocblas_complex_numIdELi16ELi32ELi8ELb0ELb1ELc84ELc85EKPKS1_KPS1_EviT_T0_PT8_S7_lSA_S7_lS8_PT9_S7_li
                                        ; -- End function
	.section	.AMDGPU.csdata,"",@progbits
; Kernel info:
; codeLenInByte = 3360
; NumSgprs: 27
; NumVgprs: 118
; ScratchSize: 0
; MemoryBound: 0
; FloatMode: 240
; IeeeMode: 1
; LDSByteSize: 8192 bytes/workgroup (compile time only)
; SGPRBlocks: 3
; VGPRBlocks: 14
; NumSGPRsForWavesPerEU: 27
; NumVGPRsForWavesPerEU: 118
; Occupancy: 12
; WaveLimiterHint : 1
; COMPUTE_PGM_RSRC2:SCRATCH_EN: 0
; COMPUTE_PGM_RSRC2:USER_SGPR: 13
; COMPUTE_PGM_RSRC2:TRAP_HANDLER: 0
; COMPUTE_PGM_RSRC2:TGID_X_EN: 1
; COMPUTE_PGM_RSRC2:TGID_Y_EN: 1
; COMPUTE_PGM_RSRC2:TGID_Z_EN: 1
; COMPUTE_PGM_RSRC2:TIDIG_COMP_CNT: 1
	.section	.text._ZL37rocblas_syrkx_herkx_restricted_kernelIi19rocblas_complex_numIdELi16ELi32ELi8ELb0ELb1ELc67ELc85EKPKS1_KPS1_EviT_T0_PT8_S7_lSA_S7_lS8_PT9_S7_li,"axG",@progbits,_ZL37rocblas_syrkx_herkx_restricted_kernelIi19rocblas_complex_numIdELi16ELi32ELi8ELb0ELb1ELc67ELc85EKPKS1_KPS1_EviT_T0_PT8_S7_lSA_S7_lS8_PT9_S7_li,comdat
	.globl	_ZL37rocblas_syrkx_herkx_restricted_kernelIi19rocblas_complex_numIdELi16ELi32ELi8ELb0ELb1ELc67ELc85EKPKS1_KPS1_EviT_T0_PT8_S7_lSA_S7_lS8_PT9_S7_li ; -- Begin function _ZL37rocblas_syrkx_herkx_restricted_kernelIi19rocblas_complex_numIdELi16ELi32ELi8ELb0ELb1ELc67ELc85EKPKS1_KPS1_EviT_T0_PT8_S7_lSA_S7_lS8_PT9_S7_li
	.p2align	8
	.type	_ZL37rocblas_syrkx_herkx_restricted_kernelIi19rocblas_complex_numIdELi16ELi32ELi8ELb0ELb1ELc67ELc85EKPKS1_KPS1_EviT_T0_PT8_S7_lSA_S7_lS8_PT9_S7_li,@function
_ZL37rocblas_syrkx_herkx_restricted_kernelIi19rocblas_complex_numIdELi16ELi32ELi8ELb0ELb1ELc67ELc85EKPKS1_KPS1_EviT_T0_PT8_S7_lSA_S7_lS8_PT9_S7_li: ; @_ZL37rocblas_syrkx_herkx_restricted_kernelIi19rocblas_complex_numIdELi16ELi32ELi8ELb0ELb1ELc67ELc85EKPKS1_KPS1_EviT_T0_PT8_S7_lSA_S7_lS8_PT9_S7_li
; %bb.0:
	s_load_b64 s[8:9], s[0:1], 0x58
	s_mov_b32 s18, s15
	s_mov_b32 s19, 0
	s_clause 0x1
	s_load_b64 s[2:3], s[0:1], 0x0
	s_load_b128 s[4:7], s[0:1], 0x8
	s_lshl_b64 s[20:21], s[18:19], 3
	v_mov_b32_e32 v16, 0
	v_dual_mov_b32 v17, 0 :: v_dual_and_b32 v20, 0x3ff, v0
	v_bfe_u32 v21, v0, 10, 10
	s_delay_alu instid0(VALU_DEP_3) | instskip(NEXT) | instid1(VALU_DEP_3)
	v_mov_b32_e32 v12, v16
	v_dual_mov_b32 v14, v16 :: v_dual_mov_b32 v15, v17
	v_dual_mov_b32 v19, v17 :: v_dual_mov_b32 v18, v16
	;; [unrolled: 1-line block ×5, first 2 shown]
	v_mov_b32_e32 v7, v17
	s_waitcnt lgkmcnt(0)
	s_add_u32 s16, s8, s20
	s_addc_u32 s17, s9, s21
	s_clause 0x1
	s_load_b64 s[22:23], s[0:1], 0x18
	s_load_b128 s[8:11], s[0:1], 0x48
	s_load_b64 s[16:17], s[16:17], 0x0
	v_dual_mov_b32 v4, v16 :: v_dual_mov_b32 v5, v17
	s_lshl_b32 s12, s13, 5
	s_lshl_b32 s13, s14, 5
	s_cmp_lt_i32 s3, 1
	s_cbranch_scc1 .LBB883_3
; %bb.1:
	s_clause 0x2
	s_load_b64 s[14:15], s[0:1], 0x30
	s_load_b32 s18, s[0:1], 0x20
	s_load_b32 s24, s[0:1], 0x38
	v_lshl_add_u32 v2, v21, 4, v20
	v_dual_mov_b32 v1, 0 :: v_dual_and_b32 v0, 7, v20
	s_waitcnt lgkmcnt(0)
	s_add_u32 s22, s22, s20
	v_lshlrev_b32_e32 v22, 4, v20
	v_and_b32_e32 v10, 31, v2
	s_addc_u32 s23, s23, s21
	v_lshrrev_b32_e32 v11, 3, v2
	v_lshrrev_b32_e32 v2, 5, v2
	s_delay_alu instid0(VALU_DEP_3)
	v_dual_mov_b32 v3, v1 :: v_dual_add_nc_u32 v4, s12, v10
	s_load_b64 s[22:23], s[22:23], 0x0
	v_lshl_add_u32 v23, v21, 7, 0x1000
	s_add_u32 s14, s14, s20
	s_addc_u32 s15, s15, s21
	v_mad_i64_i32 v[6:7], null, s18, v4, v[2:3]
	s_load_b64 s[14:15], s[14:15], 0x0
	v_dual_mov_b32 v4, 0 :: v_dual_lshlrev_b32 v3, 4, v0
	v_dual_mov_b32 v5, 0 :: v_dual_add_nc_u32 v12, s13, v11
	v_lshlrev_b32_e32 v10, 4, v10
	s_delay_alu instid0(VALU_DEP_3) | instskip(NEXT) | instid1(VALU_DEP_3)
	v_lshl_or_b32 v3, v11, 7, v3
	v_mov_b32_e32 v15, v5
	s_delay_alu instid0(VALU_DEP_4)
	v_mad_i64_i32 v[8:9], null, s24, v12, v[0:1]
	v_lshlrev_b64 v[0:1], 4, v[6:7]
	v_dual_mov_b32 v7, v5 :: v_dual_mov_b32 v6, v4
	v_add_nc_u32_e32 v25, 0x1000, v3
	v_lshl_or_b32 v24, v2, 9, v10
	v_dual_mov_b32 v14, v4 :: v_dual_mov_b32 v13, v5
	v_lshlrev_b64 v[2:3], 4, v[8:9]
	s_waitcnt lgkmcnt(0)
	v_add_co_u32 v0, vcc_lo, v0, s22
	v_add_co_ci_u32_e32 v1, vcc_lo, s23, v1, vcc_lo
	v_mov_b32_e32 v9, v5
	s_delay_alu instid0(VALU_DEP_4)
	v_add_co_u32 v2, vcc_lo, v2, s14
	v_add_co_ci_u32_e32 v3, vcc_lo, s15, v3, vcc_lo
	v_add_co_u32 v0, vcc_lo, v0, 8
	v_mov_b32_e32 v8, v4
	v_add_co_ci_u32_e32 v1, vcc_lo, 0, v1, vcc_lo
	v_add_co_u32 v2, vcc_lo, v2, 8
	v_dual_mov_b32 v12, v4 :: v_dual_mov_b32 v19, v5
	v_dual_mov_b32 v18, v4 :: v_dual_mov_b32 v17, v5
	v_add_co_ci_u32_e32 v3, vcc_lo, 0, v3, vcc_lo
	v_dual_mov_b32 v11, v5 :: v_dual_mov_b32 v10, v4
	v_mov_b32_e32 v16, v4
.LBB883_2:                              ; =>This Inner Loop Header: Depth=1
	global_load_b128 v[26:29], v[0:1], off offset:-8
	global_load_b128 v[30:33], v[2:3], off offset:-8
	v_add_co_u32 v0, vcc_lo, 0x80, v0
	v_add_co_ci_u32_e32 v1, vcc_lo, 0, v1, vcc_lo
	v_add_co_u32 v2, vcc_lo, 0x80, v2
	v_add_co_ci_u32_e32 v3, vcc_lo, 0, v3, vcc_lo
	s_add_i32 s19, s19, 8
	s_delay_alu instid0(SALU_CYCLE_1)
	s_cmp_ge_i32 s19, s3
	s_waitcnt vmcnt(1)
	v_xor_b32_e32 v29, 0x80000000, v29
	ds_store_b128 v24, v[26:29]
	s_waitcnt vmcnt(0)
	ds_store_b128 v25, v[30:33]
	s_waitcnt lgkmcnt(0)
	s_barrier
	buffer_gl0_inv
	ds_load_b128 v[26:29], v23
	ds_load_b128 v[30:33], v22
	ds_load_b128 v[34:37], v22 offset:256
	ds_load_b128 v[38:41], v23 offset:2048
	;; [unrolled: 1-line block ×13, first 2 shown]
	s_waitcnt lgkmcnt(13)
	v_mul_f64 v[86:87], v[28:29], v[32:33]
	v_mul_f64 v[88:89], v[26:27], v[32:33]
	s_waitcnt lgkmcnt(12)
	v_mul_f64 v[90:91], v[28:29], v[36:37]
	v_mul_f64 v[92:93], v[26:27], v[36:37]
	;; [unrolled: 3-line block ×3, first 2 shown]
	v_mul_f64 v[96:97], v[40:41], v[36:37]
	v_mul_f64 v[36:37], v[38:39], v[36:37]
	s_waitcnt lgkmcnt(8)
	v_mul_f64 v[98:99], v[44:45], v[52:53]
	v_mul_f64 v[100:101], v[42:43], v[52:53]
	s_waitcnt lgkmcnt(7)
	v_mul_f64 v[102:103], v[44:45], v[56:57]
	v_mul_f64 v[104:105], v[42:43], v[56:57]
	;; [unrolled: 1-line block ×6, first 2 shown]
	s_waitcnt lgkmcnt(3)
	v_mul_f64 v[112:113], v[58:59], v[72:73]
	s_waitcnt lgkmcnt(2)
	v_mul_f64 v[114:115], v[76:77], v[68:69]
	v_mul_f64 v[116:117], v[76:77], v[72:73]
	v_fma_f64 v[86:87], v[26:27], v[30:31], -v[86:87]
	v_fma_f64 v[88:89], v[28:29], v[30:31], v[88:89]
	v_fma_f64 v[90:91], v[26:27], v[34:35], -v[90:91]
	v_fma_f64 v[92:93], v[28:29], v[34:35], v[92:93]
	v_fma_f64 v[94:95], v[38:39], v[30:31], -v[94:95]
	v_fma_f64 v[110:111], v[40:41], v[30:31], v[32:33]
	v_fma_f64 v[38:39], v[38:39], v[34:35], -v[96:97]
	v_fma_f64 v[34:35], v[40:41], v[34:35], v[36:37]
	v_mul_f64 v[36:37], v[60:61], v[68:69]
	v_mul_f64 v[40:41], v[58:59], v[68:69]
	;; [unrolled: 1-line block ×5, first 2 shown]
	v_fma_f64 v[98:99], v[42:43], v[50:51], -v[98:99]
	v_fma_f64 v[100:101], v[44:45], v[50:51], v[100:101]
	v_fma_f64 v[42:43], v[42:43], v[54:55], -v[102:103]
	v_fma_f64 v[44:45], v[44:45], v[54:55], v[104:105]
	;; [unrolled: 2-line block ×4, first 2 shown]
	ds_load_b128 v[26:29], v22 offset:1792
	ds_load_b128 v[30:33], v22 offset:2048
	s_waitcnt lgkmcnt(2)
	v_mul_f64 v[56:57], v[64:65], v[84:85]
	v_add_f64 v[16:17], v[16:17], v[86:87]
	v_add_f64 v[18:19], v[18:19], v[88:89]
	;; [unrolled: 1-line block ×8, first 2 shown]
	v_mul_f64 v[86:87], v[62:63], v[84:85]
	s_waitcnt lgkmcnt(1)
	v_mul_f64 v[88:89], v[64:65], v[28:29]
	v_mul_f64 v[90:91], v[62:63], v[28:29]
	;; [unrolled: 1-line block ×6, first 2 shown]
	v_fma_f64 v[104:105], v[58:59], v[66:67], -v[36:37]
	v_fma_f64 v[106:107], v[60:61], v[66:67], v[40:41]
	v_fma_f64 v[58:59], v[58:59], v[70:71], -v[96:97]
	v_fma_f64 v[60:61], v[60:61], v[70:71], v[112:113]
	;; [unrolled: 2-line block ×4, first 2 shown]
	ds_load_b128 v[4:7], v22 offset:2304
	ds_load_b128 v[8:11], v23 offset:64
	v_fma_f64 v[56:57], v[62:63], v[82:83], -v[56:57]
	v_add_f64 v[72:73], v[16:17], v[98:99]
	v_add_f64 v[74:75], v[18:19], v[100:101]
	;; [unrolled: 1-line block ×8, first 2 shown]
	ds_load_b128 v[12:15], v23 offset:2112
	ds_load_b128 v[16:19], v23 offset:80
	;; [unrolled: 1-line block ×4, first 2 shown]
	s_waitcnt lgkmcnt(4)
	v_mul_f64 v[54:55], v[10:11], v[32:33]
	v_mul_f64 v[76:77], v[8:9], v[32:33]
	;; [unrolled: 1-line block ×4, first 2 shown]
	v_fma_f64 v[86:87], v[64:65], v[82:83], v[86:87]
	v_fma_f64 v[62:63], v[62:63], v[26:27], -v[88:89]
	v_fma_f64 v[64:65], v[64:65], v[26:27], v[90:91]
	v_fma_f64 v[88:89], v[78:79], v[82:83], -v[92:93]
	;; [unrolled: 2-line block ×3, first 2 shown]
	v_fma_f64 v[80:81], v[80:81], v[26:27], v[28:29]
	s_waitcnt lgkmcnt(3)
	v_mul_f64 v[102:103], v[14:15], v[32:33]
	v_mul_f64 v[32:33], v[12:13], v[32:33]
	;; [unrolled: 1-line block ×4, first 2 shown]
	s_waitcnt lgkmcnt(0)
	v_mul_f64 v[90:91], v[18:19], v[40:41]
	v_mul_f64 v[92:93], v[16:17], v[40:41]
	v_add_f64 v[72:73], v[72:73], v[104:105]
	v_add_f64 v[74:75], v[74:75], v[106:107]
	;; [unrolled: 1-line block ×8, first 2 shown]
	ds_load_b128 v[26:29], v22 offset:2816
	ds_load_b128 v[42:45], v22 offset:3072
	;; [unrolled: 1-line block ×4, first 2 shown]
	v_mul_f64 v[104:105], v[36:37], v[40:41]
	v_mul_f64 v[40:41], v[34:35], v[40:41]
	v_fma_f64 v[54:55], v[8:9], v[30:31], -v[54:55]
	v_fma_f64 v[76:77], v[10:11], v[30:31], v[76:77]
	v_fma_f64 v[98:99], v[8:9], v[4:5], -v[98:99]
	v_fma_f64 v[100:101], v[10:11], v[4:5], v[100:101]
	s_waitcnt lgkmcnt(3)
	v_mul_f64 v[94:95], v[18:19], v[28:29]
	v_mul_f64 v[96:97], v[16:17], v[28:29]
	;; [unrolled: 1-line block ×4, first 2 shown]
	v_fma_f64 v[102:103], v[12:13], v[30:31], -v[102:103]
	v_fma_f64 v[32:33], v[14:15], v[30:31], v[32:33]
	v_fma_f64 v[108:109], v[12:13], v[4:5], -v[108:109]
	v_fma_f64 v[112:113], v[14:15], v[4:5], v[6:7]
	ds_load_b128 v[4:7], v23 offset:2144
	ds_load_b128 v[8:11], v23 offset:112
	;; [unrolled: 1-line block ×4, first 2 shown]
	v_add_f64 v[56:57], v[72:73], v[56:57]
	v_add_f64 v[72:73], v[74:75], v[86:87]
	;; [unrolled: 1-line block ×8, first 2 shown]
	s_waitcnt lgkmcnt(4)
	v_mul_f64 v[70:71], v[52:53], v[44:45]
	v_mul_f64 v[74:75], v[50:51], v[44:45]
	;; [unrolled: 1-line block ×4, first 2 shown]
	s_waitcnt lgkmcnt(3)
	v_mul_f64 v[82:83], v[6:7], v[44:45]
	v_mul_f64 v[44:45], v[4:5], v[44:45]
	;; [unrolled: 1-line block ×4, first 2 shown]
	v_fma_f64 v[86:87], v[16:17], v[38:39], -v[90:91]
	v_fma_f64 v[88:89], v[18:19], v[38:39], v[92:93]
	v_fma_f64 v[90:91], v[16:17], v[26:27], -v[94:95]
	v_fma_f64 v[92:93], v[18:19], v[26:27], v[96:97]
	;; [unrolled: 2-line block ×4, first 2 shown]
	ds_load_b128 v[16:19], v22 offset:3840
	s_waitcnt lgkmcnt(0)
	s_barrier
	buffer_gl0_inv
	v_add_f64 v[36:37], v[56:57], v[54:55]
	v_add_f64 v[40:41], v[72:73], v[76:77]
	;; [unrolled: 1-line block ×8, first 2 shown]
	v_mul_f64 v[64:65], v[10:11], v[30:31]
	v_mul_f64 v[66:67], v[8:9], v[30:31]
	;; [unrolled: 1-line block ×4, first 2 shown]
	v_fma_f64 v[70:71], v[50:51], v[42:43], -v[70:71]
	v_mul_f64 v[68:69], v[10:11], v[18:19]
	v_mul_f64 v[72:73], v[8:9], v[18:19]
	;; [unrolled: 1-line block ×4, first 2 shown]
	v_fma_f64 v[74:75], v[52:53], v[42:43], v[74:75]
	v_fma_f64 v[50:51], v[50:51], v[46:47], -v[78:79]
	v_fma_f64 v[52:53], v[52:53], v[46:47], v[80:81]
	v_fma_f64 v[78:79], v[4:5], v[42:43], -v[82:83]
	;; [unrolled: 2-line block ×3, first 2 shown]
	v_fma_f64 v[6:7], v[6:7], v[46:47], v[48:49]
	v_add_f64 v[36:37], v[36:37], v[86:87]
	v_add_f64 v[40:41], v[40:41], v[88:89]
	;; [unrolled: 1-line block ×8, first 2 shown]
	v_fma_f64 v[38:39], v[8:9], v[28:29], -v[64:65]
	v_fma_f64 v[54:55], v[10:11], v[28:29], v[66:67]
	v_fma_f64 v[56:57], v[12:13], v[28:29], -v[76:77]
	v_fma_f64 v[28:29], v[14:15], v[28:29], v[30:31]
	;; [unrolled: 2-line block ×4, first 2 shown]
	v_add_f64 v[12:13], v[36:37], v[70:71]
	v_add_f64 v[14:15], v[40:41], v[74:75]
	;; [unrolled: 1-line block ×16, first 2 shown]
	s_cbranch_scc0 .LBB883_2
.LBB883_3:
	s_load_b32 s3, s[0:1], 0x60
	v_add_nc_u32_e32 v21, s13, v21
	v_add_nc_u32_e32 v0, s12, v20
	s_delay_alu instid0(VALU_DEP_2) | instskip(NEXT) | instid1(VALU_DEP_2)
	v_cmp_gt_i32_e32 vcc_lo, s2, v21
	v_cmp_le_i32_e64 s0, v0, v21
	s_delay_alu instid0(VALU_DEP_1) | instskip(SKIP_2) | instid1(VALU_DEP_1)
	s_and_b32 s0, vcc_lo, s0
	s_waitcnt lgkmcnt(0)
	v_mad_i64_i32 v[1:2], null, v21, s3, 0
	v_lshlrev_b64 v[1:2], 4, v[1:2]
	s_delay_alu instid0(VALU_DEP_1) | instskip(NEXT) | instid1(VALU_DEP_1)
	v_add_co_u32 v20, s1, s16, v1
	v_add_co_ci_u32_e64 v22, s1, s17, v2, s1
	s_and_saveexec_b32 s1, s0
	s_cbranch_execz .LBB883_5
; %bb.4:
	v_ashrrev_i32_e32 v1, 31, v0
	v_mul_f64 v[27:28], s[4:5], v[18:19]
	v_mul_f64 v[18:19], s[6:7], v[18:19]
	s_delay_alu instid0(VALU_DEP_3) | instskip(NEXT) | instid1(VALU_DEP_1)
	v_lshlrev_b64 v[1:2], 4, v[0:1]
	v_add_co_u32 v1, s0, v20, v1
	s_delay_alu instid0(VALU_DEP_1)
	v_add_co_ci_u32_e64 v2, s0, v22, v2, s0
	v_cmp_ne_u32_e64 s0, v21, v0
	global_load_b128 v[23:26], v[1:2], off
	v_fma_f64 v[27:28], s[6:7], v[16:17], v[27:28]
	v_fma_f64 v[16:17], s[4:5], v[16:17], -v[18:19]
	s_waitcnt vmcnt(0)
	v_mul_f64 v[29:30], s[8:9], v[25:26]
	v_mul_f64 v[25:26], s[10:11], v[25:26]
	s_delay_alu instid0(VALU_DEP_2) | instskip(NEXT) | instid1(VALU_DEP_2)
	v_fma_f64 v[29:30], s[10:11], v[23:24], v[29:30]
	v_fma_f64 v[18:19], s[8:9], v[23:24], -v[25:26]
	s_delay_alu instid0(VALU_DEP_2) | instskip(NEXT) | instid1(VALU_DEP_2)
	v_add_f64 v[23:24], v[27:28], v[29:30]
	v_add_f64 v[16:17], v[16:17], v[18:19]
	s_delay_alu instid0(VALU_DEP_2) | instskip(NEXT) | instid1(VALU_DEP_3)
	v_cndmask_b32_e64 v19, 0, v24, s0
	v_cndmask_b32_e64 v18, 0, v23, s0
	global_store_b128 v[1:2], v[16:19], off
.LBB883_5:
	s_or_b32 exec_lo, exec_lo, s1
	v_add_nc_u32_e32 v2, 16, v0
	s_delay_alu instid0(VALU_DEP_1) | instskip(NEXT) | instid1(VALU_DEP_1)
	v_cmp_le_i32_e64 s0, v2, v21
	s_and_b32 s1, vcc_lo, s0
	s_delay_alu instid0(SALU_CYCLE_1)
	s_and_saveexec_b32 s0, s1
	s_cbranch_execz .LBB883_7
; %bb.6:
	v_ashrrev_i32_e32 v3, 31, v2
	v_mul_f64 v[25:26], s[4:5], v[14:15]
	v_mul_f64 v[14:15], s[6:7], v[14:15]
	s_delay_alu instid0(VALU_DEP_3) | instskip(NEXT) | instid1(VALU_DEP_1)
	v_lshlrev_b64 v[16:17], 4, v[2:3]
	v_add_co_u32 v23, vcc_lo, v20, v16
	s_delay_alu instid0(VALU_DEP_2)
	v_add_co_ci_u32_e32 v24, vcc_lo, v22, v17, vcc_lo
	v_cmp_ne_u32_e32 vcc_lo, v21, v2
	global_load_b128 v[16:19], v[23:24], off
	v_fma_f64 v[25:26], s[6:7], v[12:13], v[25:26]
	v_fma_f64 v[12:13], s[4:5], v[12:13], -v[14:15]
	s_waitcnt vmcnt(0)
	v_mul_f64 v[27:28], s[8:9], v[18:19]
	v_mul_f64 v[18:19], s[10:11], v[18:19]
	s_delay_alu instid0(VALU_DEP_2) | instskip(NEXT) | instid1(VALU_DEP_2)
	v_fma_f64 v[27:28], s[10:11], v[16:17], v[27:28]
	v_fma_f64 v[14:15], s[8:9], v[16:17], -v[18:19]
	s_delay_alu instid0(VALU_DEP_2) | instskip(NEXT) | instid1(VALU_DEP_2)
	v_add_f64 v[16:17], v[25:26], v[27:28]
	v_add_f64 v[12:13], v[12:13], v[14:15]
	s_delay_alu instid0(VALU_DEP_2)
	v_dual_cndmask_b32 v15, 0, v17 :: v_dual_cndmask_b32 v14, 0, v16
	global_store_b128 v[23:24], v[12:15], off
.LBB883_7:
	s_or_b32 exec_lo, exec_lo, s0
	v_add_nc_u32_e32 v3, 16, v21
	s_delay_alu instid0(VALU_DEP_1) | instskip(SKIP_2) | instid1(VALU_DEP_1)
	v_mad_i64_i32 v[12:13], null, v3, s3, 0
	v_cmp_gt_i32_e32 vcc_lo, s2, v3
	v_cmp_le_i32_e64 s0, v0, v3
	s_and_b32 s0, vcc_lo, s0
	s_delay_alu instid0(VALU_DEP_3) | instskip(NEXT) | instid1(VALU_DEP_1)
	v_lshlrev_b64 v[12:13], 4, v[12:13]
	v_add_co_u32 v12, s1, s16, v12
	s_delay_alu instid0(VALU_DEP_1)
	v_add_co_ci_u32_e64 v13, s1, s17, v13, s1
	s_and_saveexec_b32 s1, s0
	s_cbranch_execz .LBB883_9
; %bb.8:
	v_ashrrev_i32_e32 v1, 31, v0
	v_mul_f64 v[22:23], s[4:5], v[10:11]
	v_mul_f64 v[10:11], s[6:7], v[10:11]
	s_delay_alu instid0(VALU_DEP_3) | instskip(NEXT) | instid1(VALU_DEP_1)
	v_lshlrev_b64 v[14:15], 4, v[0:1]
	v_add_co_u32 v18, s0, v12, v14
	s_delay_alu instid0(VALU_DEP_1)
	v_add_co_ci_u32_e64 v19, s0, v13, v15, s0
	v_cmp_ne_u32_e64 s0, v3, v0
	global_load_b128 v[14:17], v[18:19], off
	v_fma_f64 v[22:23], s[6:7], v[8:9], v[22:23]
	v_fma_f64 v[8:9], s[4:5], v[8:9], -v[10:11]
	s_waitcnt vmcnt(0)
	v_mul_f64 v[24:25], s[8:9], v[16:17]
	v_mul_f64 v[16:17], s[10:11], v[16:17]
	s_delay_alu instid0(VALU_DEP_2) | instskip(NEXT) | instid1(VALU_DEP_2)
	v_fma_f64 v[24:25], s[10:11], v[14:15], v[24:25]
	v_fma_f64 v[10:11], s[8:9], v[14:15], -v[16:17]
	s_delay_alu instid0(VALU_DEP_2) | instskip(NEXT) | instid1(VALU_DEP_2)
	v_add_f64 v[14:15], v[22:23], v[24:25]
	v_add_f64 v[8:9], v[8:9], v[10:11]
	s_delay_alu instid0(VALU_DEP_2) | instskip(NEXT) | instid1(VALU_DEP_3)
	v_cndmask_b32_e64 v11, 0, v15, s0
	v_cndmask_b32_e64 v10, 0, v14, s0
	global_store_b128 v[18:19], v[8:11], off
.LBB883_9:
	s_or_b32 exec_lo, exec_lo, s1
	v_cmp_le_i32_e64 s0, v2, v3
	s_delay_alu instid0(VALU_DEP_1) | instskip(NEXT) | instid1(SALU_CYCLE_1)
	s_and_b32 s0, vcc_lo, s0
	s_and_saveexec_b32 s1, s0
	s_cbranch_execz .LBB883_11
; %bb.10:
	v_ashrrev_i32_e32 v3, 31, v2
	s_delay_alu instid0(VALU_DEP_1) | instskip(NEXT) | instid1(VALU_DEP_1)
	v_lshlrev_b64 v[1:2], 4, v[2:3]
	v_add_co_u32 v12, vcc_lo, v12, v1
	s_delay_alu instid0(VALU_DEP_2)
	v_add_co_ci_u32_e32 v13, vcc_lo, v13, v2, vcc_lo
	v_mul_f64 v[1:2], s[4:5], v[4:5]
	v_mul_f64 v[3:4], s[6:7], v[4:5]
	v_cmp_ne_u32_e32 vcc_lo, v21, v0
	global_load_b128 v[8:11], v[12:13], off
	v_fma_f64 v[1:2], s[6:7], v[6:7], v[1:2]
	v_fma_f64 v[3:4], s[4:5], v[6:7], -v[3:4]
	s_waitcnt vmcnt(0)
	v_mul_f64 v[14:15], s[8:9], v[10:11]
	v_mul_f64 v[10:11], s[10:11], v[10:11]
	s_delay_alu instid0(VALU_DEP_2) | instskip(NEXT) | instid1(VALU_DEP_2)
	v_fma_f64 v[14:15], s[10:11], v[8:9], v[14:15]
	v_fma_f64 v[5:6], s[8:9], v[8:9], -v[10:11]
	s_delay_alu instid0(VALU_DEP_2) | instskip(NEXT) | instid1(VALU_DEP_2)
	v_add_f64 v[7:8], v[1:2], v[14:15]
	v_add_f64 v[1:2], v[3:4], v[5:6]
	s_delay_alu instid0(VALU_DEP_2)
	v_dual_cndmask_b32 v4, 0, v8 :: v_dual_cndmask_b32 v3, 0, v7
	global_store_b128 v[12:13], v[1:4], off
.LBB883_11:
	s_nop 0
	s_sendmsg sendmsg(MSG_DEALLOC_VGPRS)
	s_endpgm
	.section	.rodata,"a",@progbits
	.p2align	6, 0x0
	.amdhsa_kernel _ZL37rocblas_syrkx_herkx_restricted_kernelIi19rocblas_complex_numIdELi16ELi32ELi8ELb0ELb1ELc67ELc85EKPKS1_KPS1_EviT_T0_PT8_S7_lSA_S7_lS8_PT9_S7_li
		.amdhsa_group_segment_fixed_size 8192
		.amdhsa_private_segment_fixed_size 0
		.amdhsa_kernarg_size 116
		.amdhsa_user_sgpr_count 13
		.amdhsa_user_sgpr_dispatch_ptr 0
		.amdhsa_user_sgpr_queue_ptr 0
		.amdhsa_user_sgpr_kernarg_segment_ptr 1
		.amdhsa_user_sgpr_dispatch_id 0
		.amdhsa_user_sgpr_private_segment_size 0
		.amdhsa_wavefront_size32 1
		.amdhsa_uses_dynamic_stack 0
		.amdhsa_enable_private_segment 0
		.amdhsa_system_sgpr_workgroup_id_x 1
		.amdhsa_system_sgpr_workgroup_id_y 1
		.amdhsa_system_sgpr_workgroup_id_z 1
		.amdhsa_system_sgpr_workgroup_info 0
		.amdhsa_system_vgpr_workitem_id 1
		.amdhsa_next_free_vgpr 118
		.amdhsa_next_free_sgpr 25
		.amdhsa_reserve_vcc 1
		.amdhsa_float_round_mode_32 0
		.amdhsa_float_round_mode_16_64 0
		.amdhsa_float_denorm_mode_32 3
		.amdhsa_float_denorm_mode_16_64 3
		.amdhsa_dx10_clamp 1
		.amdhsa_ieee_mode 1
		.amdhsa_fp16_overflow 0
		.amdhsa_workgroup_processor_mode 1
		.amdhsa_memory_ordered 1
		.amdhsa_forward_progress 0
		.amdhsa_shared_vgpr_count 0
		.amdhsa_exception_fp_ieee_invalid_op 0
		.amdhsa_exception_fp_denorm_src 0
		.amdhsa_exception_fp_ieee_div_zero 0
		.amdhsa_exception_fp_ieee_overflow 0
		.amdhsa_exception_fp_ieee_underflow 0
		.amdhsa_exception_fp_ieee_inexact 0
		.amdhsa_exception_int_div_zero 0
	.end_amdhsa_kernel
	.section	.text._ZL37rocblas_syrkx_herkx_restricted_kernelIi19rocblas_complex_numIdELi16ELi32ELi8ELb0ELb1ELc67ELc85EKPKS1_KPS1_EviT_T0_PT8_S7_lSA_S7_lS8_PT9_S7_li,"axG",@progbits,_ZL37rocblas_syrkx_herkx_restricted_kernelIi19rocblas_complex_numIdELi16ELi32ELi8ELb0ELb1ELc67ELc85EKPKS1_KPS1_EviT_T0_PT8_S7_lSA_S7_lS8_PT9_S7_li,comdat
.Lfunc_end883:
	.size	_ZL37rocblas_syrkx_herkx_restricted_kernelIi19rocblas_complex_numIdELi16ELi32ELi8ELb0ELb1ELc67ELc85EKPKS1_KPS1_EviT_T0_PT8_S7_lSA_S7_lS8_PT9_S7_li, .Lfunc_end883-_ZL37rocblas_syrkx_herkx_restricted_kernelIi19rocblas_complex_numIdELi16ELi32ELi8ELb0ELb1ELc67ELc85EKPKS1_KPS1_EviT_T0_PT8_S7_lSA_S7_lS8_PT9_S7_li
                                        ; -- End function
	.section	.AMDGPU.csdata,"",@progbits
; Kernel info:
; codeLenInByte = 3372
; NumSgprs: 27
; NumVgprs: 118
; ScratchSize: 0
; MemoryBound: 0
; FloatMode: 240
; IeeeMode: 1
; LDSByteSize: 8192 bytes/workgroup (compile time only)
; SGPRBlocks: 3
; VGPRBlocks: 14
; NumSGPRsForWavesPerEU: 27
; NumVGPRsForWavesPerEU: 118
; Occupancy: 12
; WaveLimiterHint : 1
; COMPUTE_PGM_RSRC2:SCRATCH_EN: 0
; COMPUTE_PGM_RSRC2:USER_SGPR: 13
; COMPUTE_PGM_RSRC2:TRAP_HANDLER: 0
; COMPUTE_PGM_RSRC2:TGID_X_EN: 1
; COMPUTE_PGM_RSRC2:TGID_Y_EN: 1
; COMPUTE_PGM_RSRC2:TGID_Z_EN: 1
; COMPUTE_PGM_RSRC2:TIDIG_COMP_CNT: 1
	.section	.text._ZL37rocblas_syrkx_herkx_restricted_kernelIi19rocblas_complex_numIdELi16ELi32ELi8ELb0ELb1ELc78ELc85EKPKS1_KPS1_EviT_T0_PT8_S7_lSA_S7_lS8_PT9_S7_li,"axG",@progbits,_ZL37rocblas_syrkx_herkx_restricted_kernelIi19rocblas_complex_numIdELi16ELi32ELi8ELb0ELb1ELc78ELc85EKPKS1_KPS1_EviT_T0_PT8_S7_lSA_S7_lS8_PT9_S7_li,comdat
	.globl	_ZL37rocblas_syrkx_herkx_restricted_kernelIi19rocblas_complex_numIdELi16ELi32ELi8ELb0ELb1ELc78ELc85EKPKS1_KPS1_EviT_T0_PT8_S7_lSA_S7_lS8_PT9_S7_li ; -- Begin function _ZL37rocblas_syrkx_herkx_restricted_kernelIi19rocblas_complex_numIdELi16ELi32ELi8ELb0ELb1ELc78ELc85EKPKS1_KPS1_EviT_T0_PT8_S7_lSA_S7_lS8_PT9_S7_li
	.p2align	8
	.type	_ZL37rocblas_syrkx_herkx_restricted_kernelIi19rocblas_complex_numIdELi16ELi32ELi8ELb0ELb1ELc78ELc85EKPKS1_KPS1_EviT_T0_PT8_S7_lSA_S7_lS8_PT9_S7_li,@function
_ZL37rocblas_syrkx_herkx_restricted_kernelIi19rocblas_complex_numIdELi16ELi32ELi8ELb0ELb1ELc78ELc85EKPKS1_KPS1_EviT_T0_PT8_S7_lSA_S7_lS8_PT9_S7_li: ; @_ZL37rocblas_syrkx_herkx_restricted_kernelIi19rocblas_complex_numIdELi16ELi32ELi8ELb0ELb1ELc78ELc85EKPKS1_KPS1_EviT_T0_PT8_S7_lSA_S7_lS8_PT9_S7_li
; %bb.0:
	s_load_b64 s[8:9], s[0:1], 0x58
	s_mov_b32 s18, s15
	s_mov_b32 s19, 0
	s_clause 0x1
	s_load_b64 s[2:3], s[0:1], 0x0
	s_load_b128 s[4:7], s[0:1], 0x8
	s_lshl_b64 s[20:21], s[18:19], 3
	v_mov_b32_e32 v16, 0
	v_dual_mov_b32 v17, 0 :: v_dual_and_b32 v20, 0x3ff, v0
	v_bfe_u32 v21, v0, 10, 10
	s_delay_alu instid0(VALU_DEP_3) | instskip(NEXT) | instid1(VALU_DEP_3)
	v_mov_b32_e32 v12, v16
	v_dual_mov_b32 v14, v16 :: v_dual_mov_b32 v15, v17
	v_dual_mov_b32 v19, v17 :: v_dual_mov_b32 v18, v16
	;; [unrolled: 1-line block ×5, first 2 shown]
	v_mov_b32_e32 v7, v17
	s_waitcnt lgkmcnt(0)
	s_add_u32 s16, s8, s20
	s_addc_u32 s17, s9, s21
	s_clause 0x1
	s_load_b64 s[22:23], s[0:1], 0x18
	s_load_b128 s[8:11], s[0:1], 0x48
	s_load_b64 s[16:17], s[16:17], 0x0
	v_dual_mov_b32 v4, v16 :: v_dual_mov_b32 v5, v17
	s_lshl_b32 s18, s13, 5
	s_lshl_b32 s24, s14, 5
	s_cmp_lt_i32 s3, 1
	s_cbranch_scc1 .LBB884_3
; %bb.1:
	s_clause 0x2
	s_load_b32 s12, s[0:1], 0x20
	s_load_b32 s14, s[0:1], 0x38
	s_load_b64 s[26:27], s[0:1], 0x30
	v_lshl_add_u32 v0, v21, 4, v20
	v_mov_b32_e32 v4, 0
	v_dual_mov_b32 v5, 0 :: v_dual_and_b32 v6, 7, v20
	v_lshlrev_b32_e32 v22, 4, v20
	s_delay_alu instid0(VALU_DEP_4) | instskip(SKIP_3) | instid1(VALU_DEP_4)
	v_and_b32_e32 v10, 31, v0
	v_lshrrev_b32_e32 v7, 3, v0
	v_lshrrev_b32_e32 v11, 5, v0
	v_dual_mov_b32 v19, v5 :: v_dual_lshlrev_b32 v12, 4, v6
	v_dual_mov_b32 v15, v5 :: v_dual_add_nc_u32 v2, s18, v10
	s_delay_alu instid0(VALU_DEP_4) | instskip(NEXT) | instid1(VALU_DEP_3)
	v_add_nc_u32_e32 v0, s24, v7
	v_lshl_or_b32 v12, v7, 7, v12
	v_lshl_add_u32 v23, v21, 7, 0x1000
	s_delay_alu instid0(VALU_DEP_4)
	v_ashrrev_i32_e32 v3, 31, v2
	v_mov_b32_e32 v14, v4
	s_waitcnt lgkmcnt(0)
	s_ashr_i32 s13, s12, 31
	s_ashr_i32 s15, s14, 31
	s_add_u32 s22, s22, s20
	s_addc_u32 s23, s23, s21
	s_add_u32 s20, s26, s20
	s_load_b64 s[22:23], s[22:23], 0x0
	s_addc_u32 s21, s27, s21
	v_ashrrev_i32_e32 v1, 31, v0
	s_load_b64 s[20:21], s[20:21], 0x0
	v_mad_i64_i32 v[8:9], null, s12, v11, v[2:3]
	v_add_nc_u32_e32 v25, 0x1000, v12
	s_delay_alu instid0(VALU_DEP_3)
	v_mad_i64_i32 v[2:3], null, s14, v6, v[0:1]
	v_dual_mov_b32 v7, v5 :: v_dual_lshlrev_b32 v10, 4, v10
	v_mov_b32_e32 v13, v5
	v_lshlrev_b64 v[0:1], 4, v[8:9]
	v_dual_mov_b32 v6, v4 :: v_dual_mov_b32 v17, v5
	v_lshlrev_b64 v[2:3], 4, v[2:3]
	v_mov_b32_e32 v9, v5
	v_lshl_or_b32 v24, v11, 9, v10
	v_dual_mov_b32 v11, v5 :: v_dual_mov_b32 v8, v4
	s_waitcnt lgkmcnt(0)
	v_add_co_u32 v0, vcc_lo, v0, s22
	v_add_co_ci_u32_e32 v1, vcc_lo, s23, v1, vcc_lo
	v_add_co_u32 v2, vcc_lo, v2, s20
	v_add_co_ci_u32_e32 v3, vcc_lo, s21, v3, vcc_lo
	s_delay_alu instid0(VALU_DEP_4) | instskip(NEXT) | instid1(VALU_DEP_4)
	v_add_co_u32 v0, vcc_lo, v0, 8
	v_add_co_ci_u32_e32 v1, vcc_lo, 0, v1, vcc_lo
	s_delay_alu instid0(VALU_DEP_4) | instskip(NEXT) | instid1(VALU_DEP_4)
	v_add_co_u32 v2, vcc_lo, v2, 8
	v_add_co_ci_u32_e32 v3, vcc_lo, 0, v3, vcc_lo
	v_mov_b32_e32 v10, v4
	v_mov_b32_e32 v12, v4
	;; [unrolled: 1-line block ×4, first 2 shown]
	s_lshl_b64 s[12:13], s[12:13], 7
	s_lshl_b64 s[14:15], s[14:15], 7
.LBB884_2:                              ; =>This Inner Loop Header: Depth=1
	global_load_b128 v[26:29], v[2:3], off offset:-8
	global_load_b128 v[30:33], v[0:1], off offset:-8
	v_add_co_u32 v0, vcc_lo, v0, s12
	v_add_co_ci_u32_e32 v1, vcc_lo, s13, v1, vcc_lo
	v_add_co_u32 v2, vcc_lo, v2, s14
	v_add_co_ci_u32_e32 v3, vcc_lo, s15, v3, vcc_lo
	s_add_i32 s19, s19, 8
	s_delay_alu instid0(SALU_CYCLE_1)
	s_cmp_ge_i32 s19, s3
	s_waitcnt vmcnt(1)
	v_xor_b32_e32 v29, 0x80000000, v29
	s_waitcnt vmcnt(0)
	ds_store_b128 v24, v[30:33]
	ds_store_b128 v25, v[26:29]
	s_waitcnt lgkmcnt(0)
	s_barrier
	buffer_gl0_inv
	ds_load_b128 v[26:29], v23
	ds_load_b128 v[30:33], v22
	ds_load_b128 v[34:37], v22 offset:256
	ds_load_b128 v[38:41], v23 offset:2048
	ds_load_b128 v[42:45], v23 offset:16
	ds_load_b128 v[46:49], v23 offset:2064
	ds_load_b128 v[50:53], v22 offset:512
	ds_load_b128 v[54:57], v22 offset:768
	ds_load_b128 v[58:61], v23 offset:32
	ds_load_b128 v[62:65], v23 offset:48
	ds_load_b128 v[66:69], v22 offset:1024
	ds_load_b128 v[70:73], v22 offset:1280
	ds_load_b128 v[74:77], v23 offset:2080
	ds_load_b128 v[78:81], v23 offset:2096
	ds_load_b128 v[82:85], v22 offset:1536
	s_waitcnt lgkmcnt(13)
	v_mul_f64 v[86:87], v[28:29], v[32:33]
	v_mul_f64 v[88:89], v[26:27], v[32:33]
	s_waitcnt lgkmcnt(12)
	v_mul_f64 v[90:91], v[28:29], v[36:37]
	v_mul_f64 v[92:93], v[26:27], v[36:37]
	;; [unrolled: 3-line block ×3, first 2 shown]
	v_mul_f64 v[96:97], v[40:41], v[36:37]
	v_mul_f64 v[36:37], v[38:39], v[36:37]
	s_waitcnt lgkmcnt(8)
	v_mul_f64 v[98:99], v[44:45], v[52:53]
	v_mul_f64 v[100:101], v[42:43], v[52:53]
	s_waitcnt lgkmcnt(7)
	v_mul_f64 v[102:103], v[44:45], v[56:57]
	v_mul_f64 v[104:105], v[42:43], v[56:57]
	;; [unrolled: 1-line block ×6, first 2 shown]
	s_waitcnt lgkmcnt(3)
	v_mul_f64 v[112:113], v[58:59], v[72:73]
	s_waitcnt lgkmcnt(2)
	v_mul_f64 v[114:115], v[76:77], v[68:69]
	v_mul_f64 v[116:117], v[76:77], v[72:73]
	v_fma_f64 v[86:87], v[26:27], v[30:31], -v[86:87]
	v_fma_f64 v[88:89], v[28:29], v[30:31], v[88:89]
	v_fma_f64 v[90:91], v[26:27], v[34:35], -v[90:91]
	v_fma_f64 v[92:93], v[28:29], v[34:35], v[92:93]
	;; [unrolled: 2-line block ×4, first 2 shown]
	v_mul_f64 v[36:37], v[60:61], v[68:69]
	v_mul_f64 v[40:41], v[58:59], v[68:69]
	;; [unrolled: 1-line block ×5, first 2 shown]
	v_fma_f64 v[98:99], v[42:43], v[50:51], -v[98:99]
	v_fma_f64 v[100:101], v[44:45], v[50:51], v[100:101]
	v_fma_f64 v[42:43], v[42:43], v[54:55], -v[102:103]
	v_fma_f64 v[44:45], v[44:45], v[54:55], v[104:105]
	v_fma_f64 v[102:103], v[46:47], v[50:51], -v[106:107]
	v_fma_f64 v[50:51], v[48:49], v[50:51], v[52:53]
	v_fma_f64 v[46:47], v[46:47], v[54:55], -v[108:109]
	v_fma_f64 v[48:49], v[48:49], v[54:55], v[56:57]
	ds_load_b128 v[26:29], v22 offset:1792
	ds_load_b128 v[30:33], v22 offset:2048
	s_waitcnt lgkmcnt(2)
	v_mul_f64 v[56:57], v[64:65], v[84:85]
	v_add_f64 v[16:17], v[16:17], v[86:87]
	v_add_f64 v[18:19], v[18:19], v[88:89]
	v_add_f64 v[12:13], v[12:13], v[90:91]
	v_add_f64 v[14:15], v[14:15], v[92:93]
	v_add_f64 v[52:53], v[10:11], v[94:95]
	v_add_f64 v[54:55], v[8:9], v[110:111]
	v_add_f64 v[38:39], v[6:7], v[38:39]
	v_add_f64 v[34:35], v[4:5], v[34:35]
	v_mul_f64 v[86:87], v[62:63], v[84:85]
	s_waitcnt lgkmcnt(1)
	v_mul_f64 v[88:89], v[64:65], v[28:29]
	v_mul_f64 v[90:91], v[62:63], v[28:29]
	;; [unrolled: 1-line block ×6, first 2 shown]
	v_fma_f64 v[104:105], v[58:59], v[66:67], -v[36:37]
	v_fma_f64 v[106:107], v[60:61], v[66:67], v[40:41]
	v_fma_f64 v[58:59], v[58:59], v[70:71], -v[96:97]
	v_fma_f64 v[60:61], v[60:61], v[70:71], v[112:113]
	v_fma_f64 v[96:97], v[74:75], v[66:67], -v[114:115]
	v_fma_f64 v[66:67], v[76:77], v[66:67], v[68:69]
	v_fma_f64 v[68:69], v[74:75], v[70:71], -v[116:117]
	v_fma_f64 v[70:71], v[76:77], v[70:71], v[72:73]
	ds_load_b128 v[4:7], v22 offset:2304
	ds_load_b128 v[8:11], v23 offset:64
	v_fma_f64 v[56:57], v[62:63], v[82:83], -v[56:57]
	v_add_f64 v[72:73], v[16:17], v[98:99]
	v_add_f64 v[74:75], v[18:19], v[100:101]
	v_add_f64 v[42:43], v[12:13], v[42:43]
	v_add_f64 v[44:45], v[14:15], v[44:45]
	v_add_f64 v[52:53], v[52:53], v[102:103]
	v_add_f64 v[50:51], v[54:55], v[50:51]
	v_add_f64 v[46:47], v[38:39], v[46:47]
	v_add_f64 v[48:49], v[34:35], v[48:49]
	ds_load_b128 v[12:15], v23 offset:2112
	ds_load_b128 v[16:19], v23 offset:80
	;; [unrolled: 1-line block ×4, first 2 shown]
	s_waitcnt lgkmcnt(4)
	v_mul_f64 v[54:55], v[10:11], v[32:33]
	v_mul_f64 v[76:77], v[8:9], v[32:33]
	;; [unrolled: 1-line block ×4, first 2 shown]
	v_fma_f64 v[86:87], v[64:65], v[82:83], v[86:87]
	v_fma_f64 v[62:63], v[62:63], v[26:27], -v[88:89]
	v_fma_f64 v[64:65], v[64:65], v[26:27], v[90:91]
	v_fma_f64 v[88:89], v[78:79], v[82:83], -v[92:93]
	v_fma_f64 v[82:83], v[80:81], v[82:83], v[84:85]
	v_fma_f64 v[78:79], v[78:79], v[26:27], -v[94:95]
	v_fma_f64 v[80:81], v[80:81], v[26:27], v[28:29]
	s_waitcnt lgkmcnt(3)
	v_mul_f64 v[102:103], v[14:15], v[32:33]
	v_mul_f64 v[32:33], v[12:13], v[32:33]
	;; [unrolled: 1-line block ×4, first 2 shown]
	s_waitcnt lgkmcnt(0)
	v_mul_f64 v[90:91], v[18:19], v[40:41]
	v_mul_f64 v[92:93], v[16:17], v[40:41]
	v_add_f64 v[72:73], v[72:73], v[104:105]
	v_add_f64 v[74:75], v[74:75], v[106:107]
	v_add_f64 v[58:59], v[42:43], v[58:59]
	v_add_f64 v[60:61], v[44:45], v[60:61]
	v_add_f64 v[84:85], v[52:53], v[96:97]
	v_add_f64 v[66:67], v[50:51], v[66:67]
	v_add_f64 v[68:69], v[46:47], v[68:69]
	v_add_f64 v[70:71], v[48:49], v[70:71]
	ds_load_b128 v[26:29], v22 offset:2816
	ds_load_b128 v[42:45], v22 offset:3072
	;; [unrolled: 1-line block ×4, first 2 shown]
	v_mul_f64 v[104:105], v[36:37], v[40:41]
	v_mul_f64 v[40:41], v[34:35], v[40:41]
	v_fma_f64 v[54:55], v[8:9], v[30:31], -v[54:55]
	v_fma_f64 v[76:77], v[10:11], v[30:31], v[76:77]
	v_fma_f64 v[98:99], v[8:9], v[4:5], -v[98:99]
	v_fma_f64 v[100:101], v[10:11], v[4:5], v[100:101]
	s_waitcnt lgkmcnt(3)
	v_mul_f64 v[94:95], v[18:19], v[28:29]
	v_mul_f64 v[96:97], v[16:17], v[28:29]
	;; [unrolled: 1-line block ×4, first 2 shown]
	v_fma_f64 v[102:103], v[12:13], v[30:31], -v[102:103]
	v_fma_f64 v[32:33], v[14:15], v[30:31], v[32:33]
	v_fma_f64 v[108:109], v[12:13], v[4:5], -v[108:109]
	v_fma_f64 v[112:113], v[14:15], v[4:5], v[6:7]
	ds_load_b128 v[4:7], v23 offset:2144
	ds_load_b128 v[8:11], v23 offset:112
	;; [unrolled: 1-line block ×4, first 2 shown]
	v_add_f64 v[56:57], v[72:73], v[56:57]
	v_add_f64 v[72:73], v[74:75], v[86:87]
	;; [unrolled: 1-line block ×8, first 2 shown]
	s_waitcnt lgkmcnt(4)
	v_mul_f64 v[70:71], v[52:53], v[44:45]
	v_mul_f64 v[74:75], v[50:51], v[44:45]
	;; [unrolled: 1-line block ×4, first 2 shown]
	s_waitcnt lgkmcnt(3)
	v_mul_f64 v[82:83], v[6:7], v[44:45]
	v_mul_f64 v[44:45], v[4:5], v[44:45]
	;; [unrolled: 1-line block ×4, first 2 shown]
	v_fma_f64 v[86:87], v[16:17], v[38:39], -v[90:91]
	v_fma_f64 v[88:89], v[18:19], v[38:39], v[92:93]
	v_fma_f64 v[90:91], v[16:17], v[26:27], -v[94:95]
	v_fma_f64 v[92:93], v[18:19], v[26:27], v[96:97]
	;; [unrolled: 2-line block ×4, first 2 shown]
	ds_load_b128 v[16:19], v22 offset:3840
	s_waitcnt lgkmcnt(0)
	s_barrier
	buffer_gl0_inv
	v_add_f64 v[36:37], v[56:57], v[54:55]
	v_add_f64 v[40:41], v[72:73], v[76:77]
	;; [unrolled: 1-line block ×8, first 2 shown]
	v_mul_f64 v[64:65], v[10:11], v[30:31]
	v_mul_f64 v[66:67], v[8:9], v[30:31]
	;; [unrolled: 1-line block ×4, first 2 shown]
	v_fma_f64 v[70:71], v[50:51], v[42:43], -v[70:71]
	v_mul_f64 v[68:69], v[10:11], v[18:19]
	v_mul_f64 v[72:73], v[8:9], v[18:19]
	;; [unrolled: 1-line block ×4, first 2 shown]
	v_fma_f64 v[74:75], v[52:53], v[42:43], v[74:75]
	v_fma_f64 v[50:51], v[50:51], v[46:47], -v[78:79]
	v_fma_f64 v[52:53], v[52:53], v[46:47], v[80:81]
	v_fma_f64 v[78:79], v[4:5], v[42:43], -v[82:83]
	;; [unrolled: 2-line block ×3, first 2 shown]
	v_fma_f64 v[6:7], v[6:7], v[46:47], v[48:49]
	v_add_f64 v[36:37], v[36:37], v[86:87]
	v_add_f64 v[40:41], v[40:41], v[88:89]
	;; [unrolled: 1-line block ×8, first 2 shown]
	v_fma_f64 v[38:39], v[8:9], v[28:29], -v[64:65]
	v_fma_f64 v[54:55], v[10:11], v[28:29], v[66:67]
	v_fma_f64 v[56:57], v[12:13], v[28:29], -v[76:77]
	v_fma_f64 v[28:29], v[14:15], v[28:29], v[30:31]
	;; [unrolled: 2-line block ×4, first 2 shown]
	v_add_f64 v[12:13], v[36:37], v[70:71]
	v_add_f64 v[14:15], v[40:41], v[74:75]
	;; [unrolled: 1-line block ×16, first 2 shown]
	s_cbranch_scc0 .LBB884_2
.LBB884_3:
	s_load_b32 s3, s[0:1], 0x60
	v_add_nc_u32_e32 v21, s24, v21
	v_add_nc_u32_e32 v0, s18, v20
	s_delay_alu instid0(VALU_DEP_2) | instskip(NEXT) | instid1(VALU_DEP_2)
	v_cmp_gt_i32_e32 vcc_lo, s2, v21
	v_cmp_le_i32_e64 s0, v0, v21
	s_delay_alu instid0(VALU_DEP_1) | instskip(SKIP_2) | instid1(VALU_DEP_1)
	s_and_b32 s0, vcc_lo, s0
	s_waitcnt lgkmcnt(0)
	v_mad_i64_i32 v[1:2], null, v21, s3, 0
	v_lshlrev_b64 v[1:2], 4, v[1:2]
	s_delay_alu instid0(VALU_DEP_1) | instskip(NEXT) | instid1(VALU_DEP_1)
	v_add_co_u32 v20, s1, s16, v1
	v_add_co_ci_u32_e64 v22, s1, s17, v2, s1
	s_and_saveexec_b32 s1, s0
	s_cbranch_execz .LBB884_5
; %bb.4:
	v_ashrrev_i32_e32 v1, 31, v0
	v_mul_f64 v[27:28], s[4:5], v[18:19]
	v_mul_f64 v[18:19], s[6:7], v[18:19]
	s_delay_alu instid0(VALU_DEP_3) | instskip(NEXT) | instid1(VALU_DEP_1)
	v_lshlrev_b64 v[1:2], 4, v[0:1]
	v_add_co_u32 v1, s0, v20, v1
	s_delay_alu instid0(VALU_DEP_1)
	v_add_co_ci_u32_e64 v2, s0, v22, v2, s0
	v_cmp_ne_u32_e64 s0, v21, v0
	global_load_b128 v[23:26], v[1:2], off
	v_fma_f64 v[27:28], s[6:7], v[16:17], v[27:28]
	v_fma_f64 v[16:17], s[4:5], v[16:17], -v[18:19]
	s_waitcnt vmcnt(0)
	v_mul_f64 v[29:30], s[8:9], v[25:26]
	v_mul_f64 v[25:26], s[10:11], v[25:26]
	s_delay_alu instid0(VALU_DEP_2) | instskip(NEXT) | instid1(VALU_DEP_2)
	v_fma_f64 v[29:30], s[10:11], v[23:24], v[29:30]
	v_fma_f64 v[18:19], s[8:9], v[23:24], -v[25:26]
	s_delay_alu instid0(VALU_DEP_2) | instskip(NEXT) | instid1(VALU_DEP_2)
	v_add_f64 v[23:24], v[27:28], v[29:30]
	v_add_f64 v[16:17], v[16:17], v[18:19]
	s_delay_alu instid0(VALU_DEP_2) | instskip(NEXT) | instid1(VALU_DEP_3)
	v_cndmask_b32_e64 v19, 0, v24, s0
	v_cndmask_b32_e64 v18, 0, v23, s0
	global_store_b128 v[1:2], v[16:19], off
.LBB884_5:
	s_or_b32 exec_lo, exec_lo, s1
	v_add_nc_u32_e32 v2, 16, v0
	s_delay_alu instid0(VALU_DEP_1) | instskip(NEXT) | instid1(VALU_DEP_1)
	v_cmp_le_i32_e64 s0, v2, v21
	s_and_b32 s1, vcc_lo, s0
	s_delay_alu instid0(SALU_CYCLE_1)
	s_and_saveexec_b32 s0, s1
	s_cbranch_execz .LBB884_7
; %bb.6:
	v_ashrrev_i32_e32 v3, 31, v2
	v_mul_f64 v[25:26], s[4:5], v[14:15]
	v_mul_f64 v[14:15], s[6:7], v[14:15]
	s_delay_alu instid0(VALU_DEP_3) | instskip(NEXT) | instid1(VALU_DEP_1)
	v_lshlrev_b64 v[16:17], 4, v[2:3]
	v_add_co_u32 v23, vcc_lo, v20, v16
	s_delay_alu instid0(VALU_DEP_2)
	v_add_co_ci_u32_e32 v24, vcc_lo, v22, v17, vcc_lo
	v_cmp_ne_u32_e32 vcc_lo, v21, v2
	global_load_b128 v[16:19], v[23:24], off
	v_fma_f64 v[25:26], s[6:7], v[12:13], v[25:26]
	v_fma_f64 v[12:13], s[4:5], v[12:13], -v[14:15]
	s_waitcnt vmcnt(0)
	v_mul_f64 v[27:28], s[8:9], v[18:19]
	v_mul_f64 v[18:19], s[10:11], v[18:19]
	s_delay_alu instid0(VALU_DEP_2) | instskip(NEXT) | instid1(VALU_DEP_2)
	v_fma_f64 v[27:28], s[10:11], v[16:17], v[27:28]
	v_fma_f64 v[14:15], s[8:9], v[16:17], -v[18:19]
	s_delay_alu instid0(VALU_DEP_2) | instskip(NEXT) | instid1(VALU_DEP_2)
	v_add_f64 v[16:17], v[25:26], v[27:28]
	v_add_f64 v[12:13], v[12:13], v[14:15]
	s_delay_alu instid0(VALU_DEP_2)
	v_dual_cndmask_b32 v15, 0, v17 :: v_dual_cndmask_b32 v14, 0, v16
	global_store_b128 v[23:24], v[12:15], off
.LBB884_7:
	s_or_b32 exec_lo, exec_lo, s0
	v_add_nc_u32_e32 v3, 16, v21
	s_delay_alu instid0(VALU_DEP_1) | instskip(SKIP_2) | instid1(VALU_DEP_1)
	v_mad_i64_i32 v[12:13], null, v3, s3, 0
	v_cmp_gt_i32_e32 vcc_lo, s2, v3
	v_cmp_le_i32_e64 s0, v0, v3
	s_and_b32 s0, vcc_lo, s0
	s_delay_alu instid0(VALU_DEP_3) | instskip(NEXT) | instid1(VALU_DEP_1)
	v_lshlrev_b64 v[12:13], 4, v[12:13]
	v_add_co_u32 v12, s1, s16, v12
	s_delay_alu instid0(VALU_DEP_1)
	v_add_co_ci_u32_e64 v13, s1, s17, v13, s1
	s_and_saveexec_b32 s1, s0
	s_cbranch_execz .LBB884_9
; %bb.8:
	v_ashrrev_i32_e32 v1, 31, v0
	v_mul_f64 v[22:23], s[4:5], v[8:9]
	v_mul_f64 v[8:9], s[6:7], v[8:9]
	s_delay_alu instid0(VALU_DEP_3) | instskip(NEXT) | instid1(VALU_DEP_1)
	v_lshlrev_b64 v[14:15], 4, v[0:1]
	v_add_co_u32 v18, s0, v12, v14
	s_delay_alu instid0(VALU_DEP_1)
	v_add_co_ci_u32_e64 v19, s0, v13, v15, s0
	v_cmp_ne_u32_e64 s0, v3, v0
	global_load_b128 v[14:17], v[18:19], off
	v_fma_f64 v[22:23], s[6:7], v[10:11], v[22:23]
	v_fma_f64 v[8:9], s[4:5], v[10:11], -v[8:9]
	s_waitcnt vmcnt(0)
	v_mul_f64 v[24:25], s[8:9], v[16:17]
	v_mul_f64 v[16:17], s[10:11], v[16:17]
	s_delay_alu instid0(VALU_DEP_2) | instskip(NEXT) | instid1(VALU_DEP_2)
	v_fma_f64 v[24:25], s[10:11], v[14:15], v[24:25]
	v_fma_f64 v[10:11], s[8:9], v[14:15], -v[16:17]
	s_delay_alu instid0(VALU_DEP_2) | instskip(NEXT) | instid1(VALU_DEP_2)
	v_add_f64 v[14:15], v[22:23], v[24:25]
	v_add_f64 v[8:9], v[8:9], v[10:11]
	s_delay_alu instid0(VALU_DEP_2) | instskip(NEXT) | instid1(VALU_DEP_3)
	v_cndmask_b32_e64 v11, 0, v15, s0
	v_cndmask_b32_e64 v10, 0, v14, s0
	global_store_b128 v[18:19], v[8:11], off
.LBB884_9:
	s_or_b32 exec_lo, exec_lo, s1
	v_cmp_le_i32_e64 s0, v2, v3
	s_delay_alu instid0(VALU_DEP_1) | instskip(NEXT) | instid1(SALU_CYCLE_1)
	s_and_b32 s0, vcc_lo, s0
	s_and_saveexec_b32 s1, s0
	s_cbranch_execz .LBB884_11
; %bb.10:
	v_ashrrev_i32_e32 v3, 31, v2
	s_delay_alu instid0(VALU_DEP_1) | instskip(NEXT) | instid1(VALU_DEP_1)
	v_lshlrev_b64 v[1:2], 4, v[2:3]
	v_add_co_u32 v12, vcc_lo, v12, v1
	s_delay_alu instid0(VALU_DEP_2)
	v_add_co_ci_u32_e32 v13, vcc_lo, v13, v2, vcc_lo
	v_mul_f64 v[1:2], s[4:5], v[4:5]
	v_mul_f64 v[3:4], s[6:7], v[4:5]
	v_cmp_ne_u32_e32 vcc_lo, v21, v0
	global_load_b128 v[8:11], v[12:13], off
	v_fma_f64 v[1:2], s[6:7], v[6:7], v[1:2]
	v_fma_f64 v[3:4], s[4:5], v[6:7], -v[3:4]
	s_waitcnt vmcnt(0)
	v_mul_f64 v[14:15], s[8:9], v[10:11]
	v_mul_f64 v[10:11], s[10:11], v[10:11]
	s_delay_alu instid0(VALU_DEP_2) | instskip(NEXT) | instid1(VALU_DEP_2)
	v_fma_f64 v[14:15], s[10:11], v[8:9], v[14:15]
	v_fma_f64 v[5:6], s[8:9], v[8:9], -v[10:11]
	s_delay_alu instid0(VALU_DEP_2) | instskip(NEXT) | instid1(VALU_DEP_2)
	v_add_f64 v[7:8], v[1:2], v[14:15]
	v_add_f64 v[1:2], v[3:4], v[5:6]
	s_delay_alu instid0(VALU_DEP_2)
	v_dual_cndmask_b32 v4, 0, v8 :: v_dual_cndmask_b32 v3, 0, v7
	global_store_b128 v[12:13], v[1:4], off
.LBB884_11:
	s_nop 0
	s_sendmsg sendmsg(MSG_DEALLOC_VGPRS)
	s_endpgm
	.section	.rodata,"a",@progbits
	.p2align	6, 0x0
	.amdhsa_kernel _ZL37rocblas_syrkx_herkx_restricted_kernelIi19rocblas_complex_numIdELi16ELi32ELi8ELb0ELb1ELc78ELc85EKPKS1_KPS1_EviT_T0_PT8_S7_lSA_S7_lS8_PT9_S7_li
		.amdhsa_group_segment_fixed_size 8192
		.amdhsa_private_segment_fixed_size 0
		.amdhsa_kernarg_size 116
		.amdhsa_user_sgpr_count 13
		.amdhsa_user_sgpr_dispatch_ptr 0
		.amdhsa_user_sgpr_queue_ptr 0
		.amdhsa_user_sgpr_kernarg_segment_ptr 1
		.amdhsa_user_sgpr_dispatch_id 0
		.amdhsa_user_sgpr_private_segment_size 0
		.amdhsa_wavefront_size32 1
		.amdhsa_uses_dynamic_stack 0
		.amdhsa_enable_private_segment 0
		.amdhsa_system_sgpr_workgroup_id_x 1
		.amdhsa_system_sgpr_workgroup_id_y 1
		.amdhsa_system_sgpr_workgroup_id_z 1
		.amdhsa_system_sgpr_workgroup_info 0
		.amdhsa_system_vgpr_workitem_id 1
		.amdhsa_next_free_vgpr 118
		.amdhsa_next_free_sgpr 28
		.amdhsa_reserve_vcc 1
		.amdhsa_float_round_mode_32 0
		.amdhsa_float_round_mode_16_64 0
		.amdhsa_float_denorm_mode_32 3
		.amdhsa_float_denorm_mode_16_64 3
		.amdhsa_dx10_clamp 1
		.amdhsa_ieee_mode 1
		.amdhsa_fp16_overflow 0
		.amdhsa_workgroup_processor_mode 1
		.amdhsa_memory_ordered 1
		.amdhsa_forward_progress 0
		.amdhsa_shared_vgpr_count 0
		.amdhsa_exception_fp_ieee_invalid_op 0
		.amdhsa_exception_fp_denorm_src 0
		.amdhsa_exception_fp_ieee_div_zero 0
		.amdhsa_exception_fp_ieee_overflow 0
		.amdhsa_exception_fp_ieee_underflow 0
		.amdhsa_exception_fp_ieee_inexact 0
		.amdhsa_exception_int_div_zero 0
	.end_amdhsa_kernel
	.section	.text._ZL37rocblas_syrkx_herkx_restricted_kernelIi19rocblas_complex_numIdELi16ELi32ELi8ELb0ELb1ELc78ELc85EKPKS1_KPS1_EviT_T0_PT8_S7_lSA_S7_lS8_PT9_S7_li,"axG",@progbits,_ZL37rocblas_syrkx_herkx_restricted_kernelIi19rocblas_complex_numIdELi16ELi32ELi8ELb0ELb1ELc78ELc85EKPKS1_KPS1_EviT_T0_PT8_S7_lSA_S7_lS8_PT9_S7_li,comdat
.Lfunc_end884:
	.size	_ZL37rocblas_syrkx_herkx_restricted_kernelIi19rocblas_complex_numIdELi16ELi32ELi8ELb0ELb1ELc78ELc85EKPKS1_KPS1_EviT_T0_PT8_S7_lSA_S7_lS8_PT9_S7_li, .Lfunc_end884-_ZL37rocblas_syrkx_herkx_restricted_kernelIi19rocblas_complex_numIdELi16ELi32ELi8ELb0ELb1ELc78ELc85EKPKS1_KPS1_EviT_T0_PT8_S7_lSA_S7_lS8_PT9_S7_li
                                        ; -- End function
	.section	.AMDGPU.csdata,"",@progbits
; Kernel info:
; codeLenInByte = 3388
; NumSgprs: 30
; NumVgprs: 118
; ScratchSize: 0
; MemoryBound: 0
; FloatMode: 240
; IeeeMode: 1
; LDSByteSize: 8192 bytes/workgroup (compile time only)
; SGPRBlocks: 3
; VGPRBlocks: 14
; NumSGPRsForWavesPerEU: 30
; NumVGPRsForWavesPerEU: 118
; Occupancy: 12
; WaveLimiterHint : 1
; COMPUTE_PGM_RSRC2:SCRATCH_EN: 0
; COMPUTE_PGM_RSRC2:USER_SGPR: 13
; COMPUTE_PGM_RSRC2:TRAP_HANDLER: 0
; COMPUTE_PGM_RSRC2:TGID_X_EN: 1
; COMPUTE_PGM_RSRC2:TGID_Y_EN: 1
; COMPUTE_PGM_RSRC2:TGID_Z_EN: 1
; COMPUTE_PGM_RSRC2:TIDIG_COMP_CNT: 1
	.section	.text._ZL41rocblas_syrkx_herkx_small_restrict_kernelIi19rocblas_complex_numIdELi16ELb1ELb1ELc84ELc76EKPKS1_KPS1_EviT_T0_PT6_S7_lSA_S7_lS8_PT7_S7_li,"axG",@progbits,_ZL41rocblas_syrkx_herkx_small_restrict_kernelIi19rocblas_complex_numIdELi16ELb1ELb1ELc84ELc76EKPKS1_KPS1_EviT_T0_PT6_S7_lSA_S7_lS8_PT7_S7_li,comdat
	.globl	_ZL41rocblas_syrkx_herkx_small_restrict_kernelIi19rocblas_complex_numIdELi16ELb1ELb1ELc84ELc76EKPKS1_KPS1_EviT_T0_PT6_S7_lSA_S7_lS8_PT7_S7_li ; -- Begin function _ZL41rocblas_syrkx_herkx_small_restrict_kernelIi19rocblas_complex_numIdELi16ELb1ELb1ELc84ELc76EKPKS1_KPS1_EviT_T0_PT6_S7_lSA_S7_lS8_PT7_S7_li
	.p2align	8
	.type	_ZL41rocblas_syrkx_herkx_small_restrict_kernelIi19rocblas_complex_numIdELi16ELb1ELb1ELc84ELc76EKPKS1_KPS1_EviT_T0_PT6_S7_lSA_S7_lS8_PT7_S7_li,@function
_ZL41rocblas_syrkx_herkx_small_restrict_kernelIi19rocblas_complex_numIdELi16ELb1ELb1ELc84ELc76EKPKS1_KPS1_EviT_T0_PT6_S7_lSA_S7_lS8_PT7_S7_li: ; @_ZL41rocblas_syrkx_herkx_small_restrict_kernelIi19rocblas_complex_numIdELi16ELb1ELb1ELc84ELc76EKPKS1_KPS1_EviT_T0_PT6_S7_lSA_S7_lS8_PT7_S7_li
; %bb.0:
	s_clause 0x1
	s_load_b64 s[2:3], s[0:1], 0x58
	s_load_b64 s[16:17], s[0:1], 0x18
	s_mov_b32 s8, s15
	s_mov_b32 s9, 0
	v_dual_mov_b32 v5, 0 :: v_dual_and_b32 v2, 0x3ff, v0
	s_lshl_b64 s[10:11], s[8:9], 3
	s_load_b32 s8, s[0:1], 0x4
	v_bfe_u32 v1, v0, 10, 10
	v_mov_b32_e32 v6, 0
	v_lshl_add_u32 v0, s13, 4, v2
	s_delay_alu instid0(VALU_DEP_3) | instskip(NEXT) | instid1(VALU_DEP_3)
	v_lshl_add_u32 v9, s14, 4, v1
	v_dual_mov_b32 v8, v6 :: v_dual_mov_b32 v7, v5
	s_waitcnt lgkmcnt(0)
	s_add_u32 s2, s2, s10
	s_addc_u32 s3, s3, s11
	s_load_b128 s[4:7], s[0:1], 0x8
	s_load_b64 s[2:3], s[2:3], 0x0
	s_cmp_lt_i32 s8, 1
	s_cbranch_scc1 .LBB885_3
; %bb.1:
	s_clause 0x2
	s_load_b64 s[12:13], s[0:1], 0x30
	s_load_b32 s14, s[0:1], 0x38
	s_load_b32 s15, s[0:1], 0x20
	v_dual_mov_b32 v5, 0 :: v_dual_lshlrev_b32 v4, 8, v1
	v_lshlrev_b32_e32 v14, 4, v1
	v_mov_b32_e32 v6, 0
	v_lshlrev_b32_e32 v10, 4, v2
	s_delay_alu instid0(VALU_DEP_4) | instskip(NEXT) | instid1(VALU_DEP_2)
	v_add_nc_u32_e32 v11, 0x1000, v4
	v_add_nc_u32_e32 v12, v10, v4
	s_waitcnt lgkmcnt(0)
	s_add_u32 s12, s12, s10
	s_addc_u32 s13, s13, s11
	v_mad_i64_i32 v[2:3], null, s14, v9, 0
	s_load_b64 s[12:13], s[12:13], 0x0
	s_add_u32 s10, s16, s10
	s_addc_u32 s11, s17, s11
	v_mad_i64_i32 v[7:8], null, s15, v0, 0
	s_load_b64 s[10:11], s[10:11], 0x0
	s_delay_alu instid0(VALU_DEP_2) | instskip(NEXT) | instid1(VALU_DEP_2)
	v_lshlrev_b64 v[1:2], 4, v[2:3]
	v_lshlrev_b64 v[3:4], 4, v[7:8]
	v_dual_mov_b32 v8, v6 :: v_dual_mov_b32 v7, v5
	s_delay_alu instid0(VALU_DEP_3) | instskip(NEXT) | instid1(VALU_DEP_4)
	v_add_co_u32 v1, vcc_lo, v1, v10
	v_add_co_ci_u32_e32 v2, vcc_lo, 0, v2, vcc_lo
	s_delay_alu instid0(VALU_DEP_4)
	v_add_co_u32 v3, vcc_lo, v3, v14
	v_add_co_ci_u32_e32 v4, vcc_lo, 0, v4, vcc_lo
	s_waitcnt lgkmcnt(0)
	v_add_co_u32 v1, vcc_lo, s12, v1
	v_add_co_ci_u32_e32 v2, vcc_lo, s13, v2, vcc_lo
	v_add_co_u32 v3, vcc_lo, s10, v3
	v_add_nc_u32_e32 v13, v11, v10
	v_add_co_ci_u32_e32 v4, vcc_lo, s11, v4, vcc_lo
.LBB885_2:                              ; =>This Inner Loop Header: Depth=1
	global_load_b128 v[14:17], v[3:4], off
	global_load_b128 v[18:21], v[1:2], off
	v_add_co_u32 v1, vcc_lo, 0x100, v1
	v_add_co_ci_u32_e32 v2, vcc_lo, 0, v2, vcc_lo
	v_add_co_u32 v3, vcc_lo, 0x100, v3
	v_add_co_ci_u32_e32 v4, vcc_lo, 0, v4, vcc_lo
	s_add_i32 s9, s9, 16
	s_waitcnt vmcnt(1)
	ds_store_2addr_b64 v12, v[14:15], v[16:17] offset1:1
	s_waitcnt vmcnt(0)
	ds_store_2addr_b64 v13, v[18:19], v[20:21] offset1:1
	s_waitcnt lgkmcnt(0)
	s_barrier
	buffer_gl0_inv
	ds_load_b128 v[14:17], v10
	ds_load_b128 v[18:21], v11
	ds_load_b128 v[22:25], v11 offset:16
	ds_load_b128 v[26:29], v10 offset:256
	s_cmp_lt_i32 s9, s8
	s_waitcnt lgkmcnt(2)
	v_mul_f64 v[30:31], v[20:21], v[16:17]
	v_mul_f64 v[16:17], v[18:19], v[16:17]
	s_waitcnt lgkmcnt(0)
	v_mul_f64 v[36:37], v[24:25], v[28:29]
	v_mul_f64 v[38:39], v[22:23], v[28:29]
	s_delay_alu instid0(VALU_DEP_4) | instskip(NEXT) | instid1(VALU_DEP_4)
	v_fma_f64 v[40:41], v[18:19], v[14:15], -v[30:31]
	v_fma_f64 v[42:43], v[20:21], v[14:15], v[16:17]
	ds_load_b128 v[14:17], v10 offset:512
	ds_load_b128 v[18:21], v11 offset:32
	;; [unrolled: 1-line block ×4, first 2 shown]
	v_fma_f64 v[22:23], v[22:23], v[26:27], -v[36:37]
	v_fma_f64 v[24:25], v[24:25], v[26:27], v[38:39]
	s_waitcnt lgkmcnt(2)
	v_mul_f64 v[44:45], v[20:21], v[16:17]
	v_mul_f64 v[16:17], v[18:19], v[16:17]
	s_waitcnt lgkmcnt(0)
	v_mul_f64 v[26:27], v[30:31], v[34:35]
	v_mul_f64 v[34:35], v[28:29], v[34:35]
	v_add_f64 v[7:8], v[7:8], v[40:41]
	v_add_f64 v[5:6], v[5:6], v[42:43]
	v_fma_f64 v[36:37], v[18:19], v[14:15], -v[44:45]
	v_fma_f64 v[38:39], v[20:21], v[14:15], v[16:17]
	v_fma_f64 v[26:27], v[28:29], v[32:33], -v[26:27]
	v_fma_f64 v[28:29], v[30:31], v[32:33], v[34:35]
	v_add_f64 v[40:41], v[7:8], v[22:23]
	v_add_f64 v[42:43], v[5:6], v[24:25]
	ds_load_b128 v[5:8], v10 offset:1024
	ds_load_b128 v[14:17], v11 offset:64
	;; [unrolled: 1-line block ×4, first 2 shown]
	s_waitcnt lgkmcnt(2)
	v_mul_f64 v[44:45], v[16:17], v[7:8]
	v_mul_f64 v[7:8], v[14:15], v[7:8]
	s_waitcnt lgkmcnt(0)
	v_mul_f64 v[34:35], v[20:21], v[24:25]
	v_add_f64 v[30:31], v[40:41], v[36:37]
	v_add_f64 v[32:33], v[42:43], v[38:39]
	v_mul_f64 v[36:37], v[18:19], v[24:25]
	v_fma_f64 v[38:39], v[14:15], v[5:6], -v[44:45]
	v_fma_f64 v[40:41], v[16:17], v[5:6], v[7:8]
	v_fma_f64 v[18:19], v[18:19], v[22:23], -v[34:35]
	v_add_f64 v[42:43], v[30:31], v[26:27]
	v_add_f64 v[32:33], v[32:33], v[28:29]
	ds_load_b128 v[5:8], v10 offset:1536
	ds_load_b128 v[14:17], v11 offset:96
	;; [unrolled: 1-line block ×4, first 2 shown]
	v_fma_f64 v[20:21], v[20:21], v[22:23], v[36:37]
	s_waitcnt lgkmcnt(2)
	v_mul_f64 v[44:45], v[16:17], v[7:8]
	v_mul_f64 v[7:8], v[14:15], v[7:8]
	s_waitcnt lgkmcnt(0)
	v_mul_f64 v[34:35], v[26:27], v[30:31]
	v_mul_f64 v[36:37], v[24:25], v[30:31]
	v_add_f64 v[22:23], v[42:43], v[38:39]
	v_add_f64 v[32:33], v[32:33], v[40:41]
	v_fma_f64 v[38:39], v[14:15], v[5:6], -v[44:45]
	v_fma_f64 v[40:41], v[16:17], v[5:6], v[7:8]
	v_fma_f64 v[24:25], v[24:25], v[28:29], -v[34:35]
	v_fma_f64 v[26:27], v[26:27], v[28:29], v[36:37]
	v_add_f64 v[22:23], v[22:23], v[18:19]
	v_add_f64 v[42:43], v[32:33], v[20:21]
	ds_load_b128 v[5:8], v10 offset:2048
	ds_load_b128 v[14:17], v11 offset:128
	;; [unrolled: 1-line block ×4, first 2 shown]
	s_waitcnt lgkmcnt(2)
	v_mul_f64 v[44:45], v[16:17], v[7:8]
	v_mul_f64 v[7:8], v[14:15], v[7:8]
	s_waitcnt lgkmcnt(0)
	v_mul_f64 v[34:35], v[20:21], v[32:33]
	v_mul_f64 v[32:33], v[18:19], v[32:33]
	v_add_f64 v[22:23], v[22:23], v[38:39]
	v_add_f64 v[28:29], v[42:43], v[40:41]
	v_fma_f64 v[36:37], v[14:15], v[5:6], -v[44:45]
	v_fma_f64 v[38:39], v[16:17], v[5:6], v[7:8]
	v_fma_f64 v[18:19], v[18:19], v[30:31], -v[34:35]
	v_fma_f64 v[20:21], v[20:21], v[30:31], v[32:33]
	v_add_f64 v[40:41], v[22:23], v[24:25]
	v_add_f64 v[42:43], v[28:29], v[26:27]
	ds_load_b128 v[5:8], v10 offset:2560
	ds_load_b128 v[14:17], v11 offset:160
	;; [unrolled: 1-line block ×4, first 2 shown]
	s_waitcnt lgkmcnt(2)
	v_mul_f64 v[44:45], v[16:17], v[7:8]
	v_mul_f64 v[7:8], v[14:15], v[7:8]
	s_waitcnt lgkmcnt(0)
	v_mul_f64 v[34:35], v[24:25], v[28:29]
	v_add_f64 v[30:31], v[40:41], v[36:37]
	v_add_f64 v[32:33], v[42:43], v[38:39]
	v_mul_f64 v[36:37], v[22:23], v[28:29]
	v_fma_f64 v[38:39], v[14:15], v[5:6], -v[44:45]
	v_fma_f64 v[40:41], v[16:17], v[5:6], v[7:8]
	v_fma_f64 v[22:23], v[22:23], v[26:27], -v[34:35]
	v_add_f64 v[42:43], v[30:31], v[18:19]
	v_add_f64 v[32:33], v[32:33], v[20:21]
	ds_load_b128 v[5:8], v10 offset:3072
	ds_load_b128 v[14:17], v11 offset:192
	;; [unrolled: 1-line block ×4, first 2 shown]
	v_fma_f64 v[24:25], v[24:25], v[26:27], v[36:37]
	s_waitcnt lgkmcnt(2)
	v_mul_f64 v[44:45], v[16:17], v[7:8]
	v_mul_f64 v[7:8], v[14:15], v[7:8]
	s_waitcnt lgkmcnt(0)
	v_mul_f64 v[34:35], v[20:21], v[30:31]
	v_mul_f64 v[36:37], v[18:19], v[30:31]
	v_add_f64 v[26:27], v[42:43], v[38:39]
	v_add_f64 v[32:33], v[32:33], v[40:41]
	v_fma_f64 v[38:39], v[14:15], v[5:6], -v[44:45]
	v_fma_f64 v[40:41], v[16:17], v[5:6], v[7:8]
	v_fma_f64 v[18:19], v[18:19], v[28:29], -v[34:35]
	v_fma_f64 v[20:21], v[20:21], v[28:29], v[36:37]
	v_add_f64 v[26:27], v[26:27], v[22:23]
	v_add_f64 v[42:43], v[32:33], v[24:25]
	ds_load_b128 v[5:8], v10 offset:3584
	ds_load_b128 v[14:17], v11 offset:224
	;; [unrolled: 1-line block ×4, first 2 shown]
	s_waitcnt lgkmcnt(0)
	s_barrier
	buffer_gl0_inv
	v_mul_f64 v[44:45], v[16:17], v[7:8]
	v_mul_f64 v[7:8], v[14:15], v[7:8]
	;; [unrolled: 1-line block ×4, first 2 shown]
	v_add_f64 v[26:27], v[26:27], v[38:39]
	v_add_f64 v[28:29], v[42:43], v[40:41]
	v_fma_f64 v[14:15], v[14:15], v[5:6], -v[44:45]
	v_fma_f64 v[5:6], v[16:17], v[5:6], v[7:8]
	s_delay_alu instid0(VALU_DEP_4) | instskip(NEXT) | instid1(VALU_DEP_4)
	v_add_f64 v[7:8], v[26:27], v[18:19]
	v_add_f64 v[16:17], v[28:29], v[20:21]
	v_fma_f64 v[18:19], v[22:23], v[30:31], -v[34:35]
	v_fma_f64 v[20:21], v[24:25], v[30:31], v[32:33]
	s_delay_alu instid0(VALU_DEP_4) | instskip(NEXT) | instid1(VALU_DEP_4)
	v_add_f64 v[7:8], v[7:8], v[14:15]
	v_add_f64 v[5:6], v[16:17], v[5:6]
	s_delay_alu instid0(VALU_DEP_2) | instskip(NEXT) | instid1(VALU_DEP_2)
	v_add_f64 v[7:8], v[7:8], v[18:19]
	v_add_f64 v[5:6], v[5:6], v[20:21]
	s_cbranch_scc1 .LBB885_2
.LBB885_3:
	s_mov_b32 s8, exec_lo
	v_cmpx_le_i32_e64 v9, v0
	s_cbranch_execz .LBB885_5
; %bb.4:
	s_waitcnt lgkmcnt(0)
	s_delay_alu instid0(VALU_DEP_2) | instskip(SKIP_2) | instid1(VALU_DEP_2)
	v_mul_f64 v[1:2], s[4:5], v[5:6]
	v_mul_f64 v[3:4], s[6:7], v[5:6]
	s_load_b32 s0, s[0:1], 0x60
	v_fma_f64 v[10:11], s[6:7], v[7:8], v[1:2]
	s_delay_alu instid0(VALU_DEP_2) | instskip(SKIP_3) | instid1(VALU_DEP_1)
	v_fma_f64 v[2:3], s[4:5], v[7:8], -v[3:4]
	s_waitcnt lgkmcnt(0)
	v_mad_i64_i32 v[4:5], null, s0, v9, 0
	v_ashrrev_i32_e32 v1, 31, v0
	v_lshlrev_b64 v[6:7], 4, v[0:1]
	s_delay_alu instid0(VALU_DEP_3) | instskip(NEXT) | instid1(VALU_DEP_1)
	v_lshlrev_b64 v[4:5], 4, v[4:5]
	v_add_co_u32 v1, vcc_lo, s2, v4
	s_delay_alu instid0(VALU_DEP_2) | instskip(SKIP_1) | instid1(VALU_DEP_3)
	v_add_co_ci_u32_e32 v4, vcc_lo, s3, v5, vcc_lo
	v_cmp_ne_u32_e32 vcc_lo, v0, v9
	v_add_co_u32 v0, s0, v1, v6
	s_delay_alu instid0(VALU_DEP_1)
	v_add_co_ci_u32_e64 v1, s0, v4, v7, s0
	v_dual_cndmask_b32 v5, 0, v11 :: v_dual_cndmask_b32 v4, 0, v10
	global_store_b128 v[0:1], v[2:5], off
.LBB885_5:
	s_nop 0
	s_sendmsg sendmsg(MSG_DEALLOC_VGPRS)
	s_endpgm
	.section	.rodata,"a",@progbits
	.p2align	6, 0x0
	.amdhsa_kernel _ZL41rocblas_syrkx_herkx_small_restrict_kernelIi19rocblas_complex_numIdELi16ELb1ELb1ELc84ELc76EKPKS1_KPS1_EviT_T0_PT6_S7_lSA_S7_lS8_PT7_S7_li
		.amdhsa_group_segment_fixed_size 8192
		.amdhsa_private_segment_fixed_size 0
		.amdhsa_kernarg_size 116
		.amdhsa_user_sgpr_count 13
		.amdhsa_user_sgpr_dispatch_ptr 0
		.amdhsa_user_sgpr_queue_ptr 0
		.amdhsa_user_sgpr_kernarg_segment_ptr 1
		.amdhsa_user_sgpr_dispatch_id 0
		.amdhsa_user_sgpr_private_segment_size 0
		.amdhsa_wavefront_size32 1
		.amdhsa_uses_dynamic_stack 0
		.amdhsa_enable_private_segment 0
		.amdhsa_system_sgpr_workgroup_id_x 1
		.amdhsa_system_sgpr_workgroup_id_y 1
		.amdhsa_system_sgpr_workgroup_id_z 1
		.amdhsa_system_sgpr_workgroup_info 0
		.amdhsa_system_vgpr_workitem_id 1
		.amdhsa_next_free_vgpr 46
		.amdhsa_next_free_sgpr 18
		.amdhsa_reserve_vcc 1
		.amdhsa_float_round_mode_32 0
		.amdhsa_float_round_mode_16_64 0
		.amdhsa_float_denorm_mode_32 3
		.amdhsa_float_denorm_mode_16_64 3
		.amdhsa_dx10_clamp 1
		.amdhsa_ieee_mode 1
		.amdhsa_fp16_overflow 0
		.amdhsa_workgroup_processor_mode 1
		.amdhsa_memory_ordered 1
		.amdhsa_forward_progress 0
		.amdhsa_shared_vgpr_count 0
		.amdhsa_exception_fp_ieee_invalid_op 0
		.amdhsa_exception_fp_denorm_src 0
		.amdhsa_exception_fp_ieee_div_zero 0
		.amdhsa_exception_fp_ieee_overflow 0
		.amdhsa_exception_fp_ieee_underflow 0
		.amdhsa_exception_fp_ieee_inexact 0
		.amdhsa_exception_int_div_zero 0
	.end_amdhsa_kernel
	.section	.text._ZL41rocblas_syrkx_herkx_small_restrict_kernelIi19rocblas_complex_numIdELi16ELb1ELb1ELc84ELc76EKPKS1_KPS1_EviT_T0_PT6_S7_lSA_S7_lS8_PT7_S7_li,"axG",@progbits,_ZL41rocblas_syrkx_herkx_small_restrict_kernelIi19rocblas_complex_numIdELi16ELb1ELb1ELc84ELc76EKPKS1_KPS1_EviT_T0_PT6_S7_lSA_S7_lS8_PT7_S7_li,comdat
.Lfunc_end885:
	.size	_ZL41rocblas_syrkx_herkx_small_restrict_kernelIi19rocblas_complex_numIdELi16ELb1ELb1ELc84ELc76EKPKS1_KPS1_EviT_T0_PT6_S7_lSA_S7_lS8_PT7_S7_li, .Lfunc_end885-_ZL41rocblas_syrkx_herkx_small_restrict_kernelIi19rocblas_complex_numIdELi16ELb1ELb1ELc84ELc76EKPKS1_KPS1_EviT_T0_PT6_S7_lSA_S7_lS8_PT7_S7_li
                                        ; -- End function
	.section	.AMDGPU.csdata,"",@progbits
; Kernel info:
; codeLenInByte = 1720
; NumSgprs: 20
; NumVgprs: 46
; ScratchSize: 0
; MemoryBound: 0
; FloatMode: 240
; IeeeMode: 1
; LDSByteSize: 8192 bytes/workgroup (compile time only)
; SGPRBlocks: 2
; VGPRBlocks: 5
; NumSGPRsForWavesPerEU: 20
; NumVGPRsForWavesPerEU: 46
; Occupancy: 16
; WaveLimiterHint : 1
; COMPUTE_PGM_RSRC2:SCRATCH_EN: 0
; COMPUTE_PGM_RSRC2:USER_SGPR: 13
; COMPUTE_PGM_RSRC2:TRAP_HANDLER: 0
; COMPUTE_PGM_RSRC2:TGID_X_EN: 1
; COMPUTE_PGM_RSRC2:TGID_Y_EN: 1
; COMPUTE_PGM_RSRC2:TGID_Z_EN: 1
; COMPUTE_PGM_RSRC2:TIDIG_COMP_CNT: 1
	.section	.text._ZL41rocblas_syrkx_herkx_small_restrict_kernelIi19rocblas_complex_numIdELi16ELb1ELb1ELc67ELc76EKPKS1_KPS1_EviT_T0_PT6_S7_lSA_S7_lS8_PT7_S7_li,"axG",@progbits,_ZL41rocblas_syrkx_herkx_small_restrict_kernelIi19rocblas_complex_numIdELi16ELb1ELb1ELc67ELc76EKPKS1_KPS1_EviT_T0_PT6_S7_lSA_S7_lS8_PT7_S7_li,comdat
	.globl	_ZL41rocblas_syrkx_herkx_small_restrict_kernelIi19rocblas_complex_numIdELi16ELb1ELb1ELc67ELc76EKPKS1_KPS1_EviT_T0_PT6_S7_lSA_S7_lS8_PT7_S7_li ; -- Begin function _ZL41rocblas_syrkx_herkx_small_restrict_kernelIi19rocblas_complex_numIdELi16ELb1ELb1ELc67ELc76EKPKS1_KPS1_EviT_T0_PT6_S7_lSA_S7_lS8_PT7_S7_li
	.p2align	8
	.type	_ZL41rocblas_syrkx_herkx_small_restrict_kernelIi19rocblas_complex_numIdELi16ELb1ELb1ELc67ELc76EKPKS1_KPS1_EviT_T0_PT6_S7_lSA_S7_lS8_PT7_S7_li,@function
_ZL41rocblas_syrkx_herkx_small_restrict_kernelIi19rocblas_complex_numIdELi16ELb1ELb1ELc67ELc76EKPKS1_KPS1_EviT_T0_PT6_S7_lSA_S7_lS8_PT7_S7_li: ; @_ZL41rocblas_syrkx_herkx_small_restrict_kernelIi19rocblas_complex_numIdELi16ELb1ELb1ELc67ELc76EKPKS1_KPS1_EviT_T0_PT6_S7_lSA_S7_lS8_PT7_S7_li
; %bb.0:
	s_clause 0x1
	s_load_b64 s[2:3], s[0:1], 0x58
	s_load_b64 s[16:17], s[0:1], 0x18
	s_mov_b32 s8, s15
	s_mov_b32 s9, 0
	v_dual_mov_b32 v5, 0 :: v_dual_and_b32 v2, 0x3ff, v0
	s_lshl_b64 s[10:11], s[8:9], 3
	s_load_b32 s8, s[0:1], 0x4
	v_bfe_u32 v1, v0, 10, 10
	v_mov_b32_e32 v6, 0
	v_lshl_add_u32 v0, s13, 4, v2
	s_delay_alu instid0(VALU_DEP_3) | instskip(NEXT) | instid1(VALU_DEP_3)
	v_lshl_add_u32 v9, s14, 4, v1
	v_dual_mov_b32 v8, v6 :: v_dual_mov_b32 v7, v5
	s_waitcnt lgkmcnt(0)
	s_add_u32 s2, s2, s10
	s_addc_u32 s3, s3, s11
	s_load_b128 s[4:7], s[0:1], 0x8
	s_load_b64 s[2:3], s[2:3], 0x0
	s_cmp_lt_i32 s8, 1
	s_cbranch_scc1 .LBB886_3
; %bb.1:
	s_clause 0x2
	s_load_b64 s[12:13], s[0:1], 0x30
	s_load_b32 s14, s[0:1], 0x20
	s_load_b32 s15, s[0:1], 0x38
	v_dual_mov_b32 v5, 0 :: v_dual_lshlrev_b32 v12, 8, v1
	v_lshlrev_b32_e32 v14, 4, v1
	v_mov_b32_e32 v6, 0
	v_lshlrev_b32_e32 v10, 4, v2
	s_delay_alu instid0(VALU_DEP_4)
	v_add_nc_u32_e32 v11, 0x1000, v12
	s_waitcnt lgkmcnt(0)
	s_add_u32 s12, s12, s10
	s_addc_u32 s13, s13, s11
	s_add_u32 s10, s16, s10
	s_addc_u32 s11, s17, s11
	v_mad_i64_i32 v[3:4], null, s14, v0, 0
	s_load_b64 s[10:11], s[10:11], 0x0
	v_mad_i64_i32 v[7:8], null, s15, v9, 0
	s_load_b64 s[12:13], s[12:13], 0x0
	s_delay_alu instid0(VALU_DEP_2) | instskip(NEXT) | instid1(VALU_DEP_2)
	v_lshlrev_b64 v[1:2], 4, v[3:4]
	v_lshlrev_b64 v[3:4], 4, v[7:8]
	s_delay_alu instid0(VALU_DEP_2) | instskip(NEXT) | instid1(VALU_DEP_3)
	v_add_co_u32 v1, vcc_lo, v1, v14
	v_add_co_ci_u32_e32 v2, vcc_lo, 0, v2, vcc_lo
	s_delay_alu instid0(VALU_DEP_3) | instskip(NEXT) | instid1(VALU_DEP_4)
	v_add_co_u32 v3, vcc_lo, v3, v10
	v_add_co_ci_u32_e32 v4, vcc_lo, 0, v4, vcc_lo
	s_waitcnt lgkmcnt(0)
	v_add_co_u32 v7, vcc_lo, v1, s10
	v_add_co_ci_u32_e32 v8, vcc_lo, s11, v2, vcc_lo
	v_add_co_u32 v1, vcc_lo, s12, v3
	v_add_co_ci_u32_e32 v2, vcc_lo, s13, v4, vcc_lo
	s_delay_alu instid0(VALU_DEP_4) | instskip(NEXT) | instid1(VALU_DEP_4)
	v_add_co_u32 v3, vcc_lo, v7, 8
	v_add_co_ci_u32_e32 v4, vcc_lo, 0, v8, vcc_lo
	v_dual_mov_b32 v8, v6 :: v_dual_mov_b32 v7, v5
	v_add_nc_u32_e32 v12, v10, v12
	v_add_nc_u32_e32 v13, v11, v10
.LBB886_2:                              ; =>This Inner Loop Header: Depth=1
	global_load_b128 v[14:17], v[3:4], off offset:-8
	global_load_b128 v[18:21], v[1:2], off
	v_add_co_u32 v1, vcc_lo, 0x100, v1
	v_add_co_ci_u32_e32 v2, vcc_lo, 0, v2, vcc_lo
	v_add_co_u32 v3, vcc_lo, 0x100, v3
	v_add_co_ci_u32_e32 v4, vcc_lo, 0, v4, vcc_lo
	s_add_i32 s9, s9, 16
	s_delay_alu instid0(SALU_CYCLE_1)
	s_cmp_lt_i32 s9, s8
	s_waitcnt vmcnt(1)
	v_xor_b32_e32 v17, 0x80000000, v17
	ds_store_b128 v12, v[14:17]
	s_waitcnt vmcnt(0)
	ds_store_2addr_b64 v13, v[18:19], v[20:21] offset1:1
	s_waitcnt lgkmcnt(0)
	s_barrier
	buffer_gl0_inv
	ds_load_b128 v[14:17], v10
	ds_load_b128 v[18:21], v11
	ds_load_b128 v[22:25], v11 offset:16
	ds_load_b128 v[26:29], v10 offset:256
	s_waitcnt lgkmcnt(2)
	v_mul_f64 v[30:31], v[20:21], v[16:17]
	v_mul_f64 v[16:17], v[18:19], v[16:17]
	s_waitcnt lgkmcnt(0)
	v_mul_f64 v[36:37], v[24:25], v[28:29]
	v_mul_f64 v[38:39], v[22:23], v[28:29]
	s_delay_alu instid0(VALU_DEP_4) | instskip(NEXT) | instid1(VALU_DEP_4)
	v_fma_f64 v[40:41], v[18:19], v[14:15], -v[30:31]
	v_fma_f64 v[42:43], v[20:21], v[14:15], v[16:17]
	ds_load_b128 v[14:17], v10 offset:512
	ds_load_b128 v[18:21], v11 offset:32
	;; [unrolled: 1-line block ×4, first 2 shown]
	v_fma_f64 v[22:23], v[22:23], v[26:27], -v[36:37]
	v_fma_f64 v[24:25], v[24:25], v[26:27], v[38:39]
	s_waitcnt lgkmcnt(2)
	v_mul_f64 v[44:45], v[20:21], v[16:17]
	v_mul_f64 v[16:17], v[18:19], v[16:17]
	s_waitcnt lgkmcnt(0)
	v_mul_f64 v[26:27], v[30:31], v[34:35]
	v_mul_f64 v[34:35], v[28:29], v[34:35]
	v_add_f64 v[7:8], v[7:8], v[40:41]
	v_add_f64 v[5:6], v[5:6], v[42:43]
	v_fma_f64 v[36:37], v[18:19], v[14:15], -v[44:45]
	v_fma_f64 v[38:39], v[20:21], v[14:15], v[16:17]
	v_fma_f64 v[26:27], v[28:29], v[32:33], -v[26:27]
	v_fma_f64 v[28:29], v[30:31], v[32:33], v[34:35]
	v_add_f64 v[40:41], v[7:8], v[22:23]
	v_add_f64 v[42:43], v[5:6], v[24:25]
	ds_load_b128 v[5:8], v10 offset:1024
	ds_load_b128 v[14:17], v11 offset:64
	ds_load_b128 v[18:21], v11 offset:80
	ds_load_b128 v[22:25], v10 offset:1280
	s_waitcnt lgkmcnt(2)
	v_mul_f64 v[44:45], v[16:17], v[7:8]
	v_mul_f64 v[7:8], v[14:15], v[7:8]
	s_waitcnt lgkmcnt(0)
	v_mul_f64 v[34:35], v[20:21], v[24:25]
	v_add_f64 v[30:31], v[40:41], v[36:37]
	v_add_f64 v[32:33], v[42:43], v[38:39]
	v_mul_f64 v[36:37], v[18:19], v[24:25]
	v_fma_f64 v[38:39], v[14:15], v[5:6], -v[44:45]
	v_fma_f64 v[40:41], v[16:17], v[5:6], v[7:8]
	v_fma_f64 v[18:19], v[18:19], v[22:23], -v[34:35]
	v_add_f64 v[42:43], v[30:31], v[26:27]
	v_add_f64 v[32:33], v[32:33], v[28:29]
	ds_load_b128 v[5:8], v10 offset:1536
	ds_load_b128 v[14:17], v11 offset:96
	;; [unrolled: 1-line block ×4, first 2 shown]
	v_fma_f64 v[20:21], v[20:21], v[22:23], v[36:37]
	s_waitcnt lgkmcnt(2)
	v_mul_f64 v[44:45], v[16:17], v[7:8]
	v_mul_f64 v[7:8], v[14:15], v[7:8]
	s_waitcnt lgkmcnt(0)
	v_mul_f64 v[34:35], v[26:27], v[30:31]
	v_mul_f64 v[36:37], v[24:25], v[30:31]
	v_add_f64 v[22:23], v[42:43], v[38:39]
	v_add_f64 v[32:33], v[32:33], v[40:41]
	v_fma_f64 v[38:39], v[14:15], v[5:6], -v[44:45]
	v_fma_f64 v[40:41], v[16:17], v[5:6], v[7:8]
	v_fma_f64 v[24:25], v[24:25], v[28:29], -v[34:35]
	v_fma_f64 v[26:27], v[26:27], v[28:29], v[36:37]
	v_add_f64 v[22:23], v[22:23], v[18:19]
	v_add_f64 v[42:43], v[32:33], v[20:21]
	ds_load_b128 v[5:8], v10 offset:2048
	ds_load_b128 v[14:17], v11 offset:128
	;; [unrolled: 1-line block ×4, first 2 shown]
	s_waitcnt lgkmcnt(2)
	v_mul_f64 v[44:45], v[16:17], v[7:8]
	v_mul_f64 v[7:8], v[14:15], v[7:8]
	s_waitcnt lgkmcnt(0)
	v_mul_f64 v[34:35], v[20:21], v[32:33]
	v_mul_f64 v[32:33], v[18:19], v[32:33]
	v_add_f64 v[22:23], v[22:23], v[38:39]
	v_add_f64 v[28:29], v[42:43], v[40:41]
	v_fma_f64 v[36:37], v[14:15], v[5:6], -v[44:45]
	v_fma_f64 v[38:39], v[16:17], v[5:6], v[7:8]
	v_fma_f64 v[18:19], v[18:19], v[30:31], -v[34:35]
	v_fma_f64 v[20:21], v[20:21], v[30:31], v[32:33]
	v_add_f64 v[40:41], v[22:23], v[24:25]
	v_add_f64 v[42:43], v[28:29], v[26:27]
	ds_load_b128 v[5:8], v10 offset:2560
	ds_load_b128 v[14:17], v11 offset:160
	;; [unrolled: 1-line block ×4, first 2 shown]
	s_waitcnt lgkmcnt(2)
	v_mul_f64 v[44:45], v[16:17], v[7:8]
	v_mul_f64 v[7:8], v[14:15], v[7:8]
	s_waitcnt lgkmcnt(0)
	v_mul_f64 v[34:35], v[24:25], v[28:29]
	v_add_f64 v[30:31], v[40:41], v[36:37]
	v_add_f64 v[32:33], v[42:43], v[38:39]
	v_mul_f64 v[36:37], v[22:23], v[28:29]
	v_fma_f64 v[38:39], v[14:15], v[5:6], -v[44:45]
	v_fma_f64 v[40:41], v[16:17], v[5:6], v[7:8]
	v_fma_f64 v[22:23], v[22:23], v[26:27], -v[34:35]
	v_add_f64 v[42:43], v[30:31], v[18:19]
	v_add_f64 v[32:33], v[32:33], v[20:21]
	ds_load_b128 v[5:8], v10 offset:3072
	ds_load_b128 v[14:17], v11 offset:192
	;; [unrolled: 1-line block ×4, first 2 shown]
	v_fma_f64 v[24:25], v[24:25], v[26:27], v[36:37]
	s_waitcnt lgkmcnt(2)
	v_mul_f64 v[44:45], v[16:17], v[7:8]
	v_mul_f64 v[7:8], v[14:15], v[7:8]
	s_waitcnt lgkmcnt(0)
	v_mul_f64 v[34:35], v[20:21], v[30:31]
	v_mul_f64 v[36:37], v[18:19], v[30:31]
	v_add_f64 v[26:27], v[42:43], v[38:39]
	v_add_f64 v[32:33], v[32:33], v[40:41]
	v_fma_f64 v[38:39], v[14:15], v[5:6], -v[44:45]
	v_fma_f64 v[40:41], v[16:17], v[5:6], v[7:8]
	v_fma_f64 v[18:19], v[18:19], v[28:29], -v[34:35]
	v_fma_f64 v[20:21], v[20:21], v[28:29], v[36:37]
	v_add_f64 v[26:27], v[26:27], v[22:23]
	v_add_f64 v[42:43], v[32:33], v[24:25]
	ds_load_b128 v[5:8], v10 offset:3584
	ds_load_b128 v[14:17], v11 offset:224
	;; [unrolled: 1-line block ×4, first 2 shown]
	s_waitcnt lgkmcnt(0)
	s_barrier
	buffer_gl0_inv
	v_mul_f64 v[44:45], v[16:17], v[7:8]
	v_mul_f64 v[7:8], v[14:15], v[7:8]
	;; [unrolled: 1-line block ×4, first 2 shown]
	v_add_f64 v[26:27], v[26:27], v[38:39]
	v_add_f64 v[28:29], v[42:43], v[40:41]
	v_fma_f64 v[14:15], v[14:15], v[5:6], -v[44:45]
	v_fma_f64 v[5:6], v[16:17], v[5:6], v[7:8]
	s_delay_alu instid0(VALU_DEP_4) | instskip(NEXT) | instid1(VALU_DEP_4)
	v_add_f64 v[7:8], v[26:27], v[18:19]
	v_add_f64 v[16:17], v[28:29], v[20:21]
	v_fma_f64 v[18:19], v[22:23], v[30:31], -v[34:35]
	v_fma_f64 v[20:21], v[24:25], v[30:31], v[32:33]
	s_delay_alu instid0(VALU_DEP_4) | instskip(NEXT) | instid1(VALU_DEP_4)
	v_add_f64 v[7:8], v[7:8], v[14:15]
	v_add_f64 v[5:6], v[16:17], v[5:6]
	s_delay_alu instid0(VALU_DEP_2) | instskip(NEXT) | instid1(VALU_DEP_2)
	v_add_f64 v[7:8], v[7:8], v[18:19]
	v_add_f64 v[5:6], v[5:6], v[20:21]
	s_cbranch_scc1 .LBB886_2
.LBB886_3:
	s_mov_b32 s8, exec_lo
	v_cmpx_le_i32_e64 v9, v0
	s_cbranch_execz .LBB886_5
; %bb.4:
	s_waitcnt lgkmcnt(0)
	s_delay_alu instid0(VALU_DEP_2) | instskip(SKIP_2) | instid1(VALU_DEP_2)
	v_mul_f64 v[1:2], s[4:5], v[5:6]
	v_mul_f64 v[3:4], s[6:7], v[5:6]
	s_load_b32 s0, s[0:1], 0x60
	v_fma_f64 v[10:11], s[6:7], v[7:8], v[1:2]
	s_delay_alu instid0(VALU_DEP_2) | instskip(SKIP_3) | instid1(VALU_DEP_1)
	v_fma_f64 v[2:3], s[4:5], v[7:8], -v[3:4]
	s_waitcnt lgkmcnt(0)
	v_mad_i64_i32 v[4:5], null, s0, v9, 0
	v_ashrrev_i32_e32 v1, 31, v0
	v_lshlrev_b64 v[6:7], 4, v[0:1]
	s_delay_alu instid0(VALU_DEP_3) | instskip(NEXT) | instid1(VALU_DEP_1)
	v_lshlrev_b64 v[4:5], 4, v[4:5]
	v_add_co_u32 v1, vcc_lo, s2, v4
	s_delay_alu instid0(VALU_DEP_2) | instskip(SKIP_1) | instid1(VALU_DEP_3)
	v_add_co_ci_u32_e32 v4, vcc_lo, s3, v5, vcc_lo
	v_cmp_ne_u32_e32 vcc_lo, v0, v9
	v_add_co_u32 v0, s0, v1, v6
	s_delay_alu instid0(VALU_DEP_1)
	v_add_co_ci_u32_e64 v1, s0, v4, v7, s0
	v_dual_cndmask_b32 v5, 0, v11 :: v_dual_cndmask_b32 v4, 0, v10
	global_store_b128 v[0:1], v[2:5], off
.LBB886_5:
	s_nop 0
	s_sendmsg sendmsg(MSG_DEALLOC_VGPRS)
	s_endpgm
	.section	.rodata,"a",@progbits
	.p2align	6, 0x0
	.amdhsa_kernel _ZL41rocblas_syrkx_herkx_small_restrict_kernelIi19rocblas_complex_numIdELi16ELb1ELb1ELc67ELc76EKPKS1_KPS1_EviT_T0_PT6_S7_lSA_S7_lS8_PT7_S7_li
		.amdhsa_group_segment_fixed_size 8192
		.amdhsa_private_segment_fixed_size 0
		.amdhsa_kernarg_size 116
		.amdhsa_user_sgpr_count 13
		.amdhsa_user_sgpr_dispatch_ptr 0
		.amdhsa_user_sgpr_queue_ptr 0
		.amdhsa_user_sgpr_kernarg_segment_ptr 1
		.amdhsa_user_sgpr_dispatch_id 0
		.amdhsa_user_sgpr_private_segment_size 0
		.amdhsa_wavefront_size32 1
		.amdhsa_uses_dynamic_stack 0
		.amdhsa_enable_private_segment 0
		.amdhsa_system_sgpr_workgroup_id_x 1
		.amdhsa_system_sgpr_workgroup_id_y 1
		.amdhsa_system_sgpr_workgroup_id_z 1
		.amdhsa_system_sgpr_workgroup_info 0
		.amdhsa_system_vgpr_workitem_id 1
		.amdhsa_next_free_vgpr 46
		.amdhsa_next_free_sgpr 18
		.amdhsa_reserve_vcc 1
		.amdhsa_float_round_mode_32 0
		.amdhsa_float_round_mode_16_64 0
		.amdhsa_float_denorm_mode_32 3
		.amdhsa_float_denorm_mode_16_64 3
		.amdhsa_dx10_clamp 1
		.amdhsa_ieee_mode 1
		.amdhsa_fp16_overflow 0
		.amdhsa_workgroup_processor_mode 1
		.amdhsa_memory_ordered 1
		.amdhsa_forward_progress 0
		.amdhsa_shared_vgpr_count 0
		.amdhsa_exception_fp_ieee_invalid_op 0
		.amdhsa_exception_fp_denorm_src 0
		.amdhsa_exception_fp_ieee_div_zero 0
		.amdhsa_exception_fp_ieee_overflow 0
		.amdhsa_exception_fp_ieee_underflow 0
		.amdhsa_exception_fp_ieee_inexact 0
		.amdhsa_exception_int_div_zero 0
	.end_amdhsa_kernel
	.section	.text._ZL41rocblas_syrkx_herkx_small_restrict_kernelIi19rocblas_complex_numIdELi16ELb1ELb1ELc67ELc76EKPKS1_KPS1_EviT_T0_PT6_S7_lSA_S7_lS8_PT7_S7_li,"axG",@progbits,_ZL41rocblas_syrkx_herkx_small_restrict_kernelIi19rocblas_complex_numIdELi16ELb1ELb1ELc67ELc76EKPKS1_KPS1_EviT_T0_PT6_S7_lSA_S7_lS8_PT7_S7_li,comdat
.Lfunc_end886:
	.size	_ZL41rocblas_syrkx_herkx_small_restrict_kernelIi19rocblas_complex_numIdELi16ELb1ELb1ELc67ELc76EKPKS1_KPS1_EviT_T0_PT6_S7_lSA_S7_lS8_PT7_S7_li, .Lfunc_end886-_ZL41rocblas_syrkx_herkx_small_restrict_kernelIi19rocblas_complex_numIdELi16ELb1ELb1ELc67ELc76EKPKS1_KPS1_EviT_T0_PT6_S7_lSA_S7_lS8_PT7_S7_li
                                        ; -- End function
	.section	.AMDGPU.csdata,"",@progbits
; Kernel info:
; codeLenInByte = 1748
; NumSgprs: 20
; NumVgprs: 46
; ScratchSize: 0
; MemoryBound: 0
; FloatMode: 240
; IeeeMode: 1
; LDSByteSize: 8192 bytes/workgroup (compile time only)
; SGPRBlocks: 2
; VGPRBlocks: 5
; NumSGPRsForWavesPerEU: 20
; NumVGPRsForWavesPerEU: 46
; Occupancy: 16
; WaveLimiterHint : 1
; COMPUTE_PGM_RSRC2:SCRATCH_EN: 0
; COMPUTE_PGM_RSRC2:USER_SGPR: 13
; COMPUTE_PGM_RSRC2:TRAP_HANDLER: 0
; COMPUTE_PGM_RSRC2:TGID_X_EN: 1
; COMPUTE_PGM_RSRC2:TGID_Y_EN: 1
; COMPUTE_PGM_RSRC2:TGID_Z_EN: 1
; COMPUTE_PGM_RSRC2:TIDIG_COMP_CNT: 1
	.section	.text._ZL41rocblas_syrkx_herkx_small_restrict_kernelIi19rocblas_complex_numIdELi16ELb1ELb1ELc78ELc76EKPKS1_KPS1_EviT_T0_PT6_S7_lSA_S7_lS8_PT7_S7_li,"axG",@progbits,_ZL41rocblas_syrkx_herkx_small_restrict_kernelIi19rocblas_complex_numIdELi16ELb1ELb1ELc78ELc76EKPKS1_KPS1_EviT_T0_PT6_S7_lSA_S7_lS8_PT7_S7_li,comdat
	.globl	_ZL41rocblas_syrkx_herkx_small_restrict_kernelIi19rocblas_complex_numIdELi16ELb1ELb1ELc78ELc76EKPKS1_KPS1_EviT_T0_PT6_S7_lSA_S7_lS8_PT7_S7_li ; -- Begin function _ZL41rocblas_syrkx_herkx_small_restrict_kernelIi19rocblas_complex_numIdELi16ELb1ELb1ELc78ELc76EKPKS1_KPS1_EviT_T0_PT6_S7_lSA_S7_lS8_PT7_S7_li
	.p2align	8
	.type	_ZL41rocblas_syrkx_herkx_small_restrict_kernelIi19rocblas_complex_numIdELi16ELb1ELb1ELc78ELc76EKPKS1_KPS1_EviT_T0_PT6_S7_lSA_S7_lS8_PT7_S7_li,@function
_ZL41rocblas_syrkx_herkx_small_restrict_kernelIi19rocblas_complex_numIdELi16ELb1ELb1ELc78ELc76EKPKS1_KPS1_EviT_T0_PT6_S7_lSA_S7_lS8_PT7_S7_li: ; @_ZL41rocblas_syrkx_herkx_small_restrict_kernelIi19rocblas_complex_numIdELi16ELb1ELb1ELc78ELc76EKPKS1_KPS1_EviT_T0_PT6_S7_lSA_S7_lS8_PT7_S7_li
; %bb.0:
	s_clause 0x1
	s_load_b64 s[2:3], s[0:1], 0x58
	s_load_b64 s[16:17], s[0:1], 0x18
	s_mov_b32 s8, s15
	s_mov_b32 s9, 0
	v_and_b32_e32 v5, 0x3ff, v0
	s_lshl_b64 s[10:11], s[8:9], 3
	s_load_b32 s8, s[0:1], 0x4
	v_mov_b32_e32 v7, 0
	v_mov_b32_e32 v8, 0
	v_bfe_u32 v4, v0, 10, 10
	v_lshl_add_u32 v0, s13, 4, v5
	s_delay_alu instid0(VALU_DEP_3) | instskip(NEXT) | instid1(VALU_DEP_3)
	v_dual_mov_b32 v10, v8 :: v_dual_mov_b32 v9, v7
	v_lshl_add_u32 v2, s14, 4, v4
	s_delay_alu instid0(VALU_DEP_3)
	v_ashrrev_i32_e32 v1, 31, v0
	s_waitcnt lgkmcnt(0)
	s_add_u32 s2, s2, s10
	s_addc_u32 s3, s3, s11
	s_load_b128 s[4:7], s[0:1], 0x8
	s_load_b64 s[2:3], s[2:3], 0x0
	s_cmp_lt_i32 s8, 1
	s_cbranch_scc1 .LBB887_3
; %bb.1:
	s_clause 0x2
	s_load_b32 s12, s[0:1], 0x20
	s_load_b32 s14, s[0:1], 0x38
	s_load_b64 s[18:19], s[0:1], 0x30
	v_ashrrev_i32_e32 v3, 31, v2
	v_lshlrev_b32_e32 v13, 8, v4
	v_lshlrev_b32_e32 v11, 4, v5
	v_lshlrev_b64 v[9:10], 4, v[0:1]
	s_waitcnt lgkmcnt(0)
	s_ashr_i32 s13, s12, 31
	s_ashr_i32 s15, s14, 31
	s_add_u32 s18, s18, s10
	s_addc_u32 s19, s19, s11
	v_mad_i64_i32 v[6:7], null, s14, v5, 0
	s_load_b64 s[18:19], s[18:19], 0x0
	s_add_u32 s10, s16, s10
	s_addc_u32 s11, s17, s11
	v_mad_i64_i32 v[15:16], null, s12, v4, 0
	s_load_b64 s[10:11], s[10:11], 0x0
	v_lshlrev_b64 v[3:4], 4, v[2:3]
	s_delay_alu instid0(VALU_DEP_3)
	v_lshlrev_b64 v[5:6], 4, v[6:7]
	v_mov_b32_e32 v7, 0
	v_mov_b32_e32 v8, 0
	v_add_nc_u32_e32 v12, 0x1000, v13
	v_lshlrev_b64 v[15:16], 4, v[15:16]
	s_lshl_b64 s[12:13], s[12:13], 8
	v_add_co_u32 v3, vcc_lo, v5, v3
	v_add_co_ci_u32_e32 v4, vcc_lo, v6, v4, vcc_lo
	s_delay_alu instid0(VALU_DEP_3) | instskip(NEXT) | instid1(VALU_DEP_4)
	v_add_co_u32 v5, vcc_lo, v15, v9
	v_add_co_ci_u32_e32 v6, vcc_lo, v16, v10, vcc_lo
	s_waitcnt lgkmcnt(0)
	v_add_co_u32 v9, vcc_lo, v3, s18
	v_add_co_ci_u32_e32 v10, vcc_lo, s19, v4, vcc_lo
	v_add_co_u32 v3, vcc_lo, s10, v5
	v_add_co_ci_u32_e32 v4, vcc_lo, s11, v6, vcc_lo
	s_delay_alu instid0(VALU_DEP_4) | instskip(NEXT) | instid1(VALU_DEP_4)
	v_add_co_u32 v5, vcc_lo, v9, 8
	v_add_co_ci_u32_e32 v6, vcc_lo, 0, v10, vcc_lo
	v_dual_mov_b32 v10, v8 :: v_dual_mov_b32 v9, v7
	v_add_nc_u32_e32 v13, v11, v13
	v_add_nc_u32_e32 v14, v12, v11
	s_lshl_b64 s[10:11], s[14:15], 8
.LBB887_2:                              ; =>This Inner Loop Header: Depth=1
	global_load_b128 v[15:18], v[5:6], off offset:-8
	global_load_b128 v[19:22], v[3:4], off
	v_add_co_u32 v5, vcc_lo, v5, s10
	v_add_co_ci_u32_e32 v6, vcc_lo, s11, v6, vcc_lo
	v_add_co_u32 v3, vcc_lo, v3, s12
	v_add_co_ci_u32_e32 v4, vcc_lo, s13, v4, vcc_lo
	s_add_i32 s9, s9, 16
	s_delay_alu instid0(SALU_CYCLE_1)
	s_cmp_lt_i32 s9, s8
	s_waitcnt vmcnt(1)
	v_xor_b32_e32 v18, 0x80000000, v18
	s_waitcnt vmcnt(0)
	ds_store_2addr_b64 v13, v[19:20], v[21:22] offset1:1
	ds_store_b128 v14, v[15:18]
	s_waitcnt lgkmcnt(0)
	s_barrier
	buffer_gl0_inv
	ds_load_b128 v[15:18], v11
	ds_load_b128 v[19:22], v12
	ds_load_b128 v[23:26], v12 offset:16
	ds_load_b128 v[27:30], v11 offset:256
	s_waitcnt lgkmcnt(2)
	v_mul_f64 v[31:32], v[21:22], v[17:18]
	v_mul_f64 v[17:18], v[19:20], v[17:18]
	s_waitcnt lgkmcnt(0)
	v_mul_f64 v[37:38], v[25:26], v[29:30]
	v_mul_f64 v[39:40], v[23:24], v[29:30]
	s_delay_alu instid0(VALU_DEP_4) | instskip(NEXT) | instid1(VALU_DEP_4)
	v_fma_f64 v[41:42], v[19:20], v[15:16], -v[31:32]
	v_fma_f64 v[43:44], v[21:22], v[15:16], v[17:18]
	ds_load_b128 v[15:18], v11 offset:512
	ds_load_b128 v[19:22], v12 offset:32
	;; [unrolled: 1-line block ×4, first 2 shown]
	v_fma_f64 v[23:24], v[23:24], v[27:28], -v[37:38]
	v_fma_f64 v[25:26], v[25:26], v[27:28], v[39:40]
	s_waitcnt lgkmcnt(2)
	v_mul_f64 v[45:46], v[21:22], v[17:18]
	v_mul_f64 v[17:18], v[19:20], v[17:18]
	s_waitcnt lgkmcnt(0)
	v_mul_f64 v[27:28], v[31:32], v[35:36]
	v_mul_f64 v[35:36], v[29:30], v[35:36]
	v_add_f64 v[9:10], v[9:10], v[41:42]
	v_add_f64 v[7:8], v[7:8], v[43:44]
	v_fma_f64 v[37:38], v[19:20], v[15:16], -v[45:46]
	v_fma_f64 v[39:40], v[21:22], v[15:16], v[17:18]
	v_fma_f64 v[27:28], v[29:30], v[33:34], -v[27:28]
	v_fma_f64 v[29:30], v[31:32], v[33:34], v[35:36]
	v_add_f64 v[41:42], v[9:10], v[23:24]
	v_add_f64 v[43:44], v[7:8], v[25:26]
	ds_load_b128 v[7:10], v11 offset:1024
	ds_load_b128 v[15:18], v12 offset:64
	;; [unrolled: 1-line block ×4, first 2 shown]
	s_waitcnt lgkmcnt(2)
	v_mul_f64 v[45:46], v[17:18], v[9:10]
	v_mul_f64 v[9:10], v[15:16], v[9:10]
	s_waitcnt lgkmcnt(0)
	v_mul_f64 v[35:36], v[21:22], v[25:26]
	v_add_f64 v[31:32], v[41:42], v[37:38]
	v_add_f64 v[33:34], v[43:44], v[39:40]
	v_mul_f64 v[37:38], v[19:20], v[25:26]
	v_fma_f64 v[39:40], v[15:16], v[7:8], -v[45:46]
	v_fma_f64 v[41:42], v[17:18], v[7:8], v[9:10]
	v_fma_f64 v[19:20], v[19:20], v[23:24], -v[35:36]
	v_add_f64 v[43:44], v[31:32], v[27:28]
	v_add_f64 v[33:34], v[33:34], v[29:30]
	ds_load_b128 v[7:10], v11 offset:1536
	ds_load_b128 v[15:18], v12 offset:96
	;; [unrolled: 1-line block ×4, first 2 shown]
	v_fma_f64 v[21:22], v[21:22], v[23:24], v[37:38]
	s_waitcnt lgkmcnt(2)
	v_mul_f64 v[45:46], v[17:18], v[9:10]
	v_mul_f64 v[9:10], v[15:16], v[9:10]
	s_waitcnt lgkmcnt(0)
	v_mul_f64 v[35:36], v[27:28], v[31:32]
	v_mul_f64 v[37:38], v[25:26], v[31:32]
	v_add_f64 v[23:24], v[43:44], v[39:40]
	v_add_f64 v[33:34], v[33:34], v[41:42]
	v_fma_f64 v[39:40], v[15:16], v[7:8], -v[45:46]
	v_fma_f64 v[41:42], v[17:18], v[7:8], v[9:10]
	v_fma_f64 v[25:26], v[25:26], v[29:30], -v[35:36]
	v_fma_f64 v[27:28], v[27:28], v[29:30], v[37:38]
	v_add_f64 v[23:24], v[23:24], v[19:20]
	v_add_f64 v[43:44], v[33:34], v[21:22]
	ds_load_b128 v[7:10], v11 offset:2048
	ds_load_b128 v[15:18], v12 offset:128
	;; [unrolled: 1-line block ×4, first 2 shown]
	s_waitcnt lgkmcnt(2)
	v_mul_f64 v[45:46], v[17:18], v[9:10]
	v_mul_f64 v[9:10], v[15:16], v[9:10]
	s_waitcnt lgkmcnt(0)
	v_mul_f64 v[35:36], v[21:22], v[33:34]
	v_mul_f64 v[33:34], v[19:20], v[33:34]
	v_add_f64 v[23:24], v[23:24], v[39:40]
	v_add_f64 v[29:30], v[43:44], v[41:42]
	v_fma_f64 v[37:38], v[15:16], v[7:8], -v[45:46]
	v_fma_f64 v[39:40], v[17:18], v[7:8], v[9:10]
	v_fma_f64 v[19:20], v[19:20], v[31:32], -v[35:36]
	v_fma_f64 v[21:22], v[21:22], v[31:32], v[33:34]
	v_add_f64 v[41:42], v[23:24], v[25:26]
	v_add_f64 v[43:44], v[29:30], v[27:28]
	ds_load_b128 v[7:10], v11 offset:2560
	ds_load_b128 v[15:18], v12 offset:160
	;; [unrolled: 1-line block ×4, first 2 shown]
	s_waitcnt lgkmcnt(2)
	v_mul_f64 v[45:46], v[17:18], v[9:10]
	v_mul_f64 v[9:10], v[15:16], v[9:10]
	s_waitcnt lgkmcnt(0)
	v_mul_f64 v[35:36], v[25:26], v[29:30]
	v_add_f64 v[31:32], v[41:42], v[37:38]
	v_add_f64 v[33:34], v[43:44], v[39:40]
	v_mul_f64 v[37:38], v[23:24], v[29:30]
	v_fma_f64 v[39:40], v[15:16], v[7:8], -v[45:46]
	v_fma_f64 v[41:42], v[17:18], v[7:8], v[9:10]
	v_fma_f64 v[23:24], v[23:24], v[27:28], -v[35:36]
	v_add_f64 v[43:44], v[31:32], v[19:20]
	v_add_f64 v[33:34], v[33:34], v[21:22]
	ds_load_b128 v[7:10], v11 offset:3072
	ds_load_b128 v[15:18], v12 offset:192
	;; [unrolled: 1-line block ×4, first 2 shown]
	v_fma_f64 v[25:26], v[25:26], v[27:28], v[37:38]
	s_waitcnt lgkmcnt(2)
	v_mul_f64 v[45:46], v[17:18], v[9:10]
	v_mul_f64 v[9:10], v[15:16], v[9:10]
	s_waitcnt lgkmcnt(0)
	v_mul_f64 v[35:36], v[21:22], v[31:32]
	v_mul_f64 v[37:38], v[19:20], v[31:32]
	v_add_f64 v[27:28], v[43:44], v[39:40]
	v_add_f64 v[33:34], v[33:34], v[41:42]
	v_fma_f64 v[39:40], v[15:16], v[7:8], -v[45:46]
	v_fma_f64 v[41:42], v[17:18], v[7:8], v[9:10]
	v_fma_f64 v[19:20], v[19:20], v[29:30], -v[35:36]
	v_fma_f64 v[21:22], v[21:22], v[29:30], v[37:38]
	v_add_f64 v[27:28], v[27:28], v[23:24]
	v_add_f64 v[43:44], v[33:34], v[25:26]
	ds_load_b128 v[7:10], v11 offset:3584
	ds_load_b128 v[15:18], v12 offset:224
	;; [unrolled: 1-line block ×4, first 2 shown]
	s_waitcnt lgkmcnt(0)
	s_barrier
	buffer_gl0_inv
	v_mul_f64 v[45:46], v[17:18], v[9:10]
	v_mul_f64 v[9:10], v[15:16], v[9:10]
	;; [unrolled: 1-line block ×4, first 2 shown]
	v_add_f64 v[27:28], v[27:28], v[39:40]
	v_add_f64 v[29:30], v[43:44], v[41:42]
	v_fma_f64 v[15:16], v[15:16], v[7:8], -v[45:46]
	v_fma_f64 v[7:8], v[17:18], v[7:8], v[9:10]
	s_delay_alu instid0(VALU_DEP_4) | instskip(NEXT) | instid1(VALU_DEP_4)
	v_add_f64 v[9:10], v[27:28], v[19:20]
	v_add_f64 v[17:18], v[29:30], v[21:22]
	v_fma_f64 v[19:20], v[23:24], v[31:32], -v[35:36]
	v_fma_f64 v[21:22], v[25:26], v[31:32], v[33:34]
	s_delay_alu instid0(VALU_DEP_4) | instskip(NEXT) | instid1(VALU_DEP_4)
	v_add_f64 v[9:10], v[9:10], v[15:16]
	v_add_f64 v[7:8], v[17:18], v[7:8]
	s_delay_alu instid0(VALU_DEP_2) | instskip(NEXT) | instid1(VALU_DEP_2)
	v_add_f64 v[9:10], v[9:10], v[19:20]
	v_add_f64 v[7:8], v[7:8], v[21:22]
	s_cbranch_scc1 .LBB887_2
.LBB887_3:
	s_mov_b32 s8, exec_lo
	v_cmpx_le_i32_e64 v2, v0
	s_cbranch_execz .LBB887_5
; %bb.4:
	s_waitcnt lgkmcnt(0)
	s_delay_alu instid0(VALU_DEP_2) | instskip(SKIP_2) | instid1(VALU_DEP_2)
	v_mul_f64 v[3:4], s[4:5], v[7:8]
	v_mul_f64 v[5:6], s[6:7], v[7:8]
	s_load_b32 s0, s[0:1], 0x60
	v_fma_f64 v[7:8], s[6:7], v[9:10], v[3:4]
	s_delay_alu instid0(VALU_DEP_2) | instskip(SKIP_3) | instid1(VALU_DEP_2)
	v_fma_f64 v[3:4], s[4:5], v[9:10], -v[5:6]
	s_waitcnt lgkmcnt(0)
	v_mad_i64_i32 v[5:6], null, s0, v2, 0
	v_lshlrev_b64 v[9:10], 4, v[0:1]
	v_lshlrev_b64 v[5:6], 4, v[5:6]
	s_delay_alu instid0(VALU_DEP_1) | instskip(NEXT) | instid1(VALU_DEP_2)
	v_add_co_u32 v1, vcc_lo, s2, v5
	v_add_co_ci_u32_e32 v5, vcc_lo, s3, v6, vcc_lo
	v_cmp_ne_u32_e32 vcc_lo, v0, v2
	s_delay_alu instid0(VALU_DEP_3) | instskip(NEXT) | instid1(VALU_DEP_1)
	v_add_co_u32 v0, s0, v1, v9
	v_add_co_ci_u32_e64 v1, s0, v5, v10, s0
	v_dual_cndmask_b32 v6, 0, v8 :: v_dual_cndmask_b32 v5, 0, v7
	global_store_b128 v[0:1], v[3:6], off
.LBB887_5:
	s_nop 0
	s_sendmsg sendmsg(MSG_DEALLOC_VGPRS)
	s_endpgm
	.section	.rodata,"a",@progbits
	.p2align	6, 0x0
	.amdhsa_kernel _ZL41rocblas_syrkx_herkx_small_restrict_kernelIi19rocblas_complex_numIdELi16ELb1ELb1ELc78ELc76EKPKS1_KPS1_EviT_T0_PT6_S7_lSA_S7_lS8_PT7_S7_li
		.amdhsa_group_segment_fixed_size 8192
		.amdhsa_private_segment_fixed_size 0
		.amdhsa_kernarg_size 116
		.amdhsa_user_sgpr_count 13
		.amdhsa_user_sgpr_dispatch_ptr 0
		.amdhsa_user_sgpr_queue_ptr 0
		.amdhsa_user_sgpr_kernarg_segment_ptr 1
		.amdhsa_user_sgpr_dispatch_id 0
		.amdhsa_user_sgpr_private_segment_size 0
		.amdhsa_wavefront_size32 1
		.amdhsa_uses_dynamic_stack 0
		.amdhsa_enable_private_segment 0
		.amdhsa_system_sgpr_workgroup_id_x 1
		.amdhsa_system_sgpr_workgroup_id_y 1
		.amdhsa_system_sgpr_workgroup_id_z 1
		.amdhsa_system_sgpr_workgroup_info 0
		.amdhsa_system_vgpr_workitem_id 1
		.amdhsa_next_free_vgpr 47
		.amdhsa_next_free_sgpr 20
		.amdhsa_reserve_vcc 1
		.amdhsa_float_round_mode_32 0
		.amdhsa_float_round_mode_16_64 0
		.amdhsa_float_denorm_mode_32 3
		.amdhsa_float_denorm_mode_16_64 3
		.amdhsa_dx10_clamp 1
		.amdhsa_ieee_mode 1
		.amdhsa_fp16_overflow 0
		.amdhsa_workgroup_processor_mode 1
		.amdhsa_memory_ordered 1
		.amdhsa_forward_progress 0
		.amdhsa_shared_vgpr_count 0
		.amdhsa_exception_fp_ieee_invalid_op 0
		.amdhsa_exception_fp_denorm_src 0
		.amdhsa_exception_fp_ieee_div_zero 0
		.amdhsa_exception_fp_ieee_overflow 0
		.amdhsa_exception_fp_ieee_underflow 0
		.amdhsa_exception_fp_ieee_inexact 0
		.amdhsa_exception_int_div_zero 0
	.end_amdhsa_kernel
	.section	.text._ZL41rocblas_syrkx_herkx_small_restrict_kernelIi19rocblas_complex_numIdELi16ELb1ELb1ELc78ELc76EKPKS1_KPS1_EviT_T0_PT6_S7_lSA_S7_lS8_PT7_S7_li,"axG",@progbits,_ZL41rocblas_syrkx_herkx_small_restrict_kernelIi19rocblas_complex_numIdELi16ELb1ELb1ELc78ELc76EKPKS1_KPS1_EviT_T0_PT6_S7_lSA_S7_lS8_PT7_S7_li,comdat
.Lfunc_end887:
	.size	_ZL41rocblas_syrkx_herkx_small_restrict_kernelIi19rocblas_complex_numIdELi16ELb1ELb1ELc78ELc76EKPKS1_KPS1_EviT_T0_PT6_S7_lSA_S7_lS8_PT7_S7_li, .Lfunc_end887-_ZL41rocblas_syrkx_herkx_small_restrict_kernelIi19rocblas_complex_numIdELi16ELb1ELb1ELc78ELc76EKPKS1_KPS1_EviT_T0_PT6_S7_lSA_S7_lS8_PT7_S7_li
                                        ; -- End function
	.section	.AMDGPU.csdata,"",@progbits
; Kernel info:
; codeLenInByte = 1764
; NumSgprs: 22
; NumVgprs: 47
; ScratchSize: 0
; MemoryBound: 0
; FloatMode: 240
; IeeeMode: 1
; LDSByteSize: 8192 bytes/workgroup (compile time only)
; SGPRBlocks: 2
; VGPRBlocks: 5
; NumSGPRsForWavesPerEU: 22
; NumVGPRsForWavesPerEU: 47
; Occupancy: 16
; WaveLimiterHint : 1
; COMPUTE_PGM_RSRC2:SCRATCH_EN: 0
; COMPUTE_PGM_RSRC2:USER_SGPR: 13
; COMPUTE_PGM_RSRC2:TRAP_HANDLER: 0
; COMPUTE_PGM_RSRC2:TGID_X_EN: 1
; COMPUTE_PGM_RSRC2:TGID_Y_EN: 1
; COMPUTE_PGM_RSRC2:TGID_Z_EN: 1
; COMPUTE_PGM_RSRC2:TIDIG_COMP_CNT: 1
	.section	.text._ZL41rocblas_syrkx_herkx_small_restrict_kernelIi19rocblas_complex_numIdELi16ELb1ELb1ELc84ELc85EKPKS1_KPS1_EviT_T0_PT6_S7_lSA_S7_lS8_PT7_S7_li,"axG",@progbits,_ZL41rocblas_syrkx_herkx_small_restrict_kernelIi19rocblas_complex_numIdELi16ELb1ELb1ELc84ELc85EKPKS1_KPS1_EviT_T0_PT6_S7_lSA_S7_lS8_PT7_S7_li,comdat
	.globl	_ZL41rocblas_syrkx_herkx_small_restrict_kernelIi19rocblas_complex_numIdELi16ELb1ELb1ELc84ELc85EKPKS1_KPS1_EviT_T0_PT6_S7_lSA_S7_lS8_PT7_S7_li ; -- Begin function _ZL41rocblas_syrkx_herkx_small_restrict_kernelIi19rocblas_complex_numIdELi16ELb1ELb1ELc84ELc85EKPKS1_KPS1_EviT_T0_PT6_S7_lSA_S7_lS8_PT7_S7_li
	.p2align	8
	.type	_ZL41rocblas_syrkx_herkx_small_restrict_kernelIi19rocblas_complex_numIdELi16ELb1ELb1ELc84ELc85EKPKS1_KPS1_EviT_T0_PT6_S7_lSA_S7_lS8_PT7_S7_li,@function
_ZL41rocblas_syrkx_herkx_small_restrict_kernelIi19rocblas_complex_numIdELi16ELb1ELb1ELc84ELc85EKPKS1_KPS1_EviT_T0_PT6_S7_lSA_S7_lS8_PT7_S7_li: ; @_ZL41rocblas_syrkx_herkx_small_restrict_kernelIi19rocblas_complex_numIdELi16ELb1ELb1ELc84ELc85EKPKS1_KPS1_EviT_T0_PT6_S7_lSA_S7_lS8_PT7_S7_li
; %bb.0:
	s_clause 0x1
	s_load_b64 s[2:3], s[0:1], 0x58
	s_load_b64 s[16:17], s[0:1], 0x18
	s_mov_b32 s8, s15
	s_mov_b32 s9, 0
	v_dual_mov_b32 v5, 0 :: v_dual_and_b32 v2, 0x3ff, v0
	s_lshl_b64 s[10:11], s[8:9], 3
	s_load_b32 s8, s[0:1], 0x4
	v_bfe_u32 v1, v0, 10, 10
	v_mov_b32_e32 v6, 0
	v_lshl_add_u32 v0, s13, 4, v2
	s_delay_alu instid0(VALU_DEP_3) | instskip(NEXT) | instid1(VALU_DEP_3)
	v_lshl_add_u32 v9, s14, 4, v1
	v_dual_mov_b32 v8, v6 :: v_dual_mov_b32 v7, v5
	s_waitcnt lgkmcnt(0)
	s_add_u32 s2, s2, s10
	s_addc_u32 s3, s3, s11
	s_load_b128 s[4:7], s[0:1], 0x8
	s_load_b64 s[2:3], s[2:3], 0x0
	s_cmp_lt_i32 s8, 1
	s_cbranch_scc1 .LBB888_3
; %bb.1:
	s_clause 0x2
	s_load_b64 s[12:13], s[0:1], 0x30
	s_load_b32 s14, s[0:1], 0x38
	s_load_b32 s15, s[0:1], 0x20
	v_dual_mov_b32 v5, 0 :: v_dual_lshlrev_b32 v4, 8, v1
	v_lshlrev_b32_e32 v14, 4, v1
	v_mov_b32_e32 v6, 0
	v_lshlrev_b32_e32 v10, 4, v2
	s_delay_alu instid0(VALU_DEP_4) | instskip(NEXT) | instid1(VALU_DEP_2)
	v_add_nc_u32_e32 v11, 0x1000, v4
	v_add_nc_u32_e32 v12, v10, v4
	s_waitcnt lgkmcnt(0)
	s_add_u32 s12, s12, s10
	s_addc_u32 s13, s13, s11
	v_mad_i64_i32 v[2:3], null, s14, v9, 0
	s_load_b64 s[12:13], s[12:13], 0x0
	s_add_u32 s10, s16, s10
	s_addc_u32 s11, s17, s11
	v_mad_i64_i32 v[7:8], null, s15, v0, 0
	s_load_b64 s[10:11], s[10:11], 0x0
	s_delay_alu instid0(VALU_DEP_2) | instskip(NEXT) | instid1(VALU_DEP_2)
	v_lshlrev_b64 v[1:2], 4, v[2:3]
	v_lshlrev_b64 v[3:4], 4, v[7:8]
	v_dual_mov_b32 v8, v6 :: v_dual_mov_b32 v7, v5
	s_delay_alu instid0(VALU_DEP_3) | instskip(NEXT) | instid1(VALU_DEP_4)
	v_add_co_u32 v1, vcc_lo, v1, v10
	v_add_co_ci_u32_e32 v2, vcc_lo, 0, v2, vcc_lo
	s_delay_alu instid0(VALU_DEP_4)
	v_add_co_u32 v3, vcc_lo, v3, v14
	v_add_co_ci_u32_e32 v4, vcc_lo, 0, v4, vcc_lo
	s_waitcnt lgkmcnt(0)
	v_add_co_u32 v1, vcc_lo, s12, v1
	v_add_co_ci_u32_e32 v2, vcc_lo, s13, v2, vcc_lo
	v_add_co_u32 v3, vcc_lo, s10, v3
	v_add_nc_u32_e32 v13, v11, v10
	v_add_co_ci_u32_e32 v4, vcc_lo, s11, v4, vcc_lo
.LBB888_2:                              ; =>This Inner Loop Header: Depth=1
	global_load_b128 v[14:17], v[3:4], off
	global_load_b128 v[18:21], v[1:2], off
	v_add_co_u32 v1, vcc_lo, 0x100, v1
	v_add_co_ci_u32_e32 v2, vcc_lo, 0, v2, vcc_lo
	v_add_co_u32 v3, vcc_lo, 0x100, v3
	v_add_co_ci_u32_e32 v4, vcc_lo, 0, v4, vcc_lo
	s_add_i32 s9, s9, 16
	s_waitcnt vmcnt(1)
	ds_store_2addr_b64 v12, v[14:15], v[16:17] offset1:1
	s_waitcnt vmcnt(0)
	ds_store_2addr_b64 v13, v[18:19], v[20:21] offset1:1
	s_waitcnt lgkmcnt(0)
	s_barrier
	buffer_gl0_inv
	ds_load_b128 v[14:17], v10
	ds_load_b128 v[18:21], v11
	ds_load_b128 v[22:25], v11 offset:16
	ds_load_b128 v[26:29], v10 offset:256
	s_cmp_lt_i32 s9, s8
	s_waitcnt lgkmcnt(2)
	v_mul_f64 v[30:31], v[20:21], v[16:17]
	v_mul_f64 v[16:17], v[18:19], v[16:17]
	s_waitcnt lgkmcnt(0)
	v_mul_f64 v[36:37], v[24:25], v[28:29]
	v_mul_f64 v[38:39], v[22:23], v[28:29]
	s_delay_alu instid0(VALU_DEP_4) | instskip(NEXT) | instid1(VALU_DEP_4)
	v_fma_f64 v[40:41], v[18:19], v[14:15], -v[30:31]
	v_fma_f64 v[42:43], v[20:21], v[14:15], v[16:17]
	ds_load_b128 v[14:17], v10 offset:512
	ds_load_b128 v[18:21], v11 offset:32
	ds_load_b128 v[28:31], v11 offset:48
	ds_load_b128 v[32:35], v10 offset:768
	v_fma_f64 v[22:23], v[22:23], v[26:27], -v[36:37]
	v_fma_f64 v[24:25], v[24:25], v[26:27], v[38:39]
	s_waitcnt lgkmcnt(2)
	v_mul_f64 v[44:45], v[20:21], v[16:17]
	v_mul_f64 v[16:17], v[18:19], v[16:17]
	s_waitcnt lgkmcnt(0)
	v_mul_f64 v[26:27], v[30:31], v[34:35]
	v_mul_f64 v[34:35], v[28:29], v[34:35]
	v_add_f64 v[7:8], v[7:8], v[40:41]
	v_add_f64 v[5:6], v[5:6], v[42:43]
	v_fma_f64 v[36:37], v[18:19], v[14:15], -v[44:45]
	v_fma_f64 v[38:39], v[20:21], v[14:15], v[16:17]
	v_fma_f64 v[26:27], v[28:29], v[32:33], -v[26:27]
	v_fma_f64 v[28:29], v[30:31], v[32:33], v[34:35]
	v_add_f64 v[40:41], v[7:8], v[22:23]
	v_add_f64 v[42:43], v[5:6], v[24:25]
	ds_load_b128 v[5:8], v10 offset:1024
	ds_load_b128 v[14:17], v11 offset:64
	;; [unrolled: 1-line block ×4, first 2 shown]
	s_waitcnt lgkmcnt(2)
	v_mul_f64 v[44:45], v[16:17], v[7:8]
	v_mul_f64 v[7:8], v[14:15], v[7:8]
	s_waitcnt lgkmcnt(0)
	v_mul_f64 v[34:35], v[20:21], v[24:25]
	v_add_f64 v[30:31], v[40:41], v[36:37]
	v_add_f64 v[32:33], v[42:43], v[38:39]
	v_mul_f64 v[36:37], v[18:19], v[24:25]
	v_fma_f64 v[38:39], v[14:15], v[5:6], -v[44:45]
	v_fma_f64 v[40:41], v[16:17], v[5:6], v[7:8]
	v_fma_f64 v[18:19], v[18:19], v[22:23], -v[34:35]
	v_add_f64 v[42:43], v[30:31], v[26:27]
	v_add_f64 v[32:33], v[32:33], v[28:29]
	ds_load_b128 v[5:8], v10 offset:1536
	ds_load_b128 v[14:17], v11 offset:96
	;; [unrolled: 1-line block ×4, first 2 shown]
	v_fma_f64 v[20:21], v[20:21], v[22:23], v[36:37]
	s_waitcnt lgkmcnt(2)
	v_mul_f64 v[44:45], v[16:17], v[7:8]
	v_mul_f64 v[7:8], v[14:15], v[7:8]
	s_waitcnt lgkmcnt(0)
	v_mul_f64 v[34:35], v[26:27], v[30:31]
	v_mul_f64 v[36:37], v[24:25], v[30:31]
	v_add_f64 v[22:23], v[42:43], v[38:39]
	v_add_f64 v[32:33], v[32:33], v[40:41]
	v_fma_f64 v[38:39], v[14:15], v[5:6], -v[44:45]
	v_fma_f64 v[40:41], v[16:17], v[5:6], v[7:8]
	v_fma_f64 v[24:25], v[24:25], v[28:29], -v[34:35]
	v_fma_f64 v[26:27], v[26:27], v[28:29], v[36:37]
	v_add_f64 v[22:23], v[22:23], v[18:19]
	v_add_f64 v[42:43], v[32:33], v[20:21]
	ds_load_b128 v[5:8], v10 offset:2048
	ds_load_b128 v[14:17], v11 offset:128
	;; [unrolled: 1-line block ×4, first 2 shown]
	s_waitcnt lgkmcnt(2)
	v_mul_f64 v[44:45], v[16:17], v[7:8]
	v_mul_f64 v[7:8], v[14:15], v[7:8]
	s_waitcnt lgkmcnt(0)
	v_mul_f64 v[34:35], v[20:21], v[32:33]
	v_mul_f64 v[32:33], v[18:19], v[32:33]
	v_add_f64 v[22:23], v[22:23], v[38:39]
	v_add_f64 v[28:29], v[42:43], v[40:41]
	v_fma_f64 v[36:37], v[14:15], v[5:6], -v[44:45]
	v_fma_f64 v[38:39], v[16:17], v[5:6], v[7:8]
	v_fma_f64 v[18:19], v[18:19], v[30:31], -v[34:35]
	v_fma_f64 v[20:21], v[20:21], v[30:31], v[32:33]
	v_add_f64 v[40:41], v[22:23], v[24:25]
	v_add_f64 v[42:43], v[28:29], v[26:27]
	ds_load_b128 v[5:8], v10 offset:2560
	ds_load_b128 v[14:17], v11 offset:160
	;; [unrolled: 1-line block ×4, first 2 shown]
	s_waitcnt lgkmcnt(2)
	v_mul_f64 v[44:45], v[16:17], v[7:8]
	v_mul_f64 v[7:8], v[14:15], v[7:8]
	s_waitcnt lgkmcnt(0)
	v_mul_f64 v[34:35], v[24:25], v[28:29]
	v_add_f64 v[30:31], v[40:41], v[36:37]
	v_add_f64 v[32:33], v[42:43], v[38:39]
	v_mul_f64 v[36:37], v[22:23], v[28:29]
	v_fma_f64 v[38:39], v[14:15], v[5:6], -v[44:45]
	v_fma_f64 v[40:41], v[16:17], v[5:6], v[7:8]
	v_fma_f64 v[22:23], v[22:23], v[26:27], -v[34:35]
	v_add_f64 v[42:43], v[30:31], v[18:19]
	v_add_f64 v[32:33], v[32:33], v[20:21]
	ds_load_b128 v[5:8], v10 offset:3072
	ds_load_b128 v[14:17], v11 offset:192
	;; [unrolled: 1-line block ×4, first 2 shown]
	v_fma_f64 v[24:25], v[24:25], v[26:27], v[36:37]
	s_waitcnt lgkmcnt(2)
	v_mul_f64 v[44:45], v[16:17], v[7:8]
	v_mul_f64 v[7:8], v[14:15], v[7:8]
	s_waitcnt lgkmcnt(0)
	v_mul_f64 v[34:35], v[20:21], v[30:31]
	v_mul_f64 v[36:37], v[18:19], v[30:31]
	v_add_f64 v[26:27], v[42:43], v[38:39]
	v_add_f64 v[32:33], v[32:33], v[40:41]
	v_fma_f64 v[38:39], v[14:15], v[5:6], -v[44:45]
	v_fma_f64 v[40:41], v[16:17], v[5:6], v[7:8]
	v_fma_f64 v[18:19], v[18:19], v[28:29], -v[34:35]
	v_fma_f64 v[20:21], v[20:21], v[28:29], v[36:37]
	v_add_f64 v[26:27], v[26:27], v[22:23]
	v_add_f64 v[42:43], v[32:33], v[24:25]
	ds_load_b128 v[5:8], v10 offset:3584
	ds_load_b128 v[14:17], v11 offset:224
	;; [unrolled: 1-line block ×4, first 2 shown]
	s_waitcnt lgkmcnt(0)
	s_barrier
	buffer_gl0_inv
	v_mul_f64 v[44:45], v[16:17], v[7:8]
	v_mul_f64 v[7:8], v[14:15], v[7:8]
	;; [unrolled: 1-line block ×4, first 2 shown]
	v_add_f64 v[26:27], v[26:27], v[38:39]
	v_add_f64 v[28:29], v[42:43], v[40:41]
	v_fma_f64 v[14:15], v[14:15], v[5:6], -v[44:45]
	v_fma_f64 v[5:6], v[16:17], v[5:6], v[7:8]
	s_delay_alu instid0(VALU_DEP_4) | instskip(NEXT) | instid1(VALU_DEP_4)
	v_add_f64 v[7:8], v[26:27], v[18:19]
	v_add_f64 v[16:17], v[28:29], v[20:21]
	v_fma_f64 v[18:19], v[22:23], v[30:31], -v[34:35]
	v_fma_f64 v[20:21], v[24:25], v[30:31], v[32:33]
	s_delay_alu instid0(VALU_DEP_4) | instskip(NEXT) | instid1(VALU_DEP_4)
	v_add_f64 v[7:8], v[7:8], v[14:15]
	v_add_f64 v[5:6], v[16:17], v[5:6]
	s_delay_alu instid0(VALU_DEP_2) | instskip(NEXT) | instid1(VALU_DEP_2)
	v_add_f64 v[7:8], v[7:8], v[18:19]
	v_add_f64 v[5:6], v[5:6], v[20:21]
	s_cbranch_scc1 .LBB888_2
.LBB888_3:
	s_mov_b32 s8, exec_lo
	v_cmpx_le_i32_e64 v0, v9
	s_cbranch_execz .LBB888_5
; %bb.4:
	s_waitcnt lgkmcnt(0)
	s_delay_alu instid0(VALU_DEP_2) | instskip(SKIP_2) | instid1(VALU_DEP_2)
	v_mul_f64 v[1:2], s[4:5], v[5:6]
	v_mul_f64 v[3:4], s[6:7], v[5:6]
	s_load_b32 s0, s[0:1], 0x60
	v_fma_f64 v[10:11], s[6:7], v[7:8], v[1:2]
	s_delay_alu instid0(VALU_DEP_2) | instskip(SKIP_3) | instid1(VALU_DEP_1)
	v_fma_f64 v[2:3], s[4:5], v[7:8], -v[3:4]
	s_waitcnt lgkmcnt(0)
	v_mad_i64_i32 v[4:5], null, s0, v9, 0
	v_ashrrev_i32_e32 v1, 31, v0
	v_lshlrev_b64 v[6:7], 4, v[0:1]
	s_delay_alu instid0(VALU_DEP_3) | instskip(NEXT) | instid1(VALU_DEP_1)
	v_lshlrev_b64 v[4:5], 4, v[4:5]
	v_add_co_u32 v1, vcc_lo, s2, v4
	s_delay_alu instid0(VALU_DEP_2) | instskip(SKIP_1) | instid1(VALU_DEP_3)
	v_add_co_ci_u32_e32 v4, vcc_lo, s3, v5, vcc_lo
	v_cmp_ne_u32_e32 vcc_lo, v0, v9
	v_add_co_u32 v0, s0, v1, v6
	s_delay_alu instid0(VALU_DEP_1)
	v_add_co_ci_u32_e64 v1, s0, v4, v7, s0
	v_dual_cndmask_b32 v5, 0, v11 :: v_dual_cndmask_b32 v4, 0, v10
	global_store_b128 v[0:1], v[2:5], off
.LBB888_5:
	s_nop 0
	s_sendmsg sendmsg(MSG_DEALLOC_VGPRS)
	s_endpgm
	.section	.rodata,"a",@progbits
	.p2align	6, 0x0
	.amdhsa_kernel _ZL41rocblas_syrkx_herkx_small_restrict_kernelIi19rocblas_complex_numIdELi16ELb1ELb1ELc84ELc85EKPKS1_KPS1_EviT_T0_PT6_S7_lSA_S7_lS8_PT7_S7_li
		.amdhsa_group_segment_fixed_size 8192
		.amdhsa_private_segment_fixed_size 0
		.amdhsa_kernarg_size 116
		.amdhsa_user_sgpr_count 13
		.amdhsa_user_sgpr_dispatch_ptr 0
		.amdhsa_user_sgpr_queue_ptr 0
		.amdhsa_user_sgpr_kernarg_segment_ptr 1
		.amdhsa_user_sgpr_dispatch_id 0
		.amdhsa_user_sgpr_private_segment_size 0
		.amdhsa_wavefront_size32 1
		.amdhsa_uses_dynamic_stack 0
		.amdhsa_enable_private_segment 0
		.amdhsa_system_sgpr_workgroup_id_x 1
		.amdhsa_system_sgpr_workgroup_id_y 1
		.amdhsa_system_sgpr_workgroup_id_z 1
		.amdhsa_system_sgpr_workgroup_info 0
		.amdhsa_system_vgpr_workitem_id 1
		.amdhsa_next_free_vgpr 46
		.amdhsa_next_free_sgpr 18
		.amdhsa_reserve_vcc 1
		.amdhsa_float_round_mode_32 0
		.amdhsa_float_round_mode_16_64 0
		.amdhsa_float_denorm_mode_32 3
		.amdhsa_float_denorm_mode_16_64 3
		.amdhsa_dx10_clamp 1
		.amdhsa_ieee_mode 1
		.amdhsa_fp16_overflow 0
		.amdhsa_workgroup_processor_mode 1
		.amdhsa_memory_ordered 1
		.amdhsa_forward_progress 0
		.amdhsa_shared_vgpr_count 0
		.amdhsa_exception_fp_ieee_invalid_op 0
		.amdhsa_exception_fp_denorm_src 0
		.amdhsa_exception_fp_ieee_div_zero 0
		.amdhsa_exception_fp_ieee_overflow 0
		.amdhsa_exception_fp_ieee_underflow 0
		.amdhsa_exception_fp_ieee_inexact 0
		.amdhsa_exception_int_div_zero 0
	.end_amdhsa_kernel
	.section	.text._ZL41rocblas_syrkx_herkx_small_restrict_kernelIi19rocblas_complex_numIdELi16ELb1ELb1ELc84ELc85EKPKS1_KPS1_EviT_T0_PT6_S7_lSA_S7_lS8_PT7_S7_li,"axG",@progbits,_ZL41rocblas_syrkx_herkx_small_restrict_kernelIi19rocblas_complex_numIdELi16ELb1ELb1ELc84ELc85EKPKS1_KPS1_EviT_T0_PT6_S7_lSA_S7_lS8_PT7_S7_li,comdat
.Lfunc_end888:
	.size	_ZL41rocblas_syrkx_herkx_small_restrict_kernelIi19rocblas_complex_numIdELi16ELb1ELb1ELc84ELc85EKPKS1_KPS1_EviT_T0_PT6_S7_lSA_S7_lS8_PT7_S7_li, .Lfunc_end888-_ZL41rocblas_syrkx_herkx_small_restrict_kernelIi19rocblas_complex_numIdELi16ELb1ELb1ELc84ELc85EKPKS1_KPS1_EviT_T0_PT6_S7_lSA_S7_lS8_PT7_S7_li
                                        ; -- End function
	.section	.AMDGPU.csdata,"",@progbits
; Kernel info:
; codeLenInByte = 1720
; NumSgprs: 20
; NumVgprs: 46
; ScratchSize: 0
; MemoryBound: 0
; FloatMode: 240
; IeeeMode: 1
; LDSByteSize: 8192 bytes/workgroup (compile time only)
; SGPRBlocks: 2
; VGPRBlocks: 5
; NumSGPRsForWavesPerEU: 20
; NumVGPRsForWavesPerEU: 46
; Occupancy: 16
; WaveLimiterHint : 1
; COMPUTE_PGM_RSRC2:SCRATCH_EN: 0
; COMPUTE_PGM_RSRC2:USER_SGPR: 13
; COMPUTE_PGM_RSRC2:TRAP_HANDLER: 0
; COMPUTE_PGM_RSRC2:TGID_X_EN: 1
; COMPUTE_PGM_RSRC2:TGID_Y_EN: 1
; COMPUTE_PGM_RSRC2:TGID_Z_EN: 1
; COMPUTE_PGM_RSRC2:TIDIG_COMP_CNT: 1
	.section	.text._ZL41rocblas_syrkx_herkx_small_restrict_kernelIi19rocblas_complex_numIdELi16ELb1ELb1ELc67ELc85EKPKS1_KPS1_EviT_T0_PT6_S7_lSA_S7_lS8_PT7_S7_li,"axG",@progbits,_ZL41rocblas_syrkx_herkx_small_restrict_kernelIi19rocblas_complex_numIdELi16ELb1ELb1ELc67ELc85EKPKS1_KPS1_EviT_T0_PT6_S7_lSA_S7_lS8_PT7_S7_li,comdat
	.globl	_ZL41rocblas_syrkx_herkx_small_restrict_kernelIi19rocblas_complex_numIdELi16ELb1ELb1ELc67ELc85EKPKS1_KPS1_EviT_T0_PT6_S7_lSA_S7_lS8_PT7_S7_li ; -- Begin function _ZL41rocblas_syrkx_herkx_small_restrict_kernelIi19rocblas_complex_numIdELi16ELb1ELb1ELc67ELc85EKPKS1_KPS1_EviT_T0_PT6_S7_lSA_S7_lS8_PT7_S7_li
	.p2align	8
	.type	_ZL41rocblas_syrkx_herkx_small_restrict_kernelIi19rocblas_complex_numIdELi16ELb1ELb1ELc67ELc85EKPKS1_KPS1_EviT_T0_PT6_S7_lSA_S7_lS8_PT7_S7_li,@function
_ZL41rocblas_syrkx_herkx_small_restrict_kernelIi19rocblas_complex_numIdELi16ELb1ELb1ELc67ELc85EKPKS1_KPS1_EviT_T0_PT6_S7_lSA_S7_lS8_PT7_S7_li: ; @_ZL41rocblas_syrkx_herkx_small_restrict_kernelIi19rocblas_complex_numIdELi16ELb1ELb1ELc67ELc85EKPKS1_KPS1_EviT_T0_PT6_S7_lSA_S7_lS8_PT7_S7_li
; %bb.0:
	s_clause 0x1
	s_load_b64 s[2:3], s[0:1], 0x58
	s_load_b64 s[16:17], s[0:1], 0x18
	s_mov_b32 s8, s15
	s_mov_b32 s9, 0
	v_dual_mov_b32 v5, 0 :: v_dual_and_b32 v2, 0x3ff, v0
	s_lshl_b64 s[10:11], s[8:9], 3
	s_load_b32 s8, s[0:1], 0x4
	v_bfe_u32 v1, v0, 10, 10
	v_mov_b32_e32 v6, 0
	v_lshl_add_u32 v0, s13, 4, v2
	s_delay_alu instid0(VALU_DEP_3) | instskip(NEXT) | instid1(VALU_DEP_3)
	v_lshl_add_u32 v9, s14, 4, v1
	v_dual_mov_b32 v8, v6 :: v_dual_mov_b32 v7, v5
	s_waitcnt lgkmcnt(0)
	s_add_u32 s2, s2, s10
	s_addc_u32 s3, s3, s11
	s_load_b128 s[4:7], s[0:1], 0x8
	s_load_b64 s[2:3], s[2:3], 0x0
	s_cmp_lt_i32 s8, 1
	s_cbranch_scc1 .LBB889_3
; %bb.1:
	s_clause 0x2
	s_load_b64 s[12:13], s[0:1], 0x30
	s_load_b32 s14, s[0:1], 0x20
	s_load_b32 s15, s[0:1], 0x38
	v_dual_mov_b32 v5, 0 :: v_dual_lshlrev_b32 v12, 8, v1
	v_lshlrev_b32_e32 v14, 4, v1
	v_mov_b32_e32 v6, 0
	v_lshlrev_b32_e32 v10, 4, v2
	s_delay_alu instid0(VALU_DEP_4)
	v_add_nc_u32_e32 v11, 0x1000, v12
	s_waitcnt lgkmcnt(0)
	s_add_u32 s12, s12, s10
	s_addc_u32 s13, s13, s11
	s_add_u32 s10, s16, s10
	s_addc_u32 s11, s17, s11
	v_mad_i64_i32 v[3:4], null, s14, v0, 0
	s_load_b64 s[10:11], s[10:11], 0x0
	v_mad_i64_i32 v[7:8], null, s15, v9, 0
	s_load_b64 s[12:13], s[12:13], 0x0
	s_delay_alu instid0(VALU_DEP_2) | instskip(NEXT) | instid1(VALU_DEP_2)
	v_lshlrev_b64 v[1:2], 4, v[3:4]
	v_lshlrev_b64 v[3:4], 4, v[7:8]
	s_delay_alu instid0(VALU_DEP_2) | instskip(NEXT) | instid1(VALU_DEP_3)
	v_add_co_u32 v1, vcc_lo, v1, v14
	v_add_co_ci_u32_e32 v2, vcc_lo, 0, v2, vcc_lo
	s_delay_alu instid0(VALU_DEP_3) | instskip(NEXT) | instid1(VALU_DEP_4)
	v_add_co_u32 v3, vcc_lo, v3, v10
	v_add_co_ci_u32_e32 v4, vcc_lo, 0, v4, vcc_lo
	s_waitcnt lgkmcnt(0)
	v_add_co_u32 v7, vcc_lo, v1, s10
	v_add_co_ci_u32_e32 v8, vcc_lo, s11, v2, vcc_lo
	v_add_co_u32 v1, vcc_lo, s12, v3
	v_add_co_ci_u32_e32 v2, vcc_lo, s13, v4, vcc_lo
	s_delay_alu instid0(VALU_DEP_4) | instskip(NEXT) | instid1(VALU_DEP_4)
	v_add_co_u32 v3, vcc_lo, v7, 8
	v_add_co_ci_u32_e32 v4, vcc_lo, 0, v8, vcc_lo
	v_dual_mov_b32 v8, v6 :: v_dual_mov_b32 v7, v5
	v_add_nc_u32_e32 v12, v10, v12
	v_add_nc_u32_e32 v13, v11, v10
.LBB889_2:                              ; =>This Inner Loop Header: Depth=1
	global_load_b128 v[14:17], v[3:4], off offset:-8
	global_load_b128 v[18:21], v[1:2], off
	v_add_co_u32 v1, vcc_lo, 0x100, v1
	v_add_co_ci_u32_e32 v2, vcc_lo, 0, v2, vcc_lo
	v_add_co_u32 v3, vcc_lo, 0x100, v3
	v_add_co_ci_u32_e32 v4, vcc_lo, 0, v4, vcc_lo
	s_add_i32 s9, s9, 16
	s_delay_alu instid0(SALU_CYCLE_1)
	s_cmp_lt_i32 s9, s8
	s_waitcnt vmcnt(1)
	v_xor_b32_e32 v17, 0x80000000, v17
	ds_store_b128 v12, v[14:17]
	s_waitcnt vmcnt(0)
	ds_store_2addr_b64 v13, v[18:19], v[20:21] offset1:1
	s_waitcnt lgkmcnt(0)
	s_barrier
	buffer_gl0_inv
	ds_load_b128 v[14:17], v10
	ds_load_b128 v[18:21], v11
	ds_load_b128 v[22:25], v11 offset:16
	ds_load_b128 v[26:29], v10 offset:256
	s_waitcnt lgkmcnt(2)
	v_mul_f64 v[30:31], v[20:21], v[16:17]
	v_mul_f64 v[16:17], v[18:19], v[16:17]
	s_waitcnt lgkmcnt(0)
	v_mul_f64 v[36:37], v[24:25], v[28:29]
	v_mul_f64 v[38:39], v[22:23], v[28:29]
	s_delay_alu instid0(VALU_DEP_4) | instskip(NEXT) | instid1(VALU_DEP_4)
	v_fma_f64 v[40:41], v[18:19], v[14:15], -v[30:31]
	v_fma_f64 v[42:43], v[20:21], v[14:15], v[16:17]
	ds_load_b128 v[14:17], v10 offset:512
	ds_load_b128 v[18:21], v11 offset:32
	;; [unrolled: 1-line block ×4, first 2 shown]
	v_fma_f64 v[22:23], v[22:23], v[26:27], -v[36:37]
	v_fma_f64 v[24:25], v[24:25], v[26:27], v[38:39]
	s_waitcnt lgkmcnt(2)
	v_mul_f64 v[44:45], v[20:21], v[16:17]
	v_mul_f64 v[16:17], v[18:19], v[16:17]
	s_waitcnt lgkmcnt(0)
	v_mul_f64 v[26:27], v[30:31], v[34:35]
	v_mul_f64 v[34:35], v[28:29], v[34:35]
	v_add_f64 v[7:8], v[7:8], v[40:41]
	v_add_f64 v[5:6], v[5:6], v[42:43]
	v_fma_f64 v[36:37], v[18:19], v[14:15], -v[44:45]
	v_fma_f64 v[38:39], v[20:21], v[14:15], v[16:17]
	v_fma_f64 v[26:27], v[28:29], v[32:33], -v[26:27]
	v_fma_f64 v[28:29], v[30:31], v[32:33], v[34:35]
	v_add_f64 v[40:41], v[7:8], v[22:23]
	v_add_f64 v[42:43], v[5:6], v[24:25]
	ds_load_b128 v[5:8], v10 offset:1024
	ds_load_b128 v[14:17], v11 offset:64
	;; [unrolled: 1-line block ×4, first 2 shown]
	s_waitcnt lgkmcnt(2)
	v_mul_f64 v[44:45], v[16:17], v[7:8]
	v_mul_f64 v[7:8], v[14:15], v[7:8]
	s_waitcnt lgkmcnt(0)
	v_mul_f64 v[34:35], v[20:21], v[24:25]
	v_add_f64 v[30:31], v[40:41], v[36:37]
	v_add_f64 v[32:33], v[42:43], v[38:39]
	v_mul_f64 v[36:37], v[18:19], v[24:25]
	v_fma_f64 v[38:39], v[14:15], v[5:6], -v[44:45]
	v_fma_f64 v[40:41], v[16:17], v[5:6], v[7:8]
	v_fma_f64 v[18:19], v[18:19], v[22:23], -v[34:35]
	v_add_f64 v[42:43], v[30:31], v[26:27]
	v_add_f64 v[32:33], v[32:33], v[28:29]
	ds_load_b128 v[5:8], v10 offset:1536
	ds_load_b128 v[14:17], v11 offset:96
	;; [unrolled: 1-line block ×4, first 2 shown]
	v_fma_f64 v[20:21], v[20:21], v[22:23], v[36:37]
	s_waitcnt lgkmcnt(2)
	v_mul_f64 v[44:45], v[16:17], v[7:8]
	v_mul_f64 v[7:8], v[14:15], v[7:8]
	s_waitcnt lgkmcnt(0)
	v_mul_f64 v[34:35], v[26:27], v[30:31]
	v_mul_f64 v[36:37], v[24:25], v[30:31]
	v_add_f64 v[22:23], v[42:43], v[38:39]
	v_add_f64 v[32:33], v[32:33], v[40:41]
	v_fma_f64 v[38:39], v[14:15], v[5:6], -v[44:45]
	v_fma_f64 v[40:41], v[16:17], v[5:6], v[7:8]
	v_fma_f64 v[24:25], v[24:25], v[28:29], -v[34:35]
	v_fma_f64 v[26:27], v[26:27], v[28:29], v[36:37]
	v_add_f64 v[22:23], v[22:23], v[18:19]
	v_add_f64 v[42:43], v[32:33], v[20:21]
	ds_load_b128 v[5:8], v10 offset:2048
	ds_load_b128 v[14:17], v11 offset:128
	;; [unrolled: 1-line block ×4, first 2 shown]
	s_waitcnt lgkmcnt(2)
	v_mul_f64 v[44:45], v[16:17], v[7:8]
	v_mul_f64 v[7:8], v[14:15], v[7:8]
	s_waitcnt lgkmcnt(0)
	v_mul_f64 v[34:35], v[20:21], v[32:33]
	v_mul_f64 v[32:33], v[18:19], v[32:33]
	v_add_f64 v[22:23], v[22:23], v[38:39]
	v_add_f64 v[28:29], v[42:43], v[40:41]
	v_fma_f64 v[36:37], v[14:15], v[5:6], -v[44:45]
	v_fma_f64 v[38:39], v[16:17], v[5:6], v[7:8]
	v_fma_f64 v[18:19], v[18:19], v[30:31], -v[34:35]
	v_fma_f64 v[20:21], v[20:21], v[30:31], v[32:33]
	v_add_f64 v[40:41], v[22:23], v[24:25]
	v_add_f64 v[42:43], v[28:29], v[26:27]
	ds_load_b128 v[5:8], v10 offset:2560
	ds_load_b128 v[14:17], v11 offset:160
	ds_load_b128 v[22:25], v11 offset:176
	ds_load_b128 v[26:29], v10 offset:2816
	s_waitcnt lgkmcnt(2)
	v_mul_f64 v[44:45], v[16:17], v[7:8]
	v_mul_f64 v[7:8], v[14:15], v[7:8]
	s_waitcnt lgkmcnt(0)
	v_mul_f64 v[34:35], v[24:25], v[28:29]
	v_add_f64 v[30:31], v[40:41], v[36:37]
	v_add_f64 v[32:33], v[42:43], v[38:39]
	v_mul_f64 v[36:37], v[22:23], v[28:29]
	v_fma_f64 v[38:39], v[14:15], v[5:6], -v[44:45]
	v_fma_f64 v[40:41], v[16:17], v[5:6], v[7:8]
	v_fma_f64 v[22:23], v[22:23], v[26:27], -v[34:35]
	v_add_f64 v[42:43], v[30:31], v[18:19]
	v_add_f64 v[32:33], v[32:33], v[20:21]
	ds_load_b128 v[5:8], v10 offset:3072
	ds_load_b128 v[14:17], v11 offset:192
	;; [unrolled: 1-line block ×4, first 2 shown]
	v_fma_f64 v[24:25], v[24:25], v[26:27], v[36:37]
	s_waitcnt lgkmcnt(2)
	v_mul_f64 v[44:45], v[16:17], v[7:8]
	v_mul_f64 v[7:8], v[14:15], v[7:8]
	s_waitcnt lgkmcnt(0)
	v_mul_f64 v[34:35], v[20:21], v[30:31]
	v_mul_f64 v[36:37], v[18:19], v[30:31]
	v_add_f64 v[26:27], v[42:43], v[38:39]
	v_add_f64 v[32:33], v[32:33], v[40:41]
	v_fma_f64 v[38:39], v[14:15], v[5:6], -v[44:45]
	v_fma_f64 v[40:41], v[16:17], v[5:6], v[7:8]
	v_fma_f64 v[18:19], v[18:19], v[28:29], -v[34:35]
	v_fma_f64 v[20:21], v[20:21], v[28:29], v[36:37]
	v_add_f64 v[26:27], v[26:27], v[22:23]
	v_add_f64 v[42:43], v[32:33], v[24:25]
	ds_load_b128 v[5:8], v10 offset:3584
	ds_load_b128 v[14:17], v11 offset:224
	;; [unrolled: 1-line block ×4, first 2 shown]
	s_waitcnt lgkmcnt(0)
	s_barrier
	buffer_gl0_inv
	v_mul_f64 v[44:45], v[16:17], v[7:8]
	v_mul_f64 v[7:8], v[14:15], v[7:8]
	v_mul_f64 v[34:35], v[24:25], v[32:33]
	v_mul_f64 v[32:33], v[22:23], v[32:33]
	v_add_f64 v[26:27], v[26:27], v[38:39]
	v_add_f64 v[28:29], v[42:43], v[40:41]
	v_fma_f64 v[14:15], v[14:15], v[5:6], -v[44:45]
	v_fma_f64 v[5:6], v[16:17], v[5:6], v[7:8]
	s_delay_alu instid0(VALU_DEP_4) | instskip(NEXT) | instid1(VALU_DEP_4)
	v_add_f64 v[7:8], v[26:27], v[18:19]
	v_add_f64 v[16:17], v[28:29], v[20:21]
	v_fma_f64 v[18:19], v[22:23], v[30:31], -v[34:35]
	v_fma_f64 v[20:21], v[24:25], v[30:31], v[32:33]
	s_delay_alu instid0(VALU_DEP_4) | instskip(NEXT) | instid1(VALU_DEP_4)
	v_add_f64 v[7:8], v[7:8], v[14:15]
	v_add_f64 v[5:6], v[16:17], v[5:6]
	s_delay_alu instid0(VALU_DEP_2) | instskip(NEXT) | instid1(VALU_DEP_2)
	v_add_f64 v[7:8], v[7:8], v[18:19]
	v_add_f64 v[5:6], v[5:6], v[20:21]
	s_cbranch_scc1 .LBB889_2
.LBB889_3:
	s_mov_b32 s8, exec_lo
	v_cmpx_le_i32_e64 v0, v9
	s_cbranch_execz .LBB889_5
; %bb.4:
	s_waitcnt lgkmcnt(0)
	s_delay_alu instid0(VALU_DEP_2) | instskip(SKIP_2) | instid1(VALU_DEP_2)
	v_mul_f64 v[1:2], s[4:5], v[5:6]
	v_mul_f64 v[3:4], s[6:7], v[5:6]
	s_load_b32 s0, s[0:1], 0x60
	v_fma_f64 v[10:11], s[6:7], v[7:8], v[1:2]
	s_delay_alu instid0(VALU_DEP_2) | instskip(SKIP_3) | instid1(VALU_DEP_1)
	v_fma_f64 v[2:3], s[4:5], v[7:8], -v[3:4]
	s_waitcnt lgkmcnt(0)
	v_mad_i64_i32 v[4:5], null, s0, v9, 0
	v_ashrrev_i32_e32 v1, 31, v0
	v_lshlrev_b64 v[6:7], 4, v[0:1]
	s_delay_alu instid0(VALU_DEP_3) | instskip(NEXT) | instid1(VALU_DEP_1)
	v_lshlrev_b64 v[4:5], 4, v[4:5]
	v_add_co_u32 v1, vcc_lo, s2, v4
	s_delay_alu instid0(VALU_DEP_2) | instskip(SKIP_1) | instid1(VALU_DEP_3)
	v_add_co_ci_u32_e32 v4, vcc_lo, s3, v5, vcc_lo
	v_cmp_ne_u32_e32 vcc_lo, v0, v9
	v_add_co_u32 v0, s0, v1, v6
	s_delay_alu instid0(VALU_DEP_1)
	v_add_co_ci_u32_e64 v1, s0, v4, v7, s0
	v_dual_cndmask_b32 v5, 0, v11 :: v_dual_cndmask_b32 v4, 0, v10
	global_store_b128 v[0:1], v[2:5], off
.LBB889_5:
	s_nop 0
	s_sendmsg sendmsg(MSG_DEALLOC_VGPRS)
	s_endpgm
	.section	.rodata,"a",@progbits
	.p2align	6, 0x0
	.amdhsa_kernel _ZL41rocblas_syrkx_herkx_small_restrict_kernelIi19rocblas_complex_numIdELi16ELb1ELb1ELc67ELc85EKPKS1_KPS1_EviT_T0_PT6_S7_lSA_S7_lS8_PT7_S7_li
		.amdhsa_group_segment_fixed_size 8192
		.amdhsa_private_segment_fixed_size 0
		.amdhsa_kernarg_size 116
		.amdhsa_user_sgpr_count 13
		.amdhsa_user_sgpr_dispatch_ptr 0
		.amdhsa_user_sgpr_queue_ptr 0
		.amdhsa_user_sgpr_kernarg_segment_ptr 1
		.amdhsa_user_sgpr_dispatch_id 0
		.amdhsa_user_sgpr_private_segment_size 0
		.amdhsa_wavefront_size32 1
		.amdhsa_uses_dynamic_stack 0
		.amdhsa_enable_private_segment 0
		.amdhsa_system_sgpr_workgroup_id_x 1
		.amdhsa_system_sgpr_workgroup_id_y 1
		.amdhsa_system_sgpr_workgroup_id_z 1
		.amdhsa_system_sgpr_workgroup_info 0
		.amdhsa_system_vgpr_workitem_id 1
		.amdhsa_next_free_vgpr 46
		.amdhsa_next_free_sgpr 18
		.amdhsa_reserve_vcc 1
		.amdhsa_float_round_mode_32 0
		.amdhsa_float_round_mode_16_64 0
		.amdhsa_float_denorm_mode_32 3
		.amdhsa_float_denorm_mode_16_64 3
		.amdhsa_dx10_clamp 1
		.amdhsa_ieee_mode 1
		.amdhsa_fp16_overflow 0
		.amdhsa_workgroup_processor_mode 1
		.amdhsa_memory_ordered 1
		.amdhsa_forward_progress 0
		.amdhsa_shared_vgpr_count 0
		.amdhsa_exception_fp_ieee_invalid_op 0
		.amdhsa_exception_fp_denorm_src 0
		.amdhsa_exception_fp_ieee_div_zero 0
		.amdhsa_exception_fp_ieee_overflow 0
		.amdhsa_exception_fp_ieee_underflow 0
		.amdhsa_exception_fp_ieee_inexact 0
		.amdhsa_exception_int_div_zero 0
	.end_amdhsa_kernel
	.section	.text._ZL41rocblas_syrkx_herkx_small_restrict_kernelIi19rocblas_complex_numIdELi16ELb1ELb1ELc67ELc85EKPKS1_KPS1_EviT_T0_PT6_S7_lSA_S7_lS8_PT7_S7_li,"axG",@progbits,_ZL41rocblas_syrkx_herkx_small_restrict_kernelIi19rocblas_complex_numIdELi16ELb1ELb1ELc67ELc85EKPKS1_KPS1_EviT_T0_PT6_S7_lSA_S7_lS8_PT7_S7_li,comdat
.Lfunc_end889:
	.size	_ZL41rocblas_syrkx_herkx_small_restrict_kernelIi19rocblas_complex_numIdELi16ELb1ELb1ELc67ELc85EKPKS1_KPS1_EviT_T0_PT6_S7_lSA_S7_lS8_PT7_S7_li, .Lfunc_end889-_ZL41rocblas_syrkx_herkx_small_restrict_kernelIi19rocblas_complex_numIdELi16ELb1ELb1ELc67ELc85EKPKS1_KPS1_EviT_T0_PT6_S7_lSA_S7_lS8_PT7_S7_li
                                        ; -- End function
	.section	.AMDGPU.csdata,"",@progbits
; Kernel info:
; codeLenInByte = 1748
; NumSgprs: 20
; NumVgprs: 46
; ScratchSize: 0
; MemoryBound: 0
; FloatMode: 240
; IeeeMode: 1
; LDSByteSize: 8192 bytes/workgroup (compile time only)
; SGPRBlocks: 2
; VGPRBlocks: 5
; NumSGPRsForWavesPerEU: 20
; NumVGPRsForWavesPerEU: 46
; Occupancy: 16
; WaveLimiterHint : 1
; COMPUTE_PGM_RSRC2:SCRATCH_EN: 0
; COMPUTE_PGM_RSRC2:USER_SGPR: 13
; COMPUTE_PGM_RSRC2:TRAP_HANDLER: 0
; COMPUTE_PGM_RSRC2:TGID_X_EN: 1
; COMPUTE_PGM_RSRC2:TGID_Y_EN: 1
; COMPUTE_PGM_RSRC2:TGID_Z_EN: 1
; COMPUTE_PGM_RSRC2:TIDIG_COMP_CNT: 1
	.section	.text._ZL41rocblas_syrkx_herkx_small_restrict_kernelIi19rocblas_complex_numIdELi16ELb1ELb1ELc78ELc85EKPKS1_KPS1_EviT_T0_PT6_S7_lSA_S7_lS8_PT7_S7_li,"axG",@progbits,_ZL41rocblas_syrkx_herkx_small_restrict_kernelIi19rocblas_complex_numIdELi16ELb1ELb1ELc78ELc85EKPKS1_KPS1_EviT_T0_PT6_S7_lSA_S7_lS8_PT7_S7_li,comdat
	.globl	_ZL41rocblas_syrkx_herkx_small_restrict_kernelIi19rocblas_complex_numIdELi16ELb1ELb1ELc78ELc85EKPKS1_KPS1_EviT_T0_PT6_S7_lSA_S7_lS8_PT7_S7_li ; -- Begin function _ZL41rocblas_syrkx_herkx_small_restrict_kernelIi19rocblas_complex_numIdELi16ELb1ELb1ELc78ELc85EKPKS1_KPS1_EviT_T0_PT6_S7_lSA_S7_lS8_PT7_S7_li
	.p2align	8
	.type	_ZL41rocblas_syrkx_herkx_small_restrict_kernelIi19rocblas_complex_numIdELi16ELb1ELb1ELc78ELc85EKPKS1_KPS1_EviT_T0_PT6_S7_lSA_S7_lS8_PT7_S7_li,@function
_ZL41rocblas_syrkx_herkx_small_restrict_kernelIi19rocblas_complex_numIdELi16ELb1ELb1ELc78ELc85EKPKS1_KPS1_EviT_T0_PT6_S7_lSA_S7_lS8_PT7_S7_li: ; @_ZL41rocblas_syrkx_herkx_small_restrict_kernelIi19rocblas_complex_numIdELi16ELb1ELb1ELc78ELc85EKPKS1_KPS1_EviT_T0_PT6_S7_lSA_S7_lS8_PT7_S7_li
; %bb.0:
	s_clause 0x1
	s_load_b64 s[2:3], s[0:1], 0x58
	s_load_b64 s[16:17], s[0:1], 0x18
	s_mov_b32 s8, s15
	s_mov_b32 s9, 0
	v_and_b32_e32 v5, 0x3ff, v0
	s_lshl_b64 s[10:11], s[8:9], 3
	s_load_b32 s8, s[0:1], 0x4
	v_mov_b32_e32 v7, 0
	v_mov_b32_e32 v8, 0
	v_bfe_u32 v4, v0, 10, 10
	v_lshl_add_u32 v0, s13, 4, v5
	s_delay_alu instid0(VALU_DEP_3) | instskip(NEXT) | instid1(VALU_DEP_3)
	v_dual_mov_b32 v10, v8 :: v_dual_mov_b32 v9, v7
	v_lshl_add_u32 v2, s14, 4, v4
	s_delay_alu instid0(VALU_DEP_3)
	v_ashrrev_i32_e32 v1, 31, v0
	s_waitcnt lgkmcnt(0)
	s_add_u32 s2, s2, s10
	s_addc_u32 s3, s3, s11
	s_load_b128 s[4:7], s[0:1], 0x8
	s_load_b64 s[2:3], s[2:3], 0x0
	s_cmp_lt_i32 s8, 1
	s_cbranch_scc1 .LBB890_3
; %bb.1:
	s_clause 0x2
	s_load_b32 s12, s[0:1], 0x20
	s_load_b32 s14, s[0:1], 0x38
	s_load_b64 s[18:19], s[0:1], 0x30
	v_ashrrev_i32_e32 v3, 31, v2
	v_lshlrev_b32_e32 v13, 8, v4
	v_lshlrev_b32_e32 v11, 4, v5
	v_lshlrev_b64 v[9:10], 4, v[0:1]
	s_waitcnt lgkmcnt(0)
	s_ashr_i32 s13, s12, 31
	s_ashr_i32 s15, s14, 31
	s_add_u32 s18, s18, s10
	s_addc_u32 s19, s19, s11
	v_mad_i64_i32 v[6:7], null, s14, v5, 0
	s_load_b64 s[18:19], s[18:19], 0x0
	s_add_u32 s10, s16, s10
	s_addc_u32 s11, s17, s11
	v_mad_i64_i32 v[15:16], null, s12, v4, 0
	s_load_b64 s[10:11], s[10:11], 0x0
	v_lshlrev_b64 v[3:4], 4, v[2:3]
	s_delay_alu instid0(VALU_DEP_3)
	v_lshlrev_b64 v[5:6], 4, v[6:7]
	v_mov_b32_e32 v7, 0
	v_mov_b32_e32 v8, 0
	v_add_nc_u32_e32 v12, 0x1000, v13
	v_lshlrev_b64 v[15:16], 4, v[15:16]
	s_lshl_b64 s[12:13], s[12:13], 8
	v_add_co_u32 v3, vcc_lo, v5, v3
	v_add_co_ci_u32_e32 v4, vcc_lo, v6, v4, vcc_lo
	s_delay_alu instid0(VALU_DEP_3) | instskip(NEXT) | instid1(VALU_DEP_4)
	v_add_co_u32 v5, vcc_lo, v15, v9
	v_add_co_ci_u32_e32 v6, vcc_lo, v16, v10, vcc_lo
	s_waitcnt lgkmcnt(0)
	v_add_co_u32 v9, vcc_lo, v3, s18
	v_add_co_ci_u32_e32 v10, vcc_lo, s19, v4, vcc_lo
	v_add_co_u32 v3, vcc_lo, s10, v5
	v_add_co_ci_u32_e32 v4, vcc_lo, s11, v6, vcc_lo
	s_delay_alu instid0(VALU_DEP_4) | instskip(NEXT) | instid1(VALU_DEP_4)
	v_add_co_u32 v5, vcc_lo, v9, 8
	v_add_co_ci_u32_e32 v6, vcc_lo, 0, v10, vcc_lo
	v_dual_mov_b32 v10, v8 :: v_dual_mov_b32 v9, v7
	v_add_nc_u32_e32 v13, v11, v13
	v_add_nc_u32_e32 v14, v12, v11
	s_lshl_b64 s[10:11], s[14:15], 8
.LBB890_2:                              ; =>This Inner Loop Header: Depth=1
	global_load_b128 v[15:18], v[5:6], off offset:-8
	global_load_b128 v[19:22], v[3:4], off
	v_add_co_u32 v5, vcc_lo, v5, s10
	v_add_co_ci_u32_e32 v6, vcc_lo, s11, v6, vcc_lo
	v_add_co_u32 v3, vcc_lo, v3, s12
	v_add_co_ci_u32_e32 v4, vcc_lo, s13, v4, vcc_lo
	s_add_i32 s9, s9, 16
	s_delay_alu instid0(SALU_CYCLE_1)
	s_cmp_lt_i32 s9, s8
	s_waitcnt vmcnt(1)
	v_xor_b32_e32 v18, 0x80000000, v18
	s_waitcnt vmcnt(0)
	ds_store_2addr_b64 v13, v[19:20], v[21:22] offset1:1
	ds_store_b128 v14, v[15:18]
	s_waitcnt lgkmcnt(0)
	s_barrier
	buffer_gl0_inv
	ds_load_b128 v[15:18], v11
	ds_load_b128 v[19:22], v12
	ds_load_b128 v[23:26], v12 offset:16
	ds_load_b128 v[27:30], v11 offset:256
	s_waitcnt lgkmcnt(2)
	v_mul_f64 v[31:32], v[21:22], v[17:18]
	v_mul_f64 v[17:18], v[19:20], v[17:18]
	s_waitcnt lgkmcnt(0)
	v_mul_f64 v[37:38], v[25:26], v[29:30]
	v_mul_f64 v[39:40], v[23:24], v[29:30]
	s_delay_alu instid0(VALU_DEP_4) | instskip(NEXT) | instid1(VALU_DEP_4)
	v_fma_f64 v[41:42], v[19:20], v[15:16], -v[31:32]
	v_fma_f64 v[43:44], v[21:22], v[15:16], v[17:18]
	ds_load_b128 v[15:18], v11 offset:512
	ds_load_b128 v[19:22], v12 offset:32
	;; [unrolled: 1-line block ×4, first 2 shown]
	v_fma_f64 v[23:24], v[23:24], v[27:28], -v[37:38]
	v_fma_f64 v[25:26], v[25:26], v[27:28], v[39:40]
	s_waitcnt lgkmcnt(2)
	v_mul_f64 v[45:46], v[21:22], v[17:18]
	v_mul_f64 v[17:18], v[19:20], v[17:18]
	s_waitcnt lgkmcnt(0)
	v_mul_f64 v[27:28], v[31:32], v[35:36]
	v_mul_f64 v[35:36], v[29:30], v[35:36]
	v_add_f64 v[9:10], v[9:10], v[41:42]
	v_add_f64 v[7:8], v[7:8], v[43:44]
	v_fma_f64 v[37:38], v[19:20], v[15:16], -v[45:46]
	v_fma_f64 v[39:40], v[21:22], v[15:16], v[17:18]
	v_fma_f64 v[27:28], v[29:30], v[33:34], -v[27:28]
	v_fma_f64 v[29:30], v[31:32], v[33:34], v[35:36]
	v_add_f64 v[41:42], v[9:10], v[23:24]
	v_add_f64 v[43:44], v[7:8], v[25:26]
	ds_load_b128 v[7:10], v11 offset:1024
	ds_load_b128 v[15:18], v12 offset:64
	;; [unrolled: 1-line block ×4, first 2 shown]
	s_waitcnt lgkmcnt(2)
	v_mul_f64 v[45:46], v[17:18], v[9:10]
	v_mul_f64 v[9:10], v[15:16], v[9:10]
	s_waitcnt lgkmcnt(0)
	v_mul_f64 v[35:36], v[21:22], v[25:26]
	v_add_f64 v[31:32], v[41:42], v[37:38]
	v_add_f64 v[33:34], v[43:44], v[39:40]
	v_mul_f64 v[37:38], v[19:20], v[25:26]
	v_fma_f64 v[39:40], v[15:16], v[7:8], -v[45:46]
	v_fma_f64 v[41:42], v[17:18], v[7:8], v[9:10]
	v_fma_f64 v[19:20], v[19:20], v[23:24], -v[35:36]
	v_add_f64 v[43:44], v[31:32], v[27:28]
	v_add_f64 v[33:34], v[33:34], v[29:30]
	ds_load_b128 v[7:10], v11 offset:1536
	ds_load_b128 v[15:18], v12 offset:96
	ds_load_b128 v[25:28], v12 offset:112
	ds_load_b128 v[29:32], v11 offset:1792
	v_fma_f64 v[21:22], v[21:22], v[23:24], v[37:38]
	s_waitcnt lgkmcnt(2)
	v_mul_f64 v[45:46], v[17:18], v[9:10]
	v_mul_f64 v[9:10], v[15:16], v[9:10]
	s_waitcnt lgkmcnt(0)
	v_mul_f64 v[35:36], v[27:28], v[31:32]
	v_mul_f64 v[37:38], v[25:26], v[31:32]
	v_add_f64 v[23:24], v[43:44], v[39:40]
	v_add_f64 v[33:34], v[33:34], v[41:42]
	v_fma_f64 v[39:40], v[15:16], v[7:8], -v[45:46]
	v_fma_f64 v[41:42], v[17:18], v[7:8], v[9:10]
	v_fma_f64 v[25:26], v[25:26], v[29:30], -v[35:36]
	v_fma_f64 v[27:28], v[27:28], v[29:30], v[37:38]
	v_add_f64 v[23:24], v[23:24], v[19:20]
	v_add_f64 v[43:44], v[33:34], v[21:22]
	ds_load_b128 v[7:10], v11 offset:2048
	ds_load_b128 v[15:18], v12 offset:128
	;; [unrolled: 1-line block ×4, first 2 shown]
	s_waitcnt lgkmcnt(2)
	v_mul_f64 v[45:46], v[17:18], v[9:10]
	v_mul_f64 v[9:10], v[15:16], v[9:10]
	s_waitcnt lgkmcnt(0)
	v_mul_f64 v[35:36], v[21:22], v[33:34]
	v_mul_f64 v[33:34], v[19:20], v[33:34]
	v_add_f64 v[23:24], v[23:24], v[39:40]
	v_add_f64 v[29:30], v[43:44], v[41:42]
	v_fma_f64 v[37:38], v[15:16], v[7:8], -v[45:46]
	v_fma_f64 v[39:40], v[17:18], v[7:8], v[9:10]
	v_fma_f64 v[19:20], v[19:20], v[31:32], -v[35:36]
	v_fma_f64 v[21:22], v[21:22], v[31:32], v[33:34]
	v_add_f64 v[41:42], v[23:24], v[25:26]
	v_add_f64 v[43:44], v[29:30], v[27:28]
	ds_load_b128 v[7:10], v11 offset:2560
	ds_load_b128 v[15:18], v12 offset:160
	;; [unrolled: 1-line block ×4, first 2 shown]
	s_waitcnt lgkmcnt(2)
	v_mul_f64 v[45:46], v[17:18], v[9:10]
	v_mul_f64 v[9:10], v[15:16], v[9:10]
	s_waitcnt lgkmcnt(0)
	v_mul_f64 v[35:36], v[25:26], v[29:30]
	v_add_f64 v[31:32], v[41:42], v[37:38]
	v_add_f64 v[33:34], v[43:44], v[39:40]
	v_mul_f64 v[37:38], v[23:24], v[29:30]
	v_fma_f64 v[39:40], v[15:16], v[7:8], -v[45:46]
	v_fma_f64 v[41:42], v[17:18], v[7:8], v[9:10]
	v_fma_f64 v[23:24], v[23:24], v[27:28], -v[35:36]
	v_add_f64 v[43:44], v[31:32], v[19:20]
	v_add_f64 v[33:34], v[33:34], v[21:22]
	ds_load_b128 v[7:10], v11 offset:3072
	ds_load_b128 v[15:18], v12 offset:192
	;; [unrolled: 1-line block ×4, first 2 shown]
	v_fma_f64 v[25:26], v[25:26], v[27:28], v[37:38]
	s_waitcnt lgkmcnt(2)
	v_mul_f64 v[45:46], v[17:18], v[9:10]
	v_mul_f64 v[9:10], v[15:16], v[9:10]
	s_waitcnt lgkmcnt(0)
	v_mul_f64 v[35:36], v[21:22], v[31:32]
	v_mul_f64 v[37:38], v[19:20], v[31:32]
	v_add_f64 v[27:28], v[43:44], v[39:40]
	v_add_f64 v[33:34], v[33:34], v[41:42]
	v_fma_f64 v[39:40], v[15:16], v[7:8], -v[45:46]
	v_fma_f64 v[41:42], v[17:18], v[7:8], v[9:10]
	v_fma_f64 v[19:20], v[19:20], v[29:30], -v[35:36]
	v_fma_f64 v[21:22], v[21:22], v[29:30], v[37:38]
	v_add_f64 v[27:28], v[27:28], v[23:24]
	v_add_f64 v[43:44], v[33:34], v[25:26]
	ds_load_b128 v[7:10], v11 offset:3584
	ds_load_b128 v[15:18], v12 offset:224
	;; [unrolled: 1-line block ×4, first 2 shown]
	s_waitcnt lgkmcnt(0)
	s_barrier
	buffer_gl0_inv
	v_mul_f64 v[45:46], v[17:18], v[9:10]
	v_mul_f64 v[9:10], v[15:16], v[9:10]
	;; [unrolled: 1-line block ×4, first 2 shown]
	v_add_f64 v[27:28], v[27:28], v[39:40]
	v_add_f64 v[29:30], v[43:44], v[41:42]
	v_fma_f64 v[15:16], v[15:16], v[7:8], -v[45:46]
	v_fma_f64 v[7:8], v[17:18], v[7:8], v[9:10]
	s_delay_alu instid0(VALU_DEP_4) | instskip(NEXT) | instid1(VALU_DEP_4)
	v_add_f64 v[9:10], v[27:28], v[19:20]
	v_add_f64 v[17:18], v[29:30], v[21:22]
	v_fma_f64 v[19:20], v[23:24], v[31:32], -v[35:36]
	v_fma_f64 v[21:22], v[25:26], v[31:32], v[33:34]
	s_delay_alu instid0(VALU_DEP_4) | instskip(NEXT) | instid1(VALU_DEP_4)
	v_add_f64 v[9:10], v[9:10], v[15:16]
	v_add_f64 v[7:8], v[17:18], v[7:8]
	s_delay_alu instid0(VALU_DEP_2) | instskip(NEXT) | instid1(VALU_DEP_2)
	v_add_f64 v[9:10], v[9:10], v[19:20]
	v_add_f64 v[7:8], v[7:8], v[21:22]
	s_cbranch_scc1 .LBB890_2
.LBB890_3:
	s_mov_b32 s8, exec_lo
	v_cmpx_le_i32_e64 v0, v2
	s_cbranch_execz .LBB890_5
; %bb.4:
	s_waitcnt lgkmcnt(0)
	s_delay_alu instid0(VALU_DEP_2) | instskip(SKIP_2) | instid1(VALU_DEP_2)
	v_mul_f64 v[3:4], s[4:5], v[7:8]
	v_mul_f64 v[5:6], s[6:7], v[7:8]
	s_load_b32 s0, s[0:1], 0x60
	v_fma_f64 v[7:8], s[6:7], v[9:10], v[3:4]
	s_delay_alu instid0(VALU_DEP_2) | instskip(SKIP_3) | instid1(VALU_DEP_2)
	v_fma_f64 v[3:4], s[4:5], v[9:10], -v[5:6]
	s_waitcnt lgkmcnt(0)
	v_mad_i64_i32 v[5:6], null, s0, v2, 0
	v_lshlrev_b64 v[9:10], 4, v[0:1]
	v_lshlrev_b64 v[5:6], 4, v[5:6]
	s_delay_alu instid0(VALU_DEP_1) | instskip(NEXT) | instid1(VALU_DEP_2)
	v_add_co_u32 v1, vcc_lo, s2, v5
	v_add_co_ci_u32_e32 v5, vcc_lo, s3, v6, vcc_lo
	v_cmp_ne_u32_e32 vcc_lo, v0, v2
	s_delay_alu instid0(VALU_DEP_3) | instskip(NEXT) | instid1(VALU_DEP_1)
	v_add_co_u32 v0, s0, v1, v9
	v_add_co_ci_u32_e64 v1, s0, v5, v10, s0
	v_dual_cndmask_b32 v6, 0, v8 :: v_dual_cndmask_b32 v5, 0, v7
	global_store_b128 v[0:1], v[3:6], off
.LBB890_5:
	s_nop 0
	s_sendmsg sendmsg(MSG_DEALLOC_VGPRS)
	s_endpgm
	.section	.rodata,"a",@progbits
	.p2align	6, 0x0
	.amdhsa_kernel _ZL41rocblas_syrkx_herkx_small_restrict_kernelIi19rocblas_complex_numIdELi16ELb1ELb1ELc78ELc85EKPKS1_KPS1_EviT_T0_PT6_S7_lSA_S7_lS8_PT7_S7_li
		.amdhsa_group_segment_fixed_size 8192
		.amdhsa_private_segment_fixed_size 0
		.amdhsa_kernarg_size 116
		.amdhsa_user_sgpr_count 13
		.amdhsa_user_sgpr_dispatch_ptr 0
		.amdhsa_user_sgpr_queue_ptr 0
		.amdhsa_user_sgpr_kernarg_segment_ptr 1
		.amdhsa_user_sgpr_dispatch_id 0
		.amdhsa_user_sgpr_private_segment_size 0
		.amdhsa_wavefront_size32 1
		.amdhsa_uses_dynamic_stack 0
		.amdhsa_enable_private_segment 0
		.amdhsa_system_sgpr_workgroup_id_x 1
		.amdhsa_system_sgpr_workgroup_id_y 1
		.amdhsa_system_sgpr_workgroup_id_z 1
		.amdhsa_system_sgpr_workgroup_info 0
		.amdhsa_system_vgpr_workitem_id 1
		.amdhsa_next_free_vgpr 47
		.amdhsa_next_free_sgpr 20
		.amdhsa_reserve_vcc 1
		.amdhsa_float_round_mode_32 0
		.amdhsa_float_round_mode_16_64 0
		.amdhsa_float_denorm_mode_32 3
		.amdhsa_float_denorm_mode_16_64 3
		.amdhsa_dx10_clamp 1
		.amdhsa_ieee_mode 1
		.amdhsa_fp16_overflow 0
		.amdhsa_workgroup_processor_mode 1
		.amdhsa_memory_ordered 1
		.amdhsa_forward_progress 0
		.amdhsa_shared_vgpr_count 0
		.amdhsa_exception_fp_ieee_invalid_op 0
		.amdhsa_exception_fp_denorm_src 0
		.amdhsa_exception_fp_ieee_div_zero 0
		.amdhsa_exception_fp_ieee_overflow 0
		.amdhsa_exception_fp_ieee_underflow 0
		.amdhsa_exception_fp_ieee_inexact 0
		.amdhsa_exception_int_div_zero 0
	.end_amdhsa_kernel
	.section	.text._ZL41rocblas_syrkx_herkx_small_restrict_kernelIi19rocblas_complex_numIdELi16ELb1ELb1ELc78ELc85EKPKS1_KPS1_EviT_T0_PT6_S7_lSA_S7_lS8_PT7_S7_li,"axG",@progbits,_ZL41rocblas_syrkx_herkx_small_restrict_kernelIi19rocblas_complex_numIdELi16ELb1ELb1ELc78ELc85EKPKS1_KPS1_EviT_T0_PT6_S7_lSA_S7_lS8_PT7_S7_li,comdat
.Lfunc_end890:
	.size	_ZL41rocblas_syrkx_herkx_small_restrict_kernelIi19rocblas_complex_numIdELi16ELb1ELb1ELc78ELc85EKPKS1_KPS1_EviT_T0_PT6_S7_lSA_S7_lS8_PT7_S7_li, .Lfunc_end890-_ZL41rocblas_syrkx_herkx_small_restrict_kernelIi19rocblas_complex_numIdELi16ELb1ELb1ELc78ELc85EKPKS1_KPS1_EviT_T0_PT6_S7_lSA_S7_lS8_PT7_S7_li
                                        ; -- End function
	.section	.AMDGPU.csdata,"",@progbits
; Kernel info:
; codeLenInByte = 1764
; NumSgprs: 22
; NumVgprs: 47
; ScratchSize: 0
; MemoryBound: 0
; FloatMode: 240
; IeeeMode: 1
; LDSByteSize: 8192 bytes/workgroup (compile time only)
; SGPRBlocks: 2
; VGPRBlocks: 5
; NumSGPRsForWavesPerEU: 22
; NumVGPRsForWavesPerEU: 47
; Occupancy: 16
; WaveLimiterHint : 1
; COMPUTE_PGM_RSRC2:SCRATCH_EN: 0
; COMPUTE_PGM_RSRC2:USER_SGPR: 13
; COMPUTE_PGM_RSRC2:TRAP_HANDLER: 0
; COMPUTE_PGM_RSRC2:TGID_X_EN: 1
; COMPUTE_PGM_RSRC2:TGID_Y_EN: 1
; COMPUTE_PGM_RSRC2:TGID_Z_EN: 1
; COMPUTE_PGM_RSRC2:TIDIG_COMP_CNT: 1
	.section	.text._ZL41rocblas_syrkx_herkx_small_restrict_kernelIi19rocblas_complex_numIdELi16ELb0ELb1ELc84ELc76EKPKS1_KPS1_EviT_T0_PT6_S7_lSA_S7_lS8_PT7_S7_li,"axG",@progbits,_ZL41rocblas_syrkx_herkx_small_restrict_kernelIi19rocblas_complex_numIdELi16ELb0ELb1ELc84ELc76EKPKS1_KPS1_EviT_T0_PT6_S7_lSA_S7_lS8_PT7_S7_li,comdat
	.globl	_ZL41rocblas_syrkx_herkx_small_restrict_kernelIi19rocblas_complex_numIdELi16ELb0ELb1ELc84ELc76EKPKS1_KPS1_EviT_T0_PT6_S7_lSA_S7_lS8_PT7_S7_li ; -- Begin function _ZL41rocblas_syrkx_herkx_small_restrict_kernelIi19rocblas_complex_numIdELi16ELb0ELb1ELc84ELc76EKPKS1_KPS1_EviT_T0_PT6_S7_lSA_S7_lS8_PT7_S7_li
	.p2align	8
	.type	_ZL41rocblas_syrkx_herkx_small_restrict_kernelIi19rocblas_complex_numIdELi16ELb0ELb1ELc84ELc76EKPKS1_KPS1_EviT_T0_PT6_S7_lSA_S7_lS8_PT7_S7_li,@function
_ZL41rocblas_syrkx_herkx_small_restrict_kernelIi19rocblas_complex_numIdELi16ELb0ELb1ELc84ELc76EKPKS1_KPS1_EviT_T0_PT6_S7_lSA_S7_lS8_PT7_S7_li: ; @_ZL41rocblas_syrkx_herkx_small_restrict_kernelIi19rocblas_complex_numIdELi16ELb0ELb1ELc84ELc76EKPKS1_KPS1_EviT_T0_PT6_S7_lSA_S7_lS8_PT7_S7_li
; %bb.0:
	s_load_b64 s[2:3], s[0:1], 0x58
	s_mov_b32 s16, s15
	s_mov_b32 s17, 0
	s_clause 0x1
	s_load_b32 s12, s[0:1], 0x4
	s_load_b128 s[4:7], s[0:1], 0x8
	s_lshl_b64 s[18:19], s[16:17], 3
	v_dual_mov_b32 v5, 0 :: v_dual_and_b32 v2, 0x3ff, v0
	v_bfe_u32 v1, v0, 10, 10
	v_mov_b32_e32 v6, 0
	s_delay_alu instid0(VALU_DEP_3) | instskip(NEXT) | instid1(VALU_DEP_3)
	v_lshl_add_u32 v0, s13, 4, v2
	v_lshl_add_u32 v9, s14, 4, v1
	s_delay_alu instid0(VALU_DEP_3)
	v_dual_mov_b32 v8, v6 :: v_dual_mov_b32 v7, v5
	s_waitcnt lgkmcnt(0)
	s_add_u32 s2, s2, s18
	s_addc_u32 s3, s3, s19
	s_clause 0x1
	s_load_b64 s[20:21], s[0:1], 0x18
	s_load_b128 s[8:11], s[0:1], 0x48
	s_load_b64 s[2:3], s[2:3], 0x0
	s_cmp_lt_i32 s12, 1
	s_cbranch_scc1 .LBB891_3
; %bb.1:
	s_clause 0x2
	s_load_b64 s[14:15], s[0:1], 0x30
	s_load_b32 s13, s[0:1], 0x38
	s_load_b32 s16, s[0:1], 0x20
	v_dual_mov_b32 v5, 0 :: v_dual_lshlrev_b32 v4, 8, v1
	v_lshlrev_b32_e32 v14, 4, v1
	v_mov_b32_e32 v6, 0
	v_lshlrev_b32_e32 v10, 4, v2
	s_delay_alu instid0(VALU_DEP_4) | instskip(NEXT) | instid1(VALU_DEP_2)
	v_add_nc_u32_e32 v11, 0x1000, v4
	v_add_nc_u32_e32 v12, v10, v4
	s_waitcnt lgkmcnt(0)
	s_add_u32 s14, s14, s18
	s_addc_u32 s15, s15, s19
	v_mad_i64_i32 v[2:3], null, s13, v9, 0
	s_load_b64 s[14:15], s[14:15], 0x0
	s_add_u32 s18, s20, s18
	s_addc_u32 s19, s21, s19
	v_mad_i64_i32 v[7:8], null, s16, v0, 0
	s_load_b64 s[18:19], s[18:19], 0x0
	s_delay_alu instid0(VALU_DEP_2) | instskip(NEXT) | instid1(VALU_DEP_2)
	v_lshlrev_b64 v[1:2], 4, v[2:3]
	v_lshlrev_b64 v[3:4], 4, v[7:8]
	v_dual_mov_b32 v8, v6 :: v_dual_mov_b32 v7, v5
	s_delay_alu instid0(VALU_DEP_3) | instskip(NEXT) | instid1(VALU_DEP_4)
	v_add_co_u32 v1, vcc_lo, v1, v10
	v_add_co_ci_u32_e32 v2, vcc_lo, 0, v2, vcc_lo
	s_delay_alu instid0(VALU_DEP_4)
	v_add_co_u32 v3, vcc_lo, v3, v14
	v_add_co_ci_u32_e32 v4, vcc_lo, 0, v4, vcc_lo
	s_waitcnt lgkmcnt(0)
	v_add_co_u32 v1, vcc_lo, s14, v1
	v_add_co_ci_u32_e32 v2, vcc_lo, s15, v2, vcc_lo
	v_add_co_u32 v3, vcc_lo, s18, v3
	v_add_nc_u32_e32 v13, v11, v10
	v_add_co_ci_u32_e32 v4, vcc_lo, s19, v4, vcc_lo
.LBB891_2:                              ; =>This Inner Loop Header: Depth=1
	global_load_b128 v[14:17], v[3:4], off
	global_load_b128 v[18:21], v[1:2], off
	v_add_co_u32 v1, vcc_lo, 0x100, v1
	v_add_co_ci_u32_e32 v2, vcc_lo, 0, v2, vcc_lo
	v_add_co_u32 v3, vcc_lo, 0x100, v3
	v_add_co_ci_u32_e32 v4, vcc_lo, 0, v4, vcc_lo
	s_add_i32 s17, s17, 16
	s_waitcnt vmcnt(1)
	ds_store_2addr_b64 v12, v[14:15], v[16:17] offset1:1
	s_waitcnt vmcnt(0)
	ds_store_2addr_b64 v13, v[18:19], v[20:21] offset1:1
	s_waitcnt lgkmcnt(0)
	s_barrier
	buffer_gl0_inv
	ds_load_b128 v[14:17], v10
	ds_load_b128 v[18:21], v11
	ds_load_b128 v[22:25], v11 offset:16
	ds_load_b128 v[26:29], v10 offset:256
	s_cmp_lt_i32 s17, s12
	s_waitcnt lgkmcnt(2)
	v_mul_f64 v[30:31], v[20:21], v[16:17]
	v_mul_f64 v[16:17], v[18:19], v[16:17]
	s_waitcnt lgkmcnt(0)
	v_mul_f64 v[36:37], v[24:25], v[28:29]
	v_mul_f64 v[38:39], v[22:23], v[28:29]
	s_delay_alu instid0(VALU_DEP_4) | instskip(NEXT) | instid1(VALU_DEP_4)
	v_fma_f64 v[40:41], v[18:19], v[14:15], -v[30:31]
	v_fma_f64 v[42:43], v[20:21], v[14:15], v[16:17]
	ds_load_b128 v[14:17], v10 offset:512
	ds_load_b128 v[18:21], v11 offset:32
	;; [unrolled: 1-line block ×4, first 2 shown]
	v_fma_f64 v[22:23], v[22:23], v[26:27], -v[36:37]
	v_fma_f64 v[24:25], v[24:25], v[26:27], v[38:39]
	s_waitcnt lgkmcnt(2)
	v_mul_f64 v[44:45], v[20:21], v[16:17]
	v_mul_f64 v[16:17], v[18:19], v[16:17]
	s_waitcnt lgkmcnt(0)
	v_mul_f64 v[26:27], v[30:31], v[34:35]
	v_mul_f64 v[34:35], v[28:29], v[34:35]
	v_add_f64 v[7:8], v[7:8], v[40:41]
	v_add_f64 v[5:6], v[5:6], v[42:43]
	v_fma_f64 v[36:37], v[18:19], v[14:15], -v[44:45]
	v_fma_f64 v[38:39], v[20:21], v[14:15], v[16:17]
	v_fma_f64 v[26:27], v[28:29], v[32:33], -v[26:27]
	v_fma_f64 v[28:29], v[30:31], v[32:33], v[34:35]
	v_add_f64 v[40:41], v[7:8], v[22:23]
	v_add_f64 v[42:43], v[5:6], v[24:25]
	ds_load_b128 v[5:8], v10 offset:1024
	ds_load_b128 v[14:17], v11 offset:64
	;; [unrolled: 1-line block ×4, first 2 shown]
	s_waitcnt lgkmcnt(2)
	v_mul_f64 v[44:45], v[16:17], v[7:8]
	v_mul_f64 v[7:8], v[14:15], v[7:8]
	s_waitcnt lgkmcnt(0)
	v_mul_f64 v[34:35], v[20:21], v[24:25]
	v_add_f64 v[30:31], v[40:41], v[36:37]
	v_add_f64 v[32:33], v[42:43], v[38:39]
	v_mul_f64 v[36:37], v[18:19], v[24:25]
	v_fma_f64 v[38:39], v[14:15], v[5:6], -v[44:45]
	v_fma_f64 v[40:41], v[16:17], v[5:6], v[7:8]
	v_fma_f64 v[18:19], v[18:19], v[22:23], -v[34:35]
	v_add_f64 v[42:43], v[30:31], v[26:27]
	v_add_f64 v[32:33], v[32:33], v[28:29]
	ds_load_b128 v[5:8], v10 offset:1536
	ds_load_b128 v[14:17], v11 offset:96
	;; [unrolled: 1-line block ×4, first 2 shown]
	v_fma_f64 v[20:21], v[20:21], v[22:23], v[36:37]
	s_waitcnt lgkmcnt(2)
	v_mul_f64 v[44:45], v[16:17], v[7:8]
	v_mul_f64 v[7:8], v[14:15], v[7:8]
	s_waitcnt lgkmcnt(0)
	v_mul_f64 v[34:35], v[26:27], v[30:31]
	v_mul_f64 v[36:37], v[24:25], v[30:31]
	v_add_f64 v[22:23], v[42:43], v[38:39]
	v_add_f64 v[32:33], v[32:33], v[40:41]
	v_fma_f64 v[38:39], v[14:15], v[5:6], -v[44:45]
	v_fma_f64 v[40:41], v[16:17], v[5:6], v[7:8]
	v_fma_f64 v[24:25], v[24:25], v[28:29], -v[34:35]
	v_fma_f64 v[26:27], v[26:27], v[28:29], v[36:37]
	v_add_f64 v[22:23], v[22:23], v[18:19]
	v_add_f64 v[42:43], v[32:33], v[20:21]
	ds_load_b128 v[5:8], v10 offset:2048
	ds_load_b128 v[14:17], v11 offset:128
	ds_load_b128 v[18:21], v11 offset:144
	ds_load_b128 v[30:33], v10 offset:2304
	s_waitcnt lgkmcnt(2)
	v_mul_f64 v[44:45], v[16:17], v[7:8]
	v_mul_f64 v[7:8], v[14:15], v[7:8]
	s_waitcnt lgkmcnt(0)
	v_mul_f64 v[34:35], v[20:21], v[32:33]
	v_mul_f64 v[32:33], v[18:19], v[32:33]
	v_add_f64 v[22:23], v[22:23], v[38:39]
	v_add_f64 v[28:29], v[42:43], v[40:41]
	v_fma_f64 v[36:37], v[14:15], v[5:6], -v[44:45]
	v_fma_f64 v[38:39], v[16:17], v[5:6], v[7:8]
	v_fma_f64 v[18:19], v[18:19], v[30:31], -v[34:35]
	v_fma_f64 v[20:21], v[20:21], v[30:31], v[32:33]
	v_add_f64 v[40:41], v[22:23], v[24:25]
	v_add_f64 v[42:43], v[28:29], v[26:27]
	ds_load_b128 v[5:8], v10 offset:2560
	ds_load_b128 v[14:17], v11 offset:160
	;; [unrolled: 1-line block ×4, first 2 shown]
	s_waitcnt lgkmcnt(2)
	v_mul_f64 v[44:45], v[16:17], v[7:8]
	v_mul_f64 v[7:8], v[14:15], v[7:8]
	s_waitcnt lgkmcnt(0)
	v_mul_f64 v[34:35], v[24:25], v[28:29]
	v_add_f64 v[30:31], v[40:41], v[36:37]
	v_add_f64 v[32:33], v[42:43], v[38:39]
	v_mul_f64 v[36:37], v[22:23], v[28:29]
	v_fma_f64 v[38:39], v[14:15], v[5:6], -v[44:45]
	v_fma_f64 v[40:41], v[16:17], v[5:6], v[7:8]
	v_fma_f64 v[22:23], v[22:23], v[26:27], -v[34:35]
	v_add_f64 v[42:43], v[30:31], v[18:19]
	v_add_f64 v[32:33], v[32:33], v[20:21]
	ds_load_b128 v[5:8], v10 offset:3072
	ds_load_b128 v[14:17], v11 offset:192
	;; [unrolled: 1-line block ×4, first 2 shown]
	v_fma_f64 v[24:25], v[24:25], v[26:27], v[36:37]
	s_waitcnt lgkmcnt(2)
	v_mul_f64 v[44:45], v[16:17], v[7:8]
	v_mul_f64 v[7:8], v[14:15], v[7:8]
	s_waitcnt lgkmcnt(0)
	v_mul_f64 v[34:35], v[20:21], v[30:31]
	v_mul_f64 v[36:37], v[18:19], v[30:31]
	v_add_f64 v[26:27], v[42:43], v[38:39]
	v_add_f64 v[32:33], v[32:33], v[40:41]
	v_fma_f64 v[38:39], v[14:15], v[5:6], -v[44:45]
	v_fma_f64 v[40:41], v[16:17], v[5:6], v[7:8]
	v_fma_f64 v[18:19], v[18:19], v[28:29], -v[34:35]
	v_fma_f64 v[20:21], v[20:21], v[28:29], v[36:37]
	v_add_f64 v[26:27], v[26:27], v[22:23]
	v_add_f64 v[42:43], v[32:33], v[24:25]
	ds_load_b128 v[5:8], v10 offset:3584
	ds_load_b128 v[14:17], v11 offset:224
	;; [unrolled: 1-line block ×4, first 2 shown]
	s_waitcnt lgkmcnt(0)
	s_barrier
	buffer_gl0_inv
	v_mul_f64 v[44:45], v[16:17], v[7:8]
	v_mul_f64 v[7:8], v[14:15], v[7:8]
	;; [unrolled: 1-line block ×4, first 2 shown]
	v_add_f64 v[26:27], v[26:27], v[38:39]
	v_add_f64 v[28:29], v[42:43], v[40:41]
	v_fma_f64 v[14:15], v[14:15], v[5:6], -v[44:45]
	v_fma_f64 v[5:6], v[16:17], v[5:6], v[7:8]
	s_delay_alu instid0(VALU_DEP_4) | instskip(NEXT) | instid1(VALU_DEP_4)
	v_add_f64 v[7:8], v[26:27], v[18:19]
	v_add_f64 v[16:17], v[28:29], v[20:21]
	v_fma_f64 v[18:19], v[22:23], v[30:31], -v[34:35]
	v_fma_f64 v[20:21], v[24:25], v[30:31], v[32:33]
	s_delay_alu instid0(VALU_DEP_4) | instskip(NEXT) | instid1(VALU_DEP_4)
	v_add_f64 v[7:8], v[7:8], v[14:15]
	v_add_f64 v[5:6], v[16:17], v[5:6]
	s_delay_alu instid0(VALU_DEP_2) | instskip(NEXT) | instid1(VALU_DEP_2)
	v_add_f64 v[7:8], v[7:8], v[18:19]
	v_add_f64 v[5:6], v[5:6], v[20:21]
	s_cbranch_scc1 .LBB891_2
.LBB891_3:
	s_mov_b32 s12, exec_lo
	v_cmpx_le_i32_e64 v9, v0
	s_cbranch_execz .LBB891_5
; %bb.4:
	s_load_b32 s0, s[0:1], 0x60
	v_ashrrev_i32_e32 v1, 31, v0
	s_delay_alu instid0(VALU_DEP_3) | instskip(SKIP_1) | instid1(VALU_DEP_3)
	v_mul_f64 v[12:13], s[4:5], v[5:6]
	v_mul_f64 v[5:6], s[6:7], v[5:6]
	v_lshlrev_b64 v[10:11], 4, v[0:1]
	s_waitcnt lgkmcnt(0)
	v_mad_i64_i32 v[2:3], null, s0, v9, 0
	s_delay_alu instid0(VALU_DEP_1) | instskip(NEXT) | instid1(VALU_DEP_1)
	v_lshlrev_b64 v[2:3], 4, v[2:3]
	v_add_co_u32 v1, vcc_lo, s2, v2
	s_delay_alu instid0(VALU_DEP_2) | instskip(NEXT) | instid1(VALU_DEP_2)
	v_add_co_ci_u32_e32 v2, vcc_lo, s3, v3, vcc_lo
	v_add_co_u32 v10, vcc_lo, v1, v10
	s_delay_alu instid0(VALU_DEP_2)
	v_add_co_ci_u32_e32 v11, vcc_lo, v2, v11, vcc_lo
	v_fma_f64 v[12:13], s[6:7], v[7:8], v[12:13]
	v_fma_f64 v[5:6], s[4:5], v[7:8], -v[5:6]
	v_cmp_ne_u32_e32 vcc_lo, v0, v9
	global_load_b128 v[1:4], v[10:11], off
	s_waitcnt vmcnt(0)
	v_mul_f64 v[14:15], s[8:9], v[3:4]
	v_mul_f64 v[3:4], s[10:11], v[3:4]
	s_delay_alu instid0(VALU_DEP_2) | instskip(NEXT) | instid1(VALU_DEP_2)
	v_fma_f64 v[14:15], s[10:11], v[1:2], v[14:15]
	v_fma_f64 v[1:2], s[8:9], v[1:2], -v[3:4]
	s_delay_alu instid0(VALU_DEP_2) | instskip(NEXT) | instid1(VALU_DEP_2)
	v_add_f64 v[3:4], v[12:13], v[14:15]
	v_add_f64 v[1:2], v[5:6], v[1:2]
	s_delay_alu instid0(VALU_DEP_2)
	v_dual_cndmask_b32 v4, 0, v4 :: v_dual_cndmask_b32 v3, 0, v3
	global_store_b128 v[10:11], v[1:4], off
.LBB891_5:
	s_nop 0
	s_sendmsg sendmsg(MSG_DEALLOC_VGPRS)
	s_endpgm
	.section	.rodata,"a",@progbits
	.p2align	6, 0x0
	.amdhsa_kernel _ZL41rocblas_syrkx_herkx_small_restrict_kernelIi19rocblas_complex_numIdELi16ELb0ELb1ELc84ELc76EKPKS1_KPS1_EviT_T0_PT6_S7_lSA_S7_lS8_PT7_S7_li
		.amdhsa_group_segment_fixed_size 8192
		.amdhsa_private_segment_fixed_size 0
		.amdhsa_kernarg_size 116
		.amdhsa_user_sgpr_count 13
		.amdhsa_user_sgpr_dispatch_ptr 0
		.amdhsa_user_sgpr_queue_ptr 0
		.amdhsa_user_sgpr_kernarg_segment_ptr 1
		.amdhsa_user_sgpr_dispatch_id 0
		.amdhsa_user_sgpr_private_segment_size 0
		.amdhsa_wavefront_size32 1
		.amdhsa_uses_dynamic_stack 0
		.amdhsa_enable_private_segment 0
		.amdhsa_system_sgpr_workgroup_id_x 1
		.amdhsa_system_sgpr_workgroup_id_y 1
		.amdhsa_system_sgpr_workgroup_id_z 1
		.amdhsa_system_sgpr_workgroup_info 0
		.amdhsa_system_vgpr_workitem_id 1
		.amdhsa_next_free_vgpr 46
		.amdhsa_next_free_sgpr 22
		.amdhsa_reserve_vcc 1
		.amdhsa_float_round_mode_32 0
		.amdhsa_float_round_mode_16_64 0
		.amdhsa_float_denorm_mode_32 3
		.amdhsa_float_denorm_mode_16_64 3
		.amdhsa_dx10_clamp 1
		.amdhsa_ieee_mode 1
		.amdhsa_fp16_overflow 0
		.amdhsa_workgroup_processor_mode 1
		.amdhsa_memory_ordered 1
		.amdhsa_forward_progress 0
		.amdhsa_shared_vgpr_count 0
		.amdhsa_exception_fp_ieee_invalid_op 0
		.amdhsa_exception_fp_denorm_src 0
		.amdhsa_exception_fp_ieee_div_zero 0
		.amdhsa_exception_fp_ieee_overflow 0
		.amdhsa_exception_fp_ieee_underflow 0
		.amdhsa_exception_fp_ieee_inexact 0
		.amdhsa_exception_int_div_zero 0
	.end_amdhsa_kernel
	.section	.text._ZL41rocblas_syrkx_herkx_small_restrict_kernelIi19rocblas_complex_numIdELi16ELb0ELb1ELc84ELc76EKPKS1_KPS1_EviT_T0_PT6_S7_lSA_S7_lS8_PT7_S7_li,"axG",@progbits,_ZL41rocblas_syrkx_herkx_small_restrict_kernelIi19rocblas_complex_numIdELi16ELb0ELb1ELc84ELc76EKPKS1_KPS1_EviT_T0_PT6_S7_lSA_S7_lS8_PT7_S7_li,comdat
.Lfunc_end891:
	.size	_ZL41rocblas_syrkx_herkx_small_restrict_kernelIi19rocblas_complex_numIdELi16ELb0ELb1ELc84ELc76EKPKS1_KPS1_EviT_T0_PT6_S7_lSA_S7_lS8_PT7_S7_li, .Lfunc_end891-_ZL41rocblas_syrkx_herkx_small_restrict_kernelIi19rocblas_complex_numIdELi16ELb0ELb1ELc84ELc76EKPKS1_KPS1_EviT_T0_PT6_S7_lSA_S7_lS8_PT7_S7_li
                                        ; -- End function
	.section	.AMDGPU.csdata,"",@progbits
; Kernel info:
; codeLenInByte = 1796
; NumSgprs: 24
; NumVgprs: 46
; ScratchSize: 0
; MemoryBound: 0
; FloatMode: 240
; IeeeMode: 1
; LDSByteSize: 8192 bytes/workgroup (compile time only)
; SGPRBlocks: 2
; VGPRBlocks: 5
; NumSGPRsForWavesPerEU: 24
; NumVGPRsForWavesPerEU: 46
; Occupancy: 16
; WaveLimiterHint : 1
; COMPUTE_PGM_RSRC2:SCRATCH_EN: 0
; COMPUTE_PGM_RSRC2:USER_SGPR: 13
; COMPUTE_PGM_RSRC2:TRAP_HANDLER: 0
; COMPUTE_PGM_RSRC2:TGID_X_EN: 1
; COMPUTE_PGM_RSRC2:TGID_Y_EN: 1
; COMPUTE_PGM_RSRC2:TGID_Z_EN: 1
; COMPUTE_PGM_RSRC2:TIDIG_COMP_CNT: 1
	.section	.text._ZL41rocblas_syrkx_herkx_small_restrict_kernelIi19rocblas_complex_numIdELi16ELb0ELb1ELc67ELc76EKPKS1_KPS1_EviT_T0_PT6_S7_lSA_S7_lS8_PT7_S7_li,"axG",@progbits,_ZL41rocblas_syrkx_herkx_small_restrict_kernelIi19rocblas_complex_numIdELi16ELb0ELb1ELc67ELc76EKPKS1_KPS1_EviT_T0_PT6_S7_lSA_S7_lS8_PT7_S7_li,comdat
	.globl	_ZL41rocblas_syrkx_herkx_small_restrict_kernelIi19rocblas_complex_numIdELi16ELb0ELb1ELc67ELc76EKPKS1_KPS1_EviT_T0_PT6_S7_lSA_S7_lS8_PT7_S7_li ; -- Begin function _ZL41rocblas_syrkx_herkx_small_restrict_kernelIi19rocblas_complex_numIdELi16ELb0ELb1ELc67ELc76EKPKS1_KPS1_EviT_T0_PT6_S7_lSA_S7_lS8_PT7_S7_li
	.p2align	8
	.type	_ZL41rocblas_syrkx_herkx_small_restrict_kernelIi19rocblas_complex_numIdELi16ELb0ELb1ELc67ELc76EKPKS1_KPS1_EviT_T0_PT6_S7_lSA_S7_lS8_PT7_S7_li,@function
_ZL41rocblas_syrkx_herkx_small_restrict_kernelIi19rocblas_complex_numIdELi16ELb0ELb1ELc67ELc76EKPKS1_KPS1_EviT_T0_PT6_S7_lSA_S7_lS8_PT7_S7_li: ; @_ZL41rocblas_syrkx_herkx_small_restrict_kernelIi19rocblas_complex_numIdELi16ELb0ELb1ELc67ELc76EKPKS1_KPS1_EviT_T0_PT6_S7_lSA_S7_lS8_PT7_S7_li
; %bb.0:
	s_load_b64 s[2:3], s[0:1], 0x58
	s_mov_b32 s16, s15
	s_mov_b32 s17, 0
	s_clause 0x1
	s_load_b32 s12, s[0:1], 0x4
	s_load_b128 s[4:7], s[0:1], 0x8
	s_lshl_b64 s[18:19], s[16:17], 3
	v_dual_mov_b32 v5, 0 :: v_dual_and_b32 v2, 0x3ff, v0
	v_bfe_u32 v1, v0, 10, 10
	v_mov_b32_e32 v6, 0
	s_delay_alu instid0(VALU_DEP_3) | instskip(NEXT) | instid1(VALU_DEP_3)
	v_lshl_add_u32 v0, s13, 4, v2
	v_lshl_add_u32 v9, s14, 4, v1
	s_delay_alu instid0(VALU_DEP_3)
	v_dual_mov_b32 v8, v6 :: v_dual_mov_b32 v7, v5
	s_waitcnt lgkmcnt(0)
	s_add_u32 s2, s2, s18
	s_addc_u32 s3, s3, s19
	s_clause 0x1
	s_load_b64 s[20:21], s[0:1], 0x18
	s_load_b128 s[8:11], s[0:1], 0x48
	s_load_b64 s[2:3], s[2:3], 0x0
	s_cmp_lt_i32 s12, 1
	s_cbranch_scc1 .LBB892_3
; %bb.1:
	s_clause 0x2
	s_load_b64 s[14:15], s[0:1], 0x30
	s_load_b32 s13, s[0:1], 0x20
	s_load_b32 s16, s[0:1], 0x38
	v_dual_mov_b32 v5, 0 :: v_dual_lshlrev_b32 v12, 8, v1
	v_lshlrev_b32_e32 v14, 4, v1
	v_mov_b32_e32 v6, 0
	v_lshlrev_b32_e32 v10, 4, v2
	s_delay_alu instid0(VALU_DEP_4)
	v_add_nc_u32_e32 v11, 0x1000, v12
	s_waitcnt lgkmcnt(0)
	s_add_u32 s14, s14, s18
	s_addc_u32 s15, s15, s19
	s_add_u32 s18, s20, s18
	s_addc_u32 s19, s21, s19
	v_mad_i64_i32 v[3:4], null, s13, v0, 0
	s_load_b64 s[18:19], s[18:19], 0x0
	v_mad_i64_i32 v[7:8], null, s16, v9, 0
	s_load_b64 s[14:15], s[14:15], 0x0
	s_delay_alu instid0(VALU_DEP_2) | instskip(NEXT) | instid1(VALU_DEP_2)
	v_lshlrev_b64 v[1:2], 4, v[3:4]
	v_lshlrev_b64 v[3:4], 4, v[7:8]
	s_delay_alu instid0(VALU_DEP_2) | instskip(NEXT) | instid1(VALU_DEP_3)
	v_add_co_u32 v1, vcc_lo, v1, v14
	v_add_co_ci_u32_e32 v2, vcc_lo, 0, v2, vcc_lo
	s_delay_alu instid0(VALU_DEP_3) | instskip(NEXT) | instid1(VALU_DEP_4)
	v_add_co_u32 v3, vcc_lo, v3, v10
	v_add_co_ci_u32_e32 v4, vcc_lo, 0, v4, vcc_lo
	s_waitcnt lgkmcnt(0)
	v_add_co_u32 v7, vcc_lo, v1, s18
	v_add_co_ci_u32_e32 v8, vcc_lo, s19, v2, vcc_lo
	v_add_co_u32 v1, vcc_lo, s14, v3
	v_add_co_ci_u32_e32 v2, vcc_lo, s15, v4, vcc_lo
	s_delay_alu instid0(VALU_DEP_4) | instskip(NEXT) | instid1(VALU_DEP_4)
	v_add_co_u32 v3, vcc_lo, v7, 8
	v_add_co_ci_u32_e32 v4, vcc_lo, 0, v8, vcc_lo
	v_dual_mov_b32 v8, v6 :: v_dual_mov_b32 v7, v5
	v_add_nc_u32_e32 v12, v10, v12
	v_add_nc_u32_e32 v13, v11, v10
.LBB892_2:                              ; =>This Inner Loop Header: Depth=1
	global_load_b128 v[14:17], v[3:4], off offset:-8
	global_load_b128 v[18:21], v[1:2], off
	v_add_co_u32 v1, vcc_lo, 0x100, v1
	v_add_co_ci_u32_e32 v2, vcc_lo, 0, v2, vcc_lo
	v_add_co_u32 v3, vcc_lo, 0x100, v3
	v_add_co_ci_u32_e32 v4, vcc_lo, 0, v4, vcc_lo
	s_add_i32 s17, s17, 16
	s_delay_alu instid0(SALU_CYCLE_1)
	s_cmp_lt_i32 s17, s12
	s_waitcnt vmcnt(1)
	v_xor_b32_e32 v17, 0x80000000, v17
	ds_store_b128 v12, v[14:17]
	s_waitcnt vmcnt(0)
	ds_store_2addr_b64 v13, v[18:19], v[20:21] offset1:1
	s_waitcnt lgkmcnt(0)
	s_barrier
	buffer_gl0_inv
	ds_load_b128 v[14:17], v10
	ds_load_b128 v[18:21], v11
	ds_load_b128 v[22:25], v11 offset:16
	ds_load_b128 v[26:29], v10 offset:256
	s_waitcnt lgkmcnt(2)
	v_mul_f64 v[30:31], v[20:21], v[16:17]
	v_mul_f64 v[16:17], v[18:19], v[16:17]
	s_waitcnt lgkmcnt(0)
	v_mul_f64 v[36:37], v[24:25], v[28:29]
	v_mul_f64 v[38:39], v[22:23], v[28:29]
	s_delay_alu instid0(VALU_DEP_4) | instskip(NEXT) | instid1(VALU_DEP_4)
	v_fma_f64 v[40:41], v[18:19], v[14:15], -v[30:31]
	v_fma_f64 v[42:43], v[20:21], v[14:15], v[16:17]
	ds_load_b128 v[14:17], v10 offset:512
	ds_load_b128 v[18:21], v11 offset:32
	;; [unrolled: 1-line block ×4, first 2 shown]
	v_fma_f64 v[22:23], v[22:23], v[26:27], -v[36:37]
	v_fma_f64 v[24:25], v[24:25], v[26:27], v[38:39]
	s_waitcnt lgkmcnt(2)
	v_mul_f64 v[44:45], v[20:21], v[16:17]
	v_mul_f64 v[16:17], v[18:19], v[16:17]
	s_waitcnt lgkmcnt(0)
	v_mul_f64 v[26:27], v[30:31], v[34:35]
	v_mul_f64 v[34:35], v[28:29], v[34:35]
	v_add_f64 v[7:8], v[7:8], v[40:41]
	v_add_f64 v[5:6], v[5:6], v[42:43]
	v_fma_f64 v[36:37], v[18:19], v[14:15], -v[44:45]
	v_fma_f64 v[38:39], v[20:21], v[14:15], v[16:17]
	v_fma_f64 v[26:27], v[28:29], v[32:33], -v[26:27]
	v_fma_f64 v[28:29], v[30:31], v[32:33], v[34:35]
	v_add_f64 v[40:41], v[7:8], v[22:23]
	v_add_f64 v[42:43], v[5:6], v[24:25]
	ds_load_b128 v[5:8], v10 offset:1024
	ds_load_b128 v[14:17], v11 offset:64
	;; [unrolled: 1-line block ×4, first 2 shown]
	s_waitcnt lgkmcnt(2)
	v_mul_f64 v[44:45], v[16:17], v[7:8]
	v_mul_f64 v[7:8], v[14:15], v[7:8]
	s_waitcnt lgkmcnt(0)
	v_mul_f64 v[34:35], v[20:21], v[24:25]
	v_add_f64 v[30:31], v[40:41], v[36:37]
	v_add_f64 v[32:33], v[42:43], v[38:39]
	v_mul_f64 v[36:37], v[18:19], v[24:25]
	v_fma_f64 v[38:39], v[14:15], v[5:6], -v[44:45]
	v_fma_f64 v[40:41], v[16:17], v[5:6], v[7:8]
	v_fma_f64 v[18:19], v[18:19], v[22:23], -v[34:35]
	v_add_f64 v[42:43], v[30:31], v[26:27]
	v_add_f64 v[32:33], v[32:33], v[28:29]
	ds_load_b128 v[5:8], v10 offset:1536
	ds_load_b128 v[14:17], v11 offset:96
	;; [unrolled: 1-line block ×4, first 2 shown]
	v_fma_f64 v[20:21], v[20:21], v[22:23], v[36:37]
	s_waitcnt lgkmcnt(2)
	v_mul_f64 v[44:45], v[16:17], v[7:8]
	v_mul_f64 v[7:8], v[14:15], v[7:8]
	s_waitcnt lgkmcnt(0)
	v_mul_f64 v[34:35], v[26:27], v[30:31]
	v_mul_f64 v[36:37], v[24:25], v[30:31]
	v_add_f64 v[22:23], v[42:43], v[38:39]
	v_add_f64 v[32:33], v[32:33], v[40:41]
	v_fma_f64 v[38:39], v[14:15], v[5:6], -v[44:45]
	v_fma_f64 v[40:41], v[16:17], v[5:6], v[7:8]
	v_fma_f64 v[24:25], v[24:25], v[28:29], -v[34:35]
	v_fma_f64 v[26:27], v[26:27], v[28:29], v[36:37]
	v_add_f64 v[22:23], v[22:23], v[18:19]
	v_add_f64 v[42:43], v[32:33], v[20:21]
	ds_load_b128 v[5:8], v10 offset:2048
	ds_load_b128 v[14:17], v11 offset:128
	ds_load_b128 v[18:21], v11 offset:144
	ds_load_b128 v[30:33], v10 offset:2304
	s_waitcnt lgkmcnt(2)
	v_mul_f64 v[44:45], v[16:17], v[7:8]
	v_mul_f64 v[7:8], v[14:15], v[7:8]
	s_waitcnt lgkmcnt(0)
	v_mul_f64 v[34:35], v[20:21], v[32:33]
	v_mul_f64 v[32:33], v[18:19], v[32:33]
	v_add_f64 v[22:23], v[22:23], v[38:39]
	v_add_f64 v[28:29], v[42:43], v[40:41]
	v_fma_f64 v[36:37], v[14:15], v[5:6], -v[44:45]
	v_fma_f64 v[38:39], v[16:17], v[5:6], v[7:8]
	v_fma_f64 v[18:19], v[18:19], v[30:31], -v[34:35]
	v_fma_f64 v[20:21], v[20:21], v[30:31], v[32:33]
	v_add_f64 v[40:41], v[22:23], v[24:25]
	v_add_f64 v[42:43], v[28:29], v[26:27]
	ds_load_b128 v[5:8], v10 offset:2560
	ds_load_b128 v[14:17], v11 offset:160
	ds_load_b128 v[22:25], v11 offset:176
	ds_load_b128 v[26:29], v10 offset:2816
	s_waitcnt lgkmcnt(2)
	v_mul_f64 v[44:45], v[16:17], v[7:8]
	v_mul_f64 v[7:8], v[14:15], v[7:8]
	s_waitcnt lgkmcnt(0)
	v_mul_f64 v[34:35], v[24:25], v[28:29]
	v_add_f64 v[30:31], v[40:41], v[36:37]
	v_add_f64 v[32:33], v[42:43], v[38:39]
	v_mul_f64 v[36:37], v[22:23], v[28:29]
	v_fma_f64 v[38:39], v[14:15], v[5:6], -v[44:45]
	v_fma_f64 v[40:41], v[16:17], v[5:6], v[7:8]
	v_fma_f64 v[22:23], v[22:23], v[26:27], -v[34:35]
	v_add_f64 v[42:43], v[30:31], v[18:19]
	v_add_f64 v[32:33], v[32:33], v[20:21]
	ds_load_b128 v[5:8], v10 offset:3072
	ds_load_b128 v[14:17], v11 offset:192
	;; [unrolled: 1-line block ×4, first 2 shown]
	v_fma_f64 v[24:25], v[24:25], v[26:27], v[36:37]
	s_waitcnt lgkmcnt(2)
	v_mul_f64 v[44:45], v[16:17], v[7:8]
	v_mul_f64 v[7:8], v[14:15], v[7:8]
	s_waitcnt lgkmcnt(0)
	v_mul_f64 v[34:35], v[20:21], v[30:31]
	v_mul_f64 v[36:37], v[18:19], v[30:31]
	v_add_f64 v[26:27], v[42:43], v[38:39]
	v_add_f64 v[32:33], v[32:33], v[40:41]
	v_fma_f64 v[38:39], v[14:15], v[5:6], -v[44:45]
	v_fma_f64 v[40:41], v[16:17], v[5:6], v[7:8]
	v_fma_f64 v[18:19], v[18:19], v[28:29], -v[34:35]
	v_fma_f64 v[20:21], v[20:21], v[28:29], v[36:37]
	v_add_f64 v[26:27], v[26:27], v[22:23]
	v_add_f64 v[42:43], v[32:33], v[24:25]
	ds_load_b128 v[5:8], v10 offset:3584
	ds_load_b128 v[14:17], v11 offset:224
	;; [unrolled: 1-line block ×4, first 2 shown]
	s_waitcnt lgkmcnt(0)
	s_barrier
	buffer_gl0_inv
	v_mul_f64 v[44:45], v[16:17], v[7:8]
	v_mul_f64 v[7:8], v[14:15], v[7:8]
	v_mul_f64 v[34:35], v[24:25], v[32:33]
	v_mul_f64 v[32:33], v[22:23], v[32:33]
	v_add_f64 v[26:27], v[26:27], v[38:39]
	v_add_f64 v[28:29], v[42:43], v[40:41]
	v_fma_f64 v[14:15], v[14:15], v[5:6], -v[44:45]
	v_fma_f64 v[5:6], v[16:17], v[5:6], v[7:8]
	s_delay_alu instid0(VALU_DEP_4) | instskip(NEXT) | instid1(VALU_DEP_4)
	v_add_f64 v[7:8], v[26:27], v[18:19]
	v_add_f64 v[16:17], v[28:29], v[20:21]
	v_fma_f64 v[18:19], v[22:23], v[30:31], -v[34:35]
	v_fma_f64 v[20:21], v[24:25], v[30:31], v[32:33]
	s_delay_alu instid0(VALU_DEP_4) | instskip(NEXT) | instid1(VALU_DEP_4)
	v_add_f64 v[7:8], v[7:8], v[14:15]
	v_add_f64 v[5:6], v[16:17], v[5:6]
	s_delay_alu instid0(VALU_DEP_2) | instskip(NEXT) | instid1(VALU_DEP_2)
	v_add_f64 v[7:8], v[7:8], v[18:19]
	v_add_f64 v[5:6], v[5:6], v[20:21]
	s_cbranch_scc1 .LBB892_2
.LBB892_3:
	s_mov_b32 s12, exec_lo
	v_cmpx_le_i32_e64 v9, v0
	s_cbranch_execz .LBB892_5
; %bb.4:
	s_load_b32 s0, s[0:1], 0x60
	v_ashrrev_i32_e32 v1, 31, v0
	s_delay_alu instid0(VALU_DEP_3) | instskip(SKIP_1) | instid1(VALU_DEP_3)
	v_mul_f64 v[12:13], s[4:5], v[5:6]
	v_mul_f64 v[5:6], s[6:7], v[5:6]
	v_lshlrev_b64 v[10:11], 4, v[0:1]
	s_waitcnt lgkmcnt(0)
	v_mad_i64_i32 v[2:3], null, s0, v9, 0
	s_delay_alu instid0(VALU_DEP_1) | instskip(NEXT) | instid1(VALU_DEP_1)
	v_lshlrev_b64 v[2:3], 4, v[2:3]
	v_add_co_u32 v1, vcc_lo, s2, v2
	s_delay_alu instid0(VALU_DEP_2) | instskip(NEXT) | instid1(VALU_DEP_2)
	v_add_co_ci_u32_e32 v2, vcc_lo, s3, v3, vcc_lo
	v_add_co_u32 v10, vcc_lo, v1, v10
	s_delay_alu instid0(VALU_DEP_2)
	v_add_co_ci_u32_e32 v11, vcc_lo, v2, v11, vcc_lo
	v_fma_f64 v[12:13], s[6:7], v[7:8], v[12:13]
	v_fma_f64 v[5:6], s[4:5], v[7:8], -v[5:6]
	v_cmp_ne_u32_e32 vcc_lo, v0, v9
	global_load_b128 v[1:4], v[10:11], off
	s_waitcnt vmcnt(0)
	v_mul_f64 v[14:15], s[8:9], v[3:4]
	v_mul_f64 v[3:4], s[10:11], v[3:4]
	s_delay_alu instid0(VALU_DEP_2) | instskip(NEXT) | instid1(VALU_DEP_2)
	v_fma_f64 v[14:15], s[10:11], v[1:2], v[14:15]
	v_fma_f64 v[1:2], s[8:9], v[1:2], -v[3:4]
	s_delay_alu instid0(VALU_DEP_2) | instskip(NEXT) | instid1(VALU_DEP_2)
	v_add_f64 v[3:4], v[12:13], v[14:15]
	v_add_f64 v[1:2], v[5:6], v[1:2]
	s_delay_alu instid0(VALU_DEP_2)
	v_dual_cndmask_b32 v4, 0, v4 :: v_dual_cndmask_b32 v3, 0, v3
	global_store_b128 v[10:11], v[1:4], off
.LBB892_5:
	s_nop 0
	s_sendmsg sendmsg(MSG_DEALLOC_VGPRS)
	s_endpgm
	.section	.rodata,"a",@progbits
	.p2align	6, 0x0
	.amdhsa_kernel _ZL41rocblas_syrkx_herkx_small_restrict_kernelIi19rocblas_complex_numIdELi16ELb0ELb1ELc67ELc76EKPKS1_KPS1_EviT_T0_PT6_S7_lSA_S7_lS8_PT7_S7_li
		.amdhsa_group_segment_fixed_size 8192
		.amdhsa_private_segment_fixed_size 0
		.amdhsa_kernarg_size 116
		.amdhsa_user_sgpr_count 13
		.amdhsa_user_sgpr_dispatch_ptr 0
		.amdhsa_user_sgpr_queue_ptr 0
		.amdhsa_user_sgpr_kernarg_segment_ptr 1
		.amdhsa_user_sgpr_dispatch_id 0
		.amdhsa_user_sgpr_private_segment_size 0
		.amdhsa_wavefront_size32 1
		.amdhsa_uses_dynamic_stack 0
		.amdhsa_enable_private_segment 0
		.amdhsa_system_sgpr_workgroup_id_x 1
		.amdhsa_system_sgpr_workgroup_id_y 1
		.amdhsa_system_sgpr_workgroup_id_z 1
		.amdhsa_system_sgpr_workgroup_info 0
		.amdhsa_system_vgpr_workitem_id 1
		.amdhsa_next_free_vgpr 46
		.amdhsa_next_free_sgpr 22
		.amdhsa_reserve_vcc 1
		.amdhsa_float_round_mode_32 0
		.amdhsa_float_round_mode_16_64 0
		.amdhsa_float_denorm_mode_32 3
		.amdhsa_float_denorm_mode_16_64 3
		.amdhsa_dx10_clamp 1
		.amdhsa_ieee_mode 1
		.amdhsa_fp16_overflow 0
		.amdhsa_workgroup_processor_mode 1
		.amdhsa_memory_ordered 1
		.amdhsa_forward_progress 0
		.amdhsa_shared_vgpr_count 0
		.amdhsa_exception_fp_ieee_invalid_op 0
		.amdhsa_exception_fp_denorm_src 0
		.amdhsa_exception_fp_ieee_div_zero 0
		.amdhsa_exception_fp_ieee_overflow 0
		.amdhsa_exception_fp_ieee_underflow 0
		.amdhsa_exception_fp_ieee_inexact 0
		.amdhsa_exception_int_div_zero 0
	.end_amdhsa_kernel
	.section	.text._ZL41rocblas_syrkx_herkx_small_restrict_kernelIi19rocblas_complex_numIdELi16ELb0ELb1ELc67ELc76EKPKS1_KPS1_EviT_T0_PT6_S7_lSA_S7_lS8_PT7_S7_li,"axG",@progbits,_ZL41rocblas_syrkx_herkx_small_restrict_kernelIi19rocblas_complex_numIdELi16ELb0ELb1ELc67ELc76EKPKS1_KPS1_EviT_T0_PT6_S7_lSA_S7_lS8_PT7_S7_li,comdat
.Lfunc_end892:
	.size	_ZL41rocblas_syrkx_herkx_small_restrict_kernelIi19rocblas_complex_numIdELi16ELb0ELb1ELc67ELc76EKPKS1_KPS1_EviT_T0_PT6_S7_lSA_S7_lS8_PT7_S7_li, .Lfunc_end892-_ZL41rocblas_syrkx_herkx_small_restrict_kernelIi19rocblas_complex_numIdELi16ELb0ELb1ELc67ELc76EKPKS1_KPS1_EviT_T0_PT6_S7_lSA_S7_lS8_PT7_S7_li
                                        ; -- End function
	.section	.AMDGPU.csdata,"",@progbits
; Kernel info:
; codeLenInByte = 1824
; NumSgprs: 24
; NumVgprs: 46
; ScratchSize: 0
; MemoryBound: 0
; FloatMode: 240
; IeeeMode: 1
; LDSByteSize: 8192 bytes/workgroup (compile time only)
; SGPRBlocks: 2
; VGPRBlocks: 5
; NumSGPRsForWavesPerEU: 24
; NumVGPRsForWavesPerEU: 46
; Occupancy: 16
; WaveLimiterHint : 1
; COMPUTE_PGM_RSRC2:SCRATCH_EN: 0
; COMPUTE_PGM_RSRC2:USER_SGPR: 13
; COMPUTE_PGM_RSRC2:TRAP_HANDLER: 0
; COMPUTE_PGM_RSRC2:TGID_X_EN: 1
; COMPUTE_PGM_RSRC2:TGID_Y_EN: 1
; COMPUTE_PGM_RSRC2:TGID_Z_EN: 1
; COMPUTE_PGM_RSRC2:TIDIG_COMP_CNT: 1
	.section	.text._ZL41rocblas_syrkx_herkx_small_restrict_kernelIi19rocblas_complex_numIdELi16ELb0ELb1ELc78ELc76EKPKS1_KPS1_EviT_T0_PT6_S7_lSA_S7_lS8_PT7_S7_li,"axG",@progbits,_ZL41rocblas_syrkx_herkx_small_restrict_kernelIi19rocblas_complex_numIdELi16ELb0ELb1ELc78ELc76EKPKS1_KPS1_EviT_T0_PT6_S7_lSA_S7_lS8_PT7_S7_li,comdat
	.globl	_ZL41rocblas_syrkx_herkx_small_restrict_kernelIi19rocblas_complex_numIdELi16ELb0ELb1ELc78ELc76EKPKS1_KPS1_EviT_T0_PT6_S7_lSA_S7_lS8_PT7_S7_li ; -- Begin function _ZL41rocblas_syrkx_herkx_small_restrict_kernelIi19rocblas_complex_numIdELi16ELb0ELb1ELc78ELc76EKPKS1_KPS1_EviT_T0_PT6_S7_lSA_S7_lS8_PT7_S7_li
	.p2align	8
	.type	_ZL41rocblas_syrkx_herkx_small_restrict_kernelIi19rocblas_complex_numIdELi16ELb0ELb1ELc78ELc76EKPKS1_KPS1_EviT_T0_PT6_S7_lSA_S7_lS8_PT7_S7_li,@function
_ZL41rocblas_syrkx_herkx_small_restrict_kernelIi19rocblas_complex_numIdELi16ELb0ELb1ELc78ELc76EKPKS1_KPS1_EviT_T0_PT6_S7_lSA_S7_lS8_PT7_S7_li: ; @_ZL41rocblas_syrkx_herkx_small_restrict_kernelIi19rocblas_complex_numIdELi16ELb0ELb1ELc78ELc76EKPKS1_KPS1_EviT_T0_PT6_S7_lSA_S7_lS8_PT7_S7_li
; %bb.0:
	s_load_b64 s[2:3], s[0:1], 0x58
	s_mov_b32 s16, s15
	s_mov_b32 s17, 0
	v_and_b32_e32 v5, 0x3ff, v0
	s_lshl_b64 s[18:19], s[16:17], 3
	s_clause 0x1
	s_load_b32 s16, s[0:1], 0x4
	s_load_b128 s[4:7], s[0:1], 0x8
	v_mov_b32_e32 v7, 0
	v_mov_b32_e32 v8, 0
	v_bfe_u32 v4, v0, 10, 10
	v_lshl_add_u32 v0, s13, 4, v5
	s_delay_alu instid0(VALU_DEP_3) | instskip(NEXT) | instid1(VALU_DEP_3)
	v_dual_mov_b32 v10, v8 :: v_dual_mov_b32 v9, v7
	v_lshl_add_u32 v2, s14, 4, v4
	s_delay_alu instid0(VALU_DEP_3)
	v_ashrrev_i32_e32 v1, 31, v0
	s_waitcnt lgkmcnt(0)
	s_add_u32 s2, s2, s18
	s_addc_u32 s3, s3, s19
	s_clause 0x1
	s_load_b64 s[20:21], s[0:1], 0x18
	s_load_b128 s[8:11], s[0:1], 0x48
	s_load_b64 s[2:3], s[2:3], 0x0
	s_cmp_lt_i32 s16, 1
	s_cbranch_scc1 .LBB893_3
; %bb.1:
	s_clause 0x2
	s_load_b32 s14, s[0:1], 0x20
	s_load_b32 s12, s[0:1], 0x38
	s_load_b64 s[22:23], s[0:1], 0x30
	v_ashrrev_i32_e32 v3, 31, v2
	v_lshlrev_b32_e32 v13, 8, v4
	v_lshlrev_b32_e32 v11, 4, v5
	v_lshlrev_b64 v[9:10], 4, v[0:1]
	s_waitcnt lgkmcnt(0)
	s_ashr_i32 s15, s14, 31
	s_ashr_i32 s13, s12, 31
	s_add_u32 s22, s22, s18
	s_addc_u32 s23, s23, s19
	v_mad_i64_i32 v[6:7], null, s12, v5, 0
	s_load_b64 s[22:23], s[22:23], 0x0
	s_add_u32 s18, s20, s18
	s_addc_u32 s19, s21, s19
	v_mad_i64_i32 v[15:16], null, s14, v4, 0
	s_load_b64 s[18:19], s[18:19], 0x0
	v_lshlrev_b64 v[3:4], 4, v[2:3]
	s_delay_alu instid0(VALU_DEP_3)
	v_lshlrev_b64 v[5:6], 4, v[6:7]
	v_mov_b32_e32 v7, 0
	v_mov_b32_e32 v8, 0
	v_add_nc_u32_e32 v12, 0x1000, v13
	v_lshlrev_b64 v[15:16], 4, v[15:16]
	s_lshl_b64 s[12:13], s[12:13], 8
	v_add_co_u32 v3, vcc_lo, v5, v3
	v_add_co_ci_u32_e32 v4, vcc_lo, v6, v4, vcc_lo
	s_delay_alu instid0(VALU_DEP_3) | instskip(NEXT) | instid1(VALU_DEP_4)
	v_add_co_u32 v5, vcc_lo, v15, v9
	v_add_co_ci_u32_e32 v6, vcc_lo, v16, v10, vcc_lo
	s_waitcnt lgkmcnt(0)
	v_add_co_u32 v9, vcc_lo, v3, s22
	v_add_co_ci_u32_e32 v10, vcc_lo, s23, v4, vcc_lo
	v_add_co_u32 v3, vcc_lo, s18, v5
	v_add_co_ci_u32_e32 v4, vcc_lo, s19, v6, vcc_lo
	s_delay_alu instid0(VALU_DEP_4) | instskip(NEXT) | instid1(VALU_DEP_4)
	v_add_co_u32 v5, vcc_lo, v9, 8
	v_add_co_ci_u32_e32 v6, vcc_lo, 0, v10, vcc_lo
	v_dual_mov_b32 v10, v8 :: v_dual_mov_b32 v9, v7
	v_add_nc_u32_e32 v13, v11, v13
	v_add_nc_u32_e32 v14, v12, v11
	s_lshl_b64 s[14:15], s[14:15], 8
.LBB893_2:                              ; =>This Inner Loop Header: Depth=1
	global_load_b128 v[15:18], v[5:6], off offset:-8
	global_load_b128 v[19:22], v[3:4], off
	v_add_co_u32 v5, vcc_lo, v5, s12
	v_add_co_ci_u32_e32 v6, vcc_lo, s13, v6, vcc_lo
	v_add_co_u32 v3, vcc_lo, v3, s14
	v_add_co_ci_u32_e32 v4, vcc_lo, s15, v4, vcc_lo
	s_add_i32 s17, s17, 16
	s_delay_alu instid0(SALU_CYCLE_1)
	s_cmp_lt_i32 s17, s16
	s_waitcnt vmcnt(1)
	v_xor_b32_e32 v18, 0x80000000, v18
	s_waitcnt vmcnt(0)
	ds_store_2addr_b64 v13, v[19:20], v[21:22] offset1:1
	ds_store_b128 v14, v[15:18]
	s_waitcnt lgkmcnt(0)
	s_barrier
	buffer_gl0_inv
	ds_load_b128 v[15:18], v11
	ds_load_b128 v[19:22], v12
	ds_load_b128 v[23:26], v12 offset:16
	ds_load_b128 v[27:30], v11 offset:256
	s_waitcnt lgkmcnt(2)
	v_mul_f64 v[31:32], v[21:22], v[17:18]
	v_mul_f64 v[17:18], v[19:20], v[17:18]
	s_waitcnt lgkmcnt(0)
	v_mul_f64 v[37:38], v[25:26], v[29:30]
	v_mul_f64 v[39:40], v[23:24], v[29:30]
	s_delay_alu instid0(VALU_DEP_4) | instskip(NEXT) | instid1(VALU_DEP_4)
	v_fma_f64 v[41:42], v[19:20], v[15:16], -v[31:32]
	v_fma_f64 v[43:44], v[21:22], v[15:16], v[17:18]
	ds_load_b128 v[15:18], v11 offset:512
	ds_load_b128 v[19:22], v12 offset:32
	;; [unrolled: 1-line block ×4, first 2 shown]
	v_fma_f64 v[23:24], v[23:24], v[27:28], -v[37:38]
	v_fma_f64 v[25:26], v[25:26], v[27:28], v[39:40]
	s_waitcnt lgkmcnt(2)
	v_mul_f64 v[45:46], v[21:22], v[17:18]
	v_mul_f64 v[17:18], v[19:20], v[17:18]
	s_waitcnt lgkmcnt(0)
	v_mul_f64 v[27:28], v[31:32], v[35:36]
	v_mul_f64 v[35:36], v[29:30], v[35:36]
	v_add_f64 v[9:10], v[9:10], v[41:42]
	v_add_f64 v[7:8], v[7:8], v[43:44]
	v_fma_f64 v[37:38], v[19:20], v[15:16], -v[45:46]
	v_fma_f64 v[39:40], v[21:22], v[15:16], v[17:18]
	v_fma_f64 v[27:28], v[29:30], v[33:34], -v[27:28]
	v_fma_f64 v[29:30], v[31:32], v[33:34], v[35:36]
	v_add_f64 v[41:42], v[9:10], v[23:24]
	v_add_f64 v[43:44], v[7:8], v[25:26]
	ds_load_b128 v[7:10], v11 offset:1024
	ds_load_b128 v[15:18], v12 offset:64
	ds_load_b128 v[19:22], v12 offset:80
	ds_load_b128 v[23:26], v11 offset:1280
	s_waitcnt lgkmcnt(2)
	v_mul_f64 v[45:46], v[17:18], v[9:10]
	v_mul_f64 v[9:10], v[15:16], v[9:10]
	s_waitcnt lgkmcnt(0)
	v_mul_f64 v[35:36], v[21:22], v[25:26]
	v_add_f64 v[31:32], v[41:42], v[37:38]
	v_add_f64 v[33:34], v[43:44], v[39:40]
	v_mul_f64 v[37:38], v[19:20], v[25:26]
	v_fma_f64 v[39:40], v[15:16], v[7:8], -v[45:46]
	v_fma_f64 v[41:42], v[17:18], v[7:8], v[9:10]
	v_fma_f64 v[19:20], v[19:20], v[23:24], -v[35:36]
	v_add_f64 v[43:44], v[31:32], v[27:28]
	v_add_f64 v[33:34], v[33:34], v[29:30]
	ds_load_b128 v[7:10], v11 offset:1536
	ds_load_b128 v[15:18], v12 offset:96
	;; [unrolled: 1-line block ×4, first 2 shown]
	v_fma_f64 v[21:22], v[21:22], v[23:24], v[37:38]
	s_waitcnt lgkmcnt(2)
	v_mul_f64 v[45:46], v[17:18], v[9:10]
	v_mul_f64 v[9:10], v[15:16], v[9:10]
	s_waitcnt lgkmcnt(0)
	v_mul_f64 v[35:36], v[27:28], v[31:32]
	v_mul_f64 v[37:38], v[25:26], v[31:32]
	v_add_f64 v[23:24], v[43:44], v[39:40]
	v_add_f64 v[33:34], v[33:34], v[41:42]
	v_fma_f64 v[39:40], v[15:16], v[7:8], -v[45:46]
	v_fma_f64 v[41:42], v[17:18], v[7:8], v[9:10]
	v_fma_f64 v[25:26], v[25:26], v[29:30], -v[35:36]
	v_fma_f64 v[27:28], v[27:28], v[29:30], v[37:38]
	v_add_f64 v[23:24], v[23:24], v[19:20]
	v_add_f64 v[43:44], v[33:34], v[21:22]
	ds_load_b128 v[7:10], v11 offset:2048
	ds_load_b128 v[15:18], v12 offset:128
	;; [unrolled: 1-line block ×4, first 2 shown]
	s_waitcnt lgkmcnt(2)
	v_mul_f64 v[45:46], v[17:18], v[9:10]
	v_mul_f64 v[9:10], v[15:16], v[9:10]
	s_waitcnt lgkmcnt(0)
	v_mul_f64 v[35:36], v[21:22], v[33:34]
	v_mul_f64 v[33:34], v[19:20], v[33:34]
	v_add_f64 v[23:24], v[23:24], v[39:40]
	v_add_f64 v[29:30], v[43:44], v[41:42]
	v_fma_f64 v[37:38], v[15:16], v[7:8], -v[45:46]
	v_fma_f64 v[39:40], v[17:18], v[7:8], v[9:10]
	v_fma_f64 v[19:20], v[19:20], v[31:32], -v[35:36]
	v_fma_f64 v[21:22], v[21:22], v[31:32], v[33:34]
	v_add_f64 v[41:42], v[23:24], v[25:26]
	v_add_f64 v[43:44], v[29:30], v[27:28]
	ds_load_b128 v[7:10], v11 offset:2560
	ds_load_b128 v[15:18], v12 offset:160
	;; [unrolled: 1-line block ×4, first 2 shown]
	s_waitcnt lgkmcnt(2)
	v_mul_f64 v[45:46], v[17:18], v[9:10]
	v_mul_f64 v[9:10], v[15:16], v[9:10]
	s_waitcnt lgkmcnt(0)
	v_mul_f64 v[35:36], v[25:26], v[29:30]
	v_add_f64 v[31:32], v[41:42], v[37:38]
	v_add_f64 v[33:34], v[43:44], v[39:40]
	v_mul_f64 v[37:38], v[23:24], v[29:30]
	v_fma_f64 v[39:40], v[15:16], v[7:8], -v[45:46]
	v_fma_f64 v[41:42], v[17:18], v[7:8], v[9:10]
	v_fma_f64 v[23:24], v[23:24], v[27:28], -v[35:36]
	v_add_f64 v[43:44], v[31:32], v[19:20]
	v_add_f64 v[33:34], v[33:34], v[21:22]
	ds_load_b128 v[7:10], v11 offset:3072
	ds_load_b128 v[15:18], v12 offset:192
	;; [unrolled: 1-line block ×4, first 2 shown]
	v_fma_f64 v[25:26], v[25:26], v[27:28], v[37:38]
	s_waitcnt lgkmcnt(2)
	v_mul_f64 v[45:46], v[17:18], v[9:10]
	v_mul_f64 v[9:10], v[15:16], v[9:10]
	s_waitcnt lgkmcnt(0)
	v_mul_f64 v[35:36], v[21:22], v[31:32]
	v_mul_f64 v[37:38], v[19:20], v[31:32]
	v_add_f64 v[27:28], v[43:44], v[39:40]
	v_add_f64 v[33:34], v[33:34], v[41:42]
	v_fma_f64 v[39:40], v[15:16], v[7:8], -v[45:46]
	v_fma_f64 v[41:42], v[17:18], v[7:8], v[9:10]
	v_fma_f64 v[19:20], v[19:20], v[29:30], -v[35:36]
	v_fma_f64 v[21:22], v[21:22], v[29:30], v[37:38]
	v_add_f64 v[27:28], v[27:28], v[23:24]
	v_add_f64 v[43:44], v[33:34], v[25:26]
	ds_load_b128 v[7:10], v11 offset:3584
	ds_load_b128 v[15:18], v12 offset:224
	;; [unrolled: 1-line block ×4, first 2 shown]
	s_waitcnt lgkmcnt(0)
	s_barrier
	buffer_gl0_inv
	v_mul_f64 v[45:46], v[17:18], v[9:10]
	v_mul_f64 v[9:10], v[15:16], v[9:10]
	;; [unrolled: 1-line block ×4, first 2 shown]
	v_add_f64 v[27:28], v[27:28], v[39:40]
	v_add_f64 v[29:30], v[43:44], v[41:42]
	v_fma_f64 v[15:16], v[15:16], v[7:8], -v[45:46]
	v_fma_f64 v[7:8], v[17:18], v[7:8], v[9:10]
	s_delay_alu instid0(VALU_DEP_4) | instskip(NEXT) | instid1(VALU_DEP_4)
	v_add_f64 v[9:10], v[27:28], v[19:20]
	v_add_f64 v[17:18], v[29:30], v[21:22]
	v_fma_f64 v[19:20], v[23:24], v[31:32], -v[35:36]
	v_fma_f64 v[21:22], v[25:26], v[31:32], v[33:34]
	s_delay_alu instid0(VALU_DEP_4) | instskip(NEXT) | instid1(VALU_DEP_4)
	v_add_f64 v[9:10], v[9:10], v[15:16]
	v_add_f64 v[7:8], v[17:18], v[7:8]
	s_delay_alu instid0(VALU_DEP_2) | instskip(NEXT) | instid1(VALU_DEP_2)
	v_add_f64 v[9:10], v[9:10], v[19:20]
	v_add_f64 v[7:8], v[7:8], v[21:22]
	s_cbranch_scc1 .LBB893_2
.LBB893_3:
	s_mov_b32 s12, exec_lo
	v_cmpx_le_i32_e64 v2, v0
	s_cbranch_execz .LBB893_5
; %bb.4:
	s_load_b32 s0, s[0:1], 0x60
	v_lshlrev_b64 v[5:6], 4, v[0:1]
	s_delay_alu instid0(VALU_DEP_3) | instskip(SKIP_3) | instid1(VALU_DEP_1)
	v_mul_f64 v[13:14], s[4:5], v[7:8]
	v_mul_f64 v[7:8], s[6:7], v[7:8]
	s_waitcnt lgkmcnt(0)
	v_mad_i64_i32 v[3:4], null, s0, v2, 0
	v_lshlrev_b64 v[3:4], 4, v[3:4]
	s_delay_alu instid0(VALU_DEP_1) | instskip(NEXT) | instid1(VALU_DEP_2)
	v_add_co_u32 v1, vcc_lo, s2, v3
	v_add_co_ci_u32_e32 v3, vcc_lo, s3, v4, vcc_lo
	s_delay_alu instid0(VALU_DEP_2) | instskip(NEXT) | instid1(VALU_DEP_2)
	v_add_co_u32 v11, vcc_lo, v1, v5
	v_add_co_ci_u32_e32 v12, vcc_lo, v3, v6, vcc_lo
	v_fma_f64 v[13:14], s[6:7], v[9:10], v[13:14]
	v_fma_f64 v[7:8], s[4:5], v[9:10], -v[7:8]
	v_cmp_ne_u32_e32 vcc_lo, v0, v2
	global_load_b128 v[3:6], v[11:12], off
	s_waitcnt vmcnt(0)
	v_mul_f64 v[15:16], s[8:9], v[5:6]
	v_mul_f64 v[5:6], s[10:11], v[5:6]
	s_delay_alu instid0(VALU_DEP_2) | instskip(NEXT) | instid1(VALU_DEP_2)
	v_fma_f64 v[15:16], s[10:11], v[3:4], v[15:16]
	v_fma_f64 v[3:4], s[8:9], v[3:4], -v[5:6]
	s_delay_alu instid0(VALU_DEP_2) | instskip(NEXT) | instid1(VALU_DEP_2)
	v_add_f64 v[5:6], v[13:14], v[15:16]
	v_add_f64 v[3:4], v[7:8], v[3:4]
	s_delay_alu instid0(VALU_DEP_2)
	v_dual_cndmask_b32 v6, 0, v6 :: v_dual_cndmask_b32 v5, 0, v5
	global_store_b128 v[11:12], v[3:6], off
.LBB893_5:
	s_nop 0
	s_sendmsg sendmsg(MSG_DEALLOC_VGPRS)
	s_endpgm
	.section	.rodata,"a",@progbits
	.p2align	6, 0x0
	.amdhsa_kernel _ZL41rocblas_syrkx_herkx_small_restrict_kernelIi19rocblas_complex_numIdELi16ELb0ELb1ELc78ELc76EKPKS1_KPS1_EviT_T0_PT6_S7_lSA_S7_lS8_PT7_S7_li
		.amdhsa_group_segment_fixed_size 8192
		.amdhsa_private_segment_fixed_size 0
		.amdhsa_kernarg_size 116
		.amdhsa_user_sgpr_count 13
		.amdhsa_user_sgpr_dispatch_ptr 0
		.amdhsa_user_sgpr_queue_ptr 0
		.amdhsa_user_sgpr_kernarg_segment_ptr 1
		.amdhsa_user_sgpr_dispatch_id 0
		.amdhsa_user_sgpr_private_segment_size 0
		.amdhsa_wavefront_size32 1
		.amdhsa_uses_dynamic_stack 0
		.amdhsa_enable_private_segment 0
		.amdhsa_system_sgpr_workgroup_id_x 1
		.amdhsa_system_sgpr_workgroup_id_y 1
		.amdhsa_system_sgpr_workgroup_id_z 1
		.amdhsa_system_sgpr_workgroup_info 0
		.amdhsa_system_vgpr_workitem_id 1
		.amdhsa_next_free_vgpr 47
		.amdhsa_next_free_sgpr 24
		.amdhsa_reserve_vcc 1
		.amdhsa_float_round_mode_32 0
		.amdhsa_float_round_mode_16_64 0
		.amdhsa_float_denorm_mode_32 3
		.amdhsa_float_denorm_mode_16_64 3
		.amdhsa_dx10_clamp 1
		.amdhsa_ieee_mode 1
		.amdhsa_fp16_overflow 0
		.amdhsa_workgroup_processor_mode 1
		.amdhsa_memory_ordered 1
		.amdhsa_forward_progress 0
		.amdhsa_shared_vgpr_count 0
		.amdhsa_exception_fp_ieee_invalid_op 0
		.amdhsa_exception_fp_denorm_src 0
		.amdhsa_exception_fp_ieee_div_zero 0
		.amdhsa_exception_fp_ieee_overflow 0
		.amdhsa_exception_fp_ieee_underflow 0
		.amdhsa_exception_fp_ieee_inexact 0
		.amdhsa_exception_int_div_zero 0
	.end_amdhsa_kernel
	.section	.text._ZL41rocblas_syrkx_herkx_small_restrict_kernelIi19rocblas_complex_numIdELi16ELb0ELb1ELc78ELc76EKPKS1_KPS1_EviT_T0_PT6_S7_lSA_S7_lS8_PT7_S7_li,"axG",@progbits,_ZL41rocblas_syrkx_herkx_small_restrict_kernelIi19rocblas_complex_numIdELi16ELb0ELb1ELc78ELc76EKPKS1_KPS1_EviT_T0_PT6_S7_lSA_S7_lS8_PT7_S7_li,comdat
.Lfunc_end893:
	.size	_ZL41rocblas_syrkx_herkx_small_restrict_kernelIi19rocblas_complex_numIdELi16ELb0ELb1ELc78ELc76EKPKS1_KPS1_EviT_T0_PT6_S7_lSA_S7_lS8_PT7_S7_li, .Lfunc_end893-_ZL41rocblas_syrkx_herkx_small_restrict_kernelIi19rocblas_complex_numIdELi16ELb0ELb1ELc78ELc76EKPKS1_KPS1_EviT_T0_PT6_S7_lSA_S7_lS8_PT7_S7_li
                                        ; -- End function
	.section	.AMDGPU.csdata,"",@progbits
; Kernel info:
; codeLenInByte = 1836
; NumSgprs: 26
; NumVgprs: 47
; ScratchSize: 0
; MemoryBound: 0
; FloatMode: 240
; IeeeMode: 1
; LDSByteSize: 8192 bytes/workgroup (compile time only)
; SGPRBlocks: 3
; VGPRBlocks: 5
; NumSGPRsForWavesPerEU: 26
; NumVGPRsForWavesPerEU: 47
; Occupancy: 16
; WaveLimiterHint : 1
; COMPUTE_PGM_RSRC2:SCRATCH_EN: 0
; COMPUTE_PGM_RSRC2:USER_SGPR: 13
; COMPUTE_PGM_RSRC2:TRAP_HANDLER: 0
; COMPUTE_PGM_RSRC2:TGID_X_EN: 1
; COMPUTE_PGM_RSRC2:TGID_Y_EN: 1
; COMPUTE_PGM_RSRC2:TGID_Z_EN: 1
; COMPUTE_PGM_RSRC2:TIDIG_COMP_CNT: 1
	.section	.text._ZL41rocblas_syrkx_herkx_small_restrict_kernelIi19rocblas_complex_numIdELi16ELb0ELb1ELc84ELc85EKPKS1_KPS1_EviT_T0_PT6_S7_lSA_S7_lS8_PT7_S7_li,"axG",@progbits,_ZL41rocblas_syrkx_herkx_small_restrict_kernelIi19rocblas_complex_numIdELi16ELb0ELb1ELc84ELc85EKPKS1_KPS1_EviT_T0_PT6_S7_lSA_S7_lS8_PT7_S7_li,comdat
	.globl	_ZL41rocblas_syrkx_herkx_small_restrict_kernelIi19rocblas_complex_numIdELi16ELb0ELb1ELc84ELc85EKPKS1_KPS1_EviT_T0_PT6_S7_lSA_S7_lS8_PT7_S7_li ; -- Begin function _ZL41rocblas_syrkx_herkx_small_restrict_kernelIi19rocblas_complex_numIdELi16ELb0ELb1ELc84ELc85EKPKS1_KPS1_EviT_T0_PT6_S7_lSA_S7_lS8_PT7_S7_li
	.p2align	8
	.type	_ZL41rocblas_syrkx_herkx_small_restrict_kernelIi19rocblas_complex_numIdELi16ELb0ELb1ELc84ELc85EKPKS1_KPS1_EviT_T0_PT6_S7_lSA_S7_lS8_PT7_S7_li,@function
_ZL41rocblas_syrkx_herkx_small_restrict_kernelIi19rocblas_complex_numIdELi16ELb0ELb1ELc84ELc85EKPKS1_KPS1_EviT_T0_PT6_S7_lSA_S7_lS8_PT7_S7_li: ; @_ZL41rocblas_syrkx_herkx_small_restrict_kernelIi19rocblas_complex_numIdELi16ELb0ELb1ELc84ELc85EKPKS1_KPS1_EviT_T0_PT6_S7_lSA_S7_lS8_PT7_S7_li
; %bb.0:
	s_load_b64 s[2:3], s[0:1], 0x58
	s_mov_b32 s16, s15
	s_mov_b32 s17, 0
	s_clause 0x1
	s_load_b32 s12, s[0:1], 0x4
	s_load_b128 s[4:7], s[0:1], 0x8
	s_lshl_b64 s[18:19], s[16:17], 3
	v_dual_mov_b32 v5, 0 :: v_dual_and_b32 v2, 0x3ff, v0
	v_bfe_u32 v1, v0, 10, 10
	v_mov_b32_e32 v6, 0
	s_delay_alu instid0(VALU_DEP_3) | instskip(NEXT) | instid1(VALU_DEP_3)
	v_lshl_add_u32 v0, s13, 4, v2
	v_lshl_add_u32 v9, s14, 4, v1
	s_delay_alu instid0(VALU_DEP_3)
	v_dual_mov_b32 v8, v6 :: v_dual_mov_b32 v7, v5
	s_waitcnt lgkmcnt(0)
	s_add_u32 s2, s2, s18
	s_addc_u32 s3, s3, s19
	s_clause 0x1
	s_load_b64 s[20:21], s[0:1], 0x18
	s_load_b128 s[8:11], s[0:1], 0x48
	s_load_b64 s[2:3], s[2:3], 0x0
	s_cmp_lt_i32 s12, 1
	s_cbranch_scc1 .LBB894_3
; %bb.1:
	s_clause 0x2
	s_load_b64 s[14:15], s[0:1], 0x30
	s_load_b32 s13, s[0:1], 0x38
	s_load_b32 s16, s[0:1], 0x20
	v_dual_mov_b32 v5, 0 :: v_dual_lshlrev_b32 v4, 8, v1
	v_lshlrev_b32_e32 v14, 4, v1
	v_mov_b32_e32 v6, 0
	v_lshlrev_b32_e32 v10, 4, v2
	s_delay_alu instid0(VALU_DEP_4) | instskip(NEXT) | instid1(VALU_DEP_2)
	v_add_nc_u32_e32 v11, 0x1000, v4
	v_add_nc_u32_e32 v12, v10, v4
	s_waitcnt lgkmcnt(0)
	s_add_u32 s14, s14, s18
	s_addc_u32 s15, s15, s19
	v_mad_i64_i32 v[2:3], null, s13, v9, 0
	s_load_b64 s[14:15], s[14:15], 0x0
	s_add_u32 s18, s20, s18
	s_addc_u32 s19, s21, s19
	v_mad_i64_i32 v[7:8], null, s16, v0, 0
	s_load_b64 s[18:19], s[18:19], 0x0
	s_delay_alu instid0(VALU_DEP_2) | instskip(NEXT) | instid1(VALU_DEP_2)
	v_lshlrev_b64 v[1:2], 4, v[2:3]
	v_lshlrev_b64 v[3:4], 4, v[7:8]
	v_dual_mov_b32 v8, v6 :: v_dual_mov_b32 v7, v5
	s_delay_alu instid0(VALU_DEP_3) | instskip(NEXT) | instid1(VALU_DEP_4)
	v_add_co_u32 v1, vcc_lo, v1, v10
	v_add_co_ci_u32_e32 v2, vcc_lo, 0, v2, vcc_lo
	s_delay_alu instid0(VALU_DEP_4)
	v_add_co_u32 v3, vcc_lo, v3, v14
	v_add_co_ci_u32_e32 v4, vcc_lo, 0, v4, vcc_lo
	s_waitcnt lgkmcnt(0)
	v_add_co_u32 v1, vcc_lo, s14, v1
	v_add_co_ci_u32_e32 v2, vcc_lo, s15, v2, vcc_lo
	v_add_co_u32 v3, vcc_lo, s18, v3
	v_add_nc_u32_e32 v13, v11, v10
	v_add_co_ci_u32_e32 v4, vcc_lo, s19, v4, vcc_lo
.LBB894_2:                              ; =>This Inner Loop Header: Depth=1
	global_load_b128 v[14:17], v[3:4], off
	global_load_b128 v[18:21], v[1:2], off
	v_add_co_u32 v1, vcc_lo, 0x100, v1
	v_add_co_ci_u32_e32 v2, vcc_lo, 0, v2, vcc_lo
	v_add_co_u32 v3, vcc_lo, 0x100, v3
	v_add_co_ci_u32_e32 v4, vcc_lo, 0, v4, vcc_lo
	s_add_i32 s17, s17, 16
	s_waitcnt vmcnt(1)
	ds_store_2addr_b64 v12, v[14:15], v[16:17] offset1:1
	s_waitcnt vmcnt(0)
	ds_store_2addr_b64 v13, v[18:19], v[20:21] offset1:1
	s_waitcnt lgkmcnt(0)
	s_barrier
	buffer_gl0_inv
	ds_load_b128 v[14:17], v10
	ds_load_b128 v[18:21], v11
	ds_load_b128 v[22:25], v11 offset:16
	ds_load_b128 v[26:29], v10 offset:256
	s_cmp_lt_i32 s17, s12
	s_waitcnt lgkmcnt(2)
	v_mul_f64 v[30:31], v[20:21], v[16:17]
	v_mul_f64 v[16:17], v[18:19], v[16:17]
	s_waitcnt lgkmcnt(0)
	v_mul_f64 v[36:37], v[24:25], v[28:29]
	v_mul_f64 v[38:39], v[22:23], v[28:29]
	s_delay_alu instid0(VALU_DEP_4) | instskip(NEXT) | instid1(VALU_DEP_4)
	v_fma_f64 v[40:41], v[18:19], v[14:15], -v[30:31]
	v_fma_f64 v[42:43], v[20:21], v[14:15], v[16:17]
	ds_load_b128 v[14:17], v10 offset:512
	ds_load_b128 v[18:21], v11 offset:32
	ds_load_b128 v[28:31], v11 offset:48
	ds_load_b128 v[32:35], v10 offset:768
	v_fma_f64 v[22:23], v[22:23], v[26:27], -v[36:37]
	v_fma_f64 v[24:25], v[24:25], v[26:27], v[38:39]
	s_waitcnt lgkmcnt(2)
	v_mul_f64 v[44:45], v[20:21], v[16:17]
	v_mul_f64 v[16:17], v[18:19], v[16:17]
	s_waitcnt lgkmcnt(0)
	v_mul_f64 v[26:27], v[30:31], v[34:35]
	v_mul_f64 v[34:35], v[28:29], v[34:35]
	v_add_f64 v[7:8], v[7:8], v[40:41]
	v_add_f64 v[5:6], v[5:6], v[42:43]
	v_fma_f64 v[36:37], v[18:19], v[14:15], -v[44:45]
	v_fma_f64 v[38:39], v[20:21], v[14:15], v[16:17]
	v_fma_f64 v[26:27], v[28:29], v[32:33], -v[26:27]
	v_fma_f64 v[28:29], v[30:31], v[32:33], v[34:35]
	v_add_f64 v[40:41], v[7:8], v[22:23]
	v_add_f64 v[42:43], v[5:6], v[24:25]
	ds_load_b128 v[5:8], v10 offset:1024
	ds_load_b128 v[14:17], v11 offset:64
	;; [unrolled: 1-line block ×4, first 2 shown]
	s_waitcnt lgkmcnt(2)
	v_mul_f64 v[44:45], v[16:17], v[7:8]
	v_mul_f64 v[7:8], v[14:15], v[7:8]
	s_waitcnt lgkmcnt(0)
	v_mul_f64 v[34:35], v[20:21], v[24:25]
	v_add_f64 v[30:31], v[40:41], v[36:37]
	v_add_f64 v[32:33], v[42:43], v[38:39]
	v_mul_f64 v[36:37], v[18:19], v[24:25]
	v_fma_f64 v[38:39], v[14:15], v[5:6], -v[44:45]
	v_fma_f64 v[40:41], v[16:17], v[5:6], v[7:8]
	v_fma_f64 v[18:19], v[18:19], v[22:23], -v[34:35]
	v_add_f64 v[42:43], v[30:31], v[26:27]
	v_add_f64 v[32:33], v[32:33], v[28:29]
	ds_load_b128 v[5:8], v10 offset:1536
	ds_load_b128 v[14:17], v11 offset:96
	;; [unrolled: 1-line block ×4, first 2 shown]
	v_fma_f64 v[20:21], v[20:21], v[22:23], v[36:37]
	s_waitcnt lgkmcnt(2)
	v_mul_f64 v[44:45], v[16:17], v[7:8]
	v_mul_f64 v[7:8], v[14:15], v[7:8]
	s_waitcnt lgkmcnt(0)
	v_mul_f64 v[34:35], v[26:27], v[30:31]
	v_mul_f64 v[36:37], v[24:25], v[30:31]
	v_add_f64 v[22:23], v[42:43], v[38:39]
	v_add_f64 v[32:33], v[32:33], v[40:41]
	v_fma_f64 v[38:39], v[14:15], v[5:6], -v[44:45]
	v_fma_f64 v[40:41], v[16:17], v[5:6], v[7:8]
	v_fma_f64 v[24:25], v[24:25], v[28:29], -v[34:35]
	v_fma_f64 v[26:27], v[26:27], v[28:29], v[36:37]
	v_add_f64 v[22:23], v[22:23], v[18:19]
	v_add_f64 v[42:43], v[32:33], v[20:21]
	ds_load_b128 v[5:8], v10 offset:2048
	ds_load_b128 v[14:17], v11 offset:128
	;; [unrolled: 1-line block ×4, first 2 shown]
	s_waitcnt lgkmcnt(2)
	v_mul_f64 v[44:45], v[16:17], v[7:8]
	v_mul_f64 v[7:8], v[14:15], v[7:8]
	s_waitcnt lgkmcnt(0)
	v_mul_f64 v[34:35], v[20:21], v[32:33]
	v_mul_f64 v[32:33], v[18:19], v[32:33]
	v_add_f64 v[22:23], v[22:23], v[38:39]
	v_add_f64 v[28:29], v[42:43], v[40:41]
	v_fma_f64 v[36:37], v[14:15], v[5:6], -v[44:45]
	v_fma_f64 v[38:39], v[16:17], v[5:6], v[7:8]
	v_fma_f64 v[18:19], v[18:19], v[30:31], -v[34:35]
	v_fma_f64 v[20:21], v[20:21], v[30:31], v[32:33]
	v_add_f64 v[40:41], v[22:23], v[24:25]
	v_add_f64 v[42:43], v[28:29], v[26:27]
	ds_load_b128 v[5:8], v10 offset:2560
	ds_load_b128 v[14:17], v11 offset:160
	;; [unrolled: 1-line block ×4, first 2 shown]
	s_waitcnt lgkmcnt(2)
	v_mul_f64 v[44:45], v[16:17], v[7:8]
	v_mul_f64 v[7:8], v[14:15], v[7:8]
	s_waitcnt lgkmcnt(0)
	v_mul_f64 v[34:35], v[24:25], v[28:29]
	v_add_f64 v[30:31], v[40:41], v[36:37]
	v_add_f64 v[32:33], v[42:43], v[38:39]
	v_mul_f64 v[36:37], v[22:23], v[28:29]
	v_fma_f64 v[38:39], v[14:15], v[5:6], -v[44:45]
	v_fma_f64 v[40:41], v[16:17], v[5:6], v[7:8]
	v_fma_f64 v[22:23], v[22:23], v[26:27], -v[34:35]
	v_add_f64 v[42:43], v[30:31], v[18:19]
	v_add_f64 v[32:33], v[32:33], v[20:21]
	ds_load_b128 v[5:8], v10 offset:3072
	ds_load_b128 v[14:17], v11 offset:192
	;; [unrolled: 1-line block ×4, first 2 shown]
	v_fma_f64 v[24:25], v[24:25], v[26:27], v[36:37]
	s_waitcnt lgkmcnt(2)
	v_mul_f64 v[44:45], v[16:17], v[7:8]
	v_mul_f64 v[7:8], v[14:15], v[7:8]
	s_waitcnt lgkmcnt(0)
	v_mul_f64 v[34:35], v[20:21], v[30:31]
	v_mul_f64 v[36:37], v[18:19], v[30:31]
	v_add_f64 v[26:27], v[42:43], v[38:39]
	v_add_f64 v[32:33], v[32:33], v[40:41]
	v_fma_f64 v[38:39], v[14:15], v[5:6], -v[44:45]
	v_fma_f64 v[40:41], v[16:17], v[5:6], v[7:8]
	v_fma_f64 v[18:19], v[18:19], v[28:29], -v[34:35]
	v_fma_f64 v[20:21], v[20:21], v[28:29], v[36:37]
	v_add_f64 v[26:27], v[26:27], v[22:23]
	v_add_f64 v[42:43], v[32:33], v[24:25]
	ds_load_b128 v[5:8], v10 offset:3584
	ds_load_b128 v[14:17], v11 offset:224
	;; [unrolled: 1-line block ×4, first 2 shown]
	s_waitcnt lgkmcnt(0)
	s_barrier
	buffer_gl0_inv
	v_mul_f64 v[44:45], v[16:17], v[7:8]
	v_mul_f64 v[7:8], v[14:15], v[7:8]
	;; [unrolled: 1-line block ×4, first 2 shown]
	v_add_f64 v[26:27], v[26:27], v[38:39]
	v_add_f64 v[28:29], v[42:43], v[40:41]
	v_fma_f64 v[14:15], v[14:15], v[5:6], -v[44:45]
	v_fma_f64 v[5:6], v[16:17], v[5:6], v[7:8]
	s_delay_alu instid0(VALU_DEP_4) | instskip(NEXT) | instid1(VALU_DEP_4)
	v_add_f64 v[7:8], v[26:27], v[18:19]
	v_add_f64 v[16:17], v[28:29], v[20:21]
	v_fma_f64 v[18:19], v[22:23], v[30:31], -v[34:35]
	v_fma_f64 v[20:21], v[24:25], v[30:31], v[32:33]
	s_delay_alu instid0(VALU_DEP_4) | instskip(NEXT) | instid1(VALU_DEP_4)
	v_add_f64 v[7:8], v[7:8], v[14:15]
	v_add_f64 v[5:6], v[16:17], v[5:6]
	s_delay_alu instid0(VALU_DEP_2) | instskip(NEXT) | instid1(VALU_DEP_2)
	v_add_f64 v[7:8], v[7:8], v[18:19]
	v_add_f64 v[5:6], v[5:6], v[20:21]
	s_cbranch_scc1 .LBB894_2
.LBB894_3:
	s_mov_b32 s12, exec_lo
	v_cmpx_le_i32_e64 v0, v9
	s_cbranch_execz .LBB894_5
; %bb.4:
	s_load_b32 s0, s[0:1], 0x60
	v_ashrrev_i32_e32 v1, 31, v0
	s_delay_alu instid0(VALU_DEP_3) | instskip(SKIP_1) | instid1(VALU_DEP_3)
	v_mul_f64 v[12:13], s[4:5], v[5:6]
	v_mul_f64 v[5:6], s[6:7], v[5:6]
	v_lshlrev_b64 v[10:11], 4, v[0:1]
	s_waitcnt lgkmcnt(0)
	v_mad_i64_i32 v[2:3], null, s0, v9, 0
	s_delay_alu instid0(VALU_DEP_1) | instskip(NEXT) | instid1(VALU_DEP_1)
	v_lshlrev_b64 v[2:3], 4, v[2:3]
	v_add_co_u32 v1, vcc_lo, s2, v2
	s_delay_alu instid0(VALU_DEP_2) | instskip(NEXT) | instid1(VALU_DEP_2)
	v_add_co_ci_u32_e32 v2, vcc_lo, s3, v3, vcc_lo
	v_add_co_u32 v10, vcc_lo, v1, v10
	s_delay_alu instid0(VALU_DEP_2)
	v_add_co_ci_u32_e32 v11, vcc_lo, v2, v11, vcc_lo
	v_fma_f64 v[12:13], s[6:7], v[7:8], v[12:13]
	v_fma_f64 v[5:6], s[4:5], v[7:8], -v[5:6]
	v_cmp_ne_u32_e32 vcc_lo, v0, v9
	global_load_b128 v[1:4], v[10:11], off
	s_waitcnt vmcnt(0)
	v_mul_f64 v[14:15], s[8:9], v[3:4]
	v_mul_f64 v[3:4], s[10:11], v[3:4]
	s_delay_alu instid0(VALU_DEP_2) | instskip(NEXT) | instid1(VALU_DEP_2)
	v_fma_f64 v[14:15], s[10:11], v[1:2], v[14:15]
	v_fma_f64 v[1:2], s[8:9], v[1:2], -v[3:4]
	s_delay_alu instid0(VALU_DEP_2) | instskip(NEXT) | instid1(VALU_DEP_2)
	v_add_f64 v[3:4], v[12:13], v[14:15]
	v_add_f64 v[1:2], v[5:6], v[1:2]
	s_delay_alu instid0(VALU_DEP_2)
	v_dual_cndmask_b32 v4, 0, v4 :: v_dual_cndmask_b32 v3, 0, v3
	global_store_b128 v[10:11], v[1:4], off
.LBB894_5:
	s_nop 0
	s_sendmsg sendmsg(MSG_DEALLOC_VGPRS)
	s_endpgm
	.section	.rodata,"a",@progbits
	.p2align	6, 0x0
	.amdhsa_kernel _ZL41rocblas_syrkx_herkx_small_restrict_kernelIi19rocblas_complex_numIdELi16ELb0ELb1ELc84ELc85EKPKS1_KPS1_EviT_T0_PT6_S7_lSA_S7_lS8_PT7_S7_li
		.amdhsa_group_segment_fixed_size 8192
		.amdhsa_private_segment_fixed_size 0
		.amdhsa_kernarg_size 116
		.amdhsa_user_sgpr_count 13
		.amdhsa_user_sgpr_dispatch_ptr 0
		.amdhsa_user_sgpr_queue_ptr 0
		.amdhsa_user_sgpr_kernarg_segment_ptr 1
		.amdhsa_user_sgpr_dispatch_id 0
		.amdhsa_user_sgpr_private_segment_size 0
		.amdhsa_wavefront_size32 1
		.amdhsa_uses_dynamic_stack 0
		.amdhsa_enable_private_segment 0
		.amdhsa_system_sgpr_workgroup_id_x 1
		.amdhsa_system_sgpr_workgroup_id_y 1
		.amdhsa_system_sgpr_workgroup_id_z 1
		.amdhsa_system_sgpr_workgroup_info 0
		.amdhsa_system_vgpr_workitem_id 1
		.amdhsa_next_free_vgpr 46
		.amdhsa_next_free_sgpr 22
		.amdhsa_reserve_vcc 1
		.amdhsa_float_round_mode_32 0
		.amdhsa_float_round_mode_16_64 0
		.amdhsa_float_denorm_mode_32 3
		.amdhsa_float_denorm_mode_16_64 3
		.amdhsa_dx10_clamp 1
		.amdhsa_ieee_mode 1
		.amdhsa_fp16_overflow 0
		.amdhsa_workgroup_processor_mode 1
		.amdhsa_memory_ordered 1
		.amdhsa_forward_progress 0
		.amdhsa_shared_vgpr_count 0
		.amdhsa_exception_fp_ieee_invalid_op 0
		.amdhsa_exception_fp_denorm_src 0
		.amdhsa_exception_fp_ieee_div_zero 0
		.amdhsa_exception_fp_ieee_overflow 0
		.amdhsa_exception_fp_ieee_underflow 0
		.amdhsa_exception_fp_ieee_inexact 0
		.amdhsa_exception_int_div_zero 0
	.end_amdhsa_kernel
	.section	.text._ZL41rocblas_syrkx_herkx_small_restrict_kernelIi19rocblas_complex_numIdELi16ELb0ELb1ELc84ELc85EKPKS1_KPS1_EviT_T0_PT6_S7_lSA_S7_lS8_PT7_S7_li,"axG",@progbits,_ZL41rocblas_syrkx_herkx_small_restrict_kernelIi19rocblas_complex_numIdELi16ELb0ELb1ELc84ELc85EKPKS1_KPS1_EviT_T0_PT6_S7_lSA_S7_lS8_PT7_S7_li,comdat
.Lfunc_end894:
	.size	_ZL41rocblas_syrkx_herkx_small_restrict_kernelIi19rocblas_complex_numIdELi16ELb0ELb1ELc84ELc85EKPKS1_KPS1_EviT_T0_PT6_S7_lSA_S7_lS8_PT7_S7_li, .Lfunc_end894-_ZL41rocblas_syrkx_herkx_small_restrict_kernelIi19rocblas_complex_numIdELi16ELb0ELb1ELc84ELc85EKPKS1_KPS1_EviT_T0_PT6_S7_lSA_S7_lS8_PT7_S7_li
                                        ; -- End function
	.section	.AMDGPU.csdata,"",@progbits
; Kernel info:
; codeLenInByte = 1796
; NumSgprs: 24
; NumVgprs: 46
; ScratchSize: 0
; MemoryBound: 0
; FloatMode: 240
; IeeeMode: 1
; LDSByteSize: 8192 bytes/workgroup (compile time only)
; SGPRBlocks: 2
; VGPRBlocks: 5
; NumSGPRsForWavesPerEU: 24
; NumVGPRsForWavesPerEU: 46
; Occupancy: 16
; WaveLimiterHint : 1
; COMPUTE_PGM_RSRC2:SCRATCH_EN: 0
; COMPUTE_PGM_RSRC2:USER_SGPR: 13
; COMPUTE_PGM_RSRC2:TRAP_HANDLER: 0
; COMPUTE_PGM_RSRC2:TGID_X_EN: 1
; COMPUTE_PGM_RSRC2:TGID_Y_EN: 1
; COMPUTE_PGM_RSRC2:TGID_Z_EN: 1
; COMPUTE_PGM_RSRC2:TIDIG_COMP_CNT: 1
	.section	.text._ZL41rocblas_syrkx_herkx_small_restrict_kernelIi19rocblas_complex_numIdELi16ELb0ELb1ELc67ELc85EKPKS1_KPS1_EviT_T0_PT6_S7_lSA_S7_lS8_PT7_S7_li,"axG",@progbits,_ZL41rocblas_syrkx_herkx_small_restrict_kernelIi19rocblas_complex_numIdELi16ELb0ELb1ELc67ELc85EKPKS1_KPS1_EviT_T0_PT6_S7_lSA_S7_lS8_PT7_S7_li,comdat
	.globl	_ZL41rocblas_syrkx_herkx_small_restrict_kernelIi19rocblas_complex_numIdELi16ELb0ELb1ELc67ELc85EKPKS1_KPS1_EviT_T0_PT6_S7_lSA_S7_lS8_PT7_S7_li ; -- Begin function _ZL41rocblas_syrkx_herkx_small_restrict_kernelIi19rocblas_complex_numIdELi16ELb0ELb1ELc67ELc85EKPKS1_KPS1_EviT_T0_PT6_S7_lSA_S7_lS8_PT7_S7_li
	.p2align	8
	.type	_ZL41rocblas_syrkx_herkx_small_restrict_kernelIi19rocblas_complex_numIdELi16ELb0ELb1ELc67ELc85EKPKS1_KPS1_EviT_T0_PT6_S7_lSA_S7_lS8_PT7_S7_li,@function
_ZL41rocblas_syrkx_herkx_small_restrict_kernelIi19rocblas_complex_numIdELi16ELb0ELb1ELc67ELc85EKPKS1_KPS1_EviT_T0_PT6_S7_lSA_S7_lS8_PT7_S7_li: ; @_ZL41rocblas_syrkx_herkx_small_restrict_kernelIi19rocblas_complex_numIdELi16ELb0ELb1ELc67ELc85EKPKS1_KPS1_EviT_T0_PT6_S7_lSA_S7_lS8_PT7_S7_li
; %bb.0:
	s_load_b64 s[2:3], s[0:1], 0x58
	s_mov_b32 s16, s15
	s_mov_b32 s17, 0
	s_clause 0x1
	s_load_b32 s12, s[0:1], 0x4
	s_load_b128 s[4:7], s[0:1], 0x8
	s_lshl_b64 s[18:19], s[16:17], 3
	v_dual_mov_b32 v5, 0 :: v_dual_and_b32 v2, 0x3ff, v0
	v_bfe_u32 v1, v0, 10, 10
	v_mov_b32_e32 v6, 0
	s_delay_alu instid0(VALU_DEP_3) | instskip(NEXT) | instid1(VALU_DEP_3)
	v_lshl_add_u32 v0, s13, 4, v2
	v_lshl_add_u32 v9, s14, 4, v1
	s_delay_alu instid0(VALU_DEP_3)
	v_dual_mov_b32 v8, v6 :: v_dual_mov_b32 v7, v5
	s_waitcnt lgkmcnt(0)
	s_add_u32 s2, s2, s18
	s_addc_u32 s3, s3, s19
	s_clause 0x1
	s_load_b64 s[20:21], s[0:1], 0x18
	s_load_b128 s[8:11], s[0:1], 0x48
	s_load_b64 s[2:3], s[2:3], 0x0
	s_cmp_lt_i32 s12, 1
	s_cbranch_scc1 .LBB895_3
; %bb.1:
	s_clause 0x2
	s_load_b64 s[14:15], s[0:1], 0x30
	s_load_b32 s13, s[0:1], 0x20
	s_load_b32 s16, s[0:1], 0x38
	v_dual_mov_b32 v5, 0 :: v_dual_lshlrev_b32 v12, 8, v1
	v_lshlrev_b32_e32 v14, 4, v1
	v_mov_b32_e32 v6, 0
	v_lshlrev_b32_e32 v10, 4, v2
	s_delay_alu instid0(VALU_DEP_4)
	v_add_nc_u32_e32 v11, 0x1000, v12
	s_waitcnt lgkmcnt(0)
	s_add_u32 s14, s14, s18
	s_addc_u32 s15, s15, s19
	s_add_u32 s18, s20, s18
	s_addc_u32 s19, s21, s19
	v_mad_i64_i32 v[3:4], null, s13, v0, 0
	s_load_b64 s[18:19], s[18:19], 0x0
	v_mad_i64_i32 v[7:8], null, s16, v9, 0
	s_load_b64 s[14:15], s[14:15], 0x0
	s_delay_alu instid0(VALU_DEP_2) | instskip(NEXT) | instid1(VALU_DEP_2)
	v_lshlrev_b64 v[1:2], 4, v[3:4]
	v_lshlrev_b64 v[3:4], 4, v[7:8]
	s_delay_alu instid0(VALU_DEP_2) | instskip(NEXT) | instid1(VALU_DEP_3)
	v_add_co_u32 v1, vcc_lo, v1, v14
	v_add_co_ci_u32_e32 v2, vcc_lo, 0, v2, vcc_lo
	s_delay_alu instid0(VALU_DEP_3) | instskip(NEXT) | instid1(VALU_DEP_4)
	v_add_co_u32 v3, vcc_lo, v3, v10
	v_add_co_ci_u32_e32 v4, vcc_lo, 0, v4, vcc_lo
	s_waitcnt lgkmcnt(0)
	v_add_co_u32 v7, vcc_lo, v1, s18
	v_add_co_ci_u32_e32 v8, vcc_lo, s19, v2, vcc_lo
	v_add_co_u32 v1, vcc_lo, s14, v3
	v_add_co_ci_u32_e32 v2, vcc_lo, s15, v4, vcc_lo
	s_delay_alu instid0(VALU_DEP_4) | instskip(NEXT) | instid1(VALU_DEP_4)
	v_add_co_u32 v3, vcc_lo, v7, 8
	v_add_co_ci_u32_e32 v4, vcc_lo, 0, v8, vcc_lo
	v_dual_mov_b32 v8, v6 :: v_dual_mov_b32 v7, v5
	v_add_nc_u32_e32 v12, v10, v12
	v_add_nc_u32_e32 v13, v11, v10
.LBB895_2:                              ; =>This Inner Loop Header: Depth=1
	global_load_b128 v[14:17], v[3:4], off offset:-8
	global_load_b128 v[18:21], v[1:2], off
	v_add_co_u32 v1, vcc_lo, 0x100, v1
	v_add_co_ci_u32_e32 v2, vcc_lo, 0, v2, vcc_lo
	v_add_co_u32 v3, vcc_lo, 0x100, v3
	v_add_co_ci_u32_e32 v4, vcc_lo, 0, v4, vcc_lo
	s_add_i32 s17, s17, 16
	s_delay_alu instid0(SALU_CYCLE_1)
	s_cmp_lt_i32 s17, s12
	s_waitcnt vmcnt(1)
	v_xor_b32_e32 v17, 0x80000000, v17
	ds_store_b128 v12, v[14:17]
	s_waitcnt vmcnt(0)
	ds_store_2addr_b64 v13, v[18:19], v[20:21] offset1:1
	s_waitcnt lgkmcnt(0)
	s_barrier
	buffer_gl0_inv
	ds_load_b128 v[14:17], v10
	ds_load_b128 v[18:21], v11
	ds_load_b128 v[22:25], v11 offset:16
	ds_load_b128 v[26:29], v10 offset:256
	s_waitcnt lgkmcnt(2)
	v_mul_f64 v[30:31], v[20:21], v[16:17]
	v_mul_f64 v[16:17], v[18:19], v[16:17]
	s_waitcnt lgkmcnt(0)
	v_mul_f64 v[36:37], v[24:25], v[28:29]
	v_mul_f64 v[38:39], v[22:23], v[28:29]
	s_delay_alu instid0(VALU_DEP_4) | instskip(NEXT) | instid1(VALU_DEP_4)
	v_fma_f64 v[40:41], v[18:19], v[14:15], -v[30:31]
	v_fma_f64 v[42:43], v[20:21], v[14:15], v[16:17]
	ds_load_b128 v[14:17], v10 offset:512
	ds_load_b128 v[18:21], v11 offset:32
	;; [unrolled: 1-line block ×4, first 2 shown]
	v_fma_f64 v[22:23], v[22:23], v[26:27], -v[36:37]
	v_fma_f64 v[24:25], v[24:25], v[26:27], v[38:39]
	s_waitcnt lgkmcnt(2)
	v_mul_f64 v[44:45], v[20:21], v[16:17]
	v_mul_f64 v[16:17], v[18:19], v[16:17]
	s_waitcnt lgkmcnt(0)
	v_mul_f64 v[26:27], v[30:31], v[34:35]
	v_mul_f64 v[34:35], v[28:29], v[34:35]
	v_add_f64 v[7:8], v[7:8], v[40:41]
	v_add_f64 v[5:6], v[5:6], v[42:43]
	v_fma_f64 v[36:37], v[18:19], v[14:15], -v[44:45]
	v_fma_f64 v[38:39], v[20:21], v[14:15], v[16:17]
	v_fma_f64 v[26:27], v[28:29], v[32:33], -v[26:27]
	v_fma_f64 v[28:29], v[30:31], v[32:33], v[34:35]
	v_add_f64 v[40:41], v[7:8], v[22:23]
	v_add_f64 v[42:43], v[5:6], v[24:25]
	ds_load_b128 v[5:8], v10 offset:1024
	ds_load_b128 v[14:17], v11 offset:64
	ds_load_b128 v[18:21], v11 offset:80
	ds_load_b128 v[22:25], v10 offset:1280
	s_waitcnt lgkmcnt(2)
	v_mul_f64 v[44:45], v[16:17], v[7:8]
	v_mul_f64 v[7:8], v[14:15], v[7:8]
	s_waitcnt lgkmcnt(0)
	v_mul_f64 v[34:35], v[20:21], v[24:25]
	v_add_f64 v[30:31], v[40:41], v[36:37]
	v_add_f64 v[32:33], v[42:43], v[38:39]
	v_mul_f64 v[36:37], v[18:19], v[24:25]
	v_fma_f64 v[38:39], v[14:15], v[5:6], -v[44:45]
	v_fma_f64 v[40:41], v[16:17], v[5:6], v[7:8]
	v_fma_f64 v[18:19], v[18:19], v[22:23], -v[34:35]
	v_add_f64 v[42:43], v[30:31], v[26:27]
	v_add_f64 v[32:33], v[32:33], v[28:29]
	ds_load_b128 v[5:8], v10 offset:1536
	ds_load_b128 v[14:17], v11 offset:96
	;; [unrolled: 1-line block ×4, first 2 shown]
	v_fma_f64 v[20:21], v[20:21], v[22:23], v[36:37]
	s_waitcnt lgkmcnt(2)
	v_mul_f64 v[44:45], v[16:17], v[7:8]
	v_mul_f64 v[7:8], v[14:15], v[7:8]
	s_waitcnt lgkmcnt(0)
	v_mul_f64 v[34:35], v[26:27], v[30:31]
	v_mul_f64 v[36:37], v[24:25], v[30:31]
	v_add_f64 v[22:23], v[42:43], v[38:39]
	v_add_f64 v[32:33], v[32:33], v[40:41]
	v_fma_f64 v[38:39], v[14:15], v[5:6], -v[44:45]
	v_fma_f64 v[40:41], v[16:17], v[5:6], v[7:8]
	v_fma_f64 v[24:25], v[24:25], v[28:29], -v[34:35]
	v_fma_f64 v[26:27], v[26:27], v[28:29], v[36:37]
	v_add_f64 v[22:23], v[22:23], v[18:19]
	v_add_f64 v[42:43], v[32:33], v[20:21]
	ds_load_b128 v[5:8], v10 offset:2048
	ds_load_b128 v[14:17], v11 offset:128
	;; [unrolled: 1-line block ×4, first 2 shown]
	s_waitcnt lgkmcnt(2)
	v_mul_f64 v[44:45], v[16:17], v[7:8]
	v_mul_f64 v[7:8], v[14:15], v[7:8]
	s_waitcnt lgkmcnt(0)
	v_mul_f64 v[34:35], v[20:21], v[32:33]
	v_mul_f64 v[32:33], v[18:19], v[32:33]
	v_add_f64 v[22:23], v[22:23], v[38:39]
	v_add_f64 v[28:29], v[42:43], v[40:41]
	v_fma_f64 v[36:37], v[14:15], v[5:6], -v[44:45]
	v_fma_f64 v[38:39], v[16:17], v[5:6], v[7:8]
	v_fma_f64 v[18:19], v[18:19], v[30:31], -v[34:35]
	v_fma_f64 v[20:21], v[20:21], v[30:31], v[32:33]
	v_add_f64 v[40:41], v[22:23], v[24:25]
	v_add_f64 v[42:43], v[28:29], v[26:27]
	ds_load_b128 v[5:8], v10 offset:2560
	ds_load_b128 v[14:17], v11 offset:160
	;; [unrolled: 1-line block ×4, first 2 shown]
	s_waitcnt lgkmcnt(2)
	v_mul_f64 v[44:45], v[16:17], v[7:8]
	v_mul_f64 v[7:8], v[14:15], v[7:8]
	s_waitcnt lgkmcnt(0)
	v_mul_f64 v[34:35], v[24:25], v[28:29]
	v_add_f64 v[30:31], v[40:41], v[36:37]
	v_add_f64 v[32:33], v[42:43], v[38:39]
	v_mul_f64 v[36:37], v[22:23], v[28:29]
	v_fma_f64 v[38:39], v[14:15], v[5:6], -v[44:45]
	v_fma_f64 v[40:41], v[16:17], v[5:6], v[7:8]
	v_fma_f64 v[22:23], v[22:23], v[26:27], -v[34:35]
	v_add_f64 v[42:43], v[30:31], v[18:19]
	v_add_f64 v[32:33], v[32:33], v[20:21]
	ds_load_b128 v[5:8], v10 offset:3072
	ds_load_b128 v[14:17], v11 offset:192
	;; [unrolled: 1-line block ×4, first 2 shown]
	v_fma_f64 v[24:25], v[24:25], v[26:27], v[36:37]
	s_waitcnt lgkmcnt(2)
	v_mul_f64 v[44:45], v[16:17], v[7:8]
	v_mul_f64 v[7:8], v[14:15], v[7:8]
	s_waitcnt lgkmcnt(0)
	v_mul_f64 v[34:35], v[20:21], v[30:31]
	v_mul_f64 v[36:37], v[18:19], v[30:31]
	v_add_f64 v[26:27], v[42:43], v[38:39]
	v_add_f64 v[32:33], v[32:33], v[40:41]
	v_fma_f64 v[38:39], v[14:15], v[5:6], -v[44:45]
	v_fma_f64 v[40:41], v[16:17], v[5:6], v[7:8]
	v_fma_f64 v[18:19], v[18:19], v[28:29], -v[34:35]
	v_fma_f64 v[20:21], v[20:21], v[28:29], v[36:37]
	v_add_f64 v[26:27], v[26:27], v[22:23]
	v_add_f64 v[42:43], v[32:33], v[24:25]
	ds_load_b128 v[5:8], v10 offset:3584
	ds_load_b128 v[14:17], v11 offset:224
	;; [unrolled: 1-line block ×4, first 2 shown]
	s_waitcnt lgkmcnt(0)
	s_barrier
	buffer_gl0_inv
	v_mul_f64 v[44:45], v[16:17], v[7:8]
	v_mul_f64 v[7:8], v[14:15], v[7:8]
	v_mul_f64 v[34:35], v[24:25], v[32:33]
	v_mul_f64 v[32:33], v[22:23], v[32:33]
	v_add_f64 v[26:27], v[26:27], v[38:39]
	v_add_f64 v[28:29], v[42:43], v[40:41]
	v_fma_f64 v[14:15], v[14:15], v[5:6], -v[44:45]
	v_fma_f64 v[5:6], v[16:17], v[5:6], v[7:8]
	s_delay_alu instid0(VALU_DEP_4) | instskip(NEXT) | instid1(VALU_DEP_4)
	v_add_f64 v[7:8], v[26:27], v[18:19]
	v_add_f64 v[16:17], v[28:29], v[20:21]
	v_fma_f64 v[18:19], v[22:23], v[30:31], -v[34:35]
	v_fma_f64 v[20:21], v[24:25], v[30:31], v[32:33]
	s_delay_alu instid0(VALU_DEP_4) | instskip(NEXT) | instid1(VALU_DEP_4)
	v_add_f64 v[7:8], v[7:8], v[14:15]
	v_add_f64 v[5:6], v[16:17], v[5:6]
	s_delay_alu instid0(VALU_DEP_2) | instskip(NEXT) | instid1(VALU_DEP_2)
	v_add_f64 v[7:8], v[7:8], v[18:19]
	v_add_f64 v[5:6], v[5:6], v[20:21]
	s_cbranch_scc1 .LBB895_2
.LBB895_3:
	s_mov_b32 s12, exec_lo
	v_cmpx_le_i32_e64 v0, v9
	s_cbranch_execz .LBB895_5
; %bb.4:
	s_load_b32 s0, s[0:1], 0x60
	v_ashrrev_i32_e32 v1, 31, v0
	s_delay_alu instid0(VALU_DEP_3) | instskip(SKIP_1) | instid1(VALU_DEP_3)
	v_mul_f64 v[12:13], s[4:5], v[5:6]
	v_mul_f64 v[5:6], s[6:7], v[5:6]
	v_lshlrev_b64 v[10:11], 4, v[0:1]
	s_waitcnt lgkmcnt(0)
	v_mad_i64_i32 v[2:3], null, s0, v9, 0
	s_delay_alu instid0(VALU_DEP_1) | instskip(NEXT) | instid1(VALU_DEP_1)
	v_lshlrev_b64 v[2:3], 4, v[2:3]
	v_add_co_u32 v1, vcc_lo, s2, v2
	s_delay_alu instid0(VALU_DEP_2) | instskip(NEXT) | instid1(VALU_DEP_2)
	v_add_co_ci_u32_e32 v2, vcc_lo, s3, v3, vcc_lo
	v_add_co_u32 v10, vcc_lo, v1, v10
	s_delay_alu instid0(VALU_DEP_2)
	v_add_co_ci_u32_e32 v11, vcc_lo, v2, v11, vcc_lo
	v_fma_f64 v[12:13], s[6:7], v[7:8], v[12:13]
	v_fma_f64 v[5:6], s[4:5], v[7:8], -v[5:6]
	v_cmp_ne_u32_e32 vcc_lo, v0, v9
	global_load_b128 v[1:4], v[10:11], off
	s_waitcnt vmcnt(0)
	v_mul_f64 v[14:15], s[8:9], v[3:4]
	v_mul_f64 v[3:4], s[10:11], v[3:4]
	s_delay_alu instid0(VALU_DEP_2) | instskip(NEXT) | instid1(VALU_DEP_2)
	v_fma_f64 v[14:15], s[10:11], v[1:2], v[14:15]
	v_fma_f64 v[1:2], s[8:9], v[1:2], -v[3:4]
	s_delay_alu instid0(VALU_DEP_2) | instskip(NEXT) | instid1(VALU_DEP_2)
	v_add_f64 v[3:4], v[12:13], v[14:15]
	v_add_f64 v[1:2], v[5:6], v[1:2]
	s_delay_alu instid0(VALU_DEP_2)
	v_dual_cndmask_b32 v4, 0, v4 :: v_dual_cndmask_b32 v3, 0, v3
	global_store_b128 v[10:11], v[1:4], off
.LBB895_5:
	s_nop 0
	s_sendmsg sendmsg(MSG_DEALLOC_VGPRS)
	s_endpgm
	.section	.rodata,"a",@progbits
	.p2align	6, 0x0
	.amdhsa_kernel _ZL41rocblas_syrkx_herkx_small_restrict_kernelIi19rocblas_complex_numIdELi16ELb0ELb1ELc67ELc85EKPKS1_KPS1_EviT_T0_PT6_S7_lSA_S7_lS8_PT7_S7_li
		.amdhsa_group_segment_fixed_size 8192
		.amdhsa_private_segment_fixed_size 0
		.amdhsa_kernarg_size 116
		.amdhsa_user_sgpr_count 13
		.amdhsa_user_sgpr_dispatch_ptr 0
		.amdhsa_user_sgpr_queue_ptr 0
		.amdhsa_user_sgpr_kernarg_segment_ptr 1
		.amdhsa_user_sgpr_dispatch_id 0
		.amdhsa_user_sgpr_private_segment_size 0
		.amdhsa_wavefront_size32 1
		.amdhsa_uses_dynamic_stack 0
		.amdhsa_enable_private_segment 0
		.amdhsa_system_sgpr_workgroup_id_x 1
		.amdhsa_system_sgpr_workgroup_id_y 1
		.amdhsa_system_sgpr_workgroup_id_z 1
		.amdhsa_system_sgpr_workgroup_info 0
		.amdhsa_system_vgpr_workitem_id 1
		.amdhsa_next_free_vgpr 46
		.amdhsa_next_free_sgpr 22
		.amdhsa_reserve_vcc 1
		.amdhsa_float_round_mode_32 0
		.amdhsa_float_round_mode_16_64 0
		.amdhsa_float_denorm_mode_32 3
		.amdhsa_float_denorm_mode_16_64 3
		.amdhsa_dx10_clamp 1
		.amdhsa_ieee_mode 1
		.amdhsa_fp16_overflow 0
		.amdhsa_workgroup_processor_mode 1
		.amdhsa_memory_ordered 1
		.amdhsa_forward_progress 0
		.amdhsa_shared_vgpr_count 0
		.amdhsa_exception_fp_ieee_invalid_op 0
		.amdhsa_exception_fp_denorm_src 0
		.amdhsa_exception_fp_ieee_div_zero 0
		.amdhsa_exception_fp_ieee_overflow 0
		.amdhsa_exception_fp_ieee_underflow 0
		.amdhsa_exception_fp_ieee_inexact 0
		.amdhsa_exception_int_div_zero 0
	.end_amdhsa_kernel
	.section	.text._ZL41rocblas_syrkx_herkx_small_restrict_kernelIi19rocblas_complex_numIdELi16ELb0ELb1ELc67ELc85EKPKS1_KPS1_EviT_T0_PT6_S7_lSA_S7_lS8_PT7_S7_li,"axG",@progbits,_ZL41rocblas_syrkx_herkx_small_restrict_kernelIi19rocblas_complex_numIdELi16ELb0ELb1ELc67ELc85EKPKS1_KPS1_EviT_T0_PT6_S7_lSA_S7_lS8_PT7_S7_li,comdat
.Lfunc_end895:
	.size	_ZL41rocblas_syrkx_herkx_small_restrict_kernelIi19rocblas_complex_numIdELi16ELb0ELb1ELc67ELc85EKPKS1_KPS1_EviT_T0_PT6_S7_lSA_S7_lS8_PT7_S7_li, .Lfunc_end895-_ZL41rocblas_syrkx_herkx_small_restrict_kernelIi19rocblas_complex_numIdELi16ELb0ELb1ELc67ELc85EKPKS1_KPS1_EviT_T0_PT6_S7_lSA_S7_lS8_PT7_S7_li
                                        ; -- End function
	.section	.AMDGPU.csdata,"",@progbits
; Kernel info:
; codeLenInByte = 1824
; NumSgprs: 24
; NumVgprs: 46
; ScratchSize: 0
; MemoryBound: 0
; FloatMode: 240
; IeeeMode: 1
; LDSByteSize: 8192 bytes/workgroup (compile time only)
; SGPRBlocks: 2
; VGPRBlocks: 5
; NumSGPRsForWavesPerEU: 24
; NumVGPRsForWavesPerEU: 46
; Occupancy: 16
; WaveLimiterHint : 1
; COMPUTE_PGM_RSRC2:SCRATCH_EN: 0
; COMPUTE_PGM_RSRC2:USER_SGPR: 13
; COMPUTE_PGM_RSRC2:TRAP_HANDLER: 0
; COMPUTE_PGM_RSRC2:TGID_X_EN: 1
; COMPUTE_PGM_RSRC2:TGID_Y_EN: 1
; COMPUTE_PGM_RSRC2:TGID_Z_EN: 1
; COMPUTE_PGM_RSRC2:TIDIG_COMP_CNT: 1
	.section	.text._ZL41rocblas_syrkx_herkx_small_restrict_kernelIi19rocblas_complex_numIdELi16ELb0ELb1ELc78ELc85EKPKS1_KPS1_EviT_T0_PT6_S7_lSA_S7_lS8_PT7_S7_li,"axG",@progbits,_ZL41rocblas_syrkx_herkx_small_restrict_kernelIi19rocblas_complex_numIdELi16ELb0ELb1ELc78ELc85EKPKS1_KPS1_EviT_T0_PT6_S7_lSA_S7_lS8_PT7_S7_li,comdat
	.globl	_ZL41rocblas_syrkx_herkx_small_restrict_kernelIi19rocblas_complex_numIdELi16ELb0ELb1ELc78ELc85EKPKS1_KPS1_EviT_T0_PT6_S7_lSA_S7_lS8_PT7_S7_li ; -- Begin function _ZL41rocblas_syrkx_herkx_small_restrict_kernelIi19rocblas_complex_numIdELi16ELb0ELb1ELc78ELc85EKPKS1_KPS1_EviT_T0_PT6_S7_lSA_S7_lS8_PT7_S7_li
	.p2align	8
	.type	_ZL41rocblas_syrkx_herkx_small_restrict_kernelIi19rocblas_complex_numIdELi16ELb0ELb1ELc78ELc85EKPKS1_KPS1_EviT_T0_PT6_S7_lSA_S7_lS8_PT7_S7_li,@function
_ZL41rocblas_syrkx_herkx_small_restrict_kernelIi19rocblas_complex_numIdELi16ELb0ELb1ELc78ELc85EKPKS1_KPS1_EviT_T0_PT6_S7_lSA_S7_lS8_PT7_S7_li: ; @_ZL41rocblas_syrkx_herkx_small_restrict_kernelIi19rocblas_complex_numIdELi16ELb0ELb1ELc78ELc85EKPKS1_KPS1_EviT_T0_PT6_S7_lSA_S7_lS8_PT7_S7_li
; %bb.0:
	s_load_b64 s[2:3], s[0:1], 0x58
	s_mov_b32 s16, s15
	s_mov_b32 s17, 0
	v_and_b32_e32 v5, 0x3ff, v0
	s_lshl_b64 s[18:19], s[16:17], 3
	s_clause 0x1
	s_load_b32 s16, s[0:1], 0x4
	s_load_b128 s[4:7], s[0:1], 0x8
	v_mov_b32_e32 v7, 0
	v_mov_b32_e32 v8, 0
	v_bfe_u32 v4, v0, 10, 10
	v_lshl_add_u32 v0, s13, 4, v5
	s_delay_alu instid0(VALU_DEP_3) | instskip(NEXT) | instid1(VALU_DEP_3)
	v_dual_mov_b32 v10, v8 :: v_dual_mov_b32 v9, v7
	v_lshl_add_u32 v2, s14, 4, v4
	s_delay_alu instid0(VALU_DEP_3)
	v_ashrrev_i32_e32 v1, 31, v0
	s_waitcnt lgkmcnt(0)
	s_add_u32 s2, s2, s18
	s_addc_u32 s3, s3, s19
	s_clause 0x1
	s_load_b64 s[20:21], s[0:1], 0x18
	s_load_b128 s[8:11], s[0:1], 0x48
	s_load_b64 s[2:3], s[2:3], 0x0
	s_cmp_lt_i32 s16, 1
	s_cbranch_scc1 .LBB896_3
; %bb.1:
	s_clause 0x2
	s_load_b32 s14, s[0:1], 0x20
	s_load_b32 s12, s[0:1], 0x38
	s_load_b64 s[22:23], s[0:1], 0x30
	v_ashrrev_i32_e32 v3, 31, v2
	v_lshlrev_b32_e32 v13, 8, v4
	v_lshlrev_b32_e32 v11, 4, v5
	v_lshlrev_b64 v[9:10], 4, v[0:1]
	s_waitcnt lgkmcnt(0)
	s_ashr_i32 s15, s14, 31
	s_ashr_i32 s13, s12, 31
	s_add_u32 s22, s22, s18
	s_addc_u32 s23, s23, s19
	v_mad_i64_i32 v[6:7], null, s12, v5, 0
	s_load_b64 s[22:23], s[22:23], 0x0
	s_add_u32 s18, s20, s18
	s_addc_u32 s19, s21, s19
	v_mad_i64_i32 v[15:16], null, s14, v4, 0
	s_load_b64 s[18:19], s[18:19], 0x0
	v_lshlrev_b64 v[3:4], 4, v[2:3]
	s_delay_alu instid0(VALU_DEP_3)
	v_lshlrev_b64 v[5:6], 4, v[6:7]
	v_mov_b32_e32 v7, 0
	v_mov_b32_e32 v8, 0
	v_add_nc_u32_e32 v12, 0x1000, v13
	v_lshlrev_b64 v[15:16], 4, v[15:16]
	s_lshl_b64 s[12:13], s[12:13], 8
	v_add_co_u32 v3, vcc_lo, v5, v3
	v_add_co_ci_u32_e32 v4, vcc_lo, v6, v4, vcc_lo
	s_delay_alu instid0(VALU_DEP_3) | instskip(NEXT) | instid1(VALU_DEP_4)
	v_add_co_u32 v5, vcc_lo, v15, v9
	v_add_co_ci_u32_e32 v6, vcc_lo, v16, v10, vcc_lo
	s_waitcnt lgkmcnt(0)
	v_add_co_u32 v9, vcc_lo, v3, s22
	v_add_co_ci_u32_e32 v10, vcc_lo, s23, v4, vcc_lo
	v_add_co_u32 v3, vcc_lo, s18, v5
	v_add_co_ci_u32_e32 v4, vcc_lo, s19, v6, vcc_lo
	s_delay_alu instid0(VALU_DEP_4) | instskip(NEXT) | instid1(VALU_DEP_4)
	v_add_co_u32 v5, vcc_lo, v9, 8
	v_add_co_ci_u32_e32 v6, vcc_lo, 0, v10, vcc_lo
	v_dual_mov_b32 v10, v8 :: v_dual_mov_b32 v9, v7
	v_add_nc_u32_e32 v13, v11, v13
	v_add_nc_u32_e32 v14, v12, v11
	s_lshl_b64 s[14:15], s[14:15], 8
.LBB896_2:                              ; =>This Inner Loop Header: Depth=1
	global_load_b128 v[15:18], v[5:6], off offset:-8
	global_load_b128 v[19:22], v[3:4], off
	v_add_co_u32 v5, vcc_lo, v5, s12
	v_add_co_ci_u32_e32 v6, vcc_lo, s13, v6, vcc_lo
	v_add_co_u32 v3, vcc_lo, v3, s14
	v_add_co_ci_u32_e32 v4, vcc_lo, s15, v4, vcc_lo
	s_add_i32 s17, s17, 16
	s_delay_alu instid0(SALU_CYCLE_1)
	s_cmp_lt_i32 s17, s16
	s_waitcnt vmcnt(1)
	v_xor_b32_e32 v18, 0x80000000, v18
	s_waitcnt vmcnt(0)
	ds_store_2addr_b64 v13, v[19:20], v[21:22] offset1:1
	ds_store_b128 v14, v[15:18]
	s_waitcnt lgkmcnt(0)
	s_barrier
	buffer_gl0_inv
	ds_load_b128 v[15:18], v11
	ds_load_b128 v[19:22], v12
	ds_load_b128 v[23:26], v12 offset:16
	ds_load_b128 v[27:30], v11 offset:256
	s_waitcnt lgkmcnt(2)
	v_mul_f64 v[31:32], v[21:22], v[17:18]
	v_mul_f64 v[17:18], v[19:20], v[17:18]
	s_waitcnt lgkmcnt(0)
	v_mul_f64 v[37:38], v[25:26], v[29:30]
	v_mul_f64 v[39:40], v[23:24], v[29:30]
	s_delay_alu instid0(VALU_DEP_4) | instskip(NEXT) | instid1(VALU_DEP_4)
	v_fma_f64 v[41:42], v[19:20], v[15:16], -v[31:32]
	v_fma_f64 v[43:44], v[21:22], v[15:16], v[17:18]
	ds_load_b128 v[15:18], v11 offset:512
	ds_load_b128 v[19:22], v12 offset:32
	;; [unrolled: 1-line block ×4, first 2 shown]
	v_fma_f64 v[23:24], v[23:24], v[27:28], -v[37:38]
	v_fma_f64 v[25:26], v[25:26], v[27:28], v[39:40]
	s_waitcnt lgkmcnt(2)
	v_mul_f64 v[45:46], v[21:22], v[17:18]
	v_mul_f64 v[17:18], v[19:20], v[17:18]
	s_waitcnt lgkmcnt(0)
	v_mul_f64 v[27:28], v[31:32], v[35:36]
	v_mul_f64 v[35:36], v[29:30], v[35:36]
	v_add_f64 v[9:10], v[9:10], v[41:42]
	v_add_f64 v[7:8], v[7:8], v[43:44]
	v_fma_f64 v[37:38], v[19:20], v[15:16], -v[45:46]
	v_fma_f64 v[39:40], v[21:22], v[15:16], v[17:18]
	v_fma_f64 v[27:28], v[29:30], v[33:34], -v[27:28]
	v_fma_f64 v[29:30], v[31:32], v[33:34], v[35:36]
	v_add_f64 v[41:42], v[9:10], v[23:24]
	v_add_f64 v[43:44], v[7:8], v[25:26]
	ds_load_b128 v[7:10], v11 offset:1024
	ds_load_b128 v[15:18], v12 offset:64
	;; [unrolled: 1-line block ×4, first 2 shown]
	s_waitcnt lgkmcnt(2)
	v_mul_f64 v[45:46], v[17:18], v[9:10]
	v_mul_f64 v[9:10], v[15:16], v[9:10]
	s_waitcnt lgkmcnt(0)
	v_mul_f64 v[35:36], v[21:22], v[25:26]
	v_add_f64 v[31:32], v[41:42], v[37:38]
	v_add_f64 v[33:34], v[43:44], v[39:40]
	v_mul_f64 v[37:38], v[19:20], v[25:26]
	v_fma_f64 v[39:40], v[15:16], v[7:8], -v[45:46]
	v_fma_f64 v[41:42], v[17:18], v[7:8], v[9:10]
	v_fma_f64 v[19:20], v[19:20], v[23:24], -v[35:36]
	v_add_f64 v[43:44], v[31:32], v[27:28]
	v_add_f64 v[33:34], v[33:34], v[29:30]
	ds_load_b128 v[7:10], v11 offset:1536
	ds_load_b128 v[15:18], v12 offset:96
	;; [unrolled: 1-line block ×4, first 2 shown]
	v_fma_f64 v[21:22], v[21:22], v[23:24], v[37:38]
	s_waitcnt lgkmcnt(2)
	v_mul_f64 v[45:46], v[17:18], v[9:10]
	v_mul_f64 v[9:10], v[15:16], v[9:10]
	s_waitcnt lgkmcnt(0)
	v_mul_f64 v[35:36], v[27:28], v[31:32]
	v_mul_f64 v[37:38], v[25:26], v[31:32]
	v_add_f64 v[23:24], v[43:44], v[39:40]
	v_add_f64 v[33:34], v[33:34], v[41:42]
	v_fma_f64 v[39:40], v[15:16], v[7:8], -v[45:46]
	v_fma_f64 v[41:42], v[17:18], v[7:8], v[9:10]
	v_fma_f64 v[25:26], v[25:26], v[29:30], -v[35:36]
	v_fma_f64 v[27:28], v[27:28], v[29:30], v[37:38]
	v_add_f64 v[23:24], v[23:24], v[19:20]
	v_add_f64 v[43:44], v[33:34], v[21:22]
	ds_load_b128 v[7:10], v11 offset:2048
	ds_load_b128 v[15:18], v12 offset:128
	;; [unrolled: 1-line block ×4, first 2 shown]
	s_waitcnt lgkmcnt(2)
	v_mul_f64 v[45:46], v[17:18], v[9:10]
	v_mul_f64 v[9:10], v[15:16], v[9:10]
	s_waitcnt lgkmcnt(0)
	v_mul_f64 v[35:36], v[21:22], v[33:34]
	v_mul_f64 v[33:34], v[19:20], v[33:34]
	v_add_f64 v[23:24], v[23:24], v[39:40]
	v_add_f64 v[29:30], v[43:44], v[41:42]
	v_fma_f64 v[37:38], v[15:16], v[7:8], -v[45:46]
	v_fma_f64 v[39:40], v[17:18], v[7:8], v[9:10]
	v_fma_f64 v[19:20], v[19:20], v[31:32], -v[35:36]
	v_fma_f64 v[21:22], v[21:22], v[31:32], v[33:34]
	v_add_f64 v[41:42], v[23:24], v[25:26]
	v_add_f64 v[43:44], v[29:30], v[27:28]
	ds_load_b128 v[7:10], v11 offset:2560
	ds_load_b128 v[15:18], v12 offset:160
	;; [unrolled: 1-line block ×4, first 2 shown]
	s_waitcnt lgkmcnt(2)
	v_mul_f64 v[45:46], v[17:18], v[9:10]
	v_mul_f64 v[9:10], v[15:16], v[9:10]
	s_waitcnt lgkmcnt(0)
	v_mul_f64 v[35:36], v[25:26], v[29:30]
	v_add_f64 v[31:32], v[41:42], v[37:38]
	v_add_f64 v[33:34], v[43:44], v[39:40]
	v_mul_f64 v[37:38], v[23:24], v[29:30]
	v_fma_f64 v[39:40], v[15:16], v[7:8], -v[45:46]
	v_fma_f64 v[41:42], v[17:18], v[7:8], v[9:10]
	v_fma_f64 v[23:24], v[23:24], v[27:28], -v[35:36]
	v_add_f64 v[43:44], v[31:32], v[19:20]
	v_add_f64 v[33:34], v[33:34], v[21:22]
	ds_load_b128 v[7:10], v11 offset:3072
	ds_load_b128 v[15:18], v12 offset:192
	ds_load_b128 v[19:22], v12 offset:208
	ds_load_b128 v[29:32], v11 offset:3328
	v_fma_f64 v[25:26], v[25:26], v[27:28], v[37:38]
	s_waitcnt lgkmcnt(2)
	v_mul_f64 v[45:46], v[17:18], v[9:10]
	v_mul_f64 v[9:10], v[15:16], v[9:10]
	s_waitcnt lgkmcnt(0)
	v_mul_f64 v[35:36], v[21:22], v[31:32]
	v_mul_f64 v[37:38], v[19:20], v[31:32]
	v_add_f64 v[27:28], v[43:44], v[39:40]
	v_add_f64 v[33:34], v[33:34], v[41:42]
	v_fma_f64 v[39:40], v[15:16], v[7:8], -v[45:46]
	v_fma_f64 v[41:42], v[17:18], v[7:8], v[9:10]
	v_fma_f64 v[19:20], v[19:20], v[29:30], -v[35:36]
	v_fma_f64 v[21:22], v[21:22], v[29:30], v[37:38]
	v_add_f64 v[27:28], v[27:28], v[23:24]
	v_add_f64 v[43:44], v[33:34], v[25:26]
	ds_load_b128 v[7:10], v11 offset:3584
	ds_load_b128 v[15:18], v12 offset:224
	;; [unrolled: 1-line block ×4, first 2 shown]
	s_waitcnt lgkmcnt(0)
	s_barrier
	buffer_gl0_inv
	v_mul_f64 v[45:46], v[17:18], v[9:10]
	v_mul_f64 v[9:10], v[15:16], v[9:10]
	;; [unrolled: 1-line block ×4, first 2 shown]
	v_add_f64 v[27:28], v[27:28], v[39:40]
	v_add_f64 v[29:30], v[43:44], v[41:42]
	v_fma_f64 v[15:16], v[15:16], v[7:8], -v[45:46]
	v_fma_f64 v[7:8], v[17:18], v[7:8], v[9:10]
	s_delay_alu instid0(VALU_DEP_4) | instskip(NEXT) | instid1(VALU_DEP_4)
	v_add_f64 v[9:10], v[27:28], v[19:20]
	v_add_f64 v[17:18], v[29:30], v[21:22]
	v_fma_f64 v[19:20], v[23:24], v[31:32], -v[35:36]
	v_fma_f64 v[21:22], v[25:26], v[31:32], v[33:34]
	s_delay_alu instid0(VALU_DEP_4) | instskip(NEXT) | instid1(VALU_DEP_4)
	v_add_f64 v[9:10], v[9:10], v[15:16]
	v_add_f64 v[7:8], v[17:18], v[7:8]
	s_delay_alu instid0(VALU_DEP_2) | instskip(NEXT) | instid1(VALU_DEP_2)
	v_add_f64 v[9:10], v[9:10], v[19:20]
	v_add_f64 v[7:8], v[7:8], v[21:22]
	s_cbranch_scc1 .LBB896_2
.LBB896_3:
	s_mov_b32 s12, exec_lo
	v_cmpx_le_i32_e64 v0, v2
	s_cbranch_execz .LBB896_5
; %bb.4:
	s_load_b32 s0, s[0:1], 0x60
	v_lshlrev_b64 v[5:6], 4, v[0:1]
	s_delay_alu instid0(VALU_DEP_3) | instskip(SKIP_3) | instid1(VALU_DEP_1)
	v_mul_f64 v[13:14], s[4:5], v[7:8]
	v_mul_f64 v[7:8], s[6:7], v[7:8]
	s_waitcnt lgkmcnt(0)
	v_mad_i64_i32 v[3:4], null, s0, v2, 0
	v_lshlrev_b64 v[3:4], 4, v[3:4]
	s_delay_alu instid0(VALU_DEP_1) | instskip(NEXT) | instid1(VALU_DEP_2)
	v_add_co_u32 v1, vcc_lo, s2, v3
	v_add_co_ci_u32_e32 v3, vcc_lo, s3, v4, vcc_lo
	s_delay_alu instid0(VALU_DEP_2) | instskip(NEXT) | instid1(VALU_DEP_2)
	v_add_co_u32 v11, vcc_lo, v1, v5
	v_add_co_ci_u32_e32 v12, vcc_lo, v3, v6, vcc_lo
	v_fma_f64 v[13:14], s[6:7], v[9:10], v[13:14]
	v_fma_f64 v[7:8], s[4:5], v[9:10], -v[7:8]
	v_cmp_ne_u32_e32 vcc_lo, v0, v2
	global_load_b128 v[3:6], v[11:12], off
	s_waitcnt vmcnt(0)
	v_mul_f64 v[15:16], s[8:9], v[5:6]
	v_mul_f64 v[5:6], s[10:11], v[5:6]
	s_delay_alu instid0(VALU_DEP_2) | instskip(NEXT) | instid1(VALU_DEP_2)
	v_fma_f64 v[15:16], s[10:11], v[3:4], v[15:16]
	v_fma_f64 v[3:4], s[8:9], v[3:4], -v[5:6]
	s_delay_alu instid0(VALU_DEP_2) | instskip(NEXT) | instid1(VALU_DEP_2)
	v_add_f64 v[5:6], v[13:14], v[15:16]
	v_add_f64 v[3:4], v[7:8], v[3:4]
	s_delay_alu instid0(VALU_DEP_2)
	v_dual_cndmask_b32 v6, 0, v6 :: v_dual_cndmask_b32 v5, 0, v5
	global_store_b128 v[11:12], v[3:6], off
.LBB896_5:
	s_nop 0
	s_sendmsg sendmsg(MSG_DEALLOC_VGPRS)
	s_endpgm
	.section	.rodata,"a",@progbits
	.p2align	6, 0x0
	.amdhsa_kernel _ZL41rocblas_syrkx_herkx_small_restrict_kernelIi19rocblas_complex_numIdELi16ELb0ELb1ELc78ELc85EKPKS1_KPS1_EviT_T0_PT6_S7_lSA_S7_lS8_PT7_S7_li
		.amdhsa_group_segment_fixed_size 8192
		.amdhsa_private_segment_fixed_size 0
		.amdhsa_kernarg_size 116
		.amdhsa_user_sgpr_count 13
		.amdhsa_user_sgpr_dispatch_ptr 0
		.amdhsa_user_sgpr_queue_ptr 0
		.amdhsa_user_sgpr_kernarg_segment_ptr 1
		.amdhsa_user_sgpr_dispatch_id 0
		.amdhsa_user_sgpr_private_segment_size 0
		.amdhsa_wavefront_size32 1
		.amdhsa_uses_dynamic_stack 0
		.amdhsa_enable_private_segment 0
		.amdhsa_system_sgpr_workgroup_id_x 1
		.amdhsa_system_sgpr_workgroup_id_y 1
		.amdhsa_system_sgpr_workgroup_id_z 1
		.amdhsa_system_sgpr_workgroup_info 0
		.amdhsa_system_vgpr_workitem_id 1
		.amdhsa_next_free_vgpr 47
		.amdhsa_next_free_sgpr 24
		.amdhsa_reserve_vcc 1
		.amdhsa_float_round_mode_32 0
		.amdhsa_float_round_mode_16_64 0
		.amdhsa_float_denorm_mode_32 3
		.amdhsa_float_denorm_mode_16_64 3
		.amdhsa_dx10_clamp 1
		.amdhsa_ieee_mode 1
		.amdhsa_fp16_overflow 0
		.amdhsa_workgroup_processor_mode 1
		.amdhsa_memory_ordered 1
		.amdhsa_forward_progress 0
		.amdhsa_shared_vgpr_count 0
		.amdhsa_exception_fp_ieee_invalid_op 0
		.amdhsa_exception_fp_denorm_src 0
		.amdhsa_exception_fp_ieee_div_zero 0
		.amdhsa_exception_fp_ieee_overflow 0
		.amdhsa_exception_fp_ieee_underflow 0
		.amdhsa_exception_fp_ieee_inexact 0
		.amdhsa_exception_int_div_zero 0
	.end_amdhsa_kernel
	.section	.text._ZL41rocblas_syrkx_herkx_small_restrict_kernelIi19rocblas_complex_numIdELi16ELb0ELb1ELc78ELc85EKPKS1_KPS1_EviT_T0_PT6_S7_lSA_S7_lS8_PT7_S7_li,"axG",@progbits,_ZL41rocblas_syrkx_herkx_small_restrict_kernelIi19rocblas_complex_numIdELi16ELb0ELb1ELc78ELc85EKPKS1_KPS1_EviT_T0_PT6_S7_lSA_S7_lS8_PT7_S7_li,comdat
.Lfunc_end896:
	.size	_ZL41rocblas_syrkx_herkx_small_restrict_kernelIi19rocblas_complex_numIdELi16ELb0ELb1ELc78ELc85EKPKS1_KPS1_EviT_T0_PT6_S7_lSA_S7_lS8_PT7_S7_li, .Lfunc_end896-_ZL41rocblas_syrkx_herkx_small_restrict_kernelIi19rocblas_complex_numIdELi16ELb0ELb1ELc78ELc85EKPKS1_KPS1_EviT_T0_PT6_S7_lSA_S7_lS8_PT7_S7_li
                                        ; -- End function
	.section	.AMDGPU.csdata,"",@progbits
; Kernel info:
; codeLenInByte = 1836
; NumSgprs: 26
; NumVgprs: 47
; ScratchSize: 0
; MemoryBound: 0
; FloatMode: 240
; IeeeMode: 1
; LDSByteSize: 8192 bytes/workgroup (compile time only)
; SGPRBlocks: 3
; VGPRBlocks: 5
; NumSGPRsForWavesPerEU: 26
; NumVGPRsForWavesPerEU: 47
; Occupancy: 16
; WaveLimiterHint : 1
; COMPUTE_PGM_RSRC2:SCRATCH_EN: 0
; COMPUTE_PGM_RSRC2:USER_SGPR: 13
; COMPUTE_PGM_RSRC2:TRAP_HANDLER: 0
; COMPUTE_PGM_RSRC2:TGID_X_EN: 1
; COMPUTE_PGM_RSRC2:TGID_Y_EN: 1
; COMPUTE_PGM_RSRC2:TGID_Z_EN: 1
; COMPUTE_PGM_RSRC2:TIDIG_COMP_CNT: 1
	.section	.text._ZL32rocblas_syrkx_herkx_small_kernelIi19rocblas_complex_numIdELi16ELb1ELb1ELc84ELc76EKPKS1_KPS1_EviT_T0_PT6_S7_lSA_S7_lS8_PT7_S7_li,"axG",@progbits,_ZL32rocblas_syrkx_herkx_small_kernelIi19rocblas_complex_numIdELi16ELb1ELb1ELc84ELc76EKPKS1_KPS1_EviT_T0_PT6_S7_lSA_S7_lS8_PT7_S7_li,comdat
	.globl	_ZL32rocblas_syrkx_herkx_small_kernelIi19rocblas_complex_numIdELi16ELb1ELb1ELc84ELc76EKPKS1_KPS1_EviT_T0_PT6_S7_lSA_S7_lS8_PT7_S7_li ; -- Begin function _ZL32rocblas_syrkx_herkx_small_kernelIi19rocblas_complex_numIdELi16ELb1ELb1ELc84ELc76EKPKS1_KPS1_EviT_T0_PT6_S7_lSA_S7_lS8_PT7_S7_li
	.p2align	8
	.type	_ZL32rocblas_syrkx_herkx_small_kernelIi19rocblas_complex_numIdELi16ELb1ELb1ELc84ELc76EKPKS1_KPS1_EviT_T0_PT6_S7_lSA_S7_lS8_PT7_S7_li,@function
_ZL32rocblas_syrkx_herkx_small_kernelIi19rocblas_complex_numIdELi16ELb1ELb1ELc84ELc76EKPKS1_KPS1_EviT_T0_PT6_S7_lSA_S7_lS8_PT7_S7_li: ; @_ZL32rocblas_syrkx_herkx_small_kernelIi19rocblas_complex_numIdELi16ELb1ELb1ELc84ELc76EKPKS1_KPS1_EviT_T0_PT6_S7_lSA_S7_lS8_PT7_S7_li
; %bb.0:
	s_clause 0x1
	s_load_b64 s[2:3], s[0:1], 0x58
	s_load_b64 s[20:21], s[0:1], 0x18
	s_mov_b32 s10, s15
	s_mov_b32 s11, 0
	s_load_b64 s[16:17], s[0:1], 0x0
	s_lshl_b64 s[18:19], s[10:11], 3
	v_dual_mov_b32 v9, 0 :: v_dual_and_b32 v14, 0x3ff, v0
	v_bfe_u32 v15, v0, 10, 10
	v_mov_b32_e32 v10, 0
	s_delay_alu instid0(VALU_DEP_3) | instskip(NEXT) | instid1(VALU_DEP_3)
	v_lshl_add_u32 v4, s13, 4, v14
	v_lshl_add_u32 v13, s14, 4, v15
	s_delay_alu instid0(VALU_DEP_3)
	v_dual_mov_b32 v12, v10 :: v_dual_mov_b32 v11, v9
	s_waitcnt lgkmcnt(0)
	s_add_u32 s2, s2, s18
	s_addc_u32 s3, s3, s19
	s_load_b128 s[4:7], s[0:1], 0x8
	s_load_b64 s[8:9], s[2:3], 0x0
	v_cmp_gt_i32_e32 vcc_lo, s16, v4
	s_cmp_lt_i32 s17, 1
	s_cbranch_scc1 .LBB897_11
; %bb.1:
	s_clause 0x2
	s_load_b64 s[12:13], s[0:1], 0x30
	s_load_b32 s3, s[0:1], 0x38
	s_load_b32 s10, s[0:1], 0x20
	v_lshlrev_b32_e32 v7, 8, v15
	v_dual_mov_b32 v9, 0 :: v_dual_lshlrev_b32 v16, 4, v14
	v_mov_b32_e32 v10, 0
	v_lshlrev_b32_e32 v8, 4, v15
	s_delay_alu instid0(VALU_DEP_4)
	v_add_nc_u32_e32 v17, 0x1000, v7
	v_cmp_gt_i32_e64 s2, s16, v13
	v_add_nc_u32_e32 v18, v16, v7
	v_dual_mov_b32 v12, v10 :: v_dual_mov_b32 v11, v9
	s_waitcnt lgkmcnt(0)
	s_add_u32 s12, s12, s18
	s_addc_u32 s13, s13, s19
	v_mad_i64_i32 v[0:1], null, s3, v13, 0
	s_load_b64 s[12:13], s[12:13], 0x0
	s_add_u32 s14, s20, s18
	s_addc_u32 s15, s21, s19
	v_mad_i64_i32 v[2:3], null, s10, v4, 0
	s_load_b64 s[14:15], s[14:15], 0x0
	s_delay_alu instid0(VALU_DEP_2) | instskip(SKIP_2) | instid1(VALU_DEP_3)
	v_lshlrev_b64 v[5:6], 4, v[0:1]
	v_dual_mov_b32 v0, 0 :: v_dual_add_nc_u32 v19, v17, v16
	s_xor_b32 s2, s2, -1
	v_lshlrev_b64 v[1:2], 4, v[2:3]
	s_delay_alu instid0(VALU_DEP_3) | instskip(NEXT) | instid1(VALU_DEP_1)
	v_add_co_u32 v3, s3, v5, v16
	v_add_co_ci_u32_e64 v6, s3, 0, v6, s3
	s_delay_alu instid0(VALU_DEP_3) | instskip(NEXT) | instid1(VALU_DEP_1)
	v_add_co_u32 v1, s3, v1, v8
	v_add_co_ci_u32_e64 v2, s3, 0, v2, s3
	s_waitcnt lgkmcnt(0)
	v_add_co_u32 v5, s3, s12, v3
	s_delay_alu instid0(VALU_DEP_1) | instskip(SKIP_1) | instid1(VALU_DEP_1)
	v_add_co_ci_u32_e64 v6, s3, s13, v6, s3
	v_add_co_u32 v7, s3, s14, v1
	v_add_co_ci_u32_e64 v8, s3, s15, v2, s3
	s_xor_b32 s3, vcc_lo, -1
	s_branch .LBB897_3
.LBB897_2:                              ;   in Loop: Header=BB897_3 Depth=1
	s_or_b32 exec_lo, exec_lo, s10
	s_waitcnt lgkmcnt(0)
	s_barrier
	buffer_gl0_inv
	ds_load_b128 v[20:23], v16
	ds_load_b128 v[24:27], v17
	ds_load_b128 v[28:31], v17 offset:16
	ds_load_b128 v[32:35], v16 offset:256
	v_add_co_u32 v5, vcc_lo, 0x100, v5
	v_add_co_ci_u32_e32 v6, vcc_lo, 0, v6, vcc_lo
	v_add_co_u32 v7, vcc_lo, 0x100, v7
	v_add_co_ci_u32_e32 v8, vcc_lo, 0, v8, vcc_lo
	s_add_i32 s11, s11, 16
	s_delay_alu instid0(SALU_CYCLE_1)
	s_cmp_ge_i32 s11, s17
	s_waitcnt lgkmcnt(2)
	v_mul_f64 v[1:2], v[26:27], v[22:23]
	v_mul_f64 v[22:23], v[24:25], v[22:23]
	s_waitcnt lgkmcnt(0)
	v_mul_f64 v[42:43], v[30:31], v[34:35]
	v_mul_f64 v[44:45], v[28:29], v[34:35]
	s_delay_alu instid0(VALU_DEP_4) | instskip(NEXT) | instid1(VALU_DEP_4)
	v_fma_f64 v[1:2], v[24:25], v[20:21], -v[1:2]
	v_fma_f64 v[46:47], v[26:27], v[20:21], v[22:23]
	ds_load_b128 v[20:23], v16 offset:512
	ds_load_b128 v[24:27], v17 offset:32
	;; [unrolled: 1-line block ×4, first 2 shown]
	v_fma_f64 v[28:29], v[28:29], v[32:33], -v[42:43]
	v_fma_f64 v[30:31], v[30:31], v[32:33], v[44:45]
	s_waitcnt lgkmcnt(2)
	v_mul_f64 v[48:49], v[26:27], v[22:23]
	v_mul_f64 v[22:23], v[24:25], v[22:23]
	s_waitcnt lgkmcnt(0)
	v_mul_f64 v[32:33], v[36:37], v[40:41]
	v_mul_f64 v[40:41], v[34:35], v[40:41]
	v_add_f64 v[1:2], v[11:12], v[1:2]
	v_add_f64 v[9:10], v[9:10], v[46:47]
	v_fma_f64 v[42:43], v[24:25], v[20:21], -v[48:49]
	v_fma_f64 v[44:45], v[26:27], v[20:21], v[22:23]
	v_fma_f64 v[32:33], v[34:35], v[38:39], -v[32:33]
	v_fma_f64 v[34:35], v[36:37], v[38:39], v[40:41]
	v_add_f64 v[1:2], v[1:2], v[28:29]
	v_add_f64 v[46:47], v[9:10], v[30:31]
	ds_load_b128 v[9:12], v16 offset:1024
	ds_load_b128 v[20:23], v17 offset:64
	ds_load_b128 v[24:27], v17 offset:80
	ds_load_b128 v[28:31], v16 offset:1280
	s_waitcnt lgkmcnt(2)
	v_mul_f64 v[48:49], v[22:23], v[11:12]
	v_mul_f64 v[11:12], v[20:21], v[11:12]
	s_waitcnt lgkmcnt(0)
	v_mul_f64 v[38:39], v[26:27], v[30:31]
	v_mul_f64 v[40:41], v[24:25], v[30:31]
	v_add_f64 v[1:2], v[1:2], v[42:43]
	v_add_f64 v[36:37], v[46:47], v[44:45]
	v_fma_f64 v[42:43], v[20:21], v[9:10], -v[48:49]
	v_fma_f64 v[44:45], v[22:23], v[9:10], v[11:12]
	v_fma_f64 v[24:25], v[24:25], v[28:29], -v[38:39]
	v_fma_f64 v[26:27], v[26:27], v[28:29], v[40:41]
	v_add_f64 v[1:2], v[1:2], v[32:33]
	v_add_f64 v[46:47], v[36:37], v[34:35]
	ds_load_b128 v[9:12], v16 offset:1536
	ds_load_b128 v[20:23], v17 offset:96
	;; [unrolled: 1-line block ×4, first 2 shown]
	s_waitcnt lgkmcnt(2)
	v_mul_f64 v[48:49], v[22:23], v[11:12]
	v_mul_f64 v[11:12], v[20:21], v[11:12]
	s_waitcnt lgkmcnt(0)
	v_mul_f64 v[40:41], v[32:33], v[36:37]
	v_add_f64 v[1:2], v[1:2], v[42:43]
	v_add_f64 v[28:29], v[46:47], v[44:45]
	v_mul_f64 v[42:43], v[30:31], v[36:37]
	v_fma_f64 v[44:45], v[20:21], v[9:10], -v[48:49]
	v_fma_f64 v[46:47], v[22:23], v[9:10], v[11:12]
	v_fma_f64 v[30:31], v[30:31], v[34:35], -v[40:41]
	v_add_f64 v[1:2], v[1:2], v[24:25]
	v_add_f64 v[28:29], v[28:29], v[26:27]
	ds_load_b128 v[9:12], v16 offset:2048
	ds_load_b128 v[20:23], v17 offset:128
	;; [unrolled: 1-line block ×4, first 2 shown]
	v_fma_f64 v[32:33], v[32:33], v[34:35], v[42:43]
	s_waitcnt lgkmcnt(2)
	v_mul_f64 v[48:49], v[22:23], v[11:12]
	v_mul_f64 v[11:12], v[20:21], v[11:12]
	s_waitcnt lgkmcnt(0)
	v_mul_f64 v[40:41], v[26:27], v[38:39]
	v_mul_f64 v[38:39], v[24:25], v[38:39]
	v_add_f64 v[1:2], v[1:2], v[44:45]
	v_add_f64 v[28:29], v[28:29], v[46:47]
	v_fma_f64 v[42:43], v[20:21], v[9:10], -v[48:49]
	v_fma_f64 v[44:45], v[22:23], v[9:10], v[11:12]
	v_fma_f64 v[24:25], v[24:25], v[36:37], -v[40:41]
	v_fma_f64 v[26:27], v[26:27], v[36:37], v[38:39]
	v_add_f64 v[1:2], v[1:2], v[30:31]
	v_add_f64 v[46:47], v[28:29], v[32:33]
	ds_load_b128 v[9:12], v16 offset:2560
	ds_load_b128 v[20:23], v17 offset:160
	;; [unrolled: 1-line block ×4, first 2 shown]
	s_waitcnt lgkmcnt(2)
	v_mul_f64 v[48:49], v[22:23], v[11:12]
	v_mul_f64 v[11:12], v[20:21], v[11:12]
	s_waitcnt lgkmcnt(0)
	v_mul_f64 v[38:39], v[30:31], v[34:35]
	v_mul_f64 v[40:41], v[28:29], v[34:35]
	v_add_f64 v[1:2], v[1:2], v[42:43]
	v_add_f64 v[36:37], v[46:47], v[44:45]
	v_fma_f64 v[42:43], v[20:21], v[9:10], -v[48:49]
	v_fma_f64 v[44:45], v[22:23], v[9:10], v[11:12]
	v_fma_f64 v[28:29], v[28:29], v[32:33], -v[38:39]
	v_fma_f64 v[30:31], v[30:31], v[32:33], v[40:41]
	v_add_f64 v[1:2], v[1:2], v[24:25]
	v_add_f64 v[46:47], v[36:37], v[26:27]
	ds_load_b128 v[9:12], v16 offset:3072
	ds_load_b128 v[20:23], v17 offset:192
	ds_load_b128 v[24:27], v17 offset:208
	ds_load_b128 v[34:37], v16 offset:3328
	s_waitcnt lgkmcnt(2)
	v_mul_f64 v[48:49], v[22:23], v[11:12]
	v_mul_f64 v[11:12], v[20:21], v[11:12]
	s_waitcnt lgkmcnt(0)
	v_mul_f64 v[40:41], v[26:27], v[36:37]
	v_add_f64 v[1:2], v[1:2], v[42:43]
	v_add_f64 v[32:33], v[46:47], v[44:45]
	v_mul_f64 v[42:43], v[24:25], v[36:37]
	v_fma_f64 v[44:45], v[20:21], v[9:10], -v[48:49]
	v_fma_f64 v[46:47], v[22:23], v[9:10], v[11:12]
	v_fma_f64 v[24:25], v[24:25], v[34:35], -v[40:41]
	v_add_f64 v[1:2], v[1:2], v[28:29]
	v_add_f64 v[32:33], v[32:33], v[30:31]
	ds_load_b128 v[9:12], v16 offset:3584
	ds_load_b128 v[20:23], v17 offset:224
	;; [unrolled: 1-line block ×4, first 2 shown]
	v_fma_f64 v[26:27], v[26:27], v[34:35], v[42:43]
	s_waitcnt lgkmcnt(0)
	s_barrier
	buffer_gl0_inv
	v_mul_f64 v[48:49], v[22:23], v[11:12]
	v_mul_f64 v[11:12], v[20:21], v[11:12]
	;; [unrolled: 1-line block ×4, first 2 shown]
	v_add_f64 v[1:2], v[1:2], v[44:45]
	v_add_f64 v[32:33], v[32:33], v[46:47]
	v_fma_f64 v[20:21], v[20:21], v[9:10], -v[48:49]
	v_fma_f64 v[9:10], v[22:23], v[9:10], v[11:12]
	v_fma_f64 v[22:23], v[28:29], v[36:37], -v[34:35]
	v_add_f64 v[1:2], v[1:2], v[24:25]
	v_add_f64 v[11:12], v[32:33], v[26:27]
	v_fma_f64 v[24:25], v[30:31], v[36:37], v[38:39]
	s_delay_alu instid0(VALU_DEP_3) | instskip(NEXT) | instid1(VALU_DEP_3)
	v_add_f64 v[1:2], v[1:2], v[20:21]
	v_add_f64 v[9:10], v[11:12], v[9:10]
	s_delay_alu instid0(VALU_DEP_2) | instskip(NEXT) | instid1(VALU_DEP_2)
	v_add_f64 v[11:12], v[1:2], v[22:23]
	v_add_f64 v[9:10], v[9:10], v[24:25]
	s_cbranch_scc1 .LBB897_11
.LBB897_3:                              ; =>This Inner Loop Header: Depth=1
	v_add_nc_u32_e32 v1, s11, v15
	s_delay_alu instid0(VALU_DEP_1) | instskip(SKIP_1) | instid1(SALU_CYCLE_1)
	v_cmp_le_i32_e32 vcc_lo, s17, v1
	s_or_b32 s10, s3, vcc_lo
	s_and_saveexec_b32 s12, s10
	s_delay_alu instid0(SALU_CYCLE_1)
	s_xor_b32 s10, exec_lo, s12
	s_cbranch_execz .LBB897_5
; %bb.4:                                ;   in Loop: Header=BB897_3 Depth=1
	v_mov_b32_e32 v1, v0
	v_mov_b32_e32 v2, v0
	;; [unrolled: 1-line block ×3, first 2 shown]
	ds_store_b128 v18, v[0:3]
.LBB897_5:                              ;   in Loop: Header=BB897_3 Depth=1
	s_and_not1_saveexec_b32 s10, s10
	s_cbranch_execz .LBB897_7
; %bb.6:                                ;   in Loop: Header=BB897_3 Depth=1
	global_load_b128 v[20:23], v[7:8], off
	s_waitcnt vmcnt(0)
	ds_store_2addr_b64 v18, v[20:21], v[22:23] offset1:1
.LBB897_7:                              ;   in Loop: Header=BB897_3 Depth=1
	s_or_b32 exec_lo, exec_lo, s10
	v_add_nc_u32_e32 v1, s11, v14
	s_delay_alu instid0(VALU_DEP_1) | instskip(SKIP_1) | instid1(SALU_CYCLE_1)
	v_cmp_le_i32_e32 vcc_lo, s17, v1
	s_or_b32 s10, s2, vcc_lo
	s_and_saveexec_b32 s12, s10
	s_delay_alu instid0(SALU_CYCLE_1)
	s_xor_b32 s10, exec_lo, s12
	s_cbranch_execz .LBB897_9
; %bb.8:                                ;   in Loop: Header=BB897_3 Depth=1
	v_mov_b32_e32 v1, v0
	v_mov_b32_e32 v2, v0
	;; [unrolled: 1-line block ×3, first 2 shown]
	ds_store_b128 v19, v[0:3]
.LBB897_9:                              ;   in Loop: Header=BB897_3 Depth=1
	s_and_not1_saveexec_b32 s10, s10
	s_cbranch_execz .LBB897_2
; %bb.10:                               ;   in Loop: Header=BB897_3 Depth=1
	global_load_b128 v[20:23], v[5:6], off
	s_waitcnt vmcnt(0)
	ds_store_2addr_b64 v19, v[20:21], v[22:23] offset1:1
	s_branch .LBB897_2
.LBB897_11:
	v_cmp_le_i32_e32 vcc_lo, v13, v4
	v_cmp_gt_i32_e64 s2, s16, v4
	s_delay_alu instid0(VALU_DEP_1) | instskip(NEXT) | instid1(SALU_CYCLE_1)
	s_and_b32 s2, vcc_lo, s2
	s_and_saveexec_b32 s3, s2
	s_cbranch_execz .LBB897_13
; %bb.12:
	s_waitcnt lgkmcnt(0)
	s_delay_alu instid0(VALU_DEP_3) | instskip(SKIP_3) | instid1(VALU_DEP_1)
	v_mul_f64 v[0:1], s[4:5], v[9:10]
	v_mul_f64 v[2:3], s[6:7], v[9:10]
	s_load_b32 s0, s[0:1], 0x60
	v_ashrrev_i32_e32 v5, 31, v4
	v_lshlrev_b64 v[8:9], 4, v[4:5]
	s_delay_alu instid0(VALU_DEP_4) | instskip(NEXT) | instid1(VALU_DEP_4)
	v_fma_f64 v[6:7], s[6:7], v[11:12], v[0:1]
	v_fma_f64 v[0:1], s[4:5], v[11:12], -v[2:3]
	s_waitcnt lgkmcnt(0)
	v_mad_i64_i32 v[2:3], null, s0, v13, 0
	s_delay_alu instid0(VALU_DEP_1) | instskip(NEXT) | instid1(VALU_DEP_1)
	v_lshlrev_b64 v[2:3], 4, v[2:3]
	v_add_co_u32 v2, vcc_lo, s8, v2
	s_delay_alu instid0(VALU_DEP_2) | instskip(SKIP_1) | instid1(VALU_DEP_3)
	v_add_co_ci_u32_e32 v3, vcc_lo, s9, v3, vcc_lo
	v_cmp_ne_u32_e32 vcc_lo, v4, v13
	v_add_co_u32 v4, s0, v2, v8
	s_delay_alu instid0(VALU_DEP_1)
	v_add_co_ci_u32_e64 v5, s0, v3, v9, s0
	v_dual_cndmask_b32 v3, 0, v7 :: v_dual_cndmask_b32 v2, 0, v6
	global_store_b128 v[4:5], v[0:3], off
.LBB897_13:
	s_nop 0
	s_sendmsg sendmsg(MSG_DEALLOC_VGPRS)
	s_endpgm
	.section	.rodata,"a",@progbits
	.p2align	6, 0x0
	.amdhsa_kernel _ZL32rocblas_syrkx_herkx_small_kernelIi19rocblas_complex_numIdELi16ELb1ELb1ELc84ELc76EKPKS1_KPS1_EviT_T0_PT6_S7_lSA_S7_lS8_PT7_S7_li
		.amdhsa_group_segment_fixed_size 8192
		.amdhsa_private_segment_fixed_size 0
		.amdhsa_kernarg_size 116
		.amdhsa_user_sgpr_count 13
		.amdhsa_user_sgpr_dispatch_ptr 0
		.amdhsa_user_sgpr_queue_ptr 0
		.amdhsa_user_sgpr_kernarg_segment_ptr 1
		.amdhsa_user_sgpr_dispatch_id 0
		.amdhsa_user_sgpr_private_segment_size 0
		.amdhsa_wavefront_size32 1
		.amdhsa_uses_dynamic_stack 0
		.amdhsa_enable_private_segment 0
		.amdhsa_system_sgpr_workgroup_id_x 1
		.amdhsa_system_sgpr_workgroup_id_y 1
		.amdhsa_system_sgpr_workgroup_id_z 1
		.amdhsa_system_sgpr_workgroup_info 0
		.amdhsa_system_vgpr_workitem_id 1
		.amdhsa_next_free_vgpr 50
		.amdhsa_next_free_sgpr 22
		.amdhsa_reserve_vcc 1
		.amdhsa_float_round_mode_32 0
		.amdhsa_float_round_mode_16_64 0
		.amdhsa_float_denorm_mode_32 3
		.amdhsa_float_denorm_mode_16_64 3
		.amdhsa_dx10_clamp 1
		.amdhsa_ieee_mode 1
		.amdhsa_fp16_overflow 0
		.amdhsa_workgroup_processor_mode 1
		.amdhsa_memory_ordered 1
		.amdhsa_forward_progress 0
		.amdhsa_shared_vgpr_count 0
		.amdhsa_exception_fp_ieee_invalid_op 0
		.amdhsa_exception_fp_denorm_src 0
		.amdhsa_exception_fp_ieee_div_zero 0
		.amdhsa_exception_fp_ieee_overflow 0
		.amdhsa_exception_fp_ieee_underflow 0
		.amdhsa_exception_fp_ieee_inexact 0
		.amdhsa_exception_int_div_zero 0
	.end_amdhsa_kernel
	.section	.text._ZL32rocblas_syrkx_herkx_small_kernelIi19rocblas_complex_numIdELi16ELb1ELb1ELc84ELc76EKPKS1_KPS1_EviT_T0_PT6_S7_lSA_S7_lS8_PT7_S7_li,"axG",@progbits,_ZL32rocblas_syrkx_herkx_small_kernelIi19rocblas_complex_numIdELi16ELb1ELb1ELc84ELc76EKPKS1_KPS1_EviT_T0_PT6_S7_lSA_S7_lS8_PT7_S7_li,comdat
.Lfunc_end897:
	.size	_ZL32rocblas_syrkx_herkx_small_kernelIi19rocblas_complex_numIdELi16ELb1ELb1ELc84ELc76EKPKS1_KPS1_EviT_T0_PT6_S7_lSA_S7_lS8_PT7_S7_li, .Lfunc_end897-_ZL32rocblas_syrkx_herkx_small_kernelIi19rocblas_complex_numIdELi16ELb1ELb1ELc84ELc76EKPKS1_KPS1_EviT_T0_PT6_S7_lSA_S7_lS8_PT7_S7_li
                                        ; -- End function
	.section	.AMDGPU.csdata,"",@progbits
; Kernel info:
; codeLenInByte = 1916
; NumSgprs: 24
; NumVgprs: 50
; ScratchSize: 0
; MemoryBound: 0
; FloatMode: 240
; IeeeMode: 1
; LDSByteSize: 8192 bytes/workgroup (compile time only)
; SGPRBlocks: 2
; VGPRBlocks: 6
; NumSGPRsForWavesPerEU: 24
; NumVGPRsForWavesPerEU: 50
; Occupancy: 16
; WaveLimiterHint : 1
; COMPUTE_PGM_RSRC2:SCRATCH_EN: 0
; COMPUTE_PGM_RSRC2:USER_SGPR: 13
; COMPUTE_PGM_RSRC2:TRAP_HANDLER: 0
; COMPUTE_PGM_RSRC2:TGID_X_EN: 1
; COMPUTE_PGM_RSRC2:TGID_Y_EN: 1
; COMPUTE_PGM_RSRC2:TGID_Z_EN: 1
; COMPUTE_PGM_RSRC2:TIDIG_COMP_CNT: 1
	.section	.text._ZL32rocblas_syrkx_herkx_small_kernelIi19rocblas_complex_numIdELi16ELb1ELb1ELc67ELc76EKPKS1_KPS1_EviT_T0_PT6_S7_lSA_S7_lS8_PT7_S7_li,"axG",@progbits,_ZL32rocblas_syrkx_herkx_small_kernelIi19rocblas_complex_numIdELi16ELb1ELb1ELc67ELc76EKPKS1_KPS1_EviT_T0_PT6_S7_lSA_S7_lS8_PT7_S7_li,comdat
	.globl	_ZL32rocblas_syrkx_herkx_small_kernelIi19rocblas_complex_numIdELi16ELb1ELb1ELc67ELc76EKPKS1_KPS1_EviT_T0_PT6_S7_lSA_S7_lS8_PT7_S7_li ; -- Begin function _ZL32rocblas_syrkx_herkx_small_kernelIi19rocblas_complex_numIdELi16ELb1ELb1ELc67ELc76EKPKS1_KPS1_EviT_T0_PT6_S7_lSA_S7_lS8_PT7_S7_li
	.p2align	8
	.type	_ZL32rocblas_syrkx_herkx_small_kernelIi19rocblas_complex_numIdELi16ELb1ELb1ELc67ELc76EKPKS1_KPS1_EviT_T0_PT6_S7_lSA_S7_lS8_PT7_S7_li,@function
_ZL32rocblas_syrkx_herkx_small_kernelIi19rocblas_complex_numIdELi16ELb1ELb1ELc67ELc76EKPKS1_KPS1_EviT_T0_PT6_S7_lSA_S7_lS8_PT7_S7_li: ; @_ZL32rocblas_syrkx_herkx_small_kernelIi19rocblas_complex_numIdELi16ELb1ELb1ELc67ELc76EKPKS1_KPS1_EviT_T0_PT6_S7_lSA_S7_lS8_PT7_S7_li
; %bb.0:
	s_clause 0x1
	s_load_b64 s[2:3], s[0:1], 0x58
	s_load_b64 s[20:21], s[0:1], 0x18
	s_mov_b32 s10, s15
	s_mov_b32 s11, 0
	s_load_b64 s[16:17], s[0:1], 0x0
	s_lshl_b64 s[18:19], s[10:11], 3
	v_dual_mov_b32 v12, 0 :: v_dual_and_b32 v17, 0x3ff, v0
	v_bfe_u32 v18, v0, 10, 10
	v_mov_b32_e32 v13, 0
	s_delay_alu instid0(VALU_DEP_3) | instskip(NEXT) | instid1(VALU_DEP_3)
	v_lshl_add_u32 v5, s13, 4, v17
	v_lshl_add_u32 v16, s14, 4, v18
	s_delay_alu instid0(VALU_DEP_3)
	v_dual_mov_b32 v15, v13 :: v_dual_mov_b32 v14, v12
	s_waitcnt lgkmcnt(0)
	s_add_u32 s2, s2, s18
	s_addc_u32 s3, s3, s19
	s_load_b128 s[4:7], s[0:1], 0x8
	s_load_b64 s[8:9], s[2:3], 0x0
	v_cmp_gt_i32_e32 vcc_lo, s16, v5
	s_cmp_lt_i32 s17, 1
	s_cbranch_scc1 .LBB898_9
; %bb.1:
	s_clause 0x2
	s_load_b64 s[12:13], s[0:1], 0x30
	s_load_b32 s3, s[0:1], 0x20
	s_load_b32 s10, s[0:1], 0x38
	v_dual_mov_b32 v0, 0 :: v_dual_lshlrev_b32 v9, 4, v18
	v_dual_mov_b32 v6, 0 :: v_dual_lshlrev_b32 v19, 4, v17
	;; [unrolled: 1-line block ×3, first 2 shown]
	v_cmp_gt_i32_e64 s2, s16, v16
	s_delay_alu instid0(VALU_DEP_2) | instskip(NEXT) | instid1(VALU_DEP_4)
	v_dual_mov_b32 v13, v7 :: v_dual_add_nc_u32 v20, 0x1000, v8
	v_dual_mov_b32 v12, v6 :: v_dual_add_nc_u32 v21, v19, v8
	s_delay_alu instid0(VALU_DEP_2)
	v_dual_mov_b32 v15, v7 :: v_dual_add_nc_u32 v22, v20, v19
	v_mov_b32_e32 v14, v6
	s_waitcnt lgkmcnt(0)
	s_add_u32 s12, s12, s18
	s_addc_u32 s13, s13, s19
	s_add_u32 s14, s20, s18
	s_addc_u32 s15, s21, s19
	v_mad_i64_i32 v[1:2], null, s3, v5, 0
	s_load_b64 s[14:15], s[14:15], 0x0
	v_mad_i64_i32 v[3:4], null, s10, v16, 0
	s_load_b64 s[12:13], s[12:13], 0x0
	s_delay_alu instid0(VALU_DEP_2) | instskip(NEXT) | instid1(VALU_DEP_2)
	v_lshlrev_b64 v[1:2], 4, v[1:2]
	v_lshlrev_b64 v[3:4], 4, v[3:4]
	s_delay_alu instid0(VALU_DEP_2) | instskip(NEXT) | instid1(VALU_DEP_1)
	v_add_co_u32 v1, s3, v1, v9
	v_add_co_ci_u32_e64 v2, s3, 0, v2, s3
	s_delay_alu instid0(VALU_DEP_3) | instskip(NEXT) | instid1(VALU_DEP_1)
	v_add_co_u32 v3, s3, v3, v19
	v_add_co_ci_u32_e64 v4, s3, 0, v4, s3
	s_waitcnt lgkmcnt(0)
	v_add_co_u32 v1, s3, v1, s14
	s_delay_alu instid0(VALU_DEP_1) | instskip(SKIP_1) | instid1(VALU_DEP_1)
	v_add_co_ci_u32_e64 v2, s3, s15, v2, s3
	v_add_co_u32 v8, s3, s12, v3
	v_add_co_ci_u32_e64 v9, s3, s13, v4, s3
	s_delay_alu instid0(VALU_DEP_4) | instskip(NEXT) | instid1(VALU_DEP_1)
	v_add_co_u32 v10, s3, v1, 8
	v_add_co_ci_u32_e64 v11, s3, 0, v2, s3
	s_xor_b32 s3, s2, -1
	s_branch .LBB898_3
.LBB898_2:                              ;   in Loop: Header=BB898_3 Depth=1
	s_or_b32 exec_lo, exec_lo, s2
	s_waitcnt lgkmcnt(0)
	s_barrier
	buffer_gl0_inv
	ds_load_b128 v[1:4], v19
	ds_load_b128 v[23:26], v20
	ds_load_b128 v[27:30], v20 offset:16
	ds_load_b128 v[31:34], v19 offset:256
	v_add_co_u32 v8, s2, 0x100, v8
	s_delay_alu instid0(VALU_DEP_1) | instskip(SKIP_1) | instid1(VALU_DEP_1)
	v_add_co_ci_u32_e64 v9, s2, 0, v9, s2
	v_add_co_u32 v10, s2, 0x100, v10
	v_add_co_ci_u32_e64 v11, s2, 0, v11, s2
	s_add_i32 s11, s11, 16
	s_delay_alu instid0(SALU_CYCLE_1)
	s_cmp_ge_i32 s11, s17
	s_waitcnt lgkmcnt(2)
	v_mul_f64 v[35:36], v[25:26], v[3:4]
	v_mul_f64 v[3:4], v[23:24], v[3:4]
	s_waitcnt lgkmcnt(0)
	v_mul_f64 v[41:42], v[29:30], v[33:34]
	v_mul_f64 v[43:44], v[27:28], v[33:34]
	s_delay_alu instid0(VALU_DEP_4) | instskip(NEXT) | instid1(VALU_DEP_4)
	v_fma_f64 v[45:46], v[23:24], v[1:2], -v[35:36]
	v_fma_f64 v[47:48], v[25:26], v[1:2], v[3:4]
	ds_load_b128 v[1:4], v19 offset:512
	ds_load_b128 v[23:26], v20 offset:32
	;; [unrolled: 1-line block ×4, first 2 shown]
	v_fma_f64 v[27:28], v[27:28], v[31:32], -v[41:42]
	v_fma_f64 v[29:30], v[29:30], v[31:32], v[43:44]
	s_waitcnt lgkmcnt(2)
	v_mul_f64 v[49:50], v[25:26], v[3:4]
	v_mul_f64 v[3:4], v[23:24], v[3:4]
	s_waitcnt lgkmcnt(0)
	v_mul_f64 v[31:32], v[35:36], v[39:40]
	v_mul_f64 v[39:40], v[33:34], v[39:40]
	v_add_f64 v[14:15], v[14:15], v[45:46]
	v_add_f64 v[12:13], v[12:13], v[47:48]
	v_fma_f64 v[41:42], v[23:24], v[1:2], -v[49:50]
	v_fma_f64 v[43:44], v[25:26], v[1:2], v[3:4]
	v_fma_f64 v[31:32], v[33:34], v[37:38], -v[31:32]
	v_fma_f64 v[33:34], v[35:36], v[37:38], v[39:40]
	v_add_f64 v[45:46], v[14:15], v[27:28]
	v_add_f64 v[47:48], v[12:13], v[29:30]
	ds_load_b128 v[1:4], v19 offset:1024
	ds_load_b128 v[12:15], v20 offset:64
	;; [unrolled: 1-line block ×4, first 2 shown]
	s_waitcnt lgkmcnt(2)
	v_mul_f64 v[49:50], v[14:15], v[3:4]
	v_mul_f64 v[3:4], v[12:13], v[3:4]
	s_waitcnt lgkmcnt(0)
	v_mul_f64 v[39:40], v[25:26], v[29:30]
	v_add_f64 v[35:36], v[45:46], v[41:42]
	v_add_f64 v[37:38], v[47:48], v[43:44]
	v_mul_f64 v[41:42], v[23:24], v[29:30]
	v_fma_f64 v[43:44], v[12:13], v[1:2], -v[49:50]
	v_fma_f64 v[45:46], v[14:15], v[1:2], v[3:4]
	v_fma_f64 v[23:24], v[23:24], v[27:28], -v[39:40]
	v_add_f64 v[47:48], v[35:36], v[31:32]
	v_add_f64 v[37:38], v[37:38], v[33:34]
	ds_load_b128 v[1:4], v19 offset:1536
	ds_load_b128 v[12:15], v20 offset:96
	;; [unrolled: 1-line block ×4, first 2 shown]
	v_fma_f64 v[25:26], v[25:26], v[27:28], v[41:42]
	s_waitcnt lgkmcnt(2)
	v_mul_f64 v[49:50], v[14:15], v[3:4]
	v_mul_f64 v[3:4], v[12:13], v[3:4]
	s_waitcnt lgkmcnt(0)
	v_mul_f64 v[39:40], v[31:32], v[35:36]
	v_mul_f64 v[41:42], v[29:30], v[35:36]
	v_add_f64 v[27:28], v[47:48], v[43:44]
	v_add_f64 v[37:38], v[37:38], v[45:46]
	v_fma_f64 v[43:44], v[12:13], v[1:2], -v[49:50]
	v_fma_f64 v[45:46], v[14:15], v[1:2], v[3:4]
	v_fma_f64 v[29:30], v[29:30], v[33:34], -v[39:40]
	v_fma_f64 v[31:32], v[31:32], v[33:34], v[41:42]
	v_add_f64 v[27:28], v[27:28], v[23:24]
	v_add_f64 v[47:48], v[37:38], v[25:26]
	ds_load_b128 v[1:4], v19 offset:2048
	ds_load_b128 v[12:15], v20 offset:128
	ds_load_b128 v[23:26], v20 offset:144
	ds_load_b128 v[35:38], v19 offset:2304
	s_waitcnt lgkmcnt(2)
	v_mul_f64 v[49:50], v[14:15], v[3:4]
	v_mul_f64 v[3:4], v[12:13], v[3:4]
	s_waitcnt lgkmcnt(0)
	v_mul_f64 v[39:40], v[25:26], v[37:38]
	v_mul_f64 v[37:38], v[23:24], v[37:38]
	v_add_f64 v[27:28], v[27:28], v[43:44]
	v_add_f64 v[33:34], v[47:48], v[45:46]
	v_fma_f64 v[41:42], v[12:13], v[1:2], -v[49:50]
	v_fma_f64 v[43:44], v[14:15], v[1:2], v[3:4]
	v_fma_f64 v[23:24], v[23:24], v[35:36], -v[39:40]
	v_fma_f64 v[25:26], v[25:26], v[35:36], v[37:38]
	v_add_f64 v[45:46], v[27:28], v[29:30]
	v_add_f64 v[47:48], v[33:34], v[31:32]
	ds_load_b128 v[1:4], v19 offset:2560
	ds_load_b128 v[12:15], v20 offset:160
	;; [unrolled: 1-line block ×4, first 2 shown]
	s_waitcnt lgkmcnt(2)
	v_mul_f64 v[49:50], v[14:15], v[3:4]
	v_mul_f64 v[3:4], v[12:13], v[3:4]
	s_waitcnt lgkmcnt(0)
	v_mul_f64 v[39:40], v[29:30], v[33:34]
	v_add_f64 v[35:36], v[45:46], v[41:42]
	v_add_f64 v[37:38], v[47:48], v[43:44]
	v_mul_f64 v[41:42], v[27:28], v[33:34]
	v_fma_f64 v[43:44], v[12:13], v[1:2], -v[49:50]
	v_fma_f64 v[45:46], v[14:15], v[1:2], v[3:4]
	v_fma_f64 v[27:28], v[27:28], v[31:32], -v[39:40]
	v_add_f64 v[47:48], v[35:36], v[23:24]
	v_add_f64 v[37:38], v[37:38], v[25:26]
	ds_load_b128 v[1:4], v19 offset:3072
	ds_load_b128 v[12:15], v20 offset:192
	;; [unrolled: 1-line block ×4, first 2 shown]
	v_fma_f64 v[29:30], v[29:30], v[31:32], v[41:42]
	s_waitcnt lgkmcnt(2)
	v_mul_f64 v[49:50], v[14:15], v[3:4]
	v_mul_f64 v[3:4], v[12:13], v[3:4]
	s_waitcnt lgkmcnt(0)
	v_mul_f64 v[39:40], v[25:26], v[35:36]
	v_mul_f64 v[41:42], v[23:24], v[35:36]
	v_add_f64 v[31:32], v[47:48], v[43:44]
	v_add_f64 v[37:38], v[37:38], v[45:46]
	v_fma_f64 v[43:44], v[12:13], v[1:2], -v[49:50]
	v_fma_f64 v[45:46], v[14:15], v[1:2], v[3:4]
	v_fma_f64 v[23:24], v[23:24], v[33:34], -v[39:40]
	v_fma_f64 v[25:26], v[25:26], v[33:34], v[41:42]
	v_add_f64 v[31:32], v[31:32], v[27:28]
	v_add_f64 v[47:48], v[37:38], v[29:30]
	ds_load_b128 v[1:4], v19 offset:3584
	ds_load_b128 v[12:15], v20 offset:224
	ds_load_b128 v[27:30], v20 offset:240
	ds_load_b128 v[35:38], v19 offset:3840
	s_waitcnt lgkmcnt(0)
	s_barrier
	buffer_gl0_inv
	v_mul_f64 v[49:50], v[14:15], v[3:4]
	v_mul_f64 v[3:4], v[12:13], v[3:4]
	;; [unrolled: 1-line block ×4, first 2 shown]
	v_add_f64 v[31:32], v[31:32], v[43:44]
	v_add_f64 v[33:34], v[47:48], v[45:46]
	v_fma_f64 v[12:13], v[12:13], v[1:2], -v[49:50]
	v_fma_f64 v[1:2], v[14:15], v[1:2], v[3:4]
	s_delay_alu instid0(VALU_DEP_4) | instskip(NEXT) | instid1(VALU_DEP_4)
	v_add_f64 v[3:4], v[31:32], v[23:24]
	v_add_f64 v[14:15], v[33:34], v[25:26]
	v_fma_f64 v[23:24], v[27:28], v[35:36], -v[39:40]
	v_fma_f64 v[25:26], v[29:30], v[35:36], v[37:38]
	s_delay_alu instid0(VALU_DEP_4) | instskip(NEXT) | instid1(VALU_DEP_4)
	v_add_f64 v[3:4], v[3:4], v[12:13]
	v_add_f64 v[1:2], v[14:15], v[1:2]
	s_delay_alu instid0(VALU_DEP_2) | instskip(NEXT) | instid1(VALU_DEP_2)
	v_add_f64 v[14:15], v[3:4], v[23:24]
	v_add_f64 v[12:13], v[1:2], v[25:26]
	s_cbranch_scc1 .LBB898_9
.LBB898_3:                              ; =>This Inner Loop Header: Depth=1
	v_add_nc_u32_e32 v1, s11, v18
	v_dual_mov_b32 v3, v6 :: v_dual_mov_b32 v4, v7
	s_delay_alu instid0(VALU_DEP_2) | instskip(SKIP_1) | instid1(VALU_DEP_2)
	v_cmp_gt_i32_e64 s2, s17, v1
	v_dual_mov_b32 v1, v6 :: v_dual_mov_b32 v2, v7
	s_and_b32 s10, vcc_lo, s2
	s_delay_alu instid0(SALU_CYCLE_1)
	s_and_saveexec_b32 s2, s10
	s_cbranch_execz .LBB898_5
; %bb.4:                                ;   in Loop: Header=BB898_3 Depth=1
	global_load_b128 v[1:4], v[10:11], off offset:-8
	s_waitcnt vmcnt(0)
	v_xor_b32_e32 v4, 0x80000000, v4
.LBB898_5:                              ;   in Loop: Header=BB898_3 Depth=1
	s_or_b32 exec_lo, exec_lo, s2
	v_add_nc_u32_e32 v23, s11, v17
	ds_store_b128 v21, v[1:4]
	v_cmp_le_i32_e64 s2, s17, v23
	s_delay_alu instid0(VALU_DEP_1) | instskip(NEXT) | instid1(SALU_CYCLE_1)
	s_or_b32 s2, s3, s2
	s_and_saveexec_b32 s10, s2
	s_delay_alu instid0(SALU_CYCLE_1)
	s_xor_b32 s2, exec_lo, s10
	s_cbranch_execz .LBB898_7
; %bb.6:                                ;   in Loop: Header=BB898_3 Depth=1
	v_mov_b32_e32 v1, v0
	v_mov_b32_e32 v2, v0
	;; [unrolled: 1-line block ×3, first 2 shown]
	ds_store_b128 v22, v[0:3]
.LBB898_7:                              ;   in Loop: Header=BB898_3 Depth=1
	s_and_not1_saveexec_b32 s2, s2
	s_cbranch_execz .LBB898_2
; %bb.8:                                ;   in Loop: Header=BB898_3 Depth=1
	global_load_b128 v[1:4], v[8:9], off
	s_waitcnt vmcnt(0)
	ds_store_2addr_b64 v22, v[1:2], v[3:4] offset1:1
	s_branch .LBB898_2
.LBB898_9:
	v_cmp_le_i32_e32 vcc_lo, v16, v5
	v_cmp_gt_i32_e64 s2, s16, v5
	s_delay_alu instid0(VALU_DEP_1) | instskip(NEXT) | instid1(SALU_CYCLE_1)
	s_and_b32 s2, vcc_lo, s2
	s_and_saveexec_b32 s3, s2
	s_cbranch_execz .LBB898_11
; %bb.10:
	s_waitcnt lgkmcnt(0)
	s_delay_alu instid0(VALU_DEP_3) | instskip(SKIP_3) | instid1(VALU_DEP_1)
	v_mul_f64 v[0:1], s[4:5], v[12:13]
	v_mul_f64 v[2:3], s[6:7], v[12:13]
	s_load_b32 s0, s[0:1], 0x60
	v_ashrrev_i32_e32 v6, 31, v5
	v_lshlrev_b64 v[9:10], 4, v[5:6]
	s_delay_alu instid0(VALU_DEP_4) | instskip(NEXT) | instid1(VALU_DEP_4)
	v_fma_f64 v[7:8], s[6:7], v[14:15], v[0:1]
	v_fma_f64 v[0:1], s[4:5], v[14:15], -v[2:3]
	s_waitcnt lgkmcnt(0)
	v_mad_i64_i32 v[2:3], null, s0, v16, 0
	s_delay_alu instid0(VALU_DEP_1) | instskip(NEXT) | instid1(VALU_DEP_1)
	v_lshlrev_b64 v[2:3], 4, v[2:3]
	v_add_co_u32 v2, vcc_lo, s8, v2
	s_delay_alu instid0(VALU_DEP_2) | instskip(SKIP_1) | instid1(VALU_DEP_3)
	v_add_co_ci_u32_e32 v3, vcc_lo, s9, v3, vcc_lo
	v_cmp_ne_u32_e32 vcc_lo, v5, v16
	v_add_co_u32 v4, s0, v2, v9
	s_delay_alu instid0(VALU_DEP_1)
	v_add_co_ci_u32_e64 v5, s0, v3, v10, s0
	v_dual_cndmask_b32 v3, 0, v8 :: v_dual_cndmask_b32 v2, 0, v7
	global_store_b128 v[4:5], v[0:3], off
.LBB898_11:
	s_nop 0
	s_sendmsg sendmsg(MSG_DEALLOC_VGPRS)
	s_endpgm
	.section	.rodata,"a",@progbits
	.p2align	6, 0x0
	.amdhsa_kernel _ZL32rocblas_syrkx_herkx_small_kernelIi19rocblas_complex_numIdELi16ELb1ELb1ELc67ELc76EKPKS1_KPS1_EviT_T0_PT6_S7_lSA_S7_lS8_PT7_S7_li
		.amdhsa_group_segment_fixed_size 8192
		.amdhsa_private_segment_fixed_size 0
		.amdhsa_kernarg_size 116
		.amdhsa_user_sgpr_count 13
		.amdhsa_user_sgpr_dispatch_ptr 0
		.amdhsa_user_sgpr_queue_ptr 0
		.amdhsa_user_sgpr_kernarg_segment_ptr 1
		.amdhsa_user_sgpr_dispatch_id 0
		.amdhsa_user_sgpr_private_segment_size 0
		.amdhsa_wavefront_size32 1
		.amdhsa_uses_dynamic_stack 0
		.amdhsa_enable_private_segment 0
		.amdhsa_system_sgpr_workgroup_id_x 1
		.amdhsa_system_sgpr_workgroup_id_y 1
		.amdhsa_system_sgpr_workgroup_id_z 1
		.amdhsa_system_sgpr_workgroup_info 0
		.amdhsa_system_vgpr_workitem_id 1
		.amdhsa_next_free_vgpr 51
		.amdhsa_next_free_sgpr 22
		.amdhsa_reserve_vcc 1
		.amdhsa_float_round_mode_32 0
		.amdhsa_float_round_mode_16_64 0
		.amdhsa_float_denorm_mode_32 3
		.amdhsa_float_denorm_mode_16_64 3
		.amdhsa_dx10_clamp 1
		.amdhsa_ieee_mode 1
		.amdhsa_fp16_overflow 0
		.amdhsa_workgroup_processor_mode 1
		.amdhsa_memory_ordered 1
		.amdhsa_forward_progress 0
		.amdhsa_shared_vgpr_count 0
		.amdhsa_exception_fp_ieee_invalid_op 0
		.amdhsa_exception_fp_denorm_src 0
		.amdhsa_exception_fp_ieee_div_zero 0
		.amdhsa_exception_fp_ieee_overflow 0
		.amdhsa_exception_fp_ieee_underflow 0
		.amdhsa_exception_fp_ieee_inexact 0
		.amdhsa_exception_int_div_zero 0
	.end_amdhsa_kernel
	.section	.text._ZL32rocblas_syrkx_herkx_small_kernelIi19rocblas_complex_numIdELi16ELb1ELb1ELc67ELc76EKPKS1_KPS1_EviT_T0_PT6_S7_lSA_S7_lS8_PT7_S7_li,"axG",@progbits,_ZL32rocblas_syrkx_herkx_small_kernelIi19rocblas_complex_numIdELi16ELb1ELb1ELc67ELc76EKPKS1_KPS1_EviT_T0_PT6_S7_lSA_S7_lS8_PT7_S7_li,comdat
.Lfunc_end898:
	.size	_ZL32rocblas_syrkx_herkx_small_kernelIi19rocblas_complex_numIdELi16ELb1ELb1ELc67ELc76EKPKS1_KPS1_EviT_T0_PT6_S7_lSA_S7_lS8_PT7_S7_li, .Lfunc_end898-_ZL32rocblas_syrkx_herkx_small_kernelIi19rocblas_complex_numIdELi16ELb1ELb1ELc67ELc76EKPKS1_KPS1_EviT_T0_PT6_S7_lSA_S7_lS8_PT7_S7_li
                                        ; -- End function
	.section	.AMDGPU.csdata,"",@progbits
; Kernel info:
; codeLenInByte = 1960
; NumSgprs: 24
; NumVgprs: 51
; ScratchSize: 0
; MemoryBound: 1
; FloatMode: 240
; IeeeMode: 1
; LDSByteSize: 8192 bytes/workgroup (compile time only)
; SGPRBlocks: 2
; VGPRBlocks: 6
; NumSGPRsForWavesPerEU: 24
; NumVGPRsForWavesPerEU: 51
; Occupancy: 16
; WaveLimiterHint : 1
; COMPUTE_PGM_RSRC2:SCRATCH_EN: 0
; COMPUTE_PGM_RSRC2:USER_SGPR: 13
; COMPUTE_PGM_RSRC2:TRAP_HANDLER: 0
; COMPUTE_PGM_RSRC2:TGID_X_EN: 1
; COMPUTE_PGM_RSRC2:TGID_Y_EN: 1
; COMPUTE_PGM_RSRC2:TGID_Z_EN: 1
; COMPUTE_PGM_RSRC2:TIDIG_COMP_CNT: 1
	.section	.text._ZL32rocblas_syrkx_herkx_small_kernelIi19rocblas_complex_numIdELi16ELb1ELb1ELc78ELc76EKPKS1_KPS1_EviT_T0_PT6_S7_lSA_S7_lS8_PT7_S7_li,"axG",@progbits,_ZL32rocblas_syrkx_herkx_small_kernelIi19rocblas_complex_numIdELi16ELb1ELb1ELc78ELc76EKPKS1_KPS1_EviT_T0_PT6_S7_lSA_S7_lS8_PT7_S7_li,comdat
	.globl	_ZL32rocblas_syrkx_herkx_small_kernelIi19rocblas_complex_numIdELi16ELb1ELb1ELc78ELc76EKPKS1_KPS1_EviT_T0_PT6_S7_lSA_S7_lS8_PT7_S7_li ; -- Begin function _ZL32rocblas_syrkx_herkx_small_kernelIi19rocblas_complex_numIdELi16ELb1ELb1ELc78ELc76EKPKS1_KPS1_EviT_T0_PT6_S7_lSA_S7_lS8_PT7_S7_li
	.p2align	8
	.type	_ZL32rocblas_syrkx_herkx_small_kernelIi19rocblas_complex_numIdELi16ELb1ELb1ELc78ELc76EKPKS1_KPS1_EviT_T0_PT6_S7_lSA_S7_lS8_PT7_S7_li,@function
_ZL32rocblas_syrkx_herkx_small_kernelIi19rocblas_complex_numIdELi16ELb1ELb1ELc78ELc76EKPKS1_KPS1_EviT_T0_PT6_S7_lSA_S7_lS8_PT7_S7_li: ; @_ZL32rocblas_syrkx_herkx_small_kernelIi19rocblas_complex_numIdELi16ELb1ELb1ELc78ELc76EKPKS1_KPS1_EviT_T0_PT6_S7_lSA_S7_lS8_PT7_S7_li
; %bb.0:
	s_clause 0x1
	s_load_b64 s[2:3], s[0:1], 0x58
	s_load_b64 s[20:21], s[0:1], 0x18
	s_mov_b32 s10, s15
	s_mov_b32 s11, 0
	s_load_b64 s[16:17], s[0:1], 0x0
	s_lshl_b64 s[18:19], s[10:11], 3
	v_and_b32_e32 v16, 0x3ff, v0
	v_mov_b32_e32 v12, 0
	v_mov_b32_e32 v13, 0
	v_bfe_u32 v17, v0, 10, 10
	s_delay_alu instid0(VALU_DEP_4) | instskip(NEXT) | instid1(VALU_DEP_3)
	v_lshl_add_u32 v5, s13, 4, v16
	v_dual_mov_b32 v15, v13 :: v_dual_mov_b32 v14, v12
	s_delay_alu instid0(VALU_DEP_3) | instskip(NEXT) | instid1(VALU_DEP_3)
	v_lshl_add_u32 v7, s14, 4, v17
	v_ashrrev_i32_e32 v6, 31, v5
	s_waitcnt lgkmcnt(0)
	s_add_u32 s2, s2, s18
	s_addc_u32 s3, s3, s19
	s_load_b128 s[4:7], s[0:1], 0x8
	s_load_b64 s[8:9], s[2:3], 0x0
	v_cmp_gt_i32_e64 s2, s16, v5
	s_cmp_lt_i32 s17, 1
	s_cbranch_scc1 .LBB899_9
; %bb.1:
	s_clause 0x2
	s_load_b32 s14, s[0:1], 0x20
	s_load_b32 s12, s[0:1], 0x38
	s_load_b64 s[22:23], s[0:1], 0x30
	v_ashrrev_i32_e32 v8, 31, v7
	v_lshlrev_b64 v[1:2], 4, v[5:6]
	v_dual_mov_b32 v12, 0 :: v_dual_lshlrev_b32 v11, 8, v17
	v_dual_mov_b32 v13, 0 :: v_dual_lshlrev_b32 v18, 4, v16
	s_delay_alu instid0(VALU_DEP_4) | instskip(NEXT) | instid1(VALU_DEP_3)
	v_lshlrev_b64 v[14:15], 4, v[7:8]
	v_dual_mov_b32 v0, 0 :: v_dual_add_nc_u32 v19, 0x1000, v11
	s_delay_alu instid0(VALU_DEP_3) | instskip(SKIP_1) | instid1(VALU_DEP_3)
	v_add_nc_u32_e32 v20, v18, v11
	v_cmp_gt_i32_e32 vcc_lo, s16, v7
	v_add_nc_u32_e32 v21, v19, v18
	s_waitcnt lgkmcnt(0)
	s_ashr_i32 s15, s14, 31
	s_ashr_i32 s13, s12, 31
	s_add_u32 s22, s22, s18
	s_addc_u32 s23, s23, s19
	v_mad_i64_i32 v[3:4], null, s12, v16, 0
	s_load_b64 s[22:23], s[22:23], 0x0
	s_add_u32 s18, s20, s18
	s_addc_u32 s19, s21, s19
	v_mad_i64_i32 v[9:10], null, s14, v17, 0
	s_load_b64 s[18:19], s[18:19], 0x0
	s_delay_alu instid0(VALU_DEP_2) | instskip(SKIP_2) | instid1(VALU_DEP_2)
	v_lshlrev_b64 v[3:4], 4, v[3:4]
	s_lshl_b64 s[12:13], s[12:13], 8
	s_lshl_b64 s[14:15], s[14:15], 8
	v_lshlrev_b64 v[8:9], 4, v[9:10]
	s_delay_alu instid0(VALU_DEP_2) | instskip(NEXT) | instid1(VALU_DEP_1)
	v_add_co_u32 v3, s3, v3, v14
	v_add_co_ci_u32_e64 v4, s3, v4, v15, s3
	v_dual_mov_b32 v15, v13 :: v_dual_mov_b32 v14, v12
	s_delay_alu instid0(VALU_DEP_4) | instskip(NEXT) | instid1(VALU_DEP_1)
	v_add_co_u32 v1, s3, v8, v1
	v_add_co_ci_u32_e64 v2, s3, v9, v2, s3
	s_waitcnt lgkmcnt(0)
	v_add_co_u32 v3, s3, v3, s22
	s_delay_alu instid0(VALU_DEP_1) | instskip(SKIP_1) | instid1(VALU_DEP_1)
	v_add_co_ci_u32_e64 v4, s3, s23, v4, s3
	v_add_co_u32 v8, s3, s18, v1
	v_add_co_ci_u32_e64 v9, s3, s19, v2, s3
	s_delay_alu instid0(VALU_DEP_4) | instskip(NEXT) | instid1(VALU_DEP_1)
	v_add_co_u32 v10, s3, v3, 8
	v_add_co_ci_u32_e64 v11, s3, 0, v4, s3
	s_xor_b32 s3, s2, -1
	s_branch .LBB899_3
.LBB899_2:                              ;   in Loop: Header=BB899_3 Depth=1
	s_or_b32 exec_lo, exec_lo, s2
	ds_store_b128 v21, v[1:4]
	s_waitcnt lgkmcnt(0)
	s_barrier
	buffer_gl0_inv
	ds_load_b128 v[1:4], v18
	ds_load_b128 v[22:25], v19
	ds_load_b128 v[26:29], v19 offset:16
	ds_load_b128 v[30:33], v18 offset:256
	v_add_co_u32 v10, s2, v10, s12
	s_delay_alu instid0(VALU_DEP_1) | instskip(SKIP_1) | instid1(VALU_DEP_1)
	v_add_co_ci_u32_e64 v11, s2, s13, v11, s2
	v_add_co_u32 v8, s2, v8, s14
	v_add_co_ci_u32_e64 v9, s2, s15, v9, s2
	s_add_i32 s11, s11, 16
	s_delay_alu instid0(SALU_CYCLE_1)
	s_cmp_ge_i32 s11, s17
	s_waitcnt lgkmcnt(2)
	v_mul_f64 v[34:35], v[24:25], v[3:4]
	v_mul_f64 v[3:4], v[22:23], v[3:4]
	s_waitcnt lgkmcnt(0)
	v_mul_f64 v[40:41], v[28:29], v[32:33]
	v_mul_f64 v[42:43], v[26:27], v[32:33]
	s_delay_alu instid0(VALU_DEP_4) | instskip(NEXT) | instid1(VALU_DEP_4)
	v_fma_f64 v[44:45], v[22:23], v[1:2], -v[34:35]
	v_fma_f64 v[46:47], v[24:25], v[1:2], v[3:4]
	ds_load_b128 v[1:4], v18 offset:512
	ds_load_b128 v[22:25], v19 offset:32
	;; [unrolled: 1-line block ×4, first 2 shown]
	v_fma_f64 v[26:27], v[26:27], v[30:31], -v[40:41]
	v_fma_f64 v[28:29], v[28:29], v[30:31], v[42:43]
	s_waitcnt lgkmcnt(2)
	v_mul_f64 v[48:49], v[24:25], v[3:4]
	v_mul_f64 v[3:4], v[22:23], v[3:4]
	s_waitcnt lgkmcnt(0)
	v_mul_f64 v[30:31], v[34:35], v[38:39]
	v_mul_f64 v[38:39], v[32:33], v[38:39]
	v_add_f64 v[14:15], v[14:15], v[44:45]
	v_add_f64 v[12:13], v[12:13], v[46:47]
	v_fma_f64 v[40:41], v[22:23], v[1:2], -v[48:49]
	v_fma_f64 v[42:43], v[24:25], v[1:2], v[3:4]
	v_fma_f64 v[30:31], v[32:33], v[36:37], -v[30:31]
	v_fma_f64 v[32:33], v[34:35], v[36:37], v[38:39]
	v_add_f64 v[44:45], v[14:15], v[26:27]
	v_add_f64 v[46:47], v[12:13], v[28:29]
	ds_load_b128 v[1:4], v18 offset:1024
	ds_load_b128 v[12:15], v19 offset:64
	;; [unrolled: 1-line block ×4, first 2 shown]
	s_waitcnt lgkmcnt(2)
	v_mul_f64 v[48:49], v[14:15], v[3:4]
	v_mul_f64 v[3:4], v[12:13], v[3:4]
	s_waitcnt lgkmcnt(0)
	v_mul_f64 v[38:39], v[24:25], v[28:29]
	v_add_f64 v[34:35], v[44:45], v[40:41]
	v_add_f64 v[36:37], v[46:47], v[42:43]
	v_mul_f64 v[40:41], v[22:23], v[28:29]
	v_fma_f64 v[42:43], v[12:13], v[1:2], -v[48:49]
	v_fma_f64 v[44:45], v[14:15], v[1:2], v[3:4]
	v_fma_f64 v[22:23], v[22:23], v[26:27], -v[38:39]
	v_add_f64 v[46:47], v[34:35], v[30:31]
	v_add_f64 v[36:37], v[36:37], v[32:33]
	ds_load_b128 v[1:4], v18 offset:1536
	ds_load_b128 v[12:15], v19 offset:96
	;; [unrolled: 1-line block ×4, first 2 shown]
	v_fma_f64 v[24:25], v[24:25], v[26:27], v[40:41]
	s_waitcnt lgkmcnt(2)
	v_mul_f64 v[48:49], v[14:15], v[3:4]
	v_mul_f64 v[3:4], v[12:13], v[3:4]
	s_waitcnt lgkmcnt(0)
	v_mul_f64 v[38:39], v[30:31], v[34:35]
	v_mul_f64 v[40:41], v[28:29], v[34:35]
	v_add_f64 v[26:27], v[46:47], v[42:43]
	v_add_f64 v[36:37], v[36:37], v[44:45]
	v_fma_f64 v[42:43], v[12:13], v[1:2], -v[48:49]
	v_fma_f64 v[44:45], v[14:15], v[1:2], v[3:4]
	v_fma_f64 v[28:29], v[28:29], v[32:33], -v[38:39]
	v_fma_f64 v[30:31], v[30:31], v[32:33], v[40:41]
	v_add_f64 v[26:27], v[26:27], v[22:23]
	v_add_f64 v[46:47], v[36:37], v[24:25]
	ds_load_b128 v[1:4], v18 offset:2048
	ds_load_b128 v[12:15], v19 offset:128
	;; [unrolled: 1-line block ×4, first 2 shown]
	s_waitcnt lgkmcnt(2)
	v_mul_f64 v[48:49], v[14:15], v[3:4]
	v_mul_f64 v[3:4], v[12:13], v[3:4]
	s_waitcnt lgkmcnt(0)
	v_mul_f64 v[38:39], v[24:25], v[36:37]
	v_mul_f64 v[36:37], v[22:23], v[36:37]
	v_add_f64 v[26:27], v[26:27], v[42:43]
	v_add_f64 v[32:33], v[46:47], v[44:45]
	v_fma_f64 v[40:41], v[12:13], v[1:2], -v[48:49]
	v_fma_f64 v[42:43], v[14:15], v[1:2], v[3:4]
	v_fma_f64 v[22:23], v[22:23], v[34:35], -v[38:39]
	v_fma_f64 v[24:25], v[24:25], v[34:35], v[36:37]
	v_add_f64 v[44:45], v[26:27], v[28:29]
	v_add_f64 v[46:47], v[32:33], v[30:31]
	ds_load_b128 v[1:4], v18 offset:2560
	ds_load_b128 v[12:15], v19 offset:160
	;; [unrolled: 1-line block ×4, first 2 shown]
	s_waitcnt lgkmcnt(2)
	v_mul_f64 v[48:49], v[14:15], v[3:4]
	v_mul_f64 v[3:4], v[12:13], v[3:4]
	s_waitcnt lgkmcnt(0)
	v_mul_f64 v[38:39], v[28:29], v[32:33]
	v_add_f64 v[34:35], v[44:45], v[40:41]
	v_add_f64 v[36:37], v[46:47], v[42:43]
	v_mul_f64 v[40:41], v[26:27], v[32:33]
	v_fma_f64 v[42:43], v[12:13], v[1:2], -v[48:49]
	v_fma_f64 v[44:45], v[14:15], v[1:2], v[3:4]
	v_fma_f64 v[26:27], v[26:27], v[30:31], -v[38:39]
	v_add_f64 v[46:47], v[34:35], v[22:23]
	v_add_f64 v[36:37], v[36:37], v[24:25]
	ds_load_b128 v[1:4], v18 offset:3072
	ds_load_b128 v[12:15], v19 offset:192
	;; [unrolled: 1-line block ×4, first 2 shown]
	v_fma_f64 v[28:29], v[28:29], v[30:31], v[40:41]
	s_waitcnt lgkmcnt(2)
	v_mul_f64 v[48:49], v[14:15], v[3:4]
	v_mul_f64 v[3:4], v[12:13], v[3:4]
	s_waitcnt lgkmcnt(0)
	v_mul_f64 v[38:39], v[24:25], v[34:35]
	v_mul_f64 v[40:41], v[22:23], v[34:35]
	v_add_f64 v[30:31], v[46:47], v[42:43]
	v_add_f64 v[36:37], v[36:37], v[44:45]
	v_fma_f64 v[42:43], v[12:13], v[1:2], -v[48:49]
	v_fma_f64 v[44:45], v[14:15], v[1:2], v[3:4]
	v_fma_f64 v[22:23], v[22:23], v[32:33], -v[38:39]
	v_fma_f64 v[24:25], v[24:25], v[32:33], v[40:41]
	v_add_f64 v[30:31], v[30:31], v[26:27]
	v_add_f64 v[46:47], v[36:37], v[28:29]
	ds_load_b128 v[1:4], v18 offset:3584
	ds_load_b128 v[12:15], v19 offset:224
	;; [unrolled: 1-line block ×4, first 2 shown]
	s_waitcnt lgkmcnt(0)
	s_barrier
	buffer_gl0_inv
	v_mul_f64 v[48:49], v[14:15], v[3:4]
	v_mul_f64 v[3:4], v[12:13], v[3:4]
	;; [unrolled: 1-line block ×4, first 2 shown]
	v_add_f64 v[30:31], v[30:31], v[42:43]
	v_add_f64 v[32:33], v[46:47], v[44:45]
	v_fma_f64 v[12:13], v[12:13], v[1:2], -v[48:49]
	v_fma_f64 v[1:2], v[14:15], v[1:2], v[3:4]
	s_delay_alu instid0(VALU_DEP_4) | instskip(NEXT) | instid1(VALU_DEP_4)
	v_add_f64 v[3:4], v[30:31], v[22:23]
	v_add_f64 v[14:15], v[32:33], v[24:25]
	v_fma_f64 v[22:23], v[26:27], v[34:35], -v[38:39]
	v_fma_f64 v[24:25], v[28:29], v[34:35], v[36:37]
	s_delay_alu instid0(VALU_DEP_4) | instskip(NEXT) | instid1(VALU_DEP_4)
	v_add_f64 v[3:4], v[3:4], v[12:13]
	v_add_f64 v[1:2], v[14:15], v[1:2]
	s_delay_alu instid0(VALU_DEP_2) | instskip(NEXT) | instid1(VALU_DEP_2)
	v_add_f64 v[14:15], v[3:4], v[22:23]
	v_add_f64 v[12:13], v[1:2], v[24:25]
	s_cbranch_scc1 .LBB899_9
.LBB899_3:                              ; =>This Inner Loop Header: Depth=1
	v_add_nc_u32_e32 v1, s11, v17
	s_delay_alu instid0(VALU_DEP_1) | instskip(NEXT) | instid1(VALU_DEP_1)
	v_cmp_le_i32_e64 s2, s17, v1
	s_or_b32 s2, s3, s2
	s_delay_alu instid0(SALU_CYCLE_1) | instskip(NEXT) | instid1(SALU_CYCLE_1)
	s_and_saveexec_b32 s10, s2
	s_xor_b32 s2, exec_lo, s10
	s_cbranch_execz .LBB899_5
; %bb.4:                                ;   in Loop: Header=BB899_3 Depth=1
	v_mov_b32_e32 v1, v0
	v_mov_b32_e32 v2, v0
	v_mov_b32_e32 v3, v0
	ds_store_b128 v20, v[0:3]
.LBB899_5:                              ;   in Loop: Header=BB899_3 Depth=1
	s_and_not1_saveexec_b32 s2, s2
	s_cbranch_execz .LBB899_7
; %bb.6:                                ;   in Loop: Header=BB899_3 Depth=1
	global_load_b128 v[1:4], v[8:9], off
	s_waitcnt vmcnt(0)
	ds_store_2addr_b64 v20, v[1:2], v[3:4] offset1:1
.LBB899_7:                              ;   in Loop: Header=BB899_3 Depth=1
	s_or_b32 exec_lo, exec_lo, s2
	v_add_nc_u32_e32 v3, s11, v16
	v_mov_b32_e32 v1, 0
	v_mov_b32_e32 v2, 0
	s_delay_alu instid0(VALU_DEP_3) | instskip(NEXT) | instid1(VALU_DEP_2)
	v_cmp_gt_i32_e64 s2, s17, v3
	v_dual_mov_b32 v4, v2 :: v_dual_mov_b32 v3, v1
	s_delay_alu instid0(VALU_DEP_2) | instskip(NEXT) | instid1(SALU_CYCLE_1)
	s_and_b32 s10, vcc_lo, s2
	s_and_saveexec_b32 s2, s10
	s_cbranch_execz .LBB899_2
; %bb.8:                                ;   in Loop: Header=BB899_3 Depth=1
	global_load_b128 v[1:4], v[10:11], off offset:-8
	s_waitcnt vmcnt(0)
	v_xor_b32_e32 v4, 0x80000000, v4
	s_branch .LBB899_2
.LBB899_9:
	v_cmp_le_i32_e32 vcc_lo, v7, v5
	v_cmp_gt_i32_e64 s2, s16, v5
	s_delay_alu instid0(VALU_DEP_1) | instskip(NEXT) | instid1(SALU_CYCLE_1)
	s_and_b32 s2, vcc_lo, s2
	s_and_saveexec_b32 s3, s2
	s_cbranch_execz .LBB899_11
; %bb.10:
	s_waitcnt lgkmcnt(0)
	s_delay_alu instid0(VALU_DEP_3) | instskip(SKIP_3) | instid1(VALU_DEP_3)
	v_mul_f64 v[0:1], s[4:5], v[12:13]
	v_mul_f64 v[2:3], s[6:7], v[12:13]
	s_load_b32 s0, s[0:1], 0x60
	v_lshlrev_b64 v[10:11], 4, v[5:6]
	v_fma_f64 v[8:9], s[6:7], v[14:15], v[0:1]
	s_delay_alu instid0(VALU_DEP_3) | instskip(SKIP_2) | instid1(VALU_DEP_1)
	v_fma_f64 v[0:1], s[4:5], v[14:15], -v[2:3]
	s_waitcnt lgkmcnt(0)
	v_mad_i64_i32 v[2:3], null, s0, v7, 0
	v_lshlrev_b64 v[2:3], 4, v[2:3]
	s_delay_alu instid0(VALU_DEP_1) | instskip(NEXT) | instid1(VALU_DEP_2)
	v_add_co_u32 v2, vcc_lo, s8, v2
	v_add_co_ci_u32_e32 v3, vcc_lo, s9, v3, vcc_lo
	v_cmp_ne_u32_e32 vcc_lo, v5, v7
	s_delay_alu instid0(VALU_DEP_3) | instskip(NEXT) | instid1(VALU_DEP_1)
	v_add_co_u32 v4, s0, v2, v10
	v_add_co_ci_u32_e64 v5, s0, v3, v11, s0
	v_dual_cndmask_b32 v3, 0, v9 :: v_dual_cndmask_b32 v2, 0, v8
	global_store_b128 v[4:5], v[0:3], off
.LBB899_11:
	s_nop 0
	s_sendmsg sendmsg(MSG_DEALLOC_VGPRS)
	s_endpgm
	.section	.rodata,"a",@progbits
	.p2align	6, 0x0
	.amdhsa_kernel _ZL32rocblas_syrkx_herkx_small_kernelIi19rocblas_complex_numIdELi16ELb1ELb1ELc78ELc76EKPKS1_KPS1_EviT_T0_PT6_S7_lSA_S7_lS8_PT7_S7_li
		.amdhsa_group_segment_fixed_size 8192
		.amdhsa_private_segment_fixed_size 0
		.amdhsa_kernarg_size 116
		.amdhsa_user_sgpr_count 13
		.amdhsa_user_sgpr_dispatch_ptr 0
		.amdhsa_user_sgpr_queue_ptr 0
		.amdhsa_user_sgpr_kernarg_segment_ptr 1
		.amdhsa_user_sgpr_dispatch_id 0
		.amdhsa_user_sgpr_private_segment_size 0
		.amdhsa_wavefront_size32 1
		.amdhsa_uses_dynamic_stack 0
		.amdhsa_enable_private_segment 0
		.amdhsa_system_sgpr_workgroup_id_x 1
		.amdhsa_system_sgpr_workgroup_id_y 1
		.amdhsa_system_sgpr_workgroup_id_z 1
		.amdhsa_system_sgpr_workgroup_info 0
		.amdhsa_system_vgpr_workitem_id 1
		.amdhsa_next_free_vgpr 50
		.amdhsa_next_free_sgpr 24
		.amdhsa_reserve_vcc 1
		.amdhsa_float_round_mode_32 0
		.amdhsa_float_round_mode_16_64 0
		.amdhsa_float_denorm_mode_32 3
		.amdhsa_float_denorm_mode_16_64 3
		.amdhsa_dx10_clamp 1
		.amdhsa_ieee_mode 1
		.amdhsa_fp16_overflow 0
		.amdhsa_workgroup_processor_mode 1
		.amdhsa_memory_ordered 1
		.amdhsa_forward_progress 0
		.amdhsa_shared_vgpr_count 0
		.amdhsa_exception_fp_ieee_invalid_op 0
		.amdhsa_exception_fp_denorm_src 0
		.amdhsa_exception_fp_ieee_div_zero 0
		.amdhsa_exception_fp_ieee_overflow 0
		.amdhsa_exception_fp_ieee_underflow 0
		.amdhsa_exception_fp_ieee_inexact 0
		.amdhsa_exception_int_div_zero 0
	.end_amdhsa_kernel
	.section	.text._ZL32rocblas_syrkx_herkx_small_kernelIi19rocblas_complex_numIdELi16ELb1ELb1ELc78ELc76EKPKS1_KPS1_EviT_T0_PT6_S7_lSA_S7_lS8_PT7_S7_li,"axG",@progbits,_ZL32rocblas_syrkx_herkx_small_kernelIi19rocblas_complex_numIdELi16ELb1ELb1ELc78ELc76EKPKS1_KPS1_EviT_T0_PT6_S7_lSA_S7_lS8_PT7_S7_li,comdat
.Lfunc_end899:
	.size	_ZL32rocblas_syrkx_herkx_small_kernelIi19rocblas_complex_numIdELi16ELb1ELb1ELc78ELc76EKPKS1_KPS1_EviT_T0_PT6_S7_lSA_S7_lS8_PT7_S7_li, .Lfunc_end899-_ZL32rocblas_syrkx_herkx_small_kernelIi19rocblas_complex_numIdELi16ELb1ELb1ELc78ELc76EKPKS1_KPS1_EviT_T0_PT6_S7_lSA_S7_lS8_PT7_S7_li
                                        ; -- End function
	.section	.AMDGPU.csdata,"",@progbits
; Kernel info:
; codeLenInByte = 1972
; NumSgprs: 26
; NumVgprs: 50
; ScratchSize: 0
; MemoryBound: 1
; FloatMode: 240
; IeeeMode: 1
; LDSByteSize: 8192 bytes/workgroup (compile time only)
; SGPRBlocks: 3
; VGPRBlocks: 6
; NumSGPRsForWavesPerEU: 26
; NumVGPRsForWavesPerEU: 50
; Occupancy: 16
; WaveLimiterHint : 1
; COMPUTE_PGM_RSRC2:SCRATCH_EN: 0
; COMPUTE_PGM_RSRC2:USER_SGPR: 13
; COMPUTE_PGM_RSRC2:TRAP_HANDLER: 0
; COMPUTE_PGM_RSRC2:TGID_X_EN: 1
; COMPUTE_PGM_RSRC2:TGID_Y_EN: 1
; COMPUTE_PGM_RSRC2:TGID_Z_EN: 1
; COMPUTE_PGM_RSRC2:TIDIG_COMP_CNT: 1
	.section	.text._ZL32rocblas_syrkx_herkx_small_kernelIi19rocblas_complex_numIdELi16ELb1ELb1ELc84ELc85EKPKS1_KPS1_EviT_T0_PT6_S7_lSA_S7_lS8_PT7_S7_li,"axG",@progbits,_ZL32rocblas_syrkx_herkx_small_kernelIi19rocblas_complex_numIdELi16ELb1ELb1ELc84ELc85EKPKS1_KPS1_EviT_T0_PT6_S7_lSA_S7_lS8_PT7_S7_li,comdat
	.globl	_ZL32rocblas_syrkx_herkx_small_kernelIi19rocblas_complex_numIdELi16ELb1ELb1ELc84ELc85EKPKS1_KPS1_EviT_T0_PT6_S7_lSA_S7_lS8_PT7_S7_li ; -- Begin function _ZL32rocblas_syrkx_herkx_small_kernelIi19rocblas_complex_numIdELi16ELb1ELb1ELc84ELc85EKPKS1_KPS1_EviT_T0_PT6_S7_lSA_S7_lS8_PT7_S7_li
	.p2align	8
	.type	_ZL32rocblas_syrkx_herkx_small_kernelIi19rocblas_complex_numIdELi16ELb1ELb1ELc84ELc85EKPKS1_KPS1_EviT_T0_PT6_S7_lSA_S7_lS8_PT7_S7_li,@function
_ZL32rocblas_syrkx_herkx_small_kernelIi19rocblas_complex_numIdELi16ELb1ELb1ELc84ELc85EKPKS1_KPS1_EviT_T0_PT6_S7_lSA_S7_lS8_PT7_S7_li: ; @_ZL32rocblas_syrkx_herkx_small_kernelIi19rocblas_complex_numIdELi16ELb1ELb1ELc84ELc85EKPKS1_KPS1_EviT_T0_PT6_S7_lSA_S7_lS8_PT7_S7_li
; %bb.0:
	s_clause 0x1
	s_load_b64 s[2:3], s[0:1], 0x58
	s_load_b64 s[20:21], s[0:1], 0x18
	s_mov_b32 s10, s15
	s_mov_b32 s11, 0
	s_load_b64 s[16:17], s[0:1], 0x0
	s_lshl_b64 s[18:19], s[10:11], 3
	v_bfe_u32 v14, v0, 10, 10
	v_mov_b32_e32 v9, 0
	v_dual_mov_b32 v10, 0 :: v_dual_and_b32 v15, 0x3ff, v0
	s_delay_alu instid0(VALU_DEP_3) | instskip(NEXT) | instid1(VALU_DEP_2)
	v_lshl_add_u32 v13, s14, 4, v14
	v_lshl_add_u32 v4, s13, 4, v15
	s_delay_alu instid0(VALU_DEP_3)
	v_dual_mov_b32 v12, v10 :: v_dual_mov_b32 v11, v9
	s_waitcnt lgkmcnt(0)
	s_add_u32 s2, s2, s18
	s_addc_u32 s3, s3, s19
	s_load_b128 s[4:7], s[0:1], 0x8
	s_load_b64 s[8:9], s[2:3], 0x0
	v_cmp_gt_i32_e32 vcc_lo, s16, v13
	s_cmp_lt_i32 s17, 1
	s_cbranch_scc1 .LBB900_11
; %bb.1:
	s_clause 0x2
	s_load_b64 s[12:13], s[0:1], 0x30
	s_load_b32 s3, s[0:1], 0x38
	s_load_b32 s10, s[0:1], 0x20
	v_lshlrev_b32_e32 v7, 8, v14
	v_dual_mov_b32 v9, 0 :: v_dual_lshlrev_b32 v16, 4, v15
	v_mov_b32_e32 v10, 0
	v_lshlrev_b32_e32 v8, 4, v14
	s_delay_alu instid0(VALU_DEP_4)
	v_add_nc_u32_e32 v17, 0x1000, v7
	v_cmp_gt_i32_e64 s2, s16, v4
	v_add_nc_u32_e32 v18, v16, v7
	v_dual_mov_b32 v12, v10 :: v_dual_mov_b32 v11, v9
	s_waitcnt lgkmcnt(0)
	s_add_u32 s12, s12, s18
	s_addc_u32 s13, s13, s19
	v_mad_i64_i32 v[0:1], null, s3, v13, 0
	s_load_b64 s[12:13], s[12:13], 0x0
	s_add_u32 s14, s20, s18
	s_addc_u32 s15, s21, s19
	v_mad_i64_i32 v[2:3], null, s10, v4, 0
	s_load_b64 s[14:15], s[14:15], 0x0
	s_delay_alu instid0(VALU_DEP_2) | instskip(SKIP_2) | instid1(VALU_DEP_3)
	v_lshlrev_b64 v[5:6], 4, v[0:1]
	v_dual_mov_b32 v0, 0 :: v_dual_add_nc_u32 v19, v17, v16
	s_xor_b32 s2, s2, -1
	v_lshlrev_b64 v[1:2], 4, v[2:3]
	s_delay_alu instid0(VALU_DEP_3) | instskip(NEXT) | instid1(VALU_DEP_1)
	v_add_co_u32 v3, s3, v5, v16
	v_add_co_ci_u32_e64 v6, s3, 0, v6, s3
	s_delay_alu instid0(VALU_DEP_3) | instskip(NEXT) | instid1(VALU_DEP_1)
	v_add_co_u32 v1, s3, v1, v8
	v_add_co_ci_u32_e64 v2, s3, 0, v2, s3
	s_waitcnt lgkmcnt(0)
	v_add_co_u32 v5, s3, s12, v3
	s_delay_alu instid0(VALU_DEP_1) | instskip(SKIP_1) | instid1(VALU_DEP_1)
	v_add_co_ci_u32_e64 v6, s3, s13, v6, s3
	v_add_co_u32 v7, s3, s14, v1
	v_add_co_ci_u32_e64 v8, s3, s15, v2, s3
	s_xor_b32 s3, vcc_lo, -1
	s_branch .LBB900_3
.LBB900_2:                              ;   in Loop: Header=BB900_3 Depth=1
	s_or_b32 exec_lo, exec_lo, s10
	s_waitcnt lgkmcnt(0)
	s_barrier
	buffer_gl0_inv
	ds_load_b128 v[20:23], v16
	ds_load_b128 v[24:27], v17
	ds_load_b128 v[28:31], v17 offset:16
	ds_load_b128 v[32:35], v16 offset:256
	v_add_co_u32 v5, vcc_lo, 0x100, v5
	v_add_co_ci_u32_e32 v6, vcc_lo, 0, v6, vcc_lo
	v_add_co_u32 v7, vcc_lo, 0x100, v7
	v_add_co_ci_u32_e32 v8, vcc_lo, 0, v8, vcc_lo
	s_add_i32 s11, s11, 16
	s_delay_alu instid0(SALU_CYCLE_1)
	s_cmp_ge_i32 s11, s17
	s_waitcnt lgkmcnt(2)
	v_mul_f64 v[1:2], v[26:27], v[22:23]
	v_mul_f64 v[22:23], v[24:25], v[22:23]
	s_waitcnt lgkmcnt(0)
	v_mul_f64 v[42:43], v[30:31], v[34:35]
	v_mul_f64 v[44:45], v[28:29], v[34:35]
	s_delay_alu instid0(VALU_DEP_4) | instskip(NEXT) | instid1(VALU_DEP_4)
	v_fma_f64 v[1:2], v[24:25], v[20:21], -v[1:2]
	v_fma_f64 v[46:47], v[26:27], v[20:21], v[22:23]
	ds_load_b128 v[20:23], v16 offset:512
	ds_load_b128 v[24:27], v17 offset:32
	ds_load_b128 v[34:37], v17 offset:48
	ds_load_b128 v[38:41], v16 offset:768
	v_fma_f64 v[28:29], v[28:29], v[32:33], -v[42:43]
	v_fma_f64 v[30:31], v[30:31], v[32:33], v[44:45]
	s_waitcnt lgkmcnt(2)
	v_mul_f64 v[48:49], v[26:27], v[22:23]
	v_mul_f64 v[22:23], v[24:25], v[22:23]
	s_waitcnt lgkmcnt(0)
	v_mul_f64 v[32:33], v[36:37], v[40:41]
	v_mul_f64 v[40:41], v[34:35], v[40:41]
	v_add_f64 v[1:2], v[11:12], v[1:2]
	v_add_f64 v[9:10], v[9:10], v[46:47]
	v_fma_f64 v[42:43], v[24:25], v[20:21], -v[48:49]
	v_fma_f64 v[44:45], v[26:27], v[20:21], v[22:23]
	v_fma_f64 v[32:33], v[34:35], v[38:39], -v[32:33]
	v_fma_f64 v[34:35], v[36:37], v[38:39], v[40:41]
	v_add_f64 v[1:2], v[1:2], v[28:29]
	v_add_f64 v[46:47], v[9:10], v[30:31]
	ds_load_b128 v[9:12], v16 offset:1024
	ds_load_b128 v[20:23], v17 offset:64
	;; [unrolled: 1-line block ×4, first 2 shown]
	s_waitcnt lgkmcnt(2)
	v_mul_f64 v[48:49], v[22:23], v[11:12]
	v_mul_f64 v[11:12], v[20:21], v[11:12]
	s_waitcnt lgkmcnt(0)
	v_mul_f64 v[38:39], v[26:27], v[30:31]
	v_mul_f64 v[40:41], v[24:25], v[30:31]
	v_add_f64 v[1:2], v[1:2], v[42:43]
	v_add_f64 v[36:37], v[46:47], v[44:45]
	v_fma_f64 v[42:43], v[20:21], v[9:10], -v[48:49]
	v_fma_f64 v[44:45], v[22:23], v[9:10], v[11:12]
	v_fma_f64 v[24:25], v[24:25], v[28:29], -v[38:39]
	v_fma_f64 v[26:27], v[26:27], v[28:29], v[40:41]
	v_add_f64 v[1:2], v[1:2], v[32:33]
	v_add_f64 v[46:47], v[36:37], v[34:35]
	ds_load_b128 v[9:12], v16 offset:1536
	ds_load_b128 v[20:23], v17 offset:96
	;; [unrolled: 1-line block ×4, first 2 shown]
	s_waitcnt lgkmcnt(2)
	v_mul_f64 v[48:49], v[22:23], v[11:12]
	v_mul_f64 v[11:12], v[20:21], v[11:12]
	s_waitcnt lgkmcnt(0)
	v_mul_f64 v[40:41], v[32:33], v[36:37]
	v_add_f64 v[1:2], v[1:2], v[42:43]
	v_add_f64 v[28:29], v[46:47], v[44:45]
	v_mul_f64 v[42:43], v[30:31], v[36:37]
	v_fma_f64 v[44:45], v[20:21], v[9:10], -v[48:49]
	v_fma_f64 v[46:47], v[22:23], v[9:10], v[11:12]
	v_fma_f64 v[30:31], v[30:31], v[34:35], -v[40:41]
	v_add_f64 v[1:2], v[1:2], v[24:25]
	v_add_f64 v[28:29], v[28:29], v[26:27]
	ds_load_b128 v[9:12], v16 offset:2048
	ds_load_b128 v[20:23], v17 offset:128
	;; [unrolled: 1-line block ×4, first 2 shown]
	v_fma_f64 v[32:33], v[32:33], v[34:35], v[42:43]
	s_waitcnt lgkmcnt(2)
	v_mul_f64 v[48:49], v[22:23], v[11:12]
	v_mul_f64 v[11:12], v[20:21], v[11:12]
	s_waitcnt lgkmcnt(0)
	v_mul_f64 v[40:41], v[26:27], v[38:39]
	v_mul_f64 v[38:39], v[24:25], v[38:39]
	v_add_f64 v[1:2], v[1:2], v[44:45]
	v_add_f64 v[28:29], v[28:29], v[46:47]
	v_fma_f64 v[42:43], v[20:21], v[9:10], -v[48:49]
	v_fma_f64 v[44:45], v[22:23], v[9:10], v[11:12]
	v_fma_f64 v[24:25], v[24:25], v[36:37], -v[40:41]
	v_fma_f64 v[26:27], v[26:27], v[36:37], v[38:39]
	v_add_f64 v[1:2], v[1:2], v[30:31]
	v_add_f64 v[46:47], v[28:29], v[32:33]
	ds_load_b128 v[9:12], v16 offset:2560
	ds_load_b128 v[20:23], v17 offset:160
	ds_load_b128 v[28:31], v17 offset:176
	ds_load_b128 v[32:35], v16 offset:2816
	s_waitcnt lgkmcnt(2)
	v_mul_f64 v[48:49], v[22:23], v[11:12]
	v_mul_f64 v[11:12], v[20:21], v[11:12]
	s_waitcnt lgkmcnt(0)
	v_mul_f64 v[38:39], v[30:31], v[34:35]
	v_mul_f64 v[40:41], v[28:29], v[34:35]
	v_add_f64 v[1:2], v[1:2], v[42:43]
	v_add_f64 v[36:37], v[46:47], v[44:45]
	v_fma_f64 v[42:43], v[20:21], v[9:10], -v[48:49]
	v_fma_f64 v[44:45], v[22:23], v[9:10], v[11:12]
	v_fma_f64 v[28:29], v[28:29], v[32:33], -v[38:39]
	v_fma_f64 v[30:31], v[30:31], v[32:33], v[40:41]
	v_add_f64 v[1:2], v[1:2], v[24:25]
	v_add_f64 v[46:47], v[36:37], v[26:27]
	ds_load_b128 v[9:12], v16 offset:3072
	ds_load_b128 v[20:23], v17 offset:192
	;; [unrolled: 1-line block ×4, first 2 shown]
	s_waitcnt lgkmcnt(2)
	v_mul_f64 v[48:49], v[22:23], v[11:12]
	v_mul_f64 v[11:12], v[20:21], v[11:12]
	s_waitcnt lgkmcnt(0)
	v_mul_f64 v[40:41], v[26:27], v[36:37]
	v_add_f64 v[1:2], v[1:2], v[42:43]
	v_add_f64 v[32:33], v[46:47], v[44:45]
	v_mul_f64 v[42:43], v[24:25], v[36:37]
	v_fma_f64 v[44:45], v[20:21], v[9:10], -v[48:49]
	v_fma_f64 v[46:47], v[22:23], v[9:10], v[11:12]
	v_fma_f64 v[24:25], v[24:25], v[34:35], -v[40:41]
	v_add_f64 v[1:2], v[1:2], v[28:29]
	v_add_f64 v[32:33], v[32:33], v[30:31]
	ds_load_b128 v[9:12], v16 offset:3584
	ds_load_b128 v[20:23], v17 offset:224
	;; [unrolled: 1-line block ×4, first 2 shown]
	v_fma_f64 v[26:27], v[26:27], v[34:35], v[42:43]
	s_waitcnt lgkmcnt(0)
	s_barrier
	buffer_gl0_inv
	v_mul_f64 v[48:49], v[22:23], v[11:12]
	v_mul_f64 v[11:12], v[20:21], v[11:12]
	v_mul_f64 v[34:35], v[30:31], v[38:39]
	v_mul_f64 v[38:39], v[28:29], v[38:39]
	v_add_f64 v[1:2], v[1:2], v[44:45]
	v_add_f64 v[32:33], v[32:33], v[46:47]
	v_fma_f64 v[20:21], v[20:21], v[9:10], -v[48:49]
	v_fma_f64 v[9:10], v[22:23], v[9:10], v[11:12]
	v_fma_f64 v[22:23], v[28:29], v[36:37], -v[34:35]
	v_add_f64 v[1:2], v[1:2], v[24:25]
	v_add_f64 v[11:12], v[32:33], v[26:27]
	v_fma_f64 v[24:25], v[30:31], v[36:37], v[38:39]
	s_delay_alu instid0(VALU_DEP_3) | instskip(NEXT) | instid1(VALU_DEP_3)
	v_add_f64 v[1:2], v[1:2], v[20:21]
	v_add_f64 v[9:10], v[11:12], v[9:10]
	s_delay_alu instid0(VALU_DEP_2) | instskip(NEXT) | instid1(VALU_DEP_2)
	v_add_f64 v[11:12], v[1:2], v[22:23]
	v_add_f64 v[9:10], v[9:10], v[24:25]
	s_cbranch_scc1 .LBB900_11
.LBB900_3:                              ; =>This Inner Loop Header: Depth=1
	v_add_nc_u32_e32 v1, s11, v14
	s_delay_alu instid0(VALU_DEP_1) | instskip(SKIP_1) | instid1(SALU_CYCLE_1)
	v_cmp_le_i32_e32 vcc_lo, s17, v1
	s_or_b32 s10, s2, vcc_lo
	s_and_saveexec_b32 s12, s10
	s_delay_alu instid0(SALU_CYCLE_1)
	s_xor_b32 s10, exec_lo, s12
	s_cbranch_execz .LBB900_5
; %bb.4:                                ;   in Loop: Header=BB900_3 Depth=1
	v_mov_b32_e32 v1, v0
	v_mov_b32_e32 v2, v0
	;; [unrolled: 1-line block ×3, first 2 shown]
	ds_store_b128 v18, v[0:3]
.LBB900_5:                              ;   in Loop: Header=BB900_3 Depth=1
	s_and_not1_saveexec_b32 s10, s10
	s_cbranch_execz .LBB900_7
; %bb.6:                                ;   in Loop: Header=BB900_3 Depth=1
	global_load_b128 v[20:23], v[7:8], off
	s_waitcnt vmcnt(0)
	ds_store_2addr_b64 v18, v[20:21], v[22:23] offset1:1
.LBB900_7:                              ;   in Loop: Header=BB900_3 Depth=1
	s_or_b32 exec_lo, exec_lo, s10
	v_add_nc_u32_e32 v1, s11, v15
	s_delay_alu instid0(VALU_DEP_1) | instskip(SKIP_1) | instid1(SALU_CYCLE_1)
	v_cmp_le_i32_e32 vcc_lo, s17, v1
	s_or_b32 s10, s3, vcc_lo
	s_and_saveexec_b32 s12, s10
	s_delay_alu instid0(SALU_CYCLE_1)
	s_xor_b32 s10, exec_lo, s12
	s_cbranch_execz .LBB900_9
; %bb.8:                                ;   in Loop: Header=BB900_3 Depth=1
	v_mov_b32_e32 v1, v0
	v_mov_b32_e32 v2, v0
	;; [unrolled: 1-line block ×3, first 2 shown]
	ds_store_b128 v19, v[0:3]
.LBB900_9:                              ;   in Loop: Header=BB900_3 Depth=1
	s_and_not1_saveexec_b32 s10, s10
	s_cbranch_execz .LBB900_2
; %bb.10:                               ;   in Loop: Header=BB900_3 Depth=1
	global_load_b128 v[20:23], v[5:6], off
	s_waitcnt vmcnt(0)
	ds_store_2addr_b64 v19, v[20:21], v[22:23] offset1:1
	s_branch .LBB900_2
.LBB900_11:
	v_cmp_le_i32_e32 vcc_lo, v4, v13
	v_cmp_gt_i32_e64 s2, s16, v13
	s_delay_alu instid0(VALU_DEP_1) | instskip(NEXT) | instid1(SALU_CYCLE_1)
	s_and_b32 s2, vcc_lo, s2
	s_and_saveexec_b32 s3, s2
	s_cbranch_execz .LBB900_13
; %bb.12:
	s_waitcnt lgkmcnt(0)
	s_delay_alu instid0(VALU_DEP_3) | instskip(SKIP_3) | instid1(VALU_DEP_1)
	v_mul_f64 v[0:1], s[4:5], v[9:10]
	v_mul_f64 v[2:3], s[6:7], v[9:10]
	s_load_b32 s0, s[0:1], 0x60
	v_ashrrev_i32_e32 v5, 31, v4
	v_lshlrev_b64 v[8:9], 4, v[4:5]
	s_delay_alu instid0(VALU_DEP_4) | instskip(NEXT) | instid1(VALU_DEP_4)
	v_fma_f64 v[6:7], s[6:7], v[11:12], v[0:1]
	v_fma_f64 v[0:1], s[4:5], v[11:12], -v[2:3]
	s_waitcnt lgkmcnt(0)
	v_mad_i64_i32 v[2:3], null, s0, v13, 0
	s_delay_alu instid0(VALU_DEP_1) | instskip(NEXT) | instid1(VALU_DEP_1)
	v_lshlrev_b64 v[2:3], 4, v[2:3]
	v_add_co_u32 v2, vcc_lo, s8, v2
	s_delay_alu instid0(VALU_DEP_2) | instskip(SKIP_1) | instid1(VALU_DEP_3)
	v_add_co_ci_u32_e32 v3, vcc_lo, s9, v3, vcc_lo
	v_cmp_ne_u32_e32 vcc_lo, v4, v13
	v_add_co_u32 v4, s0, v2, v8
	s_delay_alu instid0(VALU_DEP_1)
	v_add_co_ci_u32_e64 v5, s0, v3, v9, s0
	v_dual_cndmask_b32 v3, 0, v7 :: v_dual_cndmask_b32 v2, 0, v6
	global_store_b128 v[4:5], v[0:3], off
.LBB900_13:
	s_nop 0
	s_sendmsg sendmsg(MSG_DEALLOC_VGPRS)
	s_endpgm
	.section	.rodata,"a",@progbits
	.p2align	6, 0x0
	.amdhsa_kernel _ZL32rocblas_syrkx_herkx_small_kernelIi19rocblas_complex_numIdELi16ELb1ELb1ELc84ELc85EKPKS1_KPS1_EviT_T0_PT6_S7_lSA_S7_lS8_PT7_S7_li
		.amdhsa_group_segment_fixed_size 8192
		.amdhsa_private_segment_fixed_size 0
		.amdhsa_kernarg_size 116
		.amdhsa_user_sgpr_count 13
		.amdhsa_user_sgpr_dispatch_ptr 0
		.amdhsa_user_sgpr_queue_ptr 0
		.amdhsa_user_sgpr_kernarg_segment_ptr 1
		.amdhsa_user_sgpr_dispatch_id 0
		.amdhsa_user_sgpr_private_segment_size 0
		.amdhsa_wavefront_size32 1
		.amdhsa_uses_dynamic_stack 0
		.amdhsa_enable_private_segment 0
		.amdhsa_system_sgpr_workgroup_id_x 1
		.amdhsa_system_sgpr_workgroup_id_y 1
		.amdhsa_system_sgpr_workgroup_id_z 1
		.amdhsa_system_sgpr_workgroup_info 0
		.amdhsa_system_vgpr_workitem_id 1
		.amdhsa_next_free_vgpr 50
		.amdhsa_next_free_sgpr 22
		.amdhsa_reserve_vcc 1
		.amdhsa_float_round_mode_32 0
		.amdhsa_float_round_mode_16_64 0
		.amdhsa_float_denorm_mode_32 3
		.amdhsa_float_denorm_mode_16_64 3
		.amdhsa_dx10_clamp 1
		.amdhsa_ieee_mode 1
		.amdhsa_fp16_overflow 0
		.amdhsa_workgroup_processor_mode 1
		.amdhsa_memory_ordered 1
		.amdhsa_forward_progress 0
		.amdhsa_shared_vgpr_count 0
		.amdhsa_exception_fp_ieee_invalid_op 0
		.amdhsa_exception_fp_denorm_src 0
		.amdhsa_exception_fp_ieee_div_zero 0
		.amdhsa_exception_fp_ieee_overflow 0
		.amdhsa_exception_fp_ieee_underflow 0
		.amdhsa_exception_fp_ieee_inexact 0
		.amdhsa_exception_int_div_zero 0
	.end_amdhsa_kernel
	.section	.text._ZL32rocblas_syrkx_herkx_small_kernelIi19rocblas_complex_numIdELi16ELb1ELb1ELc84ELc85EKPKS1_KPS1_EviT_T0_PT6_S7_lSA_S7_lS8_PT7_S7_li,"axG",@progbits,_ZL32rocblas_syrkx_herkx_small_kernelIi19rocblas_complex_numIdELi16ELb1ELb1ELc84ELc85EKPKS1_KPS1_EviT_T0_PT6_S7_lSA_S7_lS8_PT7_S7_li,comdat
.Lfunc_end900:
	.size	_ZL32rocblas_syrkx_herkx_small_kernelIi19rocblas_complex_numIdELi16ELb1ELb1ELc84ELc85EKPKS1_KPS1_EviT_T0_PT6_S7_lSA_S7_lS8_PT7_S7_li, .Lfunc_end900-_ZL32rocblas_syrkx_herkx_small_kernelIi19rocblas_complex_numIdELi16ELb1ELb1ELc84ELc85EKPKS1_KPS1_EviT_T0_PT6_S7_lSA_S7_lS8_PT7_S7_li
                                        ; -- End function
	.section	.AMDGPU.csdata,"",@progbits
; Kernel info:
; codeLenInByte = 1916
; NumSgprs: 24
; NumVgprs: 50
; ScratchSize: 0
; MemoryBound: 0
; FloatMode: 240
; IeeeMode: 1
; LDSByteSize: 8192 bytes/workgroup (compile time only)
; SGPRBlocks: 2
; VGPRBlocks: 6
; NumSGPRsForWavesPerEU: 24
; NumVGPRsForWavesPerEU: 50
; Occupancy: 16
; WaveLimiterHint : 1
; COMPUTE_PGM_RSRC2:SCRATCH_EN: 0
; COMPUTE_PGM_RSRC2:USER_SGPR: 13
; COMPUTE_PGM_RSRC2:TRAP_HANDLER: 0
; COMPUTE_PGM_RSRC2:TGID_X_EN: 1
; COMPUTE_PGM_RSRC2:TGID_Y_EN: 1
; COMPUTE_PGM_RSRC2:TGID_Z_EN: 1
; COMPUTE_PGM_RSRC2:TIDIG_COMP_CNT: 1
	.section	.text._ZL32rocblas_syrkx_herkx_small_kernelIi19rocblas_complex_numIdELi16ELb1ELb1ELc67ELc85EKPKS1_KPS1_EviT_T0_PT6_S7_lSA_S7_lS8_PT7_S7_li,"axG",@progbits,_ZL32rocblas_syrkx_herkx_small_kernelIi19rocblas_complex_numIdELi16ELb1ELb1ELc67ELc85EKPKS1_KPS1_EviT_T0_PT6_S7_lSA_S7_lS8_PT7_S7_li,comdat
	.globl	_ZL32rocblas_syrkx_herkx_small_kernelIi19rocblas_complex_numIdELi16ELb1ELb1ELc67ELc85EKPKS1_KPS1_EviT_T0_PT6_S7_lSA_S7_lS8_PT7_S7_li ; -- Begin function _ZL32rocblas_syrkx_herkx_small_kernelIi19rocblas_complex_numIdELi16ELb1ELb1ELc67ELc85EKPKS1_KPS1_EviT_T0_PT6_S7_lSA_S7_lS8_PT7_S7_li
	.p2align	8
	.type	_ZL32rocblas_syrkx_herkx_small_kernelIi19rocblas_complex_numIdELi16ELb1ELb1ELc67ELc85EKPKS1_KPS1_EviT_T0_PT6_S7_lSA_S7_lS8_PT7_S7_li,@function
_ZL32rocblas_syrkx_herkx_small_kernelIi19rocblas_complex_numIdELi16ELb1ELb1ELc67ELc85EKPKS1_KPS1_EviT_T0_PT6_S7_lSA_S7_lS8_PT7_S7_li: ; @_ZL32rocblas_syrkx_herkx_small_kernelIi19rocblas_complex_numIdELi16ELb1ELb1ELc67ELc85EKPKS1_KPS1_EviT_T0_PT6_S7_lSA_S7_lS8_PT7_S7_li
; %bb.0:
	s_clause 0x1
	s_load_b64 s[2:3], s[0:1], 0x58
	s_load_b64 s[20:21], s[0:1], 0x18
	s_mov_b32 s10, s15
	s_mov_b32 s11, 0
	s_load_b64 s[16:17], s[0:1], 0x0
	s_lshl_b64 s[18:19], s[10:11], 3
	v_bfe_u32 v17, v0, 10, 10
	v_mov_b32_e32 v12, 0
	v_dual_mov_b32 v13, 0 :: v_dual_and_b32 v18, 0x3ff, v0
	s_delay_alu instid0(VALU_DEP_3) | instskip(NEXT) | instid1(VALU_DEP_2)
	v_lshl_add_u32 v16, s14, 4, v17
	v_lshl_add_u32 v5, s13, 4, v18
	s_delay_alu instid0(VALU_DEP_3)
	v_dual_mov_b32 v15, v13 :: v_dual_mov_b32 v14, v12
	s_waitcnt lgkmcnt(0)
	s_add_u32 s2, s2, s18
	s_addc_u32 s3, s3, s19
	s_load_b128 s[4:7], s[0:1], 0x8
	s_load_b64 s[8:9], s[2:3], 0x0
	v_cmp_gt_i32_e64 s2, s16, v16
	s_cmp_lt_i32 s17, 1
	s_cbranch_scc1 .LBB901_9
; %bb.1:
	s_clause 0x2
	s_load_b64 s[12:13], s[0:1], 0x30
	s_load_b32 s3, s[0:1], 0x20
	s_load_b32 s10, s[0:1], 0x38
	v_dual_mov_b32 v0, 0 :: v_dual_lshlrev_b32 v9, 4, v17
	v_dual_mov_b32 v6, 0 :: v_dual_lshlrev_b32 v19, 4, v18
	;; [unrolled: 1-line block ×3, first 2 shown]
	v_cmp_gt_i32_e32 vcc_lo, s16, v5
	s_delay_alu instid0(VALU_DEP_2) | instskip(NEXT) | instid1(VALU_DEP_4)
	v_dual_mov_b32 v13, v7 :: v_dual_add_nc_u32 v20, 0x1000, v8
	v_dual_mov_b32 v12, v6 :: v_dual_add_nc_u32 v21, v19, v8
	s_delay_alu instid0(VALU_DEP_2)
	v_dual_mov_b32 v15, v7 :: v_dual_add_nc_u32 v22, v20, v19
	v_mov_b32_e32 v14, v6
	s_waitcnt lgkmcnt(0)
	s_add_u32 s12, s12, s18
	s_addc_u32 s13, s13, s19
	s_add_u32 s14, s20, s18
	s_addc_u32 s15, s21, s19
	v_mad_i64_i32 v[1:2], null, s3, v5, 0
	s_load_b64 s[14:15], s[14:15], 0x0
	v_mad_i64_i32 v[3:4], null, s10, v16, 0
	s_load_b64 s[12:13], s[12:13], 0x0
	s_delay_alu instid0(VALU_DEP_2) | instskip(NEXT) | instid1(VALU_DEP_2)
	v_lshlrev_b64 v[1:2], 4, v[1:2]
	v_lshlrev_b64 v[3:4], 4, v[3:4]
	s_delay_alu instid0(VALU_DEP_2) | instskip(NEXT) | instid1(VALU_DEP_1)
	v_add_co_u32 v1, s3, v1, v9
	v_add_co_ci_u32_e64 v2, s3, 0, v2, s3
	s_delay_alu instid0(VALU_DEP_3) | instskip(NEXT) | instid1(VALU_DEP_1)
	v_add_co_u32 v3, s3, v3, v19
	v_add_co_ci_u32_e64 v4, s3, 0, v4, s3
	s_waitcnt lgkmcnt(0)
	v_add_co_u32 v1, s3, v1, s14
	s_delay_alu instid0(VALU_DEP_1) | instskip(SKIP_1) | instid1(VALU_DEP_1)
	v_add_co_ci_u32_e64 v2, s3, s15, v2, s3
	v_add_co_u32 v8, s3, s12, v3
	v_add_co_ci_u32_e64 v9, s3, s13, v4, s3
	s_delay_alu instid0(VALU_DEP_4) | instskip(NEXT) | instid1(VALU_DEP_1)
	v_add_co_u32 v10, s3, v1, 8
	v_add_co_ci_u32_e64 v11, s3, 0, v2, s3
	s_xor_b32 s3, s2, -1
	s_branch .LBB901_3
.LBB901_2:                              ;   in Loop: Header=BB901_3 Depth=1
	s_or_b32 exec_lo, exec_lo, s2
	s_waitcnt lgkmcnt(0)
	s_barrier
	buffer_gl0_inv
	ds_load_b128 v[1:4], v19
	ds_load_b128 v[23:26], v20
	ds_load_b128 v[27:30], v20 offset:16
	ds_load_b128 v[31:34], v19 offset:256
	v_add_co_u32 v8, s2, 0x100, v8
	s_delay_alu instid0(VALU_DEP_1) | instskip(SKIP_1) | instid1(VALU_DEP_1)
	v_add_co_ci_u32_e64 v9, s2, 0, v9, s2
	v_add_co_u32 v10, s2, 0x100, v10
	v_add_co_ci_u32_e64 v11, s2, 0, v11, s2
	s_add_i32 s11, s11, 16
	s_delay_alu instid0(SALU_CYCLE_1)
	s_cmp_ge_i32 s11, s17
	s_waitcnt lgkmcnt(2)
	v_mul_f64 v[35:36], v[25:26], v[3:4]
	v_mul_f64 v[3:4], v[23:24], v[3:4]
	s_waitcnt lgkmcnt(0)
	v_mul_f64 v[41:42], v[29:30], v[33:34]
	v_mul_f64 v[43:44], v[27:28], v[33:34]
	s_delay_alu instid0(VALU_DEP_4) | instskip(NEXT) | instid1(VALU_DEP_4)
	v_fma_f64 v[45:46], v[23:24], v[1:2], -v[35:36]
	v_fma_f64 v[47:48], v[25:26], v[1:2], v[3:4]
	ds_load_b128 v[1:4], v19 offset:512
	ds_load_b128 v[23:26], v20 offset:32
	;; [unrolled: 1-line block ×4, first 2 shown]
	v_fma_f64 v[27:28], v[27:28], v[31:32], -v[41:42]
	v_fma_f64 v[29:30], v[29:30], v[31:32], v[43:44]
	s_waitcnt lgkmcnt(2)
	v_mul_f64 v[49:50], v[25:26], v[3:4]
	v_mul_f64 v[3:4], v[23:24], v[3:4]
	s_waitcnt lgkmcnt(0)
	v_mul_f64 v[31:32], v[35:36], v[39:40]
	v_mul_f64 v[39:40], v[33:34], v[39:40]
	v_add_f64 v[14:15], v[14:15], v[45:46]
	v_add_f64 v[12:13], v[12:13], v[47:48]
	v_fma_f64 v[41:42], v[23:24], v[1:2], -v[49:50]
	v_fma_f64 v[43:44], v[25:26], v[1:2], v[3:4]
	v_fma_f64 v[31:32], v[33:34], v[37:38], -v[31:32]
	v_fma_f64 v[33:34], v[35:36], v[37:38], v[39:40]
	v_add_f64 v[45:46], v[14:15], v[27:28]
	v_add_f64 v[47:48], v[12:13], v[29:30]
	ds_load_b128 v[1:4], v19 offset:1024
	ds_load_b128 v[12:15], v20 offset:64
	;; [unrolled: 1-line block ×4, first 2 shown]
	s_waitcnt lgkmcnt(2)
	v_mul_f64 v[49:50], v[14:15], v[3:4]
	v_mul_f64 v[3:4], v[12:13], v[3:4]
	s_waitcnt lgkmcnt(0)
	v_mul_f64 v[39:40], v[25:26], v[29:30]
	v_add_f64 v[35:36], v[45:46], v[41:42]
	v_add_f64 v[37:38], v[47:48], v[43:44]
	v_mul_f64 v[41:42], v[23:24], v[29:30]
	v_fma_f64 v[43:44], v[12:13], v[1:2], -v[49:50]
	v_fma_f64 v[45:46], v[14:15], v[1:2], v[3:4]
	v_fma_f64 v[23:24], v[23:24], v[27:28], -v[39:40]
	v_add_f64 v[47:48], v[35:36], v[31:32]
	v_add_f64 v[37:38], v[37:38], v[33:34]
	ds_load_b128 v[1:4], v19 offset:1536
	ds_load_b128 v[12:15], v20 offset:96
	;; [unrolled: 1-line block ×4, first 2 shown]
	v_fma_f64 v[25:26], v[25:26], v[27:28], v[41:42]
	s_waitcnt lgkmcnt(2)
	v_mul_f64 v[49:50], v[14:15], v[3:4]
	v_mul_f64 v[3:4], v[12:13], v[3:4]
	s_waitcnt lgkmcnt(0)
	v_mul_f64 v[39:40], v[31:32], v[35:36]
	v_mul_f64 v[41:42], v[29:30], v[35:36]
	v_add_f64 v[27:28], v[47:48], v[43:44]
	v_add_f64 v[37:38], v[37:38], v[45:46]
	v_fma_f64 v[43:44], v[12:13], v[1:2], -v[49:50]
	v_fma_f64 v[45:46], v[14:15], v[1:2], v[3:4]
	v_fma_f64 v[29:30], v[29:30], v[33:34], -v[39:40]
	v_fma_f64 v[31:32], v[31:32], v[33:34], v[41:42]
	v_add_f64 v[27:28], v[27:28], v[23:24]
	v_add_f64 v[47:48], v[37:38], v[25:26]
	ds_load_b128 v[1:4], v19 offset:2048
	ds_load_b128 v[12:15], v20 offset:128
	;; [unrolled: 1-line block ×4, first 2 shown]
	s_waitcnt lgkmcnt(2)
	v_mul_f64 v[49:50], v[14:15], v[3:4]
	v_mul_f64 v[3:4], v[12:13], v[3:4]
	s_waitcnt lgkmcnt(0)
	v_mul_f64 v[39:40], v[25:26], v[37:38]
	v_mul_f64 v[37:38], v[23:24], v[37:38]
	v_add_f64 v[27:28], v[27:28], v[43:44]
	v_add_f64 v[33:34], v[47:48], v[45:46]
	v_fma_f64 v[41:42], v[12:13], v[1:2], -v[49:50]
	v_fma_f64 v[43:44], v[14:15], v[1:2], v[3:4]
	v_fma_f64 v[23:24], v[23:24], v[35:36], -v[39:40]
	v_fma_f64 v[25:26], v[25:26], v[35:36], v[37:38]
	v_add_f64 v[45:46], v[27:28], v[29:30]
	v_add_f64 v[47:48], v[33:34], v[31:32]
	ds_load_b128 v[1:4], v19 offset:2560
	ds_load_b128 v[12:15], v20 offset:160
	;; [unrolled: 1-line block ×4, first 2 shown]
	s_waitcnt lgkmcnt(2)
	v_mul_f64 v[49:50], v[14:15], v[3:4]
	v_mul_f64 v[3:4], v[12:13], v[3:4]
	s_waitcnt lgkmcnt(0)
	v_mul_f64 v[39:40], v[29:30], v[33:34]
	v_add_f64 v[35:36], v[45:46], v[41:42]
	v_add_f64 v[37:38], v[47:48], v[43:44]
	v_mul_f64 v[41:42], v[27:28], v[33:34]
	v_fma_f64 v[43:44], v[12:13], v[1:2], -v[49:50]
	v_fma_f64 v[45:46], v[14:15], v[1:2], v[3:4]
	v_fma_f64 v[27:28], v[27:28], v[31:32], -v[39:40]
	v_add_f64 v[47:48], v[35:36], v[23:24]
	v_add_f64 v[37:38], v[37:38], v[25:26]
	ds_load_b128 v[1:4], v19 offset:3072
	ds_load_b128 v[12:15], v20 offset:192
	;; [unrolled: 1-line block ×4, first 2 shown]
	v_fma_f64 v[29:30], v[29:30], v[31:32], v[41:42]
	s_waitcnt lgkmcnt(2)
	v_mul_f64 v[49:50], v[14:15], v[3:4]
	v_mul_f64 v[3:4], v[12:13], v[3:4]
	s_waitcnt lgkmcnt(0)
	v_mul_f64 v[39:40], v[25:26], v[35:36]
	v_mul_f64 v[41:42], v[23:24], v[35:36]
	v_add_f64 v[31:32], v[47:48], v[43:44]
	v_add_f64 v[37:38], v[37:38], v[45:46]
	v_fma_f64 v[43:44], v[12:13], v[1:2], -v[49:50]
	v_fma_f64 v[45:46], v[14:15], v[1:2], v[3:4]
	v_fma_f64 v[23:24], v[23:24], v[33:34], -v[39:40]
	v_fma_f64 v[25:26], v[25:26], v[33:34], v[41:42]
	v_add_f64 v[31:32], v[31:32], v[27:28]
	v_add_f64 v[47:48], v[37:38], v[29:30]
	ds_load_b128 v[1:4], v19 offset:3584
	ds_load_b128 v[12:15], v20 offset:224
	;; [unrolled: 1-line block ×4, first 2 shown]
	s_waitcnt lgkmcnt(0)
	s_barrier
	buffer_gl0_inv
	v_mul_f64 v[49:50], v[14:15], v[3:4]
	v_mul_f64 v[3:4], v[12:13], v[3:4]
	;; [unrolled: 1-line block ×4, first 2 shown]
	v_add_f64 v[31:32], v[31:32], v[43:44]
	v_add_f64 v[33:34], v[47:48], v[45:46]
	v_fma_f64 v[12:13], v[12:13], v[1:2], -v[49:50]
	v_fma_f64 v[1:2], v[14:15], v[1:2], v[3:4]
	s_delay_alu instid0(VALU_DEP_4) | instskip(NEXT) | instid1(VALU_DEP_4)
	v_add_f64 v[3:4], v[31:32], v[23:24]
	v_add_f64 v[14:15], v[33:34], v[25:26]
	v_fma_f64 v[23:24], v[27:28], v[35:36], -v[39:40]
	v_fma_f64 v[25:26], v[29:30], v[35:36], v[37:38]
	s_delay_alu instid0(VALU_DEP_4) | instskip(NEXT) | instid1(VALU_DEP_4)
	v_add_f64 v[3:4], v[3:4], v[12:13]
	v_add_f64 v[1:2], v[14:15], v[1:2]
	s_delay_alu instid0(VALU_DEP_2) | instskip(NEXT) | instid1(VALU_DEP_2)
	v_add_f64 v[14:15], v[3:4], v[23:24]
	v_add_f64 v[12:13], v[1:2], v[25:26]
	s_cbranch_scc1 .LBB901_9
.LBB901_3:                              ; =>This Inner Loop Header: Depth=1
	v_add_nc_u32_e32 v1, s11, v17
	v_dual_mov_b32 v3, v6 :: v_dual_mov_b32 v4, v7
	s_delay_alu instid0(VALU_DEP_2) | instskip(SKIP_1) | instid1(VALU_DEP_2)
	v_cmp_gt_i32_e64 s2, s17, v1
	v_dual_mov_b32 v1, v6 :: v_dual_mov_b32 v2, v7
	s_and_b32 s10, vcc_lo, s2
	s_delay_alu instid0(SALU_CYCLE_1)
	s_and_saveexec_b32 s2, s10
	s_cbranch_execz .LBB901_5
; %bb.4:                                ;   in Loop: Header=BB901_3 Depth=1
	global_load_b128 v[1:4], v[10:11], off offset:-8
	s_waitcnt vmcnt(0)
	v_xor_b32_e32 v4, 0x80000000, v4
.LBB901_5:                              ;   in Loop: Header=BB901_3 Depth=1
	s_or_b32 exec_lo, exec_lo, s2
	v_add_nc_u32_e32 v23, s11, v18
	ds_store_b128 v21, v[1:4]
	v_cmp_le_i32_e64 s2, s17, v23
	s_delay_alu instid0(VALU_DEP_1) | instskip(NEXT) | instid1(SALU_CYCLE_1)
	s_or_b32 s2, s3, s2
	s_and_saveexec_b32 s10, s2
	s_delay_alu instid0(SALU_CYCLE_1)
	s_xor_b32 s2, exec_lo, s10
	s_cbranch_execz .LBB901_7
; %bb.6:                                ;   in Loop: Header=BB901_3 Depth=1
	v_mov_b32_e32 v1, v0
	v_mov_b32_e32 v2, v0
	;; [unrolled: 1-line block ×3, first 2 shown]
	ds_store_b128 v22, v[0:3]
.LBB901_7:                              ;   in Loop: Header=BB901_3 Depth=1
	s_and_not1_saveexec_b32 s2, s2
	s_cbranch_execz .LBB901_2
; %bb.8:                                ;   in Loop: Header=BB901_3 Depth=1
	global_load_b128 v[1:4], v[8:9], off
	s_waitcnt vmcnt(0)
	ds_store_2addr_b64 v22, v[1:2], v[3:4] offset1:1
	s_branch .LBB901_2
.LBB901_9:
	v_cmp_le_i32_e32 vcc_lo, v5, v16
	v_cmp_gt_i32_e64 s2, s16, v16
	s_delay_alu instid0(VALU_DEP_1) | instskip(NEXT) | instid1(SALU_CYCLE_1)
	s_and_b32 s2, vcc_lo, s2
	s_and_saveexec_b32 s3, s2
	s_cbranch_execz .LBB901_11
; %bb.10:
	s_waitcnt lgkmcnt(0)
	s_delay_alu instid0(VALU_DEP_3) | instskip(SKIP_3) | instid1(VALU_DEP_1)
	v_mul_f64 v[0:1], s[4:5], v[12:13]
	v_mul_f64 v[2:3], s[6:7], v[12:13]
	s_load_b32 s0, s[0:1], 0x60
	v_ashrrev_i32_e32 v6, 31, v5
	v_lshlrev_b64 v[9:10], 4, v[5:6]
	s_delay_alu instid0(VALU_DEP_4) | instskip(NEXT) | instid1(VALU_DEP_4)
	v_fma_f64 v[7:8], s[6:7], v[14:15], v[0:1]
	v_fma_f64 v[0:1], s[4:5], v[14:15], -v[2:3]
	s_waitcnt lgkmcnt(0)
	v_mad_i64_i32 v[2:3], null, s0, v16, 0
	s_delay_alu instid0(VALU_DEP_1) | instskip(NEXT) | instid1(VALU_DEP_1)
	v_lshlrev_b64 v[2:3], 4, v[2:3]
	v_add_co_u32 v2, vcc_lo, s8, v2
	s_delay_alu instid0(VALU_DEP_2) | instskip(SKIP_1) | instid1(VALU_DEP_3)
	v_add_co_ci_u32_e32 v3, vcc_lo, s9, v3, vcc_lo
	v_cmp_ne_u32_e32 vcc_lo, v5, v16
	v_add_co_u32 v4, s0, v2, v9
	s_delay_alu instid0(VALU_DEP_1)
	v_add_co_ci_u32_e64 v5, s0, v3, v10, s0
	v_dual_cndmask_b32 v3, 0, v8 :: v_dual_cndmask_b32 v2, 0, v7
	global_store_b128 v[4:5], v[0:3], off
.LBB901_11:
	s_nop 0
	s_sendmsg sendmsg(MSG_DEALLOC_VGPRS)
	s_endpgm
	.section	.rodata,"a",@progbits
	.p2align	6, 0x0
	.amdhsa_kernel _ZL32rocblas_syrkx_herkx_small_kernelIi19rocblas_complex_numIdELi16ELb1ELb1ELc67ELc85EKPKS1_KPS1_EviT_T0_PT6_S7_lSA_S7_lS8_PT7_S7_li
		.amdhsa_group_segment_fixed_size 8192
		.amdhsa_private_segment_fixed_size 0
		.amdhsa_kernarg_size 116
		.amdhsa_user_sgpr_count 13
		.amdhsa_user_sgpr_dispatch_ptr 0
		.amdhsa_user_sgpr_queue_ptr 0
		.amdhsa_user_sgpr_kernarg_segment_ptr 1
		.amdhsa_user_sgpr_dispatch_id 0
		.amdhsa_user_sgpr_private_segment_size 0
		.amdhsa_wavefront_size32 1
		.amdhsa_uses_dynamic_stack 0
		.amdhsa_enable_private_segment 0
		.amdhsa_system_sgpr_workgroup_id_x 1
		.amdhsa_system_sgpr_workgroup_id_y 1
		.amdhsa_system_sgpr_workgroup_id_z 1
		.amdhsa_system_sgpr_workgroup_info 0
		.amdhsa_system_vgpr_workitem_id 1
		.amdhsa_next_free_vgpr 51
		.amdhsa_next_free_sgpr 22
		.amdhsa_reserve_vcc 1
		.amdhsa_float_round_mode_32 0
		.amdhsa_float_round_mode_16_64 0
		.amdhsa_float_denorm_mode_32 3
		.amdhsa_float_denorm_mode_16_64 3
		.amdhsa_dx10_clamp 1
		.amdhsa_ieee_mode 1
		.amdhsa_fp16_overflow 0
		.amdhsa_workgroup_processor_mode 1
		.amdhsa_memory_ordered 1
		.amdhsa_forward_progress 0
		.amdhsa_shared_vgpr_count 0
		.amdhsa_exception_fp_ieee_invalid_op 0
		.amdhsa_exception_fp_denorm_src 0
		.amdhsa_exception_fp_ieee_div_zero 0
		.amdhsa_exception_fp_ieee_overflow 0
		.amdhsa_exception_fp_ieee_underflow 0
		.amdhsa_exception_fp_ieee_inexact 0
		.amdhsa_exception_int_div_zero 0
	.end_amdhsa_kernel
	.section	.text._ZL32rocblas_syrkx_herkx_small_kernelIi19rocblas_complex_numIdELi16ELb1ELb1ELc67ELc85EKPKS1_KPS1_EviT_T0_PT6_S7_lSA_S7_lS8_PT7_S7_li,"axG",@progbits,_ZL32rocblas_syrkx_herkx_small_kernelIi19rocblas_complex_numIdELi16ELb1ELb1ELc67ELc85EKPKS1_KPS1_EviT_T0_PT6_S7_lSA_S7_lS8_PT7_S7_li,comdat
.Lfunc_end901:
	.size	_ZL32rocblas_syrkx_herkx_small_kernelIi19rocblas_complex_numIdELi16ELb1ELb1ELc67ELc85EKPKS1_KPS1_EviT_T0_PT6_S7_lSA_S7_lS8_PT7_S7_li, .Lfunc_end901-_ZL32rocblas_syrkx_herkx_small_kernelIi19rocblas_complex_numIdELi16ELb1ELb1ELc67ELc85EKPKS1_KPS1_EviT_T0_PT6_S7_lSA_S7_lS8_PT7_S7_li
                                        ; -- End function
	.section	.AMDGPU.csdata,"",@progbits
; Kernel info:
; codeLenInByte = 1960
; NumSgprs: 24
; NumVgprs: 51
; ScratchSize: 0
; MemoryBound: 1
; FloatMode: 240
; IeeeMode: 1
; LDSByteSize: 8192 bytes/workgroup (compile time only)
; SGPRBlocks: 2
; VGPRBlocks: 6
; NumSGPRsForWavesPerEU: 24
; NumVGPRsForWavesPerEU: 51
; Occupancy: 16
; WaveLimiterHint : 1
; COMPUTE_PGM_RSRC2:SCRATCH_EN: 0
; COMPUTE_PGM_RSRC2:USER_SGPR: 13
; COMPUTE_PGM_RSRC2:TRAP_HANDLER: 0
; COMPUTE_PGM_RSRC2:TGID_X_EN: 1
; COMPUTE_PGM_RSRC2:TGID_Y_EN: 1
; COMPUTE_PGM_RSRC2:TGID_Z_EN: 1
; COMPUTE_PGM_RSRC2:TIDIG_COMP_CNT: 1
	.section	.text._ZL32rocblas_syrkx_herkx_small_kernelIi19rocblas_complex_numIdELi16ELb1ELb1ELc78ELc85EKPKS1_KPS1_EviT_T0_PT6_S7_lSA_S7_lS8_PT7_S7_li,"axG",@progbits,_ZL32rocblas_syrkx_herkx_small_kernelIi19rocblas_complex_numIdELi16ELb1ELb1ELc78ELc85EKPKS1_KPS1_EviT_T0_PT6_S7_lSA_S7_lS8_PT7_S7_li,comdat
	.globl	_ZL32rocblas_syrkx_herkx_small_kernelIi19rocblas_complex_numIdELi16ELb1ELb1ELc78ELc85EKPKS1_KPS1_EviT_T0_PT6_S7_lSA_S7_lS8_PT7_S7_li ; -- Begin function _ZL32rocblas_syrkx_herkx_small_kernelIi19rocblas_complex_numIdELi16ELb1ELb1ELc78ELc85EKPKS1_KPS1_EviT_T0_PT6_S7_lSA_S7_lS8_PT7_S7_li
	.p2align	8
	.type	_ZL32rocblas_syrkx_herkx_small_kernelIi19rocblas_complex_numIdELi16ELb1ELb1ELc78ELc85EKPKS1_KPS1_EviT_T0_PT6_S7_lSA_S7_lS8_PT7_S7_li,@function
_ZL32rocblas_syrkx_herkx_small_kernelIi19rocblas_complex_numIdELi16ELb1ELb1ELc78ELc85EKPKS1_KPS1_EviT_T0_PT6_S7_lSA_S7_lS8_PT7_S7_li: ; @_ZL32rocblas_syrkx_herkx_small_kernelIi19rocblas_complex_numIdELi16ELb1ELb1ELc78ELc85EKPKS1_KPS1_EviT_T0_PT6_S7_lSA_S7_lS8_PT7_S7_li
; %bb.0:
	s_clause 0x1
	s_load_b64 s[2:3], s[0:1], 0x58
	s_load_b64 s[20:21], s[0:1], 0x18
	s_mov_b32 s10, s15
	s_mov_b32 s11, 0
	s_load_b64 s[16:17], s[0:1], 0x0
	s_lshl_b64 s[18:19], s[10:11], 3
	v_and_b32_e32 v16, 0x3ff, v0
	v_bfe_u32 v17, v0, 10, 10
	v_mov_b32_e32 v12, 0
	v_mov_b32_e32 v13, 0
	s_delay_alu instid0(VALU_DEP_4) | instskip(NEXT) | instid1(VALU_DEP_4)
	v_lshl_add_u32 v5, s13, 4, v16
	v_lshl_add_u32 v7, s14, 4, v17
	s_delay_alu instid0(VALU_DEP_3) | instskip(NEXT) | instid1(VALU_DEP_3)
	v_dual_mov_b32 v15, v13 :: v_dual_mov_b32 v14, v12
	v_ashrrev_i32_e32 v6, 31, v5
	s_waitcnt lgkmcnt(0)
	s_add_u32 s2, s2, s18
	s_addc_u32 s3, s3, s19
	s_load_b128 s[4:7], s[0:1], 0x8
	s_load_b64 s[8:9], s[2:3], 0x0
	v_cmp_gt_i32_e32 vcc_lo, s16, v7
	s_cmp_lt_i32 s17, 1
	s_cbranch_scc1 .LBB902_9
; %bb.1:
	s_clause 0x2
	s_load_b32 s14, s[0:1], 0x20
	s_load_b32 s12, s[0:1], 0x38
	s_load_b64 s[22:23], s[0:1], 0x30
	v_ashrrev_i32_e32 v8, 31, v7
	v_lshlrev_b64 v[1:2], 4, v[5:6]
	v_dual_mov_b32 v12, 0 :: v_dual_lshlrev_b32 v11, 8, v17
	v_dual_mov_b32 v13, 0 :: v_dual_lshlrev_b32 v18, 4, v16
	s_delay_alu instid0(VALU_DEP_4) | instskip(NEXT) | instid1(VALU_DEP_3)
	v_lshlrev_b64 v[14:15], 4, v[7:8]
	v_dual_mov_b32 v0, 0 :: v_dual_add_nc_u32 v19, 0x1000, v11
	v_cmp_gt_i32_e64 s2, s16, v5
	s_delay_alu instid0(VALU_DEP_4) | instskip(NEXT) | instid1(VALU_DEP_3)
	v_add_nc_u32_e32 v20, v18, v11
	v_add_nc_u32_e32 v21, v19, v18
	s_waitcnt lgkmcnt(0)
	s_ashr_i32 s15, s14, 31
	s_ashr_i32 s13, s12, 31
	s_add_u32 s22, s22, s18
	s_addc_u32 s23, s23, s19
	v_mad_i64_i32 v[3:4], null, s12, v16, 0
	s_load_b64 s[22:23], s[22:23], 0x0
	s_add_u32 s18, s20, s18
	s_addc_u32 s19, s21, s19
	v_mad_i64_i32 v[9:10], null, s14, v17, 0
	s_load_b64 s[18:19], s[18:19], 0x0
	s_delay_alu instid0(VALU_DEP_2) | instskip(SKIP_2) | instid1(VALU_DEP_2)
	v_lshlrev_b64 v[3:4], 4, v[3:4]
	s_lshl_b64 s[12:13], s[12:13], 8
	s_lshl_b64 s[14:15], s[14:15], 8
	v_lshlrev_b64 v[8:9], 4, v[9:10]
	s_delay_alu instid0(VALU_DEP_2) | instskip(NEXT) | instid1(VALU_DEP_1)
	v_add_co_u32 v3, s3, v3, v14
	v_add_co_ci_u32_e64 v4, s3, v4, v15, s3
	v_dual_mov_b32 v15, v13 :: v_dual_mov_b32 v14, v12
	s_delay_alu instid0(VALU_DEP_4) | instskip(NEXT) | instid1(VALU_DEP_1)
	v_add_co_u32 v1, s3, v8, v1
	v_add_co_ci_u32_e64 v2, s3, v9, v2, s3
	s_waitcnt lgkmcnt(0)
	v_add_co_u32 v3, s3, v3, s22
	s_delay_alu instid0(VALU_DEP_1) | instskip(SKIP_1) | instid1(VALU_DEP_1)
	v_add_co_ci_u32_e64 v4, s3, s23, v4, s3
	v_add_co_u32 v8, s3, s18, v1
	v_add_co_ci_u32_e64 v9, s3, s19, v2, s3
	s_delay_alu instid0(VALU_DEP_4) | instskip(NEXT) | instid1(VALU_DEP_1)
	v_add_co_u32 v10, s3, v3, 8
	v_add_co_ci_u32_e64 v11, s3, 0, v4, s3
	s_xor_b32 s3, s2, -1
	s_branch .LBB902_3
.LBB902_2:                              ;   in Loop: Header=BB902_3 Depth=1
	s_or_b32 exec_lo, exec_lo, s2
	ds_store_b128 v21, v[1:4]
	s_waitcnt lgkmcnt(0)
	s_barrier
	buffer_gl0_inv
	ds_load_b128 v[1:4], v18
	ds_load_b128 v[22:25], v19
	ds_load_b128 v[26:29], v19 offset:16
	ds_load_b128 v[30:33], v18 offset:256
	v_add_co_u32 v10, s2, v10, s12
	s_delay_alu instid0(VALU_DEP_1) | instskip(SKIP_1) | instid1(VALU_DEP_1)
	v_add_co_ci_u32_e64 v11, s2, s13, v11, s2
	v_add_co_u32 v8, s2, v8, s14
	v_add_co_ci_u32_e64 v9, s2, s15, v9, s2
	s_add_i32 s11, s11, 16
	s_delay_alu instid0(SALU_CYCLE_1)
	s_cmp_ge_i32 s11, s17
	s_waitcnt lgkmcnt(2)
	v_mul_f64 v[34:35], v[24:25], v[3:4]
	v_mul_f64 v[3:4], v[22:23], v[3:4]
	s_waitcnt lgkmcnt(0)
	v_mul_f64 v[40:41], v[28:29], v[32:33]
	v_mul_f64 v[42:43], v[26:27], v[32:33]
	s_delay_alu instid0(VALU_DEP_4) | instskip(NEXT) | instid1(VALU_DEP_4)
	v_fma_f64 v[44:45], v[22:23], v[1:2], -v[34:35]
	v_fma_f64 v[46:47], v[24:25], v[1:2], v[3:4]
	ds_load_b128 v[1:4], v18 offset:512
	ds_load_b128 v[22:25], v19 offset:32
	;; [unrolled: 1-line block ×4, first 2 shown]
	v_fma_f64 v[26:27], v[26:27], v[30:31], -v[40:41]
	v_fma_f64 v[28:29], v[28:29], v[30:31], v[42:43]
	s_waitcnt lgkmcnt(2)
	v_mul_f64 v[48:49], v[24:25], v[3:4]
	v_mul_f64 v[3:4], v[22:23], v[3:4]
	s_waitcnt lgkmcnt(0)
	v_mul_f64 v[30:31], v[34:35], v[38:39]
	v_mul_f64 v[38:39], v[32:33], v[38:39]
	v_add_f64 v[14:15], v[14:15], v[44:45]
	v_add_f64 v[12:13], v[12:13], v[46:47]
	v_fma_f64 v[40:41], v[22:23], v[1:2], -v[48:49]
	v_fma_f64 v[42:43], v[24:25], v[1:2], v[3:4]
	v_fma_f64 v[30:31], v[32:33], v[36:37], -v[30:31]
	v_fma_f64 v[32:33], v[34:35], v[36:37], v[38:39]
	v_add_f64 v[44:45], v[14:15], v[26:27]
	v_add_f64 v[46:47], v[12:13], v[28:29]
	ds_load_b128 v[1:4], v18 offset:1024
	ds_load_b128 v[12:15], v19 offset:64
	;; [unrolled: 1-line block ×4, first 2 shown]
	s_waitcnt lgkmcnt(2)
	v_mul_f64 v[48:49], v[14:15], v[3:4]
	v_mul_f64 v[3:4], v[12:13], v[3:4]
	s_waitcnt lgkmcnt(0)
	v_mul_f64 v[38:39], v[24:25], v[28:29]
	v_add_f64 v[34:35], v[44:45], v[40:41]
	v_add_f64 v[36:37], v[46:47], v[42:43]
	v_mul_f64 v[40:41], v[22:23], v[28:29]
	v_fma_f64 v[42:43], v[12:13], v[1:2], -v[48:49]
	v_fma_f64 v[44:45], v[14:15], v[1:2], v[3:4]
	v_fma_f64 v[22:23], v[22:23], v[26:27], -v[38:39]
	v_add_f64 v[46:47], v[34:35], v[30:31]
	v_add_f64 v[36:37], v[36:37], v[32:33]
	ds_load_b128 v[1:4], v18 offset:1536
	ds_load_b128 v[12:15], v19 offset:96
	;; [unrolled: 1-line block ×4, first 2 shown]
	v_fma_f64 v[24:25], v[24:25], v[26:27], v[40:41]
	s_waitcnt lgkmcnt(2)
	v_mul_f64 v[48:49], v[14:15], v[3:4]
	v_mul_f64 v[3:4], v[12:13], v[3:4]
	s_waitcnt lgkmcnt(0)
	v_mul_f64 v[38:39], v[30:31], v[34:35]
	v_mul_f64 v[40:41], v[28:29], v[34:35]
	v_add_f64 v[26:27], v[46:47], v[42:43]
	v_add_f64 v[36:37], v[36:37], v[44:45]
	v_fma_f64 v[42:43], v[12:13], v[1:2], -v[48:49]
	v_fma_f64 v[44:45], v[14:15], v[1:2], v[3:4]
	v_fma_f64 v[28:29], v[28:29], v[32:33], -v[38:39]
	v_fma_f64 v[30:31], v[30:31], v[32:33], v[40:41]
	v_add_f64 v[26:27], v[26:27], v[22:23]
	v_add_f64 v[46:47], v[36:37], v[24:25]
	ds_load_b128 v[1:4], v18 offset:2048
	ds_load_b128 v[12:15], v19 offset:128
	;; [unrolled: 1-line block ×4, first 2 shown]
	s_waitcnt lgkmcnt(2)
	v_mul_f64 v[48:49], v[14:15], v[3:4]
	v_mul_f64 v[3:4], v[12:13], v[3:4]
	s_waitcnt lgkmcnt(0)
	v_mul_f64 v[38:39], v[24:25], v[36:37]
	v_mul_f64 v[36:37], v[22:23], v[36:37]
	v_add_f64 v[26:27], v[26:27], v[42:43]
	v_add_f64 v[32:33], v[46:47], v[44:45]
	v_fma_f64 v[40:41], v[12:13], v[1:2], -v[48:49]
	v_fma_f64 v[42:43], v[14:15], v[1:2], v[3:4]
	v_fma_f64 v[22:23], v[22:23], v[34:35], -v[38:39]
	v_fma_f64 v[24:25], v[24:25], v[34:35], v[36:37]
	v_add_f64 v[44:45], v[26:27], v[28:29]
	v_add_f64 v[46:47], v[32:33], v[30:31]
	ds_load_b128 v[1:4], v18 offset:2560
	ds_load_b128 v[12:15], v19 offset:160
	;; [unrolled: 1-line block ×4, first 2 shown]
	s_waitcnt lgkmcnt(2)
	v_mul_f64 v[48:49], v[14:15], v[3:4]
	v_mul_f64 v[3:4], v[12:13], v[3:4]
	s_waitcnt lgkmcnt(0)
	v_mul_f64 v[38:39], v[28:29], v[32:33]
	v_add_f64 v[34:35], v[44:45], v[40:41]
	v_add_f64 v[36:37], v[46:47], v[42:43]
	v_mul_f64 v[40:41], v[26:27], v[32:33]
	v_fma_f64 v[42:43], v[12:13], v[1:2], -v[48:49]
	v_fma_f64 v[44:45], v[14:15], v[1:2], v[3:4]
	v_fma_f64 v[26:27], v[26:27], v[30:31], -v[38:39]
	v_add_f64 v[46:47], v[34:35], v[22:23]
	v_add_f64 v[36:37], v[36:37], v[24:25]
	ds_load_b128 v[1:4], v18 offset:3072
	ds_load_b128 v[12:15], v19 offset:192
	;; [unrolled: 1-line block ×4, first 2 shown]
	v_fma_f64 v[28:29], v[28:29], v[30:31], v[40:41]
	s_waitcnt lgkmcnt(2)
	v_mul_f64 v[48:49], v[14:15], v[3:4]
	v_mul_f64 v[3:4], v[12:13], v[3:4]
	s_waitcnt lgkmcnt(0)
	v_mul_f64 v[38:39], v[24:25], v[34:35]
	v_mul_f64 v[40:41], v[22:23], v[34:35]
	v_add_f64 v[30:31], v[46:47], v[42:43]
	v_add_f64 v[36:37], v[36:37], v[44:45]
	v_fma_f64 v[42:43], v[12:13], v[1:2], -v[48:49]
	v_fma_f64 v[44:45], v[14:15], v[1:2], v[3:4]
	v_fma_f64 v[22:23], v[22:23], v[32:33], -v[38:39]
	v_fma_f64 v[24:25], v[24:25], v[32:33], v[40:41]
	v_add_f64 v[30:31], v[30:31], v[26:27]
	v_add_f64 v[46:47], v[36:37], v[28:29]
	ds_load_b128 v[1:4], v18 offset:3584
	ds_load_b128 v[12:15], v19 offset:224
	;; [unrolled: 1-line block ×4, first 2 shown]
	s_waitcnt lgkmcnt(0)
	s_barrier
	buffer_gl0_inv
	v_mul_f64 v[48:49], v[14:15], v[3:4]
	v_mul_f64 v[3:4], v[12:13], v[3:4]
	;; [unrolled: 1-line block ×4, first 2 shown]
	v_add_f64 v[30:31], v[30:31], v[42:43]
	v_add_f64 v[32:33], v[46:47], v[44:45]
	v_fma_f64 v[12:13], v[12:13], v[1:2], -v[48:49]
	v_fma_f64 v[1:2], v[14:15], v[1:2], v[3:4]
	s_delay_alu instid0(VALU_DEP_4) | instskip(NEXT) | instid1(VALU_DEP_4)
	v_add_f64 v[3:4], v[30:31], v[22:23]
	v_add_f64 v[14:15], v[32:33], v[24:25]
	v_fma_f64 v[22:23], v[26:27], v[34:35], -v[38:39]
	v_fma_f64 v[24:25], v[28:29], v[34:35], v[36:37]
	s_delay_alu instid0(VALU_DEP_4) | instskip(NEXT) | instid1(VALU_DEP_4)
	v_add_f64 v[3:4], v[3:4], v[12:13]
	v_add_f64 v[1:2], v[14:15], v[1:2]
	s_delay_alu instid0(VALU_DEP_2) | instskip(NEXT) | instid1(VALU_DEP_2)
	v_add_f64 v[14:15], v[3:4], v[22:23]
	v_add_f64 v[12:13], v[1:2], v[24:25]
	s_cbranch_scc1 .LBB902_9
.LBB902_3:                              ; =>This Inner Loop Header: Depth=1
	v_add_nc_u32_e32 v1, s11, v17
	s_delay_alu instid0(VALU_DEP_1) | instskip(NEXT) | instid1(VALU_DEP_1)
	v_cmp_le_i32_e64 s2, s17, v1
	s_or_b32 s2, s3, s2
	s_delay_alu instid0(SALU_CYCLE_1) | instskip(NEXT) | instid1(SALU_CYCLE_1)
	s_and_saveexec_b32 s10, s2
	s_xor_b32 s2, exec_lo, s10
	s_cbranch_execz .LBB902_5
; %bb.4:                                ;   in Loop: Header=BB902_3 Depth=1
	v_mov_b32_e32 v1, v0
	v_mov_b32_e32 v2, v0
	;; [unrolled: 1-line block ×3, first 2 shown]
	ds_store_b128 v20, v[0:3]
.LBB902_5:                              ;   in Loop: Header=BB902_3 Depth=1
	s_and_not1_saveexec_b32 s2, s2
	s_cbranch_execz .LBB902_7
; %bb.6:                                ;   in Loop: Header=BB902_3 Depth=1
	global_load_b128 v[1:4], v[8:9], off
	s_waitcnt vmcnt(0)
	ds_store_2addr_b64 v20, v[1:2], v[3:4] offset1:1
.LBB902_7:                              ;   in Loop: Header=BB902_3 Depth=1
	s_or_b32 exec_lo, exec_lo, s2
	v_add_nc_u32_e32 v3, s11, v16
	v_mov_b32_e32 v1, 0
	v_mov_b32_e32 v2, 0
	s_delay_alu instid0(VALU_DEP_3) | instskip(NEXT) | instid1(VALU_DEP_2)
	v_cmp_gt_i32_e64 s2, s17, v3
	v_dual_mov_b32 v4, v2 :: v_dual_mov_b32 v3, v1
	s_delay_alu instid0(VALU_DEP_2) | instskip(NEXT) | instid1(SALU_CYCLE_1)
	s_and_b32 s10, vcc_lo, s2
	s_and_saveexec_b32 s2, s10
	s_cbranch_execz .LBB902_2
; %bb.8:                                ;   in Loop: Header=BB902_3 Depth=1
	global_load_b128 v[1:4], v[10:11], off offset:-8
	s_waitcnt vmcnt(0)
	v_xor_b32_e32 v4, 0x80000000, v4
	s_branch .LBB902_2
.LBB902_9:
	v_cmp_le_i32_e32 vcc_lo, v5, v7
	v_cmp_gt_i32_e64 s2, s16, v7
	s_delay_alu instid0(VALU_DEP_1) | instskip(NEXT) | instid1(SALU_CYCLE_1)
	s_and_b32 s2, vcc_lo, s2
	s_and_saveexec_b32 s3, s2
	s_cbranch_execz .LBB902_11
; %bb.10:
	s_waitcnt lgkmcnt(0)
	s_delay_alu instid0(VALU_DEP_3) | instskip(SKIP_3) | instid1(VALU_DEP_3)
	v_mul_f64 v[0:1], s[4:5], v[12:13]
	v_mul_f64 v[2:3], s[6:7], v[12:13]
	s_load_b32 s0, s[0:1], 0x60
	v_lshlrev_b64 v[10:11], 4, v[5:6]
	v_fma_f64 v[8:9], s[6:7], v[14:15], v[0:1]
	s_delay_alu instid0(VALU_DEP_3) | instskip(SKIP_2) | instid1(VALU_DEP_1)
	v_fma_f64 v[0:1], s[4:5], v[14:15], -v[2:3]
	s_waitcnt lgkmcnt(0)
	v_mad_i64_i32 v[2:3], null, s0, v7, 0
	v_lshlrev_b64 v[2:3], 4, v[2:3]
	s_delay_alu instid0(VALU_DEP_1) | instskip(NEXT) | instid1(VALU_DEP_2)
	v_add_co_u32 v2, vcc_lo, s8, v2
	v_add_co_ci_u32_e32 v3, vcc_lo, s9, v3, vcc_lo
	v_cmp_ne_u32_e32 vcc_lo, v5, v7
	s_delay_alu instid0(VALU_DEP_3) | instskip(NEXT) | instid1(VALU_DEP_1)
	v_add_co_u32 v4, s0, v2, v10
	v_add_co_ci_u32_e64 v5, s0, v3, v11, s0
	v_dual_cndmask_b32 v3, 0, v9 :: v_dual_cndmask_b32 v2, 0, v8
	global_store_b128 v[4:5], v[0:3], off
.LBB902_11:
	s_nop 0
	s_sendmsg sendmsg(MSG_DEALLOC_VGPRS)
	s_endpgm
	.section	.rodata,"a",@progbits
	.p2align	6, 0x0
	.amdhsa_kernel _ZL32rocblas_syrkx_herkx_small_kernelIi19rocblas_complex_numIdELi16ELb1ELb1ELc78ELc85EKPKS1_KPS1_EviT_T0_PT6_S7_lSA_S7_lS8_PT7_S7_li
		.amdhsa_group_segment_fixed_size 8192
		.amdhsa_private_segment_fixed_size 0
		.amdhsa_kernarg_size 116
		.amdhsa_user_sgpr_count 13
		.amdhsa_user_sgpr_dispatch_ptr 0
		.amdhsa_user_sgpr_queue_ptr 0
		.amdhsa_user_sgpr_kernarg_segment_ptr 1
		.amdhsa_user_sgpr_dispatch_id 0
		.amdhsa_user_sgpr_private_segment_size 0
		.amdhsa_wavefront_size32 1
		.amdhsa_uses_dynamic_stack 0
		.amdhsa_enable_private_segment 0
		.amdhsa_system_sgpr_workgroup_id_x 1
		.amdhsa_system_sgpr_workgroup_id_y 1
		.amdhsa_system_sgpr_workgroup_id_z 1
		.amdhsa_system_sgpr_workgroup_info 0
		.amdhsa_system_vgpr_workitem_id 1
		.amdhsa_next_free_vgpr 50
		.amdhsa_next_free_sgpr 24
		.amdhsa_reserve_vcc 1
		.amdhsa_float_round_mode_32 0
		.amdhsa_float_round_mode_16_64 0
		.amdhsa_float_denorm_mode_32 3
		.amdhsa_float_denorm_mode_16_64 3
		.amdhsa_dx10_clamp 1
		.amdhsa_ieee_mode 1
		.amdhsa_fp16_overflow 0
		.amdhsa_workgroup_processor_mode 1
		.amdhsa_memory_ordered 1
		.amdhsa_forward_progress 0
		.amdhsa_shared_vgpr_count 0
		.amdhsa_exception_fp_ieee_invalid_op 0
		.amdhsa_exception_fp_denorm_src 0
		.amdhsa_exception_fp_ieee_div_zero 0
		.amdhsa_exception_fp_ieee_overflow 0
		.amdhsa_exception_fp_ieee_underflow 0
		.amdhsa_exception_fp_ieee_inexact 0
		.amdhsa_exception_int_div_zero 0
	.end_amdhsa_kernel
	.section	.text._ZL32rocblas_syrkx_herkx_small_kernelIi19rocblas_complex_numIdELi16ELb1ELb1ELc78ELc85EKPKS1_KPS1_EviT_T0_PT6_S7_lSA_S7_lS8_PT7_S7_li,"axG",@progbits,_ZL32rocblas_syrkx_herkx_small_kernelIi19rocblas_complex_numIdELi16ELb1ELb1ELc78ELc85EKPKS1_KPS1_EviT_T0_PT6_S7_lSA_S7_lS8_PT7_S7_li,comdat
.Lfunc_end902:
	.size	_ZL32rocblas_syrkx_herkx_small_kernelIi19rocblas_complex_numIdELi16ELb1ELb1ELc78ELc85EKPKS1_KPS1_EviT_T0_PT6_S7_lSA_S7_lS8_PT7_S7_li, .Lfunc_end902-_ZL32rocblas_syrkx_herkx_small_kernelIi19rocblas_complex_numIdELi16ELb1ELb1ELc78ELc85EKPKS1_KPS1_EviT_T0_PT6_S7_lSA_S7_lS8_PT7_S7_li
                                        ; -- End function
	.section	.AMDGPU.csdata,"",@progbits
; Kernel info:
; codeLenInByte = 1972
; NumSgprs: 26
; NumVgprs: 50
; ScratchSize: 0
; MemoryBound: 1
; FloatMode: 240
; IeeeMode: 1
; LDSByteSize: 8192 bytes/workgroup (compile time only)
; SGPRBlocks: 3
; VGPRBlocks: 6
; NumSGPRsForWavesPerEU: 26
; NumVGPRsForWavesPerEU: 50
; Occupancy: 16
; WaveLimiterHint : 1
; COMPUTE_PGM_RSRC2:SCRATCH_EN: 0
; COMPUTE_PGM_RSRC2:USER_SGPR: 13
; COMPUTE_PGM_RSRC2:TRAP_HANDLER: 0
; COMPUTE_PGM_RSRC2:TGID_X_EN: 1
; COMPUTE_PGM_RSRC2:TGID_Y_EN: 1
; COMPUTE_PGM_RSRC2:TGID_Z_EN: 1
; COMPUTE_PGM_RSRC2:TIDIG_COMP_CNT: 1
	.section	.text._ZL32rocblas_syrkx_herkx_small_kernelIi19rocblas_complex_numIdELi16ELb0ELb1ELc84ELc76EKPKS1_KPS1_EviT_T0_PT6_S7_lSA_S7_lS8_PT7_S7_li,"axG",@progbits,_ZL32rocblas_syrkx_herkx_small_kernelIi19rocblas_complex_numIdELi16ELb0ELb1ELc84ELc76EKPKS1_KPS1_EviT_T0_PT6_S7_lSA_S7_lS8_PT7_S7_li,comdat
	.globl	_ZL32rocblas_syrkx_herkx_small_kernelIi19rocblas_complex_numIdELi16ELb0ELb1ELc84ELc76EKPKS1_KPS1_EviT_T0_PT6_S7_lSA_S7_lS8_PT7_S7_li ; -- Begin function _ZL32rocblas_syrkx_herkx_small_kernelIi19rocblas_complex_numIdELi16ELb0ELb1ELc84ELc76EKPKS1_KPS1_EviT_T0_PT6_S7_lSA_S7_lS8_PT7_S7_li
	.p2align	8
	.type	_ZL32rocblas_syrkx_herkx_small_kernelIi19rocblas_complex_numIdELi16ELb0ELb1ELc84ELc76EKPKS1_KPS1_EviT_T0_PT6_S7_lSA_S7_lS8_PT7_S7_li,@function
_ZL32rocblas_syrkx_herkx_small_kernelIi19rocblas_complex_numIdELi16ELb0ELb1ELc84ELc76EKPKS1_KPS1_EviT_T0_PT6_S7_lSA_S7_lS8_PT7_S7_li: ; @_ZL32rocblas_syrkx_herkx_small_kernelIi19rocblas_complex_numIdELi16ELb0ELb1ELc84ELc76EKPKS1_KPS1_EviT_T0_PT6_S7_lSA_S7_lS8_PT7_S7_li
; %bb.0:
	s_load_b64 s[2:3], s[0:1], 0x58
	s_mov_b32 s18, s15
	s_mov_b32 s19, 0
	s_clause 0x1
	s_load_b64 s[20:21], s[0:1], 0x0
	s_load_b128 s[4:7], s[0:1], 0x8
	s_lshl_b64 s[22:23], s[18:19], 3
	v_dual_mov_b32 v9, 0 :: v_dual_and_b32 v14, 0x3ff, v0
	v_bfe_u32 v15, v0, 10, 10
	v_mov_b32_e32 v10, 0
	s_delay_alu instid0(VALU_DEP_3) | instskip(NEXT) | instid1(VALU_DEP_3)
	v_lshl_add_u32 v4, s13, 4, v14
	v_lshl_add_u32 v13, s14, 4, v15
	s_delay_alu instid0(VALU_DEP_3)
	v_dual_mov_b32 v12, v10 :: v_dual_mov_b32 v11, v9
	s_waitcnt lgkmcnt(0)
	s_add_u32 s2, s2, s22
	s_addc_u32 s3, s3, s23
	s_clause 0x1
	s_load_b64 s[24:25], s[0:1], 0x18
	s_load_b128 s[8:11], s[0:1], 0x48
	s_load_b64 s[16:17], s[2:3], 0x0
	v_cmp_gt_i32_e32 vcc_lo, s20, v4
	s_cmp_lt_i32 s21, 1
	s_cbranch_scc1 .LBB903_11
; %bb.1:
	s_clause 0x2
	s_load_b64 s[12:13], s[0:1], 0x30
	s_load_b32 s3, s[0:1], 0x38
	s_load_b32 s14, s[0:1], 0x20
	v_lshlrev_b32_e32 v7, 8, v15
	v_dual_mov_b32 v9, 0 :: v_dual_lshlrev_b32 v16, 4, v14
	v_mov_b32_e32 v10, 0
	v_lshlrev_b32_e32 v8, 4, v15
	s_delay_alu instid0(VALU_DEP_4)
	v_add_nc_u32_e32 v17, 0x1000, v7
	v_cmp_gt_i32_e64 s2, s20, v13
	v_add_nc_u32_e32 v18, v16, v7
	v_dual_mov_b32 v12, v10 :: v_dual_mov_b32 v11, v9
	s_waitcnt lgkmcnt(0)
	s_add_u32 s12, s12, s22
	s_addc_u32 s13, s13, s23
	v_mad_i64_i32 v[0:1], null, s3, v13, 0
	v_mad_i64_i32 v[2:3], null, s14, v4, 0
	s_load_b64 s[12:13], s[12:13], 0x0
	s_add_u32 s14, s24, s22
	s_addc_u32 s15, s25, s23
	s_xor_b32 s2, s2, -1
	s_load_b64 s[14:15], s[14:15], 0x0
	s_delay_alu instid0(VALU_DEP_2) | instskip(SKIP_3) | instid1(VALU_DEP_4)
	v_lshlrev_b64 v[5:6], 4, v[0:1]
	v_mov_b32_e32 v0, 0
	v_lshlrev_b64 v[1:2], 4, v[2:3]
	v_add_nc_u32_e32 v19, v17, v16
	v_add_co_u32 v3, s3, v5, v16
	s_delay_alu instid0(VALU_DEP_1) | instskip(NEXT) | instid1(VALU_DEP_4)
	v_add_co_ci_u32_e64 v6, s3, 0, v6, s3
	v_add_co_u32 v1, s3, v1, v8
	s_delay_alu instid0(VALU_DEP_1) | instskip(SKIP_2) | instid1(VALU_DEP_1)
	v_add_co_ci_u32_e64 v2, s3, 0, v2, s3
	s_waitcnt lgkmcnt(0)
	v_add_co_u32 v5, s3, s12, v3
	v_add_co_ci_u32_e64 v6, s3, s13, v6, s3
	v_add_co_u32 v7, s3, s14, v1
	s_delay_alu instid0(VALU_DEP_1)
	v_add_co_ci_u32_e64 v8, s3, s15, v2, s3
	s_xor_b32 s3, vcc_lo, -1
	s_branch .LBB903_3
.LBB903_2:                              ;   in Loop: Header=BB903_3 Depth=1
	s_or_b32 exec_lo, exec_lo, s12
	s_waitcnt lgkmcnt(0)
	s_barrier
	buffer_gl0_inv
	ds_load_b128 v[20:23], v16
	ds_load_b128 v[24:27], v17
	ds_load_b128 v[28:31], v17 offset:16
	ds_load_b128 v[32:35], v16 offset:256
	v_add_co_u32 v5, vcc_lo, 0x100, v5
	v_add_co_ci_u32_e32 v6, vcc_lo, 0, v6, vcc_lo
	v_add_co_u32 v7, vcc_lo, 0x100, v7
	v_add_co_ci_u32_e32 v8, vcc_lo, 0, v8, vcc_lo
	s_add_i32 s19, s19, 16
	s_delay_alu instid0(SALU_CYCLE_1)
	s_cmp_ge_i32 s19, s21
	s_waitcnt lgkmcnt(2)
	v_mul_f64 v[1:2], v[26:27], v[22:23]
	v_mul_f64 v[22:23], v[24:25], v[22:23]
	s_waitcnt lgkmcnt(0)
	v_mul_f64 v[42:43], v[30:31], v[34:35]
	v_mul_f64 v[44:45], v[28:29], v[34:35]
	s_delay_alu instid0(VALU_DEP_4) | instskip(NEXT) | instid1(VALU_DEP_4)
	v_fma_f64 v[1:2], v[24:25], v[20:21], -v[1:2]
	v_fma_f64 v[46:47], v[26:27], v[20:21], v[22:23]
	ds_load_b128 v[20:23], v16 offset:512
	ds_load_b128 v[24:27], v17 offset:32
	;; [unrolled: 1-line block ×4, first 2 shown]
	v_fma_f64 v[28:29], v[28:29], v[32:33], -v[42:43]
	v_fma_f64 v[30:31], v[30:31], v[32:33], v[44:45]
	s_waitcnt lgkmcnt(2)
	v_mul_f64 v[48:49], v[26:27], v[22:23]
	v_mul_f64 v[22:23], v[24:25], v[22:23]
	s_waitcnt lgkmcnt(0)
	v_mul_f64 v[32:33], v[36:37], v[40:41]
	v_mul_f64 v[40:41], v[34:35], v[40:41]
	v_add_f64 v[1:2], v[11:12], v[1:2]
	v_add_f64 v[9:10], v[9:10], v[46:47]
	v_fma_f64 v[42:43], v[24:25], v[20:21], -v[48:49]
	v_fma_f64 v[44:45], v[26:27], v[20:21], v[22:23]
	v_fma_f64 v[32:33], v[34:35], v[38:39], -v[32:33]
	v_fma_f64 v[34:35], v[36:37], v[38:39], v[40:41]
	v_add_f64 v[1:2], v[1:2], v[28:29]
	v_add_f64 v[46:47], v[9:10], v[30:31]
	ds_load_b128 v[9:12], v16 offset:1024
	ds_load_b128 v[20:23], v17 offset:64
	;; [unrolled: 1-line block ×4, first 2 shown]
	s_waitcnt lgkmcnt(2)
	v_mul_f64 v[48:49], v[22:23], v[11:12]
	v_mul_f64 v[11:12], v[20:21], v[11:12]
	s_waitcnt lgkmcnt(0)
	v_mul_f64 v[38:39], v[26:27], v[30:31]
	v_mul_f64 v[40:41], v[24:25], v[30:31]
	v_add_f64 v[1:2], v[1:2], v[42:43]
	v_add_f64 v[36:37], v[46:47], v[44:45]
	v_fma_f64 v[42:43], v[20:21], v[9:10], -v[48:49]
	v_fma_f64 v[44:45], v[22:23], v[9:10], v[11:12]
	v_fma_f64 v[24:25], v[24:25], v[28:29], -v[38:39]
	v_fma_f64 v[26:27], v[26:27], v[28:29], v[40:41]
	v_add_f64 v[1:2], v[1:2], v[32:33]
	v_add_f64 v[46:47], v[36:37], v[34:35]
	ds_load_b128 v[9:12], v16 offset:1536
	ds_load_b128 v[20:23], v17 offset:96
	;; [unrolled: 1-line block ×4, first 2 shown]
	s_waitcnt lgkmcnt(2)
	v_mul_f64 v[48:49], v[22:23], v[11:12]
	v_mul_f64 v[11:12], v[20:21], v[11:12]
	s_waitcnt lgkmcnt(0)
	v_mul_f64 v[40:41], v[32:33], v[36:37]
	v_add_f64 v[1:2], v[1:2], v[42:43]
	v_add_f64 v[28:29], v[46:47], v[44:45]
	v_mul_f64 v[42:43], v[30:31], v[36:37]
	v_fma_f64 v[44:45], v[20:21], v[9:10], -v[48:49]
	v_fma_f64 v[46:47], v[22:23], v[9:10], v[11:12]
	v_fma_f64 v[30:31], v[30:31], v[34:35], -v[40:41]
	v_add_f64 v[1:2], v[1:2], v[24:25]
	v_add_f64 v[28:29], v[28:29], v[26:27]
	ds_load_b128 v[9:12], v16 offset:2048
	ds_load_b128 v[20:23], v17 offset:128
	;; [unrolled: 1-line block ×4, first 2 shown]
	v_fma_f64 v[32:33], v[32:33], v[34:35], v[42:43]
	s_waitcnt lgkmcnt(2)
	v_mul_f64 v[48:49], v[22:23], v[11:12]
	v_mul_f64 v[11:12], v[20:21], v[11:12]
	s_waitcnt lgkmcnt(0)
	v_mul_f64 v[40:41], v[26:27], v[38:39]
	v_mul_f64 v[38:39], v[24:25], v[38:39]
	v_add_f64 v[1:2], v[1:2], v[44:45]
	v_add_f64 v[28:29], v[28:29], v[46:47]
	v_fma_f64 v[42:43], v[20:21], v[9:10], -v[48:49]
	v_fma_f64 v[44:45], v[22:23], v[9:10], v[11:12]
	v_fma_f64 v[24:25], v[24:25], v[36:37], -v[40:41]
	v_fma_f64 v[26:27], v[26:27], v[36:37], v[38:39]
	v_add_f64 v[1:2], v[1:2], v[30:31]
	v_add_f64 v[46:47], v[28:29], v[32:33]
	ds_load_b128 v[9:12], v16 offset:2560
	ds_load_b128 v[20:23], v17 offset:160
	;; [unrolled: 1-line block ×4, first 2 shown]
	s_waitcnt lgkmcnt(2)
	v_mul_f64 v[48:49], v[22:23], v[11:12]
	v_mul_f64 v[11:12], v[20:21], v[11:12]
	s_waitcnt lgkmcnt(0)
	v_mul_f64 v[38:39], v[30:31], v[34:35]
	v_mul_f64 v[40:41], v[28:29], v[34:35]
	v_add_f64 v[1:2], v[1:2], v[42:43]
	v_add_f64 v[36:37], v[46:47], v[44:45]
	v_fma_f64 v[42:43], v[20:21], v[9:10], -v[48:49]
	v_fma_f64 v[44:45], v[22:23], v[9:10], v[11:12]
	v_fma_f64 v[28:29], v[28:29], v[32:33], -v[38:39]
	v_fma_f64 v[30:31], v[30:31], v[32:33], v[40:41]
	v_add_f64 v[1:2], v[1:2], v[24:25]
	v_add_f64 v[46:47], v[36:37], v[26:27]
	ds_load_b128 v[9:12], v16 offset:3072
	ds_load_b128 v[20:23], v17 offset:192
	;; [unrolled: 1-line block ×4, first 2 shown]
	s_waitcnt lgkmcnt(2)
	v_mul_f64 v[48:49], v[22:23], v[11:12]
	v_mul_f64 v[11:12], v[20:21], v[11:12]
	s_waitcnt lgkmcnt(0)
	v_mul_f64 v[40:41], v[26:27], v[36:37]
	v_add_f64 v[1:2], v[1:2], v[42:43]
	v_add_f64 v[32:33], v[46:47], v[44:45]
	v_mul_f64 v[42:43], v[24:25], v[36:37]
	v_fma_f64 v[44:45], v[20:21], v[9:10], -v[48:49]
	v_fma_f64 v[46:47], v[22:23], v[9:10], v[11:12]
	v_fma_f64 v[24:25], v[24:25], v[34:35], -v[40:41]
	v_add_f64 v[1:2], v[1:2], v[28:29]
	v_add_f64 v[32:33], v[32:33], v[30:31]
	ds_load_b128 v[9:12], v16 offset:3584
	ds_load_b128 v[20:23], v17 offset:224
	;; [unrolled: 1-line block ×4, first 2 shown]
	v_fma_f64 v[26:27], v[26:27], v[34:35], v[42:43]
	s_waitcnt lgkmcnt(0)
	s_barrier
	buffer_gl0_inv
	v_mul_f64 v[48:49], v[22:23], v[11:12]
	v_mul_f64 v[11:12], v[20:21], v[11:12]
	;; [unrolled: 1-line block ×4, first 2 shown]
	v_add_f64 v[1:2], v[1:2], v[44:45]
	v_add_f64 v[32:33], v[32:33], v[46:47]
	v_fma_f64 v[20:21], v[20:21], v[9:10], -v[48:49]
	v_fma_f64 v[9:10], v[22:23], v[9:10], v[11:12]
	v_fma_f64 v[22:23], v[28:29], v[36:37], -v[34:35]
	v_add_f64 v[1:2], v[1:2], v[24:25]
	v_add_f64 v[11:12], v[32:33], v[26:27]
	v_fma_f64 v[24:25], v[30:31], v[36:37], v[38:39]
	s_delay_alu instid0(VALU_DEP_3) | instskip(NEXT) | instid1(VALU_DEP_3)
	v_add_f64 v[1:2], v[1:2], v[20:21]
	v_add_f64 v[9:10], v[11:12], v[9:10]
	s_delay_alu instid0(VALU_DEP_2) | instskip(NEXT) | instid1(VALU_DEP_2)
	v_add_f64 v[11:12], v[1:2], v[22:23]
	v_add_f64 v[9:10], v[9:10], v[24:25]
	s_cbranch_scc1 .LBB903_11
.LBB903_3:                              ; =>This Inner Loop Header: Depth=1
	v_add_nc_u32_e32 v1, s19, v15
	s_delay_alu instid0(VALU_DEP_1) | instskip(SKIP_1) | instid1(SALU_CYCLE_1)
	v_cmp_le_i32_e32 vcc_lo, s21, v1
	s_or_b32 s12, s3, vcc_lo
	s_and_saveexec_b32 s13, s12
	s_delay_alu instid0(SALU_CYCLE_1)
	s_xor_b32 s12, exec_lo, s13
	s_cbranch_execz .LBB903_5
; %bb.4:                                ;   in Loop: Header=BB903_3 Depth=1
	v_mov_b32_e32 v1, v0
	v_mov_b32_e32 v2, v0
	;; [unrolled: 1-line block ×3, first 2 shown]
	ds_store_b128 v18, v[0:3]
.LBB903_5:                              ;   in Loop: Header=BB903_3 Depth=1
	s_and_not1_saveexec_b32 s12, s12
	s_cbranch_execz .LBB903_7
; %bb.6:                                ;   in Loop: Header=BB903_3 Depth=1
	global_load_b128 v[20:23], v[7:8], off
	s_waitcnt vmcnt(0)
	ds_store_2addr_b64 v18, v[20:21], v[22:23] offset1:1
.LBB903_7:                              ;   in Loop: Header=BB903_3 Depth=1
	s_or_b32 exec_lo, exec_lo, s12
	v_add_nc_u32_e32 v1, s19, v14
	s_delay_alu instid0(VALU_DEP_1) | instskip(SKIP_1) | instid1(SALU_CYCLE_1)
	v_cmp_le_i32_e32 vcc_lo, s21, v1
	s_or_b32 s12, s2, vcc_lo
	s_and_saveexec_b32 s13, s12
	s_delay_alu instid0(SALU_CYCLE_1)
	s_xor_b32 s12, exec_lo, s13
	s_cbranch_execz .LBB903_9
; %bb.8:                                ;   in Loop: Header=BB903_3 Depth=1
	v_mov_b32_e32 v1, v0
	v_mov_b32_e32 v2, v0
	;; [unrolled: 1-line block ×3, first 2 shown]
	ds_store_b128 v19, v[0:3]
.LBB903_9:                              ;   in Loop: Header=BB903_3 Depth=1
	s_and_not1_saveexec_b32 s12, s12
	s_cbranch_execz .LBB903_2
; %bb.10:                               ;   in Loop: Header=BB903_3 Depth=1
	global_load_b128 v[20:23], v[5:6], off
	s_waitcnt vmcnt(0)
	ds_store_2addr_b64 v19, v[20:21], v[22:23] offset1:1
	s_branch .LBB903_2
.LBB903_11:
	v_cmp_le_i32_e32 vcc_lo, v13, v4
	v_cmp_gt_i32_e64 s2, s20, v4
	s_delay_alu instid0(VALU_DEP_1) | instskip(NEXT) | instid1(SALU_CYCLE_1)
	s_and_b32 s2, vcc_lo, s2
	s_and_saveexec_b32 s3, s2
	s_cbranch_execz .LBB903_13
; %bb.12:
	s_load_b32 s0, s[0:1], 0x60
	v_ashrrev_i32_e32 v5, 31, v4
	s_delay_alu instid0(VALU_DEP_4) | instskip(SKIP_1) | instid1(VALU_DEP_3)
	v_mul_f64 v[7:8], s[4:5], v[9:10]
	v_mul_f64 v[9:10], s[6:7], v[9:10]
	v_lshlrev_b64 v[2:3], 4, v[4:5]
	s_waitcnt lgkmcnt(0)
	v_mad_i64_i32 v[0:1], null, s0, v13, 0
	s_delay_alu instid0(VALU_DEP_1) | instskip(NEXT) | instid1(VALU_DEP_1)
	v_lshlrev_b64 v[0:1], 4, v[0:1]
	v_add_co_u32 v0, vcc_lo, s16, v0
	s_delay_alu instid0(VALU_DEP_2) | instskip(NEXT) | instid1(VALU_DEP_2)
	v_add_co_ci_u32_e32 v1, vcc_lo, s17, v1, vcc_lo
	v_add_co_u32 v5, vcc_lo, v0, v2
	s_delay_alu instid0(VALU_DEP_2)
	v_add_co_ci_u32_e32 v6, vcc_lo, v1, v3, vcc_lo
	v_fma_f64 v[7:8], s[6:7], v[11:12], v[7:8]
	v_fma_f64 v[9:10], s[4:5], v[11:12], -v[9:10]
	v_cmp_ne_u32_e32 vcc_lo, v4, v13
	global_load_b128 v[0:3], v[5:6], off
	s_waitcnt vmcnt(0)
	v_mul_f64 v[14:15], s[8:9], v[2:3]
	v_mul_f64 v[2:3], s[10:11], v[2:3]
	s_delay_alu instid0(VALU_DEP_2) | instskip(NEXT) | instid1(VALU_DEP_2)
	v_fma_f64 v[14:15], s[10:11], v[0:1], v[14:15]
	v_fma_f64 v[0:1], s[8:9], v[0:1], -v[2:3]
	s_delay_alu instid0(VALU_DEP_2) | instskip(NEXT) | instid1(VALU_DEP_2)
	v_add_f64 v[2:3], v[7:8], v[14:15]
	v_add_f64 v[0:1], v[9:10], v[0:1]
	s_delay_alu instid0(VALU_DEP_2)
	v_dual_cndmask_b32 v3, 0, v3 :: v_dual_cndmask_b32 v2, 0, v2
	global_store_b128 v[5:6], v[0:3], off
.LBB903_13:
	s_nop 0
	s_sendmsg sendmsg(MSG_DEALLOC_VGPRS)
	s_endpgm
	.section	.rodata,"a",@progbits
	.p2align	6, 0x0
	.amdhsa_kernel _ZL32rocblas_syrkx_herkx_small_kernelIi19rocblas_complex_numIdELi16ELb0ELb1ELc84ELc76EKPKS1_KPS1_EviT_T0_PT6_S7_lSA_S7_lS8_PT7_S7_li
		.amdhsa_group_segment_fixed_size 8192
		.amdhsa_private_segment_fixed_size 0
		.amdhsa_kernarg_size 116
		.amdhsa_user_sgpr_count 13
		.amdhsa_user_sgpr_dispatch_ptr 0
		.amdhsa_user_sgpr_queue_ptr 0
		.amdhsa_user_sgpr_kernarg_segment_ptr 1
		.amdhsa_user_sgpr_dispatch_id 0
		.amdhsa_user_sgpr_private_segment_size 0
		.amdhsa_wavefront_size32 1
		.amdhsa_uses_dynamic_stack 0
		.amdhsa_enable_private_segment 0
		.amdhsa_system_sgpr_workgroup_id_x 1
		.amdhsa_system_sgpr_workgroup_id_y 1
		.amdhsa_system_sgpr_workgroup_id_z 1
		.amdhsa_system_sgpr_workgroup_info 0
		.amdhsa_system_vgpr_workitem_id 1
		.amdhsa_next_free_vgpr 50
		.amdhsa_next_free_sgpr 26
		.amdhsa_reserve_vcc 1
		.amdhsa_float_round_mode_32 0
		.amdhsa_float_round_mode_16_64 0
		.amdhsa_float_denorm_mode_32 3
		.amdhsa_float_denorm_mode_16_64 3
		.amdhsa_dx10_clamp 1
		.amdhsa_ieee_mode 1
		.amdhsa_fp16_overflow 0
		.amdhsa_workgroup_processor_mode 1
		.amdhsa_memory_ordered 1
		.amdhsa_forward_progress 0
		.amdhsa_shared_vgpr_count 0
		.amdhsa_exception_fp_ieee_invalid_op 0
		.amdhsa_exception_fp_denorm_src 0
		.amdhsa_exception_fp_ieee_div_zero 0
		.amdhsa_exception_fp_ieee_overflow 0
		.amdhsa_exception_fp_ieee_underflow 0
		.amdhsa_exception_fp_ieee_inexact 0
		.amdhsa_exception_int_div_zero 0
	.end_amdhsa_kernel
	.section	.text._ZL32rocblas_syrkx_herkx_small_kernelIi19rocblas_complex_numIdELi16ELb0ELb1ELc84ELc76EKPKS1_KPS1_EviT_T0_PT6_S7_lSA_S7_lS8_PT7_S7_li,"axG",@progbits,_ZL32rocblas_syrkx_herkx_small_kernelIi19rocblas_complex_numIdELi16ELb0ELb1ELc84ELc76EKPKS1_KPS1_EviT_T0_PT6_S7_lSA_S7_lS8_PT7_S7_li,comdat
.Lfunc_end903:
	.size	_ZL32rocblas_syrkx_herkx_small_kernelIi19rocblas_complex_numIdELi16ELb0ELb1ELc84ELc76EKPKS1_KPS1_EviT_T0_PT6_S7_lSA_S7_lS8_PT7_S7_li, .Lfunc_end903-_ZL32rocblas_syrkx_herkx_small_kernelIi19rocblas_complex_numIdELi16ELb0ELb1ELc84ELc76EKPKS1_KPS1_EviT_T0_PT6_S7_lSA_S7_lS8_PT7_S7_li
                                        ; -- End function
	.section	.AMDGPU.csdata,"",@progbits
; Kernel info:
; codeLenInByte = 1988
; NumSgprs: 28
; NumVgprs: 50
; ScratchSize: 0
; MemoryBound: 0
; FloatMode: 240
; IeeeMode: 1
; LDSByteSize: 8192 bytes/workgroup (compile time only)
; SGPRBlocks: 3
; VGPRBlocks: 6
; NumSGPRsForWavesPerEU: 28
; NumVGPRsForWavesPerEU: 50
; Occupancy: 16
; WaveLimiterHint : 1
; COMPUTE_PGM_RSRC2:SCRATCH_EN: 0
; COMPUTE_PGM_RSRC2:USER_SGPR: 13
; COMPUTE_PGM_RSRC2:TRAP_HANDLER: 0
; COMPUTE_PGM_RSRC2:TGID_X_EN: 1
; COMPUTE_PGM_RSRC2:TGID_Y_EN: 1
; COMPUTE_PGM_RSRC2:TGID_Z_EN: 1
; COMPUTE_PGM_RSRC2:TIDIG_COMP_CNT: 1
	.section	.text._ZL32rocblas_syrkx_herkx_small_kernelIi19rocblas_complex_numIdELi16ELb0ELb1ELc67ELc76EKPKS1_KPS1_EviT_T0_PT6_S7_lSA_S7_lS8_PT7_S7_li,"axG",@progbits,_ZL32rocblas_syrkx_herkx_small_kernelIi19rocblas_complex_numIdELi16ELb0ELb1ELc67ELc76EKPKS1_KPS1_EviT_T0_PT6_S7_lSA_S7_lS8_PT7_S7_li,comdat
	.globl	_ZL32rocblas_syrkx_herkx_small_kernelIi19rocblas_complex_numIdELi16ELb0ELb1ELc67ELc76EKPKS1_KPS1_EviT_T0_PT6_S7_lSA_S7_lS8_PT7_S7_li ; -- Begin function _ZL32rocblas_syrkx_herkx_small_kernelIi19rocblas_complex_numIdELi16ELb0ELb1ELc67ELc76EKPKS1_KPS1_EviT_T0_PT6_S7_lSA_S7_lS8_PT7_S7_li
	.p2align	8
	.type	_ZL32rocblas_syrkx_herkx_small_kernelIi19rocblas_complex_numIdELi16ELb0ELb1ELc67ELc76EKPKS1_KPS1_EviT_T0_PT6_S7_lSA_S7_lS8_PT7_S7_li,@function
_ZL32rocblas_syrkx_herkx_small_kernelIi19rocblas_complex_numIdELi16ELb0ELb1ELc67ELc76EKPKS1_KPS1_EviT_T0_PT6_S7_lSA_S7_lS8_PT7_S7_li: ; @_ZL32rocblas_syrkx_herkx_small_kernelIi19rocblas_complex_numIdELi16ELb0ELb1ELc67ELc76EKPKS1_KPS1_EviT_T0_PT6_S7_lSA_S7_lS8_PT7_S7_li
; %bb.0:
	s_load_b64 s[2:3], s[0:1], 0x58
	s_mov_b32 s18, s15
	s_mov_b32 s19, 0
	s_clause 0x1
	s_load_b64 s[20:21], s[0:1], 0x0
	s_load_b128 s[4:7], s[0:1], 0x8
	s_lshl_b64 s[22:23], s[18:19], 3
	v_dual_mov_b32 v12, 0 :: v_dual_and_b32 v17, 0x3ff, v0
	v_bfe_u32 v18, v0, 10, 10
	v_mov_b32_e32 v13, 0
	s_delay_alu instid0(VALU_DEP_3) | instskip(NEXT) | instid1(VALU_DEP_3)
	v_lshl_add_u32 v5, s13, 4, v17
	v_lshl_add_u32 v16, s14, 4, v18
	s_delay_alu instid0(VALU_DEP_3)
	v_dual_mov_b32 v15, v13 :: v_dual_mov_b32 v14, v12
	s_waitcnt lgkmcnt(0)
	s_add_u32 s2, s2, s22
	s_addc_u32 s3, s3, s23
	s_clause 0x1
	s_load_b64 s[24:25], s[0:1], 0x18
	s_load_b128 s[8:11], s[0:1], 0x48
	s_load_b64 s[16:17], s[2:3], 0x0
	v_cmp_gt_i32_e32 vcc_lo, s20, v5
	s_cmp_lt_i32 s21, 1
	s_cbranch_scc1 .LBB904_9
; %bb.1:
	s_clause 0x2
	s_load_b64 s[12:13], s[0:1], 0x30
	s_load_b32 s3, s[0:1], 0x20
	s_load_b32 s18, s[0:1], 0x38
	v_dual_mov_b32 v0, 0 :: v_dual_lshlrev_b32 v9, 4, v18
	v_dual_mov_b32 v6, 0 :: v_dual_lshlrev_b32 v19, 4, v17
	;; [unrolled: 1-line block ×3, first 2 shown]
	v_cmp_gt_i32_e64 s2, s20, v16
	s_delay_alu instid0(VALU_DEP_2) | instskip(NEXT) | instid1(VALU_DEP_4)
	v_dual_mov_b32 v13, v7 :: v_dual_add_nc_u32 v20, 0x1000, v8
	v_dual_mov_b32 v12, v6 :: v_dual_add_nc_u32 v21, v19, v8
	s_delay_alu instid0(VALU_DEP_2)
	v_dual_mov_b32 v15, v7 :: v_dual_add_nc_u32 v22, v20, v19
	v_mov_b32_e32 v14, v6
	s_waitcnt lgkmcnt(0)
	s_add_u32 s12, s12, s22
	s_addc_u32 s13, s13, s23
	s_add_u32 s14, s24, s22
	s_addc_u32 s15, s25, s23
	v_mad_i64_i32 v[1:2], null, s3, v5, 0
	s_load_b64 s[14:15], s[14:15], 0x0
	v_mad_i64_i32 v[3:4], null, s18, v16, 0
	s_load_b64 s[12:13], s[12:13], 0x0
	s_delay_alu instid0(VALU_DEP_2) | instskip(NEXT) | instid1(VALU_DEP_2)
	v_lshlrev_b64 v[1:2], 4, v[1:2]
	v_lshlrev_b64 v[3:4], 4, v[3:4]
	s_delay_alu instid0(VALU_DEP_2) | instskip(NEXT) | instid1(VALU_DEP_1)
	v_add_co_u32 v1, s3, v1, v9
	v_add_co_ci_u32_e64 v2, s3, 0, v2, s3
	s_delay_alu instid0(VALU_DEP_3) | instskip(NEXT) | instid1(VALU_DEP_1)
	v_add_co_u32 v3, s3, v3, v19
	v_add_co_ci_u32_e64 v4, s3, 0, v4, s3
	s_waitcnt lgkmcnt(0)
	v_add_co_u32 v1, s3, v1, s14
	s_delay_alu instid0(VALU_DEP_1) | instskip(SKIP_1) | instid1(VALU_DEP_1)
	v_add_co_ci_u32_e64 v2, s3, s15, v2, s3
	v_add_co_u32 v8, s3, s12, v3
	v_add_co_ci_u32_e64 v9, s3, s13, v4, s3
	s_delay_alu instid0(VALU_DEP_4) | instskip(NEXT) | instid1(VALU_DEP_1)
	v_add_co_u32 v10, s3, v1, 8
	v_add_co_ci_u32_e64 v11, s3, 0, v2, s3
	s_xor_b32 s3, s2, -1
	s_branch .LBB904_3
.LBB904_2:                              ;   in Loop: Header=BB904_3 Depth=1
	s_or_b32 exec_lo, exec_lo, s2
	s_waitcnt lgkmcnt(0)
	s_barrier
	buffer_gl0_inv
	ds_load_b128 v[1:4], v19
	ds_load_b128 v[23:26], v20
	ds_load_b128 v[27:30], v20 offset:16
	ds_load_b128 v[31:34], v19 offset:256
	v_add_co_u32 v8, s2, 0x100, v8
	s_delay_alu instid0(VALU_DEP_1) | instskip(SKIP_1) | instid1(VALU_DEP_1)
	v_add_co_ci_u32_e64 v9, s2, 0, v9, s2
	v_add_co_u32 v10, s2, 0x100, v10
	v_add_co_ci_u32_e64 v11, s2, 0, v11, s2
	s_add_i32 s19, s19, 16
	s_delay_alu instid0(SALU_CYCLE_1)
	s_cmp_ge_i32 s19, s21
	s_waitcnt lgkmcnt(2)
	v_mul_f64 v[35:36], v[25:26], v[3:4]
	v_mul_f64 v[3:4], v[23:24], v[3:4]
	s_waitcnt lgkmcnt(0)
	v_mul_f64 v[41:42], v[29:30], v[33:34]
	v_mul_f64 v[43:44], v[27:28], v[33:34]
	s_delay_alu instid0(VALU_DEP_4) | instskip(NEXT) | instid1(VALU_DEP_4)
	v_fma_f64 v[45:46], v[23:24], v[1:2], -v[35:36]
	v_fma_f64 v[47:48], v[25:26], v[1:2], v[3:4]
	ds_load_b128 v[1:4], v19 offset:512
	ds_load_b128 v[23:26], v20 offset:32
	ds_load_b128 v[33:36], v20 offset:48
	ds_load_b128 v[37:40], v19 offset:768
	v_fma_f64 v[27:28], v[27:28], v[31:32], -v[41:42]
	v_fma_f64 v[29:30], v[29:30], v[31:32], v[43:44]
	s_waitcnt lgkmcnt(2)
	v_mul_f64 v[49:50], v[25:26], v[3:4]
	v_mul_f64 v[3:4], v[23:24], v[3:4]
	s_waitcnt lgkmcnt(0)
	v_mul_f64 v[31:32], v[35:36], v[39:40]
	v_mul_f64 v[39:40], v[33:34], v[39:40]
	v_add_f64 v[14:15], v[14:15], v[45:46]
	v_add_f64 v[12:13], v[12:13], v[47:48]
	v_fma_f64 v[41:42], v[23:24], v[1:2], -v[49:50]
	v_fma_f64 v[43:44], v[25:26], v[1:2], v[3:4]
	v_fma_f64 v[31:32], v[33:34], v[37:38], -v[31:32]
	v_fma_f64 v[33:34], v[35:36], v[37:38], v[39:40]
	v_add_f64 v[45:46], v[14:15], v[27:28]
	v_add_f64 v[47:48], v[12:13], v[29:30]
	ds_load_b128 v[1:4], v19 offset:1024
	ds_load_b128 v[12:15], v20 offset:64
	;; [unrolled: 1-line block ×4, first 2 shown]
	s_waitcnt lgkmcnt(2)
	v_mul_f64 v[49:50], v[14:15], v[3:4]
	v_mul_f64 v[3:4], v[12:13], v[3:4]
	s_waitcnt lgkmcnt(0)
	v_mul_f64 v[39:40], v[25:26], v[29:30]
	v_add_f64 v[35:36], v[45:46], v[41:42]
	v_add_f64 v[37:38], v[47:48], v[43:44]
	v_mul_f64 v[41:42], v[23:24], v[29:30]
	v_fma_f64 v[43:44], v[12:13], v[1:2], -v[49:50]
	v_fma_f64 v[45:46], v[14:15], v[1:2], v[3:4]
	v_fma_f64 v[23:24], v[23:24], v[27:28], -v[39:40]
	v_add_f64 v[47:48], v[35:36], v[31:32]
	v_add_f64 v[37:38], v[37:38], v[33:34]
	ds_load_b128 v[1:4], v19 offset:1536
	ds_load_b128 v[12:15], v20 offset:96
	;; [unrolled: 1-line block ×4, first 2 shown]
	v_fma_f64 v[25:26], v[25:26], v[27:28], v[41:42]
	s_waitcnt lgkmcnt(2)
	v_mul_f64 v[49:50], v[14:15], v[3:4]
	v_mul_f64 v[3:4], v[12:13], v[3:4]
	s_waitcnt lgkmcnt(0)
	v_mul_f64 v[39:40], v[31:32], v[35:36]
	v_mul_f64 v[41:42], v[29:30], v[35:36]
	v_add_f64 v[27:28], v[47:48], v[43:44]
	v_add_f64 v[37:38], v[37:38], v[45:46]
	v_fma_f64 v[43:44], v[12:13], v[1:2], -v[49:50]
	v_fma_f64 v[45:46], v[14:15], v[1:2], v[3:4]
	v_fma_f64 v[29:30], v[29:30], v[33:34], -v[39:40]
	v_fma_f64 v[31:32], v[31:32], v[33:34], v[41:42]
	v_add_f64 v[27:28], v[27:28], v[23:24]
	v_add_f64 v[47:48], v[37:38], v[25:26]
	ds_load_b128 v[1:4], v19 offset:2048
	ds_load_b128 v[12:15], v20 offset:128
	;; [unrolled: 1-line block ×4, first 2 shown]
	s_waitcnt lgkmcnt(2)
	v_mul_f64 v[49:50], v[14:15], v[3:4]
	v_mul_f64 v[3:4], v[12:13], v[3:4]
	s_waitcnt lgkmcnt(0)
	v_mul_f64 v[39:40], v[25:26], v[37:38]
	v_mul_f64 v[37:38], v[23:24], v[37:38]
	v_add_f64 v[27:28], v[27:28], v[43:44]
	v_add_f64 v[33:34], v[47:48], v[45:46]
	v_fma_f64 v[41:42], v[12:13], v[1:2], -v[49:50]
	v_fma_f64 v[43:44], v[14:15], v[1:2], v[3:4]
	v_fma_f64 v[23:24], v[23:24], v[35:36], -v[39:40]
	v_fma_f64 v[25:26], v[25:26], v[35:36], v[37:38]
	v_add_f64 v[45:46], v[27:28], v[29:30]
	v_add_f64 v[47:48], v[33:34], v[31:32]
	ds_load_b128 v[1:4], v19 offset:2560
	ds_load_b128 v[12:15], v20 offset:160
	;; [unrolled: 1-line block ×4, first 2 shown]
	s_waitcnt lgkmcnt(2)
	v_mul_f64 v[49:50], v[14:15], v[3:4]
	v_mul_f64 v[3:4], v[12:13], v[3:4]
	s_waitcnt lgkmcnt(0)
	v_mul_f64 v[39:40], v[29:30], v[33:34]
	v_add_f64 v[35:36], v[45:46], v[41:42]
	v_add_f64 v[37:38], v[47:48], v[43:44]
	v_mul_f64 v[41:42], v[27:28], v[33:34]
	v_fma_f64 v[43:44], v[12:13], v[1:2], -v[49:50]
	v_fma_f64 v[45:46], v[14:15], v[1:2], v[3:4]
	v_fma_f64 v[27:28], v[27:28], v[31:32], -v[39:40]
	v_add_f64 v[47:48], v[35:36], v[23:24]
	v_add_f64 v[37:38], v[37:38], v[25:26]
	ds_load_b128 v[1:4], v19 offset:3072
	ds_load_b128 v[12:15], v20 offset:192
	ds_load_b128 v[23:26], v20 offset:208
	ds_load_b128 v[33:36], v19 offset:3328
	v_fma_f64 v[29:30], v[29:30], v[31:32], v[41:42]
	s_waitcnt lgkmcnt(2)
	v_mul_f64 v[49:50], v[14:15], v[3:4]
	v_mul_f64 v[3:4], v[12:13], v[3:4]
	s_waitcnt lgkmcnt(0)
	v_mul_f64 v[39:40], v[25:26], v[35:36]
	v_mul_f64 v[41:42], v[23:24], v[35:36]
	v_add_f64 v[31:32], v[47:48], v[43:44]
	v_add_f64 v[37:38], v[37:38], v[45:46]
	v_fma_f64 v[43:44], v[12:13], v[1:2], -v[49:50]
	v_fma_f64 v[45:46], v[14:15], v[1:2], v[3:4]
	v_fma_f64 v[23:24], v[23:24], v[33:34], -v[39:40]
	v_fma_f64 v[25:26], v[25:26], v[33:34], v[41:42]
	v_add_f64 v[31:32], v[31:32], v[27:28]
	v_add_f64 v[47:48], v[37:38], v[29:30]
	ds_load_b128 v[1:4], v19 offset:3584
	ds_load_b128 v[12:15], v20 offset:224
	ds_load_b128 v[27:30], v20 offset:240
	ds_load_b128 v[35:38], v19 offset:3840
	s_waitcnt lgkmcnt(0)
	s_barrier
	buffer_gl0_inv
	v_mul_f64 v[49:50], v[14:15], v[3:4]
	v_mul_f64 v[3:4], v[12:13], v[3:4]
	;; [unrolled: 1-line block ×4, first 2 shown]
	v_add_f64 v[31:32], v[31:32], v[43:44]
	v_add_f64 v[33:34], v[47:48], v[45:46]
	v_fma_f64 v[12:13], v[12:13], v[1:2], -v[49:50]
	v_fma_f64 v[1:2], v[14:15], v[1:2], v[3:4]
	s_delay_alu instid0(VALU_DEP_4) | instskip(NEXT) | instid1(VALU_DEP_4)
	v_add_f64 v[3:4], v[31:32], v[23:24]
	v_add_f64 v[14:15], v[33:34], v[25:26]
	v_fma_f64 v[23:24], v[27:28], v[35:36], -v[39:40]
	v_fma_f64 v[25:26], v[29:30], v[35:36], v[37:38]
	s_delay_alu instid0(VALU_DEP_4) | instskip(NEXT) | instid1(VALU_DEP_4)
	v_add_f64 v[3:4], v[3:4], v[12:13]
	v_add_f64 v[1:2], v[14:15], v[1:2]
	s_delay_alu instid0(VALU_DEP_2) | instskip(NEXT) | instid1(VALU_DEP_2)
	v_add_f64 v[14:15], v[3:4], v[23:24]
	v_add_f64 v[12:13], v[1:2], v[25:26]
	s_cbranch_scc1 .LBB904_9
.LBB904_3:                              ; =>This Inner Loop Header: Depth=1
	v_add_nc_u32_e32 v1, s19, v18
	v_dual_mov_b32 v3, v6 :: v_dual_mov_b32 v4, v7
	s_delay_alu instid0(VALU_DEP_2) | instskip(SKIP_1) | instid1(VALU_DEP_2)
	v_cmp_gt_i32_e64 s2, s21, v1
	v_dual_mov_b32 v1, v6 :: v_dual_mov_b32 v2, v7
	s_and_b32 s12, vcc_lo, s2
	s_delay_alu instid0(SALU_CYCLE_1)
	s_and_saveexec_b32 s2, s12
	s_cbranch_execz .LBB904_5
; %bb.4:                                ;   in Loop: Header=BB904_3 Depth=1
	global_load_b128 v[1:4], v[10:11], off offset:-8
	s_waitcnt vmcnt(0)
	v_xor_b32_e32 v4, 0x80000000, v4
.LBB904_5:                              ;   in Loop: Header=BB904_3 Depth=1
	s_or_b32 exec_lo, exec_lo, s2
	v_add_nc_u32_e32 v23, s19, v17
	ds_store_b128 v21, v[1:4]
	v_cmp_le_i32_e64 s2, s21, v23
	s_delay_alu instid0(VALU_DEP_1) | instskip(NEXT) | instid1(SALU_CYCLE_1)
	s_or_b32 s2, s3, s2
	s_and_saveexec_b32 s12, s2
	s_delay_alu instid0(SALU_CYCLE_1)
	s_xor_b32 s2, exec_lo, s12
	s_cbranch_execz .LBB904_7
; %bb.6:                                ;   in Loop: Header=BB904_3 Depth=1
	v_mov_b32_e32 v1, v0
	v_mov_b32_e32 v2, v0
	;; [unrolled: 1-line block ×3, first 2 shown]
	ds_store_b128 v22, v[0:3]
.LBB904_7:                              ;   in Loop: Header=BB904_3 Depth=1
	s_and_not1_saveexec_b32 s2, s2
	s_cbranch_execz .LBB904_2
; %bb.8:                                ;   in Loop: Header=BB904_3 Depth=1
	global_load_b128 v[1:4], v[8:9], off
	s_waitcnt vmcnt(0)
	ds_store_2addr_b64 v22, v[1:2], v[3:4] offset1:1
	s_branch .LBB904_2
.LBB904_9:
	v_cmp_le_i32_e32 vcc_lo, v16, v5
	v_cmp_gt_i32_e64 s2, s20, v5
	s_delay_alu instid0(VALU_DEP_1) | instskip(NEXT) | instid1(SALU_CYCLE_1)
	s_and_b32 s2, vcc_lo, s2
	s_and_saveexec_b32 s3, s2
	s_cbranch_execz .LBB904_11
; %bb.10:
	s_load_b32 s0, s[0:1], 0x60
	v_ashrrev_i32_e32 v6, 31, v5
	s_delay_alu instid0(VALU_DEP_4) | instskip(SKIP_1) | instid1(VALU_DEP_3)
	v_mul_f64 v[8:9], s[4:5], v[12:13]
	v_mul_f64 v[12:13], s[6:7], v[12:13]
	v_lshlrev_b64 v[2:3], 4, v[5:6]
	s_waitcnt lgkmcnt(0)
	v_mad_i64_i32 v[0:1], null, s0, v16, 0
	s_delay_alu instid0(VALU_DEP_1) | instskip(NEXT) | instid1(VALU_DEP_1)
	v_lshlrev_b64 v[0:1], 4, v[0:1]
	v_add_co_u32 v0, vcc_lo, s16, v0
	s_delay_alu instid0(VALU_DEP_2) | instskip(NEXT) | instid1(VALU_DEP_2)
	v_add_co_ci_u32_e32 v1, vcc_lo, s17, v1, vcc_lo
	v_add_co_u32 v6, vcc_lo, v0, v2
	s_delay_alu instid0(VALU_DEP_2)
	v_add_co_ci_u32_e32 v7, vcc_lo, v1, v3, vcc_lo
	v_fma_f64 v[8:9], s[6:7], v[14:15], v[8:9]
	v_fma_f64 v[12:13], s[4:5], v[14:15], -v[12:13]
	v_cmp_ne_u32_e32 vcc_lo, v5, v16
	global_load_b128 v[0:3], v[6:7], off
	s_waitcnt vmcnt(0)
	v_mul_f64 v[10:11], s[8:9], v[2:3]
	v_mul_f64 v[2:3], s[10:11], v[2:3]
	s_delay_alu instid0(VALU_DEP_2) | instskip(NEXT) | instid1(VALU_DEP_2)
	v_fma_f64 v[10:11], s[10:11], v[0:1], v[10:11]
	v_fma_f64 v[0:1], s[8:9], v[0:1], -v[2:3]
	s_delay_alu instid0(VALU_DEP_2) | instskip(NEXT) | instid1(VALU_DEP_2)
	v_add_f64 v[2:3], v[8:9], v[10:11]
	v_add_f64 v[0:1], v[12:13], v[0:1]
	s_delay_alu instid0(VALU_DEP_2)
	v_dual_cndmask_b32 v3, 0, v3 :: v_dual_cndmask_b32 v2, 0, v2
	global_store_b128 v[6:7], v[0:3], off
.LBB904_11:
	s_nop 0
	s_sendmsg sendmsg(MSG_DEALLOC_VGPRS)
	s_endpgm
	.section	.rodata,"a",@progbits
	.p2align	6, 0x0
	.amdhsa_kernel _ZL32rocblas_syrkx_herkx_small_kernelIi19rocblas_complex_numIdELi16ELb0ELb1ELc67ELc76EKPKS1_KPS1_EviT_T0_PT6_S7_lSA_S7_lS8_PT7_S7_li
		.amdhsa_group_segment_fixed_size 8192
		.amdhsa_private_segment_fixed_size 0
		.amdhsa_kernarg_size 116
		.amdhsa_user_sgpr_count 13
		.amdhsa_user_sgpr_dispatch_ptr 0
		.amdhsa_user_sgpr_queue_ptr 0
		.amdhsa_user_sgpr_kernarg_segment_ptr 1
		.amdhsa_user_sgpr_dispatch_id 0
		.amdhsa_user_sgpr_private_segment_size 0
		.amdhsa_wavefront_size32 1
		.amdhsa_uses_dynamic_stack 0
		.amdhsa_enable_private_segment 0
		.amdhsa_system_sgpr_workgroup_id_x 1
		.amdhsa_system_sgpr_workgroup_id_y 1
		.amdhsa_system_sgpr_workgroup_id_z 1
		.amdhsa_system_sgpr_workgroup_info 0
		.amdhsa_system_vgpr_workitem_id 1
		.amdhsa_next_free_vgpr 51
		.amdhsa_next_free_sgpr 26
		.amdhsa_reserve_vcc 1
		.amdhsa_float_round_mode_32 0
		.amdhsa_float_round_mode_16_64 0
		.amdhsa_float_denorm_mode_32 3
		.amdhsa_float_denorm_mode_16_64 3
		.amdhsa_dx10_clamp 1
		.amdhsa_ieee_mode 1
		.amdhsa_fp16_overflow 0
		.amdhsa_workgroup_processor_mode 1
		.amdhsa_memory_ordered 1
		.amdhsa_forward_progress 0
		.amdhsa_shared_vgpr_count 0
		.amdhsa_exception_fp_ieee_invalid_op 0
		.amdhsa_exception_fp_denorm_src 0
		.amdhsa_exception_fp_ieee_div_zero 0
		.amdhsa_exception_fp_ieee_overflow 0
		.amdhsa_exception_fp_ieee_underflow 0
		.amdhsa_exception_fp_ieee_inexact 0
		.amdhsa_exception_int_div_zero 0
	.end_amdhsa_kernel
	.section	.text._ZL32rocblas_syrkx_herkx_small_kernelIi19rocblas_complex_numIdELi16ELb0ELb1ELc67ELc76EKPKS1_KPS1_EviT_T0_PT6_S7_lSA_S7_lS8_PT7_S7_li,"axG",@progbits,_ZL32rocblas_syrkx_herkx_small_kernelIi19rocblas_complex_numIdELi16ELb0ELb1ELc67ELc76EKPKS1_KPS1_EviT_T0_PT6_S7_lSA_S7_lS8_PT7_S7_li,comdat
.Lfunc_end904:
	.size	_ZL32rocblas_syrkx_herkx_small_kernelIi19rocblas_complex_numIdELi16ELb0ELb1ELc67ELc76EKPKS1_KPS1_EviT_T0_PT6_S7_lSA_S7_lS8_PT7_S7_li, .Lfunc_end904-_ZL32rocblas_syrkx_herkx_small_kernelIi19rocblas_complex_numIdELi16ELb0ELb1ELc67ELc76EKPKS1_KPS1_EviT_T0_PT6_S7_lSA_S7_lS8_PT7_S7_li
                                        ; -- End function
	.section	.AMDGPU.csdata,"",@progbits
; Kernel info:
; codeLenInByte = 2032
; NumSgprs: 28
; NumVgprs: 51
; ScratchSize: 0
; MemoryBound: 1
; FloatMode: 240
; IeeeMode: 1
; LDSByteSize: 8192 bytes/workgroup (compile time only)
; SGPRBlocks: 3
; VGPRBlocks: 6
; NumSGPRsForWavesPerEU: 28
; NumVGPRsForWavesPerEU: 51
; Occupancy: 16
; WaveLimiterHint : 1
; COMPUTE_PGM_RSRC2:SCRATCH_EN: 0
; COMPUTE_PGM_RSRC2:USER_SGPR: 13
; COMPUTE_PGM_RSRC2:TRAP_HANDLER: 0
; COMPUTE_PGM_RSRC2:TGID_X_EN: 1
; COMPUTE_PGM_RSRC2:TGID_Y_EN: 1
; COMPUTE_PGM_RSRC2:TGID_Z_EN: 1
; COMPUTE_PGM_RSRC2:TIDIG_COMP_CNT: 1
	.section	.text._ZL32rocblas_syrkx_herkx_small_kernelIi19rocblas_complex_numIdELi16ELb0ELb1ELc78ELc76EKPKS1_KPS1_EviT_T0_PT6_S7_lSA_S7_lS8_PT7_S7_li,"axG",@progbits,_ZL32rocblas_syrkx_herkx_small_kernelIi19rocblas_complex_numIdELi16ELb0ELb1ELc78ELc76EKPKS1_KPS1_EviT_T0_PT6_S7_lSA_S7_lS8_PT7_S7_li,comdat
	.globl	_ZL32rocblas_syrkx_herkx_small_kernelIi19rocblas_complex_numIdELi16ELb0ELb1ELc78ELc76EKPKS1_KPS1_EviT_T0_PT6_S7_lSA_S7_lS8_PT7_S7_li ; -- Begin function _ZL32rocblas_syrkx_herkx_small_kernelIi19rocblas_complex_numIdELi16ELb0ELb1ELc78ELc76EKPKS1_KPS1_EviT_T0_PT6_S7_lSA_S7_lS8_PT7_S7_li
	.p2align	8
	.type	_ZL32rocblas_syrkx_herkx_small_kernelIi19rocblas_complex_numIdELi16ELb0ELb1ELc78ELc76EKPKS1_KPS1_EviT_T0_PT6_S7_lSA_S7_lS8_PT7_S7_li,@function
_ZL32rocblas_syrkx_herkx_small_kernelIi19rocblas_complex_numIdELi16ELb0ELb1ELc78ELc76EKPKS1_KPS1_EviT_T0_PT6_S7_lSA_S7_lS8_PT7_S7_li: ; @_ZL32rocblas_syrkx_herkx_small_kernelIi19rocblas_complex_numIdELi16ELb0ELb1ELc78ELc76EKPKS1_KPS1_EviT_T0_PT6_S7_lSA_S7_lS8_PT7_S7_li
; %bb.0:
	s_load_b64 s[2:3], s[0:1], 0x58
	s_mov_b32 s18, s15
	s_mov_b32 s19, 0
	s_clause 0x1
	s_load_b64 s[20:21], s[0:1], 0x0
	s_load_b128 s[4:7], s[0:1], 0x8
	s_lshl_b64 s[22:23], s[18:19], 3
	v_and_b32_e32 v16, 0x3ff, v0
	v_mov_b32_e32 v12, 0
	v_mov_b32_e32 v13, 0
	v_bfe_u32 v17, v0, 10, 10
	s_delay_alu instid0(VALU_DEP_4) | instskip(NEXT) | instid1(VALU_DEP_3)
	v_lshl_add_u32 v5, s13, 4, v16
	v_dual_mov_b32 v15, v13 :: v_dual_mov_b32 v14, v12
	s_delay_alu instid0(VALU_DEP_3) | instskip(NEXT) | instid1(VALU_DEP_3)
	v_lshl_add_u32 v7, s14, 4, v17
	v_ashrrev_i32_e32 v6, 31, v5
	s_waitcnt lgkmcnt(0)
	s_add_u32 s2, s2, s22
	s_addc_u32 s3, s3, s23
	s_clause 0x1
	s_load_b64 s[24:25], s[0:1], 0x18
	s_load_b128 s[8:11], s[0:1], 0x48
	s_load_b64 s[16:17], s[2:3], 0x0
	v_cmp_gt_i32_e64 s2, s20, v5
	s_cmp_lt_i32 s21, 1
	s_cbranch_scc1 .LBB905_9
; %bb.1:
	s_clause 0x2
	s_load_b32 s14, s[0:1], 0x20
	s_load_b32 s12, s[0:1], 0x38
	s_load_b64 s[26:27], s[0:1], 0x30
	v_ashrrev_i32_e32 v8, 31, v7
	v_lshlrev_b64 v[1:2], 4, v[5:6]
	v_dual_mov_b32 v12, 0 :: v_dual_lshlrev_b32 v11, 8, v17
	v_dual_mov_b32 v13, 0 :: v_dual_lshlrev_b32 v18, 4, v16
	s_delay_alu instid0(VALU_DEP_4) | instskip(NEXT) | instid1(VALU_DEP_3)
	v_lshlrev_b64 v[14:15], 4, v[7:8]
	v_dual_mov_b32 v0, 0 :: v_dual_add_nc_u32 v19, 0x1000, v11
	s_delay_alu instid0(VALU_DEP_3) | instskip(SKIP_1) | instid1(VALU_DEP_3)
	v_add_nc_u32_e32 v20, v18, v11
	v_cmp_gt_i32_e32 vcc_lo, s20, v7
	v_add_nc_u32_e32 v21, v19, v18
	s_waitcnt lgkmcnt(0)
	s_ashr_i32 s15, s14, 31
	s_ashr_i32 s13, s12, 31
	s_add_u32 s26, s26, s22
	s_addc_u32 s27, s27, s23
	v_mad_i64_i32 v[3:4], null, s12, v16, 0
	s_load_b64 s[26:27], s[26:27], 0x0
	s_add_u32 s22, s24, s22
	s_addc_u32 s23, s25, s23
	v_mad_i64_i32 v[9:10], null, s14, v17, 0
	s_load_b64 s[22:23], s[22:23], 0x0
	s_delay_alu instid0(VALU_DEP_2) | instskip(SKIP_2) | instid1(VALU_DEP_2)
	v_lshlrev_b64 v[3:4], 4, v[3:4]
	s_lshl_b64 s[12:13], s[12:13], 8
	s_lshl_b64 s[14:15], s[14:15], 8
	v_lshlrev_b64 v[8:9], 4, v[9:10]
	s_delay_alu instid0(VALU_DEP_2) | instskip(NEXT) | instid1(VALU_DEP_1)
	v_add_co_u32 v3, s3, v3, v14
	v_add_co_ci_u32_e64 v4, s3, v4, v15, s3
	v_dual_mov_b32 v15, v13 :: v_dual_mov_b32 v14, v12
	s_delay_alu instid0(VALU_DEP_4) | instskip(NEXT) | instid1(VALU_DEP_1)
	v_add_co_u32 v1, s3, v8, v1
	v_add_co_ci_u32_e64 v2, s3, v9, v2, s3
	s_waitcnt lgkmcnt(0)
	v_add_co_u32 v3, s3, v3, s26
	s_delay_alu instid0(VALU_DEP_1) | instskip(SKIP_1) | instid1(VALU_DEP_1)
	v_add_co_ci_u32_e64 v4, s3, s27, v4, s3
	v_add_co_u32 v8, s3, s22, v1
	v_add_co_ci_u32_e64 v9, s3, s23, v2, s3
	s_delay_alu instid0(VALU_DEP_4) | instskip(NEXT) | instid1(VALU_DEP_1)
	v_add_co_u32 v10, s3, v3, 8
	v_add_co_ci_u32_e64 v11, s3, 0, v4, s3
	s_xor_b32 s3, s2, -1
	s_branch .LBB905_3
.LBB905_2:                              ;   in Loop: Header=BB905_3 Depth=1
	s_or_b32 exec_lo, exec_lo, s2
	ds_store_b128 v21, v[1:4]
	s_waitcnt lgkmcnt(0)
	s_barrier
	buffer_gl0_inv
	ds_load_b128 v[1:4], v18
	ds_load_b128 v[22:25], v19
	ds_load_b128 v[26:29], v19 offset:16
	ds_load_b128 v[30:33], v18 offset:256
	v_add_co_u32 v10, s2, v10, s12
	s_delay_alu instid0(VALU_DEP_1) | instskip(SKIP_1) | instid1(VALU_DEP_1)
	v_add_co_ci_u32_e64 v11, s2, s13, v11, s2
	v_add_co_u32 v8, s2, v8, s14
	v_add_co_ci_u32_e64 v9, s2, s15, v9, s2
	s_add_i32 s19, s19, 16
	s_delay_alu instid0(SALU_CYCLE_1)
	s_cmp_ge_i32 s19, s21
	s_waitcnt lgkmcnt(2)
	v_mul_f64 v[34:35], v[24:25], v[3:4]
	v_mul_f64 v[3:4], v[22:23], v[3:4]
	s_waitcnt lgkmcnt(0)
	v_mul_f64 v[40:41], v[28:29], v[32:33]
	v_mul_f64 v[42:43], v[26:27], v[32:33]
	s_delay_alu instid0(VALU_DEP_4) | instskip(NEXT) | instid1(VALU_DEP_4)
	v_fma_f64 v[44:45], v[22:23], v[1:2], -v[34:35]
	v_fma_f64 v[46:47], v[24:25], v[1:2], v[3:4]
	ds_load_b128 v[1:4], v18 offset:512
	ds_load_b128 v[22:25], v19 offset:32
	;; [unrolled: 1-line block ×4, first 2 shown]
	v_fma_f64 v[26:27], v[26:27], v[30:31], -v[40:41]
	v_fma_f64 v[28:29], v[28:29], v[30:31], v[42:43]
	s_waitcnt lgkmcnt(2)
	v_mul_f64 v[48:49], v[24:25], v[3:4]
	v_mul_f64 v[3:4], v[22:23], v[3:4]
	s_waitcnt lgkmcnt(0)
	v_mul_f64 v[30:31], v[34:35], v[38:39]
	v_mul_f64 v[38:39], v[32:33], v[38:39]
	v_add_f64 v[14:15], v[14:15], v[44:45]
	v_add_f64 v[12:13], v[12:13], v[46:47]
	v_fma_f64 v[40:41], v[22:23], v[1:2], -v[48:49]
	v_fma_f64 v[42:43], v[24:25], v[1:2], v[3:4]
	v_fma_f64 v[30:31], v[32:33], v[36:37], -v[30:31]
	v_fma_f64 v[32:33], v[34:35], v[36:37], v[38:39]
	v_add_f64 v[44:45], v[14:15], v[26:27]
	v_add_f64 v[46:47], v[12:13], v[28:29]
	ds_load_b128 v[1:4], v18 offset:1024
	ds_load_b128 v[12:15], v19 offset:64
	;; [unrolled: 1-line block ×4, first 2 shown]
	s_waitcnt lgkmcnt(2)
	v_mul_f64 v[48:49], v[14:15], v[3:4]
	v_mul_f64 v[3:4], v[12:13], v[3:4]
	s_waitcnt lgkmcnt(0)
	v_mul_f64 v[38:39], v[24:25], v[28:29]
	v_add_f64 v[34:35], v[44:45], v[40:41]
	v_add_f64 v[36:37], v[46:47], v[42:43]
	v_mul_f64 v[40:41], v[22:23], v[28:29]
	v_fma_f64 v[42:43], v[12:13], v[1:2], -v[48:49]
	v_fma_f64 v[44:45], v[14:15], v[1:2], v[3:4]
	v_fma_f64 v[22:23], v[22:23], v[26:27], -v[38:39]
	v_add_f64 v[46:47], v[34:35], v[30:31]
	v_add_f64 v[36:37], v[36:37], v[32:33]
	ds_load_b128 v[1:4], v18 offset:1536
	ds_load_b128 v[12:15], v19 offset:96
	;; [unrolled: 1-line block ×4, first 2 shown]
	v_fma_f64 v[24:25], v[24:25], v[26:27], v[40:41]
	s_waitcnt lgkmcnt(2)
	v_mul_f64 v[48:49], v[14:15], v[3:4]
	v_mul_f64 v[3:4], v[12:13], v[3:4]
	s_waitcnt lgkmcnt(0)
	v_mul_f64 v[38:39], v[30:31], v[34:35]
	v_mul_f64 v[40:41], v[28:29], v[34:35]
	v_add_f64 v[26:27], v[46:47], v[42:43]
	v_add_f64 v[36:37], v[36:37], v[44:45]
	v_fma_f64 v[42:43], v[12:13], v[1:2], -v[48:49]
	v_fma_f64 v[44:45], v[14:15], v[1:2], v[3:4]
	v_fma_f64 v[28:29], v[28:29], v[32:33], -v[38:39]
	v_fma_f64 v[30:31], v[30:31], v[32:33], v[40:41]
	v_add_f64 v[26:27], v[26:27], v[22:23]
	v_add_f64 v[46:47], v[36:37], v[24:25]
	ds_load_b128 v[1:4], v18 offset:2048
	ds_load_b128 v[12:15], v19 offset:128
	;; [unrolled: 1-line block ×4, first 2 shown]
	s_waitcnt lgkmcnt(2)
	v_mul_f64 v[48:49], v[14:15], v[3:4]
	v_mul_f64 v[3:4], v[12:13], v[3:4]
	s_waitcnt lgkmcnt(0)
	v_mul_f64 v[38:39], v[24:25], v[36:37]
	v_mul_f64 v[36:37], v[22:23], v[36:37]
	v_add_f64 v[26:27], v[26:27], v[42:43]
	v_add_f64 v[32:33], v[46:47], v[44:45]
	v_fma_f64 v[40:41], v[12:13], v[1:2], -v[48:49]
	v_fma_f64 v[42:43], v[14:15], v[1:2], v[3:4]
	v_fma_f64 v[22:23], v[22:23], v[34:35], -v[38:39]
	v_fma_f64 v[24:25], v[24:25], v[34:35], v[36:37]
	v_add_f64 v[44:45], v[26:27], v[28:29]
	v_add_f64 v[46:47], v[32:33], v[30:31]
	ds_load_b128 v[1:4], v18 offset:2560
	ds_load_b128 v[12:15], v19 offset:160
	;; [unrolled: 1-line block ×4, first 2 shown]
	s_waitcnt lgkmcnt(2)
	v_mul_f64 v[48:49], v[14:15], v[3:4]
	v_mul_f64 v[3:4], v[12:13], v[3:4]
	s_waitcnt lgkmcnt(0)
	v_mul_f64 v[38:39], v[28:29], v[32:33]
	v_add_f64 v[34:35], v[44:45], v[40:41]
	v_add_f64 v[36:37], v[46:47], v[42:43]
	v_mul_f64 v[40:41], v[26:27], v[32:33]
	v_fma_f64 v[42:43], v[12:13], v[1:2], -v[48:49]
	v_fma_f64 v[44:45], v[14:15], v[1:2], v[3:4]
	v_fma_f64 v[26:27], v[26:27], v[30:31], -v[38:39]
	v_add_f64 v[46:47], v[34:35], v[22:23]
	v_add_f64 v[36:37], v[36:37], v[24:25]
	ds_load_b128 v[1:4], v18 offset:3072
	ds_load_b128 v[12:15], v19 offset:192
	ds_load_b128 v[22:25], v19 offset:208
	ds_load_b128 v[32:35], v18 offset:3328
	v_fma_f64 v[28:29], v[28:29], v[30:31], v[40:41]
	s_waitcnt lgkmcnt(2)
	v_mul_f64 v[48:49], v[14:15], v[3:4]
	v_mul_f64 v[3:4], v[12:13], v[3:4]
	s_waitcnt lgkmcnt(0)
	v_mul_f64 v[38:39], v[24:25], v[34:35]
	v_mul_f64 v[40:41], v[22:23], v[34:35]
	v_add_f64 v[30:31], v[46:47], v[42:43]
	v_add_f64 v[36:37], v[36:37], v[44:45]
	v_fma_f64 v[42:43], v[12:13], v[1:2], -v[48:49]
	v_fma_f64 v[44:45], v[14:15], v[1:2], v[3:4]
	v_fma_f64 v[22:23], v[22:23], v[32:33], -v[38:39]
	v_fma_f64 v[24:25], v[24:25], v[32:33], v[40:41]
	v_add_f64 v[30:31], v[30:31], v[26:27]
	v_add_f64 v[46:47], v[36:37], v[28:29]
	ds_load_b128 v[1:4], v18 offset:3584
	ds_load_b128 v[12:15], v19 offset:224
	;; [unrolled: 1-line block ×4, first 2 shown]
	s_waitcnt lgkmcnt(0)
	s_barrier
	buffer_gl0_inv
	v_mul_f64 v[48:49], v[14:15], v[3:4]
	v_mul_f64 v[3:4], v[12:13], v[3:4]
	;; [unrolled: 1-line block ×4, first 2 shown]
	v_add_f64 v[30:31], v[30:31], v[42:43]
	v_add_f64 v[32:33], v[46:47], v[44:45]
	v_fma_f64 v[12:13], v[12:13], v[1:2], -v[48:49]
	v_fma_f64 v[1:2], v[14:15], v[1:2], v[3:4]
	s_delay_alu instid0(VALU_DEP_4) | instskip(NEXT) | instid1(VALU_DEP_4)
	v_add_f64 v[3:4], v[30:31], v[22:23]
	v_add_f64 v[14:15], v[32:33], v[24:25]
	v_fma_f64 v[22:23], v[26:27], v[34:35], -v[38:39]
	v_fma_f64 v[24:25], v[28:29], v[34:35], v[36:37]
	s_delay_alu instid0(VALU_DEP_4) | instskip(NEXT) | instid1(VALU_DEP_4)
	v_add_f64 v[3:4], v[3:4], v[12:13]
	v_add_f64 v[1:2], v[14:15], v[1:2]
	s_delay_alu instid0(VALU_DEP_2) | instskip(NEXT) | instid1(VALU_DEP_2)
	v_add_f64 v[14:15], v[3:4], v[22:23]
	v_add_f64 v[12:13], v[1:2], v[24:25]
	s_cbranch_scc1 .LBB905_9
.LBB905_3:                              ; =>This Inner Loop Header: Depth=1
	v_add_nc_u32_e32 v1, s19, v17
	s_delay_alu instid0(VALU_DEP_1) | instskip(NEXT) | instid1(VALU_DEP_1)
	v_cmp_le_i32_e64 s2, s21, v1
	s_or_b32 s2, s3, s2
	s_delay_alu instid0(SALU_CYCLE_1) | instskip(NEXT) | instid1(SALU_CYCLE_1)
	s_and_saveexec_b32 s18, s2
	s_xor_b32 s2, exec_lo, s18
	s_cbranch_execz .LBB905_5
; %bb.4:                                ;   in Loop: Header=BB905_3 Depth=1
	v_mov_b32_e32 v1, v0
	v_mov_b32_e32 v2, v0
	;; [unrolled: 1-line block ×3, first 2 shown]
	ds_store_b128 v20, v[0:3]
.LBB905_5:                              ;   in Loop: Header=BB905_3 Depth=1
	s_and_not1_saveexec_b32 s2, s2
	s_cbranch_execz .LBB905_7
; %bb.6:                                ;   in Loop: Header=BB905_3 Depth=1
	global_load_b128 v[1:4], v[8:9], off
	s_waitcnt vmcnt(0)
	ds_store_2addr_b64 v20, v[1:2], v[3:4] offset1:1
.LBB905_7:                              ;   in Loop: Header=BB905_3 Depth=1
	s_or_b32 exec_lo, exec_lo, s2
	v_add_nc_u32_e32 v3, s19, v16
	v_mov_b32_e32 v1, 0
	v_mov_b32_e32 v2, 0
	s_delay_alu instid0(VALU_DEP_3) | instskip(NEXT) | instid1(VALU_DEP_2)
	v_cmp_gt_i32_e64 s2, s21, v3
	v_dual_mov_b32 v4, v2 :: v_dual_mov_b32 v3, v1
	s_delay_alu instid0(VALU_DEP_2) | instskip(NEXT) | instid1(SALU_CYCLE_1)
	s_and_b32 s18, vcc_lo, s2
	s_and_saveexec_b32 s2, s18
	s_cbranch_execz .LBB905_2
; %bb.8:                                ;   in Loop: Header=BB905_3 Depth=1
	global_load_b128 v[1:4], v[10:11], off offset:-8
	s_waitcnt vmcnt(0)
	v_xor_b32_e32 v4, 0x80000000, v4
	s_branch .LBB905_2
.LBB905_9:
	v_cmp_le_i32_e32 vcc_lo, v7, v5
	v_cmp_gt_i32_e64 s2, s20, v5
	s_delay_alu instid0(VALU_DEP_1) | instskip(NEXT) | instid1(SALU_CYCLE_1)
	s_and_b32 s2, vcc_lo, s2
	s_and_saveexec_b32 s3, s2
	s_cbranch_execz .LBB905_11
; %bb.10:
	s_load_b32 s0, s[0:1], 0x60
	v_lshlrev_b64 v[2:3], 4, v[5:6]
	s_delay_alu instid0(VALU_DEP_4) | instskip(SKIP_3) | instid1(VALU_DEP_1)
	v_mul_f64 v[10:11], s[4:5], v[12:13]
	v_mul_f64 v[12:13], s[6:7], v[12:13]
	s_waitcnt lgkmcnt(0)
	v_mad_i64_i32 v[0:1], null, s0, v7, 0
	v_lshlrev_b64 v[0:1], 4, v[0:1]
	s_delay_alu instid0(VALU_DEP_1) | instskip(NEXT) | instid1(VALU_DEP_2)
	v_add_co_u32 v0, vcc_lo, s16, v0
	v_add_co_ci_u32_e32 v1, vcc_lo, s17, v1, vcc_lo
	s_delay_alu instid0(VALU_DEP_2) | instskip(NEXT) | instid1(VALU_DEP_2)
	v_add_co_u32 v8, vcc_lo, v0, v2
	v_add_co_ci_u32_e32 v9, vcc_lo, v1, v3, vcc_lo
	v_fma_f64 v[10:11], s[6:7], v[14:15], v[10:11]
	v_fma_f64 v[12:13], s[4:5], v[14:15], -v[12:13]
	v_cmp_ne_u32_e32 vcc_lo, v5, v7
	global_load_b128 v[0:3], v[8:9], off
	s_waitcnt vmcnt(0)
	v_mul_f64 v[16:17], s[8:9], v[2:3]
	v_mul_f64 v[2:3], s[10:11], v[2:3]
	s_delay_alu instid0(VALU_DEP_2) | instskip(NEXT) | instid1(VALU_DEP_2)
	v_fma_f64 v[16:17], s[10:11], v[0:1], v[16:17]
	v_fma_f64 v[0:1], s[8:9], v[0:1], -v[2:3]
	s_delay_alu instid0(VALU_DEP_2) | instskip(NEXT) | instid1(VALU_DEP_2)
	v_add_f64 v[2:3], v[10:11], v[16:17]
	v_add_f64 v[0:1], v[12:13], v[0:1]
	s_delay_alu instid0(VALU_DEP_2)
	v_dual_cndmask_b32 v3, 0, v3 :: v_dual_cndmask_b32 v2, 0, v2
	global_store_b128 v[8:9], v[0:3], off
.LBB905_11:
	s_nop 0
	s_sendmsg sendmsg(MSG_DEALLOC_VGPRS)
	s_endpgm
	.section	.rodata,"a",@progbits
	.p2align	6, 0x0
	.amdhsa_kernel _ZL32rocblas_syrkx_herkx_small_kernelIi19rocblas_complex_numIdELi16ELb0ELb1ELc78ELc76EKPKS1_KPS1_EviT_T0_PT6_S7_lSA_S7_lS8_PT7_S7_li
		.amdhsa_group_segment_fixed_size 8192
		.amdhsa_private_segment_fixed_size 0
		.amdhsa_kernarg_size 116
		.amdhsa_user_sgpr_count 13
		.amdhsa_user_sgpr_dispatch_ptr 0
		.amdhsa_user_sgpr_queue_ptr 0
		.amdhsa_user_sgpr_kernarg_segment_ptr 1
		.amdhsa_user_sgpr_dispatch_id 0
		.amdhsa_user_sgpr_private_segment_size 0
		.amdhsa_wavefront_size32 1
		.amdhsa_uses_dynamic_stack 0
		.amdhsa_enable_private_segment 0
		.amdhsa_system_sgpr_workgroup_id_x 1
		.amdhsa_system_sgpr_workgroup_id_y 1
		.amdhsa_system_sgpr_workgroup_id_z 1
		.amdhsa_system_sgpr_workgroup_info 0
		.amdhsa_system_vgpr_workitem_id 1
		.amdhsa_next_free_vgpr 50
		.amdhsa_next_free_sgpr 28
		.amdhsa_reserve_vcc 1
		.amdhsa_float_round_mode_32 0
		.amdhsa_float_round_mode_16_64 0
		.amdhsa_float_denorm_mode_32 3
		.amdhsa_float_denorm_mode_16_64 3
		.amdhsa_dx10_clamp 1
		.amdhsa_ieee_mode 1
		.amdhsa_fp16_overflow 0
		.amdhsa_workgroup_processor_mode 1
		.amdhsa_memory_ordered 1
		.amdhsa_forward_progress 0
		.amdhsa_shared_vgpr_count 0
		.amdhsa_exception_fp_ieee_invalid_op 0
		.amdhsa_exception_fp_denorm_src 0
		.amdhsa_exception_fp_ieee_div_zero 0
		.amdhsa_exception_fp_ieee_overflow 0
		.amdhsa_exception_fp_ieee_underflow 0
		.amdhsa_exception_fp_ieee_inexact 0
		.amdhsa_exception_int_div_zero 0
	.end_amdhsa_kernel
	.section	.text._ZL32rocblas_syrkx_herkx_small_kernelIi19rocblas_complex_numIdELi16ELb0ELb1ELc78ELc76EKPKS1_KPS1_EviT_T0_PT6_S7_lSA_S7_lS8_PT7_S7_li,"axG",@progbits,_ZL32rocblas_syrkx_herkx_small_kernelIi19rocblas_complex_numIdELi16ELb0ELb1ELc78ELc76EKPKS1_KPS1_EviT_T0_PT6_S7_lSA_S7_lS8_PT7_S7_li,comdat
.Lfunc_end905:
	.size	_ZL32rocblas_syrkx_herkx_small_kernelIi19rocblas_complex_numIdELi16ELb0ELb1ELc78ELc76EKPKS1_KPS1_EviT_T0_PT6_S7_lSA_S7_lS8_PT7_S7_li, .Lfunc_end905-_ZL32rocblas_syrkx_herkx_small_kernelIi19rocblas_complex_numIdELi16ELb0ELb1ELc78ELc76EKPKS1_KPS1_EviT_T0_PT6_S7_lSA_S7_lS8_PT7_S7_li
                                        ; -- End function
	.section	.AMDGPU.csdata,"",@progbits
; Kernel info:
; codeLenInByte = 2044
; NumSgprs: 30
; NumVgprs: 50
; ScratchSize: 0
; MemoryBound: 1
; FloatMode: 240
; IeeeMode: 1
; LDSByteSize: 8192 bytes/workgroup (compile time only)
; SGPRBlocks: 3
; VGPRBlocks: 6
; NumSGPRsForWavesPerEU: 30
; NumVGPRsForWavesPerEU: 50
; Occupancy: 16
; WaveLimiterHint : 1
; COMPUTE_PGM_RSRC2:SCRATCH_EN: 0
; COMPUTE_PGM_RSRC2:USER_SGPR: 13
; COMPUTE_PGM_RSRC2:TRAP_HANDLER: 0
; COMPUTE_PGM_RSRC2:TGID_X_EN: 1
; COMPUTE_PGM_RSRC2:TGID_Y_EN: 1
; COMPUTE_PGM_RSRC2:TGID_Z_EN: 1
; COMPUTE_PGM_RSRC2:TIDIG_COMP_CNT: 1
	.section	.text._ZL32rocblas_syrkx_herkx_small_kernelIi19rocblas_complex_numIdELi16ELb0ELb1ELc84ELc85EKPKS1_KPS1_EviT_T0_PT6_S7_lSA_S7_lS8_PT7_S7_li,"axG",@progbits,_ZL32rocblas_syrkx_herkx_small_kernelIi19rocblas_complex_numIdELi16ELb0ELb1ELc84ELc85EKPKS1_KPS1_EviT_T0_PT6_S7_lSA_S7_lS8_PT7_S7_li,comdat
	.globl	_ZL32rocblas_syrkx_herkx_small_kernelIi19rocblas_complex_numIdELi16ELb0ELb1ELc84ELc85EKPKS1_KPS1_EviT_T0_PT6_S7_lSA_S7_lS8_PT7_S7_li ; -- Begin function _ZL32rocblas_syrkx_herkx_small_kernelIi19rocblas_complex_numIdELi16ELb0ELb1ELc84ELc85EKPKS1_KPS1_EviT_T0_PT6_S7_lSA_S7_lS8_PT7_S7_li
	.p2align	8
	.type	_ZL32rocblas_syrkx_herkx_small_kernelIi19rocblas_complex_numIdELi16ELb0ELb1ELc84ELc85EKPKS1_KPS1_EviT_T0_PT6_S7_lSA_S7_lS8_PT7_S7_li,@function
_ZL32rocblas_syrkx_herkx_small_kernelIi19rocblas_complex_numIdELi16ELb0ELb1ELc84ELc85EKPKS1_KPS1_EviT_T0_PT6_S7_lSA_S7_lS8_PT7_S7_li: ; @_ZL32rocblas_syrkx_herkx_small_kernelIi19rocblas_complex_numIdELi16ELb0ELb1ELc84ELc85EKPKS1_KPS1_EviT_T0_PT6_S7_lSA_S7_lS8_PT7_S7_li
; %bb.0:
	s_load_b64 s[2:3], s[0:1], 0x58
	s_mov_b32 s18, s15
	s_mov_b32 s19, 0
	s_clause 0x1
	s_load_b64 s[20:21], s[0:1], 0x0
	s_load_b128 s[4:7], s[0:1], 0x8
	s_lshl_b64 s[22:23], s[18:19], 3
	v_bfe_u32 v14, v0, 10, 10
	v_mov_b32_e32 v9, 0
	v_dual_mov_b32 v10, 0 :: v_dual_and_b32 v15, 0x3ff, v0
	s_delay_alu instid0(VALU_DEP_3) | instskip(NEXT) | instid1(VALU_DEP_2)
	v_lshl_add_u32 v13, s14, 4, v14
	v_lshl_add_u32 v4, s13, 4, v15
	s_delay_alu instid0(VALU_DEP_3)
	v_dual_mov_b32 v12, v10 :: v_dual_mov_b32 v11, v9
	s_waitcnt lgkmcnt(0)
	s_add_u32 s2, s2, s22
	s_addc_u32 s3, s3, s23
	s_clause 0x1
	s_load_b64 s[24:25], s[0:1], 0x18
	s_load_b128 s[8:11], s[0:1], 0x48
	s_load_b64 s[16:17], s[2:3], 0x0
	v_cmp_gt_i32_e32 vcc_lo, s20, v13
	s_cmp_lt_i32 s21, 1
	s_cbranch_scc1 .LBB906_11
; %bb.1:
	s_clause 0x2
	s_load_b64 s[12:13], s[0:1], 0x30
	s_load_b32 s3, s[0:1], 0x38
	s_load_b32 s14, s[0:1], 0x20
	v_lshlrev_b32_e32 v7, 8, v14
	v_dual_mov_b32 v9, 0 :: v_dual_lshlrev_b32 v16, 4, v15
	v_mov_b32_e32 v10, 0
	v_lshlrev_b32_e32 v8, 4, v14
	s_delay_alu instid0(VALU_DEP_4)
	v_add_nc_u32_e32 v17, 0x1000, v7
	v_cmp_gt_i32_e64 s2, s20, v4
	v_add_nc_u32_e32 v18, v16, v7
	v_dual_mov_b32 v12, v10 :: v_dual_mov_b32 v11, v9
	s_waitcnt lgkmcnt(0)
	s_add_u32 s12, s12, s22
	s_addc_u32 s13, s13, s23
	v_mad_i64_i32 v[0:1], null, s3, v13, 0
	v_mad_i64_i32 v[2:3], null, s14, v4, 0
	s_load_b64 s[12:13], s[12:13], 0x0
	s_add_u32 s14, s24, s22
	s_addc_u32 s15, s25, s23
	s_xor_b32 s2, s2, -1
	s_load_b64 s[14:15], s[14:15], 0x0
	s_delay_alu instid0(VALU_DEP_2) | instskip(SKIP_3) | instid1(VALU_DEP_4)
	v_lshlrev_b64 v[5:6], 4, v[0:1]
	v_mov_b32_e32 v0, 0
	v_lshlrev_b64 v[1:2], 4, v[2:3]
	v_add_nc_u32_e32 v19, v17, v16
	v_add_co_u32 v3, s3, v5, v16
	s_delay_alu instid0(VALU_DEP_1) | instskip(NEXT) | instid1(VALU_DEP_4)
	v_add_co_ci_u32_e64 v6, s3, 0, v6, s3
	v_add_co_u32 v1, s3, v1, v8
	s_delay_alu instid0(VALU_DEP_1) | instskip(SKIP_2) | instid1(VALU_DEP_1)
	v_add_co_ci_u32_e64 v2, s3, 0, v2, s3
	s_waitcnt lgkmcnt(0)
	v_add_co_u32 v5, s3, s12, v3
	v_add_co_ci_u32_e64 v6, s3, s13, v6, s3
	v_add_co_u32 v7, s3, s14, v1
	s_delay_alu instid0(VALU_DEP_1)
	v_add_co_ci_u32_e64 v8, s3, s15, v2, s3
	s_xor_b32 s3, vcc_lo, -1
	s_branch .LBB906_3
.LBB906_2:                              ;   in Loop: Header=BB906_3 Depth=1
	s_or_b32 exec_lo, exec_lo, s12
	s_waitcnt lgkmcnt(0)
	s_barrier
	buffer_gl0_inv
	ds_load_b128 v[20:23], v16
	ds_load_b128 v[24:27], v17
	ds_load_b128 v[28:31], v17 offset:16
	ds_load_b128 v[32:35], v16 offset:256
	v_add_co_u32 v5, vcc_lo, 0x100, v5
	v_add_co_ci_u32_e32 v6, vcc_lo, 0, v6, vcc_lo
	v_add_co_u32 v7, vcc_lo, 0x100, v7
	v_add_co_ci_u32_e32 v8, vcc_lo, 0, v8, vcc_lo
	s_add_i32 s19, s19, 16
	s_delay_alu instid0(SALU_CYCLE_1)
	s_cmp_ge_i32 s19, s21
	s_waitcnt lgkmcnt(2)
	v_mul_f64 v[1:2], v[26:27], v[22:23]
	v_mul_f64 v[22:23], v[24:25], v[22:23]
	s_waitcnt lgkmcnt(0)
	v_mul_f64 v[42:43], v[30:31], v[34:35]
	v_mul_f64 v[44:45], v[28:29], v[34:35]
	s_delay_alu instid0(VALU_DEP_4) | instskip(NEXT) | instid1(VALU_DEP_4)
	v_fma_f64 v[1:2], v[24:25], v[20:21], -v[1:2]
	v_fma_f64 v[46:47], v[26:27], v[20:21], v[22:23]
	ds_load_b128 v[20:23], v16 offset:512
	ds_load_b128 v[24:27], v17 offset:32
	;; [unrolled: 1-line block ×4, first 2 shown]
	v_fma_f64 v[28:29], v[28:29], v[32:33], -v[42:43]
	v_fma_f64 v[30:31], v[30:31], v[32:33], v[44:45]
	s_waitcnt lgkmcnt(2)
	v_mul_f64 v[48:49], v[26:27], v[22:23]
	v_mul_f64 v[22:23], v[24:25], v[22:23]
	s_waitcnt lgkmcnt(0)
	v_mul_f64 v[32:33], v[36:37], v[40:41]
	v_mul_f64 v[40:41], v[34:35], v[40:41]
	v_add_f64 v[1:2], v[11:12], v[1:2]
	v_add_f64 v[9:10], v[9:10], v[46:47]
	v_fma_f64 v[42:43], v[24:25], v[20:21], -v[48:49]
	v_fma_f64 v[44:45], v[26:27], v[20:21], v[22:23]
	v_fma_f64 v[32:33], v[34:35], v[38:39], -v[32:33]
	v_fma_f64 v[34:35], v[36:37], v[38:39], v[40:41]
	v_add_f64 v[1:2], v[1:2], v[28:29]
	v_add_f64 v[46:47], v[9:10], v[30:31]
	ds_load_b128 v[9:12], v16 offset:1024
	ds_load_b128 v[20:23], v17 offset:64
	;; [unrolled: 1-line block ×4, first 2 shown]
	s_waitcnt lgkmcnt(2)
	v_mul_f64 v[48:49], v[22:23], v[11:12]
	v_mul_f64 v[11:12], v[20:21], v[11:12]
	s_waitcnt lgkmcnt(0)
	v_mul_f64 v[38:39], v[26:27], v[30:31]
	v_mul_f64 v[40:41], v[24:25], v[30:31]
	v_add_f64 v[1:2], v[1:2], v[42:43]
	v_add_f64 v[36:37], v[46:47], v[44:45]
	v_fma_f64 v[42:43], v[20:21], v[9:10], -v[48:49]
	v_fma_f64 v[44:45], v[22:23], v[9:10], v[11:12]
	v_fma_f64 v[24:25], v[24:25], v[28:29], -v[38:39]
	v_fma_f64 v[26:27], v[26:27], v[28:29], v[40:41]
	v_add_f64 v[1:2], v[1:2], v[32:33]
	v_add_f64 v[46:47], v[36:37], v[34:35]
	ds_load_b128 v[9:12], v16 offset:1536
	ds_load_b128 v[20:23], v17 offset:96
	;; [unrolled: 1-line block ×4, first 2 shown]
	s_waitcnt lgkmcnt(2)
	v_mul_f64 v[48:49], v[22:23], v[11:12]
	v_mul_f64 v[11:12], v[20:21], v[11:12]
	s_waitcnt lgkmcnt(0)
	v_mul_f64 v[40:41], v[32:33], v[36:37]
	v_add_f64 v[1:2], v[1:2], v[42:43]
	v_add_f64 v[28:29], v[46:47], v[44:45]
	v_mul_f64 v[42:43], v[30:31], v[36:37]
	v_fma_f64 v[44:45], v[20:21], v[9:10], -v[48:49]
	v_fma_f64 v[46:47], v[22:23], v[9:10], v[11:12]
	v_fma_f64 v[30:31], v[30:31], v[34:35], -v[40:41]
	v_add_f64 v[1:2], v[1:2], v[24:25]
	v_add_f64 v[28:29], v[28:29], v[26:27]
	ds_load_b128 v[9:12], v16 offset:2048
	ds_load_b128 v[20:23], v17 offset:128
	;; [unrolled: 1-line block ×4, first 2 shown]
	v_fma_f64 v[32:33], v[32:33], v[34:35], v[42:43]
	s_waitcnt lgkmcnt(2)
	v_mul_f64 v[48:49], v[22:23], v[11:12]
	v_mul_f64 v[11:12], v[20:21], v[11:12]
	s_waitcnt lgkmcnt(0)
	v_mul_f64 v[40:41], v[26:27], v[38:39]
	v_mul_f64 v[38:39], v[24:25], v[38:39]
	v_add_f64 v[1:2], v[1:2], v[44:45]
	v_add_f64 v[28:29], v[28:29], v[46:47]
	v_fma_f64 v[42:43], v[20:21], v[9:10], -v[48:49]
	v_fma_f64 v[44:45], v[22:23], v[9:10], v[11:12]
	v_fma_f64 v[24:25], v[24:25], v[36:37], -v[40:41]
	v_fma_f64 v[26:27], v[26:27], v[36:37], v[38:39]
	v_add_f64 v[1:2], v[1:2], v[30:31]
	v_add_f64 v[46:47], v[28:29], v[32:33]
	ds_load_b128 v[9:12], v16 offset:2560
	ds_load_b128 v[20:23], v17 offset:160
	;; [unrolled: 1-line block ×4, first 2 shown]
	s_waitcnt lgkmcnt(2)
	v_mul_f64 v[48:49], v[22:23], v[11:12]
	v_mul_f64 v[11:12], v[20:21], v[11:12]
	s_waitcnt lgkmcnt(0)
	v_mul_f64 v[38:39], v[30:31], v[34:35]
	v_mul_f64 v[40:41], v[28:29], v[34:35]
	v_add_f64 v[1:2], v[1:2], v[42:43]
	v_add_f64 v[36:37], v[46:47], v[44:45]
	v_fma_f64 v[42:43], v[20:21], v[9:10], -v[48:49]
	v_fma_f64 v[44:45], v[22:23], v[9:10], v[11:12]
	v_fma_f64 v[28:29], v[28:29], v[32:33], -v[38:39]
	v_fma_f64 v[30:31], v[30:31], v[32:33], v[40:41]
	v_add_f64 v[1:2], v[1:2], v[24:25]
	v_add_f64 v[46:47], v[36:37], v[26:27]
	ds_load_b128 v[9:12], v16 offset:3072
	ds_load_b128 v[20:23], v17 offset:192
	;; [unrolled: 1-line block ×4, first 2 shown]
	s_waitcnt lgkmcnt(2)
	v_mul_f64 v[48:49], v[22:23], v[11:12]
	v_mul_f64 v[11:12], v[20:21], v[11:12]
	s_waitcnt lgkmcnt(0)
	v_mul_f64 v[40:41], v[26:27], v[36:37]
	v_add_f64 v[1:2], v[1:2], v[42:43]
	v_add_f64 v[32:33], v[46:47], v[44:45]
	v_mul_f64 v[42:43], v[24:25], v[36:37]
	v_fma_f64 v[44:45], v[20:21], v[9:10], -v[48:49]
	v_fma_f64 v[46:47], v[22:23], v[9:10], v[11:12]
	v_fma_f64 v[24:25], v[24:25], v[34:35], -v[40:41]
	v_add_f64 v[1:2], v[1:2], v[28:29]
	v_add_f64 v[32:33], v[32:33], v[30:31]
	ds_load_b128 v[9:12], v16 offset:3584
	ds_load_b128 v[20:23], v17 offset:224
	ds_load_b128 v[28:31], v17 offset:240
	ds_load_b128 v[36:39], v16 offset:3840
	v_fma_f64 v[26:27], v[26:27], v[34:35], v[42:43]
	s_waitcnt lgkmcnt(0)
	s_barrier
	buffer_gl0_inv
	v_mul_f64 v[48:49], v[22:23], v[11:12]
	v_mul_f64 v[11:12], v[20:21], v[11:12]
	;; [unrolled: 1-line block ×4, first 2 shown]
	v_add_f64 v[1:2], v[1:2], v[44:45]
	v_add_f64 v[32:33], v[32:33], v[46:47]
	v_fma_f64 v[20:21], v[20:21], v[9:10], -v[48:49]
	v_fma_f64 v[9:10], v[22:23], v[9:10], v[11:12]
	v_fma_f64 v[22:23], v[28:29], v[36:37], -v[34:35]
	v_add_f64 v[1:2], v[1:2], v[24:25]
	v_add_f64 v[11:12], v[32:33], v[26:27]
	v_fma_f64 v[24:25], v[30:31], v[36:37], v[38:39]
	s_delay_alu instid0(VALU_DEP_3) | instskip(NEXT) | instid1(VALU_DEP_3)
	v_add_f64 v[1:2], v[1:2], v[20:21]
	v_add_f64 v[9:10], v[11:12], v[9:10]
	s_delay_alu instid0(VALU_DEP_2) | instskip(NEXT) | instid1(VALU_DEP_2)
	v_add_f64 v[11:12], v[1:2], v[22:23]
	v_add_f64 v[9:10], v[9:10], v[24:25]
	s_cbranch_scc1 .LBB906_11
.LBB906_3:                              ; =>This Inner Loop Header: Depth=1
	v_add_nc_u32_e32 v1, s19, v14
	s_delay_alu instid0(VALU_DEP_1) | instskip(SKIP_1) | instid1(SALU_CYCLE_1)
	v_cmp_le_i32_e32 vcc_lo, s21, v1
	s_or_b32 s12, s2, vcc_lo
	s_and_saveexec_b32 s13, s12
	s_delay_alu instid0(SALU_CYCLE_1)
	s_xor_b32 s12, exec_lo, s13
	s_cbranch_execz .LBB906_5
; %bb.4:                                ;   in Loop: Header=BB906_3 Depth=1
	v_mov_b32_e32 v1, v0
	v_mov_b32_e32 v2, v0
	v_mov_b32_e32 v3, v0
	ds_store_b128 v18, v[0:3]
.LBB906_5:                              ;   in Loop: Header=BB906_3 Depth=1
	s_and_not1_saveexec_b32 s12, s12
	s_cbranch_execz .LBB906_7
; %bb.6:                                ;   in Loop: Header=BB906_3 Depth=1
	global_load_b128 v[20:23], v[7:8], off
	s_waitcnt vmcnt(0)
	ds_store_2addr_b64 v18, v[20:21], v[22:23] offset1:1
.LBB906_7:                              ;   in Loop: Header=BB906_3 Depth=1
	s_or_b32 exec_lo, exec_lo, s12
	v_add_nc_u32_e32 v1, s19, v15
	s_delay_alu instid0(VALU_DEP_1) | instskip(SKIP_1) | instid1(SALU_CYCLE_1)
	v_cmp_le_i32_e32 vcc_lo, s21, v1
	s_or_b32 s12, s3, vcc_lo
	s_and_saveexec_b32 s13, s12
	s_delay_alu instid0(SALU_CYCLE_1)
	s_xor_b32 s12, exec_lo, s13
	s_cbranch_execz .LBB906_9
; %bb.8:                                ;   in Loop: Header=BB906_3 Depth=1
	v_mov_b32_e32 v1, v0
	v_mov_b32_e32 v2, v0
	v_mov_b32_e32 v3, v0
	ds_store_b128 v19, v[0:3]
.LBB906_9:                              ;   in Loop: Header=BB906_3 Depth=1
	s_and_not1_saveexec_b32 s12, s12
	s_cbranch_execz .LBB906_2
; %bb.10:                               ;   in Loop: Header=BB906_3 Depth=1
	global_load_b128 v[20:23], v[5:6], off
	s_waitcnt vmcnt(0)
	ds_store_2addr_b64 v19, v[20:21], v[22:23] offset1:1
	s_branch .LBB906_2
.LBB906_11:
	v_cmp_le_i32_e32 vcc_lo, v4, v13
	v_cmp_gt_i32_e64 s2, s20, v13
	s_delay_alu instid0(VALU_DEP_1) | instskip(NEXT) | instid1(SALU_CYCLE_1)
	s_and_b32 s2, vcc_lo, s2
	s_and_saveexec_b32 s3, s2
	s_cbranch_execz .LBB906_13
; %bb.12:
	s_load_b32 s0, s[0:1], 0x60
	v_ashrrev_i32_e32 v5, 31, v4
	s_delay_alu instid0(VALU_DEP_4) | instskip(SKIP_1) | instid1(VALU_DEP_3)
	v_mul_f64 v[7:8], s[4:5], v[9:10]
	v_mul_f64 v[9:10], s[6:7], v[9:10]
	v_lshlrev_b64 v[2:3], 4, v[4:5]
	s_waitcnt lgkmcnt(0)
	v_mad_i64_i32 v[0:1], null, s0, v13, 0
	s_delay_alu instid0(VALU_DEP_1) | instskip(NEXT) | instid1(VALU_DEP_1)
	v_lshlrev_b64 v[0:1], 4, v[0:1]
	v_add_co_u32 v0, vcc_lo, s16, v0
	s_delay_alu instid0(VALU_DEP_2) | instskip(NEXT) | instid1(VALU_DEP_2)
	v_add_co_ci_u32_e32 v1, vcc_lo, s17, v1, vcc_lo
	v_add_co_u32 v5, vcc_lo, v0, v2
	s_delay_alu instid0(VALU_DEP_2)
	v_add_co_ci_u32_e32 v6, vcc_lo, v1, v3, vcc_lo
	v_fma_f64 v[7:8], s[6:7], v[11:12], v[7:8]
	v_fma_f64 v[9:10], s[4:5], v[11:12], -v[9:10]
	v_cmp_ne_u32_e32 vcc_lo, v4, v13
	global_load_b128 v[0:3], v[5:6], off
	s_waitcnt vmcnt(0)
	v_mul_f64 v[14:15], s[8:9], v[2:3]
	v_mul_f64 v[2:3], s[10:11], v[2:3]
	s_delay_alu instid0(VALU_DEP_2) | instskip(NEXT) | instid1(VALU_DEP_2)
	v_fma_f64 v[14:15], s[10:11], v[0:1], v[14:15]
	v_fma_f64 v[0:1], s[8:9], v[0:1], -v[2:3]
	s_delay_alu instid0(VALU_DEP_2) | instskip(NEXT) | instid1(VALU_DEP_2)
	v_add_f64 v[2:3], v[7:8], v[14:15]
	v_add_f64 v[0:1], v[9:10], v[0:1]
	s_delay_alu instid0(VALU_DEP_2)
	v_dual_cndmask_b32 v3, 0, v3 :: v_dual_cndmask_b32 v2, 0, v2
	global_store_b128 v[5:6], v[0:3], off
.LBB906_13:
	s_nop 0
	s_sendmsg sendmsg(MSG_DEALLOC_VGPRS)
	s_endpgm
	.section	.rodata,"a",@progbits
	.p2align	6, 0x0
	.amdhsa_kernel _ZL32rocblas_syrkx_herkx_small_kernelIi19rocblas_complex_numIdELi16ELb0ELb1ELc84ELc85EKPKS1_KPS1_EviT_T0_PT6_S7_lSA_S7_lS8_PT7_S7_li
		.amdhsa_group_segment_fixed_size 8192
		.amdhsa_private_segment_fixed_size 0
		.amdhsa_kernarg_size 116
		.amdhsa_user_sgpr_count 13
		.amdhsa_user_sgpr_dispatch_ptr 0
		.amdhsa_user_sgpr_queue_ptr 0
		.amdhsa_user_sgpr_kernarg_segment_ptr 1
		.amdhsa_user_sgpr_dispatch_id 0
		.amdhsa_user_sgpr_private_segment_size 0
		.amdhsa_wavefront_size32 1
		.amdhsa_uses_dynamic_stack 0
		.amdhsa_enable_private_segment 0
		.amdhsa_system_sgpr_workgroup_id_x 1
		.amdhsa_system_sgpr_workgroup_id_y 1
		.amdhsa_system_sgpr_workgroup_id_z 1
		.amdhsa_system_sgpr_workgroup_info 0
		.amdhsa_system_vgpr_workitem_id 1
		.amdhsa_next_free_vgpr 50
		.amdhsa_next_free_sgpr 26
		.amdhsa_reserve_vcc 1
		.amdhsa_float_round_mode_32 0
		.amdhsa_float_round_mode_16_64 0
		.amdhsa_float_denorm_mode_32 3
		.amdhsa_float_denorm_mode_16_64 3
		.amdhsa_dx10_clamp 1
		.amdhsa_ieee_mode 1
		.amdhsa_fp16_overflow 0
		.amdhsa_workgroup_processor_mode 1
		.amdhsa_memory_ordered 1
		.amdhsa_forward_progress 0
		.amdhsa_shared_vgpr_count 0
		.amdhsa_exception_fp_ieee_invalid_op 0
		.amdhsa_exception_fp_denorm_src 0
		.amdhsa_exception_fp_ieee_div_zero 0
		.amdhsa_exception_fp_ieee_overflow 0
		.amdhsa_exception_fp_ieee_underflow 0
		.amdhsa_exception_fp_ieee_inexact 0
		.amdhsa_exception_int_div_zero 0
	.end_amdhsa_kernel
	.section	.text._ZL32rocblas_syrkx_herkx_small_kernelIi19rocblas_complex_numIdELi16ELb0ELb1ELc84ELc85EKPKS1_KPS1_EviT_T0_PT6_S7_lSA_S7_lS8_PT7_S7_li,"axG",@progbits,_ZL32rocblas_syrkx_herkx_small_kernelIi19rocblas_complex_numIdELi16ELb0ELb1ELc84ELc85EKPKS1_KPS1_EviT_T0_PT6_S7_lSA_S7_lS8_PT7_S7_li,comdat
.Lfunc_end906:
	.size	_ZL32rocblas_syrkx_herkx_small_kernelIi19rocblas_complex_numIdELi16ELb0ELb1ELc84ELc85EKPKS1_KPS1_EviT_T0_PT6_S7_lSA_S7_lS8_PT7_S7_li, .Lfunc_end906-_ZL32rocblas_syrkx_herkx_small_kernelIi19rocblas_complex_numIdELi16ELb0ELb1ELc84ELc85EKPKS1_KPS1_EviT_T0_PT6_S7_lSA_S7_lS8_PT7_S7_li
                                        ; -- End function
	.section	.AMDGPU.csdata,"",@progbits
; Kernel info:
; codeLenInByte = 1988
; NumSgprs: 28
; NumVgprs: 50
; ScratchSize: 0
; MemoryBound: 0
; FloatMode: 240
; IeeeMode: 1
; LDSByteSize: 8192 bytes/workgroup (compile time only)
; SGPRBlocks: 3
; VGPRBlocks: 6
; NumSGPRsForWavesPerEU: 28
; NumVGPRsForWavesPerEU: 50
; Occupancy: 16
; WaveLimiterHint : 1
; COMPUTE_PGM_RSRC2:SCRATCH_EN: 0
; COMPUTE_PGM_RSRC2:USER_SGPR: 13
; COMPUTE_PGM_RSRC2:TRAP_HANDLER: 0
; COMPUTE_PGM_RSRC2:TGID_X_EN: 1
; COMPUTE_PGM_RSRC2:TGID_Y_EN: 1
; COMPUTE_PGM_RSRC2:TGID_Z_EN: 1
; COMPUTE_PGM_RSRC2:TIDIG_COMP_CNT: 1
	.section	.text._ZL32rocblas_syrkx_herkx_small_kernelIi19rocblas_complex_numIdELi16ELb0ELb1ELc67ELc85EKPKS1_KPS1_EviT_T0_PT6_S7_lSA_S7_lS8_PT7_S7_li,"axG",@progbits,_ZL32rocblas_syrkx_herkx_small_kernelIi19rocblas_complex_numIdELi16ELb0ELb1ELc67ELc85EKPKS1_KPS1_EviT_T0_PT6_S7_lSA_S7_lS8_PT7_S7_li,comdat
	.globl	_ZL32rocblas_syrkx_herkx_small_kernelIi19rocblas_complex_numIdELi16ELb0ELb1ELc67ELc85EKPKS1_KPS1_EviT_T0_PT6_S7_lSA_S7_lS8_PT7_S7_li ; -- Begin function _ZL32rocblas_syrkx_herkx_small_kernelIi19rocblas_complex_numIdELi16ELb0ELb1ELc67ELc85EKPKS1_KPS1_EviT_T0_PT6_S7_lSA_S7_lS8_PT7_S7_li
	.p2align	8
	.type	_ZL32rocblas_syrkx_herkx_small_kernelIi19rocblas_complex_numIdELi16ELb0ELb1ELc67ELc85EKPKS1_KPS1_EviT_T0_PT6_S7_lSA_S7_lS8_PT7_S7_li,@function
_ZL32rocblas_syrkx_herkx_small_kernelIi19rocblas_complex_numIdELi16ELb0ELb1ELc67ELc85EKPKS1_KPS1_EviT_T0_PT6_S7_lSA_S7_lS8_PT7_S7_li: ; @_ZL32rocblas_syrkx_herkx_small_kernelIi19rocblas_complex_numIdELi16ELb0ELb1ELc67ELc85EKPKS1_KPS1_EviT_T0_PT6_S7_lSA_S7_lS8_PT7_S7_li
; %bb.0:
	s_load_b64 s[2:3], s[0:1], 0x58
	s_mov_b32 s18, s15
	s_mov_b32 s19, 0
	s_clause 0x1
	s_load_b64 s[20:21], s[0:1], 0x0
	s_load_b128 s[4:7], s[0:1], 0x8
	s_lshl_b64 s[22:23], s[18:19], 3
	v_bfe_u32 v17, v0, 10, 10
	v_mov_b32_e32 v12, 0
	v_dual_mov_b32 v13, 0 :: v_dual_and_b32 v18, 0x3ff, v0
	s_delay_alu instid0(VALU_DEP_3) | instskip(NEXT) | instid1(VALU_DEP_2)
	v_lshl_add_u32 v16, s14, 4, v17
	v_lshl_add_u32 v5, s13, 4, v18
	s_delay_alu instid0(VALU_DEP_3)
	v_dual_mov_b32 v15, v13 :: v_dual_mov_b32 v14, v12
	s_waitcnt lgkmcnt(0)
	s_add_u32 s2, s2, s22
	s_addc_u32 s3, s3, s23
	s_clause 0x1
	s_load_b64 s[24:25], s[0:1], 0x18
	s_load_b128 s[8:11], s[0:1], 0x48
	s_load_b64 s[16:17], s[2:3], 0x0
	v_cmp_gt_i32_e64 s2, s20, v16
	s_cmp_lt_i32 s21, 1
	s_cbranch_scc1 .LBB907_9
; %bb.1:
	s_clause 0x2
	s_load_b64 s[12:13], s[0:1], 0x30
	s_load_b32 s3, s[0:1], 0x20
	s_load_b32 s18, s[0:1], 0x38
	v_dual_mov_b32 v0, 0 :: v_dual_lshlrev_b32 v9, 4, v17
	v_dual_mov_b32 v6, 0 :: v_dual_lshlrev_b32 v19, 4, v18
	;; [unrolled: 1-line block ×3, first 2 shown]
	v_cmp_gt_i32_e32 vcc_lo, s20, v5
	s_delay_alu instid0(VALU_DEP_2) | instskip(NEXT) | instid1(VALU_DEP_4)
	v_dual_mov_b32 v13, v7 :: v_dual_add_nc_u32 v20, 0x1000, v8
	v_dual_mov_b32 v12, v6 :: v_dual_add_nc_u32 v21, v19, v8
	s_delay_alu instid0(VALU_DEP_2)
	v_dual_mov_b32 v15, v7 :: v_dual_add_nc_u32 v22, v20, v19
	v_mov_b32_e32 v14, v6
	s_waitcnt lgkmcnt(0)
	s_add_u32 s12, s12, s22
	s_addc_u32 s13, s13, s23
	s_add_u32 s14, s24, s22
	s_addc_u32 s15, s25, s23
	v_mad_i64_i32 v[1:2], null, s3, v5, 0
	s_load_b64 s[14:15], s[14:15], 0x0
	v_mad_i64_i32 v[3:4], null, s18, v16, 0
	s_load_b64 s[12:13], s[12:13], 0x0
	s_delay_alu instid0(VALU_DEP_2) | instskip(NEXT) | instid1(VALU_DEP_2)
	v_lshlrev_b64 v[1:2], 4, v[1:2]
	v_lshlrev_b64 v[3:4], 4, v[3:4]
	s_delay_alu instid0(VALU_DEP_2) | instskip(NEXT) | instid1(VALU_DEP_1)
	v_add_co_u32 v1, s3, v1, v9
	v_add_co_ci_u32_e64 v2, s3, 0, v2, s3
	s_delay_alu instid0(VALU_DEP_3) | instskip(NEXT) | instid1(VALU_DEP_1)
	v_add_co_u32 v3, s3, v3, v19
	v_add_co_ci_u32_e64 v4, s3, 0, v4, s3
	s_waitcnt lgkmcnt(0)
	v_add_co_u32 v1, s3, v1, s14
	s_delay_alu instid0(VALU_DEP_1) | instskip(SKIP_1) | instid1(VALU_DEP_1)
	v_add_co_ci_u32_e64 v2, s3, s15, v2, s3
	v_add_co_u32 v8, s3, s12, v3
	v_add_co_ci_u32_e64 v9, s3, s13, v4, s3
	s_delay_alu instid0(VALU_DEP_4) | instskip(NEXT) | instid1(VALU_DEP_1)
	v_add_co_u32 v10, s3, v1, 8
	v_add_co_ci_u32_e64 v11, s3, 0, v2, s3
	s_xor_b32 s3, s2, -1
	s_branch .LBB907_3
.LBB907_2:                              ;   in Loop: Header=BB907_3 Depth=1
	s_or_b32 exec_lo, exec_lo, s2
	s_waitcnt lgkmcnt(0)
	s_barrier
	buffer_gl0_inv
	ds_load_b128 v[1:4], v19
	ds_load_b128 v[23:26], v20
	ds_load_b128 v[27:30], v20 offset:16
	ds_load_b128 v[31:34], v19 offset:256
	v_add_co_u32 v8, s2, 0x100, v8
	s_delay_alu instid0(VALU_DEP_1) | instskip(SKIP_1) | instid1(VALU_DEP_1)
	v_add_co_ci_u32_e64 v9, s2, 0, v9, s2
	v_add_co_u32 v10, s2, 0x100, v10
	v_add_co_ci_u32_e64 v11, s2, 0, v11, s2
	s_add_i32 s19, s19, 16
	s_delay_alu instid0(SALU_CYCLE_1)
	s_cmp_ge_i32 s19, s21
	s_waitcnt lgkmcnt(2)
	v_mul_f64 v[35:36], v[25:26], v[3:4]
	v_mul_f64 v[3:4], v[23:24], v[3:4]
	s_waitcnt lgkmcnt(0)
	v_mul_f64 v[41:42], v[29:30], v[33:34]
	v_mul_f64 v[43:44], v[27:28], v[33:34]
	s_delay_alu instid0(VALU_DEP_4) | instskip(NEXT) | instid1(VALU_DEP_4)
	v_fma_f64 v[45:46], v[23:24], v[1:2], -v[35:36]
	v_fma_f64 v[47:48], v[25:26], v[1:2], v[3:4]
	ds_load_b128 v[1:4], v19 offset:512
	ds_load_b128 v[23:26], v20 offset:32
	;; [unrolled: 1-line block ×4, first 2 shown]
	v_fma_f64 v[27:28], v[27:28], v[31:32], -v[41:42]
	v_fma_f64 v[29:30], v[29:30], v[31:32], v[43:44]
	s_waitcnt lgkmcnt(2)
	v_mul_f64 v[49:50], v[25:26], v[3:4]
	v_mul_f64 v[3:4], v[23:24], v[3:4]
	s_waitcnt lgkmcnt(0)
	v_mul_f64 v[31:32], v[35:36], v[39:40]
	v_mul_f64 v[39:40], v[33:34], v[39:40]
	v_add_f64 v[14:15], v[14:15], v[45:46]
	v_add_f64 v[12:13], v[12:13], v[47:48]
	v_fma_f64 v[41:42], v[23:24], v[1:2], -v[49:50]
	v_fma_f64 v[43:44], v[25:26], v[1:2], v[3:4]
	v_fma_f64 v[31:32], v[33:34], v[37:38], -v[31:32]
	v_fma_f64 v[33:34], v[35:36], v[37:38], v[39:40]
	v_add_f64 v[45:46], v[14:15], v[27:28]
	v_add_f64 v[47:48], v[12:13], v[29:30]
	ds_load_b128 v[1:4], v19 offset:1024
	ds_load_b128 v[12:15], v20 offset:64
	;; [unrolled: 1-line block ×4, first 2 shown]
	s_waitcnt lgkmcnt(2)
	v_mul_f64 v[49:50], v[14:15], v[3:4]
	v_mul_f64 v[3:4], v[12:13], v[3:4]
	s_waitcnt lgkmcnt(0)
	v_mul_f64 v[39:40], v[25:26], v[29:30]
	v_add_f64 v[35:36], v[45:46], v[41:42]
	v_add_f64 v[37:38], v[47:48], v[43:44]
	v_mul_f64 v[41:42], v[23:24], v[29:30]
	v_fma_f64 v[43:44], v[12:13], v[1:2], -v[49:50]
	v_fma_f64 v[45:46], v[14:15], v[1:2], v[3:4]
	v_fma_f64 v[23:24], v[23:24], v[27:28], -v[39:40]
	v_add_f64 v[47:48], v[35:36], v[31:32]
	v_add_f64 v[37:38], v[37:38], v[33:34]
	ds_load_b128 v[1:4], v19 offset:1536
	ds_load_b128 v[12:15], v20 offset:96
	;; [unrolled: 1-line block ×4, first 2 shown]
	v_fma_f64 v[25:26], v[25:26], v[27:28], v[41:42]
	s_waitcnt lgkmcnt(2)
	v_mul_f64 v[49:50], v[14:15], v[3:4]
	v_mul_f64 v[3:4], v[12:13], v[3:4]
	s_waitcnt lgkmcnt(0)
	v_mul_f64 v[39:40], v[31:32], v[35:36]
	v_mul_f64 v[41:42], v[29:30], v[35:36]
	v_add_f64 v[27:28], v[47:48], v[43:44]
	v_add_f64 v[37:38], v[37:38], v[45:46]
	v_fma_f64 v[43:44], v[12:13], v[1:2], -v[49:50]
	v_fma_f64 v[45:46], v[14:15], v[1:2], v[3:4]
	v_fma_f64 v[29:30], v[29:30], v[33:34], -v[39:40]
	v_fma_f64 v[31:32], v[31:32], v[33:34], v[41:42]
	v_add_f64 v[27:28], v[27:28], v[23:24]
	v_add_f64 v[47:48], v[37:38], v[25:26]
	ds_load_b128 v[1:4], v19 offset:2048
	ds_load_b128 v[12:15], v20 offset:128
	;; [unrolled: 1-line block ×4, first 2 shown]
	s_waitcnt lgkmcnt(2)
	v_mul_f64 v[49:50], v[14:15], v[3:4]
	v_mul_f64 v[3:4], v[12:13], v[3:4]
	s_waitcnt lgkmcnt(0)
	v_mul_f64 v[39:40], v[25:26], v[37:38]
	v_mul_f64 v[37:38], v[23:24], v[37:38]
	v_add_f64 v[27:28], v[27:28], v[43:44]
	v_add_f64 v[33:34], v[47:48], v[45:46]
	v_fma_f64 v[41:42], v[12:13], v[1:2], -v[49:50]
	v_fma_f64 v[43:44], v[14:15], v[1:2], v[3:4]
	v_fma_f64 v[23:24], v[23:24], v[35:36], -v[39:40]
	v_fma_f64 v[25:26], v[25:26], v[35:36], v[37:38]
	v_add_f64 v[45:46], v[27:28], v[29:30]
	v_add_f64 v[47:48], v[33:34], v[31:32]
	ds_load_b128 v[1:4], v19 offset:2560
	ds_load_b128 v[12:15], v20 offset:160
	;; [unrolled: 1-line block ×4, first 2 shown]
	s_waitcnt lgkmcnt(2)
	v_mul_f64 v[49:50], v[14:15], v[3:4]
	v_mul_f64 v[3:4], v[12:13], v[3:4]
	s_waitcnt lgkmcnt(0)
	v_mul_f64 v[39:40], v[29:30], v[33:34]
	v_add_f64 v[35:36], v[45:46], v[41:42]
	v_add_f64 v[37:38], v[47:48], v[43:44]
	v_mul_f64 v[41:42], v[27:28], v[33:34]
	v_fma_f64 v[43:44], v[12:13], v[1:2], -v[49:50]
	v_fma_f64 v[45:46], v[14:15], v[1:2], v[3:4]
	v_fma_f64 v[27:28], v[27:28], v[31:32], -v[39:40]
	v_add_f64 v[47:48], v[35:36], v[23:24]
	v_add_f64 v[37:38], v[37:38], v[25:26]
	ds_load_b128 v[1:4], v19 offset:3072
	ds_load_b128 v[12:15], v20 offset:192
	;; [unrolled: 1-line block ×4, first 2 shown]
	v_fma_f64 v[29:30], v[29:30], v[31:32], v[41:42]
	s_waitcnt lgkmcnt(2)
	v_mul_f64 v[49:50], v[14:15], v[3:4]
	v_mul_f64 v[3:4], v[12:13], v[3:4]
	s_waitcnt lgkmcnt(0)
	v_mul_f64 v[39:40], v[25:26], v[35:36]
	v_mul_f64 v[41:42], v[23:24], v[35:36]
	v_add_f64 v[31:32], v[47:48], v[43:44]
	v_add_f64 v[37:38], v[37:38], v[45:46]
	v_fma_f64 v[43:44], v[12:13], v[1:2], -v[49:50]
	v_fma_f64 v[45:46], v[14:15], v[1:2], v[3:4]
	v_fma_f64 v[23:24], v[23:24], v[33:34], -v[39:40]
	v_fma_f64 v[25:26], v[25:26], v[33:34], v[41:42]
	v_add_f64 v[31:32], v[31:32], v[27:28]
	v_add_f64 v[47:48], v[37:38], v[29:30]
	ds_load_b128 v[1:4], v19 offset:3584
	ds_load_b128 v[12:15], v20 offset:224
	;; [unrolled: 1-line block ×4, first 2 shown]
	s_waitcnt lgkmcnt(0)
	s_barrier
	buffer_gl0_inv
	v_mul_f64 v[49:50], v[14:15], v[3:4]
	v_mul_f64 v[3:4], v[12:13], v[3:4]
	v_mul_f64 v[39:40], v[29:30], v[37:38]
	v_mul_f64 v[37:38], v[27:28], v[37:38]
	v_add_f64 v[31:32], v[31:32], v[43:44]
	v_add_f64 v[33:34], v[47:48], v[45:46]
	v_fma_f64 v[12:13], v[12:13], v[1:2], -v[49:50]
	v_fma_f64 v[1:2], v[14:15], v[1:2], v[3:4]
	s_delay_alu instid0(VALU_DEP_4) | instskip(NEXT) | instid1(VALU_DEP_4)
	v_add_f64 v[3:4], v[31:32], v[23:24]
	v_add_f64 v[14:15], v[33:34], v[25:26]
	v_fma_f64 v[23:24], v[27:28], v[35:36], -v[39:40]
	v_fma_f64 v[25:26], v[29:30], v[35:36], v[37:38]
	s_delay_alu instid0(VALU_DEP_4) | instskip(NEXT) | instid1(VALU_DEP_4)
	v_add_f64 v[3:4], v[3:4], v[12:13]
	v_add_f64 v[1:2], v[14:15], v[1:2]
	s_delay_alu instid0(VALU_DEP_2) | instskip(NEXT) | instid1(VALU_DEP_2)
	v_add_f64 v[14:15], v[3:4], v[23:24]
	v_add_f64 v[12:13], v[1:2], v[25:26]
	s_cbranch_scc1 .LBB907_9
.LBB907_3:                              ; =>This Inner Loop Header: Depth=1
	v_add_nc_u32_e32 v1, s19, v17
	v_dual_mov_b32 v3, v6 :: v_dual_mov_b32 v4, v7
	s_delay_alu instid0(VALU_DEP_2) | instskip(SKIP_1) | instid1(VALU_DEP_2)
	v_cmp_gt_i32_e64 s2, s21, v1
	v_dual_mov_b32 v1, v6 :: v_dual_mov_b32 v2, v7
	s_and_b32 s12, vcc_lo, s2
	s_delay_alu instid0(SALU_CYCLE_1)
	s_and_saveexec_b32 s2, s12
	s_cbranch_execz .LBB907_5
; %bb.4:                                ;   in Loop: Header=BB907_3 Depth=1
	global_load_b128 v[1:4], v[10:11], off offset:-8
	s_waitcnt vmcnt(0)
	v_xor_b32_e32 v4, 0x80000000, v4
.LBB907_5:                              ;   in Loop: Header=BB907_3 Depth=1
	s_or_b32 exec_lo, exec_lo, s2
	v_add_nc_u32_e32 v23, s19, v18
	ds_store_b128 v21, v[1:4]
	v_cmp_le_i32_e64 s2, s21, v23
	s_delay_alu instid0(VALU_DEP_1) | instskip(NEXT) | instid1(SALU_CYCLE_1)
	s_or_b32 s2, s3, s2
	s_and_saveexec_b32 s12, s2
	s_delay_alu instid0(SALU_CYCLE_1)
	s_xor_b32 s2, exec_lo, s12
	s_cbranch_execz .LBB907_7
; %bb.6:                                ;   in Loop: Header=BB907_3 Depth=1
	v_mov_b32_e32 v1, v0
	v_mov_b32_e32 v2, v0
	;; [unrolled: 1-line block ×3, first 2 shown]
	ds_store_b128 v22, v[0:3]
.LBB907_7:                              ;   in Loop: Header=BB907_3 Depth=1
	s_and_not1_saveexec_b32 s2, s2
	s_cbranch_execz .LBB907_2
; %bb.8:                                ;   in Loop: Header=BB907_3 Depth=1
	global_load_b128 v[1:4], v[8:9], off
	s_waitcnt vmcnt(0)
	ds_store_2addr_b64 v22, v[1:2], v[3:4] offset1:1
	s_branch .LBB907_2
.LBB907_9:
	v_cmp_le_i32_e32 vcc_lo, v5, v16
	v_cmp_gt_i32_e64 s2, s20, v16
	s_delay_alu instid0(VALU_DEP_1) | instskip(NEXT) | instid1(SALU_CYCLE_1)
	s_and_b32 s2, vcc_lo, s2
	s_and_saveexec_b32 s3, s2
	s_cbranch_execz .LBB907_11
; %bb.10:
	s_load_b32 s0, s[0:1], 0x60
	v_ashrrev_i32_e32 v6, 31, v5
	s_delay_alu instid0(VALU_DEP_4) | instskip(SKIP_1) | instid1(VALU_DEP_3)
	v_mul_f64 v[8:9], s[4:5], v[12:13]
	v_mul_f64 v[12:13], s[6:7], v[12:13]
	v_lshlrev_b64 v[2:3], 4, v[5:6]
	s_waitcnt lgkmcnt(0)
	v_mad_i64_i32 v[0:1], null, s0, v16, 0
	s_delay_alu instid0(VALU_DEP_1) | instskip(NEXT) | instid1(VALU_DEP_1)
	v_lshlrev_b64 v[0:1], 4, v[0:1]
	v_add_co_u32 v0, vcc_lo, s16, v0
	s_delay_alu instid0(VALU_DEP_2) | instskip(NEXT) | instid1(VALU_DEP_2)
	v_add_co_ci_u32_e32 v1, vcc_lo, s17, v1, vcc_lo
	v_add_co_u32 v6, vcc_lo, v0, v2
	s_delay_alu instid0(VALU_DEP_2)
	v_add_co_ci_u32_e32 v7, vcc_lo, v1, v3, vcc_lo
	v_fma_f64 v[8:9], s[6:7], v[14:15], v[8:9]
	v_fma_f64 v[12:13], s[4:5], v[14:15], -v[12:13]
	v_cmp_ne_u32_e32 vcc_lo, v5, v16
	global_load_b128 v[0:3], v[6:7], off
	s_waitcnt vmcnt(0)
	v_mul_f64 v[10:11], s[8:9], v[2:3]
	v_mul_f64 v[2:3], s[10:11], v[2:3]
	s_delay_alu instid0(VALU_DEP_2) | instskip(NEXT) | instid1(VALU_DEP_2)
	v_fma_f64 v[10:11], s[10:11], v[0:1], v[10:11]
	v_fma_f64 v[0:1], s[8:9], v[0:1], -v[2:3]
	s_delay_alu instid0(VALU_DEP_2) | instskip(NEXT) | instid1(VALU_DEP_2)
	v_add_f64 v[2:3], v[8:9], v[10:11]
	v_add_f64 v[0:1], v[12:13], v[0:1]
	s_delay_alu instid0(VALU_DEP_2)
	v_dual_cndmask_b32 v3, 0, v3 :: v_dual_cndmask_b32 v2, 0, v2
	global_store_b128 v[6:7], v[0:3], off
.LBB907_11:
	s_nop 0
	s_sendmsg sendmsg(MSG_DEALLOC_VGPRS)
	s_endpgm
	.section	.rodata,"a",@progbits
	.p2align	6, 0x0
	.amdhsa_kernel _ZL32rocblas_syrkx_herkx_small_kernelIi19rocblas_complex_numIdELi16ELb0ELb1ELc67ELc85EKPKS1_KPS1_EviT_T0_PT6_S7_lSA_S7_lS8_PT7_S7_li
		.amdhsa_group_segment_fixed_size 8192
		.amdhsa_private_segment_fixed_size 0
		.amdhsa_kernarg_size 116
		.amdhsa_user_sgpr_count 13
		.amdhsa_user_sgpr_dispatch_ptr 0
		.amdhsa_user_sgpr_queue_ptr 0
		.amdhsa_user_sgpr_kernarg_segment_ptr 1
		.amdhsa_user_sgpr_dispatch_id 0
		.amdhsa_user_sgpr_private_segment_size 0
		.amdhsa_wavefront_size32 1
		.amdhsa_uses_dynamic_stack 0
		.amdhsa_enable_private_segment 0
		.amdhsa_system_sgpr_workgroup_id_x 1
		.amdhsa_system_sgpr_workgroup_id_y 1
		.amdhsa_system_sgpr_workgroup_id_z 1
		.amdhsa_system_sgpr_workgroup_info 0
		.amdhsa_system_vgpr_workitem_id 1
		.amdhsa_next_free_vgpr 51
		.amdhsa_next_free_sgpr 26
		.amdhsa_reserve_vcc 1
		.amdhsa_float_round_mode_32 0
		.amdhsa_float_round_mode_16_64 0
		.amdhsa_float_denorm_mode_32 3
		.amdhsa_float_denorm_mode_16_64 3
		.amdhsa_dx10_clamp 1
		.amdhsa_ieee_mode 1
		.amdhsa_fp16_overflow 0
		.amdhsa_workgroup_processor_mode 1
		.amdhsa_memory_ordered 1
		.amdhsa_forward_progress 0
		.amdhsa_shared_vgpr_count 0
		.amdhsa_exception_fp_ieee_invalid_op 0
		.amdhsa_exception_fp_denorm_src 0
		.amdhsa_exception_fp_ieee_div_zero 0
		.amdhsa_exception_fp_ieee_overflow 0
		.amdhsa_exception_fp_ieee_underflow 0
		.amdhsa_exception_fp_ieee_inexact 0
		.amdhsa_exception_int_div_zero 0
	.end_amdhsa_kernel
	.section	.text._ZL32rocblas_syrkx_herkx_small_kernelIi19rocblas_complex_numIdELi16ELb0ELb1ELc67ELc85EKPKS1_KPS1_EviT_T0_PT6_S7_lSA_S7_lS8_PT7_S7_li,"axG",@progbits,_ZL32rocblas_syrkx_herkx_small_kernelIi19rocblas_complex_numIdELi16ELb0ELb1ELc67ELc85EKPKS1_KPS1_EviT_T0_PT6_S7_lSA_S7_lS8_PT7_S7_li,comdat
.Lfunc_end907:
	.size	_ZL32rocblas_syrkx_herkx_small_kernelIi19rocblas_complex_numIdELi16ELb0ELb1ELc67ELc85EKPKS1_KPS1_EviT_T0_PT6_S7_lSA_S7_lS8_PT7_S7_li, .Lfunc_end907-_ZL32rocblas_syrkx_herkx_small_kernelIi19rocblas_complex_numIdELi16ELb0ELb1ELc67ELc85EKPKS1_KPS1_EviT_T0_PT6_S7_lSA_S7_lS8_PT7_S7_li
                                        ; -- End function
	.section	.AMDGPU.csdata,"",@progbits
; Kernel info:
; codeLenInByte = 2032
; NumSgprs: 28
; NumVgprs: 51
; ScratchSize: 0
; MemoryBound: 1
; FloatMode: 240
; IeeeMode: 1
; LDSByteSize: 8192 bytes/workgroup (compile time only)
; SGPRBlocks: 3
; VGPRBlocks: 6
; NumSGPRsForWavesPerEU: 28
; NumVGPRsForWavesPerEU: 51
; Occupancy: 16
; WaveLimiterHint : 1
; COMPUTE_PGM_RSRC2:SCRATCH_EN: 0
; COMPUTE_PGM_RSRC2:USER_SGPR: 13
; COMPUTE_PGM_RSRC2:TRAP_HANDLER: 0
; COMPUTE_PGM_RSRC2:TGID_X_EN: 1
; COMPUTE_PGM_RSRC2:TGID_Y_EN: 1
; COMPUTE_PGM_RSRC2:TGID_Z_EN: 1
; COMPUTE_PGM_RSRC2:TIDIG_COMP_CNT: 1
	.section	.text._ZL32rocblas_syrkx_herkx_small_kernelIi19rocblas_complex_numIdELi16ELb0ELb1ELc78ELc85EKPKS1_KPS1_EviT_T0_PT6_S7_lSA_S7_lS8_PT7_S7_li,"axG",@progbits,_ZL32rocblas_syrkx_herkx_small_kernelIi19rocblas_complex_numIdELi16ELb0ELb1ELc78ELc85EKPKS1_KPS1_EviT_T0_PT6_S7_lSA_S7_lS8_PT7_S7_li,comdat
	.globl	_ZL32rocblas_syrkx_herkx_small_kernelIi19rocblas_complex_numIdELi16ELb0ELb1ELc78ELc85EKPKS1_KPS1_EviT_T0_PT6_S7_lSA_S7_lS8_PT7_S7_li ; -- Begin function _ZL32rocblas_syrkx_herkx_small_kernelIi19rocblas_complex_numIdELi16ELb0ELb1ELc78ELc85EKPKS1_KPS1_EviT_T0_PT6_S7_lSA_S7_lS8_PT7_S7_li
	.p2align	8
	.type	_ZL32rocblas_syrkx_herkx_small_kernelIi19rocblas_complex_numIdELi16ELb0ELb1ELc78ELc85EKPKS1_KPS1_EviT_T0_PT6_S7_lSA_S7_lS8_PT7_S7_li,@function
_ZL32rocblas_syrkx_herkx_small_kernelIi19rocblas_complex_numIdELi16ELb0ELb1ELc78ELc85EKPKS1_KPS1_EviT_T0_PT6_S7_lSA_S7_lS8_PT7_S7_li: ; @_ZL32rocblas_syrkx_herkx_small_kernelIi19rocblas_complex_numIdELi16ELb0ELb1ELc78ELc85EKPKS1_KPS1_EviT_T0_PT6_S7_lSA_S7_lS8_PT7_S7_li
; %bb.0:
	s_load_b64 s[2:3], s[0:1], 0x58
	s_mov_b32 s18, s15
	s_mov_b32 s19, 0
	s_clause 0x1
	s_load_b64 s[20:21], s[0:1], 0x0
	s_load_b128 s[4:7], s[0:1], 0x8
	s_lshl_b64 s[22:23], s[18:19], 3
	v_and_b32_e32 v16, 0x3ff, v0
	v_bfe_u32 v17, v0, 10, 10
	v_mov_b32_e32 v12, 0
	v_mov_b32_e32 v13, 0
	s_delay_alu instid0(VALU_DEP_4) | instskip(NEXT) | instid1(VALU_DEP_4)
	v_lshl_add_u32 v5, s13, 4, v16
	v_lshl_add_u32 v7, s14, 4, v17
	s_delay_alu instid0(VALU_DEP_3) | instskip(NEXT) | instid1(VALU_DEP_3)
	v_dual_mov_b32 v15, v13 :: v_dual_mov_b32 v14, v12
	v_ashrrev_i32_e32 v6, 31, v5
	s_waitcnt lgkmcnt(0)
	s_add_u32 s2, s2, s22
	s_addc_u32 s3, s3, s23
	s_clause 0x1
	s_load_b64 s[24:25], s[0:1], 0x18
	s_load_b128 s[8:11], s[0:1], 0x48
	s_load_b64 s[16:17], s[2:3], 0x0
	v_cmp_gt_i32_e32 vcc_lo, s20, v7
	s_cmp_lt_i32 s21, 1
	s_cbranch_scc1 .LBB908_9
; %bb.1:
	s_clause 0x2
	s_load_b32 s14, s[0:1], 0x20
	s_load_b32 s12, s[0:1], 0x38
	s_load_b64 s[26:27], s[0:1], 0x30
	v_ashrrev_i32_e32 v8, 31, v7
	v_lshlrev_b64 v[1:2], 4, v[5:6]
	v_dual_mov_b32 v12, 0 :: v_dual_lshlrev_b32 v11, 8, v17
	v_dual_mov_b32 v13, 0 :: v_dual_lshlrev_b32 v18, 4, v16
	s_delay_alu instid0(VALU_DEP_4) | instskip(NEXT) | instid1(VALU_DEP_3)
	v_lshlrev_b64 v[14:15], 4, v[7:8]
	v_dual_mov_b32 v0, 0 :: v_dual_add_nc_u32 v19, 0x1000, v11
	v_cmp_gt_i32_e64 s2, s20, v5
	s_delay_alu instid0(VALU_DEP_4) | instskip(NEXT) | instid1(VALU_DEP_3)
	v_add_nc_u32_e32 v20, v18, v11
	v_add_nc_u32_e32 v21, v19, v18
	s_waitcnt lgkmcnt(0)
	s_ashr_i32 s15, s14, 31
	s_ashr_i32 s13, s12, 31
	s_add_u32 s26, s26, s22
	s_addc_u32 s27, s27, s23
	v_mad_i64_i32 v[3:4], null, s12, v16, 0
	s_load_b64 s[26:27], s[26:27], 0x0
	s_add_u32 s22, s24, s22
	s_addc_u32 s23, s25, s23
	v_mad_i64_i32 v[9:10], null, s14, v17, 0
	s_load_b64 s[22:23], s[22:23], 0x0
	s_delay_alu instid0(VALU_DEP_2) | instskip(SKIP_2) | instid1(VALU_DEP_2)
	v_lshlrev_b64 v[3:4], 4, v[3:4]
	s_lshl_b64 s[12:13], s[12:13], 8
	s_lshl_b64 s[14:15], s[14:15], 8
	v_lshlrev_b64 v[8:9], 4, v[9:10]
	s_delay_alu instid0(VALU_DEP_2) | instskip(NEXT) | instid1(VALU_DEP_1)
	v_add_co_u32 v3, s3, v3, v14
	v_add_co_ci_u32_e64 v4, s3, v4, v15, s3
	v_dual_mov_b32 v15, v13 :: v_dual_mov_b32 v14, v12
	s_delay_alu instid0(VALU_DEP_4) | instskip(NEXT) | instid1(VALU_DEP_1)
	v_add_co_u32 v1, s3, v8, v1
	v_add_co_ci_u32_e64 v2, s3, v9, v2, s3
	s_waitcnt lgkmcnt(0)
	v_add_co_u32 v3, s3, v3, s26
	s_delay_alu instid0(VALU_DEP_1) | instskip(SKIP_1) | instid1(VALU_DEP_1)
	v_add_co_ci_u32_e64 v4, s3, s27, v4, s3
	v_add_co_u32 v8, s3, s22, v1
	v_add_co_ci_u32_e64 v9, s3, s23, v2, s3
	s_delay_alu instid0(VALU_DEP_4) | instskip(NEXT) | instid1(VALU_DEP_1)
	v_add_co_u32 v10, s3, v3, 8
	v_add_co_ci_u32_e64 v11, s3, 0, v4, s3
	s_xor_b32 s3, s2, -1
	s_branch .LBB908_3
.LBB908_2:                              ;   in Loop: Header=BB908_3 Depth=1
	s_or_b32 exec_lo, exec_lo, s2
	ds_store_b128 v21, v[1:4]
	s_waitcnt lgkmcnt(0)
	s_barrier
	buffer_gl0_inv
	ds_load_b128 v[1:4], v18
	ds_load_b128 v[22:25], v19
	ds_load_b128 v[26:29], v19 offset:16
	ds_load_b128 v[30:33], v18 offset:256
	v_add_co_u32 v10, s2, v10, s12
	s_delay_alu instid0(VALU_DEP_1) | instskip(SKIP_1) | instid1(VALU_DEP_1)
	v_add_co_ci_u32_e64 v11, s2, s13, v11, s2
	v_add_co_u32 v8, s2, v8, s14
	v_add_co_ci_u32_e64 v9, s2, s15, v9, s2
	s_add_i32 s19, s19, 16
	s_delay_alu instid0(SALU_CYCLE_1)
	s_cmp_ge_i32 s19, s21
	s_waitcnt lgkmcnt(2)
	v_mul_f64 v[34:35], v[24:25], v[3:4]
	v_mul_f64 v[3:4], v[22:23], v[3:4]
	s_waitcnt lgkmcnt(0)
	v_mul_f64 v[40:41], v[28:29], v[32:33]
	v_mul_f64 v[42:43], v[26:27], v[32:33]
	s_delay_alu instid0(VALU_DEP_4) | instskip(NEXT) | instid1(VALU_DEP_4)
	v_fma_f64 v[44:45], v[22:23], v[1:2], -v[34:35]
	v_fma_f64 v[46:47], v[24:25], v[1:2], v[3:4]
	ds_load_b128 v[1:4], v18 offset:512
	ds_load_b128 v[22:25], v19 offset:32
	;; [unrolled: 1-line block ×4, first 2 shown]
	v_fma_f64 v[26:27], v[26:27], v[30:31], -v[40:41]
	v_fma_f64 v[28:29], v[28:29], v[30:31], v[42:43]
	s_waitcnt lgkmcnt(2)
	v_mul_f64 v[48:49], v[24:25], v[3:4]
	v_mul_f64 v[3:4], v[22:23], v[3:4]
	s_waitcnt lgkmcnt(0)
	v_mul_f64 v[30:31], v[34:35], v[38:39]
	v_mul_f64 v[38:39], v[32:33], v[38:39]
	v_add_f64 v[14:15], v[14:15], v[44:45]
	v_add_f64 v[12:13], v[12:13], v[46:47]
	v_fma_f64 v[40:41], v[22:23], v[1:2], -v[48:49]
	v_fma_f64 v[42:43], v[24:25], v[1:2], v[3:4]
	v_fma_f64 v[30:31], v[32:33], v[36:37], -v[30:31]
	v_fma_f64 v[32:33], v[34:35], v[36:37], v[38:39]
	v_add_f64 v[44:45], v[14:15], v[26:27]
	v_add_f64 v[46:47], v[12:13], v[28:29]
	ds_load_b128 v[1:4], v18 offset:1024
	ds_load_b128 v[12:15], v19 offset:64
	ds_load_b128 v[22:25], v19 offset:80
	ds_load_b128 v[26:29], v18 offset:1280
	s_waitcnt lgkmcnt(2)
	v_mul_f64 v[48:49], v[14:15], v[3:4]
	v_mul_f64 v[3:4], v[12:13], v[3:4]
	s_waitcnt lgkmcnt(0)
	v_mul_f64 v[38:39], v[24:25], v[28:29]
	v_add_f64 v[34:35], v[44:45], v[40:41]
	v_add_f64 v[36:37], v[46:47], v[42:43]
	v_mul_f64 v[40:41], v[22:23], v[28:29]
	v_fma_f64 v[42:43], v[12:13], v[1:2], -v[48:49]
	v_fma_f64 v[44:45], v[14:15], v[1:2], v[3:4]
	v_fma_f64 v[22:23], v[22:23], v[26:27], -v[38:39]
	v_add_f64 v[46:47], v[34:35], v[30:31]
	v_add_f64 v[36:37], v[36:37], v[32:33]
	ds_load_b128 v[1:4], v18 offset:1536
	ds_load_b128 v[12:15], v19 offset:96
	;; [unrolled: 1-line block ×4, first 2 shown]
	v_fma_f64 v[24:25], v[24:25], v[26:27], v[40:41]
	s_waitcnt lgkmcnt(2)
	v_mul_f64 v[48:49], v[14:15], v[3:4]
	v_mul_f64 v[3:4], v[12:13], v[3:4]
	s_waitcnt lgkmcnt(0)
	v_mul_f64 v[38:39], v[30:31], v[34:35]
	v_mul_f64 v[40:41], v[28:29], v[34:35]
	v_add_f64 v[26:27], v[46:47], v[42:43]
	v_add_f64 v[36:37], v[36:37], v[44:45]
	v_fma_f64 v[42:43], v[12:13], v[1:2], -v[48:49]
	v_fma_f64 v[44:45], v[14:15], v[1:2], v[3:4]
	v_fma_f64 v[28:29], v[28:29], v[32:33], -v[38:39]
	v_fma_f64 v[30:31], v[30:31], v[32:33], v[40:41]
	v_add_f64 v[26:27], v[26:27], v[22:23]
	v_add_f64 v[46:47], v[36:37], v[24:25]
	ds_load_b128 v[1:4], v18 offset:2048
	ds_load_b128 v[12:15], v19 offset:128
	;; [unrolled: 1-line block ×4, first 2 shown]
	s_waitcnt lgkmcnt(2)
	v_mul_f64 v[48:49], v[14:15], v[3:4]
	v_mul_f64 v[3:4], v[12:13], v[3:4]
	s_waitcnt lgkmcnt(0)
	v_mul_f64 v[38:39], v[24:25], v[36:37]
	v_mul_f64 v[36:37], v[22:23], v[36:37]
	v_add_f64 v[26:27], v[26:27], v[42:43]
	v_add_f64 v[32:33], v[46:47], v[44:45]
	v_fma_f64 v[40:41], v[12:13], v[1:2], -v[48:49]
	v_fma_f64 v[42:43], v[14:15], v[1:2], v[3:4]
	v_fma_f64 v[22:23], v[22:23], v[34:35], -v[38:39]
	v_fma_f64 v[24:25], v[24:25], v[34:35], v[36:37]
	v_add_f64 v[44:45], v[26:27], v[28:29]
	v_add_f64 v[46:47], v[32:33], v[30:31]
	ds_load_b128 v[1:4], v18 offset:2560
	ds_load_b128 v[12:15], v19 offset:160
	;; [unrolled: 1-line block ×4, first 2 shown]
	s_waitcnt lgkmcnt(2)
	v_mul_f64 v[48:49], v[14:15], v[3:4]
	v_mul_f64 v[3:4], v[12:13], v[3:4]
	s_waitcnt lgkmcnt(0)
	v_mul_f64 v[38:39], v[28:29], v[32:33]
	v_add_f64 v[34:35], v[44:45], v[40:41]
	v_add_f64 v[36:37], v[46:47], v[42:43]
	v_mul_f64 v[40:41], v[26:27], v[32:33]
	v_fma_f64 v[42:43], v[12:13], v[1:2], -v[48:49]
	v_fma_f64 v[44:45], v[14:15], v[1:2], v[3:4]
	v_fma_f64 v[26:27], v[26:27], v[30:31], -v[38:39]
	v_add_f64 v[46:47], v[34:35], v[22:23]
	v_add_f64 v[36:37], v[36:37], v[24:25]
	ds_load_b128 v[1:4], v18 offset:3072
	ds_load_b128 v[12:15], v19 offset:192
	;; [unrolled: 1-line block ×4, first 2 shown]
	v_fma_f64 v[28:29], v[28:29], v[30:31], v[40:41]
	s_waitcnt lgkmcnt(2)
	v_mul_f64 v[48:49], v[14:15], v[3:4]
	v_mul_f64 v[3:4], v[12:13], v[3:4]
	s_waitcnt lgkmcnt(0)
	v_mul_f64 v[38:39], v[24:25], v[34:35]
	v_mul_f64 v[40:41], v[22:23], v[34:35]
	v_add_f64 v[30:31], v[46:47], v[42:43]
	v_add_f64 v[36:37], v[36:37], v[44:45]
	v_fma_f64 v[42:43], v[12:13], v[1:2], -v[48:49]
	v_fma_f64 v[44:45], v[14:15], v[1:2], v[3:4]
	v_fma_f64 v[22:23], v[22:23], v[32:33], -v[38:39]
	v_fma_f64 v[24:25], v[24:25], v[32:33], v[40:41]
	v_add_f64 v[30:31], v[30:31], v[26:27]
	v_add_f64 v[46:47], v[36:37], v[28:29]
	ds_load_b128 v[1:4], v18 offset:3584
	ds_load_b128 v[12:15], v19 offset:224
	;; [unrolled: 1-line block ×4, first 2 shown]
	s_waitcnt lgkmcnt(0)
	s_barrier
	buffer_gl0_inv
	v_mul_f64 v[48:49], v[14:15], v[3:4]
	v_mul_f64 v[3:4], v[12:13], v[3:4]
	;; [unrolled: 1-line block ×4, first 2 shown]
	v_add_f64 v[30:31], v[30:31], v[42:43]
	v_add_f64 v[32:33], v[46:47], v[44:45]
	v_fma_f64 v[12:13], v[12:13], v[1:2], -v[48:49]
	v_fma_f64 v[1:2], v[14:15], v[1:2], v[3:4]
	s_delay_alu instid0(VALU_DEP_4) | instskip(NEXT) | instid1(VALU_DEP_4)
	v_add_f64 v[3:4], v[30:31], v[22:23]
	v_add_f64 v[14:15], v[32:33], v[24:25]
	v_fma_f64 v[22:23], v[26:27], v[34:35], -v[38:39]
	v_fma_f64 v[24:25], v[28:29], v[34:35], v[36:37]
	s_delay_alu instid0(VALU_DEP_4) | instskip(NEXT) | instid1(VALU_DEP_4)
	v_add_f64 v[3:4], v[3:4], v[12:13]
	v_add_f64 v[1:2], v[14:15], v[1:2]
	s_delay_alu instid0(VALU_DEP_2) | instskip(NEXT) | instid1(VALU_DEP_2)
	v_add_f64 v[14:15], v[3:4], v[22:23]
	v_add_f64 v[12:13], v[1:2], v[24:25]
	s_cbranch_scc1 .LBB908_9
.LBB908_3:                              ; =>This Inner Loop Header: Depth=1
	v_add_nc_u32_e32 v1, s19, v17
	s_delay_alu instid0(VALU_DEP_1) | instskip(NEXT) | instid1(VALU_DEP_1)
	v_cmp_le_i32_e64 s2, s21, v1
	s_or_b32 s2, s3, s2
	s_delay_alu instid0(SALU_CYCLE_1) | instskip(NEXT) | instid1(SALU_CYCLE_1)
	s_and_saveexec_b32 s18, s2
	s_xor_b32 s2, exec_lo, s18
	s_cbranch_execz .LBB908_5
; %bb.4:                                ;   in Loop: Header=BB908_3 Depth=1
	v_mov_b32_e32 v1, v0
	v_mov_b32_e32 v2, v0
	;; [unrolled: 1-line block ×3, first 2 shown]
	ds_store_b128 v20, v[0:3]
.LBB908_5:                              ;   in Loop: Header=BB908_3 Depth=1
	s_and_not1_saveexec_b32 s2, s2
	s_cbranch_execz .LBB908_7
; %bb.6:                                ;   in Loop: Header=BB908_3 Depth=1
	global_load_b128 v[1:4], v[8:9], off
	s_waitcnt vmcnt(0)
	ds_store_2addr_b64 v20, v[1:2], v[3:4] offset1:1
.LBB908_7:                              ;   in Loop: Header=BB908_3 Depth=1
	s_or_b32 exec_lo, exec_lo, s2
	v_add_nc_u32_e32 v3, s19, v16
	v_mov_b32_e32 v1, 0
	v_mov_b32_e32 v2, 0
	s_delay_alu instid0(VALU_DEP_3) | instskip(NEXT) | instid1(VALU_DEP_2)
	v_cmp_gt_i32_e64 s2, s21, v3
	v_dual_mov_b32 v4, v2 :: v_dual_mov_b32 v3, v1
	s_delay_alu instid0(VALU_DEP_2) | instskip(NEXT) | instid1(SALU_CYCLE_1)
	s_and_b32 s18, vcc_lo, s2
	s_and_saveexec_b32 s2, s18
	s_cbranch_execz .LBB908_2
; %bb.8:                                ;   in Loop: Header=BB908_3 Depth=1
	global_load_b128 v[1:4], v[10:11], off offset:-8
	s_waitcnt vmcnt(0)
	v_xor_b32_e32 v4, 0x80000000, v4
	s_branch .LBB908_2
.LBB908_9:
	v_cmp_le_i32_e32 vcc_lo, v5, v7
	v_cmp_gt_i32_e64 s2, s20, v7
	s_delay_alu instid0(VALU_DEP_1) | instskip(NEXT) | instid1(SALU_CYCLE_1)
	s_and_b32 s2, vcc_lo, s2
	s_and_saveexec_b32 s3, s2
	s_cbranch_execz .LBB908_11
; %bb.10:
	s_load_b32 s0, s[0:1], 0x60
	v_lshlrev_b64 v[2:3], 4, v[5:6]
	s_delay_alu instid0(VALU_DEP_4) | instskip(SKIP_3) | instid1(VALU_DEP_1)
	v_mul_f64 v[10:11], s[4:5], v[12:13]
	v_mul_f64 v[12:13], s[6:7], v[12:13]
	s_waitcnt lgkmcnt(0)
	v_mad_i64_i32 v[0:1], null, s0, v7, 0
	v_lshlrev_b64 v[0:1], 4, v[0:1]
	s_delay_alu instid0(VALU_DEP_1) | instskip(NEXT) | instid1(VALU_DEP_2)
	v_add_co_u32 v0, vcc_lo, s16, v0
	v_add_co_ci_u32_e32 v1, vcc_lo, s17, v1, vcc_lo
	s_delay_alu instid0(VALU_DEP_2) | instskip(NEXT) | instid1(VALU_DEP_2)
	v_add_co_u32 v8, vcc_lo, v0, v2
	v_add_co_ci_u32_e32 v9, vcc_lo, v1, v3, vcc_lo
	v_fma_f64 v[10:11], s[6:7], v[14:15], v[10:11]
	v_fma_f64 v[12:13], s[4:5], v[14:15], -v[12:13]
	v_cmp_ne_u32_e32 vcc_lo, v5, v7
	global_load_b128 v[0:3], v[8:9], off
	s_waitcnt vmcnt(0)
	v_mul_f64 v[16:17], s[8:9], v[2:3]
	v_mul_f64 v[2:3], s[10:11], v[2:3]
	s_delay_alu instid0(VALU_DEP_2) | instskip(NEXT) | instid1(VALU_DEP_2)
	v_fma_f64 v[16:17], s[10:11], v[0:1], v[16:17]
	v_fma_f64 v[0:1], s[8:9], v[0:1], -v[2:3]
	s_delay_alu instid0(VALU_DEP_2) | instskip(NEXT) | instid1(VALU_DEP_2)
	v_add_f64 v[2:3], v[10:11], v[16:17]
	v_add_f64 v[0:1], v[12:13], v[0:1]
	s_delay_alu instid0(VALU_DEP_2)
	v_dual_cndmask_b32 v3, 0, v3 :: v_dual_cndmask_b32 v2, 0, v2
	global_store_b128 v[8:9], v[0:3], off
.LBB908_11:
	s_nop 0
	s_sendmsg sendmsg(MSG_DEALLOC_VGPRS)
	s_endpgm
	.section	.rodata,"a",@progbits
	.p2align	6, 0x0
	.amdhsa_kernel _ZL32rocblas_syrkx_herkx_small_kernelIi19rocblas_complex_numIdELi16ELb0ELb1ELc78ELc85EKPKS1_KPS1_EviT_T0_PT6_S7_lSA_S7_lS8_PT7_S7_li
		.amdhsa_group_segment_fixed_size 8192
		.amdhsa_private_segment_fixed_size 0
		.amdhsa_kernarg_size 116
		.amdhsa_user_sgpr_count 13
		.amdhsa_user_sgpr_dispatch_ptr 0
		.amdhsa_user_sgpr_queue_ptr 0
		.amdhsa_user_sgpr_kernarg_segment_ptr 1
		.amdhsa_user_sgpr_dispatch_id 0
		.amdhsa_user_sgpr_private_segment_size 0
		.amdhsa_wavefront_size32 1
		.amdhsa_uses_dynamic_stack 0
		.amdhsa_enable_private_segment 0
		.amdhsa_system_sgpr_workgroup_id_x 1
		.amdhsa_system_sgpr_workgroup_id_y 1
		.amdhsa_system_sgpr_workgroup_id_z 1
		.amdhsa_system_sgpr_workgroup_info 0
		.amdhsa_system_vgpr_workitem_id 1
		.amdhsa_next_free_vgpr 50
		.amdhsa_next_free_sgpr 28
		.amdhsa_reserve_vcc 1
		.amdhsa_float_round_mode_32 0
		.amdhsa_float_round_mode_16_64 0
		.amdhsa_float_denorm_mode_32 3
		.amdhsa_float_denorm_mode_16_64 3
		.amdhsa_dx10_clamp 1
		.amdhsa_ieee_mode 1
		.amdhsa_fp16_overflow 0
		.amdhsa_workgroup_processor_mode 1
		.amdhsa_memory_ordered 1
		.amdhsa_forward_progress 0
		.amdhsa_shared_vgpr_count 0
		.amdhsa_exception_fp_ieee_invalid_op 0
		.amdhsa_exception_fp_denorm_src 0
		.amdhsa_exception_fp_ieee_div_zero 0
		.amdhsa_exception_fp_ieee_overflow 0
		.amdhsa_exception_fp_ieee_underflow 0
		.amdhsa_exception_fp_ieee_inexact 0
		.amdhsa_exception_int_div_zero 0
	.end_amdhsa_kernel
	.section	.text._ZL32rocblas_syrkx_herkx_small_kernelIi19rocblas_complex_numIdELi16ELb0ELb1ELc78ELc85EKPKS1_KPS1_EviT_T0_PT6_S7_lSA_S7_lS8_PT7_S7_li,"axG",@progbits,_ZL32rocblas_syrkx_herkx_small_kernelIi19rocblas_complex_numIdELi16ELb0ELb1ELc78ELc85EKPKS1_KPS1_EviT_T0_PT6_S7_lSA_S7_lS8_PT7_S7_li,comdat
.Lfunc_end908:
	.size	_ZL32rocblas_syrkx_herkx_small_kernelIi19rocblas_complex_numIdELi16ELb0ELb1ELc78ELc85EKPKS1_KPS1_EviT_T0_PT6_S7_lSA_S7_lS8_PT7_S7_li, .Lfunc_end908-_ZL32rocblas_syrkx_herkx_small_kernelIi19rocblas_complex_numIdELi16ELb0ELb1ELc78ELc85EKPKS1_KPS1_EviT_T0_PT6_S7_lSA_S7_lS8_PT7_S7_li
                                        ; -- End function
	.section	.AMDGPU.csdata,"",@progbits
; Kernel info:
; codeLenInByte = 2044
; NumSgprs: 30
; NumVgprs: 50
; ScratchSize: 0
; MemoryBound: 1
; FloatMode: 240
; IeeeMode: 1
; LDSByteSize: 8192 bytes/workgroup (compile time only)
; SGPRBlocks: 3
; VGPRBlocks: 6
; NumSGPRsForWavesPerEU: 30
; NumVGPRsForWavesPerEU: 50
; Occupancy: 16
; WaveLimiterHint : 1
; COMPUTE_PGM_RSRC2:SCRATCH_EN: 0
; COMPUTE_PGM_RSRC2:USER_SGPR: 13
; COMPUTE_PGM_RSRC2:TRAP_HANDLER: 0
; COMPUTE_PGM_RSRC2:TGID_X_EN: 1
; COMPUTE_PGM_RSRC2:TGID_Y_EN: 1
; COMPUTE_PGM_RSRC2:TGID_Z_EN: 1
; COMPUTE_PGM_RSRC2:TIDIG_COMP_CNT: 1
	.section	.text._ZL34rocblas_syrkx_herkx_general_kernelIi19rocblas_complex_numIdELi16ELi32ELi8ELb1ELb1ELc84ELc76EKPKS1_KPS1_EviT_T0_PT8_S7_lSA_S7_lS8_PT9_S7_li,"axG",@progbits,_ZL34rocblas_syrkx_herkx_general_kernelIi19rocblas_complex_numIdELi16ELi32ELi8ELb1ELb1ELc84ELc76EKPKS1_KPS1_EviT_T0_PT8_S7_lSA_S7_lS8_PT9_S7_li,comdat
	.globl	_ZL34rocblas_syrkx_herkx_general_kernelIi19rocblas_complex_numIdELi16ELi32ELi8ELb1ELb1ELc84ELc76EKPKS1_KPS1_EviT_T0_PT8_S7_lSA_S7_lS8_PT9_S7_li ; -- Begin function _ZL34rocblas_syrkx_herkx_general_kernelIi19rocblas_complex_numIdELi16ELi32ELi8ELb1ELb1ELc84ELc76EKPKS1_KPS1_EviT_T0_PT8_S7_lSA_S7_lS8_PT9_S7_li
	.p2align	8
	.type	_ZL34rocblas_syrkx_herkx_general_kernelIi19rocblas_complex_numIdELi16ELi32ELi8ELb1ELb1ELc84ELc76EKPKS1_KPS1_EviT_T0_PT8_S7_lSA_S7_lS8_PT9_S7_li,@function
_ZL34rocblas_syrkx_herkx_general_kernelIi19rocblas_complex_numIdELi16ELi32ELi8ELb1ELb1ELc84ELc76EKPKS1_KPS1_EviT_T0_PT8_S7_lSA_S7_lS8_PT9_S7_li: ; @_ZL34rocblas_syrkx_herkx_general_kernelIi19rocblas_complex_numIdELi16ELi32ELi8ELb1ELb1ELc84ELc76EKPKS1_KPS1_EviT_T0_PT8_S7_lSA_S7_lS8_PT9_S7_li
; %bb.0:
	s_clause 0x2
	s_load_b64 s[4:5], s[0:1], 0x58
	s_load_b64 s[18:19], s[0:1], 0x18
	;; [unrolled: 1-line block ×3, first 2 shown]
	s_mov_b32 s16, s15
	s_mov_b32 s17, 0
	v_mov_b32_e32 v20, 0
	s_lshl_b64 s[2:3], s[16:17], 3
	v_dual_mov_b32 v21, 0 :: v_dual_and_b32 v24, 0x3ff, v0
	v_bfe_u32 v25, v0, 10, 10
	s_delay_alu instid0(VALU_DEP_3) | instskip(NEXT) | instid1(VALU_DEP_3)
	v_mov_b32_e32 v16, v20
	v_dual_mov_b32 v18, v20 :: v_dual_mov_b32 v19, v21
	v_dual_mov_b32 v23, v21 :: v_dual_mov_b32 v22, v20
	v_dual_mov_b32 v17, v21 :: v_dual_mov_b32 v12, v20
	v_dual_mov_b32 v13, v21 :: v_dual_mov_b32 v14, v20
	v_mov_b32_e32 v15, v21
	s_waitcnt lgkmcnt(0)
	s_add_u32 s8, s4, s2
	s_addc_u32 s9, s5, s3
	s_load_b128 s[4:7], s[0:1], 0x8
	s_load_b64 s[8:9], s[8:9], 0x0
	v_dual_mov_b32 v10, v20 :: v_dual_mov_b32 v11, v21
	v_dual_mov_b32 v8, v20 :: v_dual_mov_b32 v9, v21
	s_lshl_b32 s12, s13, 5
	s_lshl_b32 s13, s14, 5
	s_cmp_lt_i32 s11, 1
	s_cbranch_scc1 .LBB909_11
; %bb.1:
	s_clause 0x1
	s_load_b64 s[14:15], s[0:1], 0x30
	s_load_b32 s16, s[0:1], 0x20
	v_lshl_add_u32 v0, v25, 4, v24
	v_dual_mov_b32 v8, 0 :: v_dual_lshlrev_b32 v27, 4, v24
	v_dual_mov_b32 v9, 0 :: v_dual_and_b32 v26, 7, v24
	s_delay_alu instid0(VALU_DEP_3)
	v_and_b32_e32 v1, 31, v0
	s_load_b32 s20, s[0:1], 0x38
	v_lshrrev_b32_e32 v2, 3, v0
	v_lshrrev_b32_e32 v29, 5, v0
	v_mov_b32_e32 v15, v9
	v_dual_mov_b32 v14, v8 :: v_dual_add_nc_u32 v3, s12, v1
	v_or_b32_e32 v6, s12, v1
	v_lshlrev_b32_e32 v7, 4, v1
	v_lshlrev_b32_e32 v4, 4, v26
	;; [unrolled: 1-line block ×3, first 2 shown]
	v_add_nc_u32_e32 v5, s13, v2
	v_mov_b32_e32 v19, v9
	s_waitcnt lgkmcnt(0)
	s_add_u32 s14, s14, s2
	v_mad_i64_i32 v[0:1], null, s16, v3, 0
	s_addc_u32 s15, s15, s3
	s_add_u32 s2, s18, s2
	v_lshl_or_b32 v10, v2, 7, v4
	s_addc_u32 s3, s19, s3
	v_mov_b32_e32 v18, v8
	s_load_b64 s[18:19], s[2:3], 0x0
	s_delay_alu instid0(VALU_DEP_3)
	v_lshlrev_b64 v[0:1], 4, v[0:1]
	v_add_nc_u32_e32 v31, 0x1000, v10
	s_load_b64 s[14:15], s[14:15], 0x0
	v_cmp_gt_i32_e32 vcc_lo, s10, v6
	v_mov_b32_e32 v13, v9
	v_mov_b32_e32 v17, v9
	v_add_co_u32 v0, s3, v0, v11
	v_dual_mov_b32 v11, v9 :: v_dual_mov_b32 v10, v8
	v_mad_i64_i32 v[2:3], null, s20, v5, 0
	v_add_co_ci_u32_e64 v1, s3, 0, v1, s3
	v_cmp_gt_i32_e64 s2, s10, v5
	v_mov_b32_e32 v23, v9
	v_dual_mov_b32 v21, v9 :: v_dual_mov_b32 v20, v8
	v_lshlrev_b64 v[2:3], 4, v[2:3]
	v_lshl_add_u32 v28, v25, 7, 0x1000
	v_mov_b32_e32 v12, v8
	v_lshl_or_b32 v30, v29, 9, v7
	v_mov_b32_e32 v16, v8
	v_mov_b32_e32 v22, v8
	v_add_co_u32 v2, s3, v2, v4
	s_delay_alu instid0(VALU_DEP_1) | instskip(SKIP_2) | instid1(VALU_DEP_1)
	v_add_co_ci_u32_e64 v3, s3, 0, v3, s3
	s_waitcnt lgkmcnt(0)
	v_add_co_u32 v4, s3, s18, v0
	v_add_co_ci_u32_e64 v5, s3, s19, v1, s3
	v_add_co_u32 v6, s3, s14, v2
	s_delay_alu instid0(VALU_DEP_1)
	v_add_co_ci_u32_e64 v7, s3, s15, v3, s3
	v_mov_b32_e32 v0, 0
	s_xor_b32 s3, vcc_lo, -1
	s_xor_b32 s2, s2, -1
	s_branch .LBB909_3
.LBB909_2:                              ;   in Loop: Header=BB909_3 Depth=1
	s_or_b32 exec_lo, exec_lo, s14
	s_waitcnt lgkmcnt(0)
	s_barrier
	buffer_gl0_inv
	ds_load_b128 v[32:35], v28
	ds_load_b128 v[36:39], v27
	ds_load_b128 v[40:43], v27 offset:256
	ds_load_b128 v[44:47], v28 offset:2048
	;; [unrolled: 1-line block ×9, first 2 shown]
	v_add_co_u32 v4, vcc_lo, 0x80, v4
	v_add_co_ci_u32_e32 v5, vcc_lo, 0, v5, vcc_lo
	v_add_co_u32 v6, vcc_lo, 0x80, v6
	v_add_co_ci_u32_e32 v7, vcc_lo, 0, v7, vcc_lo
	s_add_i32 s17, s17, 8
	s_delay_alu instid0(SALU_CYCLE_1)
	s_cmp_ge_i32 s17, s11
	s_waitcnt lgkmcnt(9)
	v_mul_f64 v[1:2], v[34:35], v[38:39]
	v_mul_f64 v[76:77], v[32:33], v[38:39]
	s_waitcnt lgkmcnt(8)
	v_mul_f64 v[78:79], v[34:35], v[42:43]
	v_mul_f64 v[80:81], v[32:33], v[42:43]
	;; [unrolled: 3-line block ×3, first 2 shown]
	v_mul_f64 v[84:85], v[46:47], v[42:43]
	v_mul_f64 v[42:43], v[44:45], v[42:43]
	s_waitcnt lgkmcnt(4)
	v_mul_f64 v[86:87], v[50:51], v[58:59]
	v_mul_f64 v[88:89], v[48:49], v[58:59]
	s_waitcnt lgkmcnt(3)
	v_mul_f64 v[90:91], v[50:51], v[62:63]
	v_mul_f64 v[92:93], v[48:49], v[62:63]
	;; [unrolled: 1-line block ×6, first 2 shown]
	s_waitcnt lgkmcnt(0)
	v_mul_f64 v[114:115], v[74:75], v[66:67]
	v_mul_f64 v[116:117], v[74:75], v[70:71]
	v_fma_f64 v[1:2], v[32:33], v[36:37], -v[1:2]
	v_fma_f64 v[98:99], v[34:35], v[36:37], v[76:77]
	v_fma_f64 v[100:101], v[32:33], v[40:41], -v[78:79]
	v_fma_f64 v[80:81], v[34:35], v[40:41], v[80:81]
	;; [unrolled: 2-line block ×4, first 2 shown]
	ds_load_b128 v[76:79], v28 offset:32
	v_fma_f64 v[86:87], v[48:49], v[56:57], -v[86:87]
	v_fma_f64 v[88:89], v[50:51], v[56:57], v[88:89]
	v_fma_f64 v[48:49], v[48:49], v[60:61], -v[90:91]
	v_fma_f64 v[50:51], v[50:51], v[60:61], v[92:93]
	;; [unrolled: 2-line block ×4, first 2 shown]
	ds_load_b128 v[32:35], v28 offset:48
	ds_load_b128 v[36:39], v28 offset:2096
	;; [unrolled: 1-line block ×4, first 2 shown]
	s_waitcnt lgkmcnt(4)
	v_mul_f64 v[106:107], v[78:79], v[66:67]
	v_mul_f64 v[108:109], v[76:77], v[66:67]
	;; [unrolled: 1-line block ×6, first 2 shown]
	s_waitcnt lgkmcnt(1)
	v_mul_f64 v[92:93], v[32:33], v[42:43]
	s_waitcnt lgkmcnt(0)
	v_mul_f64 v[94:95], v[34:35], v[46:47]
	v_add_f64 v[1:2], v[20:21], v[1:2]
	v_add_f64 v[20:21], v[22:23], v[98:99]
	;; [unrolled: 1-line block ×8, first 2 shown]
	v_mul_f64 v[84:85], v[34:35], v[42:43]
	v_mul_f64 v[96:97], v[32:33], v[46:47]
	;; [unrolled: 1-line block ×6, first 2 shown]
	ds_load_b128 v[8:11], v27 offset:2048
	ds_load_b128 v[12:15], v27 offset:2304
	;; [unrolled: 1-line block ×3, first 2 shown]
	v_fma_f64 v[104:105], v[76:77], v[64:65], -v[106:107]
	v_fma_f64 v[106:107], v[78:79], v[64:65], v[108:109]
	v_fma_f64 v[76:77], v[76:77], v[68:69], -v[110:111]
	v_fma_f64 v[78:79], v[78:79], v[68:69], v[112:113]
	;; [unrolled: 2-line block ×4, first 2 shown]
	s_waitcnt lgkmcnt(0)
	v_mul_f64 v[114:115], v[18:19], v[10:11]
	v_mul_f64 v[116:117], v[18:19], v[14:15]
	v_add_f64 v[1:2], v[1:2], v[86:87]
	v_add_f64 v[70:71], v[20:21], v[88:89]
	;; [unrolled: 1-line block ×8, first 2 shown]
	ds_load_b128 v[20:23], v28 offset:64
	v_fma_f64 v[84:85], v[32:33], v[40:41], -v[84:85]
	v_fma_f64 v[92:93], v[34:35], v[40:41], v[92:93]
	v_fma_f64 v[94:95], v[32:33], v[44:45], -v[94:95]
	v_fma_f64 v[96:97], v[34:35], v[44:45], v[96:97]
	;; [unrolled: 2-line block ×4, first 2 shown]
	ds_load_b128 v[46:49], v28 offset:80
	ds_load_b128 v[50:53], v28 offset:2128
	;; [unrolled: 1-line block ×7, first 2 shown]
	s_waitcnt lgkmcnt(7)
	v_mul_f64 v[88:89], v[22:23], v[10:11]
	v_mul_f64 v[90:91], v[20:21], v[10:11]
	;; [unrolled: 1-line block ×6, first 2 shown]
	s_waitcnt lgkmcnt(3)
	v_mul_f64 v[102:103], v[52:53], v[60:61]
	v_add_f64 v[1:2], v[1:2], v[104:105]
	v_add_f64 v[70:71], v[70:71], v[106:107]
	;; [unrolled: 1-line block ×8, first 2 shown]
	v_mul_f64 v[68:69], v[48:49], v[56:57]
	v_mul_f64 v[78:79], v[46:47], v[56:57]
	;; [unrolled: 1-line block ×7, first 2 shown]
	v_fma_f64 v[88:89], v[20:21], v[8:9], -v[88:89]
	v_fma_f64 v[90:91], v[22:23], v[8:9], v[90:91]
	v_fma_f64 v[106:107], v[20:21], v[12:13], -v[110:111]
	v_fma_f64 v[108:109], v[22:23], v[12:13], v[112:113]
	;; [unrolled: 2-line block ×4, first 2 shown]
	ds_load_b128 v[8:11], v28 offset:96
	v_add_f64 v[1:2], v[1:2], v[84:85]
	v_add_f64 v[70:71], v[70:71], v[92:93]
	;; [unrolled: 1-line block ×8, first 2 shown]
	s_waitcnt lgkmcnt(1)
	v_mul_f64 v[98:99], v[42:43], v[34:35]
	v_mul_f64 v[100:101], v[42:43], v[38:39]
	v_fma_f64 v[68:69], v[46:47], v[54:55], -v[68:69]
	v_fma_f64 v[78:79], v[48:49], v[54:55], v[78:79]
	v_fma_f64 v[46:47], v[46:47], v[58:59], -v[80:81]
	v_fma_f64 v[48:49], v[48:49], v[58:59], v[82:83]
	;; [unrolled: 2-line block ×4, first 2 shown]
	s_waitcnt lgkmcnt(0)
	v_mul_f64 v[66:67], v[10:11], v[34:35]
	v_mul_f64 v[92:93], v[8:9], v[34:35]
	;; [unrolled: 1-line block ×6, first 2 shown]
	ds_load_b128 v[12:15], v28 offset:112
	ds_load_b128 v[16:19], v28 offset:2160
	ds_load_b128 v[20:23], v27 offset:3584
	ds_load_b128 v[60:63], v27 offset:3840
	s_waitcnt lgkmcnt(0)
	s_barrier
	buffer_gl0_inv
	v_add_f64 v[1:2], v[1:2], v[88:89]
	v_add_f64 v[56:57], v[70:71], v[90:91]
	;; [unrolled: 1-line block ×8, first 2 shown]
	v_mul_f64 v[76:77], v[14:15], v[22:23]
	v_mul_f64 v[82:83], v[12:13], v[22:23]
	;; [unrolled: 1-line block ×8, first 2 shown]
	v_fma_f64 v[66:67], v[8:9], v[32:33], -v[66:67]
	v_fma_f64 v[92:93], v[10:11], v[32:33], v[92:93]
	v_fma_f64 v[8:9], v[8:9], v[36:37], -v[94:95]
	v_fma_f64 v[10:11], v[10:11], v[36:37], v[96:97]
	;; [unrolled: 2-line block ×4, first 2 shown]
	v_add_f64 v[1:2], v[1:2], v[68:69]
	v_add_f64 v[38:39], v[56:57], v[78:79]
	;; [unrolled: 1-line block ×8, first 2 shown]
	v_fma_f64 v[52:53], v[12:13], v[20:21], -v[76:77]
	v_fma_f64 v[54:55], v[14:15], v[20:21], v[82:83]
	v_fma_f64 v[12:13], v[12:13], v[60:61], -v[84:85]
	v_fma_f64 v[14:15], v[14:15], v[60:61], v[86:87]
	;; [unrolled: 2-line block ×4, first 2 shown]
	v_add_f64 v[1:2], v[1:2], v[66:67]
	v_add_f64 v[16:17], v[38:39], v[92:93]
	;; [unrolled: 1-line block ×16, first 2 shown]
	s_cbranch_scc1 .LBB909_11
.LBB909_3:                              ; =>This Inner Loop Header: Depth=1
	v_add_nc_u32_e32 v1, s17, v29
	s_delay_alu instid0(VALU_DEP_1) | instskip(SKIP_1) | instid1(SALU_CYCLE_1)
	v_cmp_le_i32_e32 vcc_lo, s11, v1
	s_or_b32 s14, s3, vcc_lo
	s_and_saveexec_b32 s15, s14
	s_delay_alu instid0(SALU_CYCLE_1)
	s_xor_b32 s14, exec_lo, s15
	s_cbranch_execz .LBB909_5
; %bb.4:                                ;   in Loop: Header=BB909_3 Depth=1
	v_mov_b32_e32 v1, v0
	v_mov_b32_e32 v2, v0
	;; [unrolled: 1-line block ×3, first 2 shown]
	ds_store_b128 v30, v[0:3]
.LBB909_5:                              ;   in Loop: Header=BB909_3 Depth=1
	s_and_not1_saveexec_b32 s14, s14
	s_cbranch_execz .LBB909_7
; %bb.6:                                ;   in Loop: Header=BB909_3 Depth=1
	global_load_b128 v[32:35], v[4:5], off
	s_waitcnt vmcnt(0)
	ds_store_2addr_b64 v30, v[32:33], v[34:35] offset1:1
.LBB909_7:                              ;   in Loop: Header=BB909_3 Depth=1
	s_or_b32 exec_lo, exec_lo, s14
	v_add_nc_u32_e32 v1, s17, v26
	s_delay_alu instid0(VALU_DEP_1) | instskip(SKIP_1) | instid1(SALU_CYCLE_1)
	v_cmp_le_i32_e32 vcc_lo, s11, v1
	s_or_b32 s14, vcc_lo, s2
	s_and_saveexec_b32 s15, s14
	s_delay_alu instid0(SALU_CYCLE_1)
	s_xor_b32 s14, exec_lo, s15
	s_cbranch_execz .LBB909_9
; %bb.8:                                ;   in Loop: Header=BB909_3 Depth=1
	v_mov_b32_e32 v1, v0
	v_mov_b32_e32 v2, v0
	;; [unrolled: 1-line block ×3, first 2 shown]
	ds_store_b128 v31, v[0:3]
.LBB909_9:                              ;   in Loop: Header=BB909_3 Depth=1
	s_and_not1_saveexec_b32 s14, s14
	s_cbranch_execz .LBB909_2
; %bb.10:                               ;   in Loop: Header=BB909_3 Depth=1
	global_load_b128 v[32:35], v[6:7], off
	s_waitcnt vmcnt(0)
	ds_store_2addr_b64 v31, v[32:33], v[34:35] offset1:1
	s_branch .LBB909_2
.LBB909_11:
	s_load_b32 s3, s[0:1], 0x60
	v_add_nc_u32_e32 v4, s13, v25
	v_add_nc_u32_e32 v0, s12, v24
	s_delay_alu instid0(VALU_DEP_1) | instskip(SKIP_1) | instid1(VALU_DEP_2)
	v_cmp_le_i32_e64 s0, v4, v0
	v_cmp_gt_i32_e32 vcc_lo, s10, v0
	s_and_b32 s0, s0, vcc_lo
	s_waitcnt lgkmcnt(0)
	v_mad_i64_i32 v[1:2], null, v4, s3, 0
	s_delay_alu instid0(VALU_DEP_1) | instskip(NEXT) | instid1(VALU_DEP_1)
	v_lshlrev_b64 v[1:2], 4, v[1:2]
	v_add_co_u32 v5, s1, s8, v1
	s_delay_alu instid0(VALU_DEP_1)
	v_add_co_ci_u32_e64 v6, s1, s9, v2, s1
	s_and_saveexec_b32 s2, s0
	s_cbranch_execz .LBB909_13
; %bb.12:
	v_mul_f64 v[1:2], s[4:5], v[22:23]
	v_mul_f64 v[22:23], s[6:7], v[22:23]
	v_cmp_ne_u32_e64 s0, v4, v0
	s_delay_alu instid0(VALU_DEP_3) | instskip(NEXT) | instid1(VALU_DEP_3)
	v_fma_f64 v[2:3], s[6:7], v[20:21], v[1:2]
	v_fma_f64 v[20:21], s[4:5], v[20:21], -v[22:23]
	v_ashrrev_i32_e32 v1, 31, v0
	s_delay_alu instid0(VALU_DEP_1) | instskip(NEXT) | instid1(VALU_DEP_1)
	v_lshlrev_b64 v[22:23], 4, v[0:1]
	v_add_co_u32 v24, s1, v5, v22
	s_delay_alu instid0(VALU_DEP_1)
	v_add_co_ci_u32_e64 v25, s1, v6, v23, s1
	v_cndmask_b32_e64 v23, 0, v3, s0
	v_cndmask_b32_e64 v22, 0, v2, s0
	global_store_b128 v[24:25], v[20:23], off
.LBB909_13:
	s_or_b32 exec_lo, exec_lo, s2
	v_add_nc_u32_e32 v2, 16, v0
	s_delay_alu instid0(VALU_DEP_1) | instskip(SKIP_1) | instid1(VALU_DEP_1)
	v_cmp_le_i32_e64 s1, v4, v2
	v_cmp_gt_i32_e64 s0, s10, v2
	s_and_b32 s1, s1, s0
	s_delay_alu instid0(SALU_CYCLE_1)
	s_and_saveexec_b32 s10, s1
	s_cbranch_execz .LBB909_15
; %bb.14:
	v_mul_f64 v[20:21], s[4:5], v[18:19]
	v_mul_f64 v[18:19], s[6:7], v[18:19]
	v_ashrrev_i32_e32 v3, 31, v2
	v_cmp_ne_u32_e64 s1, v4, v2
	s_delay_alu instid0(VALU_DEP_4) | instskip(NEXT) | instid1(VALU_DEP_4)
	v_fma_f64 v[20:21], s[6:7], v[16:17], v[20:21]
	v_fma_f64 v[16:17], s[4:5], v[16:17], -v[18:19]
	s_delay_alu instid0(VALU_DEP_4) | instskip(NEXT) | instid1(VALU_DEP_1)
	v_lshlrev_b64 v[18:19], 4, v[2:3]
	v_add_co_u32 v5, s2, v5, v18
	s_delay_alu instid0(VALU_DEP_1)
	v_add_co_ci_u32_e64 v6, s2, v6, v19, s2
	v_cndmask_b32_e64 v19, 0, v21, s1
	v_cndmask_b32_e64 v18, 0, v20, s1
	global_store_b128 v[5:6], v[16:19], off
.LBB909_15:
	s_or_b32 exec_lo, exec_lo, s10
	v_add_nc_u32_e32 v3, 16, v4
	s_delay_alu instid0(VALU_DEP_1) | instskip(SKIP_1) | instid1(VALU_DEP_1)
	v_mad_i64_i32 v[5:6], null, v3, s3, 0
	v_cmp_le_i32_e64 s1, v3, v0
	s_and_b32 s1, s1, vcc_lo
	s_delay_alu instid0(VALU_DEP_2) | instskip(NEXT) | instid1(VALU_DEP_1)
	v_lshlrev_b64 v[5:6], 4, v[5:6]
	v_add_co_u32 v5, s2, s8, v5
	s_delay_alu instid0(VALU_DEP_1)
	v_add_co_ci_u32_e64 v6, s2, s9, v6, s2
	s_and_saveexec_b32 s2, s1
	s_cbranch_execz .LBB909_17
; %bb.16:
	v_mul_f64 v[16:17], s[4:5], v[14:15]
	v_mul_f64 v[14:15], s[6:7], v[14:15]
	v_ashrrev_i32_e32 v1, 31, v0
	v_cmp_ne_u32_e32 vcc_lo, v3, v0
	s_delay_alu instid0(VALU_DEP_4) | instskip(NEXT) | instid1(VALU_DEP_4)
	v_fma_f64 v[16:17], s[6:7], v[12:13], v[16:17]
	v_fma_f64 v[12:13], s[4:5], v[12:13], -v[14:15]
	s_delay_alu instid0(VALU_DEP_4) | instskip(NEXT) | instid1(VALU_DEP_1)
	v_lshlrev_b64 v[14:15], 4, v[0:1]
	v_add_co_u32 v18, s1, v5, v14
	s_delay_alu instid0(VALU_DEP_1)
	v_add_co_ci_u32_e64 v19, s1, v6, v15, s1
	v_dual_cndmask_b32 v15, 0, v17 :: v_dual_cndmask_b32 v14, 0, v16
	global_store_b128 v[18:19], v[12:15], off
.LBB909_17:
	s_or_b32 exec_lo, exec_lo, s2
	v_cmp_le_i32_e32 vcc_lo, v3, v2
	s_and_b32 s0, vcc_lo, s0
	s_delay_alu instid0(SALU_CYCLE_1)
	s_and_saveexec_b32 s1, s0
	s_cbranch_execz .LBB909_19
; %bb.18:
	v_mul_f64 v[12:13], s[4:5], v[8:9]
	v_mul_f64 v[7:8], s[6:7], v[8:9]
	v_ashrrev_i32_e32 v3, 31, v2
	v_cmp_ne_u32_e32 vcc_lo, v4, v0
	s_delay_alu instid0(VALU_DEP_2) | instskip(NEXT) | instid1(VALU_DEP_1)
	v_lshlrev_b64 v[1:2], 4, v[2:3]
	v_add_co_u32 v0, s0, v5, v1
	s_delay_alu instid0(VALU_DEP_1) | instskip(SKIP_2) | instid1(VALU_DEP_2)
	v_add_co_ci_u32_e64 v1, s0, v6, v2, s0
	v_fma_f64 v[12:13], s[6:7], v[10:11], v[12:13]
	v_fma_f64 v[7:8], s[4:5], v[10:11], -v[7:8]
	v_dual_cndmask_b32 v10, 0, v13 :: v_dual_cndmask_b32 v9, 0, v12
	global_store_b128 v[0:1], v[7:10], off
.LBB909_19:
	s_nop 0
	s_sendmsg sendmsg(MSG_DEALLOC_VGPRS)
	s_endpgm
	.section	.rodata,"a",@progbits
	.p2align	6, 0x0
	.amdhsa_kernel _ZL34rocblas_syrkx_herkx_general_kernelIi19rocblas_complex_numIdELi16ELi32ELi8ELb1ELb1ELc84ELc76EKPKS1_KPS1_EviT_T0_PT8_S7_lSA_S7_lS8_PT9_S7_li
		.amdhsa_group_segment_fixed_size 8192
		.amdhsa_private_segment_fixed_size 0
		.amdhsa_kernarg_size 116
		.amdhsa_user_sgpr_count 13
		.amdhsa_user_sgpr_dispatch_ptr 0
		.amdhsa_user_sgpr_queue_ptr 0
		.amdhsa_user_sgpr_kernarg_segment_ptr 1
		.amdhsa_user_sgpr_dispatch_id 0
		.amdhsa_user_sgpr_private_segment_size 0
		.amdhsa_wavefront_size32 1
		.amdhsa_uses_dynamic_stack 0
		.amdhsa_enable_private_segment 0
		.amdhsa_system_sgpr_workgroup_id_x 1
		.amdhsa_system_sgpr_workgroup_id_y 1
		.amdhsa_system_sgpr_workgroup_id_z 1
		.amdhsa_system_sgpr_workgroup_info 0
		.amdhsa_system_vgpr_workitem_id 1
		.amdhsa_next_free_vgpr 120
		.amdhsa_next_free_sgpr 21
		.amdhsa_reserve_vcc 1
		.amdhsa_float_round_mode_32 0
		.amdhsa_float_round_mode_16_64 0
		.amdhsa_float_denorm_mode_32 3
		.amdhsa_float_denorm_mode_16_64 3
		.amdhsa_dx10_clamp 1
		.amdhsa_ieee_mode 1
		.amdhsa_fp16_overflow 0
		.amdhsa_workgroup_processor_mode 1
		.amdhsa_memory_ordered 1
		.amdhsa_forward_progress 0
		.amdhsa_shared_vgpr_count 0
		.amdhsa_exception_fp_ieee_invalid_op 0
		.amdhsa_exception_fp_denorm_src 0
		.amdhsa_exception_fp_ieee_div_zero 0
		.amdhsa_exception_fp_ieee_overflow 0
		.amdhsa_exception_fp_ieee_underflow 0
		.amdhsa_exception_fp_ieee_inexact 0
		.amdhsa_exception_int_div_zero 0
	.end_amdhsa_kernel
	.section	.text._ZL34rocblas_syrkx_herkx_general_kernelIi19rocblas_complex_numIdELi16ELi32ELi8ELb1ELb1ELc84ELc76EKPKS1_KPS1_EviT_T0_PT8_S7_lSA_S7_lS8_PT9_S7_li,"axG",@progbits,_ZL34rocblas_syrkx_herkx_general_kernelIi19rocblas_complex_numIdELi16ELi32ELi8ELb1ELb1ELc84ELc76EKPKS1_KPS1_EviT_T0_PT8_S7_lSA_S7_lS8_PT9_S7_li,comdat
.Lfunc_end909:
	.size	_ZL34rocblas_syrkx_herkx_general_kernelIi19rocblas_complex_numIdELi16ELi32ELi8ELb1ELb1ELc84ELc76EKPKS1_KPS1_EviT_T0_PT8_S7_lSA_S7_lS8_PT9_S7_li, .Lfunc_end909-_ZL34rocblas_syrkx_herkx_general_kernelIi19rocblas_complex_numIdELi16ELi32ELi8ELb1ELb1ELc84ELc76EKPKS1_KPS1_EviT_T0_PT8_S7_lSA_S7_lS8_PT9_S7_li
                                        ; -- End function
	.section	.AMDGPU.csdata,"",@progbits
; Kernel info:
; codeLenInByte = 3256
; NumSgprs: 23
; NumVgprs: 120
; ScratchSize: 0
; MemoryBound: 0
; FloatMode: 240
; IeeeMode: 1
; LDSByteSize: 8192 bytes/workgroup (compile time only)
; SGPRBlocks: 2
; VGPRBlocks: 14
; NumSGPRsForWavesPerEU: 23
; NumVGPRsForWavesPerEU: 120
; Occupancy: 12
; WaveLimiterHint : 1
; COMPUTE_PGM_RSRC2:SCRATCH_EN: 0
; COMPUTE_PGM_RSRC2:USER_SGPR: 13
; COMPUTE_PGM_RSRC2:TRAP_HANDLER: 0
; COMPUTE_PGM_RSRC2:TGID_X_EN: 1
; COMPUTE_PGM_RSRC2:TGID_Y_EN: 1
; COMPUTE_PGM_RSRC2:TGID_Z_EN: 1
; COMPUTE_PGM_RSRC2:TIDIG_COMP_CNT: 1
	.section	.text._ZL34rocblas_syrkx_herkx_general_kernelIi19rocblas_complex_numIdELi16ELi32ELi8ELb1ELb1ELc67ELc76EKPKS1_KPS1_EviT_T0_PT8_S7_lSA_S7_lS8_PT9_S7_li,"axG",@progbits,_ZL34rocblas_syrkx_herkx_general_kernelIi19rocblas_complex_numIdELi16ELi32ELi8ELb1ELb1ELc67ELc76EKPKS1_KPS1_EviT_T0_PT8_S7_lSA_S7_lS8_PT9_S7_li,comdat
	.globl	_ZL34rocblas_syrkx_herkx_general_kernelIi19rocblas_complex_numIdELi16ELi32ELi8ELb1ELb1ELc67ELc76EKPKS1_KPS1_EviT_T0_PT8_S7_lSA_S7_lS8_PT9_S7_li ; -- Begin function _ZL34rocblas_syrkx_herkx_general_kernelIi19rocblas_complex_numIdELi16ELi32ELi8ELb1ELb1ELc67ELc76EKPKS1_KPS1_EviT_T0_PT8_S7_lSA_S7_lS8_PT9_S7_li
	.p2align	8
	.type	_ZL34rocblas_syrkx_herkx_general_kernelIi19rocblas_complex_numIdELi16ELi32ELi8ELb1ELb1ELc67ELc76EKPKS1_KPS1_EviT_T0_PT8_S7_lSA_S7_lS8_PT9_S7_li,@function
_ZL34rocblas_syrkx_herkx_general_kernelIi19rocblas_complex_numIdELi16ELi32ELi8ELb1ELb1ELc67ELc76EKPKS1_KPS1_EviT_T0_PT8_S7_lSA_S7_lS8_PT9_S7_li: ; @_ZL34rocblas_syrkx_herkx_general_kernelIi19rocblas_complex_numIdELi16ELi32ELi8ELb1ELb1ELc67ELc76EKPKS1_KPS1_EviT_T0_PT8_S7_lSA_S7_lS8_PT9_S7_li
; %bb.0:
	s_clause 0x2
	s_load_b64 s[4:5], s[0:1], 0x58
	s_load_b64 s[18:19], s[0:1], 0x18
	;; [unrolled: 1-line block ×3, first 2 shown]
	s_mov_b32 s16, s15
	s_mov_b32 s17, 0
	v_mov_b32_e32 v23, 0
	s_lshl_b64 s[2:3], s[16:17], 3
	v_dual_mov_b32 v24, 0 :: v_dual_and_b32 v27, 0x3ff, v0
	v_bfe_u32 v28, v0, 10, 10
	s_delay_alu instid0(VALU_DEP_3) | instskip(NEXT) | instid1(VALU_DEP_3)
	v_mov_b32_e32 v19, v23
	v_dual_mov_b32 v21, v23 :: v_dual_mov_b32 v22, v24
	v_dual_mov_b32 v26, v24 :: v_dual_mov_b32 v25, v23
	;; [unrolled: 1-line block ×4, first 2 shown]
	v_mov_b32_e32 v18, v24
	s_waitcnt lgkmcnt(0)
	s_add_u32 s8, s4, s2
	s_addc_u32 s9, s5, s3
	s_load_b128 s[4:7], s[0:1], 0x8
	s_load_b64 s[8:9], s[8:9], 0x0
	v_dual_mov_b32 v11, v23 :: v_dual_mov_b32 v12, v24
	v_dual_mov_b32 v13, v23 :: v_dual_mov_b32 v14, v24
	s_lshl_b32 s12, s13, 5
	s_lshl_b32 s13, s14, 5
	s_cmp_lt_i32 s11, 1
	s_cbranch_scc1 .LBB910_9
; %bb.1:
	s_clause 0x1
	s_load_b64 s[14:15], s[0:1], 0x30
	s_load_b32 s16, s[0:1], 0x20
	v_lshl_add_u32 v0, v28, 4, v27
	s_load_b32 s20, s[0:1], 0x38
	v_dual_mov_b32 v5, 0 :: v_dual_lshlrev_b32 v30, 4, v27
	v_dual_mov_b32 v6, 0 :: v_dual_and_b32 v29, 7, v27
	s_delay_alu instid0(VALU_DEP_3) | instskip(SKIP_2) | instid1(VALU_DEP_4)
	v_and_b32_e32 v2, 31, v0
	v_lshrrev_b32_e32 v3, 3, v0
	v_lshrrev_b32_e32 v32, 5, v0
	v_lshlrev_b32_e32 v4, 4, v29
	v_dual_mov_b32 v14, v6 :: v_dual_mov_b32 v13, v5
	v_add_nc_u32_e32 v7, s12, v2
	v_add_nc_u32_e32 v8, s13, v3
	v_mov_b32_e32 v12, v6
	v_mov_b32_e32 v18, v6
	v_dual_mov_b32 v16, v6 :: v_dual_mov_b32 v11, v5
	s_waitcnt lgkmcnt(0)
	s_add_u32 s14, s14, s2
	s_addc_u32 s15, s15, s3
	s_add_u32 s2, s18, s2
	s_addc_u32 s3, s19, s3
	v_mad_i64_i32 v[0:1], null, s16, v7, 0
	s_load_b64 s[18:19], s[2:3], 0x0
	v_or_b32_e32 v7, s12, v2
	v_dual_mov_b32 v17, v5 :: v_dual_lshlrev_b32 v2, 4, v2
	v_lshl_or_b32 v9, v3, 7, v4
	s_load_b64 s[14:15], s[14:15], 0x0
	s_delay_alu instid0(VALU_DEP_4) | instskip(NEXT) | instid1(VALU_DEP_3)
	v_lshlrev_b64 v[0:1], 4, v[0:1]
	v_lshl_or_b32 v33, v32, 9, v2
	v_mov_b32_e32 v15, v5
	v_mad_i64_i32 v[2:3], null, s20, v8, 0
	v_lshlrev_b32_e32 v10, 4, v32
	v_dual_mov_b32 v22, v6 :: v_dual_mov_b32 v21, v5
	v_cmp_gt_i32_e32 vcc_lo, s10, v7
	v_cmp_gt_i32_e64 s2, s10, v8
	s_delay_alu instid0(VALU_DEP_4) | instskip(NEXT) | instid1(VALU_DEP_1)
	v_add_co_u32 v7, s3, v0, v10
	v_add_co_ci_u32_e64 v8, s3, 0, v1, s3
	v_lshlrev_b64 v[0:1], 4, v[2:3]
	s_waitcnt lgkmcnt(0)
	s_delay_alu instid0(VALU_DEP_3) | instskip(NEXT) | instid1(VALU_DEP_1)
	v_add_co_u32 v2, s3, v7, s18
	v_add_co_ci_u32_e64 v3, s3, s19, v8, s3
	v_add_nc_u32_e32 v34, 0x1000, v9
	s_delay_alu instid0(VALU_DEP_4) | instskip(NEXT) | instid1(VALU_DEP_1)
	v_add_co_u32 v0, s3, v0, v4
	v_add_co_ci_u32_e64 v1, s3, 0, v1, s3
	v_add_co_u32 v7, s3, v2, 8
	s_delay_alu instid0(VALU_DEP_1) | instskip(NEXT) | instid1(VALU_DEP_4)
	v_add_co_ci_u32_e64 v8, s3, 0, v3, s3
	v_add_co_u32 v9, s3, s14, v0
	v_dual_mov_b32 v20, v6 :: v_dual_mov_b32 v19, v5
	v_mov_b32_e32 v26, v6
	v_mov_b32_e32 v24, v6
	v_lshl_add_u32 v31, v28, 7, 0x1000
	v_add_co_ci_u32_e64 v10, s3, s15, v1, s3
	v_dual_mov_b32 v0, 0 :: v_dual_mov_b32 v25, v5
	v_mov_b32_e32 v23, v5
	s_xor_b32 s3, s2, -1
	s_branch .LBB910_3
.LBB910_2:                              ;   in Loop: Header=BB910_3 Depth=1
	s_or_b32 exec_lo, exec_lo, s2
	s_waitcnt lgkmcnt(0)
	s_barrier
	buffer_gl0_inv
	ds_load_b128 v[1:4], v31
	ds_load_b128 v[35:38], v30
	ds_load_b128 v[39:42], v30 offset:256
	ds_load_b128 v[43:46], v31 offset:2048
	;; [unrolled: 1-line block ×9, first 2 shown]
	v_add_co_u32 v7, s2, 0x80, v7
	s_delay_alu instid0(VALU_DEP_1) | instskip(SKIP_1) | instid1(VALU_DEP_1)
	v_add_co_ci_u32_e64 v8, s2, 0, v8, s2
	v_add_co_u32 v9, s2, 0x80, v9
	v_add_co_ci_u32_e64 v10, s2, 0, v10, s2
	s_add_i32 s17, s17, 8
	s_delay_alu instid0(SALU_CYCLE_1)
	s_cmp_ge_i32 s17, s11
	s_waitcnt lgkmcnt(9)
	v_mul_f64 v[75:76], v[3:4], v[37:38]
	v_mul_f64 v[77:78], v[1:2], v[37:38]
	s_waitcnt lgkmcnt(8)
	v_mul_f64 v[79:80], v[3:4], v[41:42]
	v_mul_f64 v[81:82], v[1:2], v[41:42]
	;; [unrolled: 3-line block ×3, first 2 shown]
	v_mul_f64 v[85:86], v[45:46], v[41:42]
	v_mul_f64 v[41:42], v[43:44], v[41:42]
	s_waitcnt lgkmcnt(4)
	v_mul_f64 v[87:88], v[49:50], v[57:58]
	v_mul_f64 v[89:90], v[47:48], v[57:58]
	s_waitcnt lgkmcnt(3)
	v_mul_f64 v[91:92], v[49:50], v[61:62]
	v_mul_f64 v[93:94], v[47:48], v[61:62]
	;; [unrolled: 1-line block ×6, first 2 shown]
	s_waitcnt lgkmcnt(0)
	v_mul_f64 v[115:116], v[73:74], v[65:66]
	v_mul_f64 v[117:118], v[73:74], v[69:70]
	v_fma_f64 v[99:100], v[1:2], v[35:36], -v[75:76]
	v_fma_f64 v[101:102], v[3:4], v[35:36], v[77:78]
	v_fma_f64 v[79:80], v[1:2], v[39:40], -v[79:80]
	v_fma_f64 v[81:82], v[3:4], v[39:40], v[81:82]
	v_fma_f64 v[83:84], v[43:44], v[35:36], -v[83:84]
	v_fma_f64 v[103:104], v[45:46], v[35:36], v[37:38]
	v_fma_f64 v[85:86], v[43:44], v[39:40], -v[85:86]
	v_fma_f64 v[105:106], v[45:46], v[39:40], v[41:42]
	ds_load_b128 v[75:78], v31 offset:32
	v_fma_f64 v[87:88], v[47:48], v[55:56], -v[87:88]
	v_fma_f64 v[89:90], v[49:50], v[55:56], v[89:90]
	v_fma_f64 v[47:48], v[47:48], v[59:60], -v[91:92]
	v_fma_f64 v[49:50], v[49:50], v[59:60], v[93:94]
	;; [unrolled: 2-line block ×4, first 2 shown]
	ds_load_b128 v[1:4], v31 offset:48
	ds_load_b128 v[35:38], v31 offset:2096
	;; [unrolled: 1-line block ×4, first 2 shown]
	s_waitcnt lgkmcnt(4)
	v_mul_f64 v[107:108], v[77:78], v[65:66]
	v_mul_f64 v[109:110], v[75:76], v[65:66]
	;; [unrolled: 1-line block ×6, first 2 shown]
	s_waitcnt lgkmcnt(1)
	v_mul_f64 v[93:94], v[1:2], v[41:42]
	s_waitcnt lgkmcnt(0)
	v_mul_f64 v[95:96], v[3:4], v[45:46]
	v_add_f64 v[23:24], v[23:24], v[99:100]
	v_add_f64 v[25:26], v[25:26], v[101:102]
	;; [unrolled: 1-line block ×8, first 2 shown]
	v_mul_f64 v[85:86], v[3:4], v[41:42]
	v_mul_f64 v[97:98], v[1:2], v[45:46]
	;; [unrolled: 1-line block ×6, first 2 shown]
	ds_load_b128 v[11:14], v30 offset:2048
	ds_load_b128 v[15:18], v30 offset:2304
	;; [unrolled: 1-line block ×3, first 2 shown]
	v_fma_f64 v[105:106], v[75:76], v[63:64], -v[107:108]
	v_fma_f64 v[107:108], v[77:78], v[63:64], v[109:110]
	v_fma_f64 v[75:76], v[75:76], v[67:68], -v[111:112]
	v_fma_f64 v[77:78], v[77:78], v[67:68], v[113:114]
	;; [unrolled: 2-line block ×4, first 2 shown]
	s_waitcnt lgkmcnt(0)
	v_mul_f64 v[115:116], v[21:22], v[13:14]
	v_mul_f64 v[117:118], v[21:22], v[17:18]
	v_add_f64 v[69:70], v[23:24], v[87:88]
	v_add_f64 v[71:72], v[25:26], v[89:90]
	;; [unrolled: 1-line block ×8, first 2 shown]
	ds_load_b128 v[23:26], v31 offset:64
	v_fma_f64 v[85:86], v[1:2], v[39:40], -v[85:86]
	v_fma_f64 v[93:94], v[3:4], v[39:40], v[93:94]
	v_fma_f64 v[95:96], v[1:2], v[43:44], -v[95:96]
	v_fma_f64 v[97:98], v[3:4], v[43:44], v[97:98]
	;; [unrolled: 2-line block ×4, first 2 shown]
	ds_load_b128 v[45:48], v31 offset:80
	ds_load_b128 v[49:52], v31 offset:2128
	;; [unrolled: 1-line block ×7, first 2 shown]
	s_waitcnt lgkmcnt(7)
	v_mul_f64 v[89:90], v[25:26], v[13:14]
	v_mul_f64 v[91:92], v[23:24], v[13:14]
	;; [unrolled: 1-line block ×6, first 2 shown]
	s_waitcnt lgkmcnt(3)
	v_mul_f64 v[103:104], v[51:52], v[59:60]
	v_add_f64 v[69:70], v[69:70], v[105:106]
	v_add_f64 v[71:72], v[71:72], v[107:108]
	;; [unrolled: 1-line block ×8, first 2 shown]
	v_mul_f64 v[77:78], v[47:48], v[55:56]
	v_mul_f64 v[79:80], v[45:46], v[55:56]
	;; [unrolled: 1-line block ×7, first 2 shown]
	v_fma_f64 v[89:90], v[23:24], v[11:12], -v[89:90]
	v_fma_f64 v[91:92], v[25:26], v[11:12], v[91:92]
	v_fma_f64 v[107:108], v[23:24], v[15:16], -v[111:112]
	v_fma_f64 v[109:110], v[25:26], v[15:16], v[113:114]
	;; [unrolled: 2-line block ×4, first 2 shown]
	ds_load_b128 v[11:14], v31 offset:96
	v_add_f64 v[69:70], v[69:70], v[85:86]
	v_add_f64 v[71:72], v[71:72], v[93:94]
	;; [unrolled: 1-line block ×8, first 2 shown]
	s_waitcnt lgkmcnt(1)
	v_mul_f64 v[99:100], v[41:42], v[3:4]
	v_mul_f64 v[101:102], v[41:42], v[37:38]
	v_fma_f64 v[77:78], v[45:46], v[53:54], -v[77:78]
	v_fma_f64 v[79:80], v[47:48], v[53:54], v[79:80]
	v_fma_f64 v[45:46], v[45:46], v[57:58], -v[81:82]
	v_fma_f64 v[47:48], v[47:48], v[57:58], v[83:84]
	;; [unrolled: 2-line block ×4, first 2 shown]
	s_waitcnt lgkmcnt(0)
	v_mul_f64 v[67:68], v[13:14], v[3:4]
	v_mul_f64 v[93:94], v[11:12], v[3:4]
	;; [unrolled: 1-line block ×6, first 2 shown]
	ds_load_b128 v[15:18], v31 offset:112
	ds_load_b128 v[19:22], v31 offset:2160
	;; [unrolled: 1-line block ×4, first 2 shown]
	s_waitcnt lgkmcnt(0)
	s_barrier
	buffer_gl0_inv
	v_add_f64 v[55:56], v[69:70], v[89:90]
	v_add_f64 v[57:58], v[71:72], v[91:92]
	;; [unrolled: 1-line block ×8, first 2 shown]
	v_mul_f64 v[75:76], v[17:18], v[25:26]
	v_mul_f64 v[83:84], v[15:16], v[25:26]
	;; [unrolled: 1-line block ×8, first 2 shown]
	v_fma_f64 v[67:68], v[11:12], v[1:2], -v[67:68]
	v_fma_f64 v[93:94], v[13:14], v[1:2], v[93:94]
	v_fma_f64 v[11:12], v[11:12], v[35:36], -v[95:96]
	v_fma_f64 v[13:14], v[13:14], v[35:36], v[97:98]
	;; [unrolled: 2-line block ×4, first 2 shown]
	v_add_f64 v[37:38], v[55:56], v[77:78]
	v_add_f64 v[39:40], v[57:58], v[79:80]
	;; [unrolled: 1-line block ×8, first 2 shown]
	v_fma_f64 v[51:52], v[15:16], v[23:24], -v[75:76]
	v_fma_f64 v[55:56], v[17:18], v[23:24], v[83:84]
	v_fma_f64 v[15:16], v[15:16], v[59:60], -v[85:86]
	v_fma_f64 v[17:18], v[17:18], v[59:60], v[87:88]
	v_fma_f64 v[57:58], v[19:20], v[23:24], -v[89:90]
	v_fma_f64 v[63:64], v[21:22], v[23:24], v[25:26]
	v_fma_f64 v[65:66], v[19:20], v[59:60], -v[91:92]
	v_fma_f64 v[59:60], v[21:22], v[59:60], v[61:62]
	v_add_f64 v[19:20], v[37:38], v[67:68]
	v_add_f64 v[21:22], v[39:40], v[93:94]
	v_add_f64 v[11:12], v[41:42], v[11:12]
	v_add_f64 v[13:14], v[45:46], v[13:14]
	v_add_f64 v[37:38], v[47:48], v[95:96]
	v_add_f64 v[1:2], v[53:54], v[1:2]
	v_add_f64 v[3:4], v[49:50], v[3:4]
	v_add_f64 v[35:36], v[43:44], v[35:36]
	v_add_f64 v[23:24], v[19:20], v[51:52]
	v_add_f64 v[25:26], v[21:22], v[55:56]
	v_add_f64 v[19:20], v[11:12], v[15:16]
	v_add_f64 v[21:22], v[13:14], v[17:18]
	v_add_f64 v[15:16], v[37:38], v[57:58]
	v_add_f64 v[17:18], v[1:2], v[63:64]
	v_add_f64 v[11:12], v[3:4], v[65:66]
	v_add_f64 v[13:14], v[35:36], v[59:60]
	s_cbranch_scc1 .LBB910_9
.LBB910_3:                              ; =>This Inner Loop Header: Depth=1
	v_add_nc_u32_e32 v1, s17, v32
	v_dual_mov_b32 v3, v5 :: v_dual_mov_b32 v4, v6
	s_delay_alu instid0(VALU_DEP_2) | instskip(SKIP_1) | instid1(VALU_DEP_2)
	v_cmp_gt_i32_e64 s2, s11, v1
	v_dual_mov_b32 v1, v5 :: v_dual_mov_b32 v2, v6
	s_and_b32 s14, vcc_lo, s2
	s_delay_alu instid0(SALU_CYCLE_1)
	s_and_saveexec_b32 s2, s14
	s_cbranch_execz .LBB910_5
; %bb.4:                                ;   in Loop: Header=BB910_3 Depth=1
	global_load_b128 v[1:4], v[7:8], off offset:-8
	s_waitcnt vmcnt(0)
	v_xor_b32_e32 v4, 0x80000000, v4
.LBB910_5:                              ;   in Loop: Header=BB910_3 Depth=1
	s_or_b32 exec_lo, exec_lo, s2
	v_add_nc_u32_e32 v35, s17, v29
	ds_store_b128 v33, v[1:4]
	v_cmp_le_i32_e64 s2, s11, v35
	s_delay_alu instid0(VALU_DEP_1) | instskip(NEXT) | instid1(SALU_CYCLE_1)
	s_or_b32 s2, s2, s3
	s_and_saveexec_b32 s14, s2
	s_delay_alu instid0(SALU_CYCLE_1)
	s_xor_b32 s2, exec_lo, s14
	s_cbranch_execz .LBB910_7
; %bb.6:                                ;   in Loop: Header=BB910_3 Depth=1
	v_mov_b32_e32 v1, v0
	v_mov_b32_e32 v2, v0
	v_mov_b32_e32 v3, v0
	ds_store_b128 v34, v[0:3]
.LBB910_7:                              ;   in Loop: Header=BB910_3 Depth=1
	s_and_not1_saveexec_b32 s2, s2
	s_cbranch_execz .LBB910_2
; %bb.8:                                ;   in Loop: Header=BB910_3 Depth=1
	global_load_b128 v[1:4], v[9:10], off
	s_waitcnt vmcnt(0)
	ds_store_2addr_b64 v34, v[1:2], v[3:4] offset1:1
	s_branch .LBB910_2
.LBB910_9:
	s_load_b32 s3, s[0:1], 0x60
	v_add_nc_u32_e32 v4, s13, v28
	v_add_nc_u32_e32 v0, s12, v27
	s_delay_alu instid0(VALU_DEP_1) | instskip(SKIP_1) | instid1(VALU_DEP_2)
	v_cmp_le_i32_e64 s0, v4, v0
	v_cmp_gt_i32_e32 vcc_lo, s10, v0
	s_and_b32 s0, s0, vcc_lo
	s_waitcnt lgkmcnt(0)
	v_mad_i64_i32 v[1:2], null, v4, s3, 0
	s_delay_alu instid0(VALU_DEP_1) | instskip(NEXT) | instid1(VALU_DEP_1)
	v_lshlrev_b64 v[1:2], 4, v[1:2]
	v_add_co_u32 v5, s1, s8, v1
	s_delay_alu instid0(VALU_DEP_1)
	v_add_co_ci_u32_e64 v6, s1, s9, v2, s1
	s_and_saveexec_b32 s2, s0
	s_cbranch_execz .LBB910_11
; %bb.10:
	v_mul_f64 v[1:2], s[4:5], v[25:26]
	v_mul_f64 v[7:8], s[6:7], v[25:26]
	v_cmp_ne_u32_e64 s0, v4, v0
	s_delay_alu instid0(VALU_DEP_3) | instskip(NEXT) | instid1(VALU_DEP_3)
	v_fma_f64 v[2:3], s[6:7], v[23:24], v[1:2]
	v_fma_f64 v[7:8], s[4:5], v[23:24], -v[7:8]
	v_ashrrev_i32_e32 v1, 31, v0
	s_delay_alu instid0(VALU_DEP_1) | instskip(NEXT) | instid1(VALU_DEP_1)
	v_lshlrev_b64 v[9:10], 4, v[0:1]
	v_add_co_u32 v23, s1, v5, v9
	s_delay_alu instid0(VALU_DEP_1)
	v_add_co_ci_u32_e64 v24, s1, v6, v10, s1
	v_cndmask_b32_e64 v10, 0, v3, s0
	v_cndmask_b32_e64 v9, 0, v2, s0
	global_store_b128 v[23:24], v[7:10], off
.LBB910_11:
	s_or_b32 exec_lo, exec_lo, s2
	v_add_nc_u32_e32 v2, 16, v0
	s_delay_alu instid0(VALU_DEP_1) | instskip(SKIP_1) | instid1(VALU_DEP_1)
	v_cmp_le_i32_e64 s1, v4, v2
	v_cmp_gt_i32_e64 s0, s10, v2
	s_and_b32 s1, s1, s0
	s_delay_alu instid0(SALU_CYCLE_1)
	s_and_saveexec_b32 s10, s1
	s_cbranch_execz .LBB910_13
; %bb.12:
	v_mul_f64 v[7:8], s[4:5], v[21:22]
	v_mul_f64 v[9:10], s[6:7], v[21:22]
	v_ashrrev_i32_e32 v3, 31, v2
	v_cmp_ne_u32_e64 s1, v4, v2
	s_delay_alu instid0(VALU_DEP_4) | instskip(NEXT) | instid1(VALU_DEP_4)
	v_fma_f64 v[21:22], s[6:7], v[19:20], v[7:8]
	v_fma_f64 v[7:8], s[4:5], v[19:20], -v[9:10]
	s_delay_alu instid0(VALU_DEP_4) | instskip(NEXT) | instid1(VALU_DEP_1)
	v_lshlrev_b64 v[9:10], 4, v[2:3]
	v_add_co_u32 v5, s2, v5, v9
	s_delay_alu instid0(VALU_DEP_1)
	v_add_co_ci_u32_e64 v6, s2, v6, v10, s2
	v_cndmask_b32_e64 v10, 0, v22, s1
	v_cndmask_b32_e64 v9, 0, v21, s1
	global_store_b128 v[5:6], v[7:10], off
.LBB910_13:
	s_or_b32 exec_lo, exec_lo, s10
	v_add_nc_u32_e32 v3, 16, v4
	s_delay_alu instid0(VALU_DEP_1) | instskip(SKIP_1) | instid1(VALU_DEP_1)
	v_mad_i64_i32 v[5:6], null, v3, s3, 0
	v_cmp_le_i32_e64 s1, v3, v0
	s_and_b32 s1, s1, vcc_lo
	s_delay_alu instid0(VALU_DEP_2) | instskip(NEXT) | instid1(VALU_DEP_1)
	v_lshlrev_b64 v[5:6], 4, v[5:6]
	v_add_co_u32 v5, s2, s8, v5
	s_delay_alu instid0(VALU_DEP_1)
	v_add_co_ci_u32_e64 v6, s2, s9, v6, s2
	s_and_saveexec_b32 s2, s1
	s_cbranch_execz .LBB910_15
; %bb.14:
	v_mul_f64 v[7:8], s[4:5], v[17:18]
	v_mul_f64 v[9:10], s[6:7], v[17:18]
	v_ashrrev_i32_e32 v1, 31, v0
	v_cmp_ne_u32_e32 vcc_lo, v3, v0
	s_delay_alu instid0(VALU_DEP_4) | instskip(NEXT) | instid1(VALU_DEP_4)
	v_fma_f64 v[17:18], s[6:7], v[15:16], v[7:8]
	v_fma_f64 v[7:8], s[4:5], v[15:16], -v[9:10]
	s_delay_alu instid0(VALU_DEP_4) | instskip(NEXT) | instid1(VALU_DEP_1)
	v_lshlrev_b64 v[9:10], 4, v[0:1]
	v_add_co_u32 v15, s1, v5, v9
	s_delay_alu instid0(VALU_DEP_1)
	v_add_co_ci_u32_e64 v16, s1, v6, v10, s1
	v_dual_cndmask_b32 v10, 0, v18 :: v_dual_cndmask_b32 v9, 0, v17
	global_store_b128 v[15:16], v[7:10], off
.LBB910_15:
	s_or_b32 exec_lo, exec_lo, s2
	v_cmp_le_i32_e32 vcc_lo, v3, v2
	s_and_b32 s0, vcc_lo, s0
	s_delay_alu instid0(SALU_CYCLE_1)
	s_and_saveexec_b32 s1, s0
	s_cbranch_execz .LBB910_17
; %bb.16:
	v_mul_f64 v[7:8], s[4:5], v[13:14]
	v_mul_f64 v[9:10], s[6:7], v[13:14]
	v_ashrrev_i32_e32 v3, 31, v2
	v_cmp_ne_u32_e32 vcc_lo, v4, v0
	s_delay_alu instid0(VALU_DEP_2) | instskip(NEXT) | instid1(VALU_DEP_1)
	v_lshlrev_b64 v[1:2], 4, v[2:3]
	v_add_co_u32 v0, s0, v5, v1
	s_delay_alu instid0(VALU_DEP_1) | instskip(SKIP_2) | instid1(VALU_DEP_2)
	v_add_co_ci_u32_e64 v1, s0, v6, v2, s0
	v_fma_f64 v[13:14], s[6:7], v[11:12], v[7:8]
	v_fma_f64 v[7:8], s[4:5], v[11:12], -v[9:10]
	v_dual_cndmask_b32 v10, 0, v14 :: v_dual_cndmask_b32 v9, 0, v13
	global_store_b128 v[0:1], v[7:10], off
.LBB910_17:
	s_nop 0
	s_sendmsg sendmsg(MSG_DEALLOC_VGPRS)
	s_endpgm
	.section	.rodata,"a",@progbits
	.p2align	6, 0x0
	.amdhsa_kernel _ZL34rocblas_syrkx_herkx_general_kernelIi19rocblas_complex_numIdELi16ELi32ELi8ELb1ELb1ELc67ELc76EKPKS1_KPS1_EviT_T0_PT8_S7_lSA_S7_lS8_PT9_S7_li
		.amdhsa_group_segment_fixed_size 8192
		.amdhsa_private_segment_fixed_size 0
		.amdhsa_kernarg_size 116
		.amdhsa_user_sgpr_count 13
		.amdhsa_user_sgpr_dispatch_ptr 0
		.amdhsa_user_sgpr_queue_ptr 0
		.amdhsa_user_sgpr_kernarg_segment_ptr 1
		.amdhsa_user_sgpr_dispatch_id 0
		.amdhsa_user_sgpr_private_segment_size 0
		.amdhsa_wavefront_size32 1
		.amdhsa_uses_dynamic_stack 0
		.amdhsa_enable_private_segment 0
		.amdhsa_system_sgpr_workgroup_id_x 1
		.amdhsa_system_sgpr_workgroup_id_y 1
		.amdhsa_system_sgpr_workgroup_id_z 1
		.amdhsa_system_sgpr_workgroup_info 0
		.amdhsa_system_vgpr_workitem_id 1
		.amdhsa_next_free_vgpr 121
		.amdhsa_next_free_sgpr 21
		.amdhsa_reserve_vcc 1
		.amdhsa_float_round_mode_32 0
		.amdhsa_float_round_mode_16_64 0
		.amdhsa_float_denorm_mode_32 3
		.amdhsa_float_denorm_mode_16_64 3
		.amdhsa_dx10_clamp 1
		.amdhsa_ieee_mode 1
		.amdhsa_fp16_overflow 0
		.amdhsa_workgroup_processor_mode 1
		.amdhsa_memory_ordered 1
		.amdhsa_forward_progress 0
		.amdhsa_shared_vgpr_count 0
		.amdhsa_exception_fp_ieee_invalid_op 0
		.amdhsa_exception_fp_denorm_src 0
		.amdhsa_exception_fp_ieee_div_zero 0
		.amdhsa_exception_fp_ieee_overflow 0
		.amdhsa_exception_fp_ieee_underflow 0
		.amdhsa_exception_fp_ieee_inexact 0
		.amdhsa_exception_int_div_zero 0
	.end_amdhsa_kernel
	.section	.text._ZL34rocblas_syrkx_herkx_general_kernelIi19rocblas_complex_numIdELi16ELi32ELi8ELb1ELb1ELc67ELc76EKPKS1_KPS1_EviT_T0_PT8_S7_lSA_S7_lS8_PT9_S7_li,"axG",@progbits,_ZL34rocblas_syrkx_herkx_general_kernelIi19rocblas_complex_numIdELi16ELi32ELi8ELb1ELb1ELc67ELc76EKPKS1_KPS1_EviT_T0_PT8_S7_lSA_S7_lS8_PT9_S7_li,comdat
.Lfunc_end910:
	.size	_ZL34rocblas_syrkx_herkx_general_kernelIi19rocblas_complex_numIdELi16ELi32ELi8ELb1ELb1ELc67ELc76EKPKS1_KPS1_EviT_T0_PT8_S7_lSA_S7_lS8_PT9_S7_li, .Lfunc_end910-_ZL34rocblas_syrkx_herkx_general_kernelIi19rocblas_complex_numIdELi16ELi32ELi8ELb1ELb1ELc67ELc76EKPKS1_KPS1_EviT_T0_PT8_S7_lSA_S7_lS8_PT9_S7_li
                                        ; -- End function
	.section	.AMDGPU.csdata,"",@progbits
; Kernel info:
; codeLenInByte = 3296
; NumSgprs: 23
; NumVgprs: 121
; ScratchSize: 0
; MemoryBound: 1
; FloatMode: 240
; IeeeMode: 1
; LDSByteSize: 8192 bytes/workgroup (compile time only)
; SGPRBlocks: 2
; VGPRBlocks: 15
; NumSGPRsForWavesPerEU: 23
; NumVGPRsForWavesPerEU: 121
; Occupancy: 10
; WaveLimiterHint : 1
; COMPUTE_PGM_RSRC2:SCRATCH_EN: 0
; COMPUTE_PGM_RSRC2:USER_SGPR: 13
; COMPUTE_PGM_RSRC2:TRAP_HANDLER: 0
; COMPUTE_PGM_RSRC2:TGID_X_EN: 1
; COMPUTE_PGM_RSRC2:TGID_Y_EN: 1
; COMPUTE_PGM_RSRC2:TGID_Z_EN: 1
; COMPUTE_PGM_RSRC2:TIDIG_COMP_CNT: 1
	.section	.text._ZL34rocblas_syrkx_herkx_general_kernelIi19rocblas_complex_numIdELi16ELi32ELi8ELb1ELb1ELc78ELc76EKPKS1_KPS1_EviT_T0_PT8_S7_lSA_S7_lS8_PT9_S7_li,"axG",@progbits,_ZL34rocblas_syrkx_herkx_general_kernelIi19rocblas_complex_numIdELi16ELi32ELi8ELb1ELb1ELc78ELc76EKPKS1_KPS1_EviT_T0_PT8_S7_lSA_S7_lS8_PT9_S7_li,comdat
	.globl	_ZL34rocblas_syrkx_herkx_general_kernelIi19rocblas_complex_numIdELi16ELi32ELi8ELb1ELb1ELc78ELc76EKPKS1_KPS1_EviT_T0_PT8_S7_lSA_S7_lS8_PT9_S7_li ; -- Begin function _ZL34rocblas_syrkx_herkx_general_kernelIi19rocblas_complex_numIdELi16ELi32ELi8ELb1ELb1ELc78ELc76EKPKS1_KPS1_EviT_T0_PT8_S7_lSA_S7_lS8_PT9_S7_li
	.p2align	8
	.type	_ZL34rocblas_syrkx_herkx_general_kernelIi19rocblas_complex_numIdELi16ELi32ELi8ELb1ELb1ELc78ELc76EKPKS1_KPS1_EviT_T0_PT8_S7_lSA_S7_lS8_PT9_S7_li,@function
_ZL34rocblas_syrkx_herkx_general_kernelIi19rocblas_complex_numIdELi16ELi32ELi8ELb1ELb1ELc78ELc76EKPKS1_KPS1_EviT_T0_PT8_S7_lSA_S7_lS8_PT9_S7_li: ; @_ZL34rocblas_syrkx_herkx_general_kernelIi19rocblas_complex_numIdELi16ELi32ELi8ELb1ELb1ELc78ELc76EKPKS1_KPS1_EviT_T0_PT8_S7_lSA_S7_lS8_PT9_S7_li
; %bb.0:
	s_clause 0x2
	s_load_b64 s[2:3], s[0:1], 0x58
	s_load_b64 s[20:21], s[0:1], 0x18
	;; [unrolled: 1-line block ×3, first 2 shown]
	s_mov_b32 s16, s15
	s_mov_b32 s17, 0
	v_mov_b32_e32 v21, 0
	s_lshl_b64 s[18:19], s[16:17], 3
	v_dual_mov_b32 v22, 0 :: v_dual_and_b32 v25, 0x3ff, v0
	v_bfe_u32 v26, v0, 10, 10
	s_delay_alu instid0(VALU_DEP_3) | instskip(NEXT) | instid1(VALU_DEP_3)
	v_mov_b32_e32 v17, v21
	v_dual_mov_b32 v19, v21 :: v_dual_mov_b32 v20, v22
	v_dual_mov_b32 v24, v22 :: v_dual_mov_b32 v23, v21
	;; [unrolled: 1-line block ×4, first 2 shown]
	v_mov_b32_e32 v16, v22
	s_waitcnt lgkmcnt(0)
	s_add_u32 s2, s2, s18
	s_addc_u32 s3, s3, s19
	s_load_b128 s[4:7], s[0:1], 0x8
	s_load_b64 s[8:9], s[2:3], 0x0
	v_dual_mov_b32 v11, v21 :: v_dual_mov_b32 v12, v22
	v_dual_mov_b32 v9, v21 :: v_dual_mov_b32 v10, v22
	s_lshl_b32 s16, s13, 5
	s_lshl_b32 s22, s14, 5
	s_cmp_lt_i32 s11, 1
	s_cbranch_scc1 .LBB911_9
; %bb.1:
	s_clause 0x2
	s_load_b32 s12, s[0:1], 0x20
	s_load_b32 s14, s[0:1], 0x38
	s_load_b64 s[24:25], s[0:1], 0x30
	v_lshl_add_u32 v0, v26, 4, v25
	v_and_b32_e32 v27, 7, v25
	v_lshl_add_u32 v32, v26, 7, 0x1000
	v_mov_b32_e32 v9, 0
	s_delay_alu instid0(VALU_DEP_4) | instskip(SKIP_3) | instid1(VALU_DEP_4)
	v_dual_mov_b32 v10, 0 :: v_dual_and_b32 v1, 31, v0
	v_lshrrev_b32_e32 v28, 5, v0
	v_lshrrev_b32_e32 v3, 3, v0
	v_lshlrev_b32_e32 v4, 4, v27
	v_dual_mov_b32 v12, v10 :: v_dual_lshlrev_b32 v31, 4, v25
	v_lshlrev_b32_e32 v6, 4, v1
	v_or_b32_e32 v5, s16, v1
	v_add_nc_u32_e32 v0, s16, v1
	v_dual_mov_b32 v11, v9 :: v_dual_add_nc_u32 v2, s22, v3
	v_lshl_or_b32 v3, v3, 7, v4
	s_waitcnt lgkmcnt(0)
	s_ashr_i32 s13, s12, 31
	s_ashr_i32 s15, s14, 31
	s_add_u32 s24, s24, s18
	s_addc_u32 s25, s25, s19
	s_add_u32 s18, s20, s18
	s_addc_u32 s19, s21, s19
	v_cmp_gt_i32_e64 s2, s10, v5
	v_mad_i64_i32 v[4:5], null, v28, s12, 0
	s_load_b64 s[20:21], s[24:25], 0x0
	s_load_b64 s[18:19], s[18:19], 0x0
	v_mov_b32_e32 v16, v10
	v_lshl_or_b32 v29, v28, 9, v6
	v_mad_i64_i32 v[6:7], null, s14, v27, 0
	v_mov_b32_e32 v15, v9
	v_ashrrev_i32_e32 v1, 31, v0
	v_mov_b32_e32 v14, v10
	v_dual_mov_b32 v13, v9 :: v_dual_add_nc_u32 v30, 0x1000, v3
	v_ashrrev_i32_e32 v3, 31, v2
	v_lshlrev_b64 v[4:5], 4, v[4:5]
	v_lshlrev_b64 v[0:1], 4, v[0:1]
	v_cmp_gt_i32_e32 vcc_lo, s10, v2
	v_lshlrev_b64 v[6:7], 4, v[6:7]
	v_lshlrev_b64 v[2:3], 4, v[2:3]
	v_mov_b32_e32 v20, v10
	v_mov_b32_e32 v18, v10
	v_add_co_u32 v0, s3, v4, v0
	s_delay_alu instid0(VALU_DEP_1) | instskip(SKIP_1) | instid1(VALU_DEP_1)
	v_add_co_ci_u32_e64 v1, s3, v5, v1, s3
	v_add_co_u32 v2, s3, v6, v2
	v_add_co_ci_u32_e64 v3, s3, v7, v3, s3
	s_waitcnt lgkmcnt(0)
	v_add_co_u32 v5, s3, s18, v0
	s_delay_alu instid0(VALU_DEP_1) | instskip(SKIP_1) | instid1(VALU_DEP_1)
	v_add_co_ci_u32_e64 v6, s3, s19, v1, s3
	v_add_co_u32 v0, s3, v2, s20
	v_add_co_ci_u32_e64 v1, s3, s21, v3, s3
	v_mov_b32_e32 v24, v10
	s_delay_alu instid0(VALU_DEP_3) | instskip(SKIP_1) | instid1(VALU_DEP_4)
	v_add_co_u32 v7, s3, v0, 8
	v_dual_mov_b32 v22, v10 :: v_dual_mov_b32 v21, v9
	v_add_co_ci_u32_e64 v8, s3, 0, v1, s3
	v_dual_mov_b32 v0, 0 :: v_dual_mov_b32 v19, v9
	v_mov_b32_e32 v17, v9
	v_mov_b32_e32 v23, v9
	s_lshl_b64 s[12:13], s[12:13], 7
	s_lshl_b64 s[14:15], s[14:15], 7
	s_xor_b32 s3, s2, -1
	s_branch .LBB911_3
.LBB911_2:                              ;   in Loop: Header=BB911_3 Depth=1
	s_or_b32 exec_lo, exec_lo, s2
	ds_store_b128 v30, v[1:4]
	s_waitcnt lgkmcnt(0)
	s_barrier
	buffer_gl0_inv
	ds_load_b128 v[1:4], v32
	ds_load_b128 v[33:36], v31
	ds_load_b128 v[37:40], v31 offset:256
	ds_load_b128 v[41:44], v32 offset:2048
	;; [unrolled: 1-line block ×9, first 2 shown]
	v_add_co_u32 v5, s2, v5, s12
	s_delay_alu instid0(VALU_DEP_1) | instskip(SKIP_1) | instid1(VALU_DEP_1)
	v_add_co_ci_u32_e64 v6, s2, s13, v6, s2
	v_add_co_u32 v7, s2, v7, s14
	v_add_co_ci_u32_e64 v8, s2, s15, v8, s2
	s_add_i32 s17, s17, 8
	s_delay_alu instid0(SALU_CYCLE_1)
	s_cmp_ge_i32 s17, s11
	s_waitcnt lgkmcnt(9)
	v_mul_f64 v[73:74], v[3:4], v[35:36]
	v_mul_f64 v[75:76], v[1:2], v[35:36]
	s_waitcnt lgkmcnt(8)
	v_mul_f64 v[77:78], v[3:4], v[39:40]
	v_mul_f64 v[79:80], v[1:2], v[39:40]
	;; [unrolled: 3-line block ×3, first 2 shown]
	v_mul_f64 v[83:84], v[43:44], v[39:40]
	v_mul_f64 v[39:40], v[41:42], v[39:40]
	s_waitcnt lgkmcnt(4)
	v_mul_f64 v[85:86], v[47:48], v[55:56]
	v_mul_f64 v[87:88], v[45:46], v[55:56]
	s_waitcnt lgkmcnt(3)
	v_mul_f64 v[89:90], v[47:48], v[59:60]
	v_mul_f64 v[91:92], v[45:46], v[59:60]
	;; [unrolled: 1-line block ×6, first 2 shown]
	v_fma_f64 v[97:98], v[1:2], v[33:34], -v[73:74]
	v_fma_f64 v[99:100], v[3:4], v[33:34], v[75:76]
	ds_load_b128 v[73:76], v32 offset:32
	v_fma_f64 v[77:78], v[1:2], v[37:38], -v[77:78]
	v_fma_f64 v[79:80], v[3:4], v[37:38], v[79:80]
	v_fma_f64 v[81:82], v[41:42], v[33:34], -v[81:82]
	v_fma_f64 v[101:102], v[43:44], v[33:34], v[35:36]
	;; [unrolled: 2-line block ×3, first 2 shown]
	s_waitcnt lgkmcnt(1)
	v_mul_f64 v[113:114], v[71:72], v[63:64]
	v_fma_f64 v[85:86], v[45:46], v[53:54], -v[85:86]
	v_fma_f64 v[87:88], v[47:48], v[53:54], v[87:88]
	v_fma_f64 v[45:46], v[45:46], v[57:58], -v[89:90]
	v_fma_f64 v[47:48], v[47:48], v[57:58], v[91:92]
	v_mul_f64 v[89:90], v[71:72], v[67:68]
	v_fma_f64 v[91:92], v[49:50], v[53:54], -v[93:94]
	v_fma_f64 v[53:54], v[51:52], v[53:54], v[55:56]
	v_fma_f64 v[49:50], v[49:50], v[57:58], -v[95:96]
	v_fma_f64 v[51:52], v[51:52], v[57:58], v[59:60]
	ds_load_b128 v[1:4], v32 offset:48
	ds_load_b128 v[33:36], v32 offset:2096
	;; [unrolled: 1-line block ×4, first 2 shown]
	s_waitcnt lgkmcnt(4)
	v_mul_f64 v[105:106], v[75:76], v[63:64]
	v_mul_f64 v[107:108], v[73:74], v[63:64]
	;; [unrolled: 1-line block ×6, first 2 shown]
	s_waitcnt lgkmcnt(1)
	v_mul_f64 v[93:94], v[1:2], v[39:40]
	v_add_f64 v[21:22], v[21:22], v[97:98]
	v_add_f64 v[23:24], v[23:24], v[99:100]
	;; [unrolled: 1-line block ×8, first 2 shown]
	v_mul_f64 v[83:84], v[3:4], v[39:40]
	s_waitcnt lgkmcnt(0)
	v_mul_f64 v[95:96], v[3:4], v[43:44]
	v_mul_f64 v[97:98], v[1:2], v[43:44]
	;; [unrolled: 1-line block ×6, first 2 shown]
	ds_load_b128 v[9:12], v31 offset:2048
	ds_load_b128 v[13:16], v31 offset:2304
	;; [unrolled: 1-line block ×3, first 2 shown]
	v_fma_f64 v[105:106], v[73:74], v[61:62], -v[105:106]
	v_fma_f64 v[107:108], v[75:76], v[61:62], v[107:108]
	v_fma_f64 v[73:74], v[73:74], v[65:66], -v[109:110]
	v_fma_f64 v[75:76], v[75:76], v[65:66], v[111:112]
	v_fma_f64 v[109:110], v[69:70], v[61:62], -v[113:114]
	v_fma_f64 v[61:62], v[71:72], v[61:62], v[63:64]
	v_fma_f64 v[63:64], v[69:70], v[65:66], -v[89:90]
	v_fma_f64 v[65:66], v[71:72], v[65:66], v[67:68]
	s_waitcnt lgkmcnt(0)
	v_mul_f64 v[113:114], v[19:20], v[11:12]
	v_mul_f64 v[115:116], v[19:20], v[15:16]
	v_fma_f64 v[93:94], v[3:4], v[37:38], v[93:94]
	v_add_f64 v[67:68], v[21:22], v[85:86]
	v_add_f64 v[69:70], v[23:24], v[87:88]
	;; [unrolled: 1-line block ×8, first 2 shown]
	ds_load_b128 v[21:24], v32 offset:64
	v_fma_f64 v[83:84], v[1:2], v[37:38], -v[83:84]
	v_fma_f64 v[95:96], v[1:2], v[41:42], -v[95:96]
	v_fma_f64 v[97:98], v[3:4], v[41:42], v[97:98]
	v_fma_f64 v[99:100], v[33:34], v[37:38], -v[99:100]
	v_fma_f64 v[117:118], v[35:36], v[37:38], v[39:40]
	;; [unrolled: 2-line block ×3, first 2 shown]
	ds_load_b128 v[43:46], v32 offset:80
	ds_load_b128 v[47:50], v32 offset:2128
	;; [unrolled: 1-line block ×7, first 2 shown]
	s_waitcnt lgkmcnt(7)
	v_mul_f64 v[87:88], v[23:24], v[11:12]
	v_mul_f64 v[89:90], v[21:22], v[11:12]
	;; [unrolled: 1-line block ×6, first 2 shown]
	s_waitcnt lgkmcnt(3)
	v_mul_f64 v[103:104], v[49:50], v[57:58]
	v_add_f64 v[67:68], v[67:68], v[105:106]
	v_add_f64 v[69:70], v[69:70], v[107:108]
	v_add_f64 v[71:72], v[71:72], v[73:74]
	v_add_f64 v[73:74], v[85:86], v[75:76]
	v_add_f64 v[59:60], v[59:60], v[109:110]
	v_add_f64 v[61:62], v[77:78], v[61:62]
	v_add_f64 v[63:64], v[79:80], v[63:64]
	v_add_f64 v[65:66], v[81:82], v[65:66]
	v_mul_f64 v[75:76], v[45:46], v[53:54]
	v_mul_f64 v[77:78], v[43:44], v[53:54]
	;; [unrolled: 1-line block ×7, first 2 shown]
	v_fma_f64 v[109:110], v[17:18], v[9:10], -v[113:114]
	v_fma_f64 v[113:114], v[17:18], v[13:14], -v[115:116]
	;; [unrolled: 1-line block ×3, first 2 shown]
	v_fma_f64 v[89:90], v[23:24], v[9:10], v[89:90]
	v_fma_f64 v[91:92], v[21:22], v[13:14], -v[91:92]
	v_fma_f64 v[107:108], v[23:24], v[13:14], v[111:112]
	v_fma_f64 v[111:112], v[19:20], v[9:10], v[11:12]
	;; [unrolled: 1-line block ×3, first 2 shown]
	ds_load_b128 v[9:12], v32 offset:96
	v_add_f64 v[67:68], v[67:68], v[83:84]
	v_add_f64 v[69:70], v[69:70], v[93:94]
	v_add_f64 v[71:72], v[71:72], v[95:96]
	v_add_f64 v[73:74], v[73:74], v[97:98]
	v_add_f64 v[83:84], v[59:60], v[99:100]
	v_add_f64 v[61:62], v[61:62], v[117:118]
	v_add_f64 v[63:64], v[63:64], v[101:102]
	v_add_f64 v[41:42], v[65:66], v[41:42]
	s_waitcnt lgkmcnt(1)
	v_mul_f64 v[99:100], v[39:40], v[3:4]
	v_fma_f64 v[75:76], v[43:44], v[51:52], -v[75:76]
	v_fma_f64 v[77:78], v[45:46], v[51:52], v[77:78]
	v_fma_f64 v[43:44], v[43:44], v[55:56], -v[79:80]
	v_fma_f64 v[45:46], v[45:46], v[55:56], v[81:82]
	v_mul_f64 v[79:80], v[39:40], v[35:36]
	v_fma_f64 v[81:82], v[47:48], v[51:52], -v[85:86]
	v_fma_f64 v[51:52], v[49:50], v[51:52], v[53:54]
	s_waitcnt lgkmcnt(0)
	v_mul_f64 v[65:66], v[11:12], v[3:4]
	v_mul_f64 v[93:94], v[9:10], v[3:4]
	;; [unrolled: 1-line block ×6, first 2 shown]
	v_fma_f64 v[47:48], v[47:48], v[55:56], -v[103:104]
	v_fma_f64 v[49:50], v[49:50], v[55:56], v[105:106]
	ds_load_b128 v[13:16], v32 offset:112
	ds_load_b128 v[17:20], v32 offset:2160
	;; [unrolled: 1-line block ×4, first 2 shown]
	s_waitcnt lgkmcnt(0)
	s_barrier
	buffer_gl0_inv
	v_add_f64 v[53:54], v[67:68], v[87:88]
	v_add_f64 v[55:56], v[69:70], v[89:90]
	;; [unrolled: 1-line block ×8, first 2 shown]
	v_mul_f64 v[73:74], v[15:16], v[23:24]
	v_mul_f64 v[83:84], v[13:14], v[23:24]
	;; [unrolled: 1-line block ×8, first 2 shown]
	v_fma_f64 v[65:66], v[9:10], v[1:2], -v[65:66]
	v_fma_f64 v[93:94], v[11:12], v[1:2], v[93:94]
	v_fma_f64 v[9:10], v[9:10], v[33:34], -v[95:96]
	v_fma_f64 v[11:12], v[11:12], v[33:34], v[97:98]
	;; [unrolled: 2-line block ×4, first 2 shown]
	v_add_f64 v[35:36], v[53:54], v[75:76]
	v_add_f64 v[37:38], v[55:56], v[77:78]
	;; [unrolled: 1-line block ×8, first 2 shown]
	v_fma_f64 v[49:50], v[13:14], v[21:22], -v[73:74]
	v_fma_f64 v[53:54], v[15:16], v[21:22], v[83:84]
	v_fma_f64 v[13:14], v[13:14], v[57:58], -v[85:86]
	v_fma_f64 v[15:16], v[15:16], v[57:58], v[87:88]
	;; [unrolled: 2-line block ×4, first 2 shown]
	v_add_f64 v[17:18], v[35:36], v[65:66]
	v_add_f64 v[19:20], v[37:38], v[93:94]
	;; [unrolled: 1-line block ×16, first 2 shown]
	s_cbranch_scc1 .LBB911_9
.LBB911_3:                              ; =>This Inner Loop Header: Depth=1
	v_add_nc_u32_e32 v1, s17, v28
	s_delay_alu instid0(VALU_DEP_1) | instskip(NEXT) | instid1(VALU_DEP_1)
	v_cmp_le_i32_e64 s2, s11, v1
	s_or_b32 s2, s3, s2
	s_delay_alu instid0(SALU_CYCLE_1) | instskip(NEXT) | instid1(SALU_CYCLE_1)
	s_and_saveexec_b32 s18, s2
	s_xor_b32 s2, exec_lo, s18
	s_cbranch_execz .LBB911_5
; %bb.4:                                ;   in Loop: Header=BB911_3 Depth=1
	v_mov_b32_e32 v1, v0
	v_mov_b32_e32 v2, v0
	;; [unrolled: 1-line block ×3, first 2 shown]
	ds_store_b128 v29, v[0:3]
.LBB911_5:                              ;   in Loop: Header=BB911_3 Depth=1
	s_and_not1_saveexec_b32 s2, s2
	s_cbranch_execz .LBB911_7
; %bb.6:                                ;   in Loop: Header=BB911_3 Depth=1
	global_load_b128 v[1:4], v[5:6], off
	s_waitcnt vmcnt(0)
	ds_store_2addr_b64 v29, v[1:2], v[3:4] offset1:1
.LBB911_7:                              ;   in Loop: Header=BB911_3 Depth=1
	s_or_b32 exec_lo, exec_lo, s2
	v_add_nc_u32_e32 v3, s17, v27
	v_mov_b32_e32 v1, 0
	v_mov_b32_e32 v2, 0
	s_delay_alu instid0(VALU_DEP_3) | instskip(NEXT) | instid1(VALU_DEP_2)
	v_cmp_gt_i32_e64 s2, s11, v3
	v_dual_mov_b32 v4, v2 :: v_dual_mov_b32 v3, v1
	s_delay_alu instid0(VALU_DEP_2) | instskip(NEXT) | instid1(SALU_CYCLE_1)
	s_and_b32 s18, s2, vcc_lo
	s_and_saveexec_b32 s2, s18
	s_cbranch_execz .LBB911_2
; %bb.8:                                ;   in Loop: Header=BB911_3 Depth=1
	global_load_b128 v[1:4], v[7:8], off offset:-8
	s_waitcnt vmcnt(0)
	v_xor_b32_e32 v4, 0x80000000, v4
	s_branch .LBB911_2
.LBB911_9:
	s_load_b32 s3, s[0:1], 0x60
	v_add_nc_u32_e32 v4, s22, v26
	v_add_nc_u32_e32 v0, s16, v25
	s_delay_alu instid0(VALU_DEP_1) | instskip(SKIP_1) | instid1(VALU_DEP_2)
	v_cmp_le_i32_e64 s0, v4, v0
	v_cmp_gt_i32_e32 vcc_lo, s10, v0
	s_and_b32 s0, s0, vcc_lo
	s_waitcnt lgkmcnt(0)
	v_mad_i64_i32 v[1:2], null, v4, s3, 0
	s_delay_alu instid0(VALU_DEP_1) | instskip(NEXT) | instid1(VALU_DEP_1)
	v_lshlrev_b64 v[1:2], 4, v[1:2]
	v_add_co_u32 v5, s1, s8, v1
	s_delay_alu instid0(VALU_DEP_1)
	v_add_co_ci_u32_e64 v6, s1, s9, v2, s1
	s_and_saveexec_b32 s2, s0
	s_cbranch_execz .LBB911_11
; %bb.10:
	v_mul_f64 v[1:2], s[4:5], v[23:24]
	v_mul_f64 v[7:8], s[6:7], v[23:24]
	v_cmp_ne_u32_e64 s0, v4, v0
	s_delay_alu instid0(VALU_DEP_3) | instskip(NEXT) | instid1(VALU_DEP_3)
	v_fma_f64 v[2:3], s[6:7], v[21:22], v[1:2]
	v_fma_f64 v[21:22], s[4:5], v[21:22], -v[7:8]
	v_ashrrev_i32_e32 v1, 31, v0
	s_delay_alu instid0(VALU_DEP_1) | instskip(NEXT) | instid1(VALU_DEP_1)
	v_lshlrev_b64 v[7:8], 4, v[0:1]
	v_add_co_u32 v7, s1, v5, v7
	s_delay_alu instid0(VALU_DEP_1)
	v_add_co_ci_u32_e64 v8, s1, v6, v8, s1
	v_cndmask_b32_e64 v24, 0, v3, s0
	v_cndmask_b32_e64 v23, 0, v2, s0
	global_store_b128 v[7:8], v[21:24], off
.LBB911_11:
	s_or_b32 exec_lo, exec_lo, s2
	v_add_nc_u32_e32 v2, 16, v0
	s_delay_alu instid0(VALU_DEP_1) | instskip(SKIP_1) | instid1(VALU_DEP_1)
	v_cmp_le_i32_e64 s1, v4, v2
	v_cmp_gt_i32_e64 s0, s10, v2
	s_and_b32 s1, s1, s0
	s_delay_alu instid0(SALU_CYCLE_1)
	s_and_saveexec_b32 s10, s1
	s_cbranch_execz .LBB911_13
; %bb.12:
	v_mul_f64 v[7:8], s[4:5], v[19:20]
	v_mul_f64 v[19:20], s[6:7], v[19:20]
	v_ashrrev_i32_e32 v3, 31, v2
	v_cmp_ne_u32_e64 s1, v4, v2
	s_delay_alu instid0(VALU_DEP_4) | instskip(NEXT) | instid1(VALU_DEP_4)
	v_fma_f64 v[7:8], s[6:7], v[17:18], v[7:8]
	v_fma_f64 v[17:18], s[4:5], v[17:18], -v[19:20]
	s_delay_alu instid0(VALU_DEP_4) | instskip(NEXT) | instid1(VALU_DEP_1)
	v_lshlrev_b64 v[19:20], 4, v[2:3]
	v_add_co_u32 v5, s2, v5, v19
	s_delay_alu instid0(VALU_DEP_1)
	v_add_co_ci_u32_e64 v6, s2, v6, v20, s2
	v_cndmask_b32_e64 v20, 0, v8, s1
	v_cndmask_b32_e64 v19, 0, v7, s1
	global_store_b128 v[5:6], v[17:20], off
.LBB911_13:
	s_or_b32 exec_lo, exec_lo, s10
	v_add_nc_u32_e32 v3, 16, v4
	s_delay_alu instid0(VALU_DEP_1) | instskip(SKIP_1) | instid1(VALU_DEP_1)
	v_mad_i64_i32 v[5:6], null, v3, s3, 0
	v_cmp_le_i32_e64 s1, v3, v0
	s_and_b32 s1, s1, vcc_lo
	s_delay_alu instid0(VALU_DEP_2) | instskip(NEXT) | instid1(VALU_DEP_1)
	v_lshlrev_b64 v[5:6], 4, v[5:6]
	v_add_co_u32 v5, s2, s8, v5
	s_delay_alu instid0(VALU_DEP_1)
	v_add_co_ci_u32_e64 v6, s2, s9, v6, s2
	s_and_saveexec_b32 s2, s1
	s_cbranch_execz .LBB911_15
; %bb.14:
	v_mul_f64 v[7:8], s[4:5], v[15:16]
	v_mul_f64 v[15:16], s[6:7], v[15:16]
	v_ashrrev_i32_e32 v1, 31, v0
	v_cmp_ne_u32_e32 vcc_lo, v3, v0
	s_delay_alu instid0(VALU_DEP_4) | instskip(NEXT) | instid1(VALU_DEP_4)
	v_fma_f64 v[7:8], s[6:7], v[13:14], v[7:8]
	v_fma_f64 v[13:14], s[4:5], v[13:14], -v[15:16]
	s_delay_alu instid0(VALU_DEP_4) | instskip(NEXT) | instid1(VALU_DEP_1)
	v_lshlrev_b64 v[15:16], 4, v[0:1]
	v_add_co_u32 v17, s1, v5, v15
	s_delay_alu instid0(VALU_DEP_1)
	v_add_co_ci_u32_e64 v18, s1, v6, v16, s1
	v_dual_cndmask_b32 v16, 0, v8 :: v_dual_cndmask_b32 v15, 0, v7
	global_store_b128 v[17:18], v[13:16], off
.LBB911_15:
	s_or_b32 exec_lo, exec_lo, s2
	v_cmp_le_i32_e32 vcc_lo, v3, v2
	s_and_b32 s0, vcc_lo, s0
	s_delay_alu instid0(SALU_CYCLE_1)
	s_and_saveexec_b32 s1, s0
	s_cbranch_execz .LBB911_17
; %bb.16:
	v_mul_f64 v[7:8], s[4:5], v[9:10]
	v_mul_f64 v[9:10], s[6:7], v[9:10]
	v_ashrrev_i32_e32 v3, 31, v2
	v_cmp_ne_u32_e32 vcc_lo, v4, v0
	s_delay_alu instid0(VALU_DEP_2) | instskip(NEXT) | instid1(VALU_DEP_1)
	v_lshlrev_b64 v[1:2], 4, v[2:3]
	v_add_co_u32 v0, s0, v5, v1
	s_delay_alu instid0(VALU_DEP_1) | instskip(SKIP_2) | instid1(VALU_DEP_2)
	v_add_co_ci_u32_e64 v1, s0, v6, v2, s0
	v_fma_f64 v[13:14], s[6:7], v[11:12], v[7:8]
	v_fma_f64 v[7:8], s[4:5], v[11:12], -v[9:10]
	v_dual_cndmask_b32 v10, 0, v14 :: v_dual_cndmask_b32 v9, 0, v13
	global_store_b128 v[0:1], v[7:10], off
.LBB911_17:
	s_nop 0
	s_sendmsg sendmsg(MSG_DEALLOC_VGPRS)
	s_endpgm
	.section	.rodata,"a",@progbits
	.p2align	6, 0x0
	.amdhsa_kernel _ZL34rocblas_syrkx_herkx_general_kernelIi19rocblas_complex_numIdELi16ELi32ELi8ELb1ELb1ELc78ELc76EKPKS1_KPS1_EviT_T0_PT8_S7_lSA_S7_lS8_PT9_S7_li
		.amdhsa_group_segment_fixed_size 8192
		.amdhsa_private_segment_fixed_size 0
		.amdhsa_kernarg_size 116
		.amdhsa_user_sgpr_count 13
		.amdhsa_user_sgpr_dispatch_ptr 0
		.amdhsa_user_sgpr_queue_ptr 0
		.amdhsa_user_sgpr_kernarg_segment_ptr 1
		.amdhsa_user_sgpr_dispatch_id 0
		.amdhsa_user_sgpr_private_segment_size 0
		.amdhsa_wavefront_size32 1
		.amdhsa_uses_dynamic_stack 0
		.amdhsa_enable_private_segment 0
		.amdhsa_system_sgpr_workgroup_id_x 1
		.amdhsa_system_sgpr_workgroup_id_y 1
		.amdhsa_system_sgpr_workgroup_id_z 1
		.amdhsa_system_sgpr_workgroup_info 0
		.amdhsa_system_vgpr_workitem_id 1
		.amdhsa_next_free_vgpr 119
		.amdhsa_next_free_sgpr 26
		.amdhsa_reserve_vcc 1
		.amdhsa_float_round_mode_32 0
		.amdhsa_float_round_mode_16_64 0
		.amdhsa_float_denorm_mode_32 3
		.amdhsa_float_denorm_mode_16_64 3
		.amdhsa_dx10_clamp 1
		.amdhsa_ieee_mode 1
		.amdhsa_fp16_overflow 0
		.amdhsa_workgroup_processor_mode 1
		.amdhsa_memory_ordered 1
		.amdhsa_forward_progress 0
		.amdhsa_shared_vgpr_count 0
		.amdhsa_exception_fp_ieee_invalid_op 0
		.amdhsa_exception_fp_denorm_src 0
		.amdhsa_exception_fp_ieee_div_zero 0
		.amdhsa_exception_fp_ieee_overflow 0
		.amdhsa_exception_fp_ieee_underflow 0
		.amdhsa_exception_fp_ieee_inexact 0
		.amdhsa_exception_int_div_zero 0
	.end_amdhsa_kernel
	.section	.text._ZL34rocblas_syrkx_herkx_general_kernelIi19rocblas_complex_numIdELi16ELi32ELi8ELb1ELb1ELc78ELc76EKPKS1_KPS1_EviT_T0_PT8_S7_lSA_S7_lS8_PT9_S7_li,"axG",@progbits,_ZL34rocblas_syrkx_herkx_general_kernelIi19rocblas_complex_numIdELi16ELi32ELi8ELb1ELb1ELc78ELc76EKPKS1_KPS1_EviT_T0_PT8_S7_lSA_S7_lS8_PT9_S7_li,comdat
.Lfunc_end911:
	.size	_ZL34rocblas_syrkx_herkx_general_kernelIi19rocblas_complex_numIdELi16ELi32ELi8ELb1ELb1ELc78ELc76EKPKS1_KPS1_EviT_T0_PT8_S7_lSA_S7_lS8_PT9_S7_li, .Lfunc_end911-_ZL34rocblas_syrkx_herkx_general_kernelIi19rocblas_complex_numIdELi16ELi32ELi8ELb1ELb1ELc78ELc76EKPKS1_KPS1_EviT_T0_PT8_S7_lSA_S7_lS8_PT9_S7_li
                                        ; -- End function
	.section	.AMDGPU.csdata,"",@progbits
; Kernel info:
; codeLenInByte = 3308
; NumSgprs: 28
; NumVgprs: 119
; ScratchSize: 0
; MemoryBound: 1
; FloatMode: 240
; IeeeMode: 1
; LDSByteSize: 8192 bytes/workgroup (compile time only)
; SGPRBlocks: 3
; VGPRBlocks: 14
; NumSGPRsForWavesPerEU: 28
; NumVGPRsForWavesPerEU: 119
; Occupancy: 12
; WaveLimiterHint : 1
; COMPUTE_PGM_RSRC2:SCRATCH_EN: 0
; COMPUTE_PGM_RSRC2:USER_SGPR: 13
; COMPUTE_PGM_RSRC2:TRAP_HANDLER: 0
; COMPUTE_PGM_RSRC2:TGID_X_EN: 1
; COMPUTE_PGM_RSRC2:TGID_Y_EN: 1
; COMPUTE_PGM_RSRC2:TGID_Z_EN: 1
; COMPUTE_PGM_RSRC2:TIDIG_COMP_CNT: 1
	.section	.text._ZL34rocblas_syrkx_herkx_general_kernelIi19rocblas_complex_numIdELi16ELi32ELi8ELb1ELb1ELc84ELc85EKPKS1_KPS1_EviT_T0_PT8_S7_lSA_S7_lS8_PT9_S7_li,"axG",@progbits,_ZL34rocblas_syrkx_herkx_general_kernelIi19rocblas_complex_numIdELi16ELi32ELi8ELb1ELb1ELc84ELc85EKPKS1_KPS1_EviT_T0_PT8_S7_lSA_S7_lS8_PT9_S7_li,comdat
	.globl	_ZL34rocblas_syrkx_herkx_general_kernelIi19rocblas_complex_numIdELi16ELi32ELi8ELb1ELb1ELc84ELc85EKPKS1_KPS1_EviT_T0_PT8_S7_lSA_S7_lS8_PT9_S7_li ; -- Begin function _ZL34rocblas_syrkx_herkx_general_kernelIi19rocblas_complex_numIdELi16ELi32ELi8ELb1ELb1ELc84ELc85EKPKS1_KPS1_EviT_T0_PT8_S7_lSA_S7_lS8_PT9_S7_li
	.p2align	8
	.type	_ZL34rocblas_syrkx_herkx_general_kernelIi19rocblas_complex_numIdELi16ELi32ELi8ELb1ELb1ELc84ELc85EKPKS1_KPS1_EviT_T0_PT8_S7_lSA_S7_lS8_PT9_S7_li,@function
_ZL34rocblas_syrkx_herkx_general_kernelIi19rocblas_complex_numIdELi16ELi32ELi8ELb1ELb1ELc84ELc85EKPKS1_KPS1_EviT_T0_PT8_S7_lSA_S7_lS8_PT9_S7_li: ; @_ZL34rocblas_syrkx_herkx_general_kernelIi19rocblas_complex_numIdELi16ELi32ELi8ELb1ELb1ELc84ELc85EKPKS1_KPS1_EviT_T0_PT8_S7_lSA_S7_lS8_PT9_S7_li
; %bb.0:
	s_clause 0x2
	s_load_b64 s[4:5], s[0:1], 0x58
	s_load_b64 s[18:19], s[0:1], 0x18
	;; [unrolled: 1-line block ×3, first 2 shown]
	s_mov_b32 s16, s15
	s_mov_b32 s17, 0
	v_mov_b32_e32 v20, 0
	s_lshl_b64 s[2:3], s[16:17], 3
	v_dual_mov_b32 v21, 0 :: v_dual_and_b32 v24, 0x3ff, v0
	v_bfe_u32 v25, v0, 10, 10
	s_delay_alu instid0(VALU_DEP_3) | instskip(NEXT) | instid1(VALU_DEP_3)
	v_mov_b32_e32 v16, v20
	v_dual_mov_b32 v18, v20 :: v_dual_mov_b32 v19, v21
	v_dual_mov_b32 v23, v21 :: v_dual_mov_b32 v22, v20
	;; [unrolled: 1-line block ×4, first 2 shown]
	v_mov_b32_e32 v15, v21
	s_waitcnt lgkmcnt(0)
	s_add_u32 s10, s4, s2
	s_addc_u32 s11, s5, s3
	s_load_b128 s[4:7], s[0:1], 0x8
	s_load_b64 s[10:11], s[10:11], 0x0
	v_dual_mov_b32 v10, v20 :: v_dual_mov_b32 v11, v21
	v_dual_mov_b32 v8, v20 :: v_dual_mov_b32 v9, v21
	s_lshl_b32 s12, s13, 5
	s_lshl_b32 s13, s14, 5
	s_cmp_lt_i32 s9, 1
	s_cbranch_scc1 .LBB912_11
; %bb.1:
	s_clause 0x1
	s_load_b64 s[14:15], s[0:1], 0x30
	s_load_b32 s16, s[0:1], 0x20
	v_lshl_add_u32 v0, v25, 4, v24
	v_dual_mov_b32 v8, 0 :: v_dual_lshlrev_b32 v27, 4, v24
	v_dual_mov_b32 v9, 0 :: v_dual_and_b32 v26, 7, v24
	s_delay_alu instid0(VALU_DEP_3)
	v_and_b32_e32 v1, 31, v0
	s_load_b32 s20, s[0:1], 0x38
	v_lshrrev_b32_e32 v2, 3, v0
	v_lshrrev_b32_e32 v29, 5, v0
	v_mov_b32_e32 v15, v9
	v_dual_mov_b32 v14, v8 :: v_dual_add_nc_u32 v3, s12, v1
	v_or_b32_e32 v6, s12, v1
	v_lshlrev_b32_e32 v7, 4, v1
	v_lshlrev_b32_e32 v4, 4, v26
	;; [unrolled: 1-line block ×3, first 2 shown]
	v_add_nc_u32_e32 v5, s13, v2
	v_mov_b32_e32 v19, v9
	s_waitcnt lgkmcnt(0)
	s_add_u32 s14, s14, s2
	v_mad_i64_i32 v[0:1], null, s16, v3, 0
	s_addc_u32 s15, s15, s3
	s_add_u32 s2, s18, s2
	v_lshl_or_b32 v10, v2, 7, v4
	s_addc_u32 s3, s19, s3
	v_mov_b32_e32 v18, v8
	s_load_b64 s[18:19], s[2:3], 0x0
	s_delay_alu instid0(VALU_DEP_3)
	v_lshlrev_b64 v[0:1], 4, v[0:1]
	v_add_nc_u32_e32 v31, 0x1000, v10
	s_load_b64 s[14:15], s[14:15], 0x0
	v_cmp_gt_i32_e32 vcc_lo, s8, v6
	v_mov_b32_e32 v13, v9
	v_mov_b32_e32 v17, v9
	v_add_co_u32 v0, s3, v0, v11
	v_dual_mov_b32 v11, v9 :: v_dual_mov_b32 v10, v8
	v_mad_i64_i32 v[2:3], null, s20, v5, 0
	v_add_co_ci_u32_e64 v1, s3, 0, v1, s3
	v_cmp_gt_i32_e64 s2, s8, v5
	v_mov_b32_e32 v23, v9
	v_dual_mov_b32 v21, v9 :: v_dual_mov_b32 v20, v8
	v_lshlrev_b64 v[2:3], 4, v[2:3]
	v_lshl_add_u32 v28, v25, 7, 0x1000
	v_mov_b32_e32 v12, v8
	v_lshl_or_b32 v30, v29, 9, v7
	v_mov_b32_e32 v16, v8
	v_mov_b32_e32 v22, v8
	v_add_co_u32 v2, s3, v2, v4
	s_delay_alu instid0(VALU_DEP_1) | instskip(SKIP_2) | instid1(VALU_DEP_1)
	v_add_co_ci_u32_e64 v3, s3, 0, v3, s3
	s_waitcnt lgkmcnt(0)
	v_add_co_u32 v4, s3, s18, v0
	v_add_co_ci_u32_e64 v5, s3, s19, v1, s3
	v_add_co_u32 v6, s3, s14, v2
	s_delay_alu instid0(VALU_DEP_1)
	v_add_co_ci_u32_e64 v7, s3, s15, v3, s3
	v_mov_b32_e32 v0, 0
	s_xor_b32 s3, vcc_lo, -1
	s_xor_b32 s2, s2, -1
	s_branch .LBB912_3
.LBB912_2:                              ;   in Loop: Header=BB912_3 Depth=1
	s_or_b32 exec_lo, exec_lo, s14
	s_waitcnt lgkmcnt(0)
	s_barrier
	buffer_gl0_inv
	ds_load_b128 v[32:35], v28
	ds_load_b128 v[36:39], v27
	ds_load_b128 v[40:43], v27 offset:256
	ds_load_b128 v[44:47], v28 offset:2048
	;; [unrolled: 1-line block ×9, first 2 shown]
	v_add_co_u32 v4, vcc_lo, 0x80, v4
	v_add_co_ci_u32_e32 v5, vcc_lo, 0, v5, vcc_lo
	v_add_co_u32 v6, vcc_lo, 0x80, v6
	v_add_co_ci_u32_e32 v7, vcc_lo, 0, v7, vcc_lo
	s_add_i32 s17, s17, 8
	s_delay_alu instid0(SALU_CYCLE_1)
	s_cmp_ge_i32 s17, s9
	s_waitcnt lgkmcnt(9)
	v_mul_f64 v[1:2], v[34:35], v[38:39]
	v_mul_f64 v[76:77], v[32:33], v[38:39]
	s_waitcnt lgkmcnt(8)
	v_mul_f64 v[78:79], v[34:35], v[42:43]
	v_mul_f64 v[80:81], v[32:33], v[42:43]
	;; [unrolled: 3-line block ×3, first 2 shown]
	v_mul_f64 v[84:85], v[46:47], v[42:43]
	v_mul_f64 v[42:43], v[44:45], v[42:43]
	s_waitcnt lgkmcnt(4)
	v_mul_f64 v[86:87], v[50:51], v[58:59]
	v_mul_f64 v[88:89], v[48:49], v[58:59]
	s_waitcnt lgkmcnt(3)
	v_mul_f64 v[90:91], v[50:51], v[62:63]
	v_mul_f64 v[92:93], v[48:49], v[62:63]
	;; [unrolled: 1-line block ×6, first 2 shown]
	s_waitcnt lgkmcnt(0)
	v_mul_f64 v[114:115], v[74:75], v[66:67]
	v_mul_f64 v[116:117], v[74:75], v[70:71]
	v_fma_f64 v[1:2], v[32:33], v[36:37], -v[1:2]
	v_fma_f64 v[98:99], v[34:35], v[36:37], v[76:77]
	v_fma_f64 v[100:101], v[32:33], v[40:41], -v[78:79]
	v_fma_f64 v[80:81], v[34:35], v[40:41], v[80:81]
	;; [unrolled: 2-line block ×4, first 2 shown]
	ds_load_b128 v[76:79], v28 offset:32
	v_fma_f64 v[86:87], v[48:49], v[56:57], -v[86:87]
	v_fma_f64 v[88:89], v[50:51], v[56:57], v[88:89]
	v_fma_f64 v[48:49], v[48:49], v[60:61], -v[90:91]
	v_fma_f64 v[50:51], v[50:51], v[60:61], v[92:93]
	;; [unrolled: 2-line block ×4, first 2 shown]
	ds_load_b128 v[32:35], v28 offset:48
	ds_load_b128 v[36:39], v28 offset:2096
	;; [unrolled: 1-line block ×4, first 2 shown]
	s_waitcnt lgkmcnt(4)
	v_mul_f64 v[106:107], v[78:79], v[66:67]
	v_mul_f64 v[108:109], v[76:77], v[66:67]
	;; [unrolled: 1-line block ×6, first 2 shown]
	s_waitcnt lgkmcnt(1)
	v_mul_f64 v[92:93], v[32:33], v[42:43]
	s_waitcnt lgkmcnt(0)
	v_mul_f64 v[94:95], v[34:35], v[46:47]
	v_add_f64 v[1:2], v[20:21], v[1:2]
	v_add_f64 v[20:21], v[22:23], v[98:99]
	v_add_f64 v[22:23], v[16:17], v[100:101]
	v_add_f64 v[58:59], v[18:19], v[80:81]
	v_add_f64 v[60:61], v[12:13], v[82:83]
	v_add_f64 v[62:63], v[14:15], v[102:103]
	v_add_f64 v[80:81], v[10:11], v[84:85]
	v_add_f64 v[82:83], v[8:9], v[104:105]
	v_mul_f64 v[84:85], v[34:35], v[42:43]
	v_mul_f64 v[96:97], v[32:33], v[46:47]
	;; [unrolled: 1-line block ×6, first 2 shown]
	ds_load_b128 v[8:11], v27 offset:2048
	ds_load_b128 v[12:15], v27 offset:2304
	;; [unrolled: 1-line block ×3, first 2 shown]
	v_fma_f64 v[104:105], v[76:77], v[64:65], -v[106:107]
	v_fma_f64 v[106:107], v[78:79], v[64:65], v[108:109]
	v_fma_f64 v[76:77], v[76:77], v[68:69], -v[110:111]
	v_fma_f64 v[78:79], v[78:79], v[68:69], v[112:113]
	;; [unrolled: 2-line block ×4, first 2 shown]
	s_waitcnt lgkmcnt(0)
	v_mul_f64 v[114:115], v[18:19], v[10:11]
	v_mul_f64 v[116:117], v[18:19], v[14:15]
	v_add_f64 v[1:2], v[1:2], v[86:87]
	v_add_f64 v[70:71], v[20:21], v[88:89]
	;; [unrolled: 1-line block ×8, first 2 shown]
	ds_load_b128 v[20:23], v28 offset:64
	v_fma_f64 v[84:85], v[32:33], v[40:41], -v[84:85]
	v_fma_f64 v[92:93], v[34:35], v[40:41], v[92:93]
	v_fma_f64 v[94:95], v[32:33], v[44:45], -v[94:95]
	v_fma_f64 v[96:97], v[34:35], v[44:45], v[96:97]
	;; [unrolled: 2-line block ×4, first 2 shown]
	ds_load_b128 v[46:49], v28 offset:80
	ds_load_b128 v[50:53], v28 offset:2128
	;; [unrolled: 1-line block ×7, first 2 shown]
	s_waitcnt lgkmcnt(7)
	v_mul_f64 v[88:89], v[22:23], v[10:11]
	v_mul_f64 v[90:91], v[20:21], v[10:11]
	;; [unrolled: 1-line block ×6, first 2 shown]
	s_waitcnt lgkmcnt(3)
	v_mul_f64 v[102:103], v[52:53], v[60:61]
	v_add_f64 v[1:2], v[1:2], v[104:105]
	v_add_f64 v[70:71], v[70:71], v[106:107]
	;; [unrolled: 1-line block ×8, first 2 shown]
	v_mul_f64 v[68:69], v[48:49], v[56:57]
	v_mul_f64 v[78:79], v[46:47], v[56:57]
	;; [unrolled: 1-line block ×7, first 2 shown]
	v_fma_f64 v[88:89], v[20:21], v[8:9], -v[88:89]
	v_fma_f64 v[90:91], v[22:23], v[8:9], v[90:91]
	v_fma_f64 v[106:107], v[20:21], v[12:13], -v[110:111]
	v_fma_f64 v[108:109], v[22:23], v[12:13], v[112:113]
	;; [unrolled: 2-line block ×4, first 2 shown]
	ds_load_b128 v[8:11], v28 offset:96
	v_add_f64 v[1:2], v[1:2], v[84:85]
	v_add_f64 v[70:71], v[70:71], v[92:93]
	;; [unrolled: 1-line block ×8, first 2 shown]
	s_waitcnt lgkmcnt(1)
	v_mul_f64 v[98:99], v[42:43], v[34:35]
	v_mul_f64 v[100:101], v[42:43], v[38:39]
	v_fma_f64 v[68:69], v[46:47], v[54:55], -v[68:69]
	v_fma_f64 v[78:79], v[48:49], v[54:55], v[78:79]
	v_fma_f64 v[46:47], v[46:47], v[58:59], -v[80:81]
	v_fma_f64 v[48:49], v[48:49], v[58:59], v[82:83]
	v_fma_f64 v[80:81], v[50:51], v[54:55], -v[86:87]
	v_fma_f64 v[54:55], v[52:53], v[54:55], v[56:57]
	v_fma_f64 v[50:51], v[50:51], v[58:59], -v[102:103]
	v_fma_f64 v[52:53], v[52:53], v[58:59], v[104:105]
	s_waitcnt lgkmcnt(0)
	v_mul_f64 v[66:67], v[10:11], v[34:35]
	v_mul_f64 v[92:93], v[8:9], v[34:35]
	;; [unrolled: 1-line block ×6, first 2 shown]
	ds_load_b128 v[12:15], v28 offset:112
	ds_load_b128 v[16:19], v28 offset:2160
	;; [unrolled: 1-line block ×4, first 2 shown]
	s_waitcnt lgkmcnt(0)
	s_barrier
	buffer_gl0_inv
	v_add_f64 v[1:2], v[1:2], v[88:89]
	v_add_f64 v[56:57], v[70:71], v[90:91]
	;; [unrolled: 1-line block ×8, first 2 shown]
	v_mul_f64 v[76:77], v[14:15], v[22:23]
	v_mul_f64 v[82:83], v[12:13], v[22:23]
	;; [unrolled: 1-line block ×8, first 2 shown]
	v_fma_f64 v[66:67], v[8:9], v[32:33], -v[66:67]
	v_fma_f64 v[92:93], v[10:11], v[32:33], v[92:93]
	v_fma_f64 v[8:9], v[8:9], v[36:37], -v[94:95]
	v_fma_f64 v[10:11], v[10:11], v[36:37], v[96:97]
	;; [unrolled: 2-line block ×4, first 2 shown]
	v_add_f64 v[1:2], v[1:2], v[68:69]
	v_add_f64 v[38:39], v[56:57], v[78:79]
	;; [unrolled: 1-line block ×8, first 2 shown]
	v_fma_f64 v[52:53], v[12:13], v[20:21], -v[76:77]
	v_fma_f64 v[54:55], v[14:15], v[20:21], v[82:83]
	v_fma_f64 v[12:13], v[12:13], v[60:61], -v[84:85]
	v_fma_f64 v[14:15], v[14:15], v[60:61], v[86:87]
	;; [unrolled: 2-line block ×4, first 2 shown]
	v_add_f64 v[1:2], v[1:2], v[66:67]
	v_add_f64 v[16:17], v[38:39], v[92:93]
	;; [unrolled: 1-line block ×16, first 2 shown]
	s_cbranch_scc1 .LBB912_11
.LBB912_3:                              ; =>This Inner Loop Header: Depth=1
	v_add_nc_u32_e32 v1, s17, v29
	s_delay_alu instid0(VALU_DEP_1) | instskip(SKIP_1) | instid1(SALU_CYCLE_1)
	v_cmp_le_i32_e32 vcc_lo, s9, v1
	s_or_b32 s14, s3, vcc_lo
	s_and_saveexec_b32 s15, s14
	s_delay_alu instid0(SALU_CYCLE_1)
	s_xor_b32 s14, exec_lo, s15
	s_cbranch_execz .LBB912_5
; %bb.4:                                ;   in Loop: Header=BB912_3 Depth=1
	v_mov_b32_e32 v1, v0
	v_mov_b32_e32 v2, v0
	v_mov_b32_e32 v3, v0
	ds_store_b128 v30, v[0:3]
.LBB912_5:                              ;   in Loop: Header=BB912_3 Depth=1
	s_and_not1_saveexec_b32 s14, s14
	s_cbranch_execz .LBB912_7
; %bb.6:                                ;   in Loop: Header=BB912_3 Depth=1
	global_load_b128 v[32:35], v[4:5], off
	s_waitcnt vmcnt(0)
	ds_store_2addr_b64 v30, v[32:33], v[34:35] offset1:1
.LBB912_7:                              ;   in Loop: Header=BB912_3 Depth=1
	s_or_b32 exec_lo, exec_lo, s14
	v_add_nc_u32_e32 v1, s17, v26
	s_delay_alu instid0(VALU_DEP_1) | instskip(SKIP_1) | instid1(SALU_CYCLE_1)
	v_cmp_le_i32_e32 vcc_lo, s9, v1
	s_or_b32 s14, vcc_lo, s2
	s_and_saveexec_b32 s15, s14
	s_delay_alu instid0(SALU_CYCLE_1)
	s_xor_b32 s14, exec_lo, s15
	s_cbranch_execz .LBB912_9
; %bb.8:                                ;   in Loop: Header=BB912_3 Depth=1
	v_mov_b32_e32 v1, v0
	v_mov_b32_e32 v2, v0
	;; [unrolled: 1-line block ×3, first 2 shown]
	ds_store_b128 v31, v[0:3]
.LBB912_9:                              ;   in Loop: Header=BB912_3 Depth=1
	s_and_not1_saveexec_b32 s14, s14
	s_cbranch_execz .LBB912_2
; %bb.10:                               ;   in Loop: Header=BB912_3 Depth=1
	global_load_b128 v[32:35], v[6:7], off
	s_waitcnt vmcnt(0)
	ds_store_2addr_b64 v31, v[32:33], v[34:35] offset1:1
	s_branch .LBB912_2
.LBB912_11:
	s_load_b32 s2, s[0:1], 0x60
	v_add_nc_u32_e32 v4, s13, v25
	v_add_nc_u32_e32 v0, s12, v24
	s_delay_alu instid0(VALU_DEP_2) | instskip(NEXT) | instid1(VALU_DEP_2)
	v_cmp_gt_i32_e32 vcc_lo, s8, v4
	v_cmp_le_i32_e64 s0, v0, v4
	s_delay_alu instid0(VALU_DEP_1) | instskip(SKIP_2) | instid1(VALU_DEP_1)
	s_and_b32 s0, vcc_lo, s0
	s_waitcnt lgkmcnt(0)
	v_mad_i64_i32 v[1:2], null, v4, s2, 0
	v_lshlrev_b64 v[1:2], 4, v[1:2]
	s_delay_alu instid0(VALU_DEP_1) | instskip(NEXT) | instid1(VALU_DEP_1)
	v_add_co_u32 v5, s1, s10, v1
	v_add_co_ci_u32_e64 v6, s1, s11, v2, s1
	s_and_saveexec_b32 s3, s0
	s_cbranch_execz .LBB912_13
; %bb.12:
	v_mul_f64 v[1:2], s[4:5], v[22:23]
	v_mul_f64 v[22:23], s[6:7], v[22:23]
	v_cmp_ne_u32_e64 s0, v4, v0
	s_delay_alu instid0(VALU_DEP_3) | instskip(NEXT) | instid1(VALU_DEP_3)
	v_fma_f64 v[2:3], s[6:7], v[20:21], v[1:2]
	v_fma_f64 v[20:21], s[4:5], v[20:21], -v[22:23]
	v_ashrrev_i32_e32 v1, 31, v0
	s_delay_alu instid0(VALU_DEP_1) | instskip(NEXT) | instid1(VALU_DEP_1)
	v_lshlrev_b64 v[22:23], 4, v[0:1]
	v_add_co_u32 v24, s1, v5, v22
	s_delay_alu instid0(VALU_DEP_1)
	v_add_co_ci_u32_e64 v25, s1, v6, v23, s1
	v_cndmask_b32_e64 v23, 0, v3, s0
	v_cndmask_b32_e64 v22, 0, v2, s0
	global_store_b128 v[24:25], v[20:23], off
.LBB912_13:
	s_or_b32 exec_lo, exec_lo, s3
	v_add_nc_u32_e32 v2, 16, v0
	s_delay_alu instid0(VALU_DEP_1) | instskip(NEXT) | instid1(VALU_DEP_1)
	v_cmp_le_i32_e64 s0, v2, v4
	s_and_b32 s0, vcc_lo, s0
	s_delay_alu instid0(SALU_CYCLE_1)
	s_and_saveexec_b32 s1, s0
	s_cbranch_execz .LBB912_15
; %bb.14:
	v_mul_f64 v[20:21], s[4:5], v[18:19]
	v_mul_f64 v[18:19], s[6:7], v[18:19]
	v_ashrrev_i32_e32 v3, 31, v2
	v_cmp_ne_u32_e32 vcc_lo, v4, v2
	s_delay_alu instid0(VALU_DEP_4) | instskip(NEXT) | instid1(VALU_DEP_4)
	v_fma_f64 v[20:21], s[6:7], v[16:17], v[20:21]
	v_fma_f64 v[16:17], s[4:5], v[16:17], -v[18:19]
	s_delay_alu instid0(VALU_DEP_4) | instskip(NEXT) | instid1(VALU_DEP_1)
	v_lshlrev_b64 v[18:19], 4, v[2:3]
	v_add_co_u32 v5, s0, v5, v18
	s_delay_alu instid0(VALU_DEP_1)
	v_add_co_ci_u32_e64 v6, s0, v6, v19, s0
	v_dual_cndmask_b32 v19, 0, v21 :: v_dual_cndmask_b32 v18, 0, v20
	global_store_b128 v[5:6], v[16:19], off
.LBB912_15:
	s_or_b32 exec_lo, exec_lo, s1
	v_add_nc_u32_e32 v3, 16, v4
	s_delay_alu instid0(VALU_DEP_1) | instskip(SKIP_2) | instid1(VALU_DEP_1)
	v_mad_i64_i32 v[5:6], null, v3, s2, 0
	v_cmp_gt_i32_e32 vcc_lo, s8, v3
	v_cmp_le_i32_e64 s0, v0, v3
	s_and_b32 s0, vcc_lo, s0
	s_delay_alu instid0(VALU_DEP_3) | instskip(NEXT) | instid1(VALU_DEP_1)
	v_lshlrev_b64 v[5:6], 4, v[5:6]
	v_add_co_u32 v5, s1, s10, v5
	s_delay_alu instid0(VALU_DEP_1)
	v_add_co_ci_u32_e64 v6, s1, s11, v6, s1
	s_and_saveexec_b32 s2, s0
	s_cbranch_execz .LBB912_17
; %bb.16:
	v_mul_f64 v[16:17], s[4:5], v[14:15]
	v_mul_f64 v[14:15], s[6:7], v[14:15]
	v_ashrrev_i32_e32 v1, 31, v0
	v_cmp_ne_u32_e64 s0, v3, v0
	s_delay_alu instid0(VALU_DEP_4) | instskip(NEXT) | instid1(VALU_DEP_4)
	v_fma_f64 v[16:17], s[6:7], v[12:13], v[16:17]
	v_fma_f64 v[12:13], s[4:5], v[12:13], -v[14:15]
	s_delay_alu instid0(VALU_DEP_4) | instskip(NEXT) | instid1(VALU_DEP_1)
	v_lshlrev_b64 v[14:15], 4, v[0:1]
	v_add_co_u32 v18, s1, v5, v14
	s_delay_alu instid0(VALU_DEP_1)
	v_add_co_ci_u32_e64 v19, s1, v6, v15, s1
	v_cndmask_b32_e64 v15, 0, v17, s0
	v_cndmask_b32_e64 v14, 0, v16, s0
	global_store_b128 v[18:19], v[12:15], off
.LBB912_17:
	s_or_b32 exec_lo, exec_lo, s2
	v_cmp_le_i32_e64 s0, v2, v3
	s_delay_alu instid0(VALU_DEP_1) | instskip(NEXT) | instid1(SALU_CYCLE_1)
	s_and_b32 s0, vcc_lo, s0
	s_and_saveexec_b32 s1, s0
	s_cbranch_execz .LBB912_19
; %bb.18:
	v_mul_f64 v[12:13], s[4:5], v[8:9]
	v_mul_f64 v[7:8], s[6:7], v[8:9]
	v_ashrrev_i32_e32 v3, 31, v2
	v_cmp_ne_u32_e32 vcc_lo, v4, v0
	s_delay_alu instid0(VALU_DEP_2) | instskip(NEXT) | instid1(VALU_DEP_1)
	v_lshlrev_b64 v[1:2], 4, v[2:3]
	v_add_co_u32 v0, s0, v5, v1
	s_delay_alu instid0(VALU_DEP_1) | instskip(SKIP_2) | instid1(VALU_DEP_2)
	v_add_co_ci_u32_e64 v1, s0, v6, v2, s0
	v_fma_f64 v[12:13], s[6:7], v[10:11], v[12:13]
	v_fma_f64 v[7:8], s[4:5], v[10:11], -v[7:8]
	v_dual_cndmask_b32 v10, 0, v13 :: v_dual_cndmask_b32 v9, 0, v12
	global_store_b128 v[0:1], v[7:10], off
.LBB912_19:
	s_nop 0
	s_sendmsg sendmsg(MSG_DEALLOC_VGPRS)
	s_endpgm
	.section	.rodata,"a",@progbits
	.p2align	6, 0x0
	.amdhsa_kernel _ZL34rocblas_syrkx_herkx_general_kernelIi19rocblas_complex_numIdELi16ELi32ELi8ELb1ELb1ELc84ELc85EKPKS1_KPS1_EviT_T0_PT8_S7_lSA_S7_lS8_PT9_S7_li
		.amdhsa_group_segment_fixed_size 8192
		.amdhsa_private_segment_fixed_size 0
		.amdhsa_kernarg_size 116
		.amdhsa_user_sgpr_count 13
		.amdhsa_user_sgpr_dispatch_ptr 0
		.amdhsa_user_sgpr_queue_ptr 0
		.amdhsa_user_sgpr_kernarg_segment_ptr 1
		.amdhsa_user_sgpr_dispatch_id 0
		.amdhsa_user_sgpr_private_segment_size 0
		.amdhsa_wavefront_size32 1
		.amdhsa_uses_dynamic_stack 0
		.amdhsa_enable_private_segment 0
		.amdhsa_system_sgpr_workgroup_id_x 1
		.amdhsa_system_sgpr_workgroup_id_y 1
		.amdhsa_system_sgpr_workgroup_id_z 1
		.amdhsa_system_sgpr_workgroup_info 0
		.amdhsa_system_vgpr_workitem_id 1
		.amdhsa_next_free_vgpr 120
		.amdhsa_next_free_sgpr 21
		.amdhsa_reserve_vcc 1
		.amdhsa_float_round_mode_32 0
		.amdhsa_float_round_mode_16_64 0
		.amdhsa_float_denorm_mode_32 3
		.amdhsa_float_denorm_mode_16_64 3
		.amdhsa_dx10_clamp 1
		.amdhsa_ieee_mode 1
		.amdhsa_fp16_overflow 0
		.amdhsa_workgroup_processor_mode 1
		.amdhsa_memory_ordered 1
		.amdhsa_forward_progress 0
		.amdhsa_shared_vgpr_count 0
		.amdhsa_exception_fp_ieee_invalid_op 0
		.amdhsa_exception_fp_denorm_src 0
		.amdhsa_exception_fp_ieee_div_zero 0
		.amdhsa_exception_fp_ieee_overflow 0
		.amdhsa_exception_fp_ieee_underflow 0
		.amdhsa_exception_fp_ieee_inexact 0
		.amdhsa_exception_int_div_zero 0
	.end_amdhsa_kernel
	.section	.text._ZL34rocblas_syrkx_herkx_general_kernelIi19rocblas_complex_numIdELi16ELi32ELi8ELb1ELb1ELc84ELc85EKPKS1_KPS1_EviT_T0_PT8_S7_lSA_S7_lS8_PT9_S7_li,"axG",@progbits,_ZL34rocblas_syrkx_herkx_general_kernelIi19rocblas_complex_numIdELi16ELi32ELi8ELb1ELb1ELc84ELc85EKPKS1_KPS1_EviT_T0_PT8_S7_lSA_S7_lS8_PT9_S7_li,comdat
.Lfunc_end912:
	.size	_ZL34rocblas_syrkx_herkx_general_kernelIi19rocblas_complex_numIdELi16ELi32ELi8ELb1ELb1ELc84ELc85EKPKS1_KPS1_EviT_T0_PT8_S7_lSA_S7_lS8_PT9_S7_li, .Lfunc_end912-_ZL34rocblas_syrkx_herkx_general_kernelIi19rocblas_complex_numIdELi16ELi32ELi8ELb1ELb1ELc84ELc85EKPKS1_KPS1_EviT_T0_PT8_S7_lSA_S7_lS8_PT9_S7_li
                                        ; -- End function
	.section	.AMDGPU.csdata,"",@progbits
; Kernel info:
; codeLenInByte = 3256
; NumSgprs: 23
; NumVgprs: 120
; ScratchSize: 0
; MemoryBound: 0
; FloatMode: 240
; IeeeMode: 1
; LDSByteSize: 8192 bytes/workgroup (compile time only)
; SGPRBlocks: 2
; VGPRBlocks: 14
; NumSGPRsForWavesPerEU: 23
; NumVGPRsForWavesPerEU: 120
; Occupancy: 12
; WaveLimiterHint : 1
; COMPUTE_PGM_RSRC2:SCRATCH_EN: 0
; COMPUTE_PGM_RSRC2:USER_SGPR: 13
; COMPUTE_PGM_RSRC2:TRAP_HANDLER: 0
; COMPUTE_PGM_RSRC2:TGID_X_EN: 1
; COMPUTE_PGM_RSRC2:TGID_Y_EN: 1
; COMPUTE_PGM_RSRC2:TGID_Z_EN: 1
; COMPUTE_PGM_RSRC2:TIDIG_COMP_CNT: 1
	.section	.text._ZL34rocblas_syrkx_herkx_general_kernelIi19rocblas_complex_numIdELi16ELi32ELi8ELb1ELb1ELc67ELc85EKPKS1_KPS1_EviT_T0_PT8_S7_lSA_S7_lS8_PT9_S7_li,"axG",@progbits,_ZL34rocblas_syrkx_herkx_general_kernelIi19rocblas_complex_numIdELi16ELi32ELi8ELb1ELb1ELc67ELc85EKPKS1_KPS1_EviT_T0_PT8_S7_lSA_S7_lS8_PT9_S7_li,comdat
	.globl	_ZL34rocblas_syrkx_herkx_general_kernelIi19rocblas_complex_numIdELi16ELi32ELi8ELb1ELb1ELc67ELc85EKPKS1_KPS1_EviT_T0_PT8_S7_lSA_S7_lS8_PT9_S7_li ; -- Begin function _ZL34rocblas_syrkx_herkx_general_kernelIi19rocblas_complex_numIdELi16ELi32ELi8ELb1ELb1ELc67ELc85EKPKS1_KPS1_EviT_T0_PT8_S7_lSA_S7_lS8_PT9_S7_li
	.p2align	8
	.type	_ZL34rocblas_syrkx_herkx_general_kernelIi19rocblas_complex_numIdELi16ELi32ELi8ELb1ELb1ELc67ELc85EKPKS1_KPS1_EviT_T0_PT8_S7_lSA_S7_lS8_PT9_S7_li,@function
_ZL34rocblas_syrkx_herkx_general_kernelIi19rocblas_complex_numIdELi16ELi32ELi8ELb1ELb1ELc67ELc85EKPKS1_KPS1_EviT_T0_PT8_S7_lSA_S7_lS8_PT9_S7_li: ; @_ZL34rocblas_syrkx_herkx_general_kernelIi19rocblas_complex_numIdELi16ELi32ELi8ELb1ELb1ELc67ELc85EKPKS1_KPS1_EviT_T0_PT8_S7_lSA_S7_lS8_PT9_S7_li
; %bb.0:
	s_clause 0x2
	s_load_b64 s[4:5], s[0:1], 0x58
	s_load_b64 s[18:19], s[0:1], 0x18
	;; [unrolled: 1-line block ×3, first 2 shown]
	s_mov_b32 s16, s15
	s_mov_b32 s17, 0
	v_mov_b32_e32 v23, 0
	s_lshl_b64 s[2:3], s[16:17], 3
	v_dual_mov_b32 v24, 0 :: v_dual_and_b32 v27, 0x3ff, v0
	v_bfe_u32 v28, v0, 10, 10
	s_delay_alu instid0(VALU_DEP_3) | instskip(NEXT) | instid1(VALU_DEP_3)
	v_mov_b32_e32 v19, v23
	v_dual_mov_b32 v21, v23 :: v_dual_mov_b32 v22, v24
	v_dual_mov_b32 v26, v24 :: v_dual_mov_b32 v25, v23
	v_dual_mov_b32 v20, v24 :: v_dual_mov_b32 v15, v23
	v_dual_mov_b32 v16, v24 :: v_dual_mov_b32 v17, v23
	v_mov_b32_e32 v18, v24
	s_waitcnt lgkmcnt(0)
	s_add_u32 s10, s4, s2
	s_addc_u32 s11, s5, s3
	s_load_b128 s[4:7], s[0:1], 0x8
	s_load_b64 s[10:11], s[10:11], 0x0
	v_dual_mov_b32 v11, v23 :: v_dual_mov_b32 v12, v24
	v_dual_mov_b32 v13, v23 :: v_dual_mov_b32 v14, v24
	s_lshl_b32 s12, s13, 5
	s_lshl_b32 s13, s14, 5
	s_cmp_lt_i32 s9, 1
	s_cbranch_scc1 .LBB913_9
; %bb.1:
	s_clause 0x1
	s_load_b64 s[14:15], s[0:1], 0x30
	s_load_b32 s16, s[0:1], 0x20
	v_lshl_add_u32 v0, v28, 4, v27
	s_load_b32 s20, s[0:1], 0x38
	v_dual_mov_b32 v5, 0 :: v_dual_lshlrev_b32 v30, 4, v27
	v_dual_mov_b32 v6, 0 :: v_dual_and_b32 v29, 7, v27
	s_delay_alu instid0(VALU_DEP_3) | instskip(SKIP_2) | instid1(VALU_DEP_4)
	v_and_b32_e32 v2, 31, v0
	v_lshrrev_b32_e32 v3, 3, v0
	v_lshrrev_b32_e32 v32, 5, v0
	v_lshlrev_b32_e32 v4, 4, v29
	v_dual_mov_b32 v14, v6 :: v_dual_mov_b32 v13, v5
	v_add_nc_u32_e32 v7, s12, v2
	v_add_nc_u32_e32 v8, s13, v3
	v_mov_b32_e32 v12, v6
	v_mov_b32_e32 v18, v6
	v_dual_mov_b32 v16, v6 :: v_dual_mov_b32 v11, v5
	s_waitcnt lgkmcnt(0)
	s_add_u32 s14, s14, s2
	s_addc_u32 s15, s15, s3
	s_add_u32 s2, s18, s2
	s_addc_u32 s3, s19, s3
	v_mad_i64_i32 v[0:1], null, s16, v7, 0
	s_load_b64 s[18:19], s[2:3], 0x0
	v_or_b32_e32 v7, s12, v2
	v_dual_mov_b32 v17, v5 :: v_dual_lshlrev_b32 v2, 4, v2
	v_lshl_or_b32 v9, v3, 7, v4
	s_load_b64 s[14:15], s[14:15], 0x0
	s_delay_alu instid0(VALU_DEP_4) | instskip(NEXT) | instid1(VALU_DEP_3)
	v_lshlrev_b64 v[0:1], 4, v[0:1]
	v_lshl_or_b32 v33, v32, 9, v2
	v_mov_b32_e32 v15, v5
	v_mad_i64_i32 v[2:3], null, s20, v8, 0
	v_lshlrev_b32_e32 v10, 4, v32
	v_dual_mov_b32 v22, v6 :: v_dual_mov_b32 v21, v5
	v_cmp_gt_i32_e32 vcc_lo, s8, v7
	v_cmp_gt_i32_e64 s2, s8, v8
	s_delay_alu instid0(VALU_DEP_4) | instskip(NEXT) | instid1(VALU_DEP_1)
	v_add_co_u32 v7, s3, v0, v10
	v_add_co_ci_u32_e64 v8, s3, 0, v1, s3
	v_lshlrev_b64 v[0:1], 4, v[2:3]
	s_waitcnt lgkmcnt(0)
	s_delay_alu instid0(VALU_DEP_3) | instskip(NEXT) | instid1(VALU_DEP_1)
	v_add_co_u32 v2, s3, v7, s18
	v_add_co_ci_u32_e64 v3, s3, s19, v8, s3
	v_add_nc_u32_e32 v34, 0x1000, v9
	s_delay_alu instid0(VALU_DEP_4) | instskip(NEXT) | instid1(VALU_DEP_1)
	v_add_co_u32 v0, s3, v0, v4
	v_add_co_ci_u32_e64 v1, s3, 0, v1, s3
	v_add_co_u32 v7, s3, v2, 8
	s_delay_alu instid0(VALU_DEP_1) | instskip(NEXT) | instid1(VALU_DEP_4)
	v_add_co_ci_u32_e64 v8, s3, 0, v3, s3
	v_add_co_u32 v9, s3, s14, v0
	v_dual_mov_b32 v20, v6 :: v_dual_mov_b32 v19, v5
	v_mov_b32_e32 v26, v6
	v_mov_b32_e32 v24, v6
	v_lshl_add_u32 v31, v28, 7, 0x1000
	v_add_co_ci_u32_e64 v10, s3, s15, v1, s3
	v_dual_mov_b32 v0, 0 :: v_dual_mov_b32 v25, v5
	v_mov_b32_e32 v23, v5
	s_xor_b32 s3, s2, -1
	s_branch .LBB913_3
.LBB913_2:                              ;   in Loop: Header=BB913_3 Depth=1
	s_or_b32 exec_lo, exec_lo, s2
	s_waitcnt lgkmcnt(0)
	s_barrier
	buffer_gl0_inv
	ds_load_b128 v[1:4], v31
	ds_load_b128 v[35:38], v30
	ds_load_b128 v[39:42], v30 offset:256
	ds_load_b128 v[43:46], v31 offset:2048
	;; [unrolled: 1-line block ×9, first 2 shown]
	v_add_co_u32 v7, s2, 0x80, v7
	s_delay_alu instid0(VALU_DEP_1) | instskip(SKIP_1) | instid1(VALU_DEP_1)
	v_add_co_ci_u32_e64 v8, s2, 0, v8, s2
	v_add_co_u32 v9, s2, 0x80, v9
	v_add_co_ci_u32_e64 v10, s2, 0, v10, s2
	s_add_i32 s17, s17, 8
	s_delay_alu instid0(SALU_CYCLE_1)
	s_cmp_ge_i32 s17, s9
	s_waitcnt lgkmcnt(9)
	v_mul_f64 v[75:76], v[3:4], v[37:38]
	v_mul_f64 v[77:78], v[1:2], v[37:38]
	s_waitcnt lgkmcnt(8)
	v_mul_f64 v[79:80], v[3:4], v[41:42]
	v_mul_f64 v[81:82], v[1:2], v[41:42]
	;; [unrolled: 3-line block ×3, first 2 shown]
	v_mul_f64 v[85:86], v[45:46], v[41:42]
	v_mul_f64 v[41:42], v[43:44], v[41:42]
	s_waitcnt lgkmcnt(4)
	v_mul_f64 v[87:88], v[49:50], v[57:58]
	v_mul_f64 v[89:90], v[47:48], v[57:58]
	s_waitcnt lgkmcnt(3)
	v_mul_f64 v[91:92], v[49:50], v[61:62]
	v_mul_f64 v[93:94], v[47:48], v[61:62]
	;; [unrolled: 1-line block ×6, first 2 shown]
	s_waitcnt lgkmcnt(0)
	v_mul_f64 v[115:116], v[73:74], v[65:66]
	v_mul_f64 v[117:118], v[73:74], v[69:70]
	v_fma_f64 v[99:100], v[1:2], v[35:36], -v[75:76]
	v_fma_f64 v[101:102], v[3:4], v[35:36], v[77:78]
	v_fma_f64 v[79:80], v[1:2], v[39:40], -v[79:80]
	v_fma_f64 v[81:82], v[3:4], v[39:40], v[81:82]
	;; [unrolled: 2-line block ×4, first 2 shown]
	ds_load_b128 v[75:78], v31 offset:32
	v_fma_f64 v[87:88], v[47:48], v[55:56], -v[87:88]
	v_fma_f64 v[89:90], v[49:50], v[55:56], v[89:90]
	v_fma_f64 v[47:48], v[47:48], v[59:60], -v[91:92]
	v_fma_f64 v[49:50], v[49:50], v[59:60], v[93:94]
	;; [unrolled: 2-line block ×4, first 2 shown]
	ds_load_b128 v[1:4], v31 offset:48
	ds_load_b128 v[35:38], v31 offset:2096
	;; [unrolled: 1-line block ×4, first 2 shown]
	s_waitcnt lgkmcnt(4)
	v_mul_f64 v[107:108], v[77:78], v[65:66]
	v_mul_f64 v[109:110], v[75:76], v[65:66]
	;; [unrolled: 1-line block ×6, first 2 shown]
	s_waitcnt lgkmcnt(1)
	v_mul_f64 v[93:94], v[1:2], v[41:42]
	s_waitcnt lgkmcnt(0)
	v_mul_f64 v[95:96], v[3:4], v[45:46]
	v_add_f64 v[23:24], v[23:24], v[99:100]
	v_add_f64 v[25:26], v[25:26], v[101:102]
	;; [unrolled: 1-line block ×8, first 2 shown]
	v_mul_f64 v[85:86], v[3:4], v[41:42]
	v_mul_f64 v[97:98], v[1:2], v[45:46]
	;; [unrolled: 1-line block ×6, first 2 shown]
	ds_load_b128 v[11:14], v30 offset:2048
	ds_load_b128 v[15:18], v30 offset:2304
	ds_load_b128 v[19:22], v31 offset:2112
	v_fma_f64 v[105:106], v[75:76], v[63:64], -v[107:108]
	v_fma_f64 v[107:108], v[77:78], v[63:64], v[109:110]
	v_fma_f64 v[75:76], v[75:76], v[67:68], -v[111:112]
	v_fma_f64 v[77:78], v[77:78], v[67:68], v[113:114]
	;; [unrolled: 2-line block ×4, first 2 shown]
	s_waitcnt lgkmcnt(0)
	v_mul_f64 v[115:116], v[21:22], v[13:14]
	v_mul_f64 v[117:118], v[21:22], v[17:18]
	v_add_f64 v[69:70], v[23:24], v[87:88]
	v_add_f64 v[71:72], v[25:26], v[89:90]
	;; [unrolled: 1-line block ×8, first 2 shown]
	ds_load_b128 v[23:26], v31 offset:64
	v_fma_f64 v[85:86], v[1:2], v[39:40], -v[85:86]
	v_fma_f64 v[93:94], v[3:4], v[39:40], v[93:94]
	v_fma_f64 v[95:96], v[1:2], v[43:44], -v[95:96]
	v_fma_f64 v[97:98], v[3:4], v[43:44], v[97:98]
	;; [unrolled: 2-line block ×4, first 2 shown]
	ds_load_b128 v[45:48], v31 offset:80
	ds_load_b128 v[49:52], v31 offset:2128
	ds_load_b128 v[53:56], v30 offset:2560
	ds_load_b128 v[57:60], v30 offset:2816
	ds_load_b128 v[1:4], v30 offset:3072
	ds_load_b128 v[35:38], v30 offset:3328
	ds_load_b128 v[39:42], v31 offset:2144
	s_waitcnt lgkmcnt(7)
	v_mul_f64 v[89:90], v[25:26], v[13:14]
	v_mul_f64 v[91:92], v[23:24], v[13:14]
	;; [unrolled: 1-line block ×6, first 2 shown]
	s_waitcnt lgkmcnt(3)
	v_mul_f64 v[103:104], v[51:52], v[59:60]
	v_add_f64 v[69:70], v[69:70], v[105:106]
	v_add_f64 v[71:72], v[71:72], v[107:108]
	;; [unrolled: 1-line block ×8, first 2 shown]
	v_mul_f64 v[77:78], v[47:48], v[55:56]
	v_mul_f64 v[79:80], v[45:46], v[55:56]
	;; [unrolled: 1-line block ×7, first 2 shown]
	v_fma_f64 v[89:90], v[23:24], v[11:12], -v[89:90]
	v_fma_f64 v[91:92], v[25:26], v[11:12], v[91:92]
	v_fma_f64 v[107:108], v[23:24], v[15:16], -v[111:112]
	v_fma_f64 v[109:110], v[25:26], v[15:16], v[113:114]
	;; [unrolled: 2-line block ×4, first 2 shown]
	ds_load_b128 v[11:14], v31 offset:96
	v_add_f64 v[69:70], v[69:70], v[85:86]
	v_add_f64 v[71:72], v[71:72], v[93:94]
	;; [unrolled: 1-line block ×8, first 2 shown]
	s_waitcnt lgkmcnt(1)
	v_mul_f64 v[99:100], v[41:42], v[3:4]
	v_mul_f64 v[101:102], v[41:42], v[37:38]
	v_fma_f64 v[77:78], v[45:46], v[53:54], -v[77:78]
	v_fma_f64 v[79:80], v[47:48], v[53:54], v[79:80]
	v_fma_f64 v[45:46], v[45:46], v[57:58], -v[81:82]
	v_fma_f64 v[47:48], v[47:48], v[57:58], v[83:84]
	;; [unrolled: 2-line block ×4, first 2 shown]
	s_waitcnt lgkmcnt(0)
	v_mul_f64 v[67:68], v[13:14], v[3:4]
	v_mul_f64 v[93:94], v[11:12], v[3:4]
	;; [unrolled: 1-line block ×6, first 2 shown]
	ds_load_b128 v[15:18], v31 offset:112
	ds_load_b128 v[19:22], v31 offset:2160
	;; [unrolled: 1-line block ×4, first 2 shown]
	s_waitcnt lgkmcnt(0)
	s_barrier
	buffer_gl0_inv
	v_add_f64 v[55:56], v[69:70], v[89:90]
	v_add_f64 v[57:58], v[71:72], v[91:92]
	;; [unrolled: 1-line block ×8, first 2 shown]
	v_mul_f64 v[75:76], v[17:18], v[25:26]
	v_mul_f64 v[83:84], v[15:16], v[25:26]
	;; [unrolled: 1-line block ×8, first 2 shown]
	v_fma_f64 v[67:68], v[11:12], v[1:2], -v[67:68]
	v_fma_f64 v[93:94], v[13:14], v[1:2], v[93:94]
	v_fma_f64 v[11:12], v[11:12], v[35:36], -v[95:96]
	v_fma_f64 v[13:14], v[13:14], v[35:36], v[97:98]
	;; [unrolled: 2-line block ×4, first 2 shown]
	v_add_f64 v[37:38], v[55:56], v[77:78]
	v_add_f64 v[39:40], v[57:58], v[79:80]
	;; [unrolled: 1-line block ×8, first 2 shown]
	v_fma_f64 v[51:52], v[15:16], v[23:24], -v[75:76]
	v_fma_f64 v[55:56], v[17:18], v[23:24], v[83:84]
	v_fma_f64 v[15:16], v[15:16], v[59:60], -v[85:86]
	v_fma_f64 v[17:18], v[17:18], v[59:60], v[87:88]
	;; [unrolled: 2-line block ×4, first 2 shown]
	v_add_f64 v[19:20], v[37:38], v[67:68]
	v_add_f64 v[21:22], v[39:40], v[93:94]
	;; [unrolled: 1-line block ×16, first 2 shown]
	s_cbranch_scc1 .LBB913_9
.LBB913_3:                              ; =>This Inner Loop Header: Depth=1
	v_add_nc_u32_e32 v1, s17, v32
	v_dual_mov_b32 v3, v5 :: v_dual_mov_b32 v4, v6
	s_delay_alu instid0(VALU_DEP_2) | instskip(SKIP_1) | instid1(VALU_DEP_2)
	v_cmp_gt_i32_e64 s2, s9, v1
	v_dual_mov_b32 v1, v5 :: v_dual_mov_b32 v2, v6
	s_and_b32 s14, vcc_lo, s2
	s_delay_alu instid0(SALU_CYCLE_1)
	s_and_saveexec_b32 s2, s14
	s_cbranch_execz .LBB913_5
; %bb.4:                                ;   in Loop: Header=BB913_3 Depth=1
	global_load_b128 v[1:4], v[7:8], off offset:-8
	s_waitcnt vmcnt(0)
	v_xor_b32_e32 v4, 0x80000000, v4
.LBB913_5:                              ;   in Loop: Header=BB913_3 Depth=1
	s_or_b32 exec_lo, exec_lo, s2
	v_add_nc_u32_e32 v35, s17, v29
	ds_store_b128 v33, v[1:4]
	v_cmp_le_i32_e64 s2, s9, v35
	s_delay_alu instid0(VALU_DEP_1) | instskip(NEXT) | instid1(SALU_CYCLE_1)
	s_or_b32 s2, s2, s3
	s_and_saveexec_b32 s14, s2
	s_delay_alu instid0(SALU_CYCLE_1)
	s_xor_b32 s2, exec_lo, s14
	s_cbranch_execz .LBB913_7
; %bb.6:                                ;   in Loop: Header=BB913_3 Depth=1
	v_mov_b32_e32 v1, v0
	v_mov_b32_e32 v2, v0
	;; [unrolled: 1-line block ×3, first 2 shown]
	ds_store_b128 v34, v[0:3]
.LBB913_7:                              ;   in Loop: Header=BB913_3 Depth=1
	s_and_not1_saveexec_b32 s2, s2
	s_cbranch_execz .LBB913_2
; %bb.8:                                ;   in Loop: Header=BB913_3 Depth=1
	global_load_b128 v[1:4], v[9:10], off
	s_waitcnt vmcnt(0)
	ds_store_2addr_b64 v34, v[1:2], v[3:4] offset1:1
	s_branch .LBB913_2
.LBB913_9:
	s_load_b32 s2, s[0:1], 0x60
	v_add_nc_u32_e32 v4, s13, v28
	v_add_nc_u32_e32 v0, s12, v27
	s_delay_alu instid0(VALU_DEP_2) | instskip(NEXT) | instid1(VALU_DEP_2)
	v_cmp_gt_i32_e32 vcc_lo, s8, v4
	v_cmp_le_i32_e64 s0, v0, v4
	s_delay_alu instid0(VALU_DEP_1) | instskip(SKIP_2) | instid1(VALU_DEP_1)
	s_and_b32 s0, vcc_lo, s0
	s_waitcnt lgkmcnt(0)
	v_mad_i64_i32 v[1:2], null, v4, s2, 0
	v_lshlrev_b64 v[1:2], 4, v[1:2]
	s_delay_alu instid0(VALU_DEP_1) | instskip(NEXT) | instid1(VALU_DEP_1)
	v_add_co_u32 v5, s1, s10, v1
	v_add_co_ci_u32_e64 v6, s1, s11, v2, s1
	s_and_saveexec_b32 s3, s0
	s_cbranch_execz .LBB913_11
; %bb.10:
	v_mul_f64 v[1:2], s[4:5], v[25:26]
	v_mul_f64 v[7:8], s[6:7], v[25:26]
	v_cmp_ne_u32_e64 s0, v4, v0
	s_delay_alu instid0(VALU_DEP_3) | instskip(NEXT) | instid1(VALU_DEP_3)
	v_fma_f64 v[2:3], s[6:7], v[23:24], v[1:2]
	v_fma_f64 v[7:8], s[4:5], v[23:24], -v[7:8]
	v_ashrrev_i32_e32 v1, 31, v0
	s_delay_alu instid0(VALU_DEP_1) | instskip(NEXT) | instid1(VALU_DEP_1)
	v_lshlrev_b64 v[9:10], 4, v[0:1]
	v_add_co_u32 v23, s1, v5, v9
	s_delay_alu instid0(VALU_DEP_1)
	v_add_co_ci_u32_e64 v24, s1, v6, v10, s1
	v_cndmask_b32_e64 v10, 0, v3, s0
	v_cndmask_b32_e64 v9, 0, v2, s0
	global_store_b128 v[23:24], v[7:10], off
.LBB913_11:
	s_or_b32 exec_lo, exec_lo, s3
	v_add_nc_u32_e32 v2, 16, v0
	s_delay_alu instid0(VALU_DEP_1) | instskip(NEXT) | instid1(VALU_DEP_1)
	v_cmp_le_i32_e64 s0, v2, v4
	s_and_b32 s0, vcc_lo, s0
	s_delay_alu instid0(SALU_CYCLE_1)
	s_and_saveexec_b32 s1, s0
	s_cbranch_execz .LBB913_13
; %bb.12:
	v_mul_f64 v[7:8], s[4:5], v[21:22]
	v_mul_f64 v[9:10], s[6:7], v[21:22]
	v_ashrrev_i32_e32 v3, 31, v2
	v_cmp_ne_u32_e32 vcc_lo, v4, v2
	s_delay_alu instid0(VALU_DEP_4) | instskip(NEXT) | instid1(VALU_DEP_4)
	v_fma_f64 v[21:22], s[6:7], v[19:20], v[7:8]
	v_fma_f64 v[7:8], s[4:5], v[19:20], -v[9:10]
	s_delay_alu instid0(VALU_DEP_4) | instskip(NEXT) | instid1(VALU_DEP_1)
	v_lshlrev_b64 v[9:10], 4, v[2:3]
	v_add_co_u32 v5, s0, v5, v9
	s_delay_alu instid0(VALU_DEP_1)
	v_add_co_ci_u32_e64 v6, s0, v6, v10, s0
	v_dual_cndmask_b32 v10, 0, v22 :: v_dual_cndmask_b32 v9, 0, v21
	global_store_b128 v[5:6], v[7:10], off
.LBB913_13:
	s_or_b32 exec_lo, exec_lo, s1
	v_add_nc_u32_e32 v3, 16, v4
	s_delay_alu instid0(VALU_DEP_1) | instskip(SKIP_2) | instid1(VALU_DEP_1)
	v_mad_i64_i32 v[5:6], null, v3, s2, 0
	v_cmp_gt_i32_e32 vcc_lo, s8, v3
	v_cmp_le_i32_e64 s0, v0, v3
	s_and_b32 s0, vcc_lo, s0
	s_delay_alu instid0(VALU_DEP_3) | instskip(NEXT) | instid1(VALU_DEP_1)
	v_lshlrev_b64 v[5:6], 4, v[5:6]
	v_add_co_u32 v5, s1, s10, v5
	s_delay_alu instid0(VALU_DEP_1)
	v_add_co_ci_u32_e64 v6, s1, s11, v6, s1
	s_and_saveexec_b32 s2, s0
	s_cbranch_execz .LBB913_15
; %bb.14:
	v_mul_f64 v[7:8], s[4:5], v[17:18]
	v_mul_f64 v[9:10], s[6:7], v[17:18]
	v_ashrrev_i32_e32 v1, 31, v0
	v_cmp_ne_u32_e64 s0, v3, v0
	s_delay_alu instid0(VALU_DEP_4) | instskip(NEXT) | instid1(VALU_DEP_4)
	v_fma_f64 v[17:18], s[6:7], v[15:16], v[7:8]
	v_fma_f64 v[7:8], s[4:5], v[15:16], -v[9:10]
	s_delay_alu instid0(VALU_DEP_4) | instskip(NEXT) | instid1(VALU_DEP_1)
	v_lshlrev_b64 v[9:10], 4, v[0:1]
	v_add_co_u32 v15, s1, v5, v9
	s_delay_alu instid0(VALU_DEP_1)
	v_add_co_ci_u32_e64 v16, s1, v6, v10, s1
	v_cndmask_b32_e64 v10, 0, v18, s0
	v_cndmask_b32_e64 v9, 0, v17, s0
	global_store_b128 v[15:16], v[7:10], off
.LBB913_15:
	s_or_b32 exec_lo, exec_lo, s2
	v_cmp_le_i32_e64 s0, v2, v3
	s_delay_alu instid0(VALU_DEP_1) | instskip(NEXT) | instid1(SALU_CYCLE_1)
	s_and_b32 s0, vcc_lo, s0
	s_and_saveexec_b32 s1, s0
	s_cbranch_execz .LBB913_17
; %bb.16:
	v_mul_f64 v[7:8], s[4:5], v[13:14]
	v_mul_f64 v[9:10], s[6:7], v[13:14]
	v_ashrrev_i32_e32 v3, 31, v2
	v_cmp_ne_u32_e32 vcc_lo, v4, v0
	s_delay_alu instid0(VALU_DEP_2) | instskip(NEXT) | instid1(VALU_DEP_1)
	v_lshlrev_b64 v[1:2], 4, v[2:3]
	v_add_co_u32 v0, s0, v5, v1
	s_delay_alu instid0(VALU_DEP_1) | instskip(SKIP_2) | instid1(VALU_DEP_2)
	v_add_co_ci_u32_e64 v1, s0, v6, v2, s0
	v_fma_f64 v[13:14], s[6:7], v[11:12], v[7:8]
	v_fma_f64 v[7:8], s[4:5], v[11:12], -v[9:10]
	v_dual_cndmask_b32 v10, 0, v14 :: v_dual_cndmask_b32 v9, 0, v13
	global_store_b128 v[0:1], v[7:10], off
.LBB913_17:
	s_nop 0
	s_sendmsg sendmsg(MSG_DEALLOC_VGPRS)
	s_endpgm
	.section	.rodata,"a",@progbits
	.p2align	6, 0x0
	.amdhsa_kernel _ZL34rocblas_syrkx_herkx_general_kernelIi19rocblas_complex_numIdELi16ELi32ELi8ELb1ELb1ELc67ELc85EKPKS1_KPS1_EviT_T0_PT8_S7_lSA_S7_lS8_PT9_S7_li
		.amdhsa_group_segment_fixed_size 8192
		.amdhsa_private_segment_fixed_size 0
		.amdhsa_kernarg_size 116
		.amdhsa_user_sgpr_count 13
		.amdhsa_user_sgpr_dispatch_ptr 0
		.amdhsa_user_sgpr_queue_ptr 0
		.amdhsa_user_sgpr_kernarg_segment_ptr 1
		.amdhsa_user_sgpr_dispatch_id 0
		.amdhsa_user_sgpr_private_segment_size 0
		.amdhsa_wavefront_size32 1
		.amdhsa_uses_dynamic_stack 0
		.amdhsa_enable_private_segment 0
		.amdhsa_system_sgpr_workgroup_id_x 1
		.amdhsa_system_sgpr_workgroup_id_y 1
		.amdhsa_system_sgpr_workgroup_id_z 1
		.amdhsa_system_sgpr_workgroup_info 0
		.amdhsa_system_vgpr_workitem_id 1
		.amdhsa_next_free_vgpr 121
		.amdhsa_next_free_sgpr 21
		.amdhsa_reserve_vcc 1
		.amdhsa_float_round_mode_32 0
		.amdhsa_float_round_mode_16_64 0
		.amdhsa_float_denorm_mode_32 3
		.amdhsa_float_denorm_mode_16_64 3
		.amdhsa_dx10_clamp 1
		.amdhsa_ieee_mode 1
		.amdhsa_fp16_overflow 0
		.amdhsa_workgroup_processor_mode 1
		.amdhsa_memory_ordered 1
		.amdhsa_forward_progress 0
		.amdhsa_shared_vgpr_count 0
		.amdhsa_exception_fp_ieee_invalid_op 0
		.amdhsa_exception_fp_denorm_src 0
		.amdhsa_exception_fp_ieee_div_zero 0
		.amdhsa_exception_fp_ieee_overflow 0
		.amdhsa_exception_fp_ieee_underflow 0
		.amdhsa_exception_fp_ieee_inexact 0
		.amdhsa_exception_int_div_zero 0
	.end_amdhsa_kernel
	.section	.text._ZL34rocblas_syrkx_herkx_general_kernelIi19rocblas_complex_numIdELi16ELi32ELi8ELb1ELb1ELc67ELc85EKPKS1_KPS1_EviT_T0_PT8_S7_lSA_S7_lS8_PT9_S7_li,"axG",@progbits,_ZL34rocblas_syrkx_herkx_general_kernelIi19rocblas_complex_numIdELi16ELi32ELi8ELb1ELb1ELc67ELc85EKPKS1_KPS1_EviT_T0_PT8_S7_lSA_S7_lS8_PT9_S7_li,comdat
.Lfunc_end913:
	.size	_ZL34rocblas_syrkx_herkx_general_kernelIi19rocblas_complex_numIdELi16ELi32ELi8ELb1ELb1ELc67ELc85EKPKS1_KPS1_EviT_T0_PT8_S7_lSA_S7_lS8_PT9_S7_li, .Lfunc_end913-_ZL34rocblas_syrkx_herkx_general_kernelIi19rocblas_complex_numIdELi16ELi32ELi8ELb1ELb1ELc67ELc85EKPKS1_KPS1_EviT_T0_PT8_S7_lSA_S7_lS8_PT9_S7_li
                                        ; -- End function
	.section	.AMDGPU.csdata,"",@progbits
; Kernel info:
; codeLenInByte = 3296
; NumSgprs: 23
; NumVgprs: 121
; ScratchSize: 0
; MemoryBound: 1
; FloatMode: 240
; IeeeMode: 1
; LDSByteSize: 8192 bytes/workgroup (compile time only)
; SGPRBlocks: 2
; VGPRBlocks: 15
; NumSGPRsForWavesPerEU: 23
; NumVGPRsForWavesPerEU: 121
; Occupancy: 10
; WaveLimiterHint : 1
; COMPUTE_PGM_RSRC2:SCRATCH_EN: 0
; COMPUTE_PGM_RSRC2:USER_SGPR: 13
; COMPUTE_PGM_RSRC2:TRAP_HANDLER: 0
; COMPUTE_PGM_RSRC2:TGID_X_EN: 1
; COMPUTE_PGM_RSRC2:TGID_Y_EN: 1
; COMPUTE_PGM_RSRC2:TGID_Z_EN: 1
; COMPUTE_PGM_RSRC2:TIDIG_COMP_CNT: 1
	.section	.text._ZL34rocblas_syrkx_herkx_general_kernelIi19rocblas_complex_numIdELi16ELi32ELi8ELb1ELb1ELc78ELc85EKPKS1_KPS1_EviT_T0_PT8_S7_lSA_S7_lS8_PT9_S7_li,"axG",@progbits,_ZL34rocblas_syrkx_herkx_general_kernelIi19rocblas_complex_numIdELi16ELi32ELi8ELb1ELb1ELc78ELc85EKPKS1_KPS1_EviT_T0_PT8_S7_lSA_S7_lS8_PT9_S7_li,comdat
	.globl	_ZL34rocblas_syrkx_herkx_general_kernelIi19rocblas_complex_numIdELi16ELi32ELi8ELb1ELb1ELc78ELc85EKPKS1_KPS1_EviT_T0_PT8_S7_lSA_S7_lS8_PT9_S7_li ; -- Begin function _ZL34rocblas_syrkx_herkx_general_kernelIi19rocblas_complex_numIdELi16ELi32ELi8ELb1ELb1ELc78ELc85EKPKS1_KPS1_EviT_T0_PT8_S7_lSA_S7_lS8_PT9_S7_li
	.p2align	8
	.type	_ZL34rocblas_syrkx_herkx_general_kernelIi19rocblas_complex_numIdELi16ELi32ELi8ELb1ELb1ELc78ELc85EKPKS1_KPS1_EviT_T0_PT8_S7_lSA_S7_lS8_PT9_S7_li,@function
_ZL34rocblas_syrkx_herkx_general_kernelIi19rocblas_complex_numIdELi16ELi32ELi8ELb1ELb1ELc78ELc85EKPKS1_KPS1_EviT_T0_PT8_S7_lSA_S7_lS8_PT9_S7_li: ; @_ZL34rocblas_syrkx_herkx_general_kernelIi19rocblas_complex_numIdELi16ELi32ELi8ELb1ELb1ELc78ELc85EKPKS1_KPS1_EviT_T0_PT8_S7_lSA_S7_lS8_PT9_S7_li
; %bb.0:
	s_clause 0x2
	s_load_b64 s[2:3], s[0:1], 0x58
	s_load_b64 s[20:21], s[0:1], 0x18
	;; [unrolled: 1-line block ×3, first 2 shown]
	s_mov_b32 s16, s15
	s_mov_b32 s17, 0
	v_mov_b32_e32 v21, 0
	s_lshl_b64 s[18:19], s[16:17], 3
	v_dual_mov_b32 v22, 0 :: v_dual_and_b32 v25, 0x3ff, v0
	v_bfe_u32 v26, v0, 10, 10
	s_delay_alu instid0(VALU_DEP_3) | instskip(NEXT) | instid1(VALU_DEP_3)
	v_mov_b32_e32 v17, v21
	v_dual_mov_b32 v19, v21 :: v_dual_mov_b32 v20, v22
	v_dual_mov_b32 v24, v22 :: v_dual_mov_b32 v23, v21
	;; [unrolled: 1-line block ×4, first 2 shown]
	v_mov_b32_e32 v16, v22
	s_waitcnt lgkmcnt(0)
	s_add_u32 s2, s2, s18
	s_addc_u32 s3, s3, s19
	s_load_b128 s[4:7], s[0:1], 0x8
	s_load_b64 s[10:11], s[2:3], 0x0
	v_dual_mov_b32 v11, v21 :: v_dual_mov_b32 v12, v22
	v_dual_mov_b32 v9, v21 :: v_dual_mov_b32 v10, v22
	s_lshl_b32 s16, s13, 5
	s_lshl_b32 s22, s14, 5
	s_cmp_lt_i32 s9, 1
	s_cbranch_scc1 .LBB914_9
; %bb.1:
	s_clause 0x2
	s_load_b32 s12, s[0:1], 0x20
	s_load_b32 s14, s[0:1], 0x38
	s_load_b64 s[24:25], s[0:1], 0x30
	v_lshl_add_u32 v0, v26, 4, v25
	v_and_b32_e32 v27, 7, v25
	v_lshl_add_u32 v32, v26, 7, 0x1000
	v_mov_b32_e32 v9, 0
	s_delay_alu instid0(VALU_DEP_4) | instskip(SKIP_3) | instid1(VALU_DEP_4)
	v_dual_mov_b32 v10, 0 :: v_dual_and_b32 v1, 31, v0
	v_lshrrev_b32_e32 v28, 5, v0
	v_lshrrev_b32_e32 v3, 3, v0
	v_lshlrev_b32_e32 v4, 4, v27
	v_dual_mov_b32 v12, v10 :: v_dual_lshlrev_b32 v31, 4, v25
	v_lshlrev_b32_e32 v6, 4, v1
	v_or_b32_e32 v5, s16, v1
	v_add_nc_u32_e32 v0, s16, v1
	v_dual_mov_b32 v11, v9 :: v_dual_add_nc_u32 v2, s22, v3
	v_lshl_or_b32 v3, v3, 7, v4
	s_waitcnt lgkmcnt(0)
	s_ashr_i32 s13, s12, 31
	s_ashr_i32 s15, s14, 31
	s_add_u32 s24, s24, s18
	s_addc_u32 s25, s25, s19
	s_add_u32 s18, s20, s18
	s_addc_u32 s19, s21, s19
	v_cmp_gt_i32_e64 s2, s8, v5
	v_mad_i64_i32 v[4:5], null, v28, s12, 0
	s_load_b64 s[20:21], s[24:25], 0x0
	s_load_b64 s[18:19], s[18:19], 0x0
	v_mov_b32_e32 v16, v10
	v_lshl_or_b32 v29, v28, 9, v6
	v_mad_i64_i32 v[6:7], null, s14, v27, 0
	v_mov_b32_e32 v15, v9
	v_ashrrev_i32_e32 v1, 31, v0
	v_mov_b32_e32 v14, v10
	v_dual_mov_b32 v13, v9 :: v_dual_add_nc_u32 v30, 0x1000, v3
	v_ashrrev_i32_e32 v3, 31, v2
	v_lshlrev_b64 v[4:5], 4, v[4:5]
	v_lshlrev_b64 v[0:1], 4, v[0:1]
	v_cmp_gt_i32_e32 vcc_lo, s8, v2
	v_lshlrev_b64 v[6:7], 4, v[6:7]
	v_lshlrev_b64 v[2:3], 4, v[2:3]
	v_mov_b32_e32 v20, v10
	v_mov_b32_e32 v18, v10
	v_add_co_u32 v0, s3, v4, v0
	s_delay_alu instid0(VALU_DEP_1) | instskip(SKIP_1) | instid1(VALU_DEP_1)
	v_add_co_ci_u32_e64 v1, s3, v5, v1, s3
	v_add_co_u32 v2, s3, v6, v2
	v_add_co_ci_u32_e64 v3, s3, v7, v3, s3
	s_waitcnt lgkmcnt(0)
	v_add_co_u32 v5, s3, s18, v0
	s_delay_alu instid0(VALU_DEP_1) | instskip(SKIP_1) | instid1(VALU_DEP_1)
	v_add_co_ci_u32_e64 v6, s3, s19, v1, s3
	v_add_co_u32 v0, s3, v2, s20
	v_add_co_ci_u32_e64 v1, s3, s21, v3, s3
	v_mov_b32_e32 v24, v10
	s_delay_alu instid0(VALU_DEP_3) | instskip(SKIP_1) | instid1(VALU_DEP_4)
	v_add_co_u32 v7, s3, v0, 8
	v_dual_mov_b32 v22, v10 :: v_dual_mov_b32 v21, v9
	v_add_co_ci_u32_e64 v8, s3, 0, v1, s3
	v_dual_mov_b32 v0, 0 :: v_dual_mov_b32 v19, v9
	v_mov_b32_e32 v17, v9
	v_mov_b32_e32 v23, v9
	s_lshl_b64 s[12:13], s[12:13], 7
	s_lshl_b64 s[14:15], s[14:15], 7
	s_xor_b32 s3, s2, -1
	s_branch .LBB914_3
.LBB914_2:                              ;   in Loop: Header=BB914_3 Depth=1
	s_or_b32 exec_lo, exec_lo, s2
	ds_store_b128 v30, v[1:4]
	s_waitcnt lgkmcnt(0)
	s_barrier
	buffer_gl0_inv
	ds_load_b128 v[1:4], v32
	ds_load_b128 v[33:36], v31
	ds_load_b128 v[37:40], v31 offset:256
	ds_load_b128 v[41:44], v32 offset:2048
	;; [unrolled: 1-line block ×9, first 2 shown]
	v_add_co_u32 v5, s2, v5, s12
	s_delay_alu instid0(VALU_DEP_1) | instskip(SKIP_1) | instid1(VALU_DEP_1)
	v_add_co_ci_u32_e64 v6, s2, s13, v6, s2
	v_add_co_u32 v7, s2, v7, s14
	v_add_co_ci_u32_e64 v8, s2, s15, v8, s2
	s_add_i32 s17, s17, 8
	s_delay_alu instid0(SALU_CYCLE_1)
	s_cmp_ge_i32 s17, s9
	s_waitcnt lgkmcnt(9)
	v_mul_f64 v[73:74], v[3:4], v[35:36]
	v_mul_f64 v[75:76], v[1:2], v[35:36]
	s_waitcnt lgkmcnt(8)
	v_mul_f64 v[77:78], v[3:4], v[39:40]
	v_mul_f64 v[79:80], v[1:2], v[39:40]
	s_waitcnt lgkmcnt(7)
	v_mul_f64 v[81:82], v[43:44], v[35:36]
	v_mul_f64 v[35:36], v[41:42], v[35:36]
	v_mul_f64 v[83:84], v[43:44], v[39:40]
	v_mul_f64 v[39:40], v[41:42], v[39:40]
	s_waitcnt lgkmcnt(4)
	v_mul_f64 v[85:86], v[47:48], v[55:56]
	v_mul_f64 v[87:88], v[45:46], v[55:56]
	s_waitcnt lgkmcnt(3)
	v_mul_f64 v[89:90], v[47:48], v[59:60]
	v_mul_f64 v[91:92], v[45:46], v[59:60]
	v_mul_f64 v[93:94], v[51:52], v[55:56]
	v_mul_f64 v[55:56], v[49:50], v[55:56]
	v_mul_f64 v[95:96], v[51:52], v[59:60]
	v_mul_f64 v[59:60], v[49:50], v[59:60]
	v_fma_f64 v[97:98], v[1:2], v[33:34], -v[73:74]
	v_fma_f64 v[99:100], v[3:4], v[33:34], v[75:76]
	ds_load_b128 v[73:76], v32 offset:32
	v_fma_f64 v[77:78], v[1:2], v[37:38], -v[77:78]
	v_fma_f64 v[79:80], v[3:4], v[37:38], v[79:80]
	v_fma_f64 v[81:82], v[41:42], v[33:34], -v[81:82]
	v_fma_f64 v[101:102], v[43:44], v[33:34], v[35:36]
	;; [unrolled: 2-line block ×3, first 2 shown]
	s_waitcnt lgkmcnt(1)
	v_mul_f64 v[113:114], v[71:72], v[63:64]
	v_fma_f64 v[85:86], v[45:46], v[53:54], -v[85:86]
	v_fma_f64 v[87:88], v[47:48], v[53:54], v[87:88]
	v_fma_f64 v[45:46], v[45:46], v[57:58], -v[89:90]
	v_fma_f64 v[47:48], v[47:48], v[57:58], v[91:92]
	v_mul_f64 v[89:90], v[71:72], v[67:68]
	v_fma_f64 v[91:92], v[49:50], v[53:54], -v[93:94]
	v_fma_f64 v[53:54], v[51:52], v[53:54], v[55:56]
	v_fma_f64 v[49:50], v[49:50], v[57:58], -v[95:96]
	v_fma_f64 v[51:52], v[51:52], v[57:58], v[59:60]
	ds_load_b128 v[1:4], v32 offset:48
	ds_load_b128 v[33:36], v32 offset:2096
	;; [unrolled: 1-line block ×4, first 2 shown]
	s_waitcnt lgkmcnt(4)
	v_mul_f64 v[105:106], v[75:76], v[63:64]
	v_mul_f64 v[107:108], v[73:74], v[63:64]
	;; [unrolled: 1-line block ×6, first 2 shown]
	s_waitcnt lgkmcnt(1)
	v_mul_f64 v[93:94], v[1:2], v[39:40]
	v_add_f64 v[21:22], v[21:22], v[97:98]
	v_add_f64 v[23:24], v[23:24], v[99:100]
	;; [unrolled: 1-line block ×8, first 2 shown]
	v_mul_f64 v[83:84], v[3:4], v[39:40]
	s_waitcnt lgkmcnt(0)
	v_mul_f64 v[95:96], v[3:4], v[43:44]
	v_mul_f64 v[97:98], v[1:2], v[43:44]
	;; [unrolled: 1-line block ×6, first 2 shown]
	ds_load_b128 v[9:12], v31 offset:2048
	ds_load_b128 v[13:16], v31 offset:2304
	;; [unrolled: 1-line block ×3, first 2 shown]
	v_fma_f64 v[105:106], v[73:74], v[61:62], -v[105:106]
	v_fma_f64 v[107:108], v[75:76], v[61:62], v[107:108]
	v_fma_f64 v[73:74], v[73:74], v[65:66], -v[109:110]
	v_fma_f64 v[75:76], v[75:76], v[65:66], v[111:112]
	;; [unrolled: 2-line block ×4, first 2 shown]
	s_waitcnt lgkmcnt(0)
	v_mul_f64 v[113:114], v[19:20], v[11:12]
	v_mul_f64 v[115:116], v[19:20], v[15:16]
	v_fma_f64 v[93:94], v[3:4], v[37:38], v[93:94]
	v_add_f64 v[67:68], v[21:22], v[85:86]
	v_add_f64 v[69:70], v[23:24], v[87:88]
	;; [unrolled: 1-line block ×8, first 2 shown]
	ds_load_b128 v[21:24], v32 offset:64
	v_fma_f64 v[83:84], v[1:2], v[37:38], -v[83:84]
	v_fma_f64 v[95:96], v[1:2], v[41:42], -v[95:96]
	v_fma_f64 v[97:98], v[3:4], v[41:42], v[97:98]
	v_fma_f64 v[99:100], v[33:34], v[37:38], -v[99:100]
	v_fma_f64 v[117:118], v[35:36], v[37:38], v[39:40]
	v_fma_f64 v[101:102], v[33:34], v[41:42], -v[101:102]
	v_fma_f64 v[41:42], v[35:36], v[41:42], v[103:104]
	ds_load_b128 v[43:46], v32 offset:80
	ds_load_b128 v[47:50], v32 offset:2128
	;; [unrolled: 1-line block ×7, first 2 shown]
	s_waitcnt lgkmcnt(7)
	v_mul_f64 v[87:88], v[23:24], v[11:12]
	v_mul_f64 v[89:90], v[21:22], v[11:12]
	;; [unrolled: 1-line block ×6, first 2 shown]
	s_waitcnt lgkmcnt(3)
	v_mul_f64 v[103:104], v[49:50], v[57:58]
	v_add_f64 v[67:68], v[67:68], v[105:106]
	v_add_f64 v[69:70], v[69:70], v[107:108]
	;; [unrolled: 1-line block ×8, first 2 shown]
	v_mul_f64 v[75:76], v[45:46], v[53:54]
	v_mul_f64 v[77:78], v[43:44], v[53:54]
	;; [unrolled: 1-line block ×7, first 2 shown]
	v_fma_f64 v[109:110], v[17:18], v[9:10], -v[113:114]
	v_fma_f64 v[113:114], v[17:18], v[13:14], -v[115:116]
	;; [unrolled: 1-line block ×3, first 2 shown]
	v_fma_f64 v[89:90], v[23:24], v[9:10], v[89:90]
	v_fma_f64 v[91:92], v[21:22], v[13:14], -v[91:92]
	v_fma_f64 v[107:108], v[23:24], v[13:14], v[111:112]
	v_fma_f64 v[111:112], v[19:20], v[9:10], v[11:12]
	;; [unrolled: 1-line block ×3, first 2 shown]
	ds_load_b128 v[9:12], v32 offset:96
	v_add_f64 v[67:68], v[67:68], v[83:84]
	v_add_f64 v[69:70], v[69:70], v[93:94]
	;; [unrolled: 1-line block ×8, first 2 shown]
	s_waitcnt lgkmcnt(1)
	v_mul_f64 v[99:100], v[39:40], v[3:4]
	v_fma_f64 v[75:76], v[43:44], v[51:52], -v[75:76]
	v_fma_f64 v[77:78], v[45:46], v[51:52], v[77:78]
	v_fma_f64 v[43:44], v[43:44], v[55:56], -v[79:80]
	v_fma_f64 v[45:46], v[45:46], v[55:56], v[81:82]
	v_mul_f64 v[79:80], v[39:40], v[35:36]
	v_fma_f64 v[81:82], v[47:48], v[51:52], -v[85:86]
	v_fma_f64 v[51:52], v[49:50], v[51:52], v[53:54]
	s_waitcnt lgkmcnt(0)
	v_mul_f64 v[65:66], v[11:12], v[3:4]
	v_mul_f64 v[93:94], v[9:10], v[3:4]
	;; [unrolled: 1-line block ×6, first 2 shown]
	v_fma_f64 v[47:48], v[47:48], v[55:56], -v[103:104]
	v_fma_f64 v[49:50], v[49:50], v[55:56], v[105:106]
	ds_load_b128 v[13:16], v32 offset:112
	ds_load_b128 v[17:20], v32 offset:2160
	;; [unrolled: 1-line block ×4, first 2 shown]
	s_waitcnt lgkmcnt(0)
	s_barrier
	buffer_gl0_inv
	v_add_f64 v[53:54], v[67:68], v[87:88]
	v_add_f64 v[55:56], v[69:70], v[89:90]
	;; [unrolled: 1-line block ×8, first 2 shown]
	v_mul_f64 v[73:74], v[15:16], v[23:24]
	v_mul_f64 v[83:84], v[13:14], v[23:24]
	;; [unrolled: 1-line block ×8, first 2 shown]
	v_fma_f64 v[65:66], v[9:10], v[1:2], -v[65:66]
	v_fma_f64 v[93:94], v[11:12], v[1:2], v[93:94]
	v_fma_f64 v[9:10], v[9:10], v[33:34], -v[95:96]
	v_fma_f64 v[11:12], v[11:12], v[33:34], v[97:98]
	;; [unrolled: 2-line block ×4, first 2 shown]
	v_add_f64 v[35:36], v[53:54], v[75:76]
	v_add_f64 v[37:38], v[55:56], v[77:78]
	;; [unrolled: 1-line block ×8, first 2 shown]
	v_fma_f64 v[49:50], v[13:14], v[21:22], -v[73:74]
	v_fma_f64 v[53:54], v[15:16], v[21:22], v[83:84]
	v_fma_f64 v[13:14], v[13:14], v[57:58], -v[85:86]
	v_fma_f64 v[15:16], v[15:16], v[57:58], v[87:88]
	;; [unrolled: 2-line block ×4, first 2 shown]
	v_add_f64 v[17:18], v[35:36], v[65:66]
	v_add_f64 v[19:20], v[37:38], v[93:94]
	;; [unrolled: 1-line block ×16, first 2 shown]
	s_cbranch_scc1 .LBB914_9
.LBB914_3:                              ; =>This Inner Loop Header: Depth=1
	v_add_nc_u32_e32 v1, s17, v28
	s_delay_alu instid0(VALU_DEP_1) | instskip(NEXT) | instid1(VALU_DEP_1)
	v_cmp_le_i32_e64 s2, s9, v1
	s_or_b32 s2, s3, s2
	s_delay_alu instid0(SALU_CYCLE_1) | instskip(NEXT) | instid1(SALU_CYCLE_1)
	s_and_saveexec_b32 s18, s2
	s_xor_b32 s2, exec_lo, s18
	s_cbranch_execz .LBB914_5
; %bb.4:                                ;   in Loop: Header=BB914_3 Depth=1
	v_mov_b32_e32 v1, v0
	v_mov_b32_e32 v2, v0
	;; [unrolled: 1-line block ×3, first 2 shown]
	ds_store_b128 v29, v[0:3]
.LBB914_5:                              ;   in Loop: Header=BB914_3 Depth=1
	s_and_not1_saveexec_b32 s2, s2
	s_cbranch_execz .LBB914_7
; %bb.6:                                ;   in Loop: Header=BB914_3 Depth=1
	global_load_b128 v[1:4], v[5:6], off
	s_waitcnt vmcnt(0)
	ds_store_2addr_b64 v29, v[1:2], v[3:4] offset1:1
.LBB914_7:                              ;   in Loop: Header=BB914_3 Depth=1
	s_or_b32 exec_lo, exec_lo, s2
	v_add_nc_u32_e32 v3, s17, v27
	v_mov_b32_e32 v1, 0
	v_mov_b32_e32 v2, 0
	s_delay_alu instid0(VALU_DEP_3) | instskip(NEXT) | instid1(VALU_DEP_2)
	v_cmp_gt_i32_e64 s2, s9, v3
	v_dual_mov_b32 v4, v2 :: v_dual_mov_b32 v3, v1
	s_delay_alu instid0(VALU_DEP_2) | instskip(NEXT) | instid1(SALU_CYCLE_1)
	s_and_b32 s18, s2, vcc_lo
	s_and_saveexec_b32 s2, s18
	s_cbranch_execz .LBB914_2
; %bb.8:                                ;   in Loop: Header=BB914_3 Depth=1
	global_load_b128 v[1:4], v[7:8], off offset:-8
	s_waitcnt vmcnt(0)
	v_xor_b32_e32 v4, 0x80000000, v4
	s_branch .LBB914_2
.LBB914_9:
	s_load_b32 s2, s[0:1], 0x60
	v_add_nc_u32_e32 v4, s22, v26
	v_add_nc_u32_e32 v0, s16, v25
	s_delay_alu instid0(VALU_DEP_2) | instskip(NEXT) | instid1(VALU_DEP_2)
	v_cmp_gt_i32_e32 vcc_lo, s8, v4
	v_cmp_le_i32_e64 s0, v0, v4
	s_delay_alu instid0(VALU_DEP_1) | instskip(SKIP_2) | instid1(VALU_DEP_1)
	s_and_b32 s0, vcc_lo, s0
	s_waitcnt lgkmcnt(0)
	v_mad_i64_i32 v[1:2], null, v4, s2, 0
	v_lshlrev_b64 v[1:2], 4, v[1:2]
	s_delay_alu instid0(VALU_DEP_1) | instskip(NEXT) | instid1(VALU_DEP_1)
	v_add_co_u32 v5, s1, s10, v1
	v_add_co_ci_u32_e64 v6, s1, s11, v2, s1
	s_and_saveexec_b32 s3, s0
	s_cbranch_execz .LBB914_11
; %bb.10:
	v_mul_f64 v[1:2], s[4:5], v[23:24]
	v_mul_f64 v[7:8], s[6:7], v[23:24]
	v_cmp_ne_u32_e64 s0, v4, v0
	s_delay_alu instid0(VALU_DEP_3) | instskip(NEXT) | instid1(VALU_DEP_3)
	v_fma_f64 v[2:3], s[6:7], v[21:22], v[1:2]
	v_fma_f64 v[21:22], s[4:5], v[21:22], -v[7:8]
	v_ashrrev_i32_e32 v1, 31, v0
	s_delay_alu instid0(VALU_DEP_1) | instskip(NEXT) | instid1(VALU_DEP_1)
	v_lshlrev_b64 v[7:8], 4, v[0:1]
	v_add_co_u32 v7, s1, v5, v7
	s_delay_alu instid0(VALU_DEP_1)
	v_add_co_ci_u32_e64 v8, s1, v6, v8, s1
	v_cndmask_b32_e64 v24, 0, v3, s0
	v_cndmask_b32_e64 v23, 0, v2, s0
	global_store_b128 v[7:8], v[21:24], off
.LBB914_11:
	s_or_b32 exec_lo, exec_lo, s3
	v_add_nc_u32_e32 v2, 16, v0
	s_delay_alu instid0(VALU_DEP_1) | instskip(NEXT) | instid1(VALU_DEP_1)
	v_cmp_le_i32_e64 s0, v2, v4
	s_and_b32 s0, vcc_lo, s0
	s_delay_alu instid0(SALU_CYCLE_1)
	s_and_saveexec_b32 s1, s0
	s_cbranch_execz .LBB914_13
; %bb.12:
	v_mul_f64 v[7:8], s[4:5], v[19:20]
	v_mul_f64 v[19:20], s[6:7], v[19:20]
	v_ashrrev_i32_e32 v3, 31, v2
	v_cmp_ne_u32_e32 vcc_lo, v4, v2
	s_delay_alu instid0(VALU_DEP_4) | instskip(NEXT) | instid1(VALU_DEP_4)
	v_fma_f64 v[7:8], s[6:7], v[17:18], v[7:8]
	v_fma_f64 v[17:18], s[4:5], v[17:18], -v[19:20]
	s_delay_alu instid0(VALU_DEP_4) | instskip(NEXT) | instid1(VALU_DEP_1)
	v_lshlrev_b64 v[19:20], 4, v[2:3]
	v_add_co_u32 v5, s0, v5, v19
	s_delay_alu instid0(VALU_DEP_1)
	v_add_co_ci_u32_e64 v6, s0, v6, v20, s0
	v_dual_cndmask_b32 v20, 0, v8 :: v_dual_cndmask_b32 v19, 0, v7
	global_store_b128 v[5:6], v[17:20], off
.LBB914_13:
	s_or_b32 exec_lo, exec_lo, s1
	v_add_nc_u32_e32 v3, 16, v4
	s_delay_alu instid0(VALU_DEP_1) | instskip(SKIP_2) | instid1(VALU_DEP_1)
	v_mad_i64_i32 v[5:6], null, v3, s2, 0
	v_cmp_gt_i32_e32 vcc_lo, s8, v3
	v_cmp_le_i32_e64 s0, v0, v3
	s_and_b32 s0, vcc_lo, s0
	s_delay_alu instid0(VALU_DEP_3) | instskip(NEXT) | instid1(VALU_DEP_1)
	v_lshlrev_b64 v[5:6], 4, v[5:6]
	v_add_co_u32 v5, s1, s10, v5
	s_delay_alu instid0(VALU_DEP_1)
	v_add_co_ci_u32_e64 v6, s1, s11, v6, s1
	s_and_saveexec_b32 s2, s0
	s_cbranch_execz .LBB914_15
; %bb.14:
	v_mul_f64 v[7:8], s[4:5], v[15:16]
	v_mul_f64 v[15:16], s[6:7], v[15:16]
	v_ashrrev_i32_e32 v1, 31, v0
	v_cmp_ne_u32_e64 s0, v3, v0
	s_delay_alu instid0(VALU_DEP_4) | instskip(NEXT) | instid1(VALU_DEP_4)
	v_fma_f64 v[7:8], s[6:7], v[13:14], v[7:8]
	v_fma_f64 v[13:14], s[4:5], v[13:14], -v[15:16]
	s_delay_alu instid0(VALU_DEP_4) | instskip(NEXT) | instid1(VALU_DEP_1)
	v_lshlrev_b64 v[15:16], 4, v[0:1]
	v_add_co_u32 v17, s1, v5, v15
	s_delay_alu instid0(VALU_DEP_1)
	v_add_co_ci_u32_e64 v18, s1, v6, v16, s1
	v_cndmask_b32_e64 v16, 0, v8, s0
	v_cndmask_b32_e64 v15, 0, v7, s0
	global_store_b128 v[17:18], v[13:16], off
.LBB914_15:
	s_or_b32 exec_lo, exec_lo, s2
	v_cmp_le_i32_e64 s0, v2, v3
	s_delay_alu instid0(VALU_DEP_1) | instskip(NEXT) | instid1(SALU_CYCLE_1)
	s_and_b32 s0, vcc_lo, s0
	s_and_saveexec_b32 s1, s0
	s_cbranch_execz .LBB914_17
; %bb.16:
	v_mul_f64 v[7:8], s[4:5], v[9:10]
	v_mul_f64 v[9:10], s[6:7], v[9:10]
	v_ashrrev_i32_e32 v3, 31, v2
	v_cmp_ne_u32_e32 vcc_lo, v4, v0
	s_delay_alu instid0(VALU_DEP_2) | instskip(NEXT) | instid1(VALU_DEP_1)
	v_lshlrev_b64 v[1:2], 4, v[2:3]
	v_add_co_u32 v0, s0, v5, v1
	s_delay_alu instid0(VALU_DEP_1) | instskip(SKIP_2) | instid1(VALU_DEP_2)
	v_add_co_ci_u32_e64 v1, s0, v6, v2, s0
	v_fma_f64 v[13:14], s[6:7], v[11:12], v[7:8]
	v_fma_f64 v[7:8], s[4:5], v[11:12], -v[9:10]
	v_dual_cndmask_b32 v10, 0, v14 :: v_dual_cndmask_b32 v9, 0, v13
	global_store_b128 v[0:1], v[7:10], off
.LBB914_17:
	s_nop 0
	s_sendmsg sendmsg(MSG_DEALLOC_VGPRS)
	s_endpgm
	.section	.rodata,"a",@progbits
	.p2align	6, 0x0
	.amdhsa_kernel _ZL34rocblas_syrkx_herkx_general_kernelIi19rocblas_complex_numIdELi16ELi32ELi8ELb1ELb1ELc78ELc85EKPKS1_KPS1_EviT_T0_PT8_S7_lSA_S7_lS8_PT9_S7_li
		.amdhsa_group_segment_fixed_size 8192
		.amdhsa_private_segment_fixed_size 0
		.amdhsa_kernarg_size 116
		.amdhsa_user_sgpr_count 13
		.amdhsa_user_sgpr_dispatch_ptr 0
		.amdhsa_user_sgpr_queue_ptr 0
		.amdhsa_user_sgpr_kernarg_segment_ptr 1
		.amdhsa_user_sgpr_dispatch_id 0
		.amdhsa_user_sgpr_private_segment_size 0
		.amdhsa_wavefront_size32 1
		.amdhsa_uses_dynamic_stack 0
		.amdhsa_enable_private_segment 0
		.amdhsa_system_sgpr_workgroup_id_x 1
		.amdhsa_system_sgpr_workgroup_id_y 1
		.amdhsa_system_sgpr_workgroup_id_z 1
		.amdhsa_system_sgpr_workgroup_info 0
		.amdhsa_system_vgpr_workitem_id 1
		.amdhsa_next_free_vgpr 119
		.amdhsa_next_free_sgpr 26
		.amdhsa_reserve_vcc 1
		.amdhsa_float_round_mode_32 0
		.amdhsa_float_round_mode_16_64 0
		.amdhsa_float_denorm_mode_32 3
		.amdhsa_float_denorm_mode_16_64 3
		.amdhsa_dx10_clamp 1
		.amdhsa_ieee_mode 1
		.amdhsa_fp16_overflow 0
		.amdhsa_workgroup_processor_mode 1
		.amdhsa_memory_ordered 1
		.amdhsa_forward_progress 0
		.amdhsa_shared_vgpr_count 0
		.amdhsa_exception_fp_ieee_invalid_op 0
		.amdhsa_exception_fp_denorm_src 0
		.amdhsa_exception_fp_ieee_div_zero 0
		.amdhsa_exception_fp_ieee_overflow 0
		.amdhsa_exception_fp_ieee_underflow 0
		.amdhsa_exception_fp_ieee_inexact 0
		.amdhsa_exception_int_div_zero 0
	.end_amdhsa_kernel
	.section	.text._ZL34rocblas_syrkx_herkx_general_kernelIi19rocblas_complex_numIdELi16ELi32ELi8ELb1ELb1ELc78ELc85EKPKS1_KPS1_EviT_T0_PT8_S7_lSA_S7_lS8_PT9_S7_li,"axG",@progbits,_ZL34rocblas_syrkx_herkx_general_kernelIi19rocblas_complex_numIdELi16ELi32ELi8ELb1ELb1ELc78ELc85EKPKS1_KPS1_EviT_T0_PT8_S7_lSA_S7_lS8_PT9_S7_li,comdat
.Lfunc_end914:
	.size	_ZL34rocblas_syrkx_herkx_general_kernelIi19rocblas_complex_numIdELi16ELi32ELi8ELb1ELb1ELc78ELc85EKPKS1_KPS1_EviT_T0_PT8_S7_lSA_S7_lS8_PT9_S7_li, .Lfunc_end914-_ZL34rocblas_syrkx_herkx_general_kernelIi19rocblas_complex_numIdELi16ELi32ELi8ELb1ELb1ELc78ELc85EKPKS1_KPS1_EviT_T0_PT8_S7_lSA_S7_lS8_PT9_S7_li
                                        ; -- End function
	.section	.AMDGPU.csdata,"",@progbits
; Kernel info:
; codeLenInByte = 3308
; NumSgprs: 28
; NumVgprs: 119
; ScratchSize: 0
; MemoryBound: 1
; FloatMode: 240
; IeeeMode: 1
; LDSByteSize: 8192 bytes/workgroup (compile time only)
; SGPRBlocks: 3
; VGPRBlocks: 14
; NumSGPRsForWavesPerEU: 28
; NumVGPRsForWavesPerEU: 119
; Occupancy: 12
; WaveLimiterHint : 1
; COMPUTE_PGM_RSRC2:SCRATCH_EN: 0
; COMPUTE_PGM_RSRC2:USER_SGPR: 13
; COMPUTE_PGM_RSRC2:TRAP_HANDLER: 0
; COMPUTE_PGM_RSRC2:TGID_X_EN: 1
; COMPUTE_PGM_RSRC2:TGID_Y_EN: 1
; COMPUTE_PGM_RSRC2:TGID_Z_EN: 1
; COMPUTE_PGM_RSRC2:TIDIG_COMP_CNT: 1
	.section	.text._ZL34rocblas_syrkx_herkx_general_kernelIi19rocblas_complex_numIdELi16ELi32ELi8ELb0ELb1ELc84ELc76EKPKS1_KPS1_EviT_T0_PT8_S7_lSA_S7_lS8_PT9_S7_li,"axG",@progbits,_ZL34rocblas_syrkx_herkx_general_kernelIi19rocblas_complex_numIdELi16ELi32ELi8ELb0ELb1ELc84ELc76EKPKS1_KPS1_EviT_T0_PT8_S7_lSA_S7_lS8_PT9_S7_li,comdat
	.globl	_ZL34rocblas_syrkx_herkx_general_kernelIi19rocblas_complex_numIdELi16ELi32ELi8ELb0ELb1ELc84ELc76EKPKS1_KPS1_EviT_T0_PT8_S7_lSA_S7_lS8_PT9_S7_li ; -- Begin function _ZL34rocblas_syrkx_herkx_general_kernelIi19rocblas_complex_numIdELi16ELi32ELi8ELb0ELb1ELc84ELc76EKPKS1_KPS1_EviT_T0_PT8_S7_lSA_S7_lS8_PT9_S7_li
	.p2align	8
	.type	_ZL34rocblas_syrkx_herkx_general_kernelIi19rocblas_complex_numIdELi16ELi32ELi8ELb0ELb1ELc84ELc76EKPKS1_KPS1_EviT_T0_PT8_S7_lSA_S7_lS8_PT9_S7_li,@function
_ZL34rocblas_syrkx_herkx_general_kernelIi19rocblas_complex_numIdELi16ELi32ELi8ELb0ELb1ELc84ELc76EKPKS1_KPS1_EviT_T0_PT8_S7_lSA_S7_lS8_PT9_S7_li: ; @_ZL34rocblas_syrkx_herkx_general_kernelIi19rocblas_complex_numIdELi16ELi32ELi8ELb0ELb1ELc84ELc76EKPKS1_KPS1_EviT_T0_PT8_S7_lSA_S7_lS8_PT9_S7_li
; %bb.0:
	s_load_b64 s[8:9], s[0:1], 0x58
	s_mov_b32 s20, s15
	s_mov_b32 s21, 0
	s_clause 0x1
	s_load_b64 s[18:19], s[0:1], 0x0
	s_load_b128 s[4:7], s[0:1], 0x8
	s_lshl_b64 s[2:3], s[20:21], 3
	v_mov_b32_e32 v20, 0
	v_dual_mov_b32 v21, 0 :: v_dual_and_b32 v24, 0x3ff, v0
	v_bfe_u32 v25, v0, 10, 10
	s_delay_alu instid0(VALU_DEP_3) | instskip(NEXT) | instid1(VALU_DEP_3)
	v_mov_b32_e32 v16, v20
	v_dual_mov_b32 v18, v20 :: v_dual_mov_b32 v19, v21
	v_dual_mov_b32 v23, v21 :: v_dual_mov_b32 v22, v20
	;; [unrolled: 1-line block ×5, first 2 shown]
	v_mov_b32_e32 v11, v21
	s_waitcnt lgkmcnt(0)
	s_add_u32 s16, s8, s2
	s_addc_u32 s17, s9, s3
	s_clause 0x1
	s_load_b64 s[22:23], s[0:1], 0x18
	s_load_b128 s[8:11], s[0:1], 0x48
	s_load_b64 s[16:17], s[16:17], 0x0
	v_dual_mov_b32 v8, v20 :: v_dual_mov_b32 v9, v21
	s_lshl_b32 s12, s13, 5
	s_lshl_b32 s13, s14, 5
	s_cmp_lt_i32 s19, 1
	s_cbranch_scc1 .LBB915_11
; %bb.1:
	s_clause 0x1
	s_load_b64 s[14:15], s[0:1], 0x30
	s_load_b32 s20, s[0:1], 0x20
	v_lshl_add_u32 v0, v25, 4, v24
	v_dual_mov_b32 v8, 0 :: v_dual_lshlrev_b32 v27, 4, v24
	v_dual_mov_b32 v9, 0 :: v_dual_and_b32 v26, 7, v24
	s_delay_alu instid0(VALU_DEP_3)
	v_and_b32_e32 v1, 31, v0
	s_load_b32 s24, s[0:1], 0x38
	v_lshrrev_b32_e32 v2, 3, v0
	v_lshrrev_b32_e32 v29, 5, v0
	v_mov_b32_e32 v15, v9
	v_dual_mov_b32 v14, v8 :: v_dual_add_nc_u32 v3, s12, v1
	v_or_b32_e32 v6, s12, v1
	v_lshlrev_b32_e32 v7, 4, v1
	v_lshlrev_b32_e32 v4, 4, v26
	;; [unrolled: 1-line block ×3, first 2 shown]
	v_add_nc_u32_e32 v5, s13, v2
	v_mov_b32_e32 v19, v9
	s_waitcnt lgkmcnt(0)
	s_add_u32 s14, s14, s2
	v_mad_i64_i32 v[0:1], null, s20, v3, 0
	s_addc_u32 s15, s15, s3
	s_add_u32 s2, s22, s2
	v_lshl_or_b32 v10, v2, 7, v4
	s_addc_u32 s3, s23, s3
	v_mov_b32_e32 v18, v8
	s_load_b64 s[22:23], s[2:3], 0x0
	s_delay_alu instid0(VALU_DEP_3)
	v_lshlrev_b64 v[0:1], 4, v[0:1]
	v_add_nc_u32_e32 v31, 0x1000, v10
	s_load_b64 s[14:15], s[14:15], 0x0
	v_cmp_gt_i32_e32 vcc_lo, s18, v6
	v_mov_b32_e32 v13, v9
	v_mov_b32_e32 v17, v9
	v_add_co_u32 v0, s3, v0, v11
	v_dual_mov_b32 v11, v9 :: v_dual_mov_b32 v10, v8
	v_mad_i64_i32 v[2:3], null, s24, v5, 0
	v_add_co_ci_u32_e64 v1, s3, 0, v1, s3
	v_cmp_gt_i32_e64 s2, s18, v5
	v_mov_b32_e32 v23, v9
	v_dual_mov_b32 v21, v9 :: v_dual_mov_b32 v20, v8
	v_lshlrev_b64 v[2:3], 4, v[2:3]
	v_lshl_add_u32 v28, v25, 7, 0x1000
	v_mov_b32_e32 v12, v8
	v_lshl_or_b32 v30, v29, 9, v7
	v_mov_b32_e32 v16, v8
	v_mov_b32_e32 v22, v8
	v_add_co_u32 v2, s3, v2, v4
	s_delay_alu instid0(VALU_DEP_1) | instskip(SKIP_2) | instid1(VALU_DEP_1)
	v_add_co_ci_u32_e64 v3, s3, 0, v3, s3
	s_waitcnt lgkmcnt(0)
	v_add_co_u32 v4, s3, s22, v0
	v_add_co_ci_u32_e64 v5, s3, s23, v1, s3
	v_add_co_u32 v6, s3, s14, v2
	s_delay_alu instid0(VALU_DEP_1)
	v_add_co_ci_u32_e64 v7, s3, s15, v3, s3
	v_mov_b32_e32 v0, 0
	s_xor_b32 s3, vcc_lo, -1
	s_xor_b32 s2, s2, -1
	s_branch .LBB915_3
.LBB915_2:                              ;   in Loop: Header=BB915_3 Depth=1
	s_or_b32 exec_lo, exec_lo, s14
	s_waitcnt lgkmcnt(0)
	s_barrier
	buffer_gl0_inv
	ds_load_b128 v[32:35], v28
	ds_load_b128 v[36:39], v27
	ds_load_b128 v[40:43], v27 offset:256
	ds_load_b128 v[44:47], v28 offset:2048
	;; [unrolled: 1-line block ×9, first 2 shown]
	v_add_co_u32 v4, vcc_lo, 0x80, v4
	v_add_co_ci_u32_e32 v5, vcc_lo, 0, v5, vcc_lo
	v_add_co_u32 v6, vcc_lo, 0x80, v6
	v_add_co_ci_u32_e32 v7, vcc_lo, 0, v7, vcc_lo
	s_add_i32 s21, s21, 8
	s_delay_alu instid0(SALU_CYCLE_1)
	s_cmp_ge_i32 s21, s19
	s_waitcnt lgkmcnt(9)
	v_mul_f64 v[1:2], v[34:35], v[38:39]
	v_mul_f64 v[76:77], v[32:33], v[38:39]
	s_waitcnt lgkmcnt(8)
	v_mul_f64 v[78:79], v[34:35], v[42:43]
	v_mul_f64 v[80:81], v[32:33], v[42:43]
	;; [unrolled: 3-line block ×3, first 2 shown]
	v_mul_f64 v[84:85], v[46:47], v[42:43]
	v_mul_f64 v[42:43], v[44:45], v[42:43]
	s_waitcnt lgkmcnt(4)
	v_mul_f64 v[86:87], v[50:51], v[58:59]
	v_mul_f64 v[88:89], v[48:49], v[58:59]
	s_waitcnt lgkmcnt(3)
	v_mul_f64 v[90:91], v[50:51], v[62:63]
	v_mul_f64 v[92:93], v[48:49], v[62:63]
	;; [unrolled: 1-line block ×6, first 2 shown]
	s_waitcnt lgkmcnt(0)
	v_mul_f64 v[114:115], v[74:75], v[66:67]
	v_mul_f64 v[116:117], v[74:75], v[70:71]
	v_fma_f64 v[1:2], v[32:33], v[36:37], -v[1:2]
	v_fma_f64 v[98:99], v[34:35], v[36:37], v[76:77]
	v_fma_f64 v[100:101], v[32:33], v[40:41], -v[78:79]
	v_fma_f64 v[80:81], v[34:35], v[40:41], v[80:81]
	;; [unrolled: 2-line block ×4, first 2 shown]
	ds_load_b128 v[76:79], v28 offset:32
	v_fma_f64 v[86:87], v[48:49], v[56:57], -v[86:87]
	v_fma_f64 v[88:89], v[50:51], v[56:57], v[88:89]
	v_fma_f64 v[48:49], v[48:49], v[60:61], -v[90:91]
	v_fma_f64 v[50:51], v[50:51], v[60:61], v[92:93]
	;; [unrolled: 2-line block ×4, first 2 shown]
	ds_load_b128 v[32:35], v28 offset:48
	ds_load_b128 v[36:39], v28 offset:2096
	;; [unrolled: 1-line block ×4, first 2 shown]
	s_waitcnt lgkmcnt(4)
	v_mul_f64 v[106:107], v[78:79], v[66:67]
	v_mul_f64 v[108:109], v[76:77], v[66:67]
	;; [unrolled: 1-line block ×6, first 2 shown]
	s_waitcnt lgkmcnt(1)
	v_mul_f64 v[92:93], v[32:33], v[42:43]
	s_waitcnt lgkmcnt(0)
	v_mul_f64 v[94:95], v[34:35], v[46:47]
	v_add_f64 v[1:2], v[20:21], v[1:2]
	v_add_f64 v[20:21], v[22:23], v[98:99]
	;; [unrolled: 1-line block ×8, first 2 shown]
	v_mul_f64 v[84:85], v[34:35], v[42:43]
	v_mul_f64 v[96:97], v[32:33], v[46:47]
	v_mul_f64 v[98:99], v[38:39], v[42:43]
	v_mul_f64 v[42:43], v[36:37], v[42:43]
	v_mul_f64 v[100:101], v[38:39], v[46:47]
	v_mul_f64 v[102:103], v[36:37], v[46:47]
	ds_load_b128 v[8:11], v27 offset:2048
	ds_load_b128 v[12:15], v27 offset:2304
	;; [unrolled: 1-line block ×3, first 2 shown]
	v_fma_f64 v[104:105], v[76:77], v[64:65], -v[106:107]
	v_fma_f64 v[106:107], v[78:79], v[64:65], v[108:109]
	v_fma_f64 v[76:77], v[76:77], v[68:69], -v[110:111]
	v_fma_f64 v[78:79], v[78:79], v[68:69], v[112:113]
	;; [unrolled: 2-line block ×4, first 2 shown]
	s_waitcnt lgkmcnt(0)
	v_mul_f64 v[114:115], v[18:19], v[10:11]
	v_mul_f64 v[116:117], v[18:19], v[14:15]
	v_add_f64 v[1:2], v[1:2], v[86:87]
	v_add_f64 v[70:71], v[20:21], v[88:89]
	;; [unrolled: 1-line block ×8, first 2 shown]
	ds_load_b128 v[20:23], v28 offset:64
	v_fma_f64 v[84:85], v[32:33], v[40:41], -v[84:85]
	v_fma_f64 v[92:93], v[34:35], v[40:41], v[92:93]
	v_fma_f64 v[94:95], v[32:33], v[44:45], -v[94:95]
	v_fma_f64 v[96:97], v[34:35], v[44:45], v[96:97]
	;; [unrolled: 2-line block ×4, first 2 shown]
	ds_load_b128 v[46:49], v28 offset:80
	ds_load_b128 v[50:53], v28 offset:2128
	;; [unrolled: 1-line block ×7, first 2 shown]
	s_waitcnt lgkmcnt(7)
	v_mul_f64 v[88:89], v[22:23], v[10:11]
	v_mul_f64 v[90:91], v[20:21], v[10:11]
	;; [unrolled: 1-line block ×6, first 2 shown]
	s_waitcnt lgkmcnt(3)
	v_mul_f64 v[102:103], v[52:53], v[60:61]
	v_add_f64 v[1:2], v[1:2], v[104:105]
	v_add_f64 v[70:71], v[70:71], v[106:107]
	;; [unrolled: 1-line block ×8, first 2 shown]
	v_mul_f64 v[68:69], v[48:49], v[56:57]
	v_mul_f64 v[78:79], v[46:47], v[56:57]
	;; [unrolled: 1-line block ×7, first 2 shown]
	v_fma_f64 v[88:89], v[20:21], v[8:9], -v[88:89]
	v_fma_f64 v[90:91], v[22:23], v[8:9], v[90:91]
	v_fma_f64 v[106:107], v[20:21], v[12:13], -v[110:111]
	v_fma_f64 v[108:109], v[22:23], v[12:13], v[112:113]
	;; [unrolled: 2-line block ×4, first 2 shown]
	ds_load_b128 v[8:11], v28 offset:96
	v_add_f64 v[1:2], v[1:2], v[84:85]
	v_add_f64 v[70:71], v[70:71], v[92:93]
	;; [unrolled: 1-line block ×8, first 2 shown]
	s_waitcnt lgkmcnt(1)
	v_mul_f64 v[98:99], v[42:43], v[34:35]
	v_mul_f64 v[100:101], v[42:43], v[38:39]
	v_fma_f64 v[68:69], v[46:47], v[54:55], -v[68:69]
	v_fma_f64 v[78:79], v[48:49], v[54:55], v[78:79]
	v_fma_f64 v[46:47], v[46:47], v[58:59], -v[80:81]
	v_fma_f64 v[48:49], v[48:49], v[58:59], v[82:83]
	;; [unrolled: 2-line block ×4, first 2 shown]
	s_waitcnt lgkmcnt(0)
	v_mul_f64 v[66:67], v[10:11], v[34:35]
	v_mul_f64 v[92:93], v[8:9], v[34:35]
	;; [unrolled: 1-line block ×6, first 2 shown]
	ds_load_b128 v[12:15], v28 offset:112
	ds_load_b128 v[16:19], v28 offset:2160
	;; [unrolled: 1-line block ×4, first 2 shown]
	s_waitcnt lgkmcnt(0)
	s_barrier
	buffer_gl0_inv
	v_add_f64 v[1:2], v[1:2], v[88:89]
	v_add_f64 v[56:57], v[70:71], v[90:91]
	;; [unrolled: 1-line block ×8, first 2 shown]
	v_mul_f64 v[76:77], v[14:15], v[22:23]
	v_mul_f64 v[82:83], v[12:13], v[22:23]
	;; [unrolled: 1-line block ×8, first 2 shown]
	v_fma_f64 v[66:67], v[8:9], v[32:33], -v[66:67]
	v_fma_f64 v[92:93], v[10:11], v[32:33], v[92:93]
	v_fma_f64 v[8:9], v[8:9], v[36:37], -v[94:95]
	v_fma_f64 v[10:11], v[10:11], v[36:37], v[96:97]
	v_fma_f64 v[94:95], v[40:41], v[32:33], -v[98:99]
	v_fma_f64 v[32:33], v[42:43], v[32:33], v[34:35]
	v_fma_f64 v[34:35], v[40:41], v[36:37], -v[100:101]
	v_fma_f64 v[36:37], v[42:43], v[36:37], v[38:39]
	v_add_f64 v[1:2], v[1:2], v[68:69]
	v_add_f64 v[38:39], v[56:57], v[78:79]
	;; [unrolled: 1-line block ×8, first 2 shown]
	v_fma_f64 v[52:53], v[12:13], v[20:21], -v[76:77]
	v_fma_f64 v[54:55], v[14:15], v[20:21], v[82:83]
	v_fma_f64 v[12:13], v[12:13], v[60:61], -v[84:85]
	v_fma_f64 v[14:15], v[14:15], v[60:61], v[86:87]
	;; [unrolled: 2-line block ×4, first 2 shown]
	v_add_f64 v[1:2], v[1:2], v[66:67]
	v_add_f64 v[16:17], v[38:39], v[92:93]
	;; [unrolled: 1-line block ×16, first 2 shown]
	s_cbranch_scc1 .LBB915_11
.LBB915_3:                              ; =>This Inner Loop Header: Depth=1
	v_add_nc_u32_e32 v1, s21, v29
	s_delay_alu instid0(VALU_DEP_1) | instskip(SKIP_1) | instid1(SALU_CYCLE_1)
	v_cmp_le_i32_e32 vcc_lo, s19, v1
	s_or_b32 s14, s3, vcc_lo
	s_and_saveexec_b32 s15, s14
	s_delay_alu instid0(SALU_CYCLE_1)
	s_xor_b32 s14, exec_lo, s15
	s_cbranch_execz .LBB915_5
; %bb.4:                                ;   in Loop: Header=BB915_3 Depth=1
	v_mov_b32_e32 v1, v0
	v_mov_b32_e32 v2, v0
	;; [unrolled: 1-line block ×3, first 2 shown]
	ds_store_b128 v30, v[0:3]
.LBB915_5:                              ;   in Loop: Header=BB915_3 Depth=1
	s_and_not1_saveexec_b32 s14, s14
	s_cbranch_execz .LBB915_7
; %bb.6:                                ;   in Loop: Header=BB915_3 Depth=1
	global_load_b128 v[32:35], v[4:5], off
	s_waitcnt vmcnt(0)
	ds_store_2addr_b64 v30, v[32:33], v[34:35] offset1:1
.LBB915_7:                              ;   in Loop: Header=BB915_3 Depth=1
	s_or_b32 exec_lo, exec_lo, s14
	v_add_nc_u32_e32 v1, s21, v26
	s_delay_alu instid0(VALU_DEP_1) | instskip(SKIP_1) | instid1(SALU_CYCLE_1)
	v_cmp_le_i32_e32 vcc_lo, s19, v1
	s_or_b32 s14, vcc_lo, s2
	s_and_saveexec_b32 s15, s14
	s_delay_alu instid0(SALU_CYCLE_1)
	s_xor_b32 s14, exec_lo, s15
	s_cbranch_execz .LBB915_9
; %bb.8:                                ;   in Loop: Header=BB915_3 Depth=1
	v_mov_b32_e32 v1, v0
	v_mov_b32_e32 v2, v0
	;; [unrolled: 1-line block ×3, first 2 shown]
	ds_store_b128 v31, v[0:3]
.LBB915_9:                              ;   in Loop: Header=BB915_3 Depth=1
	s_and_not1_saveexec_b32 s14, s14
	s_cbranch_execz .LBB915_2
; %bb.10:                               ;   in Loop: Header=BB915_3 Depth=1
	global_load_b128 v[32:35], v[6:7], off
	s_waitcnt vmcnt(0)
	ds_store_2addr_b64 v31, v[32:33], v[34:35] offset1:1
	s_branch .LBB915_2
.LBB915_11:
	s_load_b32 s2, s[0:1], 0x60
	v_add_nc_u32_e32 v4, s13, v25
	v_add_nc_u32_e32 v0, s12, v24
	s_delay_alu instid0(VALU_DEP_1) | instskip(SKIP_1) | instid1(VALU_DEP_2)
	v_cmp_le_i32_e64 s0, v4, v0
	v_cmp_gt_i32_e32 vcc_lo, s18, v0
	s_and_b32 s0, s0, vcc_lo
	s_waitcnt lgkmcnt(0)
	v_mad_i64_i32 v[1:2], null, v4, s2, 0
	s_delay_alu instid0(VALU_DEP_1) | instskip(NEXT) | instid1(VALU_DEP_1)
	v_lshlrev_b64 v[1:2], 4, v[1:2]
	v_add_co_u32 v5, s1, s16, v1
	s_delay_alu instid0(VALU_DEP_1)
	v_add_co_ci_u32_e64 v6, s1, s17, v2, s1
	s_and_saveexec_b32 s1, s0
	s_cbranch_execz .LBB915_13
; %bb.12:
	v_ashrrev_i32_e32 v1, 31, v0
	v_mul_f64 v[28:29], s[4:5], v[22:23]
	v_mul_f64 v[22:23], s[6:7], v[22:23]
	s_delay_alu instid0(VALU_DEP_3) | instskip(NEXT) | instid1(VALU_DEP_1)
	v_lshlrev_b64 v[1:2], 4, v[0:1]
	v_add_co_u32 v1, s0, v5, v1
	s_delay_alu instid0(VALU_DEP_1)
	v_add_co_ci_u32_e64 v2, s0, v6, v2, s0
	v_cmp_ne_u32_e64 s0, v4, v0
	global_load_b128 v[24:27], v[1:2], off
	v_fma_f64 v[28:29], s[6:7], v[20:21], v[28:29]
	v_fma_f64 v[20:21], s[4:5], v[20:21], -v[22:23]
	s_waitcnt vmcnt(0)
	v_mul_f64 v[30:31], s[8:9], v[26:27]
	v_mul_f64 v[26:27], s[10:11], v[26:27]
	s_delay_alu instid0(VALU_DEP_2) | instskip(NEXT) | instid1(VALU_DEP_2)
	v_fma_f64 v[30:31], s[10:11], v[24:25], v[30:31]
	v_fma_f64 v[22:23], s[8:9], v[24:25], -v[26:27]
	s_delay_alu instid0(VALU_DEP_2) | instskip(NEXT) | instid1(VALU_DEP_2)
	v_add_f64 v[24:25], v[28:29], v[30:31]
	v_add_f64 v[20:21], v[20:21], v[22:23]
	s_delay_alu instid0(VALU_DEP_2) | instskip(NEXT) | instid1(VALU_DEP_3)
	v_cndmask_b32_e64 v23, 0, v25, s0
	v_cndmask_b32_e64 v22, 0, v24, s0
	global_store_b128 v[1:2], v[20:23], off
.LBB915_13:
	s_or_b32 exec_lo, exec_lo, s1
	v_add_nc_u32_e32 v2, 16, v0
	s_delay_alu instid0(VALU_DEP_1) | instskip(SKIP_1) | instid1(VALU_DEP_1)
	v_cmp_le_i32_e64 s1, v4, v2
	v_cmp_gt_i32_e64 s0, s18, v2
	s_and_b32 s1, s1, s0
	s_delay_alu instid0(SALU_CYCLE_1)
	s_and_saveexec_b32 s3, s1
	s_cbranch_execz .LBB915_15
; %bb.14:
	v_ashrrev_i32_e32 v3, 31, v2
	v_mul_f64 v[24:25], s[4:5], v[18:19]
	v_mul_f64 v[18:19], s[6:7], v[18:19]
	s_delay_alu instid0(VALU_DEP_3) | instskip(NEXT) | instid1(VALU_DEP_1)
	v_lshlrev_b64 v[20:21], 4, v[2:3]
	v_add_co_u32 v5, s1, v5, v20
	s_delay_alu instid0(VALU_DEP_1)
	v_add_co_ci_u32_e64 v6, s1, v6, v21, s1
	v_cmp_ne_u32_e64 s1, v4, v2
	global_load_b128 v[20:23], v[5:6], off
	v_fma_f64 v[24:25], s[6:7], v[16:17], v[24:25]
	v_fma_f64 v[16:17], s[4:5], v[16:17], -v[18:19]
	s_waitcnt vmcnt(0)
	v_mul_f64 v[26:27], s[8:9], v[22:23]
	v_mul_f64 v[22:23], s[10:11], v[22:23]
	s_delay_alu instid0(VALU_DEP_2) | instskip(NEXT) | instid1(VALU_DEP_2)
	v_fma_f64 v[26:27], s[10:11], v[20:21], v[26:27]
	v_fma_f64 v[18:19], s[8:9], v[20:21], -v[22:23]
	s_delay_alu instid0(VALU_DEP_2) | instskip(NEXT) | instid1(VALU_DEP_2)
	v_add_f64 v[20:21], v[24:25], v[26:27]
	v_add_f64 v[16:17], v[16:17], v[18:19]
	s_delay_alu instid0(VALU_DEP_2) | instskip(NEXT) | instid1(VALU_DEP_3)
	v_cndmask_b32_e64 v19, 0, v21, s1
	v_cndmask_b32_e64 v18, 0, v20, s1
	global_store_b128 v[5:6], v[16:19], off
.LBB915_15:
	s_or_b32 exec_lo, exec_lo, s3
	v_add_nc_u32_e32 v3, 16, v4
	s_delay_alu instid0(VALU_DEP_1) | instskip(SKIP_1) | instid1(VALU_DEP_2)
	v_mad_i64_i32 v[5:6], null, v3, s2, 0
	v_cmp_le_i32_e64 s1, v3, v0
	v_lshlrev_b64 v[5:6], 4, v[5:6]
	s_delay_alu instid0(VALU_DEP_1) | instskip(NEXT) | instid1(VALU_DEP_1)
	v_add_co_u32 v5, s2, s16, v5
	v_add_co_ci_u32_e64 v6, s2, s17, v6, s2
	s_delay_alu instid0(VALU_DEP_4) | instskip(NEXT) | instid1(SALU_CYCLE_1)
	s_and_b32 s2, s1, vcc_lo
	s_and_saveexec_b32 s1, s2
	s_cbranch_execz .LBB915_17
; %bb.16:
	v_ashrrev_i32_e32 v1, 31, v0
	v_mul_f64 v[22:23], s[4:5], v[14:15]
	v_mul_f64 v[14:15], s[6:7], v[14:15]
	s_delay_alu instid0(VALU_DEP_3) | instskip(NEXT) | instid1(VALU_DEP_1)
	v_lshlrev_b64 v[16:17], 4, v[0:1]
	v_add_co_u32 v20, vcc_lo, v5, v16
	s_delay_alu instid0(VALU_DEP_2)
	v_add_co_ci_u32_e32 v21, vcc_lo, v6, v17, vcc_lo
	v_cmp_ne_u32_e32 vcc_lo, v3, v0
	global_load_b128 v[16:19], v[20:21], off
	v_fma_f64 v[22:23], s[6:7], v[12:13], v[22:23]
	v_fma_f64 v[12:13], s[4:5], v[12:13], -v[14:15]
	s_waitcnt vmcnt(0)
	v_mul_f64 v[24:25], s[8:9], v[18:19]
	v_mul_f64 v[18:19], s[10:11], v[18:19]
	s_delay_alu instid0(VALU_DEP_2) | instskip(NEXT) | instid1(VALU_DEP_2)
	v_fma_f64 v[24:25], s[10:11], v[16:17], v[24:25]
	v_fma_f64 v[14:15], s[8:9], v[16:17], -v[18:19]
	s_delay_alu instid0(VALU_DEP_2) | instskip(NEXT) | instid1(VALU_DEP_2)
	v_add_f64 v[16:17], v[22:23], v[24:25]
	v_add_f64 v[12:13], v[12:13], v[14:15]
	s_delay_alu instid0(VALU_DEP_2)
	v_dual_cndmask_b32 v15, 0, v17 :: v_dual_cndmask_b32 v14, 0, v16
	global_store_b128 v[20:21], v[12:15], off
.LBB915_17:
	s_or_b32 exec_lo, exec_lo, s1
	v_cmp_le_i32_e32 vcc_lo, v3, v2
	s_and_b32 s0, vcc_lo, s0
	s_delay_alu instid0(SALU_CYCLE_1)
	s_and_saveexec_b32 s1, s0
	s_cbranch_execz .LBB915_19
; %bb.18:
	v_ashrrev_i32_e32 v3, 31, v2
	s_delay_alu instid0(VALU_DEP_1) | instskip(NEXT) | instid1(VALU_DEP_1)
	v_lshlrev_b64 v[1:2], 4, v[2:3]
	v_add_co_u32 v5, vcc_lo, v5, v1
	s_delay_alu instid0(VALU_DEP_2)
	v_add_co_ci_u32_e32 v6, vcc_lo, v6, v2, vcc_lo
	v_mul_f64 v[1:2], s[4:5], v[8:9]
	v_mul_f64 v[7:8], s[6:7], v[8:9]
	v_cmp_ne_u32_e32 vcc_lo, v4, v0
	global_load_b128 v[12:15], v[5:6], off
	v_fma_f64 v[1:2], s[6:7], v[10:11], v[1:2]
	v_fma_f64 v[7:8], s[4:5], v[10:11], -v[7:8]
	s_waitcnt vmcnt(0)
	v_mul_f64 v[16:17], s[8:9], v[14:15]
	v_mul_f64 v[14:15], s[10:11], v[14:15]
	s_delay_alu instid0(VALU_DEP_2) | instskip(NEXT) | instid1(VALU_DEP_2)
	v_fma_f64 v[16:17], s[10:11], v[12:13], v[16:17]
	v_fma_f64 v[9:10], s[8:9], v[12:13], -v[14:15]
	s_delay_alu instid0(VALU_DEP_2) | instskip(NEXT) | instid1(VALU_DEP_2)
	v_add_f64 v[11:12], v[1:2], v[16:17]
	v_add_f64 v[1:2], v[7:8], v[9:10]
	s_delay_alu instid0(VALU_DEP_2)
	v_dual_cndmask_b32 v4, 0, v12 :: v_dual_cndmask_b32 v3, 0, v11
	global_store_b128 v[5:6], v[1:4], off
.LBB915_19:
	s_nop 0
	s_sendmsg sendmsg(MSG_DEALLOC_VGPRS)
	s_endpgm
	.section	.rodata,"a",@progbits
	.p2align	6, 0x0
	.amdhsa_kernel _ZL34rocblas_syrkx_herkx_general_kernelIi19rocblas_complex_numIdELi16ELi32ELi8ELb0ELb1ELc84ELc76EKPKS1_KPS1_EviT_T0_PT8_S7_lSA_S7_lS8_PT9_S7_li
		.amdhsa_group_segment_fixed_size 8192
		.amdhsa_private_segment_fixed_size 0
		.amdhsa_kernarg_size 116
		.amdhsa_user_sgpr_count 13
		.amdhsa_user_sgpr_dispatch_ptr 0
		.amdhsa_user_sgpr_queue_ptr 0
		.amdhsa_user_sgpr_kernarg_segment_ptr 1
		.amdhsa_user_sgpr_dispatch_id 0
		.amdhsa_user_sgpr_private_segment_size 0
		.amdhsa_wavefront_size32 1
		.amdhsa_uses_dynamic_stack 0
		.amdhsa_enable_private_segment 0
		.amdhsa_system_sgpr_workgroup_id_x 1
		.amdhsa_system_sgpr_workgroup_id_y 1
		.amdhsa_system_sgpr_workgroup_id_z 1
		.amdhsa_system_sgpr_workgroup_info 0
		.amdhsa_system_vgpr_workitem_id 1
		.amdhsa_next_free_vgpr 120
		.amdhsa_next_free_sgpr 25
		.amdhsa_reserve_vcc 1
		.amdhsa_float_round_mode_32 0
		.amdhsa_float_round_mode_16_64 0
		.amdhsa_float_denorm_mode_32 3
		.amdhsa_float_denorm_mode_16_64 3
		.amdhsa_dx10_clamp 1
		.amdhsa_ieee_mode 1
		.amdhsa_fp16_overflow 0
		.amdhsa_workgroup_processor_mode 1
		.amdhsa_memory_ordered 1
		.amdhsa_forward_progress 0
		.amdhsa_shared_vgpr_count 0
		.amdhsa_exception_fp_ieee_invalid_op 0
		.amdhsa_exception_fp_denorm_src 0
		.amdhsa_exception_fp_ieee_div_zero 0
		.amdhsa_exception_fp_ieee_overflow 0
		.amdhsa_exception_fp_ieee_underflow 0
		.amdhsa_exception_fp_ieee_inexact 0
		.amdhsa_exception_int_div_zero 0
	.end_amdhsa_kernel
	.section	.text._ZL34rocblas_syrkx_herkx_general_kernelIi19rocblas_complex_numIdELi16ELi32ELi8ELb0ELb1ELc84ELc76EKPKS1_KPS1_EviT_T0_PT8_S7_lSA_S7_lS8_PT9_S7_li,"axG",@progbits,_ZL34rocblas_syrkx_herkx_general_kernelIi19rocblas_complex_numIdELi16ELi32ELi8ELb0ELb1ELc84ELc76EKPKS1_KPS1_EviT_T0_PT8_S7_lSA_S7_lS8_PT9_S7_li,comdat
.Lfunc_end915:
	.size	_ZL34rocblas_syrkx_herkx_general_kernelIi19rocblas_complex_numIdELi16ELi32ELi8ELb0ELb1ELc84ELc76EKPKS1_KPS1_EviT_T0_PT8_S7_lSA_S7_lS8_PT9_S7_li, .Lfunc_end915-_ZL34rocblas_syrkx_herkx_general_kernelIi19rocblas_complex_numIdELi16ELi32ELi8ELb0ELb1ELc84ELc76EKPKS1_KPS1_EviT_T0_PT8_S7_lSA_S7_lS8_PT9_S7_li
                                        ; -- End function
	.section	.AMDGPU.csdata,"",@progbits
; Kernel info:
; codeLenInByte = 3536
; NumSgprs: 27
; NumVgprs: 120
; ScratchSize: 0
; MemoryBound: 0
; FloatMode: 240
; IeeeMode: 1
; LDSByteSize: 8192 bytes/workgroup (compile time only)
; SGPRBlocks: 3
; VGPRBlocks: 14
; NumSGPRsForWavesPerEU: 27
; NumVGPRsForWavesPerEU: 120
; Occupancy: 12
; WaveLimiterHint : 1
; COMPUTE_PGM_RSRC2:SCRATCH_EN: 0
; COMPUTE_PGM_RSRC2:USER_SGPR: 13
; COMPUTE_PGM_RSRC2:TRAP_HANDLER: 0
; COMPUTE_PGM_RSRC2:TGID_X_EN: 1
; COMPUTE_PGM_RSRC2:TGID_Y_EN: 1
; COMPUTE_PGM_RSRC2:TGID_Z_EN: 1
; COMPUTE_PGM_RSRC2:TIDIG_COMP_CNT: 1
	.section	.text._ZL34rocblas_syrkx_herkx_general_kernelIi19rocblas_complex_numIdELi16ELi32ELi8ELb0ELb1ELc67ELc76EKPKS1_KPS1_EviT_T0_PT8_S7_lSA_S7_lS8_PT9_S7_li,"axG",@progbits,_ZL34rocblas_syrkx_herkx_general_kernelIi19rocblas_complex_numIdELi16ELi32ELi8ELb0ELb1ELc67ELc76EKPKS1_KPS1_EviT_T0_PT8_S7_lSA_S7_lS8_PT9_S7_li,comdat
	.globl	_ZL34rocblas_syrkx_herkx_general_kernelIi19rocblas_complex_numIdELi16ELi32ELi8ELb0ELb1ELc67ELc76EKPKS1_KPS1_EviT_T0_PT8_S7_lSA_S7_lS8_PT9_S7_li ; -- Begin function _ZL34rocblas_syrkx_herkx_general_kernelIi19rocblas_complex_numIdELi16ELi32ELi8ELb0ELb1ELc67ELc76EKPKS1_KPS1_EviT_T0_PT8_S7_lSA_S7_lS8_PT9_S7_li
	.p2align	8
	.type	_ZL34rocblas_syrkx_herkx_general_kernelIi19rocblas_complex_numIdELi16ELi32ELi8ELb0ELb1ELc67ELc76EKPKS1_KPS1_EviT_T0_PT8_S7_lSA_S7_lS8_PT9_S7_li,@function
_ZL34rocblas_syrkx_herkx_general_kernelIi19rocblas_complex_numIdELi16ELi32ELi8ELb0ELb1ELc67ELc76EKPKS1_KPS1_EviT_T0_PT8_S7_lSA_S7_lS8_PT9_S7_li: ; @_ZL34rocblas_syrkx_herkx_general_kernelIi19rocblas_complex_numIdELi16ELi32ELi8ELb0ELb1ELc67ELc76EKPKS1_KPS1_EviT_T0_PT8_S7_lSA_S7_lS8_PT9_S7_li
; %bb.0:
	s_load_b64 s[8:9], s[0:1], 0x58
	s_mov_b32 s20, s15
	s_mov_b32 s21, 0
	s_clause 0x1
	s_load_b64 s[18:19], s[0:1], 0x0
	s_load_b128 s[4:7], s[0:1], 0x8
	s_lshl_b64 s[2:3], s[20:21], 3
	v_mov_b32_e32 v23, 0
	v_dual_mov_b32 v24, 0 :: v_dual_and_b32 v27, 0x3ff, v0
	v_bfe_u32 v28, v0, 10, 10
	s_delay_alu instid0(VALU_DEP_3) | instskip(NEXT) | instid1(VALU_DEP_3)
	v_mov_b32_e32 v19, v23
	v_dual_mov_b32 v21, v23 :: v_dual_mov_b32 v22, v24
	v_dual_mov_b32 v26, v24 :: v_dual_mov_b32 v25, v23
	;; [unrolled: 1-line block ×5, first 2 shown]
	v_mov_b32_e32 v12, v24
	s_waitcnt lgkmcnt(0)
	s_add_u32 s16, s8, s2
	s_addc_u32 s17, s9, s3
	s_clause 0x1
	s_load_b64 s[22:23], s[0:1], 0x18
	s_load_b128 s[8:11], s[0:1], 0x48
	s_load_b64 s[16:17], s[16:17], 0x0
	v_dual_mov_b32 v13, v23 :: v_dual_mov_b32 v14, v24
	s_lshl_b32 s12, s13, 5
	s_lshl_b32 s13, s14, 5
	s_cmp_lt_i32 s19, 1
	s_cbranch_scc1 .LBB916_9
; %bb.1:
	s_clause 0x1
	s_load_b64 s[14:15], s[0:1], 0x30
	s_load_b32 s20, s[0:1], 0x20
	v_lshl_add_u32 v0, v28, 4, v27
	s_load_b32 s24, s[0:1], 0x38
	v_dual_mov_b32 v5, 0 :: v_dual_lshlrev_b32 v30, 4, v27
	v_dual_mov_b32 v6, 0 :: v_dual_and_b32 v29, 7, v27
	s_delay_alu instid0(VALU_DEP_3) | instskip(SKIP_2) | instid1(VALU_DEP_4)
	v_and_b32_e32 v2, 31, v0
	v_lshrrev_b32_e32 v3, 3, v0
	v_lshrrev_b32_e32 v32, 5, v0
	v_lshlrev_b32_e32 v4, 4, v29
	v_dual_mov_b32 v14, v6 :: v_dual_mov_b32 v13, v5
	v_add_nc_u32_e32 v7, s12, v2
	v_add_nc_u32_e32 v8, s13, v3
	v_mov_b32_e32 v12, v6
	v_mov_b32_e32 v18, v6
	v_dual_mov_b32 v16, v6 :: v_dual_mov_b32 v11, v5
	s_waitcnt lgkmcnt(0)
	s_add_u32 s14, s14, s2
	s_addc_u32 s15, s15, s3
	s_add_u32 s2, s22, s2
	s_addc_u32 s3, s23, s3
	v_mad_i64_i32 v[0:1], null, s20, v7, 0
	s_load_b64 s[22:23], s[2:3], 0x0
	v_or_b32_e32 v7, s12, v2
	v_dual_mov_b32 v17, v5 :: v_dual_lshlrev_b32 v2, 4, v2
	v_lshl_or_b32 v9, v3, 7, v4
	s_load_b64 s[14:15], s[14:15], 0x0
	s_delay_alu instid0(VALU_DEP_4) | instskip(NEXT) | instid1(VALU_DEP_3)
	v_lshlrev_b64 v[0:1], 4, v[0:1]
	v_lshl_or_b32 v33, v32, 9, v2
	v_mov_b32_e32 v15, v5
	v_mad_i64_i32 v[2:3], null, s24, v8, 0
	v_lshlrev_b32_e32 v10, 4, v32
	v_dual_mov_b32 v22, v6 :: v_dual_mov_b32 v21, v5
	v_cmp_gt_i32_e32 vcc_lo, s18, v7
	v_cmp_gt_i32_e64 s2, s18, v8
	s_delay_alu instid0(VALU_DEP_4) | instskip(NEXT) | instid1(VALU_DEP_1)
	v_add_co_u32 v7, s3, v0, v10
	v_add_co_ci_u32_e64 v8, s3, 0, v1, s3
	v_lshlrev_b64 v[0:1], 4, v[2:3]
	s_waitcnt lgkmcnt(0)
	s_delay_alu instid0(VALU_DEP_3) | instskip(NEXT) | instid1(VALU_DEP_1)
	v_add_co_u32 v2, s3, v7, s22
	v_add_co_ci_u32_e64 v3, s3, s23, v8, s3
	v_add_nc_u32_e32 v34, 0x1000, v9
	s_delay_alu instid0(VALU_DEP_4) | instskip(NEXT) | instid1(VALU_DEP_1)
	v_add_co_u32 v0, s3, v0, v4
	v_add_co_ci_u32_e64 v1, s3, 0, v1, s3
	v_add_co_u32 v7, s3, v2, 8
	s_delay_alu instid0(VALU_DEP_1) | instskip(NEXT) | instid1(VALU_DEP_4)
	v_add_co_ci_u32_e64 v8, s3, 0, v3, s3
	v_add_co_u32 v9, s3, s14, v0
	v_dual_mov_b32 v20, v6 :: v_dual_mov_b32 v19, v5
	v_mov_b32_e32 v26, v6
	v_mov_b32_e32 v24, v6
	v_lshl_add_u32 v31, v28, 7, 0x1000
	v_add_co_ci_u32_e64 v10, s3, s15, v1, s3
	v_dual_mov_b32 v0, 0 :: v_dual_mov_b32 v25, v5
	v_mov_b32_e32 v23, v5
	s_xor_b32 s3, s2, -1
	s_branch .LBB916_3
.LBB916_2:                              ;   in Loop: Header=BB916_3 Depth=1
	s_or_b32 exec_lo, exec_lo, s2
	s_waitcnt lgkmcnt(0)
	s_barrier
	buffer_gl0_inv
	ds_load_b128 v[1:4], v31
	ds_load_b128 v[35:38], v30
	ds_load_b128 v[39:42], v30 offset:256
	ds_load_b128 v[43:46], v31 offset:2048
	;; [unrolled: 1-line block ×9, first 2 shown]
	v_add_co_u32 v7, s2, 0x80, v7
	s_delay_alu instid0(VALU_DEP_1) | instskip(SKIP_1) | instid1(VALU_DEP_1)
	v_add_co_ci_u32_e64 v8, s2, 0, v8, s2
	v_add_co_u32 v9, s2, 0x80, v9
	v_add_co_ci_u32_e64 v10, s2, 0, v10, s2
	s_add_i32 s21, s21, 8
	s_delay_alu instid0(SALU_CYCLE_1)
	s_cmp_ge_i32 s21, s19
	s_waitcnt lgkmcnt(9)
	v_mul_f64 v[75:76], v[3:4], v[37:38]
	v_mul_f64 v[77:78], v[1:2], v[37:38]
	s_waitcnt lgkmcnt(8)
	v_mul_f64 v[79:80], v[3:4], v[41:42]
	v_mul_f64 v[81:82], v[1:2], v[41:42]
	;; [unrolled: 3-line block ×3, first 2 shown]
	v_mul_f64 v[85:86], v[45:46], v[41:42]
	v_mul_f64 v[41:42], v[43:44], v[41:42]
	s_waitcnt lgkmcnt(4)
	v_mul_f64 v[87:88], v[49:50], v[57:58]
	v_mul_f64 v[89:90], v[47:48], v[57:58]
	s_waitcnt lgkmcnt(3)
	v_mul_f64 v[91:92], v[49:50], v[61:62]
	v_mul_f64 v[93:94], v[47:48], v[61:62]
	;; [unrolled: 1-line block ×6, first 2 shown]
	s_waitcnt lgkmcnt(0)
	v_mul_f64 v[115:116], v[73:74], v[65:66]
	v_mul_f64 v[117:118], v[73:74], v[69:70]
	v_fma_f64 v[99:100], v[1:2], v[35:36], -v[75:76]
	v_fma_f64 v[101:102], v[3:4], v[35:36], v[77:78]
	v_fma_f64 v[79:80], v[1:2], v[39:40], -v[79:80]
	v_fma_f64 v[81:82], v[3:4], v[39:40], v[81:82]
	;; [unrolled: 2-line block ×4, first 2 shown]
	ds_load_b128 v[75:78], v31 offset:32
	v_fma_f64 v[87:88], v[47:48], v[55:56], -v[87:88]
	v_fma_f64 v[89:90], v[49:50], v[55:56], v[89:90]
	v_fma_f64 v[47:48], v[47:48], v[59:60], -v[91:92]
	v_fma_f64 v[49:50], v[49:50], v[59:60], v[93:94]
	;; [unrolled: 2-line block ×4, first 2 shown]
	ds_load_b128 v[1:4], v31 offset:48
	ds_load_b128 v[35:38], v31 offset:2096
	;; [unrolled: 1-line block ×4, first 2 shown]
	s_waitcnt lgkmcnt(4)
	v_mul_f64 v[107:108], v[77:78], v[65:66]
	v_mul_f64 v[109:110], v[75:76], v[65:66]
	;; [unrolled: 1-line block ×6, first 2 shown]
	s_waitcnt lgkmcnt(1)
	v_mul_f64 v[93:94], v[1:2], v[41:42]
	s_waitcnt lgkmcnt(0)
	v_mul_f64 v[95:96], v[3:4], v[45:46]
	v_add_f64 v[23:24], v[23:24], v[99:100]
	v_add_f64 v[25:26], v[25:26], v[101:102]
	;; [unrolled: 1-line block ×8, first 2 shown]
	v_mul_f64 v[85:86], v[3:4], v[41:42]
	v_mul_f64 v[97:98], v[1:2], v[45:46]
	;; [unrolled: 1-line block ×6, first 2 shown]
	ds_load_b128 v[11:14], v30 offset:2048
	ds_load_b128 v[15:18], v30 offset:2304
	;; [unrolled: 1-line block ×3, first 2 shown]
	v_fma_f64 v[105:106], v[75:76], v[63:64], -v[107:108]
	v_fma_f64 v[107:108], v[77:78], v[63:64], v[109:110]
	v_fma_f64 v[75:76], v[75:76], v[67:68], -v[111:112]
	v_fma_f64 v[77:78], v[77:78], v[67:68], v[113:114]
	;; [unrolled: 2-line block ×4, first 2 shown]
	s_waitcnt lgkmcnt(0)
	v_mul_f64 v[115:116], v[21:22], v[13:14]
	v_mul_f64 v[117:118], v[21:22], v[17:18]
	v_add_f64 v[69:70], v[23:24], v[87:88]
	v_add_f64 v[71:72], v[25:26], v[89:90]
	;; [unrolled: 1-line block ×8, first 2 shown]
	ds_load_b128 v[23:26], v31 offset:64
	v_fma_f64 v[85:86], v[1:2], v[39:40], -v[85:86]
	v_fma_f64 v[93:94], v[3:4], v[39:40], v[93:94]
	v_fma_f64 v[95:96], v[1:2], v[43:44], -v[95:96]
	v_fma_f64 v[97:98], v[3:4], v[43:44], v[97:98]
	;; [unrolled: 2-line block ×4, first 2 shown]
	ds_load_b128 v[45:48], v31 offset:80
	ds_load_b128 v[49:52], v31 offset:2128
	ds_load_b128 v[53:56], v30 offset:2560
	ds_load_b128 v[57:60], v30 offset:2816
	ds_load_b128 v[1:4], v30 offset:3072
	ds_load_b128 v[35:38], v30 offset:3328
	ds_load_b128 v[39:42], v31 offset:2144
	s_waitcnt lgkmcnt(7)
	v_mul_f64 v[89:90], v[25:26], v[13:14]
	v_mul_f64 v[91:92], v[23:24], v[13:14]
	;; [unrolled: 1-line block ×6, first 2 shown]
	s_waitcnt lgkmcnt(3)
	v_mul_f64 v[103:104], v[51:52], v[59:60]
	v_add_f64 v[69:70], v[69:70], v[105:106]
	v_add_f64 v[71:72], v[71:72], v[107:108]
	;; [unrolled: 1-line block ×8, first 2 shown]
	v_mul_f64 v[77:78], v[47:48], v[55:56]
	v_mul_f64 v[79:80], v[45:46], v[55:56]
	;; [unrolled: 1-line block ×7, first 2 shown]
	v_fma_f64 v[89:90], v[23:24], v[11:12], -v[89:90]
	v_fma_f64 v[91:92], v[25:26], v[11:12], v[91:92]
	v_fma_f64 v[107:108], v[23:24], v[15:16], -v[111:112]
	v_fma_f64 v[109:110], v[25:26], v[15:16], v[113:114]
	;; [unrolled: 2-line block ×4, first 2 shown]
	ds_load_b128 v[11:14], v31 offset:96
	v_add_f64 v[69:70], v[69:70], v[85:86]
	v_add_f64 v[71:72], v[71:72], v[93:94]
	;; [unrolled: 1-line block ×8, first 2 shown]
	s_waitcnt lgkmcnt(1)
	v_mul_f64 v[99:100], v[41:42], v[3:4]
	v_mul_f64 v[101:102], v[41:42], v[37:38]
	v_fma_f64 v[77:78], v[45:46], v[53:54], -v[77:78]
	v_fma_f64 v[79:80], v[47:48], v[53:54], v[79:80]
	v_fma_f64 v[45:46], v[45:46], v[57:58], -v[81:82]
	v_fma_f64 v[47:48], v[47:48], v[57:58], v[83:84]
	;; [unrolled: 2-line block ×4, first 2 shown]
	s_waitcnt lgkmcnt(0)
	v_mul_f64 v[67:68], v[13:14], v[3:4]
	v_mul_f64 v[93:94], v[11:12], v[3:4]
	;; [unrolled: 1-line block ×6, first 2 shown]
	ds_load_b128 v[15:18], v31 offset:112
	ds_load_b128 v[19:22], v31 offset:2160
	;; [unrolled: 1-line block ×4, first 2 shown]
	s_waitcnt lgkmcnt(0)
	s_barrier
	buffer_gl0_inv
	v_add_f64 v[55:56], v[69:70], v[89:90]
	v_add_f64 v[57:58], v[71:72], v[91:92]
	;; [unrolled: 1-line block ×8, first 2 shown]
	v_mul_f64 v[75:76], v[17:18], v[25:26]
	v_mul_f64 v[83:84], v[15:16], v[25:26]
	;; [unrolled: 1-line block ×8, first 2 shown]
	v_fma_f64 v[67:68], v[11:12], v[1:2], -v[67:68]
	v_fma_f64 v[93:94], v[13:14], v[1:2], v[93:94]
	v_fma_f64 v[11:12], v[11:12], v[35:36], -v[95:96]
	v_fma_f64 v[13:14], v[13:14], v[35:36], v[97:98]
	;; [unrolled: 2-line block ×4, first 2 shown]
	v_add_f64 v[37:38], v[55:56], v[77:78]
	v_add_f64 v[39:40], v[57:58], v[79:80]
	;; [unrolled: 1-line block ×8, first 2 shown]
	v_fma_f64 v[51:52], v[15:16], v[23:24], -v[75:76]
	v_fma_f64 v[55:56], v[17:18], v[23:24], v[83:84]
	v_fma_f64 v[15:16], v[15:16], v[59:60], -v[85:86]
	v_fma_f64 v[17:18], v[17:18], v[59:60], v[87:88]
	;; [unrolled: 2-line block ×4, first 2 shown]
	v_add_f64 v[19:20], v[37:38], v[67:68]
	v_add_f64 v[21:22], v[39:40], v[93:94]
	;; [unrolled: 1-line block ×16, first 2 shown]
	s_cbranch_scc1 .LBB916_9
.LBB916_3:                              ; =>This Inner Loop Header: Depth=1
	v_add_nc_u32_e32 v1, s21, v32
	v_dual_mov_b32 v3, v5 :: v_dual_mov_b32 v4, v6
	s_delay_alu instid0(VALU_DEP_2) | instskip(SKIP_1) | instid1(VALU_DEP_2)
	v_cmp_gt_i32_e64 s2, s19, v1
	v_dual_mov_b32 v1, v5 :: v_dual_mov_b32 v2, v6
	s_and_b32 s14, vcc_lo, s2
	s_delay_alu instid0(SALU_CYCLE_1)
	s_and_saveexec_b32 s2, s14
	s_cbranch_execz .LBB916_5
; %bb.4:                                ;   in Loop: Header=BB916_3 Depth=1
	global_load_b128 v[1:4], v[7:8], off offset:-8
	s_waitcnt vmcnt(0)
	v_xor_b32_e32 v4, 0x80000000, v4
.LBB916_5:                              ;   in Loop: Header=BB916_3 Depth=1
	s_or_b32 exec_lo, exec_lo, s2
	v_add_nc_u32_e32 v35, s21, v29
	ds_store_b128 v33, v[1:4]
	v_cmp_le_i32_e64 s2, s19, v35
	s_delay_alu instid0(VALU_DEP_1) | instskip(NEXT) | instid1(SALU_CYCLE_1)
	s_or_b32 s2, s2, s3
	s_and_saveexec_b32 s14, s2
	s_delay_alu instid0(SALU_CYCLE_1)
	s_xor_b32 s2, exec_lo, s14
	s_cbranch_execz .LBB916_7
; %bb.6:                                ;   in Loop: Header=BB916_3 Depth=1
	v_mov_b32_e32 v1, v0
	v_mov_b32_e32 v2, v0
	;; [unrolled: 1-line block ×3, first 2 shown]
	ds_store_b128 v34, v[0:3]
.LBB916_7:                              ;   in Loop: Header=BB916_3 Depth=1
	s_and_not1_saveexec_b32 s2, s2
	s_cbranch_execz .LBB916_2
; %bb.8:                                ;   in Loop: Header=BB916_3 Depth=1
	global_load_b128 v[1:4], v[9:10], off
	s_waitcnt vmcnt(0)
	ds_store_2addr_b64 v34, v[1:2], v[3:4] offset1:1
	s_branch .LBB916_2
.LBB916_9:
	s_load_b32 s2, s[0:1], 0x60
	v_add_nc_u32_e32 v4, s13, v28
	v_add_nc_u32_e32 v0, s12, v27
	s_delay_alu instid0(VALU_DEP_1) | instskip(SKIP_1) | instid1(VALU_DEP_2)
	v_cmp_le_i32_e64 s0, v4, v0
	v_cmp_gt_i32_e32 vcc_lo, s18, v0
	s_and_b32 s0, s0, vcc_lo
	s_waitcnt lgkmcnt(0)
	v_mad_i64_i32 v[1:2], null, v4, s2, 0
	s_delay_alu instid0(VALU_DEP_1) | instskip(NEXT) | instid1(VALU_DEP_1)
	v_lshlrev_b64 v[1:2], 4, v[1:2]
	v_add_co_u32 v5, s1, s16, v1
	s_delay_alu instid0(VALU_DEP_1)
	v_add_co_ci_u32_e64 v6, s1, s17, v2, s1
	s_and_saveexec_b32 s1, s0
	s_cbranch_execz .LBB916_11
; %bb.10:
	v_ashrrev_i32_e32 v1, 31, v0
	v_mul_f64 v[27:28], s[4:5], v[25:26]
	v_mul_f64 v[25:26], s[6:7], v[25:26]
	s_delay_alu instid0(VALU_DEP_3) | instskip(NEXT) | instid1(VALU_DEP_1)
	v_lshlrev_b64 v[1:2], 4, v[0:1]
	v_add_co_u32 v1, s0, v5, v1
	s_delay_alu instid0(VALU_DEP_1)
	v_add_co_ci_u32_e64 v2, s0, v6, v2, s0
	v_cmp_ne_u32_e64 s0, v4, v0
	global_load_b128 v[7:10], v[1:2], off
	v_fma_f64 v[27:28], s[6:7], v[23:24], v[27:28]
	v_fma_f64 v[23:24], s[4:5], v[23:24], -v[25:26]
	s_waitcnt vmcnt(0)
	v_mul_f64 v[29:30], s[8:9], v[9:10]
	v_mul_f64 v[9:10], s[10:11], v[9:10]
	s_delay_alu instid0(VALU_DEP_2) | instskip(NEXT) | instid1(VALU_DEP_2)
	v_fma_f64 v[29:30], s[10:11], v[7:8], v[29:30]
	v_fma_f64 v[7:8], s[8:9], v[7:8], -v[9:10]
	s_delay_alu instid0(VALU_DEP_2) | instskip(NEXT) | instid1(VALU_DEP_2)
	v_add_f64 v[9:10], v[27:28], v[29:30]
	v_add_f64 v[7:8], v[23:24], v[7:8]
	s_delay_alu instid0(VALU_DEP_2) | instskip(NEXT) | instid1(VALU_DEP_3)
	v_cndmask_b32_e64 v10, 0, v10, s0
	v_cndmask_b32_e64 v9, 0, v9, s0
	global_store_b128 v[1:2], v[7:10], off
.LBB916_11:
	s_or_b32 exec_lo, exec_lo, s1
	v_add_nc_u32_e32 v2, 16, v0
	s_delay_alu instid0(VALU_DEP_1) | instskip(SKIP_1) | instid1(VALU_DEP_1)
	v_cmp_le_i32_e64 s1, v4, v2
	v_cmp_gt_i32_e64 s0, s18, v2
	s_and_b32 s1, s1, s0
	s_delay_alu instid0(SALU_CYCLE_1)
	s_and_saveexec_b32 s3, s1
	s_cbranch_execz .LBB916_13
; %bb.12:
	v_ashrrev_i32_e32 v3, 31, v2
	v_mul_f64 v[23:24], s[4:5], v[21:22]
	v_mul_f64 v[21:22], s[6:7], v[21:22]
	s_delay_alu instid0(VALU_DEP_3) | instskip(NEXT) | instid1(VALU_DEP_1)
	v_lshlrev_b64 v[7:8], 4, v[2:3]
	v_add_co_u32 v9, s1, v5, v7
	s_delay_alu instid0(VALU_DEP_1)
	v_add_co_ci_u32_e64 v10, s1, v6, v8, s1
	v_cmp_ne_u32_e64 s1, v4, v2
	global_load_b128 v[5:8], v[9:10], off
	v_fma_f64 v[23:24], s[6:7], v[19:20], v[23:24]
	v_fma_f64 v[19:20], s[4:5], v[19:20], -v[21:22]
	s_waitcnt vmcnt(0)
	v_mul_f64 v[25:26], s[8:9], v[7:8]
	v_mul_f64 v[7:8], s[10:11], v[7:8]
	s_delay_alu instid0(VALU_DEP_2) | instskip(NEXT) | instid1(VALU_DEP_2)
	v_fma_f64 v[25:26], s[10:11], v[5:6], v[25:26]
	v_fma_f64 v[5:6], s[8:9], v[5:6], -v[7:8]
	s_delay_alu instid0(VALU_DEP_2) | instskip(NEXT) | instid1(VALU_DEP_2)
	v_add_f64 v[7:8], v[23:24], v[25:26]
	v_add_f64 v[5:6], v[19:20], v[5:6]
	s_delay_alu instid0(VALU_DEP_2) | instskip(NEXT) | instid1(VALU_DEP_3)
	v_cndmask_b32_e64 v8, 0, v8, s1
	v_cndmask_b32_e64 v7, 0, v7, s1
	global_store_b128 v[9:10], v[5:8], off
.LBB916_13:
	s_or_b32 exec_lo, exec_lo, s3
	v_add_nc_u32_e32 v3, 16, v4
	s_delay_alu instid0(VALU_DEP_1) | instskip(SKIP_1) | instid1(VALU_DEP_2)
	v_mad_i64_i32 v[5:6], null, v3, s2, 0
	v_cmp_le_i32_e64 s1, v3, v0
	v_lshlrev_b64 v[5:6], 4, v[5:6]
	s_delay_alu instid0(VALU_DEP_1) | instskip(NEXT) | instid1(VALU_DEP_1)
	v_add_co_u32 v5, s2, s16, v5
	v_add_co_ci_u32_e64 v6, s2, s17, v6, s2
	s_delay_alu instid0(VALU_DEP_4) | instskip(NEXT) | instid1(SALU_CYCLE_1)
	s_and_b32 s2, s1, vcc_lo
	s_and_saveexec_b32 s1, s2
	s_cbranch_execz .LBB916_15
; %bb.14:
	v_ashrrev_i32_e32 v1, 31, v0
	v_mul_f64 v[21:22], s[4:5], v[17:18]
	v_mul_f64 v[17:18], s[6:7], v[17:18]
	s_delay_alu instid0(VALU_DEP_3) | instskip(NEXT) | instid1(VALU_DEP_1)
	v_lshlrev_b64 v[7:8], 4, v[0:1]
	v_add_co_u32 v19, vcc_lo, v5, v7
	s_delay_alu instid0(VALU_DEP_2)
	v_add_co_ci_u32_e32 v20, vcc_lo, v6, v8, vcc_lo
	v_cmp_ne_u32_e32 vcc_lo, v3, v0
	global_load_b128 v[7:10], v[19:20], off
	v_fma_f64 v[21:22], s[6:7], v[15:16], v[21:22]
	v_fma_f64 v[15:16], s[4:5], v[15:16], -v[17:18]
	s_waitcnt vmcnt(0)
	v_mul_f64 v[23:24], s[8:9], v[9:10]
	v_mul_f64 v[9:10], s[10:11], v[9:10]
	s_delay_alu instid0(VALU_DEP_2) | instskip(NEXT) | instid1(VALU_DEP_2)
	v_fma_f64 v[23:24], s[10:11], v[7:8], v[23:24]
	v_fma_f64 v[7:8], s[8:9], v[7:8], -v[9:10]
	s_delay_alu instid0(VALU_DEP_2) | instskip(NEXT) | instid1(VALU_DEP_2)
	v_add_f64 v[9:10], v[21:22], v[23:24]
	v_add_f64 v[7:8], v[15:16], v[7:8]
	s_delay_alu instid0(VALU_DEP_2)
	v_dual_cndmask_b32 v10, 0, v10 :: v_dual_cndmask_b32 v9, 0, v9
	global_store_b128 v[19:20], v[7:10], off
.LBB916_15:
	s_or_b32 exec_lo, exec_lo, s1
	v_cmp_le_i32_e32 vcc_lo, v3, v2
	s_and_b32 s0, vcc_lo, s0
	s_delay_alu instid0(SALU_CYCLE_1)
	s_and_saveexec_b32 s1, s0
	s_cbranch_execz .LBB916_17
; %bb.16:
	v_ashrrev_i32_e32 v3, 31, v2
	s_delay_alu instid0(VALU_DEP_1) | instskip(NEXT) | instid1(VALU_DEP_1)
	v_lshlrev_b64 v[1:2], 4, v[2:3]
	v_add_co_u32 v9, vcc_lo, v5, v1
	s_delay_alu instid0(VALU_DEP_2)
	v_add_co_ci_u32_e32 v10, vcc_lo, v6, v2, vcc_lo
	v_mul_f64 v[1:2], s[4:5], v[13:14]
	v_mul_f64 v[13:14], s[6:7], v[13:14]
	v_cmp_ne_u32_e32 vcc_lo, v4, v0
	global_load_b128 v[5:8], v[9:10], off
	v_fma_f64 v[1:2], s[6:7], v[11:12], v[1:2]
	v_fma_f64 v[11:12], s[4:5], v[11:12], -v[13:14]
	s_waitcnt vmcnt(0)
	v_mul_f64 v[15:16], s[8:9], v[7:8]
	v_mul_f64 v[7:8], s[10:11], v[7:8]
	s_delay_alu instid0(VALU_DEP_2) | instskip(NEXT) | instid1(VALU_DEP_2)
	v_fma_f64 v[15:16], s[10:11], v[5:6], v[15:16]
	v_fma_f64 v[5:6], s[8:9], v[5:6], -v[7:8]
	s_delay_alu instid0(VALU_DEP_2) | instskip(NEXT) | instid1(VALU_DEP_2)
	v_add_f64 v[7:8], v[1:2], v[15:16]
	v_add_f64 v[1:2], v[11:12], v[5:6]
	s_delay_alu instid0(VALU_DEP_2)
	v_dual_cndmask_b32 v4, 0, v8 :: v_dual_cndmask_b32 v3, 0, v7
	global_store_b128 v[9:10], v[1:4], off
.LBB916_17:
	s_nop 0
	s_sendmsg sendmsg(MSG_DEALLOC_VGPRS)
	s_endpgm
	.section	.rodata,"a",@progbits
	.p2align	6, 0x0
	.amdhsa_kernel _ZL34rocblas_syrkx_herkx_general_kernelIi19rocblas_complex_numIdELi16ELi32ELi8ELb0ELb1ELc67ELc76EKPKS1_KPS1_EviT_T0_PT8_S7_lSA_S7_lS8_PT9_S7_li
		.amdhsa_group_segment_fixed_size 8192
		.amdhsa_private_segment_fixed_size 0
		.amdhsa_kernarg_size 116
		.amdhsa_user_sgpr_count 13
		.amdhsa_user_sgpr_dispatch_ptr 0
		.amdhsa_user_sgpr_queue_ptr 0
		.amdhsa_user_sgpr_kernarg_segment_ptr 1
		.amdhsa_user_sgpr_dispatch_id 0
		.amdhsa_user_sgpr_private_segment_size 0
		.amdhsa_wavefront_size32 1
		.amdhsa_uses_dynamic_stack 0
		.amdhsa_enable_private_segment 0
		.amdhsa_system_sgpr_workgroup_id_x 1
		.amdhsa_system_sgpr_workgroup_id_y 1
		.amdhsa_system_sgpr_workgroup_id_z 1
		.amdhsa_system_sgpr_workgroup_info 0
		.amdhsa_system_vgpr_workitem_id 1
		.amdhsa_next_free_vgpr 121
		.amdhsa_next_free_sgpr 25
		.amdhsa_reserve_vcc 1
		.amdhsa_float_round_mode_32 0
		.amdhsa_float_round_mode_16_64 0
		.amdhsa_float_denorm_mode_32 3
		.amdhsa_float_denorm_mode_16_64 3
		.amdhsa_dx10_clamp 1
		.amdhsa_ieee_mode 1
		.amdhsa_fp16_overflow 0
		.amdhsa_workgroup_processor_mode 1
		.amdhsa_memory_ordered 1
		.amdhsa_forward_progress 0
		.amdhsa_shared_vgpr_count 0
		.amdhsa_exception_fp_ieee_invalid_op 0
		.amdhsa_exception_fp_denorm_src 0
		.amdhsa_exception_fp_ieee_div_zero 0
		.amdhsa_exception_fp_ieee_overflow 0
		.amdhsa_exception_fp_ieee_underflow 0
		.amdhsa_exception_fp_ieee_inexact 0
		.amdhsa_exception_int_div_zero 0
	.end_amdhsa_kernel
	.section	.text._ZL34rocblas_syrkx_herkx_general_kernelIi19rocblas_complex_numIdELi16ELi32ELi8ELb0ELb1ELc67ELc76EKPKS1_KPS1_EviT_T0_PT8_S7_lSA_S7_lS8_PT9_S7_li,"axG",@progbits,_ZL34rocblas_syrkx_herkx_general_kernelIi19rocblas_complex_numIdELi16ELi32ELi8ELb0ELb1ELc67ELc76EKPKS1_KPS1_EviT_T0_PT8_S7_lSA_S7_lS8_PT9_S7_li,comdat
.Lfunc_end916:
	.size	_ZL34rocblas_syrkx_herkx_general_kernelIi19rocblas_complex_numIdELi16ELi32ELi8ELb0ELb1ELc67ELc76EKPKS1_KPS1_EviT_T0_PT8_S7_lSA_S7_lS8_PT9_S7_li, .Lfunc_end916-_ZL34rocblas_syrkx_herkx_general_kernelIi19rocblas_complex_numIdELi16ELi32ELi8ELb0ELb1ELc67ELc76EKPKS1_KPS1_EviT_T0_PT8_S7_lSA_S7_lS8_PT9_S7_li
                                        ; -- End function
	.section	.AMDGPU.csdata,"",@progbits
; Kernel info:
; codeLenInByte = 3576
; NumSgprs: 27
; NumVgprs: 121
; ScratchSize: 0
; MemoryBound: 1
; FloatMode: 240
; IeeeMode: 1
; LDSByteSize: 8192 bytes/workgroup (compile time only)
; SGPRBlocks: 3
; VGPRBlocks: 15
; NumSGPRsForWavesPerEU: 27
; NumVGPRsForWavesPerEU: 121
; Occupancy: 10
; WaveLimiterHint : 1
; COMPUTE_PGM_RSRC2:SCRATCH_EN: 0
; COMPUTE_PGM_RSRC2:USER_SGPR: 13
; COMPUTE_PGM_RSRC2:TRAP_HANDLER: 0
; COMPUTE_PGM_RSRC2:TGID_X_EN: 1
; COMPUTE_PGM_RSRC2:TGID_Y_EN: 1
; COMPUTE_PGM_RSRC2:TGID_Z_EN: 1
; COMPUTE_PGM_RSRC2:TIDIG_COMP_CNT: 1
	.section	.text._ZL34rocblas_syrkx_herkx_general_kernelIi19rocblas_complex_numIdELi16ELi32ELi8ELb0ELb1ELc78ELc76EKPKS1_KPS1_EviT_T0_PT8_S7_lSA_S7_lS8_PT9_S7_li,"axG",@progbits,_ZL34rocblas_syrkx_herkx_general_kernelIi19rocblas_complex_numIdELi16ELi32ELi8ELb0ELb1ELc78ELc76EKPKS1_KPS1_EviT_T0_PT8_S7_lSA_S7_lS8_PT9_S7_li,comdat
	.globl	_ZL34rocblas_syrkx_herkx_general_kernelIi19rocblas_complex_numIdELi16ELi32ELi8ELb0ELb1ELc78ELc76EKPKS1_KPS1_EviT_T0_PT8_S7_lSA_S7_lS8_PT9_S7_li ; -- Begin function _ZL34rocblas_syrkx_herkx_general_kernelIi19rocblas_complex_numIdELi16ELi32ELi8ELb0ELb1ELc78ELc76EKPKS1_KPS1_EviT_T0_PT8_S7_lSA_S7_lS8_PT9_S7_li
	.p2align	8
	.type	_ZL34rocblas_syrkx_herkx_general_kernelIi19rocblas_complex_numIdELi16ELi32ELi8ELb0ELb1ELc78ELc76EKPKS1_KPS1_EviT_T0_PT8_S7_lSA_S7_lS8_PT9_S7_li,@function
_ZL34rocblas_syrkx_herkx_general_kernelIi19rocblas_complex_numIdELi16ELi32ELi8ELb0ELb1ELc78ELc76EKPKS1_KPS1_EviT_T0_PT8_S7_lSA_S7_lS8_PT9_S7_li: ; @_ZL34rocblas_syrkx_herkx_general_kernelIi19rocblas_complex_numIdELi16ELi32ELi8ELb0ELb1ELc78ELc76EKPKS1_KPS1_EviT_T0_PT8_S7_lSA_S7_lS8_PT9_S7_li
; %bb.0:
	s_load_b64 s[2:3], s[0:1], 0x58
	s_mov_b32 s20, s15
	s_mov_b32 s21, 0
	s_clause 0x1
	s_load_b64 s[18:19], s[0:1], 0x0
	s_load_b128 s[4:7], s[0:1], 0x8
	s_lshl_b64 s[22:23], s[20:21], 3
	v_mov_b32_e32 v21, 0
	v_dual_mov_b32 v22, 0 :: v_dual_and_b32 v25, 0x3ff, v0
	v_bfe_u32 v26, v0, 10, 10
	s_delay_alu instid0(VALU_DEP_3) | instskip(NEXT) | instid1(VALU_DEP_3)
	v_mov_b32_e32 v17, v21
	v_dual_mov_b32 v19, v21 :: v_dual_mov_b32 v20, v22
	v_dual_mov_b32 v24, v22 :: v_dual_mov_b32 v23, v21
	;; [unrolled: 1-line block ×5, first 2 shown]
	v_mov_b32_e32 v12, v22
	s_waitcnt lgkmcnt(0)
	s_add_u32 s2, s2, s22
	s_addc_u32 s3, s3, s23
	s_clause 0x1
	s_load_b64 s[24:25], s[0:1], 0x18
	s_load_b128 s[8:11], s[0:1], 0x48
	s_load_b64 s[16:17], s[2:3], 0x0
	v_dual_mov_b32 v9, v21 :: v_dual_mov_b32 v10, v22
	s_lshl_b32 s20, s13, 5
	s_lshl_b32 s26, s14, 5
	s_cmp_lt_i32 s19, 1
	s_cbranch_scc1 .LBB917_9
; %bb.1:
	s_clause 0x2
	s_load_b32 s12, s[0:1], 0x20
	s_load_b32 s14, s[0:1], 0x38
	s_load_b64 s[28:29], s[0:1], 0x30
	v_lshl_add_u32 v0, v26, 4, v25
	v_and_b32_e32 v27, 7, v25
	v_lshl_add_u32 v32, v26, 7, 0x1000
	v_mov_b32_e32 v9, 0
	s_delay_alu instid0(VALU_DEP_4) | instskip(SKIP_3) | instid1(VALU_DEP_4)
	v_dual_mov_b32 v10, 0 :: v_dual_and_b32 v1, 31, v0
	v_lshrrev_b32_e32 v28, 5, v0
	v_lshrrev_b32_e32 v3, 3, v0
	v_lshlrev_b32_e32 v4, 4, v27
	v_dual_mov_b32 v12, v10 :: v_dual_lshlrev_b32 v31, 4, v25
	v_lshlrev_b32_e32 v6, 4, v1
	v_or_b32_e32 v5, s20, v1
	v_add_nc_u32_e32 v0, s20, v1
	v_dual_mov_b32 v11, v9 :: v_dual_add_nc_u32 v2, s26, v3
	v_lshl_or_b32 v3, v3, 7, v4
	s_waitcnt lgkmcnt(0)
	s_ashr_i32 s13, s12, 31
	s_ashr_i32 s15, s14, 31
	s_add_u32 s28, s28, s22
	s_addc_u32 s29, s29, s23
	s_add_u32 s22, s24, s22
	s_addc_u32 s23, s25, s23
	v_cmp_gt_i32_e64 s2, s18, v5
	v_mad_i64_i32 v[4:5], null, v28, s12, 0
	s_load_b64 s[24:25], s[28:29], 0x0
	s_load_b64 s[22:23], s[22:23], 0x0
	v_mov_b32_e32 v16, v10
	v_lshl_or_b32 v29, v28, 9, v6
	v_mad_i64_i32 v[6:7], null, s14, v27, 0
	v_mov_b32_e32 v15, v9
	v_ashrrev_i32_e32 v1, 31, v0
	v_mov_b32_e32 v14, v10
	v_dual_mov_b32 v13, v9 :: v_dual_add_nc_u32 v30, 0x1000, v3
	v_ashrrev_i32_e32 v3, 31, v2
	v_lshlrev_b64 v[4:5], 4, v[4:5]
	v_lshlrev_b64 v[0:1], 4, v[0:1]
	v_cmp_gt_i32_e32 vcc_lo, s18, v2
	v_lshlrev_b64 v[6:7], 4, v[6:7]
	v_lshlrev_b64 v[2:3], 4, v[2:3]
	v_mov_b32_e32 v20, v10
	v_mov_b32_e32 v18, v10
	v_add_co_u32 v0, s3, v4, v0
	s_delay_alu instid0(VALU_DEP_1) | instskip(SKIP_1) | instid1(VALU_DEP_1)
	v_add_co_ci_u32_e64 v1, s3, v5, v1, s3
	v_add_co_u32 v2, s3, v6, v2
	v_add_co_ci_u32_e64 v3, s3, v7, v3, s3
	s_waitcnt lgkmcnt(0)
	v_add_co_u32 v5, s3, s22, v0
	s_delay_alu instid0(VALU_DEP_1) | instskip(SKIP_1) | instid1(VALU_DEP_1)
	v_add_co_ci_u32_e64 v6, s3, s23, v1, s3
	v_add_co_u32 v0, s3, v2, s24
	v_add_co_ci_u32_e64 v1, s3, s25, v3, s3
	v_mov_b32_e32 v24, v10
	s_delay_alu instid0(VALU_DEP_3) | instskip(SKIP_1) | instid1(VALU_DEP_4)
	v_add_co_u32 v7, s3, v0, 8
	v_dual_mov_b32 v22, v10 :: v_dual_mov_b32 v21, v9
	v_add_co_ci_u32_e64 v8, s3, 0, v1, s3
	v_dual_mov_b32 v0, 0 :: v_dual_mov_b32 v19, v9
	v_mov_b32_e32 v17, v9
	v_mov_b32_e32 v23, v9
	s_lshl_b64 s[12:13], s[12:13], 7
	s_lshl_b64 s[14:15], s[14:15], 7
	s_xor_b32 s3, s2, -1
	s_branch .LBB917_3
.LBB917_2:                              ;   in Loop: Header=BB917_3 Depth=1
	s_or_b32 exec_lo, exec_lo, s2
	ds_store_b128 v30, v[1:4]
	s_waitcnt lgkmcnt(0)
	s_barrier
	buffer_gl0_inv
	ds_load_b128 v[1:4], v32
	ds_load_b128 v[33:36], v31
	ds_load_b128 v[37:40], v31 offset:256
	ds_load_b128 v[41:44], v32 offset:2048
	;; [unrolled: 1-line block ×9, first 2 shown]
	v_add_co_u32 v5, s2, v5, s12
	s_delay_alu instid0(VALU_DEP_1) | instskip(SKIP_1) | instid1(VALU_DEP_1)
	v_add_co_ci_u32_e64 v6, s2, s13, v6, s2
	v_add_co_u32 v7, s2, v7, s14
	v_add_co_ci_u32_e64 v8, s2, s15, v8, s2
	s_add_i32 s21, s21, 8
	s_delay_alu instid0(SALU_CYCLE_1)
	s_cmp_ge_i32 s21, s19
	s_waitcnt lgkmcnt(9)
	v_mul_f64 v[73:74], v[3:4], v[35:36]
	v_mul_f64 v[75:76], v[1:2], v[35:36]
	s_waitcnt lgkmcnt(8)
	v_mul_f64 v[77:78], v[3:4], v[39:40]
	v_mul_f64 v[79:80], v[1:2], v[39:40]
	;; [unrolled: 3-line block ×3, first 2 shown]
	v_mul_f64 v[83:84], v[43:44], v[39:40]
	v_mul_f64 v[39:40], v[41:42], v[39:40]
	s_waitcnt lgkmcnt(4)
	v_mul_f64 v[85:86], v[47:48], v[55:56]
	v_mul_f64 v[87:88], v[45:46], v[55:56]
	s_waitcnt lgkmcnt(3)
	v_mul_f64 v[89:90], v[47:48], v[59:60]
	v_mul_f64 v[91:92], v[45:46], v[59:60]
	;; [unrolled: 1-line block ×6, first 2 shown]
	v_fma_f64 v[97:98], v[1:2], v[33:34], -v[73:74]
	v_fma_f64 v[99:100], v[3:4], v[33:34], v[75:76]
	ds_load_b128 v[73:76], v32 offset:32
	v_fma_f64 v[77:78], v[1:2], v[37:38], -v[77:78]
	v_fma_f64 v[79:80], v[3:4], v[37:38], v[79:80]
	v_fma_f64 v[81:82], v[41:42], v[33:34], -v[81:82]
	v_fma_f64 v[101:102], v[43:44], v[33:34], v[35:36]
	;; [unrolled: 2-line block ×3, first 2 shown]
	s_waitcnt lgkmcnt(1)
	v_mul_f64 v[113:114], v[71:72], v[63:64]
	v_fma_f64 v[85:86], v[45:46], v[53:54], -v[85:86]
	v_fma_f64 v[87:88], v[47:48], v[53:54], v[87:88]
	v_fma_f64 v[45:46], v[45:46], v[57:58], -v[89:90]
	v_fma_f64 v[47:48], v[47:48], v[57:58], v[91:92]
	v_mul_f64 v[89:90], v[71:72], v[67:68]
	v_fma_f64 v[91:92], v[49:50], v[53:54], -v[93:94]
	v_fma_f64 v[53:54], v[51:52], v[53:54], v[55:56]
	v_fma_f64 v[49:50], v[49:50], v[57:58], -v[95:96]
	v_fma_f64 v[51:52], v[51:52], v[57:58], v[59:60]
	ds_load_b128 v[1:4], v32 offset:48
	ds_load_b128 v[33:36], v32 offset:2096
	;; [unrolled: 1-line block ×4, first 2 shown]
	s_waitcnt lgkmcnt(4)
	v_mul_f64 v[105:106], v[75:76], v[63:64]
	v_mul_f64 v[107:108], v[73:74], v[63:64]
	;; [unrolled: 1-line block ×6, first 2 shown]
	s_waitcnt lgkmcnt(1)
	v_mul_f64 v[93:94], v[1:2], v[39:40]
	v_add_f64 v[21:22], v[21:22], v[97:98]
	v_add_f64 v[23:24], v[23:24], v[99:100]
	;; [unrolled: 1-line block ×8, first 2 shown]
	v_mul_f64 v[83:84], v[3:4], v[39:40]
	s_waitcnt lgkmcnt(0)
	v_mul_f64 v[95:96], v[3:4], v[43:44]
	v_mul_f64 v[97:98], v[1:2], v[43:44]
	;; [unrolled: 1-line block ×6, first 2 shown]
	ds_load_b128 v[9:12], v31 offset:2048
	ds_load_b128 v[13:16], v31 offset:2304
	;; [unrolled: 1-line block ×3, first 2 shown]
	v_fma_f64 v[105:106], v[73:74], v[61:62], -v[105:106]
	v_fma_f64 v[107:108], v[75:76], v[61:62], v[107:108]
	v_fma_f64 v[73:74], v[73:74], v[65:66], -v[109:110]
	v_fma_f64 v[75:76], v[75:76], v[65:66], v[111:112]
	;; [unrolled: 2-line block ×4, first 2 shown]
	s_waitcnt lgkmcnt(0)
	v_mul_f64 v[113:114], v[19:20], v[11:12]
	v_mul_f64 v[115:116], v[19:20], v[15:16]
	v_fma_f64 v[93:94], v[3:4], v[37:38], v[93:94]
	v_add_f64 v[67:68], v[21:22], v[85:86]
	v_add_f64 v[69:70], v[23:24], v[87:88]
	;; [unrolled: 1-line block ×8, first 2 shown]
	ds_load_b128 v[21:24], v32 offset:64
	v_fma_f64 v[83:84], v[1:2], v[37:38], -v[83:84]
	v_fma_f64 v[95:96], v[1:2], v[41:42], -v[95:96]
	v_fma_f64 v[97:98], v[3:4], v[41:42], v[97:98]
	v_fma_f64 v[99:100], v[33:34], v[37:38], -v[99:100]
	v_fma_f64 v[117:118], v[35:36], v[37:38], v[39:40]
	;; [unrolled: 2-line block ×3, first 2 shown]
	ds_load_b128 v[43:46], v32 offset:80
	ds_load_b128 v[47:50], v32 offset:2128
	;; [unrolled: 1-line block ×7, first 2 shown]
	s_waitcnt lgkmcnt(7)
	v_mul_f64 v[87:88], v[23:24], v[11:12]
	v_mul_f64 v[89:90], v[21:22], v[11:12]
	;; [unrolled: 1-line block ×6, first 2 shown]
	s_waitcnt lgkmcnt(3)
	v_mul_f64 v[103:104], v[49:50], v[57:58]
	v_add_f64 v[67:68], v[67:68], v[105:106]
	v_add_f64 v[69:70], v[69:70], v[107:108]
	;; [unrolled: 1-line block ×8, first 2 shown]
	v_mul_f64 v[75:76], v[45:46], v[53:54]
	v_mul_f64 v[77:78], v[43:44], v[53:54]
	v_mul_f64 v[79:80], v[45:46], v[57:58]
	v_mul_f64 v[81:82], v[43:44], v[57:58]
	v_mul_f64 v[85:86], v[49:50], v[53:54]
	v_mul_f64 v[53:54], v[47:48], v[53:54]
	v_mul_f64 v[105:106], v[47:48], v[57:58]
	v_fma_f64 v[109:110], v[17:18], v[9:10], -v[113:114]
	v_fma_f64 v[113:114], v[17:18], v[13:14], -v[115:116]
	;; [unrolled: 1-line block ×3, first 2 shown]
	v_fma_f64 v[89:90], v[23:24], v[9:10], v[89:90]
	v_fma_f64 v[91:92], v[21:22], v[13:14], -v[91:92]
	v_fma_f64 v[107:108], v[23:24], v[13:14], v[111:112]
	v_fma_f64 v[111:112], v[19:20], v[9:10], v[11:12]
	;; [unrolled: 1-line block ×3, first 2 shown]
	ds_load_b128 v[9:12], v32 offset:96
	v_add_f64 v[67:68], v[67:68], v[83:84]
	v_add_f64 v[69:70], v[69:70], v[93:94]
	;; [unrolled: 1-line block ×8, first 2 shown]
	s_waitcnt lgkmcnt(1)
	v_mul_f64 v[99:100], v[39:40], v[3:4]
	v_fma_f64 v[75:76], v[43:44], v[51:52], -v[75:76]
	v_fma_f64 v[77:78], v[45:46], v[51:52], v[77:78]
	v_fma_f64 v[43:44], v[43:44], v[55:56], -v[79:80]
	v_fma_f64 v[45:46], v[45:46], v[55:56], v[81:82]
	v_mul_f64 v[79:80], v[39:40], v[35:36]
	v_fma_f64 v[81:82], v[47:48], v[51:52], -v[85:86]
	v_fma_f64 v[51:52], v[49:50], v[51:52], v[53:54]
	s_waitcnt lgkmcnt(0)
	v_mul_f64 v[65:66], v[11:12], v[3:4]
	v_mul_f64 v[93:94], v[9:10], v[3:4]
	;; [unrolled: 1-line block ×6, first 2 shown]
	v_fma_f64 v[47:48], v[47:48], v[55:56], -v[103:104]
	v_fma_f64 v[49:50], v[49:50], v[55:56], v[105:106]
	ds_load_b128 v[13:16], v32 offset:112
	ds_load_b128 v[17:20], v32 offset:2160
	;; [unrolled: 1-line block ×4, first 2 shown]
	s_waitcnt lgkmcnt(0)
	s_barrier
	buffer_gl0_inv
	v_add_f64 v[53:54], v[67:68], v[87:88]
	v_add_f64 v[55:56], v[69:70], v[89:90]
	;; [unrolled: 1-line block ×8, first 2 shown]
	v_mul_f64 v[73:74], v[15:16], v[23:24]
	v_mul_f64 v[83:84], v[13:14], v[23:24]
	;; [unrolled: 1-line block ×8, first 2 shown]
	v_fma_f64 v[65:66], v[9:10], v[1:2], -v[65:66]
	v_fma_f64 v[93:94], v[11:12], v[1:2], v[93:94]
	v_fma_f64 v[9:10], v[9:10], v[33:34], -v[95:96]
	v_fma_f64 v[11:12], v[11:12], v[33:34], v[97:98]
	;; [unrolled: 2-line block ×4, first 2 shown]
	v_add_f64 v[35:36], v[53:54], v[75:76]
	v_add_f64 v[37:38], v[55:56], v[77:78]
	;; [unrolled: 1-line block ×8, first 2 shown]
	v_fma_f64 v[49:50], v[13:14], v[21:22], -v[73:74]
	v_fma_f64 v[53:54], v[15:16], v[21:22], v[83:84]
	v_fma_f64 v[13:14], v[13:14], v[57:58], -v[85:86]
	v_fma_f64 v[15:16], v[15:16], v[57:58], v[87:88]
	;; [unrolled: 2-line block ×4, first 2 shown]
	v_add_f64 v[17:18], v[35:36], v[65:66]
	v_add_f64 v[19:20], v[37:38], v[93:94]
	;; [unrolled: 1-line block ×16, first 2 shown]
	s_cbranch_scc1 .LBB917_9
.LBB917_3:                              ; =>This Inner Loop Header: Depth=1
	v_add_nc_u32_e32 v1, s21, v28
	s_delay_alu instid0(VALU_DEP_1) | instskip(NEXT) | instid1(VALU_DEP_1)
	v_cmp_le_i32_e64 s2, s19, v1
	s_or_b32 s2, s3, s2
	s_delay_alu instid0(SALU_CYCLE_1) | instskip(NEXT) | instid1(SALU_CYCLE_1)
	s_and_saveexec_b32 s22, s2
	s_xor_b32 s2, exec_lo, s22
	s_cbranch_execz .LBB917_5
; %bb.4:                                ;   in Loop: Header=BB917_3 Depth=1
	v_mov_b32_e32 v1, v0
	v_mov_b32_e32 v2, v0
	;; [unrolled: 1-line block ×3, first 2 shown]
	ds_store_b128 v29, v[0:3]
.LBB917_5:                              ;   in Loop: Header=BB917_3 Depth=1
	s_and_not1_saveexec_b32 s2, s2
	s_cbranch_execz .LBB917_7
; %bb.6:                                ;   in Loop: Header=BB917_3 Depth=1
	global_load_b128 v[1:4], v[5:6], off
	s_waitcnt vmcnt(0)
	ds_store_2addr_b64 v29, v[1:2], v[3:4] offset1:1
.LBB917_7:                              ;   in Loop: Header=BB917_3 Depth=1
	s_or_b32 exec_lo, exec_lo, s2
	v_add_nc_u32_e32 v3, s21, v27
	v_mov_b32_e32 v1, 0
	v_mov_b32_e32 v2, 0
	s_delay_alu instid0(VALU_DEP_3) | instskip(NEXT) | instid1(VALU_DEP_2)
	v_cmp_gt_i32_e64 s2, s19, v3
	v_dual_mov_b32 v4, v2 :: v_dual_mov_b32 v3, v1
	s_delay_alu instid0(VALU_DEP_2) | instskip(NEXT) | instid1(SALU_CYCLE_1)
	s_and_b32 s22, s2, vcc_lo
	s_and_saveexec_b32 s2, s22
	s_cbranch_execz .LBB917_2
; %bb.8:                                ;   in Loop: Header=BB917_3 Depth=1
	global_load_b128 v[1:4], v[7:8], off offset:-8
	s_waitcnt vmcnt(0)
	v_xor_b32_e32 v4, 0x80000000, v4
	s_branch .LBB917_2
.LBB917_9:
	s_load_b32 s2, s[0:1], 0x60
	v_add_nc_u32_e32 v4, s26, v26
	v_add_nc_u32_e32 v0, s20, v25
	s_delay_alu instid0(VALU_DEP_1) | instskip(SKIP_1) | instid1(VALU_DEP_2)
	v_cmp_le_i32_e64 s0, v4, v0
	v_cmp_gt_i32_e32 vcc_lo, s18, v0
	s_and_b32 s0, s0, vcc_lo
	s_waitcnt lgkmcnt(0)
	v_mad_i64_i32 v[1:2], null, v4, s2, 0
	s_delay_alu instid0(VALU_DEP_1) | instskip(NEXT) | instid1(VALU_DEP_1)
	v_lshlrev_b64 v[1:2], 4, v[1:2]
	v_add_co_u32 v5, s1, s16, v1
	s_delay_alu instid0(VALU_DEP_1)
	v_add_co_ci_u32_e64 v6, s1, s17, v2, s1
	s_and_saveexec_b32 s1, s0
	s_cbranch_execz .LBB917_11
; %bb.10:
	v_ashrrev_i32_e32 v1, 31, v0
	v_mul_f64 v[7:8], s[4:5], v[23:24]
	v_mul_f64 v[23:24], s[6:7], v[23:24]
	s_delay_alu instid0(VALU_DEP_3) | instskip(NEXT) | instid1(VALU_DEP_1)
	v_lshlrev_b64 v[1:2], 4, v[0:1]
	v_add_co_u32 v1, s0, v5, v1
	s_delay_alu instid0(VALU_DEP_1)
	v_add_co_ci_u32_e64 v2, s0, v6, v2, s0
	v_cmp_ne_u32_e64 s0, v4, v0
	global_load_b128 v[25:28], v[1:2], off
	v_fma_f64 v[7:8], s[6:7], v[21:22], v[7:8]
	v_fma_f64 v[21:22], s[4:5], v[21:22], -v[23:24]
	s_waitcnt vmcnt(0)
	v_mul_f64 v[29:30], s[8:9], v[27:28]
	v_mul_f64 v[27:28], s[10:11], v[27:28]
	s_delay_alu instid0(VALU_DEP_2) | instskip(NEXT) | instid1(VALU_DEP_2)
	v_fma_f64 v[29:30], s[10:11], v[25:26], v[29:30]
	v_fma_f64 v[23:24], s[8:9], v[25:26], -v[27:28]
	s_delay_alu instid0(VALU_DEP_2) | instskip(NEXT) | instid1(VALU_DEP_2)
	v_add_f64 v[7:8], v[7:8], v[29:30]
	v_add_f64 v[21:22], v[21:22], v[23:24]
	s_delay_alu instid0(VALU_DEP_2) | instskip(NEXT) | instid1(VALU_DEP_3)
	v_cndmask_b32_e64 v24, 0, v8, s0
	v_cndmask_b32_e64 v23, 0, v7, s0
	global_store_b128 v[1:2], v[21:24], off
.LBB917_11:
	s_or_b32 exec_lo, exec_lo, s1
	v_add_nc_u32_e32 v2, 16, v0
	s_delay_alu instid0(VALU_DEP_1) | instskip(SKIP_1) | instid1(VALU_DEP_1)
	v_cmp_le_i32_e64 s1, v4, v2
	v_cmp_gt_i32_e64 s0, s18, v2
	s_and_b32 s1, s1, s0
	s_delay_alu instid0(SALU_CYCLE_1)
	s_and_saveexec_b32 s3, s1
	s_cbranch_execz .LBB917_13
; %bb.12:
	v_ashrrev_i32_e32 v3, 31, v2
	v_mul_f64 v[23:24], s[4:5], v[19:20]
	v_mul_f64 v[19:20], s[6:7], v[19:20]
	s_delay_alu instid0(VALU_DEP_3) | instskip(NEXT) | instid1(VALU_DEP_1)
	v_lshlrev_b64 v[7:8], 4, v[2:3]
	v_add_co_u32 v21, s1, v5, v7
	s_delay_alu instid0(VALU_DEP_1)
	v_add_co_ci_u32_e64 v22, s1, v6, v8, s1
	v_cmp_ne_u32_e64 s1, v4, v2
	global_load_b128 v[5:8], v[21:22], off
	v_fma_f64 v[23:24], s[6:7], v[17:18], v[23:24]
	v_fma_f64 v[17:18], s[4:5], v[17:18], -v[19:20]
	s_waitcnt vmcnt(0)
	v_mul_f64 v[25:26], s[8:9], v[7:8]
	v_mul_f64 v[7:8], s[10:11], v[7:8]
	s_delay_alu instid0(VALU_DEP_2) | instskip(NEXT) | instid1(VALU_DEP_2)
	v_fma_f64 v[25:26], s[10:11], v[5:6], v[25:26]
	v_fma_f64 v[5:6], s[8:9], v[5:6], -v[7:8]
	s_delay_alu instid0(VALU_DEP_2) | instskip(NEXT) | instid1(VALU_DEP_2)
	v_add_f64 v[7:8], v[23:24], v[25:26]
	v_add_f64 v[5:6], v[17:18], v[5:6]
	s_delay_alu instid0(VALU_DEP_2) | instskip(NEXT) | instid1(VALU_DEP_3)
	v_cndmask_b32_e64 v8, 0, v8, s1
	v_cndmask_b32_e64 v7, 0, v7, s1
	global_store_b128 v[21:22], v[5:8], off
.LBB917_13:
	s_or_b32 exec_lo, exec_lo, s3
	v_add_nc_u32_e32 v3, 16, v4
	s_delay_alu instid0(VALU_DEP_1) | instskip(SKIP_1) | instid1(VALU_DEP_2)
	v_mad_i64_i32 v[5:6], null, v3, s2, 0
	v_cmp_le_i32_e64 s1, v3, v0
	v_lshlrev_b64 v[5:6], 4, v[5:6]
	s_delay_alu instid0(VALU_DEP_1) | instskip(NEXT) | instid1(VALU_DEP_1)
	v_add_co_u32 v5, s2, s16, v5
	v_add_co_ci_u32_e64 v6, s2, s17, v6, s2
	s_delay_alu instid0(VALU_DEP_4) | instskip(NEXT) | instid1(SALU_CYCLE_1)
	s_and_b32 s2, s1, vcc_lo
	s_and_saveexec_b32 s1, s2
	s_cbranch_execz .LBB917_15
; %bb.14:
	v_ashrrev_i32_e32 v1, 31, v0
	v_mul_f64 v[21:22], s[4:5], v[15:16]
	v_mul_f64 v[15:16], s[6:7], v[15:16]
	s_delay_alu instid0(VALU_DEP_3) | instskip(NEXT) | instid1(VALU_DEP_1)
	v_lshlrev_b64 v[7:8], 4, v[0:1]
	v_add_co_u32 v7, vcc_lo, v5, v7
	s_delay_alu instid0(VALU_DEP_2)
	v_add_co_ci_u32_e32 v8, vcc_lo, v6, v8, vcc_lo
	v_cmp_ne_u32_e32 vcc_lo, v3, v0
	global_load_b128 v[17:20], v[7:8], off
	v_fma_f64 v[21:22], s[6:7], v[13:14], v[21:22]
	v_fma_f64 v[13:14], s[4:5], v[13:14], -v[15:16]
	s_waitcnt vmcnt(0)
	v_mul_f64 v[23:24], s[8:9], v[19:20]
	v_mul_f64 v[19:20], s[10:11], v[19:20]
	s_delay_alu instid0(VALU_DEP_2) | instskip(NEXT) | instid1(VALU_DEP_2)
	v_fma_f64 v[23:24], s[10:11], v[17:18], v[23:24]
	v_fma_f64 v[15:16], s[8:9], v[17:18], -v[19:20]
	s_delay_alu instid0(VALU_DEP_2) | instskip(NEXT) | instid1(VALU_DEP_2)
	v_add_f64 v[17:18], v[21:22], v[23:24]
	v_add_f64 v[13:14], v[13:14], v[15:16]
	s_delay_alu instid0(VALU_DEP_2)
	v_dual_cndmask_b32 v16, 0, v18 :: v_dual_cndmask_b32 v15, 0, v17
	global_store_b128 v[7:8], v[13:16], off
.LBB917_15:
	s_or_b32 exec_lo, exec_lo, s1
	v_cmp_le_i32_e32 vcc_lo, v3, v2
	s_and_b32 s0, vcc_lo, s0
	s_delay_alu instid0(SALU_CYCLE_1)
	s_and_saveexec_b32 s1, s0
	s_cbranch_execz .LBB917_17
; %bb.16:
	v_ashrrev_i32_e32 v3, 31, v2
	s_delay_alu instid0(VALU_DEP_1) | instskip(NEXT) | instid1(VALU_DEP_1)
	v_lshlrev_b64 v[1:2], 4, v[2:3]
	v_add_co_u32 v13, vcc_lo, v5, v1
	s_delay_alu instid0(VALU_DEP_2)
	v_add_co_ci_u32_e32 v14, vcc_lo, v6, v2, vcc_lo
	v_mul_f64 v[1:2], s[4:5], v[9:10]
	v_mul_f64 v[9:10], s[6:7], v[9:10]
	v_cmp_ne_u32_e32 vcc_lo, v4, v0
	global_load_b128 v[5:8], v[13:14], off
	v_fma_f64 v[1:2], s[6:7], v[11:12], v[1:2]
	v_fma_f64 v[9:10], s[4:5], v[11:12], -v[9:10]
	s_waitcnt vmcnt(0)
	v_mul_f64 v[15:16], s[8:9], v[7:8]
	v_mul_f64 v[7:8], s[10:11], v[7:8]
	s_delay_alu instid0(VALU_DEP_2) | instskip(NEXT) | instid1(VALU_DEP_2)
	v_fma_f64 v[15:16], s[10:11], v[5:6], v[15:16]
	v_fma_f64 v[5:6], s[8:9], v[5:6], -v[7:8]
	s_delay_alu instid0(VALU_DEP_2) | instskip(NEXT) | instid1(VALU_DEP_2)
	v_add_f64 v[7:8], v[1:2], v[15:16]
	v_add_f64 v[1:2], v[9:10], v[5:6]
	s_delay_alu instid0(VALU_DEP_2)
	v_dual_cndmask_b32 v4, 0, v8 :: v_dual_cndmask_b32 v3, 0, v7
	global_store_b128 v[13:14], v[1:4], off
.LBB917_17:
	s_nop 0
	s_sendmsg sendmsg(MSG_DEALLOC_VGPRS)
	s_endpgm
	.section	.rodata,"a",@progbits
	.p2align	6, 0x0
	.amdhsa_kernel _ZL34rocblas_syrkx_herkx_general_kernelIi19rocblas_complex_numIdELi16ELi32ELi8ELb0ELb1ELc78ELc76EKPKS1_KPS1_EviT_T0_PT8_S7_lSA_S7_lS8_PT9_S7_li
		.amdhsa_group_segment_fixed_size 8192
		.amdhsa_private_segment_fixed_size 0
		.amdhsa_kernarg_size 116
		.amdhsa_user_sgpr_count 13
		.amdhsa_user_sgpr_dispatch_ptr 0
		.amdhsa_user_sgpr_queue_ptr 0
		.amdhsa_user_sgpr_kernarg_segment_ptr 1
		.amdhsa_user_sgpr_dispatch_id 0
		.amdhsa_user_sgpr_private_segment_size 0
		.amdhsa_wavefront_size32 1
		.amdhsa_uses_dynamic_stack 0
		.amdhsa_enable_private_segment 0
		.amdhsa_system_sgpr_workgroup_id_x 1
		.amdhsa_system_sgpr_workgroup_id_y 1
		.amdhsa_system_sgpr_workgroup_id_z 1
		.amdhsa_system_sgpr_workgroup_info 0
		.amdhsa_system_vgpr_workitem_id 1
		.amdhsa_next_free_vgpr 119
		.amdhsa_next_free_sgpr 30
		.amdhsa_reserve_vcc 1
		.amdhsa_float_round_mode_32 0
		.amdhsa_float_round_mode_16_64 0
		.amdhsa_float_denorm_mode_32 3
		.amdhsa_float_denorm_mode_16_64 3
		.amdhsa_dx10_clamp 1
		.amdhsa_ieee_mode 1
		.amdhsa_fp16_overflow 0
		.amdhsa_workgroup_processor_mode 1
		.amdhsa_memory_ordered 1
		.amdhsa_forward_progress 0
		.amdhsa_shared_vgpr_count 0
		.amdhsa_exception_fp_ieee_invalid_op 0
		.amdhsa_exception_fp_denorm_src 0
		.amdhsa_exception_fp_ieee_div_zero 0
		.amdhsa_exception_fp_ieee_overflow 0
		.amdhsa_exception_fp_ieee_underflow 0
		.amdhsa_exception_fp_ieee_inexact 0
		.amdhsa_exception_int_div_zero 0
	.end_amdhsa_kernel
	.section	.text._ZL34rocblas_syrkx_herkx_general_kernelIi19rocblas_complex_numIdELi16ELi32ELi8ELb0ELb1ELc78ELc76EKPKS1_KPS1_EviT_T0_PT8_S7_lSA_S7_lS8_PT9_S7_li,"axG",@progbits,_ZL34rocblas_syrkx_herkx_general_kernelIi19rocblas_complex_numIdELi16ELi32ELi8ELb0ELb1ELc78ELc76EKPKS1_KPS1_EviT_T0_PT8_S7_lSA_S7_lS8_PT9_S7_li,comdat
.Lfunc_end917:
	.size	_ZL34rocblas_syrkx_herkx_general_kernelIi19rocblas_complex_numIdELi16ELi32ELi8ELb0ELb1ELc78ELc76EKPKS1_KPS1_EviT_T0_PT8_S7_lSA_S7_lS8_PT9_S7_li, .Lfunc_end917-_ZL34rocblas_syrkx_herkx_general_kernelIi19rocblas_complex_numIdELi16ELi32ELi8ELb0ELb1ELc78ELc76EKPKS1_KPS1_EviT_T0_PT8_S7_lSA_S7_lS8_PT9_S7_li
                                        ; -- End function
	.section	.AMDGPU.csdata,"",@progbits
; Kernel info:
; codeLenInByte = 3588
; NumSgprs: 32
; NumVgprs: 119
; ScratchSize: 0
; MemoryBound: 1
; FloatMode: 240
; IeeeMode: 1
; LDSByteSize: 8192 bytes/workgroup (compile time only)
; SGPRBlocks: 3
; VGPRBlocks: 14
; NumSGPRsForWavesPerEU: 32
; NumVGPRsForWavesPerEU: 119
; Occupancy: 12
; WaveLimiterHint : 1
; COMPUTE_PGM_RSRC2:SCRATCH_EN: 0
; COMPUTE_PGM_RSRC2:USER_SGPR: 13
; COMPUTE_PGM_RSRC2:TRAP_HANDLER: 0
; COMPUTE_PGM_RSRC2:TGID_X_EN: 1
; COMPUTE_PGM_RSRC2:TGID_Y_EN: 1
; COMPUTE_PGM_RSRC2:TGID_Z_EN: 1
; COMPUTE_PGM_RSRC2:TIDIG_COMP_CNT: 1
	.section	.text._ZL34rocblas_syrkx_herkx_general_kernelIi19rocblas_complex_numIdELi16ELi32ELi8ELb0ELb1ELc84ELc85EKPKS1_KPS1_EviT_T0_PT8_S7_lSA_S7_lS8_PT9_S7_li,"axG",@progbits,_ZL34rocblas_syrkx_herkx_general_kernelIi19rocblas_complex_numIdELi16ELi32ELi8ELb0ELb1ELc84ELc85EKPKS1_KPS1_EviT_T0_PT8_S7_lSA_S7_lS8_PT9_S7_li,comdat
	.globl	_ZL34rocblas_syrkx_herkx_general_kernelIi19rocblas_complex_numIdELi16ELi32ELi8ELb0ELb1ELc84ELc85EKPKS1_KPS1_EviT_T0_PT8_S7_lSA_S7_lS8_PT9_S7_li ; -- Begin function _ZL34rocblas_syrkx_herkx_general_kernelIi19rocblas_complex_numIdELi16ELi32ELi8ELb0ELb1ELc84ELc85EKPKS1_KPS1_EviT_T0_PT8_S7_lSA_S7_lS8_PT9_S7_li
	.p2align	8
	.type	_ZL34rocblas_syrkx_herkx_general_kernelIi19rocblas_complex_numIdELi16ELi32ELi8ELb0ELb1ELc84ELc85EKPKS1_KPS1_EviT_T0_PT8_S7_lSA_S7_lS8_PT9_S7_li,@function
_ZL34rocblas_syrkx_herkx_general_kernelIi19rocblas_complex_numIdELi16ELi32ELi8ELb0ELb1ELc84ELc85EKPKS1_KPS1_EviT_T0_PT8_S7_lSA_S7_lS8_PT9_S7_li: ; @_ZL34rocblas_syrkx_herkx_general_kernelIi19rocblas_complex_numIdELi16ELi32ELi8ELb0ELb1ELc84ELc85EKPKS1_KPS1_EviT_T0_PT8_S7_lSA_S7_lS8_PT9_S7_li
; %bb.0:
	s_load_b64 s[8:9], s[0:1], 0x58
	s_mov_b32 s20, s15
	s_mov_b32 s21, 0
	s_clause 0x1
	s_load_b64 s[16:17], s[0:1], 0x0
	s_load_b128 s[4:7], s[0:1], 0x8
	s_lshl_b64 s[2:3], s[20:21], 3
	v_mov_b32_e32 v20, 0
	v_dual_mov_b32 v21, 0 :: v_dual_and_b32 v24, 0x3ff, v0
	v_bfe_u32 v25, v0, 10, 10
	s_delay_alu instid0(VALU_DEP_3) | instskip(NEXT) | instid1(VALU_DEP_3)
	v_mov_b32_e32 v16, v20
	v_dual_mov_b32 v18, v20 :: v_dual_mov_b32 v19, v21
	v_dual_mov_b32 v23, v21 :: v_dual_mov_b32 v22, v20
	;; [unrolled: 1-line block ×5, first 2 shown]
	v_mov_b32_e32 v11, v21
	s_waitcnt lgkmcnt(0)
	s_add_u32 s18, s8, s2
	s_addc_u32 s19, s9, s3
	s_clause 0x1
	s_load_b64 s[22:23], s[0:1], 0x18
	s_load_b128 s[8:11], s[0:1], 0x48
	s_load_b64 s[18:19], s[18:19], 0x0
	v_dual_mov_b32 v8, v20 :: v_dual_mov_b32 v9, v21
	s_lshl_b32 s12, s13, 5
	s_lshl_b32 s13, s14, 5
	s_cmp_lt_i32 s17, 1
	s_cbranch_scc1 .LBB918_11
; %bb.1:
	s_clause 0x1
	s_load_b64 s[14:15], s[0:1], 0x30
	s_load_b32 s20, s[0:1], 0x20
	v_lshl_add_u32 v0, v25, 4, v24
	v_dual_mov_b32 v8, 0 :: v_dual_lshlrev_b32 v27, 4, v24
	v_dual_mov_b32 v9, 0 :: v_dual_and_b32 v26, 7, v24
	s_delay_alu instid0(VALU_DEP_3)
	v_and_b32_e32 v1, 31, v0
	s_load_b32 s24, s[0:1], 0x38
	v_lshrrev_b32_e32 v2, 3, v0
	v_lshrrev_b32_e32 v29, 5, v0
	v_mov_b32_e32 v15, v9
	v_dual_mov_b32 v14, v8 :: v_dual_add_nc_u32 v3, s12, v1
	v_or_b32_e32 v6, s12, v1
	v_lshlrev_b32_e32 v7, 4, v1
	v_lshlrev_b32_e32 v4, 4, v26
	;; [unrolled: 1-line block ×3, first 2 shown]
	v_add_nc_u32_e32 v5, s13, v2
	v_mov_b32_e32 v19, v9
	s_waitcnt lgkmcnt(0)
	s_add_u32 s14, s14, s2
	v_mad_i64_i32 v[0:1], null, s20, v3, 0
	s_addc_u32 s15, s15, s3
	s_add_u32 s2, s22, s2
	v_lshl_or_b32 v10, v2, 7, v4
	s_addc_u32 s3, s23, s3
	v_mov_b32_e32 v18, v8
	s_load_b64 s[22:23], s[2:3], 0x0
	s_delay_alu instid0(VALU_DEP_3)
	v_lshlrev_b64 v[0:1], 4, v[0:1]
	v_add_nc_u32_e32 v31, 0x1000, v10
	s_load_b64 s[14:15], s[14:15], 0x0
	v_cmp_gt_i32_e32 vcc_lo, s16, v6
	v_mov_b32_e32 v13, v9
	v_mov_b32_e32 v17, v9
	v_add_co_u32 v0, s3, v0, v11
	v_dual_mov_b32 v11, v9 :: v_dual_mov_b32 v10, v8
	v_mad_i64_i32 v[2:3], null, s24, v5, 0
	v_add_co_ci_u32_e64 v1, s3, 0, v1, s3
	v_cmp_gt_i32_e64 s2, s16, v5
	v_mov_b32_e32 v23, v9
	v_dual_mov_b32 v21, v9 :: v_dual_mov_b32 v20, v8
	v_lshlrev_b64 v[2:3], 4, v[2:3]
	v_lshl_add_u32 v28, v25, 7, 0x1000
	v_mov_b32_e32 v12, v8
	v_lshl_or_b32 v30, v29, 9, v7
	v_mov_b32_e32 v16, v8
	v_mov_b32_e32 v22, v8
	v_add_co_u32 v2, s3, v2, v4
	s_delay_alu instid0(VALU_DEP_1) | instskip(SKIP_2) | instid1(VALU_DEP_1)
	v_add_co_ci_u32_e64 v3, s3, 0, v3, s3
	s_waitcnt lgkmcnt(0)
	v_add_co_u32 v4, s3, s22, v0
	v_add_co_ci_u32_e64 v5, s3, s23, v1, s3
	v_add_co_u32 v6, s3, s14, v2
	s_delay_alu instid0(VALU_DEP_1)
	v_add_co_ci_u32_e64 v7, s3, s15, v3, s3
	v_mov_b32_e32 v0, 0
	s_xor_b32 s3, vcc_lo, -1
	s_xor_b32 s2, s2, -1
	s_branch .LBB918_3
.LBB918_2:                              ;   in Loop: Header=BB918_3 Depth=1
	s_or_b32 exec_lo, exec_lo, s14
	s_waitcnt lgkmcnt(0)
	s_barrier
	buffer_gl0_inv
	ds_load_b128 v[32:35], v28
	ds_load_b128 v[36:39], v27
	ds_load_b128 v[40:43], v27 offset:256
	ds_load_b128 v[44:47], v28 offset:2048
	;; [unrolled: 1-line block ×9, first 2 shown]
	v_add_co_u32 v4, vcc_lo, 0x80, v4
	v_add_co_ci_u32_e32 v5, vcc_lo, 0, v5, vcc_lo
	v_add_co_u32 v6, vcc_lo, 0x80, v6
	v_add_co_ci_u32_e32 v7, vcc_lo, 0, v7, vcc_lo
	s_add_i32 s21, s21, 8
	s_delay_alu instid0(SALU_CYCLE_1)
	s_cmp_ge_i32 s21, s17
	s_waitcnt lgkmcnt(9)
	v_mul_f64 v[1:2], v[34:35], v[38:39]
	v_mul_f64 v[76:77], v[32:33], v[38:39]
	s_waitcnt lgkmcnt(8)
	v_mul_f64 v[78:79], v[34:35], v[42:43]
	v_mul_f64 v[80:81], v[32:33], v[42:43]
	s_waitcnt lgkmcnt(7)
	v_mul_f64 v[82:83], v[46:47], v[38:39]
	v_mul_f64 v[38:39], v[44:45], v[38:39]
	v_mul_f64 v[84:85], v[46:47], v[42:43]
	v_mul_f64 v[42:43], v[44:45], v[42:43]
	s_waitcnt lgkmcnt(4)
	v_mul_f64 v[86:87], v[50:51], v[58:59]
	v_mul_f64 v[88:89], v[48:49], v[58:59]
	s_waitcnt lgkmcnt(3)
	v_mul_f64 v[90:91], v[50:51], v[62:63]
	v_mul_f64 v[92:93], v[48:49], v[62:63]
	;; [unrolled: 1-line block ×6, first 2 shown]
	s_waitcnt lgkmcnt(0)
	v_mul_f64 v[114:115], v[74:75], v[66:67]
	v_mul_f64 v[116:117], v[74:75], v[70:71]
	v_fma_f64 v[1:2], v[32:33], v[36:37], -v[1:2]
	v_fma_f64 v[98:99], v[34:35], v[36:37], v[76:77]
	v_fma_f64 v[100:101], v[32:33], v[40:41], -v[78:79]
	v_fma_f64 v[80:81], v[34:35], v[40:41], v[80:81]
	v_fma_f64 v[82:83], v[44:45], v[36:37], -v[82:83]
	v_fma_f64 v[102:103], v[46:47], v[36:37], v[38:39]
	v_fma_f64 v[84:85], v[44:45], v[40:41], -v[84:85]
	v_fma_f64 v[104:105], v[46:47], v[40:41], v[42:43]
	ds_load_b128 v[76:79], v28 offset:32
	v_fma_f64 v[86:87], v[48:49], v[56:57], -v[86:87]
	v_fma_f64 v[88:89], v[50:51], v[56:57], v[88:89]
	v_fma_f64 v[48:49], v[48:49], v[60:61], -v[90:91]
	v_fma_f64 v[50:51], v[50:51], v[60:61], v[92:93]
	v_fma_f64 v[90:91], v[52:53], v[56:57], -v[94:95]
	v_fma_f64 v[56:57], v[54:55], v[56:57], v[58:59]
	v_fma_f64 v[52:53], v[52:53], v[60:61], -v[96:97]
	v_fma_f64 v[54:55], v[54:55], v[60:61], v[62:63]
	ds_load_b128 v[32:35], v28 offset:48
	ds_load_b128 v[36:39], v28 offset:2096
	;; [unrolled: 1-line block ×4, first 2 shown]
	s_waitcnt lgkmcnt(4)
	v_mul_f64 v[106:107], v[78:79], v[66:67]
	v_mul_f64 v[108:109], v[76:77], v[66:67]
	;; [unrolled: 1-line block ×6, first 2 shown]
	s_waitcnt lgkmcnt(1)
	v_mul_f64 v[92:93], v[32:33], v[42:43]
	s_waitcnt lgkmcnt(0)
	v_mul_f64 v[94:95], v[34:35], v[46:47]
	v_add_f64 v[1:2], v[20:21], v[1:2]
	v_add_f64 v[20:21], v[22:23], v[98:99]
	;; [unrolled: 1-line block ×8, first 2 shown]
	v_mul_f64 v[84:85], v[34:35], v[42:43]
	v_mul_f64 v[96:97], v[32:33], v[46:47]
	;; [unrolled: 1-line block ×6, first 2 shown]
	ds_load_b128 v[8:11], v27 offset:2048
	ds_load_b128 v[12:15], v27 offset:2304
	ds_load_b128 v[16:19], v28 offset:2112
	v_fma_f64 v[104:105], v[76:77], v[64:65], -v[106:107]
	v_fma_f64 v[106:107], v[78:79], v[64:65], v[108:109]
	v_fma_f64 v[76:77], v[76:77], v[68:69], -v[110:111]
	v_fma_f64 v[78:79], v[78:79], v[68:69], v[112:113]
	;; [unrolled: 2-line block ×4, first 2 shown]
	s_waitcnt lgkmcnt(0)
	v_mul_f64 v[114:115], v[18:19], v[10:11]
	v_mul_f64 v[116:117], v[18:19], v[14:15]
	v_add_f64 v[1:2], v[1:2], v[86:87]
	v_add_f64 v[70:71], v[20:21], v[88:89]
	;; [unrolled: 1-line block ×8, first 2 shown]
	ds_load_b128 v[20:23], v28 offset:64
	v_fma_f64 v[84:85], v[32:33], v[40:41], -v[84:85]
	v_fma_f64 v[92:93], v[34:35], v[40:41], v[92:93]
	v_fma_f64 v[94:95], v[32:33], v[44:45], -v[94:95]
	v_fma_f64 v[96:97], v[34:35], v[44:45], v[96:97]
	;; [unrolled: 2-line block ×4, first 2 shown]
	ds_load_b128 v[46:49], v28 offset:80
	ds_load_b128 v[50:53], v28 offset:2128
	;; [unrolled: 1-line block ×7, first 2 shown]
	s_waitcnt lgkmcnt(7)
	v_mul_f64 v[88:89], v[22:23], v[10:11]
	v_mul_f64 v[90:91], v[20:21], v[10:11]
	;; [unrolled: 1-line block ×6, first 2 shown]
	s_waitcnt lgkmcnt(3)
	v_mul_f64 v[102:103], v[52:53], v[60:61]
	v_add_f64 v[1:2], v[1:2], v[104:105]
	v_add_f64 v[70:71], v[70:71], v[106:107]
	v_add_f64 v[72:73], v[72:73], v[76:77]
	v_add_f64 v[74:75], v[74:75], v[78:79]
	v_add_f64 v[76:77], v[86:87], v[108:109]
	v_add_f64 v[62:63], v[62:63], v[64:65]
	v_add_f64 v[64:65], v[80:81], v[66:67]
	v_add_f64 v[66:67], v[82:83], v[68:69]
	v_mul_f64 v[68:69], v[48:49], v[56:57]
	v_mul_f64 v[78:79], v[46:47], v[56:57]
	;; [unrolled: 1-line block ×7, first 2 shown]
	v_fma_f64 v[88:89], v[20:21], v[8:9], -v[88:89]
	v_fma_f64 v[90:91], v[22:23], v[8:9], v[90:91]
	v_fma_f64 v[106:107], v[20:21], v[12:13], -v[110:111]
	v_fma_f64 v[108:109], v[22:23], v[12:13], v[112:113]
	;; [unrolled: 2-line block ×4, first 2 shown]
	ds_load_b128 v[8:11], v28 offset:96
	v_add_f64 v[1:2], v[1:2], v[84:85]
	v_add_f64 v[70:71], v[70:71], v[92:93]
	;; [unrolled: 1-line block ×8, first 2 shown]
	s_waitcnt lgkmcnt(1)
	v_mul_f64 v[98:99], v[42:43], v[34:35]
	v_mul_f64 v[100:101], v[42:43], v[38:39]
	v_fma_f64 v[68:69], v[46:47], v[54:55], -v[68:69]
	v_fma_f64 v[78:79], v[48:49], v[54:55], v[78:79]
	v_fma_f64 v[46:47], v[46:47], v[58:59], -v[80:81]
	v_fma_f64 v[48:49], v[48:49], v[58:59], v[82:83]
	;; [unrolled: 2-line block ×4, first 2 shown]
	s_waitcnt lgkmcnt(0)
	v_mul_f64 v[66:67], v[10:11], v[34:35]
	v_mul_f64 v[92:93], v[8:9], v[34:35]
	;; [unrolled: 1-line block ×6, first 2 shown]
	ds_load_b128 v[12:15], v28 offset:112
	ds_load_b128 v[16:19], v28 offset:2160
	ds_load_b128 v[20:23], v27 offset:3584
	ds_load_b128 v[60:63], v27 offset:3840
	s_waitcnt lgkmcnt(0)
	s_barrier
	buffer_gl0_inv
	v_add_f64 v[1:2], v[1:2], v[88:89]
	v_add_f64 v[56:57], v[70:71], v[90:91]
	;; [unrolled: 1-line block ×8, first 2 shown]
	v_mul_f64 v[76:77], v[14:15], v[22:23]
	v_mul_f64 v[82:83], v[12:13], v[22:23]
	;; [unrolled: 1-line block ×8, first 2 shown]
	v_fma_f64 v[66:67], v[8:9], v[32:33], -v[66:67]
	v_fma_f64 v[92:93], v[10:11], v[32:33], v[92:93]
	v_fma_f64 v[8:9], v[8:9], v[36:37], -v[94:95]
	v_fma_f64 v[10:11], v[10:11], v[36:37], v[96:97]
	;; [unrolled: 2-line block ×4, first 2 shown]
	v_add_f64 v[1:2], v[1:2], v[68:69]
	v_add_f64 v[38:39], v[56:57], v[78:79]
	;; [unrolled: 1-line block ×8, first 2 shown]
	v_fma_f64 v[52:53], v[12:13], v[20:21], -v[76:77]
	v_fma_f64 v[54:55], v[14:15], v[20:21], v[82:83]
	v_fma_f64 v[12:13], v[12:13], v[60:61], -v[84:85]
	v_fma_f64 v[14:15], v[14:15], v[60:61], v[86:87]
	;; [unrolled: 2-line block ×4, first 2 shown]
	v_add_f64 v[1:2], v[1:2], v[66:67]
	v_add_f64 v[16:17], v[38:39], v[92:93]
	;; [unrolled: 1-line block ×16, first 2 shown]
	s_cbranch_scc1 .LBB918_11
.LBB918_3:                              ; =>This Inner Loop Header: Depth=1
	v_add_nc_u32_e32 v1, s21, v29
	s_delay_alu instid0(VALU_DEP_1) | instskip(SKIP_1) | instid1(SALU_CYCLE_1)
	v_cmp_le_i32_e32 vcc_lo, s17, v1
	s_or_b32 s14, s3, vcc_lo
	s_and_saveexec_b32 s15, s14
	s_delay_alu instid0(SALU_CYCLE_1)
	s_xor_b32 s14, exec_lo, s15
	s_cbranch_execz .LBB918_5
; %bb.4:                                ;   in Loop: Header=BB918_3 Depth=1
	v_mov_b32_e32 v1, v0
	v_mov_b32_e32 v2, v0
	v_mov_b32_e32 v3, v0
	ds_store_b128 v30, v[0:3]
.LBB918_5:                              ;   in Loop: Header=BB918_3 Depth=1
	s_and_not1_saveexec_b32 s14, s14
	s_cbranch_execz .LBB918_7
; %bb.6:                                ;   in Loop: Header=BB918_3 Depth=1
	global_load_b128 v[32:35], v[4:5], off
	s_waitcnt vmcnt(0)
	ds_store_2addr_b64 v30, v[32:33], v[34:35] offset1:1
.LBB918_7:                              ;   in Loop: Header=BB918_3 Depth=1
	s_or_b32 exec_lo, exec_lo, s14
	v_add_nc_u32_e32 v1, s21, v26
	s_delay_alu instid0(VALU_DEP_1) | instskip(SKIP_1) | instid1(SALU_CYCLE_1)
	v_cmp_le_i32_e32 vcc_lo, s17, v1
	s_or_b32 s14, vcc_lo, s2
	s_and_saveexec_b32 s15, s14
	s_delay_alu instid0(SALU_CYCLE_1)
	s_xor_b32 s14, exec_lo, s15
	s_cbranch_execz .LBB918_9
; %bb.8:                                ;   in Loop: Header=BB918_3 Depth=1
	v_mov_b32_e32 v1, v0
	v_mov_b32_e32 v2, v0
	;; [unrolled: 1-line block ×3, first 2 shown]
	ds_store_b128 v31, v[0:3]
.LBB918_9:                              ;   in Loop: Header=BB918_3 Depth=1
	s_and_not1_saveexec_b32 s14, s14
	s_cbranch_execz .LBB918_2
; %bb.10:                               ;   in Loop: Header=BB918_3 Depth=1
	global_load_b128 v[32:35], v[6:7], off
	s_waitcnt vmcnt(0)
	ds_store_2addr_b64 v31, v[32:33], v[34:35] offset1:1
	s_branch .LBB918_2
.LBB918_11:
	s_load_b32 s2, s[0:1], 0x60
	v_add_nc_u32_e32 v4, s13, v25
	v_add_nc_u32_e32 v0, s12, v24
	s_delay_alu instid0(VALU_DEP_2) | instskip(NEXT) | instid1(VALU_DEP_2)
	v_cmp_gt_i32_e32 vcc_lo, s16, v4
	v_cmp_le_i32_e64 s0, v0, v4
	s_delay_alu instid0(VALU_DEP_1) | instskip(SKIP_2) | instid1(VALU_DEP_1)
	s_and_b32 s0, vcc_lo, s0
	s_waitcnt lgkmcnt(0)
	v_mad_i64_i32 v[1:2], null, v4, s2, 0
	v_lshlrev_b64 v[1:2], 4, v[1:2]
	s_delay_alu instid0(VALU_DEP_1) | instskip(NEXT) | instid1(VALU_DEP_1)
	v_add_co_u32 v5, s1, s18, v1
	v_add_co_ci_u32_e64 v6, s1, s19, v2, s1
	s_and_saveexec_b32 s1, s0
	s_cbranch_execz .LBB918_13
; %bb.12:
	v_ashrrev_i32_e32 v1, 31, v0
	v_mul_f64 v[28:29], s[4:5], v[22:23]
	v_mul_f64 v[22:23], s[6:7], v[22:23]
	s_delay_alu instid0(VALU_DEP_3) | instskip(NEXT) | instid1(VALU_DEP_1)
	v_lshlrev_b64 v[1:2], 4, v[0:1]
	v_add_co_u32 v1, s0, v5, v1
	s_delay_alu instid0(VALU_DEP_1)
	v_add_co_ci_u32_e64 v2, s0, v6, v2, s0
	v_cmp_ne_u32_e64 s0, v4, v0
	global_load_b128 v[24:27], v[1:2], off
	v_fma_f64 v[28:29], s[6:7], v[20:21], v[28:29]
	v_fma_f64 v[20:21], s[4:5], v[20:21], -v[22:23]
	s_waitcnt vmcnt(0)
	v_mul_f64 v[30:31], s[8:9], v[26:27]
	v_mul_f64 v[26:27], s[10:11], v[26:27]
	s_delay_alu instid0(VALU_DEP_2) | instskip(NEXT) | instid1(VALU_DEP_2)
	v_fma_f64 v[30:31], s[10:11], v[24:25], v[30:31]
	v_fma_f64 v[22:23], s[8:9], v[24:25], -v[26:27]
	s_delay_alu instid0(VALU_DEP_2) | instskip(NEXT) | instid1(VALU_DEP_2)
	v_add_f64 v[24:25], v[28:29], v[30:31]
	v_add_f64 v[20:21], v[20:21], v[22:23]
	s_delay_alu instid0(VALU_DEP_2) | instskip(NEXT) | instid1(VALU_DEP_3)
	v_cndmask_b32_e64 v23, 0, v25, s0
	v_cndmask_b32_e64 v22, 0, v24, s0
	global_store_b128 v[1:2], v[20:23], off
.LBB918_13:
	s_or_b32 exec_lo, exec_lo, s1
	v_add_nc_u32_e32 v2, 16, v0
	s_delay_alu instid0(VALU_DEP_1) | instskip(NEXT) | instid1(VALU_DEP_1)
	v_cmp_le_i32_e64 s0, v2, v4
	s_and_b32 s1, vcc_lo, s0
	s_delay_alu instid0(SALU_CYCLE_1)
	s_and_saveexec_b32 s0, s1
	s_cbranch_execz .LBB918_15
; %bb.14:
	v_ashrrev_i32_e32 v3, 31, v2
	v_mul_f64 v[24:25], s[4:5], v[18:19]
	v_mul_f64 v[18:19], s[6:7], v[18:19]
	s_delay_alu instid0(VALU_DEP_3) | instskip(NEXT) | instid1(VALU_DEP_1)
	v_lshlrev_b64 v[20:21], 4, v[2:3]
	v_add_co_u32 v5, vcc_lo, v5, v20
	s_delay_alu instid0(VALU_DEP_2)
	v_add_co_ci_u32_e32 v6, vcc_lo, v6, v21, vcc_lo
	v_cmp_ne_u32_e32 vcc_lo, v4, v2
	global_load_b128 v[20:23], v[5:6], off
	v_fma_f64 v[24:25], s[6:7], v[16:17], v[24:25]
	v_fma_f64 v[16:17], s[4:5], v[16:17], -v[18:19]
	s_waitcnt vmcnt(0)
	v_mul_f64 v[26:27], s[8:9], v[22:23]
	v_mul_f64 v[22:23], s[10:11], v[22:23]
	s_delay_alu instid0(VALU_DEP_2) | instskip(NEXT) | instid1(VALU_DEP_2)
	v_fma_f64 v[26:27], s[10:11], v[20:21], v[26:27]
	v_fma_f64 v[18:19], s[8:9], v[20:21], -v[22:23]
	s_delay_alu instid0(VALU_DEP_2) | instskip(NEXT) | instid1(VALU_DEP_2)
	v_add_f64 v[20:21], v[24:25], v[26:27]
	v_add_f64 v[16:17], v[16:17], v[18:19]
	s_delay_alu instid0(VALU_DEP_2)
	v_dual_cndmask_b32 v19, 0, v21 :: v_dual_cndmask_b32 v18, 0, v20
	global_store_b128 v[5:6], v[16:19], off
.LBB918_15:
	s_or_b32 exec_lo, exec_lo, s0
	v_add_nc_u32_e32 v3, 16, v4
	s_delay_alu instid0(VALU_DEP_1) | instskip(SKIP_2) | instid1(VALU_DEP_1)
	v_mad_i64_i32 v[5:6], null, v3, s2, 0
	v_cmp_gt_i32_e32 vcc_lo, s16, v3
	v_cmp_le_i32_e64 s0, v0, v3
	s_and_b32 s0, vcc_lo, s0
	s_delay_alu instid0(VALU_DEP_3) | instskip(NEXT) | instid1(VALU_DEP_1)
	v_lshlrev_b64 v[5:6], 4, v[5:6]
	v_add_co_u32 v5, s1, s18, v5
	s_delay_alu instid0(VALU_DEP_1)
	v_add_co_ci_u32_e64 v6, s1, s19, v6, s1
	s_and_saveexec_b32 s1, s0
	s_cbranch_execz .LBB918_17
; %bb.16:
	v_ashrrev_i32_e32 v1, 31, v0
	v_mul_f64 v[22:23], s[4:5], v[14:15]
	v_mul_f64 v[14:15], s[6:7], v[14:15]
	s_delay_alu instid0(VALU_DEP_3) | instskip(NEXT) | instid1(VALU_DEP_1)
	v_lshlrev_b64 v[16:17], 4, v[0:1]
	v_add_co_u32 v20, s0, v5, v16
	s_delay_alu instid0(VALU_DEP_1)
	v_add_co_ci_u32_e64 v21, s0, v6, v17, s0
	v_cmp_ne_u32_e64 s0, v3, v0
	global_load_b128 v[16:19], v[20:21], off
	v_fma_f64 v[22:23], s[6:7], v[12:13], v[22:23]
	v_fma_f64 v[12:13], s[4:5], v[12:13], -v[14:15]
	s_waitcnt vmcnt(0)
	v_mul_f64 v[24:25], s[8:9], v[18:19]
	v_mul_f64 v[18:19], s[10:11], v[18:19]
	s_delay_alu instid0(VALU_DEP_2) | instskip(NEXT) | instid1(VALU_DEP_2)
	v_fma_f64 v[24:25], s[10:11], v[16:17], v[24:25]
	v_fma_f64 v[14:15], s[8:9], v[16:17], -v[18:19]
	s_delay_alu instid0(VALU_DEP_2) | instskip(NEXT) | instid1(VALU_DEP_2)
	v_add_f64 v[16:17], v[22:23], v[24:25]
	v_add_f64 v[12:13], v[12:13], v[14:15]
	s_delay_alu instid0(VALU_DEP_2) | instskip(NEXT) | instid1(VALU_DEP_3)
	v_cndmask_b32_e64 v15, 0, v17, s0
	v_cndmask_b32_e64 v14, 0, v16, s0
	global_store_b128 v[20:21], v[12:15], off
.LBB918_17:
	s_or_b32 exec_lo, exec_lo, s1
	v_cmp_le_i32_e64 s0, v2, v3
	s_delay_alu instid0(VALU_DEP_1) | instskip(NEXT) | instid1(SALU_CYCLE_1)
	s_and_b32 s0, vcc_lo, s0
	s_and_saveexec_b32 s1, s0
	s_cbranch_execz .LBB918_19
; %bb.18:
	v_ashrrev_i32_e32 v3, 31, v2
	s_delay_alu instid0(VALU_DEP_1) | instskip(NEXT) | instid1(VALU_DEP_1)
	v_lshlrev_b64 v[1:2], 4, v[2:3]
	v_add_co_u32 v5, vcc_lo, v5, v1
	s_delay_alu instid0(VALU_DEP_2)
	v_add_co_ci_u32_e32 v6, vcc_lo, v6, v2, vcc_lo
	v_mul_f64 v[1:2], s[4:5], v[8:9]
	v_mul_f64 v[7:8], s[6:7], v[8:9]
	v_cmp_ne_u32_e32 vcc_lo, v4, v0
	global_load_b128 v[12:15], v[5:6], off
	v_fma_f64 v[1:2], s[6:7], v[10:11], v[1:2]
	v_fma_f64 v[7:8], s[4:5], v[10:11], -v[7:8]
	s_waitcnt vmcnt(0)
	v_mul_f64 v[16:17], s[8:9], v[14:15]
	v_mul_f64 v[14:15], s[10:11], v[14:15]
	s_delay_alu instid0(VALU_DEP_2) | instskip(NEXT) | instid1(VALU_DEP_2)
	v_fma_f64 v[16:17], s[10:11], v[12:13], v[16:17]
	v_fma_f64 v[9:10], s[8:9], v[12:13], -v[14:15]
	s_delay_alu instid0(VALU_DEP_2) | instskip(NEXT) | instid1(VALU_DEP_2)
	v_add_f64 v[11:12], v[1:2], v[16:17]
	v_add_f64 v[1:2], v[7:8], v[9:10]
	s_delay_alu instid0(VALU_DEP_2)
	v_dual_cndmask_b32 v4, 0, v12 :: v_dual_cndmask_b32 v3, 0, v11
	global_store_b128 v[5:6], v[1:4], off
.LBB918_19:
	s_nop 0
	s_sendmsg sendmsg(MSG_DEALLOC_VGPRS)
	s_endpgm
	.section	.rodata,"a",@progbits
	.p2align	6, 0x0
	.amdhsa_kernel _ZL34rocblas_syrkx_herkx_general_kernelIi19rocblas_complex_numIdELi16ELi32ELi8ELb0ELb1ELc84ELc85EKPKS1_KPS1_EviT_T0_PT8_S7_lSA_S7_lS8_PT9_S7_li
		.amdhsa_group_segment_fixed_size 8192
		.amdhsa_private_segment_fixed_size 0
		.amdhsa_kernarg_size 116
		.amdhsa_user_sgpr_count 13
		.amdhsa_user_sgpr_dispatch_ptr 0
		.amdhsa_user_sgpr_queue_ptr 0
		.amdhsa_user_sgpr_kernarg_segment_ptr 1
		.amdhsa_user_sgpr_dispatch_id 0
		.amdhsa_user_sgpr_private_segment_size 0
		.amdhsa_wavefront_size32 1
		.amdhsa_uses_dynamic_stack 0
		.amdhsa_enable_private_segment 0
		.amdhsa_system_sgpr_workgroup_id_x 1
		.amdhsa_system_sgpr_workgroup_id_y 1
		.amdhsa_system_sgpr_workgroup_id_z 1
		.amdhsa_system_sgpr_workgroup_info 0
		.amdhsa_system_vgpr_workitem_id 1
		.amdhsa_next_free_vgpr 120
		.amdhsa_next_free_sgpr 25
		.amdhsa_reserve_vcc 1
		.amdhsa_float_round_mode_32 0
		.amdhsa_float_round_mode_16_64 0
		.amdhsa_float_denorm_mode_32 3
		.amdhsa_float_denorm_mode_16_64 3
		.amdhsa_dx10_clamp 1
		.amdhsa_ieee_mode 1
		.amdhsa_fp16_overflow 0
		.amdhsa_workgroup_processor_mode 1
		.amdhsa_memory_ordered 1
		.amdhsa_forward_progress 0
		.amdhsa_shared_vgpr_count 0
		.amdhsa_exception_fp_ieee_invalid_op 0
		.amdhsa_exception_fp_denorm_src 0
		.amdhsa_exception_fp_ieee_div_zero 0
		.amdhsa_exception_fp_ieee_overflow 0
		.amdhsa_exception_fp_ieee_underflow 0
		.amdhsa_exception_fp_ieee_inexact 0
		.amdhsa_exception_int_div_zero 0
	.end_amdhsa_kernel
	.section	.text._ZL34rocblas_syrkx_herkx_general_kernelIi19rocblas_complex_numIdELi16ELi32ELi8ELb0ELb1ELc84ELc85EKPKS1_KPS1_EviT_T0_PT8_S7_lSA_S7_lS8_PT9_S7_li,"axG",@progbits,_ZL34rocblas_syrkx_herkx_general_kernelIi19rocblas_complex_numIdELi16ELi32ELi8ELb0ELb1ELc84ELc85EKPKS1_KPS1_EviT_T0_PT8_S7_lSA_S7_lS8_PT9_S7_li,comdat
.Lfunc_end918:
	.size	_ZL34rocblas_syrkx_herkx_general_kernelIi19rocblas_complex_numIdELi16ELi32ELi8ELb0ELb1ELc84ELc85EKPKS1_KPS1_EviT_T0_PT8_S7_lSA_S7_lS8_PT9_S7_li, .Lfunc_end918-_ZL34rocblas_syrkx_herkx_general_kernelIi19rocblas_complex_numIdELi16ELi32ELi8ELb0ELb1ELc84ELc85EKPKS1_KPS1_EviT_T0_PT8_S7_lSA_S7_lS8_PT9_S7_li
                                        ; -- End function
	.section	.AMDGPU.csdata,"",@progbits
; Kernel info:
; codeLenInByte = 3536
; NumSgprs: 27
; NumVgprs: 120
; ScratchSize: 0
; MemoryBound: 0
; FloatMode: 240
; IeeeMode: 1
; LDSByteSize: 8192 bytes/workgroup (compile time only)
; SGPRBlocks: 3
; VGPRBlocks: 14
; NumSGPRsForWavesPerEU: 27
; NumVGPRsForWavesPerEU: 120
; Occupancy: 12
; WaveLimiterHint : 1
; COMPUTE_PGM_RSRC2:SCRATCH_EN: 0
; COMPUTE_PGM_RSRC2:USER_SGPR: 13
; COMPUTE_PGM_RSRC2:TRAP_HANDLER: 0
; COMPUTE_PGM_RSRC2:TGID_X_EN: 1
; COMPUTE_PGM_RSRC2:TGID_Y_EN: 1
; COMPUTE_PGM_RSRC2:TGID_Z_EN: 1
; COMPUTE_PGM_RSRC2:TIDIG_COMP_CNT: 1
	.section	.text._ZL34rocblas_syrkx_herkx_general_kernelIi19rocblas_complex_numIdELi16ELi32ELi8ELb0ELb1ELc67ELc85EKPKS1_KPS1_EviT_T0_PT8_S7_lSA_S7_lS8_PT9_S7_li,"axG",@progbits,_ZL34rocblas_syrkx_herkx_general_kernelIi19rocblas_complex_numIdELi16ELi32ELi8ELb0ELb1ELc67ELc85EKPKS1_KPS1_EviT_T0_PT8_S7_lSA_S7_lS8_PT9_S7_li,comdat
	.globl	_ZL34rocblas_syrkx_herkx_general_kernelIi19rocblas_complex_numIdELi16ELi32ELi8ELb0ELb1ELc67ELc85EKPKS1_KPS1_EviT_T0_PT8_S7_lSA_S7_lS8_PT9_S7_li ; -- Begin function _ZL34rocblas_syrkx_herkx_general_kernelIi19rocblas_complex_numIdELi16ELi32ELi8ELb0ELb1ELc67ELc85EKPKS1_KPS1_EviT_T0_PT8_S7_lSA_S7_lS8_PT9_S7_li
	.p2align	8
	.type	_ZL34rocblas_syrkx_herkx_general_kernelIi19rocblas_complex_numIdELi16ELi32ELi8ELb0ELb1ELc67ELc85EKPKS1_KPS1_EviT_T0_PT8_S7_lSA_S7_lS8_PT9_S7_li,@function
_ZL34rocblas_syrkx_herkx_general_kernelIi19rocblas_complex_numIdELi16ELi32ELi8ELb0ELb1ELc67ELc85EKPKS1_KPS1_EviT_T0_PT8_S7_lSA_S7_lS8_PT9_S7_li: ; @_ZL34rocblas_syrkx_herkx_general_kernelIi19rocblas_complex_numIdELi16ELi32ELi8ELb0ELb1ELc67ELc85EKPKS1_KPS1_EviT_T0_PT8_S7_lSA_S7_lS8_PT9_S7_li
; %bb.0:
	s_load_b64 s[8:9], s[0:1], 0x58
	s_mov_b32 s20, s15
	s_mov_b32 s21, 0
	s_clause 0x1
	s_load_b64 s[16:17], s[0:1], 0x0
	s_load_b128 s[4:7], s[0:1], 0x8
	s_lshl_b64 s[2:3], s[20:21], 3
	v_mov_b32_e32 v23, 0
	v_dual_mov_b32 v24, 0 :: v_dual_and_b32 v27, 0x3ff, v0
	v_bfe_u32 v28, v0, 10, 10
	s_delay_alu instid0(VALU_DEP_3) | instskip(NEXT) | instid1(VALU_DEP_3)
	v_mov_b32_e32 v19, v23
	v_dual_mov_b32 v21, v23 :: v_dual_mov_b32 v22, v24
	v_dual_mov_b32 v26, v24 :: v_dual_mov_b32 v25, v23
	;; [unrolled: 1-line block ×5, first 2 shown]
	v_mov_b32_e32 v12, v24
	s_waitcnt lgkmcnt(0)
	s_add_u32 s18, s8, s2
	s_addc_u32 s19, s9, s3
	s_clause 0x1
	s_load_b64 s[22:23], s[0:1], 0x18
	s_load_b128 s[8:11], s[0:1], 0x48
	s_load_b64 s[18:19], s[18:19], 0x0
	v_dual_mov_b32 v13, v23 :: v_dual_mov_b32 v14, v24
	s_lshl_b32 s12, s13, 5
	s_lshl_b32 s13, s14, 5
	s_cmp_lt_i32 s17, 1
	s_cbranch_scc1 .LBB919_9
; %bb.1:
	s_clause 0x1
	s_load_b64 s[14:15], s[0:1], 0x30
	s_load_b32 s20, s[0:1], 0x20
	v_lshl_add_u32 v0, v28, 4, v27
	s_load_b32 s24, s[0:1], 0x38
	v_dual_mov_b32 v5, 0 :: v_dual_lshlrev_b32 v30, 4, v27
	v_dual_mov_b32 v6, 0 :: v_dual_and_b32 v29, 7, v27
	s_delay_alu instid0(VALU_DEP_3) | instskip(SKIP_2) | instid1(VALU_DEP_4)
	v_and_b32_e32 v2, 31, v0
	v_lshrrev_b32_e32 v3, 3, v0
	v_lshrrev_b32_e32 v32, 5, v0
	v_lshlrev_b32_e32 v4, 4, v29
	v_dual_mov_b32 v14, v6 :: v_dual_mov_b32 v13, v5
	v_add_nc_u32_e32 v7, s12, v2
	v_add_nc_u32_e32 v8, s13, v3
	v_mov_b32_e32 v12, v6
	v_mov_b32_e32 v18, v6
	v_dual_mov_b32 v16, v6 :: v_dual_mov_b32 v11, v5
	s_waitcnt lgkmcnt(0)
	s_add_u32 s14, s14, s2
	s_addc_u32 s15, s15, s3
	s_add_u32 s2, s22, s2
	s_addc_u32 s3, s23, s3
	v_mad_i64_i32 v[0:1], null, s20, v7, 0
	s_load_b64 s[22:23], s[2:3], 0x0
	v_or_b32_e32 v7, s12, v2
	v_dual_mov_b32 v17, v5 :: v_dual_lshlrev_b32 v2, 4, v2
	v_lshl_or_b32 v9, v3, 7, v4
	s_load_b64 s[14:15], s[14:15], 0x0
	s_delay_alu instid0(VALU_DEP_4) | instskip(NEXT) | instid1(VALU_DEP_3)
	v_lshlrev_b64 v[0:1], 4, v[0:1]
	v_lshl_or_b32 v33, v32, 9, v2
	v_mov_b32_e32 v15, v5
	v_mad_i64_i32 v[2:3], null, s24, v8, 0
	v_lshlrev_b32_e32 v10, 4, v32
	v_dual_mov_b32 v22, v6 :: v_dual_mov_b32 v21, v5
	v_cmp_gt_i32_e32 vcc_lo, s16, v7
	v_cmp_gt_i32_e64 s2, s16, v8
	s_delay_alu instid0(VALU_DEP_4) | instskip(NEXT) | instid1(VALU_DEP_1)
	v_add_co_u32 v7, s3, v0, v10
	v_add_co_ci_u32_e64 v8, s3, 0, v1, s3
	v_lshlrev_b64 v[0:1], 4, v[2:3]
	s_waitcnt lgkmcnt(0)
	s_delay_alu instid0(VALU_DEP_3) | instskip(NEXT) | instid1(VALU_DEP_1)
	v_add_co_u32 v2, s3, v7, s22
	v_add_co_ci_u32_e64 v3, s3, s23, v8, s3
	v_add_nc_u32_e32 v34, 0x1000, v9
	s_delay_alu instid0(VALU_DEP_4) | instskip(NEXT) | instid1(VALU_DEP_1)
	v_add_co_u32 v0, s3, v0, v4
	v_add_co_ci_u32_e64 v1, s3, 0, v1, s3
	v_add_co_u32 v7, s3, v2, 8
	s_delay_alu instid0(VALU_DEP_1) | instskip(NEXT) | instid1(VALU_DEP_4)
	v_add_co_ci_u32_e64 v8, s3, 0, v3, s3
	v_add_co_u32 v9, s3, s14, v0
	v_dual_mov_b32 v20, v6 :: v_dual_mov_b32 v19, v5
	v_mov_b32_e32 v26, v6
	v_mov_b32_e32 v24, v6
	v_lshl_add_u32 v31, v28, 7, 0x1000
	v_add_co_ci_u32_e64 v10, s3, s15, v1, s3
	v_dual_mov_b32 v0, 0 :: v_dual_mov_b32 v25, v5
	v_mov_b32_e32 v23, v5
	s_xor_b32 s3, s2, -1
	s_branch .LBB919_3
.LBB919_2:                              ;   in Loop: Header=BB919_3 Depth=1
	s_or_b32 exec_lo, exec_lo, s2
	s_waitcnt lgkmcnt(0)
	s_barrier
	buffer_gl0_inv
	ds_load_b128 v[1:4], v31
	ds_load_b128 v[35:38], v30
	ds_load_b128 v[39:42], v30 offset:256
	ds_load_b128 v[43:46], v31 offset:2048
	;; [unrolled: 1-line block ×9, first 2 shown]
	v_add_co_u32 v7, s2, 0x80, v7
	s_delay_alu instid0(VALU_DEP_1) | instskip(SKIP_1) | instid1(VALU_DEP_1)
	v_add_co_ci_u32_e64 v8, s2, 0, v8, s2
	v_add_co_u32 v9, s2, 0x80, v9
	v_add_co_ci_u32_e64 v10, s2, 0, v10, s2
	s_add_i32 s21, s21, 8
	s_delay_alu instid0(SALU_CYCLE_1)
	s_cmp_ge_i32 s21, s17
	s_waitcnt lgkmcnt(9)
	v_mul_f64 v[75:76], v[3:4], v[37:38]
	v_mul_f64 v[77:78], v[1:2], v[37:38]
	s_waitcnt lgkmcnt(8)
	v_mul_f64 v[79:80], v[3:4], v[41:42]
	v_mul_f64 v[81:82], v[1:2], v[41:42]
	;; [unrolled: 3-line block ×3, first 2 shown]
	v_mul_f64 v[85:86], v[45:46], v[41:42]
	v_mul_f64 v[41:42], v[43:44], v[41:42]
	s_waitcnt lgkmcnt(4)
	v_mul_f64 v[87:88], v[49:50], v[57:58]
	v_mul_f64 v[89:90], v[47:48], v[57:58]
	s_waitcnt lgkmcnt(3)
	v_mul_f64 v[91:92], v[49:50], v[61:62]
	v_mul_f64 v[93:94], v[47:48], v[61:62]
	;; [unrolled: 1-line block ×6, first 2 shown]
	s_waitcnt lgkmcnt(0)
	v_mul_f64 v[115:116], v[73:74], v[65:66]
	v_mul_f64 v[117:118], v[73:74], v[69:70]
	v_fma_f64 v[99:100], v[1:2], v[35:36], -v[75:76]
	v_fma_f64 v[101:102], v[3:4], v[35:36], v[77:78]
	v_fma_f64 v[79:80], v[1:2], v[39:40], -v[79:80]
	v_fma_f64 v[81:82], v[3:4], v[39:40], v[81:82]
	;; [unrolled: 2-line block ×4, first 2 shown]
	ds_load_b128 v[75:78], v31 offset:32
	v_fma_f64 v[87:88], v[47:48], v[55:56], -v[87:88]
	v_fma_f64 v[89:90], v[49:50], v[55:56], v[89:90]
	v_fma_f64 v[47:48], v[47:48], v[59:60], -v[91:92]
	v_fma_f64 v[49:50], v[49:50], v[59:60], v[93:94]
	;; [unrolled: 2-line block ×4, first 2 shown]
	ds_load_b128 v[1:4], v31 offset:48
	ds_load_b128 v[35:38], v31 offset:2096
	;; [unrolled: 1-line block ×4, first 2 shown]
	s_waitcnt lgkmcnt(4)
	v_mul_f64 v[107:108], v[77:78], v[65:66]
	v_mul_f64 v[109:110], v[75:76], v[65:66]
	;; [unrolled: 1-line block ×6, first 2 shown]
	s_waitcnt lgkmcnt(1)
	v_mul_f64 v[93:94], v[1:2], v[41:42]
	s_waitcnt lgkmcnt(0)
	v_mul_f64 v[95:96], v[3:4], v[45:46]
	v_add_f64 v[23:24], v[23:24], v[99:100]
	v_add_f64 v[25:26], v[25:26], v[101:102]
	;; [unrolled: 1-line block ×8, first 2 shown]
	v_mul_f64 v[85:86], v[3:4], v[41:42]
	v_mul_f64 v[97:98], v[1:2], v[45:46]
	;; [unrolled: 1-line block ×6, first 2 shown]
	ds_load_b128 v[11:14], v30 offset:2048
	ds_load_b128 v[15:18], v30 offset:2304
	;; [unrolled: 1-line block ×3, first 2 shown]
	v_fma_f64 v[105:106], v[75:76], v[63:64], -v[107:108]
	v_fma_f64 v[107:108], v[77:78], v[63:64], v[109:110]
	v_fma_f64 v[75:76], v[75:76], v[67:68], -v[111:112]
	v_fma_f64 v[77:78], v[77:78], v[67:68], v[113:114]
	;; [unrolled: 2-line block ×4, first 2 shown]
	s_waitcnt lgkmcnt(0)
	v_mul_f64 v[115:116], v[21:22], v[13:14]
	v_mul_f64 v[117:118], v[21:22], v[17:18]
	v_add_f64 v[69:70], v[23:24], v[87:88]
	v_add_f64 v[71:72], v[25:26], v[89:90]
	;; [unrolled: 1-line block ×8, first 2 shown]
	ds_load_b128 v[23:26], v31 offset:64
	v_fma_f64 v[85:86], v[1:2], v[39:40], -v[85:86]
	v_fma_f64 v[93:94], v[3:4], v[39:40], v[93:94]
	v_fma_f64 v[95:96], v[1:2], v[43:44], -v[95:96]
	v_fma_f64 v[97:98], v[3:4], v[43:44], v[97:98]
	;; [unrolled: 2-line block ×4, first 2 shown]
	ds_load_b128 v[45:48], v31 offset:80
	ds_load_b128 v[49:52], v31 offset:2128
	;; [unrolled: 1-line block ×7, first 2 shown]
	s_waitcnt lgkmcnt(7)
	v_mul_f64 v[89:90], v[25:26], v[13:14]
	v_mul_f64 v[91:92], v[23:24], v[13:14]
	;; [unrolled: 1-line block ×6, first 2 shown]
	s_waitcnt lgkmcnt(3)
	v_mul_f64 v[103:104], v[51:52], v[59:60]
	v_add_f64 v[69:70], v[69:70], v[105:106]
	v_add_f64 v[71:72], v[71:72], v[107:108]
	;; [unrolled: 1-line block ×8, first 2 shown]
	v_mul_f64 v[77:78], v[47:48], v[55:56]
	v_mul_f64 v[79:80], v[45:46], v[55:56]
	;; [unrolled: 1-line block ×7, first 2 shown]
	v_fma_f64 v[89:90], v[23:24], v[11:12], -v[89:90]
	v_fma_f64 v[91:92], v[25:26], v[11:12], v[91:92]
	v_fma_f64 v[107:108], v[23:24], v[15:16], -v[111:112]
	v_fma_f64 v[109:110], v[25:26], v[15:16], v[113:114]
	;; [unrolled: 2-line block ×4, first 2 shown]
	ds_load_b128 v[11:14], v31 offset:96
	v_add_f64 v[69:70], v[69:70], v[85:86]
	v_add_f64 v[71:72], v[71:72], v[93:94]
	;; [unrolled: 1-line block ×8, first 2 shown]
	s_waitcnt lgkmcnt(1)
	v_mul_f64 v[99:100], v[41:42], v[3:4]
	v_mul_f64 v[101:102], v[41:42], v[37:38]
	v_fma_f64 v[77:78], v[45:46], v[53:54], -v[77:78]
	v_fma_f64 v[79:80], v[47:48], v[53:54], v[79:80]
	v_fma_f64 v[45:46], v[45:46], v[57:58], -v[81:82]
	v_fma_f64 v[47:48], v[47:48], v[57:58], v[83:84]
	;; [unrolled: 2-line block ×4, first 2 shown]
	s_waitcnt lgkmcnt(0)
	v_mul_f64 v[67:68], v[13:14], v[3:4]
	v_mul_f64 v[93:94], v[11:12], v[3:4]
	;; [unrolled: 1-line block ×6, first 2 shown]
	ds_load_b128 v[15:18], v31 offset:112
	ds_load_b128 v[19:22], v31 offset:2160
	;; [unrolled: 1-line block ×4, first 2 shown]
	s_waitcnt lgkmcnt(0)
	s_barrier
	buffer_gl0_inv
	v_add_f64 v[55:56], v[69:70], v[89:90]
	v_add_f64 v[57:58], v[71:72], v[91:92]
	;; [unrolled: 1-line block ×8, first 2 shown]
	v_mul_f64 v[75:76], v[17:18], v[25:26]
	v_mul_f64 v[83:84], v[15:16], v[25:26]
	;; [unrolled: 1-line block ×8, first 2 shown]
	v_fma_f64 v[67:68], v[11:12], v[1:2], -v[67:68]
	v_fma_f64 v[93:94], v[13:14], v[1:2], v[93:94]
	v_fma_f64 v[11:12], v[11:12], v[35:36], -v[95:96]
	v_fma_f64 v[13:14], v[13:14], v[35:36], v[97:98]
	;; [unrolled: 2-line block ×4, first 2 shown]
	v_add_f64 v[37:38], v[55:56], v[77:78]
	v_add_f64 v[39:40], v[57:58], v[79:80]
	;; [unrolled: 1-line block ×8, first 2 shown]
	v_fma_f64 v[51:52], v[15:16], v[23:24], -v[75:76]
	v_fma_f64 v[55:56], v[17:18], v[23:24], v[83:84]
	v_fma_f64 v[15:16], v[15:16], v[59:60], -v[85:86]
	v_fma_f64 v[17:18], v[17:18], v[59:60], v[87:88]
	;; [unrolled: 2-line block ×4, first 2 shown]
	v_add_f64 v[19:20], v[37:38], v[67:68]
	v_add_f64 v[21:22], v[39:40], v[93:94]
	;; [unrolled: 1-line block ×16, first 2 shown]
	s_cbranch_scc1 .LBB919_9
.LBB919_3:                              ; =>This Inner Loop Header: Depth=1
	v_add_nc_u32_e32 v1, s21, v32
	v_dual_mov_b32 v3, v5 :: v_dual_mov_b32 v4, v6
	s_delay_alu instid0(VALU_DEP_2) | instskip(SKIP_1) | instid1(VALU_DEP_2)
	v_cmp_gt_i32_e64 s2, s17, v1
	v_dual_mov_b32 v1, v5 :: v_dual_mov_b32 v2, v6
	s_and_b32 s14, vcc_lo, s2
	s_delay_alu instid0(SALU_CYCLE_1)
	s_and_saveexec_b32 s2, s14
	s_cbranch_execz .LBB919_5
; %bb.4:                                ;   in Loop: Header=BB919_3 Depth=1
	global_load_b128 v[1:4], v[7:8], off offset:-8
	s_waitcnt vmcnt(0)
	v_xor_b32_e32 v4, 0x80000000, v4
.LBB919_5:                              ;   in Loop: Header=BB919_3 Depth=1
	s_or_b32 exec_lo, exec_lo, s2
	v_add_nc_u32_e32 v35, s21, v29
	ds_store_b128 v33, v[1:4]
	v_cmp_le_i32_e64 s2, s17, v35
	s_delay_alu instid0(VALU_DEP_1) | instskip(NEXT) | instid1(SALU_CYCLE_1)
	s_or_b32 s2, s2, s3
	s_and_saveexec_b32 s14, s2
	s_delay_alu instid0(SALU_CYCLE_1)
	s_xor_b32 s2, exec_lo, s14
	s_cbranch_execz .LBB919_7
; %bb.6:                                ;   in Loop: Header=BB919_3 Depth=1
	v_mov_b32_e32 v1, v0
	v_mov_b32_e32 v2, v0
	;; [unrolled: 1-line block ×3, first 2 shown]
	ds_store_b128 v34, v[0:3]
.LBB919_7:                              ;   in Loop: Header=BB919_3 Depth=1
	s_and_not1_saveexec_b32 s2, s2
	s_cbranch_execz .LBB919_2
; %bb.8:                                ;   in Loop: Header=BB919_3 Depth=1
	global_load_b128 v[1:4], v[9:10], off
	s_waitcnt vmcnt(0)
	ds_store_2addr_b64 v34, v[1:2], v[3:4] offset1:1
	s_branch .LBB919_2
.LBB919_9:
	s_load_b32 s2, s[0:1], 0x60
	v_add_nc_u32_e32 v4, s13, v28
	v_add_nc_u32_e32 v0, s12, v27
	s_delay_alu instid0(VALU_DEP_2) | instskip(NEXT) | instid1(VALU_DEP_2)
	v_cmp_gt_i32_e32 vcc_lo, s16, v4
	v_cmp_le_i32_e64 s0, v0, v4
	s_delay_alu instid0(VALU_DEP_1) | instskip(SKIP_2) | instid1(VALU_DEP_1)
	s_and_b32 s0, vcc_lo, s0
	s_waitcnt lgkmcnt(0)
	v_mad_i64_i32 v[1:2], null, v4, s2, 0
	v_lshlrev_b64 v[1:2], 4, v[1:2]
	s_delay_alu instid0(VALU_DEP_1) | instskip(NEXT) | instid1(VALU_DEP_1)
	v_add_co_u32 v5, s1, s18, v1
	v_add_co_ci_u32_e64 v6, s1, s19, v2, s1
	s_and_saveexec_b32 s1, s0
	s_cbranch_execz .LBB919_11
; %bb.10:
	v_ashrrev_i32_e32 v1, 31, v0
	v_mul_f64 v[27:28], s[4:5], v[25:26]
	v_mul_f64 v[25:26], s[6:7], v[25:26]
	s_delay_alu instid0(VALU_DEP_3) | instskip(NEXT) | instid1(VALU_DEP_1)
	v_lshlrev_b64 v[1:2], 4, v[0:1]
	v_add_co_u32 v1, s0, v5, v1
	s_delay_alu instid0(VALU_DEP_1)
	v_add_co_ci_u32_e64 v2, s0, v6, v2, s0
	v_cmp_ne_u32_e64 s0, v4, v0
	global_load_b128 v[7:10], v[1:2], off
	v_fma_f64 v[27:28], s[6:7], v[23:24], v[27:28]
	v_fma_f64 v[23:24], s[4:5], v[23:24], -v[25:26]
	s_waitcnt vmcnt(0)
	v_mul_f64 v[29:30], s[8:9], v[9:10]
	v_mul_f64 v[9:10], s[10:11], v[9:10]
	s_delay_alu instid0(VALU_DEP_2) | instskip(NEXT) | instid1(VALU_DEP_2)
	v_fma_f64 v[29:30], s[10:11], v[7:8], v[29:30]
	v_fma_f64 v[7:8], s[8:9], v[7:8], -v[9:10]
	s_delay_alu instid0(VALU_DEP_2) | instskip(NEXT) | instid1(VALU_DEP_2)
	v_add_f64 v[9:10], v[27:28], v[29:30]
	v_add_f64 v[7:8], v[23:24], v[7:8]
	s_delay_alu instid0(VALU_DEP_2) | instskip(NEXT) | instid1(VALU_DEP_3)
	v_cndmask_b32_e64 v10, 0, v10, s0
	v_cndmask_b32_e64 v9, 0, v9, s0
	global_store_b128 v[1:2], v[7:10], off
.LBB919_11:
	s_or_b32 exec_lo, exec_lo, s1
	v_add_nc_u32_e32 v2, 16, v0
	s_delay_alu instid0(VALU_DEP_1) | instskip(NEXT) | instid1(VALU_DEP_1)
	v_cmp_le_i32_e64 s0, v2, v4
	s_and_b32 s1, vcc_lo, s0
	s_delay_alu instid0(SALU_CYCLE_1)
	s_and_saveexec_b32 s0, s1
	s_cbranch_execz .LBB919_13
; %bb.12:
	v_ashrrev_i32_e32 v3, 31, v2
	v_mul_f64 v[23:24], s[4:5], v[21:22]
	v_mul_f64 v[21:22], s[6:7], v[21:22]
	s_delay_alu instid0(VALU_DEP_3) | instskip(NEXT) | instid1(VALU_DEP_1)
	v_lshlrev_b64 v[7:8], 4, v[2:3]
	v_add_co_u32 v9, vcc_lo, v5, v7
	s_delay_alu instid0(VALU_DEP_2)
	v_add_co_ci_u32_e32 v10, vcc_lo, v6, v8, vcc_lo
	v_cmp_ne_u32_e32 vcc_lo, v4, v2
	global_load_b128 v[5:8], v[9:10], off
	v_fma_f64 v[23:24], s[6:7], v[19:20], v[23:24]
	v_fma_f64 v[19:20], s[4:5], v[19:20], -v[21:22]
	s_waitcnt vmcnt(0)
	v_mul_f64 v[25:26], s[8:9], v[7:8]
	v_mul_f64 v[7:8], s[10:11], v[7:8]
	s_delay_alu instid0(VALU_DEP_2) | instskip(NEXT) | instid1(VALU_DEP_2)
	v_fma_f64 v[25:26], s[10:11], v[5:6], v[25:26]
	v_fma_f64 v[5:6], s[8:9], v[5:6], -v[7:8]
	s_delay_alu instid0(VALU_DEP_2) | instskip(NEXT) | instid1(VALU_DEP_2)
	v_add_f64 v[7:8], v[23:24], v[25:26]
	v_add_f64 v[5:6], v[19:20], v[5:6]
	s_delay_alu instid0(VALU_DEP_2)
	v_dual_cndmask_b32 v8, 0, v8 :: v_dual_cndmask_b32 v7, 0, v7
	global_store_b128 v[9:10], v[5:8], off
.LBB919_13:
	s_or_b32 exec_lo, exec_lo, s0
	v_add_nc_u32_e32 v3, 16, v4
	s_delay_alu instid0(VALU_DEP_1) | instskip(SKIP_2) | instid1(VALU_DEP_1)
	v_mad_i64_i32 v[5:6], null, v3, s2, 0
	v_cmp_gt_i32_e32 vcc_lo, s16, v3
	v_cmp_le_i32_e64 s0, v0, v3
	s_and_b32 s0, vcc_lo, s0
	s_delay_alu instid0(VALU_DEP_3) | instskip(NEXT) | instid1(VALU_DEP_1)
	v_lshlrev_b64 v[5:6], 4, v[5:6]
	v_add_co_u32 v5, s1, s18, v5
	s_delay_alu instid0(VALU_DEP_1)
	v_add_co_ci_u32_e64 v6, s1, s19, v6, s1
	s_and_saveexec_b32 s1, s0
	s_cbranch_execz .LBB919_15
; %bb.14:
	v_ashrrev_i32_e32 v1, 31, v0
	v_mul_f64 v[21:22], s[4:5], v[17:18]
	v_mul_f64 v[17:18], s[6:7], v[17:18]
	s_delay_alu instid0(VALU_DEP_3) | instskip(NEXT) | instid1(VALU_DEP_1)
	v_lshlrev_b64 v[7:8], 4, v[0:1]
	v_add_co_u32 v19, s0, v5, v7
	s_delay_alu instid0(VALU_DEP_1)
	v_add_co_ci_u32_e64 v20, s0, v6, v8, s0
	v_cmp_ne_u32_e64 s0, v3, v0
	global_load_b128 v[7:10], v[19:20], off
	v_fma_f64 v[21:22], s[6:7], v[15:16], v[21:22]
	v_fma_f64 v[15:16], s[4:5], v[15:16], -v[17:18]
	s_waitcnt vmcnt(0)
	v_mul_f64 v[23:24], s[8:9], v[9:10]
	v_mul_f64 v[9:10], s[10:11], v[9:10]
	s_delay_alu instid0(VALU_DEP_2) | instskip(NEXT) | instid1(VALU_DEP_2)
	v_fma_f64 v[23:24], s[10:11], v[7:8], v[23:24]
	v_fma_f64 v[7:8], s[8:9], v[7:8], -v[9:10]
	s_delay_alu instid0(VALU_DEP_2) | instskip(NEXT) | instid1(VALU_DEP_2)
	v_add_f64 v[9:10], v[21:22], v[23:24]
	v_add_f64 v[7:8], v[15:16], v[7:8]
	s_delay_alu instid0(VALU_DEP_2) | instskip(NEXT) | instid1(VALU_DEP_3)
	v_cndmask_b32_e64 v10, 0, v10, s0
	v_cndmask_b32_e64 v9, 0, v9, s0
	global_store_b128 v[19:20], v[7:10], off
.LBB919_15:
	s_or_b32 exec_lo, exec_lo, s1
	v_cmp_le_i32_e64 s0, v2, v3
	s_delay_alu instid0(VALU_DEP_1) | instskip(NEXT) | instid1(SALU_CYCLE_1)
	s_and_b32 s0, vcc_lo, s0
	s_and_saveexec_b32 s1, s0
	s_cbranch_execz .LBB919_17
; %bb.16:
	v_ashrrev_i32_e32 v3, 31, v2
	s_delay_alu instid0(VALU_DEP_1) | instskip(NEXT) | instid1(VALU_DEP_1)
	v_lshlrev_b64 v[1:2], 4, v[2:3]
	v_add_co_u32 v9, vcc_lo, v5, v1
	s_delay_alu instid0(VALU_DEP_2)
	v_add_co_ci_u32_e32 v10, vcc_lo, v6, v2, vcc_lo
	v_mul_f64 v[1:2], s[4:5], v[13:14]
	v_mul_f64 v[13:14], s[6:7], v[13:14]
	v_cmp_ne_u32_e32 vcc_lo, v4, v0
	global_load_b128 v[5:8], v[9:10], off
	v_fma_f64 v[1:2], s[6:7], v[11:12], v[1:2]
	v_fma_f64 v[11:12], s[4:5], v[11:12], -v[13:14]
	s_waitcnt vmcnt(0)
	v_mul_f64 v[15:16], s[8:9], v[7:8]
	v_mul_f64 v[7:8], s[10:11], v[7:8]
	s_delay_alu instid0(VALU_DEP_2) | instskip(NEXT) | instid1(VALU_DEP_2)
	v_fma_f64 v[15:16], s[10:11], v[5:6], v[15:16]
	v_fma_f64 v[5:6], s[8:9], v[5:6], -v[7:8]
	s_delay_alu instid0(VALU_DEP_2) | instskip(NEXT) | instid1(VALU_DEP_2)
	v_add_f64 v[7:8], v[1:2], v[15:16]
	v_add_f64 v[1:2], v[11:12], v[5:6]
	s_delay_alu instid0(VALU_DEP_2)
	v_dual_cndmask_b32 v4, 0, v8 :: v_dual_cndmask_b32 v3, 0, v7
	global_store_b128 v[9:10], v[1:4], off
.LBB919_17:
	s_nop 0
	s_sendmsg sendmsg(MSG_DEALLOC_VGPRS)
	s_endpgm
	.section	.rodata,"a",@progbits
	.p2align	6, 0x0
	.amdhsa_kernel _ZL34rocblas_syrkx_herkx_general_kernelIi19rocblas_complex_numIdELi16ELi32ELi8ELb0ELb1ELc67ELc85EKPKS1_KPS1_EviT_T0_PT8_S7_lSA_S7_lS8_PT9_S7_li
		.amdhsa_group_segment_fixed_size 8192
		.amdhsa_private_segment_fixed_size 0
		.amdhsa_kernarg_size 116
		.amdhsa_user_sgpr_count 13
		.amdhsa_user_sgpr_dispatch_ptr 0
		.amdhsa_user_sgpr_queue_ptr 0
		.amdhsa_user_sgpr_kernarg_segment_ptr 1
		.amdhsa_user_sgpr_dispatch_id 0
		.amdhsa_user_sgpr_private_segment_size 0
		.amdhsa_wavefront_size32 1
		.amdhsa_uses_dynamic_stack 0
		.amdhsa_enable_private_segment 0
		.amdhsa_system_sgpr_workgroup_id_x 1
		.amdhsa_system_sgpr_workgroup_id_y 1
		.amdhsa_system_sgpr_workgroup_id_z 1
		.amdhsa_system_sgpr_workgroup_info 0
		.amdhsa_system_vgpr_workitem_id 1
		.amdhsa_next_free_vgpr 121
		.amdhsa_next_free_sgpr 25
		.amdhsa_reserve_vcc 1
		.amdhsa_float_round_mode_32 0
		.amdhsa_float_round_mode_16_64 0
		.amdhsa_float_denorm_mode_32 3
		.amdhsa_float_denorm_mode_16_64 3
		.amdhsa_dx10_clamp 1
		.amdhsa_ieee_mode 1
		.amdhsa_fp16_overflow 0
		.amdhsa_workgroup_processor_mode 1
		.amdhsa_memory_ordered 1
		.amdhsa_forward_progress 0
		.amdhsa_shared_vgpr_count 0
		.amdhsa_exception_fp_ieee_invalid_op 0
		.amdhsa_exception_fp_denorm_src 0
		.amdhsa_exception_fp_ieee_div_zero 0
		.amdhsa_exception_fp_ieee_overflow 0
		.amdhsa_exception_fp_ieee_underflow 0
		.amdhsa_exception_fp_ieee_inexact 0
		.amdhsa_exception_int_div_zero 0
	.end_amdhsa_kernel
	.section	.text._ZL34rocblas_syrkx_herkx_general_kernelIi19rocblas_complex_numIdELi16ELi32ELi8ELb0ELb1ELc67ELc85EKPKS1_KPS1_EviT_T0_PT8_S7_lSA_S7_lS8_PT9_S7_li,"axG",@progbits,_ZL34rocblas_syrkx_herkx_general_kernelIi19rocblas_complex_numIdELi16ELi32ELi8ELb0ELb1ELc67ELc85EKPKS1_KPS1_EviT_T0_PT8_S7_lSA_S7_lS8_PT9_S7_li,comdat
.Lfunc_end919:
	.size	_ZL34rocblas_syrkx_herkx_general_kernelIi19rocblas_complex_numIdELi16ELi32ELi8ELb0ELb1ELc67ELc85EKPKS1_KPS1_EviT_T0_PT8_S7_lSA_S7_lS8_PT9_S7_li, .Lfunc_end919-_ZL34rocblas_syrkx_herkx_general_kernelIi19rocblas_complex_numIdELi16ELi32ELi8ELb0ELb1ELc67ELc85EKPKS1_KPS1_EviT_T0_PT8_S7_lSA_S7_lS8_PT9_S7_li
                                        ; -- End function
	.section	.AMDGPU.csdata,"",@progbits
; Kernel info:
; codeLenInByte = 3576
; NumSgprs: 27
; NumVgprs: 121
; ScratchSize: 0
; MemoryBound: 1
; FloatMode: 240
; IeeeMode: 1
; LDSByteSize: 8192 bytes/workgroup (compile time only)
; SGPRBlocks: 3
; VGPRBlocks: 15
; NumSGPRsForWavesPerEU: 27
; NumVGPRsForWavesPerEU: 121
; Occupancy: 10
; WaveLimiterHint : 1
; COMPUTE_PGM_RSRC2:SCRATCH_EN: 0
; COMPUTE_PGM_RSRC2:USER_SGPR: 13
; COMPUTE_PGM_RSRC2:TRAP_HANDLER: 0
; COMPUTE_PGM_RSRC2:TGID_X_EN: 1
; COMPUTE_PGM_RSRC2:TGID_Y_EN: 1
; COMPUTE_PGM_RSRC2:TGID_Z_EN: 1
; COMPUTE_PGM_RSRC2:TIDIG_COMP_CNT: 1
	.section	.text._ZL34rocblas_syrkx_herkx_general_kernelIi19rocblas_complex_numIdELi16ELi32ELi8ELb0ELb1ELc78ELc85EKPKS1_KPS1_EviT_T0_PT8_S7_lSA_S7_lS8_PT9_S7_li,"axG",@progbits,_ZL34rocblas_syrkx_herkx_general_kernelIi19rocblas_complex_numIdELi16ELi32ELi8ELb0ELb1ELc78ELc85EKPKS1_KPS1_EviT_T0_PT8_S7_lSA_S7_lS8_PT9_S7_li,comdat
	.globl	_ZL34rocblas_syrkx_herkx_general_kernelIi19rocblas_complex_numIdELi16ELi32ELi8ELb0ELb1ELc78ELc85EKPKS1_KPS1_EviT_T0_PT8_S7_lSA_S7_lS8_PT9_S7_li ; -- Begin function _ZL34rocblas_syrkx_herkx_general_kernelIi19rocblas_complex_numIdELi16ELi32ELi8ELb0ELb1ELc78ELc85EKPKS1_KPS1_EviT_T0_PT8_S7_lSA_S7_lS8_PT9_S7_li
	.p2align	8
	.type	_ZL34rocblas_syrkx_herkx_general_kernelIi19rocblas_complex_numIdELi16ELi32ELi8ELb0ELb1ELc78ELc85EKPKS1_KPS1_EviT_T0_PT8_S7_lSA_S7_lS8_PT9_S7_li,@function
_ZL34rocblas_syrkx_herkx_general_kernelIi19rocblas_complex_numIdELi16ELi32ELi8ELb0ELb1ELc78ELc85EKPKS1_KPS1_EviT_T0_PT8_S7_lSA_S7_lS8_PT9_S7_li: ; @_ZL34rocblas_syrkx_herkx_general_kernelIi19rocblas_complex_numIdELi16ELi32ELi8ELb0ELb1ELc78ELc85EKPKS1_KPS1_EviT_T0_PT8_S7_lSA_S7_lS8_PT9_S7_li
; %bb.0:
	s_load_b64 s[2:3], s[0:1], 0x58
	s_mov_b32 s20, s15
	s_mov_b32 s21, 0
	s_clause 0x1
	s_load_b64 s[16:17], s[0:1], 0x0
	s_load_b128 s[4:7], s[0:1], 0x8
	s_lshl_b64 s[22:23], s[20:21], 3
	v_mov_b32_e32 v21, 0
	v_dual_mov_b32 v22, 0 :: v_dual_and_b32 v25, 0x3ff, v0
	v_bfe_u32 v26, v0, 10, 10
	s_delay_alu instid0(VALU_DEP_3) | instskip(NEXT) | instid1(VALU_DEP_3)
	v_mov_b32_e32 v17, v21
	v_dual_mov_b32 v19, v21 :: v_dual_mov_b32 v20, v22
	v_dual_mov_b32 v24, v22 :: v_dual_mov_b32 v23, v21
	;; [unrolled: 1-line block ×5, first 2 shown]
	v_mov_b32_e32 v12, v22
	s_waitcnt lgkmcnt(0)
	s_add_u32 s2, s2, s22
	s_addc_u32 s3, s3, s23
	s_clause 0x1
	s_load_b64 s[24:25], s[0:1], 0x18
	s_load_b128 s[8:11], s[0:1], 0x48
	s_load_b64 s[18:19], s[2:3], 0x0
	v_dual_mov_b32 v9, v21 :: v_dual_mov_b32 v10, v22
	s_lshl_b32 s20, s13, 5
	s_lshl_b32 s26, s14, 5
	s_cmp_lt_i32 s17, 1
	s_cbranch_scc1 .LBB920_9
; %bb.1:
	s_clause 0x2
	s_load_b32 s12, s[0:1], 0x20
	s_load_b32 s14, s[0:1], 0x38
	s_load_b64 s[28:29], s[0:1], 0x30
	v_lshl_add_u32 v0, v26, 4, v25
	v_and_b32_e32 v27, 7, v25
	v_lshl_add_u32 v32, v26, 7, 0x1000
	v_mov_b32_e32 v9, 0
	s_delay_alu instid0(VALU_DEP_4) | instskip(SKIP_3) | instid1(VALU_DEP_4)
	v_dual_mov_b32 v10, 0 :: v_dual_and_b32 v1, 31, v0
	v_lshrrev_b32_e32 v28, 5, v0
	v_lshrrev_b32_e32 v3, 3, v0
	v_lshlrev_b32_e32 v4, 4, v27
	v_dual_mov_b32 v12, v10 :: v_dual_lshlrev_b32 v31, 4, v25
	v_lshlrev_b32_e32 v6, 4, v1
	v_or_b32_e32 v5, s20, v1
	v_add_nc_u32_e32 v0, s20, v1
	v_dual_mov_b32 v11, v9 :: v_dual_add_nc_u32 v2, s26, v3
	v_lshl_or_b32 v3, v3, 7, v4
	s_waitcnt lgkmcnt(0)
	s_ashr_i32 s13, s12, 31
	s_ashr_i32 s15, s14, 31
	s_add_u32 s28, s28, s22
	s_addc_u32 s29, s29, s23
	s_add_u32 s22, s24, s22
	s_addc_u32 s23, s25, s23
	v_cmp_gt_i32_e64 s2, s16, v5
	v_mad_i64_i32 v[4:5], null, v28, s12, 0
	s_load_b64 s[24:25], s[28:29], 0x0
	s_load_b64 s[22:23], s[22:23], 0x0
	v_mov_b32_e32 v16, v10
	v_lshl_or_b32 v29, v28, 9, v6
	v_mad_i64_i32 v[6:7], null, s14, v27, 0
	v_mov_b32_e32 v15, v9
	v_ashrrev_i32_e32 v1, 31, v0
	v_mov_b32_e32 v14, v10
	v_dual_mov_b32 v13, v9 :: v_dual_add_nc_u32 v30, 0x1000, v3
	v_ashrrev_i32_e32 v3, 31, v2
	v_lshlrev_b64 v[4:5], 4, v[4:5]
	v_lshlrev_b64 v[0:1], 4, v[0:1]
	v_cmp_gt_i32_e32 vcc_lo, s16, v2
	v_lshlrev_b64 v[6:7], 4, v[6:7]
	v_lshlrev_b64 v[2:3], 4, v[2:3]
	v_mov_b32_e32 v20, v10
	v_mov_b32_e32 v18, v10
	v_add_co_u32 v0, s3, v4, v0
	s_delay_alu instid0(VALU_DEP_1) | instskip(SKIP_1) | instid1(VALU_DEP_1)
	v_add_co_ci_u32_e64 v1, s3, v5, v1, s3
	v_add_co_u32 v2, s3, v6, v2
	v_add_co_ci_u32_e64 v3, s3, v7, v3, s3
	s_waitcnt lgkmcnt(0)
	v_add_co_u32 v5, s3, s22, v0
	s_delay_alu instid0(VALU_DEP_1) | instskip(SKIP_1) | instid1(VALU_DEP_1)
	v_add_co_ci_u32_e64 v6, s3, s23, v1, s3
	v_add_co_u32 v0, s3, v2, s24
	v_add_co_ci_u32_e64 v1, s3, s25, v3, s3
	v_mov_b32_e32 v24, v10
	s_delay_alu instid0(VALU_DEP_3) | instskip(SKIP_1) | instid1(VALU_DEP_4)
	v_add_co_u32 v7, s3, v0, 8
	v_dual_mov_b32 v22, v10 :: v_dual_mov_b32 v21, v9
	v_add_co_ci_u32_e64 v8, s3, 0, v1, s3
	v_dual_mov_b32 v0, 0 :: v_dual_mov_b32 v19, v9
	v_mov_b32_e32 v17, v9
	v_mov_b32_e32 v23, v9
	s_lshl_b64 s[12:13], s[12:13], 7
	s_lshl_b64 s[14:15], s[14:15], 7
	s_xor_b32 s3, s2, -1
	s_branch .LBB920_3
.LBB920_2:                              ;   in Loop: Header=BB920_3 Depth=1
	s_or_b32 exec_lo, exec_lo, s2
	ds_store_b128 v30, v[1:4]
	s_waitcnt lgkmcnt(0)
	s_barrier
	buffer_gl0_inv
	ds_load_b128 v[1:4], v32
	ds_load_b128 v[33:36], v31
	ds_load_b128 v[37:40], v31 offset:256
	ds_load_b128 v[41:44], v32 offset:2048
	;; [unrolled: 1-line block ×9, first 2 shown]
	v_add_co_u32 v5, s2, v5, s12
	s_delay_alu instid0(VALU_DEP_1) | instskip(SKIP_1) | instid1(VALU_DEP_1)
	v_add_co_ci_u32_e64 v6, s2, s13, v6, s2
	v_add_co_u32 v7, s2, v7, s14
	v_add_co_ci_u32_e64 v8, s2, s15, v8, s2
	s_add_i32 s21, s21, 8
	s_delay_alu instid0(SALU_CYCLE_1)
	s_cmp_ge_i32 s21, s17
	s_waitcnt lgkmcnt(9)
	v_mul_f64 v[73:74], v[3:4], v[35:36]
	v_mul_f64 v[75:76], v[1:2], v[35:36]
	s_waitcnt lgkmcnt(8)
	v_mul_f64 v[77:78], v[3:4], v[39:40]
	v_mul_f64 v[79:80], v[1:2], v[39:40]
	;; [unrolled: 3-line block ×3, first 2 shown]
	v_mul_f64 v[83:84], v[43:44], v[39:40]
	v_mul_f64 v[39:40], v[41:42], v[39:40]
	s_waitcnt lgkmcnt(4)
	v_mul_f64 v[85:86], v[47:48], v[55:56]
	v_mul_f64 v[87:88], v[45:46], v[55:56]
	s_waitcnt lgkmcnt(3)
	v_mul_f64 v[89:90], v[47:48], v[59:60]
	v_mul_f64 v[91:92], v[45:46], v[59:60]
	;; [unrolled: 1-line block ×6, first 2 shown]
	v_fma_f64 v[97:98], v[1:2], v[33:34], -v[73:74]
	v_fma_f64 v[99:100], v[3:4], v[33:34], v[75:76]
	ds_load_b128 v[73:76], v32 offset:32
	v_fma_f64 v[77:78], v[1:2], v[37:38], -v[77:78]
	v_fma_f64 v[79:80], v[3:4], v[37:38], v[79:80]
	v_fma_f64 v[81:82], v[41:42], v[33:34], -v[81:82]
	v_fma_f64 v[101:102], v[43:44], v[33:34], v[35:36]
	;; [unrolled: 2-line block ×3, first 2 shown]
	s_waitcnt lgkmcnt(1)
	v_mul_f64 v[113:114], v[71:72], v[63:64]
	v_fma_f64 v[85:86], v[45:46], v[53:54], -v[85:86]
	v_fma_f64 v[87:88], v[47:48], v[53:54], v[87:88]
	v_fma_f64 v[45:46], v[45:46], v[57:58], -v[89:90]
	v_fma_f64 v[47:48], v[47:48], v[57:58], v[91:92]
	v_mul_f64 v[89:90], v[71:72], v[67:68]
	v_fma_f64 v[91:92], v[49:50], v[53:54], -v[93:94]
	v_fma_f64 v[53:54], v[51:52], v[53:54], v[55:56]
	v_fma_f64 v[49:50], v[49:50], v[57:58], -v[95:96]
	v_fma_f64 v[51:52], v[51:52], v[57:58], v[59:60]
	ds_load_b128 v[1:4], v32 offset:48
	ds_load_b128 v[33:36], v32 offset:2096
	;; [unrolled: 1-line block ×4, first 2 shown]
	s_waitcnt lgkmcnt(4)
	v_mul_f64 v[105:106], v[75:76], v[63:64]
	v_mul_f64 v[107:108], v[73:74], v[63:64]
	;; [unrolled: 1-line block ×6, first 2 shown]
	s_waitcnt lgkmcnt(1)
	v_mul_f64 v[93:94], v[1:2], v[39:40]
	v_add_f64 v[21:22], v[21:22], v[97:98]
	v_add_f64 v[23:24], v[23:24], v[99:100]
	;; [unrolled: 1-line block ×8, first 2 shown]
	v_mul_f64 v[83:84], v[3:4], v[39:40]
	s_waitcnt lgkmcnt(0)
	v_mul_f64 v[95:96], v[3:4], v[43:44]
	v_mul_f64 v[97:98], v[1:2], v[43:44]
	;; [unrolled: 1-line block ×6, first 2 shown]
	ds_load_b128 v[9:12], v31 offset:2048
	ds_load_b128 v[13:16], v31 offset:2304
	;; [unrolled: 1-line block ×3, first 2 shown]
	v_fma_f64 v[105:106], v[73:74], v[61:62], -v[105:106]
	v_fma_f64 v[107:108], v[75:76], v[61:62], v[107:108]
	v_fma_f64 v[73:74], v[73:74], v[65:66], -v[109:110]
	v_fma_f64 v[75:76], v[75:76], v[65:66], v[111:112]
	;; [unrolled: 2-line block ×4, first 2 shown]
	s_waitcnt lgkmcnt(0)
	v_mul_f64 v[113:114], v[19:20], v[11:12]
	v_mul_f64 v[115:116], v[19:20], v[15:16]
	v_fma_f64 v[93:94], v[3:4], v[37:38], v[93:94]
	v_add_f64 v[67:68], v[21:22], v[85:86]
	v_add_f64 v[69:70], v[23:24], v[87:88]
	;; [unrolled: 1-line block ×8, first 2 shown]
	ds_load_b128 v[21:24], v32 offset:64
	v_fma_f64 v[83:84], v[1:2], v[37:38], -v[83:84]
	v_fma_f64 v[95:96], v[1:2], v[41:42], -v[95:96]
	v_fma_f64 v[97:98], v[3:4], v[41:42], v[97:98]
	v_fma_f64 v[99:100], v[33:34], v[37:38], -v[99:100]
	v_fma_f64 v[117:118], v[35:36], v[37:38], v[39:40]
	v_fma_f64 v[101:102], v[33:34], v[41:42], -v[101:102]
	v_fma_f64 v[41:42], v[35:36], v[41:42], v[103:104]
	ds_load_b128 v[43:46], v32 offset:80
	ds_load_b128 v[47:50], v32 offset:2128
	;; [unrolled: 1-line block ×7, first 2 shown]
	s_waitcnt lgkmcnt(7)
	v_mul_f64 v[87:88], v[23:24], v[11:12]
	v_mul_f64 v[89:90], v[21:22], v[11:12]
	;; [unrolled: 1-line block ×6, first 2 shown]
	s_waitcnt lgkmcnt(3)
	v_mul_f64 v[103:104], v[49:50], v[57:58]
	v_add_f64 v[67:68], v[67:68], v[105:106]
	v_add_f64 v[69:70], v[69:70], v[107:108]
	;; [unrolled: 1-line block ×8, first 2 shown]
	v_mul_f64 v[75:76], v[45:46], v[53:54]
	v_mul_f64 v[77:78], v[43:44], v[53:54]
	;; [unrolled: 1-line block ×7, first 2 shown]
	v_fma_f64 v[109:110], v[17:18], v[9:10], -v[113:114]
	v_fma_f64 v[113:114], v[17:18], v[13:14], -v[115:116]
	;; [unrolled: 1-line block ×3, first 2 shown]
	v_fma_f64 v[89:90], v[23:24], v[9:10], v[89:90]
	v_fma_f64 v[91:92], v[21:22], v[13:14], -v[91:92]
	v_fma_f64 v[107:108], v[23:24], v[13:14], v[111:112]
	v_fma_f64 v[111:112], v[19:20], v[9:10], v[11:12]
	;; [unrolled: 1-line block ×3, first 2 shown]
	ds_load_b128 v[9:12], v32 offset:96
	v_add_f64 v[67:68], v[67:68], v[83:84]
	v_add_f64 v[69:70], v[69:70], v[93:94]
	;; [unrolled: 1-line block ×8, first 2 shown]
	s_waitcnt lgkmcnt(1)
	v_mul_f64 v[99:100], v[39:40], v[3:4]
	v_fma_f64 v[75:76], v[43:44], v[51:52], -v[75:76]
	v_fma_f64 v[77:78], v[45:46], v[51:52], v[77:78]
	v_fma_f64 v[43:44], v[43:44], v[55:56], -v[79:80]
	v_fma_f64 v[45:46], v[45:46], v[55:56], v[81:82]
	v_mul_f64 v[79:80], v[39:40], v[35:36]
	v_fma_f64 v[81:82], v[47:48], v[51:52], -v[85:86]
	v_fma_f64 v[51:52], v[49:50], v[51:52], v[53:54]
	s_waitcnt lgkmcnt(0)
	v_mul_f64 v[65:66], v[11:12], v[3:4]
	v_mul_f64 v[93:94], v[9:10], v[3:4]
	;; [unrolled: 1-line block ×6, first 2 shown]
	v_fma_f64 v[47:48], v[47:48], v[55:56], -v[103:104]
	v_fma_f64 v[49:50], v[49:50], v[55:56], v[105:106]
	ds_load_b128 v[13:16], v32 offset:112
	ds_load_b128 v[17:20], v32 offset:2160
	;; [unrolled: 1-line block ×4, first 2 shown]
	s_waitcnt lgkmcnt(0)
	s_barrier
	buffer_gl0_inv
	v_add_f64 v[53:54], v[67:68], v[87:88]
	v_add_f64 v[55:56], v[69:70], v[89:90]
	;; [unrolled: 1-line block ×8, first 2 shown]
	v_mul_f64 v[73:74], v[15:16], v[23:24]
	v_mul_f64 v[83:84], v[13:14], v[23:24]
	;; [unrolled: 1-line block ×8, first 2 shown]
	v_fma_f64 v[65:66], v[9:10], v[1:2], -v[65:66]
	v_fma_f64 v[93:94], v[11:12], v[1:2], v[93:94]
	v_fma_f64 v[9:10], v[9:10], v[33:34], -v[95:96]
	v_fma_f64 v[11:12], v[11:12], v[33:34], v[97:98]
	;; [unrolled: 2-line block ×4, first 2 shown]
	v_add_f64 v[35:36], v[53:54], v[75:76]
	v_add_f64 v[37:38], v[55:56], v[77:78]
	;; [unrolled: 1-line block ×8, first 2 shown]
	v_fma_f64 v[49:50], v[13:14], v[21:22], -v[73:74]
	v_fma_f64 v[53:54], v[15:16], v[21:22], v[83:84]
	v_fma_f64 v[13:14], v[13:14], v[57:58], -v[85:86]
	v_fma_f64 v[15:16], v[15:16], v[57:58], v[87:88]
	;; [unrolled: 2-line block ×4, first 2 shown]
	v_add_f64 v[17:18], v[35:36], v[65:66]
	v_add_f64 v[19:20], v[37:38], v[93:94]
	;; [unrolled: 1-line block ×16, first 2 shown]
	s_cbranch_scc1 .LBB920_9
.LBB920_3:                              ; =>This Inner Loop Header: Depth=1
	v_add_nc_u32_e32 v1, s21, v28
	s_delay_alu instid0(VALU_DEP_1) | instskip(NEXT) | instid1(VALU_DEP_1)
	v_cmp_le_i32_e64 s2, s17, v1
	s_or_b32 s2, s3, s2
	s_delay_alu instid0(SALU_CYCLE_1) | instskip(NEXT) | instid1(SALU_CYCLE_1)
	s_and_saveexec_b32 s22, s2
	s_xor_b32 s2, exec_lo, s22
	s_cbranch_execz .LBB920_5
; %bb.4:                                ;   in Loop: Header=BB920_3 Depth=1
	v_mov_b32_e32 v1, v0
	v_mov_b32_e32 v2, v0
	;; [unrolled: 1-line block ×3, first 2 shown]
	ds_store_b128 v29, v[0:3]
.LBB920_5:                              ;   in Loop: Header=BB920_3 Depth=1
	s_and_not1_saveexec_b32 s2, s2
	s_cbranch_execz .LBB920_7
; %bb.6:                                ;   in Loop: Header=BB920_3 Depth=1
	global_load_b128 v[1:4], v[5:6], off
	s_waitcnt vmcnt(0)
	ds_store_2addr_b64 v29, v[1:2], v[3:4] offset1:1
.LBB920_7:                              ;   in Loop: Header=BB920_3 Depth=1
	s_or_b32 exec_lo, exec_lo, s2
	v_add_nc_u32_e32 v3, s21, v27
	v_mov_b32_e32 v1, 0
	v_mov_b32_e32 v2, 0
	s_delay_alu instid0(VALU_DEP_3) | instskip(NEXT) | instid1(VALU_DEP_2)
	v_cmp_gt_i32_e64 s2, s17, v3
	v_dual_mov_b32 v4, v2 :: v_dual_mov_b32 v3, v1
	s_delay_alu instid0(VALU_DEP_2) | instskip(NEXT) | instid1(SALU_CYCLE_1)
	s_and_b32 s22, s2, vcc_lo
	s_and_saveexec_b32 s2, s22
	s_cbranch_execz .LBB920_2
; %bb.8:                                ;   in Loop: Header=BB920_3 Depth=1
	global_load_b128 v[1:4], v[7:8], off offset:-8
	s_waitcnt vmcnt(0)
	v_xor_b32_e32 v4, 0x80000000, v4
	s_branch .LBB920_2
.LBB920_9:
	s_load_b32 s2, s[0:1], 0x60
	v_add_nc_u32_e32 v4, s26, v26
	v_add_nc_u32_e32 v0, s20, v25
	s_delay_alu instid0(VALU_DEP_2) | instskip(NEXT) | instid1(VALU_DEP_2)
	v_cmp_gt_i32_e32 vcc_lo, s16, v4
	v_cmp_le_i32_e64 s0, v0, v4
	s_delay_alu instid0(VALU_DEP_1) | instskip(SKIP_2) | instid1(VALU_DEP_1)
	s_and_b32 s0, vcc_lo, s0
	s_waitcnt lgkmcnt(0)
	v_mad_i64_i32 v[1:2], null, v4, s2, 0
	v_lshlrev_b64 v[1:2], 4, v[1:2]
	s_delay_alu instid0(VALU_DEP_1) | instskip(NEXT) | instid1(VALU_DEP_1)
	v_add_co_u32 v5, s1, s18, v1
	v_add_co_ci_u32_e64 v6, s1, s19, v2, s1
	s_and_saveexec_b32 s1, s0
	s_cbranch_execz .LBB920_11
; %bb.10:
	v_ashrrev_i32_e32 v1, 31, v0
	v_mul_f64 v[7:8], s[4:5], v[23:24]
	v_mul_f64 v[23:24], s[6:7], v[23:24]
	s_delay_alu instid0(VALU_DEP_3) | instskip(NEXT) | instid1(VALU_DEP_1)
	v_lshlrev_b64 v[1:2], 4, v[0:1]
	v_add_co_u32 v1, s0, v5, v1
	s_delay_alu instid0(VALU_DEP_1)
	v_add_co_ci_u32_e64 v2, s0, v6, v2, s0
	v_cmp_ne_u32_e64 s0, v4, v0
	global_load_b128 v[25:28], v[1:2], off
	v_fma_f64 v[7:8], s[6:7], v[21:22], v[7:8]
	v_fma_f64 v[21:22], s[4:5], v[21:22], -v[23:24]
	s_waitcnt vmcnt(0)
	v_mul_f64 v[29:30], s[8:9], v[27:28]
	v_mul_f64 v[27:28], s[10:11], v[27:28]
	s_delay_alu instid0(VALU_DEP_2) | instskip(NEXT) | instid1(VALU_DEP_2)
	v_fma_f64 v[29:30], s[10:11], v[25:26], v[29:30]
	v_fma_f64 v[23:24], s[8:9], v[25:26], -v[27:28]
	s_delay_alu instid0(VALU_DEP_2) | instskip(NEXT) | instid1(VALU_DEP_2)
	v_add_f64 v[7:8], v[7:8], v[29:30]
	v_add_f64 v[21:22], v[21:22], v[23:24]
	s_delay_alu instid0(VALU_DEP_2) | instskip(NEXT) | instid1(VALU_DEP_3)
	v_cndmask_b32_e64 v24, 0, v8, s0
	v_cndmask_b32_e64 v23, 0, v7, s0
	global_store_b128 v[1:2], v[21:24], off
.LBB920_11:
	s_or_b32 exec_lo, exec_lo, s1
	v_add_nc_u32_e32 v2, 16, v0
	s_delay_alu instid0(VALU_DEP_1) | instskip(NEXT) | instid1(VALU_DEP_1)
	v_cmp_le_i32_e64 s0, v2, v4
	s_and_b32 s1, vcc_lo, s0
	s_delay_alu instid0(SALU_CYCLE_1)
	s_and_saveexec_b32 s0, s1
	s_cbranch_execz .LBB920_13
; %bb.12:
	v_ashrrev_i32_e32 v3, 31, v2
	v_mul_f64 v[23:24], s[4:5], v[19:20]
	v_mul_f64 v[19:20], s[6:7], v[19:20]
	s_delay_alu instid0(VALU_DEP_3) | instskip(NEXT) | instid1(VALU_DEP_1)
	v_lshlrev_b64 v[7:8], 4, v[2:3]
	v_add_co_u32 v21, vcc_lo, v5, v7
	s_delay_alu instid0(VALU_DEP_2)
	v_add_co_ci_u32_e32 v22, vcc_lo, v6, v8, vcc_lo
	v_cmp_ne_u32_e32 vcc_lo, v4, v2
	global_load_b128 v[5:8], v[21:22], off
	v_fma_f64 v[23:24], s[6:7], v[17:18], v[23:24]
	v_fma_f64 v[17:18], s[4:5], v[17:18], -v[19:20]
	s_waitcnt vmcnt(0)
	v_mul_f64 v[25:26], s[8:9], v[7:8]
	v_mul_f64 v[7:8], s[10:11], v[7:8]
	s_delay_alu instid0(VALU_DEP_2) | instskip(NEXT) | instid1(VALU_DEP_2)
	v_fma_f64 v[25:26], s[10:11], v[5:6], v[25:26]
	v_fma_f64 v[5:6], s[8:9], v[5:6], -v[7:8]
	s_delay_alu instid0(VALU_DEP_2) | instskip(NEXT) | instid1(VALU_DEP_2)
	v_add_f64 v[7:8], v[23:24], v[25:26]
	v_add_f64 v[5:6], v[17:18], v[5:6]
	s_delay_alu instid0(VALU_DEP_2)
	v_dual_cndmask_b32 v8, 0, v8 :: v_dual_cndmask_b32 v7, 0, v7
	global_store_b128 v[21:22], v[5:8], off
.LBB920_13:
	s_or_b32 exec_lo, exec_lo, s0
	v_add_nc_u32_e32 v3, 16, v4
	s_delay_alu instid0(VALU_DEP_1) | instskip(SKIP_2) | instid1(VALU_DEP_1)
	v_mad_i64_i32 v[5:6], null, v3, s2, 0
	v_cmp_gt_i32_e32 vcc_lo, s16, v3
	v_cmp_le_i32_e64 s0, v0, v3
	s_and_b32 s0, vcc_lo, s0
	s_delay_alu instid0(VALU_DEP_3) | instskip(NEXT) | instid1(VALU_DEP_1)
	v_lshlrev_b64 v[5:6], 4, v[5:6]
	v_add_co_u32 v5, s1, s18, v5
	s_delay_alu instid0(VALU_DEP_1)
	v_add_co_ci_u32_e64 v6, s1, s19, v6, s1
	s_and_saveexec_b32 s1, s0
	s_cbranch_execz .LBB920_15
; %bb.14:
	v_ashrrev_i32_e32 v1, 31, v0
	v_mul_f64 v[21:22], s[4:5], v[15:16]
	v_mul_f64 v[15:16], s[6:7], v[15:16]
	s_delay_alu instid0(VALU_DEP_3) | instskip(NEXT) | instid1(VALU_DEP_1)
	v_lshlrev_b64 v[7:8], 4, v[0:1]
	v_add_co_u32 v7, s0, v5, v7
	s_delay_alu instid0(VALU_DEP_1)
	v_add_co_ci_u32_e64 v8, s0, v6, v8, s0
	v_cmp_ne_u32_e64 s0, v3, v0
	global_load_b128 v[17:20], v[7:8], off
	v_fma_f64 v[21:22], s[6:7], v[13:14], v[21:22]
	v_fma_f64 v[13:14], s[4:5], v[13:14], -v[15:16]
	s_waitcnt vmcnt(0)
	v_mul_f64 v[23:24], s[8:9], v[19:20]
	v_mul_f64 v[19:20], s[10:11], v[19:20]
	s_delay_alu instid0(VALU_DEP_2) | instskip(NEXT) | instid1(VALU_DEP_2)
	v_fma_f64 v[23:24], s[10:11], v[17:18], v[23:24]
	v_fma_f64 v[15:16], s[8:9], v[17:18], -v[19:20]
	s_delay_alu instid0(VALU_DEP_2) | instskip(NEXT) | instid1(VALU_DEP_2)
	v_add_f64 v[17:18], v[21:22], v[23:24]
	v_add_f64 v[13:14], v[13:14], v[15:16]
	s_delay_alu instid0(VALU_DEP_2) | instskip(NEXT) | instid1(VALU_DEP_3)
	v_cndmask_b32_e64 v16, 0, v18, s0
	v_cndmask_b32_e64 v15, 0, v17, s0
	global_store_b128 v[7:8], v[13:16], off
.LBB920_15:
	s_or_b32 exec_lo, exec_lo, s1
	v_cmp_le_i32_e64 s0, v2, v3
	s_delay_alu instid0(VALU_DEP_1) | instskip(NEXT) | instid1(SALU_CYCLE_1)
	s_and_b32 s0, vcc_lo, s0
	s_and_saveexec_b32 s1, s0
	s_cbranch_execz .LBB920_17
; %bb.16:
	v_ashrrev_i32_e32 v3, 31, v2
	s_delay_alu instid0(VALU_DEP_1) | instskip(NEXT) | instid1(VALU_DEP_1)
	v_lshlrev_b64 v[1:2], 4, v[2:3]
	v_add_co_u32 v13, vcc_lo, v5, v1
	s_delay_alu instid0(VALU_DEP_2)
	v_add_co_ci_u32_e32 v14, vcc_lo, v6, v2, vcc_lo
	v_mul_f64 v[1:2], s[4:5], v[9:10]
	v_mul_f64 v[9:10], s[6:7], v[9:10]
	v_cmp_ne_u32_e32 vcc_lo, v4, v0
	global_load_b128 v[5:8], v[13:14], off
	v_fma_f64 v[1:2], s[6:7], v[11:12], v[1:2]
	v_fma_f64 v[9:10], s[4:5], v[11:12], -v[9:10]
	s_waitcnt vmcnt(0)
	v_mul_f64 v[15:16], s[8:9], v[7:8]
	v_mul_f64 v[7:8], s[10:11], v[7:8]
	s_delay_alu instid0(VALU_DEP_2) | instskip(NEXT) | instid1(VALU_DEP_2)
	v_fma_f64 v[15:16], s[10:11], v[5:6], v[15:16]
	v_fma_f64 v[5:6], s[8:9], v[5:6], -v[7:8]
	s_delay_alu instid0(VALU_DEP_2) | instskip(NEXT) | instid1(VALU_DEP_2)
	v_add_f64 v[7:8], v[1:2], v[15:16]
	v_add_f64 v[1:2], v[9:10], v[5:6]
	s_delay_alu instid0(VALU_DEP_2)
	v_dual_cndmask_b32 v4, 0, v8 :: v_dual_cndmask_b32 v3, 0, v7
	global_store_b128 v[13:14], v[1:4], off
.LBB920_17:
	s_nop 0
	s_sendmsg sendmsg(MSG_DEALLOC_VGPRS)
	s_endpgm
	.section	.rodata,"a",@progbits
	.p2align	6, 0x0
	.amdhsa_kernel _ZL34rocblas_syrkx_herkx_general_kernelIi19rocblas_complex_numIdELi16ELi32ELi8ELb0ELb1ELc78ELc85EKPKS1_KPS1_EviT_T0_PT8_S7_lSA_S7_lS8_PT9_S7_li
		.amdhsa_group_segment_fixed_size 8192
		.amdhsa_private_segment_fixed_size 0
		.amdhsa_kernarg_size 116
		.amdhsa_user_sgpr_count 13
		.amdhsa_user_sgpr_dispatch_ptr 0
		.amdhsa_user_sgpr_queue_ptr 0
		.amdhsa_user_sgpr_kernarg_segment_ptr 1
		.amdhsa_user_sgpr_dispatch_id 0
		.amdhsa_user_sgpr_private_segment_size 0
		.amdhsa_wavefront_size32 1
		.amdhsa_uses_dynamic_stack 0
		.amdhsa_enable_private_segment 0
		.amdhsa_system_sgpr_workgroup_id_x 1
		.amdhsa_system_sgpr_workgroup_id_y 1
		.amdhsa_system_sgpr_workgroup_id_z 1
		.amdhsa_system_sgpr_workgroup_info 0
		.amdhsa_system_vgpr_workitem_id 1
		.amdhsa_next_free_vgpr 119
		.amdhsa_next_free_sgpr 30
		.amdhsa_reserve_vcc 1
		.amdhsa_float_round_mode_32 0
		.amdhsa_float_round_mode_16_64 0
		.amdhsa_float_denorm_mode_32 3
		.amdhsa_float_denorm_mode_16_64 3
		.amdhsa_dx10_clamp 1
		.amdhsa_ieee_mode 1
		.amdhsa_fp16_overflow 0
		.amdhsa_workgroup_processor_mode 1
		.amdhsa_memory_ordered 1
		.amdhsa_forward_progress 0
		.amdhsa_shared_vgpr_count 0
		.amdhsa_exception_fp_ieee_invalid_op 0
		.amdhsa_exception_fp_denorm_src 0
		.amdhsa_exception_fp_ieee_div_zero 0
		.amdhsa_exception_fp_ieee_overflow 0
		.amdhsa_exception_fp_ieee_underflow 0
		.amdhsa_exception_fp_ieee_inexact 0
		.amdhsa_exception_int_div_zero 0
	.end_amdhsa_kernel
	.section	.text._ZL34rocblas_syrkx_herkx_general_kernelIi19rocblas_complex_numIdELi16ELi32ELi8ELb0ELb1ELc78ELc85EKPKS1_KPS1_EviT_T0_PT8_S7_lSA_S7_lS8_PT9_S7_li,"axG",@progbits,_ZL34rocblas_syrkx_herkx_general_kernelIi19rocblas_complex_numIdELi16ELi32ELi8ELb0ELb1ELc78ELc85EKPKS1_KPS1_EviT_T0_PT8_S7_lSA_S7_lS8_PT9_S7_li,comdat
.Lfunc_end920:
	.size	_ZL34rocblas_syrkx_herkx_general_kernelIi19rocblas_complex_numIdELi16ELi32ELi8ELb0ELb1ELc78ELc85EKPKS1_KPS1_EviT_T0_PT8_S7_lSA_S7_lS8_PT9_S7_li, .Lfunc_end920-_ZL34rocblas_syrkx_herkx_general_kernelIi19rocblas_complex_numIdELi16ELi32ELi8ELb0ELb1ELc78ELc85EKPKS1_KPS1_EviT_T0_PT8_S7_lSA_S7_lS8_PT9_S7_li
                                        ; -- End function
	.section	.AMDGPU.csdata,"",@progbits
; Kernel info:
; codeLenInByte = 3588
; NumSgprs: 32
; NumVgprs: 119
; ScratchSize: 0
; MemoryBound: 1
; FloatMode: 240
; IeeeMode: 1
; LDSByteSize: 8192 bytes/workgroup (compile time only)
; SGPRBlocks: 3
; VGPRBlocks: 14
; NumSGPRsForWavesPerEU: 32
; NumVGPRsForWavesPerEU: 119
; Occupancy: 12
; WaveLimiterHint : 1
; COMPUTE_PGM_RSRC2:SCRATCH_EN: 0
; COMPUTE_PGM_RSRC2:USER_SGPR: 13
; COMPUTE_PGM_RSRC2:TRAP_HANDLER: 0
; COMPUTE_PGM_RSRC2:TGID_X_EN: 1
; COMPUTE_PGM_RSRC2:TGID_Y_EN: 1
; COMPUTE_PGM_RSRC2:TGID_Z_EN: 1
; COMPUTE_PGM_RSRC2:TIDIG_COMP_CNT: 1
	.section	.text._ZL26rocblas_syr2k_scale_kernelIiLi128ELi8ELb1E19rocblas_complex_numIdES1_PKPS1_EvbiT_T3_T4_T5_S5_li,"axG",@progbits,_ZL26rocblas_syr2k_scale_kernelIiLi128ELi8ELb1E19rocblas_complex_numIdES1_PKPS1_EvbiT_T3_T4_T5_S5_li,comdat
	.globl	_ZL26rocblas_syr2k_scale_kernelIiLi128ELi8ELb1E19rocblas_complex_numIdES1_PKPS1_EvbiT_T3_T4_T5_S5_li ; -- Begin function _ZL26rocblas_syr2k_scale_kernelIiLi128ELi8ELb1E19rocblas_complex_numIdES1_PKPS1_EvbiT_T3_T4_T5_S5_li
	.p2align	8
	.type	_ZL26rocblas_syr2k_scale_kernelIiLi128ELi8ELb1E19rocblas_complex_numIdES1_PKPS1_EvbiT_T3_T4_T5_S5_li,@function
_ZL26rocblas_syr2k_scale_kernelIiLi128ELi8ELb1E19rocblas_complex_numIdES1_PKPS1_EvbiT_T3_T4_T5_S5_li: ; @_ZL26rocblas_syr2k_scale_kernelIiLi128ELi8ELb1E19rocblas_complex_numIdES1_PKPS1_EvbiT_T3_T4_T5_S5_li
; %bb.0:
	s_clause 0x2
	s_load_b256 s[4:11], s[0:1], 0x10
	s_load_b128 s[16:19], s[0:1], 0x0
	s_load_b64 s[20:21], s[0:1], 0x30
	s_mov_b32 s12, s15
	s_waitcnt lgkmcnt(0)
	v_cmp_eq_f64_e64 s2, s[8:9], 1.0
	v_cmp_eq_f64_e64 s3, s[10:11], 0
	s_delay_alu instid0(VALU_DEP_1) | instskip(NEXT) | instid1(SALU_CYCLE_1)
	s_and_b32 s2, s2, s3
	s_and_not1_b32 vcc_lo, exec_lo, s2
	s_mov_b32 s2, -1
	s_cbranch_vccnz .LBB921_3
; %bb.1:
	s_cmp_lg_u32 s18, 0
	s_cbranch_scc0 .LBB921_8
; %bb.2:
	v_cmp_neq_f64_e64 s2, s[4:5], 0
	v_cmp_neq_f64_e64 s3, s[6:7], 0
	s_delay_alu instid0(VALU_DEP_1)
	s_or_b32 s2, s2, s3
.LBB921_3:
	s_delay_alu instid0(SALU_CYCLE_1)
	s_and_b32 vcc_lo, exec_lo, s2
	s_cbranch_vccz .LBB921_9
; %bb.4:
	s_load_b32 s2, s[0:1], 0x5c
	s_bitcmp1_b32 s16, 0
	s_cselect_b32 vcc_lo, -1, 0
	v_and_b32_e32 v1, 0x3ff, v0
	v_bfe_u32 v0, v0, 10, 10
	s_waitcnt lgkmcnt(0)
	s_lshr_b32 s3, s2, 16
	s_and_b32 s2, s2, 0xffff
	s_delay_alu instid0(VALU_DEP_1) | instskip(SKIP_1) | instid1(VALU_DEP_1)
	v_mad_u64_u32 v[4:5], null, s14, s3, v[0:1]
	v_mad_u64_u32 v[2:3], null, s13, s2, v[1:2]
	v_cndmask_b32_e32 v0, v4, v2, vcc_lo
	v_max_u32_e32 v1, v2, v4
	v_cndmask_b32_e32 v3, v2, v4, vcc_lo
	s_delay_alu instid0(VALU_DEP_2) | instskip(NEXT) | instid1(VALU_DEP_2)
	v_cmp_gt_u32_e32 vcc_lo, s17, v1
	v_cmp_le_i32_e64 s2, v0, v3
	s_delay_alu instid0(VALU_DEP_1) | instskip(NEXT) | instid1(SALU_CYCLE_1)
	s_and_b32 s2, vcc_lo, s2
	s_and_saveexec_b32 s3, s2
	s_cbranch_execz .LBB921_9
; %bb.5:
	s_load_b32 s4, s[0:1], 0x38
	v_cmp_neq_f64_e64 s5, s[8:9], 0
	v_cmp_neq_f64_e64 s6, s[10:11], 0
	s_mov_b32 s13, 0
	s_load_b64 s[0:1], s[0:1], 0x40
	s_lshl_b64 s[2:3], s[12:13], 3
	v_mov_b32_e32 v3, 0
	s_waitcnt lgkmcnt(0)
	v_mad_u64_u32 v[5:6], null, v4, s4, 0
	s_ashr_i32 s4, s4, 31
	s_add_u32 s2, s20, s2
	s_addc_u32 s3, s21, s3
	s_lshl_b64 s[0:1], s[0:1], 4
	s_load_b64 s[2:3], s[2:3], 0x0
	s_delay_alu instid0(VALU_DEP_1) | instskip(NEXT) | instid1(VALU_DEP_1)
	v_mov_b32_e32 v0, v6
	v_mad_u64_u32 v[6:7], null, v4, s4, v[0:1]
	v_lshlrev_b64 v[7:8], 4, v[2:3]
	v_mov_b32_e32 v0, 0
	v_mov_b32_e32 v1, 0
	s_delay_alu instid0(VALU_DEP_4) | instskip(SKIP_3) | instid1(VALU_DEP_1)
	v_lshlrev_b64 v[5:6], 4, v[5:6]
	s_waitcnt lgkmcnt(0)
	s_add_u32 s0, s2, s0
	s_addc_u32 s1, s3, s1
	v_add_co_u32 v3, vcc_lo, s0, v5
	s_delay_alu instid0(VALU_DEP_2) | instskip(SKIP_1) | instid1(VALU_DEP_2)
	v_add_co_ci_u32_e32 v6, vcc_lo, s1, v6, vcc_lo
	s_or_b32 s2, s5, s6
	v_add_co_u32 v5, vcc_lo, v3, v7
	s_delay_alu instid0(VALU_DEP_2)
	v_add_co_ci_u32_e32 v6, vcc_lo, v6, v8, vcc_lo
	v_dual_mov_b32 v8, v1 :: v_dual_mov_b32 v7, v0
	s_and_not1_b32 vcc_lo, exec_lo, s2
	s_cbranch_vccnz .LBB921_7
; %bb.6:
	global_load_b128 v[7:10], v[5:6], off
	s_waitcnt vmcnt(0)
	v_mul_f64 v[0:1], s[10:11], v[9:10]
	v_mul_f64 v[9:10], s[8:9], v[9:10]
	s_delay_alu instid0(VALU_DEP_2) | instskip(NEXT) | instid1(VALU_DEP_2)
	v_fma_f64 v[0:1], s[8:9], v[7:8], -v[0:1]
	v_fma_f64 v[7:8], s[10:11], v[7:8], v[9:10]
.LBB921_7:
	v_cmp_ne_u32_e32 vcc_lo, v2, v4
	s_delay_alu instid0(VALU_DEP_2)
	v_dual_cndmask_b32 v3, 0, v8 :: v_dual_cndmask_b32 v2, 0, v7
	global_store_b128 v[5:6], v[0:3], off
	s_nop 0
	s_sendmsg sendmsg(MSG_DEALLOC_VGPRS)
	s_endpgm
.LBB921_8:
.LBB921_9:
	s_endpgm
	.section	.rodata,"a",@progbits
	.p2align	6, 0x0
	.amdhsa_kernel _ZL26rocblas_syr2k_scale_kernelIiLi128ELi8ELb1E19rocblas_complex_numIdES1_PKPS1_EvbiT_T3_T4_T5_S5_li
		.amdhsa_group_segment_fixed_size 0
		.amdhsa_private_segment_fixed_size 0
		.amdhsa_kernarg_size 336
		.amdhsa_user_sgpr_count 13
		.amdhsa_user_sgpr_dispatch_ptr 0
		.amdhsa_user_sgpr_queue_ptr 0
		.amdhsa_user_sgpr_kernarg_segment_ptr 1
		.amdhsa_user_sgpr_dispatch_id 0
		.amdhsa_user_sgpr_private_segment_size 0
		.amdhsa_wavefront_size32 1
		.amdhsa_uses_dynamic_stack 0
		.amdhsa_enable_private_segment 0
		.amdhsa_system_sgpr_workgroup_id_x 1
		.amdhsa_system_sgpr_workgroup_id_y 1
		.amdhsa_system_sgpr_workgroup_id_z 1
		.amdhsa_system_sgpr_workgroup_info 0
		.amdhsa_system_vgpr_workitem_id 1
		.amdhsa_next_free_vgpr 11
		.amdhsa_next_free_sgpr 22
		.amdhsa_reserve_vcc 1
		.amdhsa_float_round_mode_32 0
		.amdhsa_float_round_mode_16_64 0
		.amdhsa_float_denorm_mode_32 3
		.amdhsa_float_denorm_mode_16_64 3
		.amdhsa_dx10_clamp 1
		.amdhsa_ieee_mode 1
		.amdhsa_fp16_overflow 0
		.amdhsa_workgroup_processor_mode 1
		.amdhsa_memory_ordered 1
		.amdhsa_forward_progress 0
		.amdhsa_shared_vgpr_count 0
		.amdhsa_exception_fp_ieee_invalid_op 0
		.amdhsa_exception_fp_denorm_src 0
		.amdhsa_exception_fp_ieee_div_zero 0
		.amdhsa_exception_fp_ieee_overflow 0
		.amdhsa_exception_fp_ieee_underflow 0
		.amdhsa_exception_fp_ieee_inexact 0
		.amdhsa_exception_int_div_zero 0
	.end_amdhsa_kernel
	.section	.text._ZL26rocblas_syr2k_scale_kernelIiLi128ELi8ELb1E19rocblas_complex_numIdES1_PKPS1_EvbiT_T3_T4_T5_S5_li,"axG",@progbits,_ZL26rocblas_syr2k_scale_kernelIiLi128ELi8ELb1E19rocblas_complex_numIdES1_PKPS1_EvbiT_T3_T4_T5_S5_li,comdat
.Lfunc_end921:
	.size	_ZL26rocblas_syr2k_scale_kernelIiLi128ELi8ELb1E19rocblas_complex_numIdES1_PKPS1_EvbiT_T3_T4_T5_S5_li, .Lfunc_end921-_ZL26rocblas_syr2k_scale_kernelIiLi128ELi8ELb1E19rocblas_complex_numIdES1_PKPS1_EvbiT_T3_T4_T5_S5_li
                                        ; -- End function
	.section	.AMDGPU.csdata,"",@progbits
; Kernel info:
; codeLenInByte = 504
; NumSgprs: 24
; NumVgprs: 11
; ScratchSize: 0
; MemoryBound: 0
; FloatMode: 240
; IeeeMode: 1
; LDSByteSize: 0 bytes/workgroup (compile time only)
; SGPRBlocks: 2
; VGPRBlocks: 1
; NumSGPRsForWavesPerEU: 24
; NumVGPRsForWavesPerEU: 11
; Occupancy: 16
; WaveLimiterHint : 1
; COMPUTE_PGM_RSRC2:SCRATCH_EN: 0
; COMPUTE_PGM_RSRC2:USER_SGPR: 13
; COMPUTE_PGM_RSRC2:TRAP_HANDLER: 0
; COMPUTE_PGM_RSRC2:TGID_X_EN: 1
; COMPUTE_PGM_RSRC2:TGID_Y_EN: 1
; COMPUTE_PGM_RSRC2:TGID_Z_EN: 1
; COMPUTE_PGM_RSRC2:TIDIG_COMP_CNT: 1
	.section	.text._ZL26rocblas_syr2k_her2k_kernelIiLb0ELb1ELb0ELi32EPK19rocblas_complex_numIdEPKS3_PKPS1_EvbiT_T4_T5_S9_lSB_S9_lT6_S9_li,"axG",@progbits,_ZL26rocblas_syr2k_her2k_kernelIiLb0ELb1ELb0ELi32EPK19rocblas_complex_numIdEPKS3_PKPS1_EvbiT_T4_T5_S9_lSB_S9_lT6_S9_li,comdat
	.globl	_ZL26rocblas_syr2k_her2k_kernelIiLb0ELb1ELb0ELi32EPK19rocblas_complex_numIdEPKS3_PKPS1_EvbiT_T4_T5_S9_lSB_S9_lT6_S9_li ; -- Begin function _ZL26rocblas_syr2k_her2k_kernelIiLb0ELb1ELb0ELi32EPK19rocblas_complex_numIdEPKS3_PKPS1_EvbiT_T4_T5_S9_lSB_S9_lT6_S9_li
	.p2align	8
	.type	_ZL26rocblas_syr2k_her2k_kernelIiLb0ELb1ELb0ELi32EPK19rocblas_complex_numIdEPKS3_PKPS1_EvbiT_T4_T5_S9_lSB_S9_lT6_S9_li,@function
_ZL26rocblas_syr2k_her2k_kernelIiLb0ELb1ELb0ELi32EPK19rocblas_complex_numIdEPKS3_PKPS1_EvbiT_T4_T5_S9_lSB_S9_lT6_S9_li: ; @_ZL26rocblas_syr2k_her2k_kernelIiLb0ELb1ELb0ELi32EPK19rocblas_complex_numIdEPKS3_PKPS1_EvbiT_T4_T5_S9_lSB_S9_lT6_S9_li
; %bb.0:
	s_load_b128 s[16:19], s[0:1], 0x10
	s_waitcnt lgkmcnt(0)
	s_load_b128 s[4:7], s[16:17], 0x0
	s_waitcnt lgkmcnt(0)
	v_cmp_eq_f64_e64 s2, s[4:5], 0
	v_cmp_eq_f64_e64 s3, s[6:7], 0
	s_delay_alu instid0(VALU_DEP_1) | instskip(NEXT) | instid1(SALU_CYCLE_1)
	s_and_b32 s2, s2, s3
	s_and_b32 vcc_lo, exec_lo, s2
	s_cbranch_vccnz .LBB922_13
; %bb.1:
	s_load_b128 s[8:11], s[0:1], 0x0
	s_waitcnt lgkmcnt(0)
	s_lshl_b32 s11, s14, 5
	s_and_b32 s2, 1, s8
	s_lshl_b32 s8, s13, 5
	s_cmp_eq_u32 s2, 1
	s_cselect_b32 s2, -1, 0
	s_delay_alu instid0(SALU_CYCLE_1) | instskip(SKIP_2) | instid1(SALU_CYCLE_1)
	s_and_b32 s3, s2, exec_lo
	s_cselect_b32 s3, s8, s11
	s_cselect_b32 s12, s11, s8
	s_cmp_gt_i32 s3, s12
	s_cbranch_scc1 .LBB922_13
; %bb.2:
	s_mov_b32 s24, s15
	s_clause 0x1
	s_load_b128 s[12:15], s[0:1], 0x40
	s_load_b32 s3, s[0:1], 0x50
	s_mov_b32 s25, 0
	s_load_b64 s[20:21], s[0:1], 0x58
	s_lshl_b64 s[16:17], s[24:25], 3
	v_and_b32_e32 v13, 0x3ff, v0
	v_bfe_u32 v14, v0, 10, 10
	s_delay_alu instid0(VALU_DEP_2) | instskip(NEXT) | instid1(VALU_DEP_2)
	v_add_nc_u32_e32 v8, s8, v13
	v_add_nc_u32_e32 v10, s11, v14
	s_delay_alu instid0(VALU_DEP_2)
	v_cmp_gt_i32_e32 vcc_lo, s9, v8
	v_ashrrev_i32_e32 v9, 31, v8
	s_waitcnt lgkmcnt(0)
	s_add_u32 s14, s14, s16
	s_addc_u32 s15, s15, s17
	s_load_b64 s[14:15], s[14:15], 0x0
	s_lshl_b64 s[20:21], s[20:21], 4
	s_waitcnt lgkmcnt(0)
	s_add_u32 s8, s14, s20
	s_addc_u32 s11, s15, s21
	s_cmp_lt_i32 s10, 1
	s_cbranch_scc1 .LBB922_11
; %bb.3:
	s_clause 0x2
	s_load_b128 s[20:23], s[0:1], 0x28
	s_load_b32 s14, s[0:1], 0x20
	s_load_b32 s15, s[0:1], 0x38
	s_add_u32 s0, s18, s16
	s_addc_u32 s1, s19, s17
	v_mad_i64_i32 v[2:3], null, s3, v10, 0
	s_load_b64 s[18:19], s[0:1], 0x0
	v_lshlrev_b64 v[0:1], 4, v[8:9]
	v_lshlrev_b32_e32 v4, 4, v14
	v_lshlrev_b32_e32 v15, 9, v13
	v_ashrrev_i32_e32 v11, 31, v10
	v_cndmask_b32_e64 v6, v8, v10, s2
	v_lshlrev_b64 v[2:3], 4, v[2:3]
	v_cndmask_b32_e64 v7, v10, v8, s2
	v_or_b32_e32 v16, 0x4000, v4
	v_add_nc_u32_e32 v17, v15, v4
	v_lshlrev_b64 v[4:5], 4, v[10:11]
	v_add_co_u32 v2, s2, s8, v2
	s_waitcnt lgkmcnt(0)
	s_add_u32 s0, s22, s16
	s_addc_u32 s1, s23, s17
	s_lshl_b64 s[20:21], s[20:21], 4
	s_load_b64 s[16:17], s[0:1], 0x0
	v_add_co_ci_u32_e64 v3, s2, s11, v3, s2
	s_add_u32 s2, s18, s20
	s_addc_u32 s18, s19, s21
	v_add_co_u32 v19, s2, s2, v0
	s_lshl_b64 s[12:13], s[12:13], 4
	v_add_co_ci_u32_e64 v20, s2, s18, v1, s2
	v_cmp_gt_i32_e64 s0, s9, v10
	v_cmp_le_i32_e64 s1, v7, v6
	v_add_nc_u32_e32 v18, v16, v15
	s_waitcnt lgkmcnt(0)
	s_add_u32 s2, s16, s12
	s_addc_u32 s12, s17, s13
	v_add_co_u32 v21, s2, s2, v4
	s_delay_alu instid0(VALU_DEP_1) | instskip(SKIP_1) | instid1(VALU_DEP_1)
	v_add_co_ci_u32_e64 v22, s2, s12, v5, s2
	v_add_co_u32 v11, s2, v2, v0
	v_add_co_ci_u32_e64 v12, s2, v3, v1, s2
	s_and_b32 s2, s0, vcc_lo
	s_delay_alu instid0(SALU_CYCLE_1)
	s_and_b32 s2, s2, s1
	s_branch .LBB922_5
.LBB922_4:                              ;   in Loop: Header=BB922_5 Depth=1
	s_or_b32 exec_lo, exec_lo, s1
	s_add_i32 s25, s25, 32
	s_waitcnt_vscnt null, 0x0
	s_cmp_ge_i32 s25, s10
	s_barrier
	buffer_gl0_inv
	s_cbranch_scc1 .LBB922_11
.LBB922_5:                              ; =>This Inner Loop Header: Depth=1
	v_add_nc_u32_e32 v2, s25, v14
	v_mov_b32_e32 v0, 0
	v_mov_b32_e32 v1, 0
	s_delay_alu instid0(VALU_DEP_3) | instskip(NEXT) | instid1(VALU_DEP_2)
	v_cmp_gt_i32_e64 s1, s10, v2
	v_dual_mov_b32 v5, v1 :: v_dual_mov_b32 v4, v0
	v_dual_mov_b32 v7, v1 :: v_dual_mov_b32 v6, v0
	s_delay_alu instid0(VALU_DEP_3) | instskip(NEXT) | instid1(SALU_CYCLE_1)
	s_and_b32 s1, vcc_lo, s1
	s_and_saveexec_b32 s12, s1
	s_cbranch_execz .LBB922_7
; %bb.6:                                ;   in Loop: Header=BB922_5 Depth=1
	v_mad_i64_i32 v[3:4], null, v2, s14, 0
	s_delay_alu instid0(VALU_DEP_1) | instskip(NEXT) | instid1(VALU_DEP_1)
	v_lshlrev_b64 v[2:3], 4, v[3:4]
	v_add_co_u32 v2, s1, v19, v2
	s_delay_alu instid0(VALU_DEP_1)
	v_add_co_ci_u32_e64 v3, s1, v20, v3, s1
	global_load_b128 v[4:7], v[2:3], off
.LBB922_7:                              ;   in Loop: Header=BB922_5 Depth=1
	s_or_b32 exec_lo, exec_lo, s12
	v_add_nc_u32_e32 v23, s25, v13
	v_dual_mov_b32 v3, v1 :: v_dual_mov_b32 v2, v0
	s_waitcnt vmcnt(0)
	ds_store_b128 v17, v[4:7]
	v_cmp_gt_i32_e64 s1, s10, v23
	s_delay_alu instid0(VALU_DEP_1) | instskip(NEXT) | instid1(SALU_CYCLE_1)
	s_and_b32 s1, s0, s1
	s_and_saveexec_b32 s12, s1
	s_cbranch_execz .LBB922_9
; %bb.8:                                ;   in Loop: Header=BB922_5 Depth=1
	v_mad_i64_i32 v[0:1], null, v23, s15, 0
	s_delay_alu instid0(VALU_DEP_1) | instskip(NEXT) | instid1(VALU_DEP_1)
	v_lshlrev_b64 v[0:1], 4, v[0:1]
	v_add_co_u32 v0, s1, v21, v0
	s_delay_alu instid0(VALU_DEP_1)
	v_add_co_ci_u32_e64 v1, s1, v22, v1, s1
	global_load_b128 v[0:3], v[0:1], off
	s_waitcnt vmcnt(0)
	v_xor_b32_e32 v3, 0x80000000, v3
.LBB922_9:                              ;   in Loop: Header=BB922_5 Depth=1
	s_or_b32 exec_lo, exec_lo, s12
	ds_store_b128 v18, v[0:3]
	s_waitcnt lgkmcnt(0)
	s_barrier
	buffer_gl0_inv
	s_and_saveexec_b32 s1, s2
	s_cbranch_execz .LBB922_4
; %bb.10:                               ;   in Loop: Header=BB922_5 Depth=1
	ds_load_b128 v[0:3], v16
	ds_load_b128 v[4:7], v15
	ds_load_b128 v[23:26], v15 offset:16
	ds_load_b128 v[27:30], v16 offset:512
	s_waitcnt lgkmcnt(2)
	v_mul_f64 v[31:32], v[0:1], v[6:7]
	v_mul_f64 v[6:7], v[2:3], v[6:7]
	s_waitcnt lgkmcnt(0)
	v_mul_f64 v[47:48], v[27:28], v[25:26]
	v_mul_f64 v[25:26], v[29:30], v[25:26]
	s_delay_alu instid0(VALU_DEP_4)
	v_fma_f64 v[2:3], v[2:3], v[4:5], v[31:32]
	ds_load_b128 v[31:34], v16 offset:1024
	ds_load_b128 v[35:38], v15 offset:32
	;; [unrolled: 1-line block ×4, first 2 shown]
	v_fma_f64 v[0:1], v[0:1], v[4:5], -v[6:7]
	v_fma_f64 v[4:5], v[29:30], v[23:24], v[47:48]
	v_fma_f64 v[51:52], v[27:28], v[23:24], -v[25:26]
	s_waitcnt lgkmcnt(2)
	v_mul_f64 v[49:50], v[31:32], v[37:38]
	v_mul_f64 v[37:38], v[33:34], v[37:38]
	s_waitcnt lgkmcnt(0)
	v_mul_f64 v[47:48], v[43:44], v[41:42]
	v_mul_f64 v[41:42], v[45:46], v[41:42]
	v_add_f64 v[2:3], v[2:3], 0
	v_fma_f64 v[33:34], v[33:34], v[35:36], v[49:50]
	v_add_f64 v[49:50], v[0:1], 0
	v_fma_f64 v[31:32], v[31:32], v[35:36], -v[37:38]
	v_fma_f64 v[35:36], v[45:46], v[39:40], v[47:48]
	v_add_f64 v[53:54], v[2:3], v[4:5]
	ds_load_b128 v[0:3], v15 offset:64
	ds_load_b128 v[4:7], v16 offset:2048
	ds_load_b128 v[23:26], v16 offset:2560
	ds_load_b128 v[27:30], v15 offset:80
	s_waitcnt lgkmcnt(2)
	v_mul_f64 v[55:56], v[4:5], v[2:3]
	v_add_f64 v[37:38], v[49:50], v[51:52]
	v_mul_f64 v[2:3], v[6:7], v[2:3]
	s_waitcnt lgkmcnt(0)
	v_mul_f64 v[47:48], v[23:24], v[29:30]
	v_fma_f64 v[49:50], v[43:44], v[39:40], -v[41:42]
	v_mul_f64 v[29:30], v[25:26], v[29:30]
	v_add_f64 v[33:34], v[53:54], v[33:34]
	v_fma_f64 v[6:7], v[6:7], v[0:1], v[55:56]
	v_add_f64 v[51:52], v[37:38], v[31:32]
	v_fma_f64 v[0:1], v[4:5], v[0:1], -v[2:3]
	v_fma_f64 v[2:3], v[25:26], v[27:28], v[47:48]
	v_add_f64 v[53:54], v[33:34], v[35:36]
	ds_load_b128 v[31:34], v15 offset:96
	ds_load_b128 v[35:38], v16 offset:3072
	ds_load_b128 v[39:42], v16 offset:3584
	ds_load_b128 v[43:46], v15 offset:112
	s_waitcnt lgkmcnt(2)
	v_mul_f64 v[55:56], v[35:36], v[33:34]
	v_add_f64 v[4:5], v[51:52], v[49:50]
	v_mul_f64 v[33:34], v[37:38], v[33:34]
	s_waitcnt lgkmcnt(0)
	v_mul_f64 v[47:48], v[39:40], v[45:46]
	v_fma_f64 v[49:50], v[23:24], v[27:28], -v[29:30]
	v_mul_f64 v[45:46], v[41:42], v[45:46]
	v_add_f64 v[6:7], v[53:54], v[6:7]
	v_fma_f64 v[37:38], v[37:38], v[31:32], v[55:56]
	v_add_f64 v[51:52], v[4:5], v[0:1]
	v_fma_f64 v[31:32], v[35:36], v[31:32], -v[33:34]
	v_fma_f64 v[33:34], v[41:42], v[43:44], v[47:48]
	v_add_f64 v[53:54], v[6:7], v[2:3]
	ds_load_b128 v[0:3], v15 offset:128
	ds_load_b128 v[4:7], v16 offset:4096
	ds_load_b128 v[23:26], v16 offset:4608
	ds_load_b128 v[27:30], v15 offset:144
	s_waitcnt lgkmcnt(2)
	v_mul_f64 v[55:56], v[4:5], v[2:3]
	v_add_f64 v[35:36], v[51:52], v[49:50]
	v_mul_f64 v[2:3], v[6:7], v[2:3]
	s_waitcnt lgkmcnt(0)
	v_mul_f64 v[47:48], v[23:24], v[29:30]
	v_fma_f64 v[49:50], v[39:40], v[43:44], -v[45:46]
	v_mul_f64 v[29:30], v[25:26], v[29:30]
	v_add_f64 v[37:38], v[53:54], v[37:38]
	v_fma_f64 v[6:7], v[6:7], v[0:1], v[55:56]
	v_add_f64 v[51:52], v[35:36], v[31:32]
	v_fma_f64 v[0:1], v[4:5], v[0:1], -v[2:3]
	v_fma_f64 v[2:3], v[25:26], v[27:28], v[47:48]
	v_add_f64 v[53:54], v[37:38], v[33:34]
	ds_load_b128 v[31:34], v15 offset:160
	ds_load_b128 v[35:38], v16 offset:5120
	ds_load_b128 v[39:42], v16 offset:5632
	ds_load_b128 v[43:46], v15 offset:176
	s_waitcnt lgkmcnt(2)
	v_mul_f64 v[55:56], v[35:36], v[33:34]
	v_add_f64 v[4:5], v[51:52], v[49:50]
	v_mul_f64 v[33:34], v[37:38], v[33:34]
	s_waitcnt lgkmcnt(0)
	v_mul_f64 v[47:48], v[39:40], v[45:46]
	v_fma_f64 v[49:50], v[23:24], v[27:28], -v[29:30]
	v_mul_f64 v[45:46], v[41:42], v[45:46]
	v_add_f64 v[6:7], v[53:54], v[6:7]
	v_fma_f64 v[37:38], v[37:38], v[31:32], v[55:56]
	v_add_f64 v[51:52], v[4:5], v[0:1]
	v_fma_f64 v[31:32], v[35:36], v[31:32], -v[33:34]
	v_fma_f64 v[33:34], v[41:42], v[43:44], v[47:48]
	v_add_f64 v[53:54], v[6:7], v[2:3]
	ds_load_b128 v[0:3], v15 offset:192
	ds_load_b128 v[4:7], v16 offset:6144
	ds_load_b128 v[23:26], v16 offset:6656
	ds_load_b128 v[27:30], v15 offset:208
	s_waitcnt lgkmcnt(2)
	v_mul_f64 v[55:56], v[4:5], v[2:3]
	v_add_f64 v[35:36], v[51:52], v[49:50]
	v_mul_f64 v[2:3], v[6:7], v[2:3]
	s_waitcnt lgkmcnt(0)
	v_mul_f64 v[47:48], v[23:24], v[29:30]
	v_fma_f64 v[49:50], v[39:40], v[43:44], -v[45:46]
	v_mul_f64 v[29:30], v[25:26], v[29:30]
	v_add_f64 v[37:38], v[53:54], v[37:38]
	v_fma_f64 v[6:7], v[6:7], v[0:1], v[55:56]
	v_add_f64 v[51:52], v[35:36], v[31:32]
	v_fma_f64 v[0:1], v[4:5], v[0:1], -v[2:3]
	v_fma_f64 v[2:3], v[25:26], v[27:28], v[47:48]
	v_add_f64 v[53:54], v[37:38], v[33:34]
	ds_load_b128 v[31:34], v15 offset:224
	ds_load_b128 v[35:38], v16 offset:7168
	ds_load_b128 v[39:42], v16 offset:7680
	ds_load_b128 v[43:46], v15 offset:240
	s_waitcnt lgkmcnt(2)
	v_mul_f64 v[55:56], v[35:36], v[33:34]
	v_add_f64 v[4:5], v[51:52], v[49:50]
	v_mul_f64 v[33:34], v[37:38], v[33:34]
	s_waitcnt lgkmcnt(0)
	v_mul_f64 v[47:48], v[39:40], v[45:46]
	v_fma_f64 v[49:50], v[23:24], v[27:28], -v[29:30]
	v_mul_f64 v[45:46], v[41:42], v[45:46]
	v_add_f64 v[6:7], v[53:54], v[6:7]
	v_fma_f64 v[37:38], v[37:38], v[31:32], v[55:56]
	v_add_f64 v[51:52], v[4:5], v[0:1]
	v_fma_f64 v[31:32], v[35:36], v[31:32], -v[33:34]
	v_fma_f64 v[33:34], v[41:42], v[43:44], v[47:48]
	v_add_f64 v[53:54], v[6:7], v[2:3]
	ds_load_b128 v[0:3], v15 offset:256
	ds_load_b128 v[4:7], v16 offset:8192
	ds_load_b128 v[23:26], v16 offset:8704
	ds_load_b128 v[27:30], v15 offset:272
	s_waitcnt lgkmcnt(2)
	v_mul_f64 v[55:56], v[4:5], v[2:3]
	v_add_f64 v[35:36], v[51:52], v[49:50]
	v_mul_f64 v[2:3], v[6:7], v[2:3]
	s_waitcnt lgkmcnt(0)
	v_mul_f64 v[47:48], v[23:24], v[29:30]
	v_fma_f64 v[49:50], v[39:40], v[43:44], -v[45:46]
	v_mul_f64 v[29:30], v[25:26], v[29:30]
	v_add_f64 v[37:38], v[53:54], v[37:38]
	v_fma_f64 v[6:7], v[6:7], v[0:1], v[55:56]
	v_add_f64 v[51:52], v[35:36], v[31:32]
	v_fma_f64 v[0:1], v[4:5], v[0:1], -v[2:3]
	v_fma_f64 v[2:3], v[25:26], v[27:28], v[47:48]
	v_add_f64 v[53:54], v[37:38], v[33:34]
	ds_load_b128 v[31:34], v15 offset:288
	ds_load_b128 v[35:38], v16 offset:9216
	ds_load_b128 v[39:42], v16 offset:9728
	ds_load_b128 v[43:46], v15 offset:304
	s_waitcnt lgkmcnt(2)
	v_mul_f64 v[55:56], v[35:36], v[33:34]
	v_add_f64 v[4:5], v[51:52], v[49:50]
	v_mul_f64 v[33:34], v[37:38], v[33:34]
	s_waitcnt lgkmcnt(0)
	v_mul_f64 v[47:48], v[39:40], v[45:46]
	v_fma_f64 v[49:50], v[23:24], v[27:28], -v[29:30]
	v_mul_f64 v[45:46], v[41:42], v[45:46]
	v_add_f64 v[6:7], v[53:54], v[6:7]
	v_fma_f64 v[37:38], v[37:38], v[31:32], v[55:56]
	v_add_f64 v[51:52], v[4:5], v[0:1]
	v_fma_f64 v[31:32], v[35:36], v[31:32], -v[33:34]
	v_fma_f64 v[33:34], v[41:42], v[43:44], v[47:48]
	v_add_f64 v[53:54], v[6:7], v[2:3]
	ds_load_b128 v[0:3], v15 offset:320
	ds_load_b128 v[4:7], v16 offset:10240
	ds_load_b128 v[23:26], v16 offset:10752
	ds_load_b128 v[27:30], v15 offset:336
	s_waitcnt lgkmcnt(2)
	v_mul_f64 v[55:56], v[4:5], v[2:3]
	v_add_f64 v[35:36], v[51:52], v[49:50]
	v_mul_f64 v[2:3], v[6:7], v[2:3]
	s_waitcnt lgkmcnt(0)
	v_mul_f64 v[47:48], v[23:24], v[29:30]
	v_fma_f64 v[49:50], v[39:40], v[43:44], -v[45:46]
	v_mul_f64 v[29:30], v[25:26], v[29:30]
	v_add_f64 v[37:38], v[53:54], v[37:38]
	v_fma_f64 v[6:7], v[6:7], v[0:1], v[55:56]
	v_add_f64 v[51:52], v[35:36], v[31:32]
	v_fma_f64 v[0:1], v[4:5], v[0:1], -v[2:3]
	v_fma_f64 v[2:3], v[25:26], v[27:28], v[47:48]
	v_add_f64 v[53:54], v[37:38], v[33:34]
	ds_load_b128 v[31:34], v15 offset:352
	ds_load_b128 v[35:38], v16 offset:11264
	ds_load_b128 v[39:42], v16 offset:11776
	ds_load_b128 v[43:46], v15 offset:368
	s_waitcnt lgkmcnt(2)
	v_mul_f64 v[55:56], v[35:36], v[33:34]
	v_add_f64 v[4:5], v[51:52], v[49:50]
	v_mul_f64 v[33:34], v[37:38], v[33:34]
	s_waitcnt lgkmcnt(0)
	v_mul_f64 v[47:48], v[39:40], v[45:46]
	v_fma_f64 v[49:50], v[23:24], v[27:28], -v[29:30]
	v_mul_f64 v[45:46], v[41:42], v[45:46]
	v_add_f64 v[6:7], v[53:54], v[6:7]
	v_fma_f64 v[37:38], v[37:38], v[31:32], v[55:56]
	v_add_f64 v[51:52], v[4:5], v[0:1]
	v_fma_f64 v[31:32], v[35:36], v[31:32], -v[33:34]
	v_fma_f64 v[33:34], v[41:42], v[43:44], v[47:48]
	v_add_f64 v[53:54], v[6:7], v[2:3]
	ds_load_b128 v[0:3], v15 offset:384
	ds_load_b128 v[4:7], v16 offset:12288
	ds_load_b128 v[23:26], v16 offset:12800
	ds_load_b128 v[27:30], v15 offset:400
	s_waitcnt lgkmcnt(2)
	v_mul_f64 v[55:56], v[4:5], v[2:3]
	v_add_f64 v[35:36], v[51:52], v[49:50]
	v_mul_f64 v[2:3], v[6:7], v[2:3]
	s_waitcnt lgkmcnt(0)
	v_mul_f64 v[47:48], v[23:24], v[29:30]
	v_fma_f64 v[49:50], v[39:40], v[43:44], -v[45:46]
	v_mul_f64 v[29:30], v[25:26], v[29:30]
	v_add_f64 v[37:38], v[53:54], v[37:38]
	v_fma_f64 v[6:7], v[6:7], v[0:1], v[55:56]
	v_add_f64 v[51:52], v[35:36], v[31:32]
	v_fma_f64 v[0:1], v[4:5], v[0:1], -v[2:3]
	v_fma_f64 v[2:3], v[25:26], v[27:28], v[47:48]
	v_add_f64 v[53:54], v[37:38], v[33:34]
	ds_load_b128 v[31:34], v15 offset:416
	ds_load_b128 v[35:38], v16 offset:13312
	;; [unrolled: 1-line block ×4, first 2 shown]
	s_waitcnt lgkmcnt(2)
	v_mul_f64 v[55:56], v[35:36], v[33:34]
	v_add_f64 v[4:5], v[51:52], v[49:50]
	v_mul_f64 v[33:34], v[37:38], v[33:34]
	s_waitcnt lgkmcnt(0)
	v_mul_f64 v[51:52], v[39:40], v[45:46]
	v_mul_f64 v[45:46], v[41:42], v[45:46]
	v_add_f64 v[6:7], v[53:54], v[6:7]
	v_fma_f64 v[53:54], v[23:24], v[27:28], -v[29:30]
	v_fma_f64 v[37:38], v[37:38], v[31:32], v[55:56]
	v_add_f64 v[55:56], v[4:5], v[0:1]
	v_fma_f64 v[31:32], v[35:36], v[31:32], -v[33:34]
	v_fma_f64 v[33:34], v[41:42], v[43:44], v[51:52]
	v_add_f64 v[57:58], v[6:7], v[2:3]
	ds_load_b128 v[0:3], v15 offset:448
	ds_load_b128 v[4:7], v16 offset:14336
	global_load_b128 v[23:26], v[11:12], off
	ds_load_b128 v[27:30], v16 offset:14848
	ds_load_b128 v[47:50], v15 offset:464
	v_add_f64 v[35:36], v[55:56], v[53:54]
	s_waitcnt lgkmcnt(2)
	v_mul_f64 v[59:60], v[4:5], v[2:3]
	v_mul_f64 v[2:3], v[6:7], v[2:3]
	s_waitcnt lgkmcnt(0)
	v_mul_f64 v[51:52], v[27:28], v[49:50]
	v_fma_f64 v[53:54], v[39:40], v[43:44], -v[45:46]
	v_mul_f64 v[49:50], v[29:30], v[49:50]
	v_add_f64 v[37:38], v[57:58], v[37:38]
	v_add_f64 v[55:56], v[35:36], v[31:32]
	v_fma_f64 v[6:7], v[6:7], v[0:1], v[59:60]
	v_fma_f64 v[0:1], v[4:5], v[0:1], -v[2:3]
	v_fma_f64 v[2:3], v[29:30], v[47:48], v[51:52]
	v_fma_f64 v[27:28], v[27:28], v[47:48], -v[49:50]
	v_add_f64 v[57:58], v[37:38], v[33:34]
	ds_load_b128 v[31:34], v15 offset:480
	ds_load_b128 v[35:38], v16 offset:15360
	;; [unrolled: 1-line block ×4, first 2 shown]
	s_waitcnt lgkmcnt(2)
	v_mul_f64 v[59:60], v[35:36], v[33:34]
	v_add_f64 v[4:5], v[55:56], v[53:54]
	v_mul_f64 v[29:30], v[37:38], v[33:34]
	s_waitcnt lgkmcnt(0)
	v_mul_f64 v[33:34], v[39:40], v[45:46]
	v_add_f64 v[6:7], v[57:58], v[6:7]
	v_fma_f64 v[37:38], v[37:38], v[31:32], v[59:60]
	v_add_f64 v[0:1], v[4:5], v[0:1]
	v_mul_f64 v[4:5], v[41:42], v[45:46]
	s_delay_alu instid0(VALU_DEP_4)
	v_add_f64 v[2:3], v[6:7], v[2:3]
	v_fma_f64 v[6:7], v[35:36], v[31:32], -v[29:30]
	v_fma_f64 v[29:30], v[41:42], v[43:44], v[33:34]
	v_add_f64 v[0:1], v[0:1], v[27:28]
	v_fma_f64 v[4:5], v[39:40], v[43:44], -v[4:5]
	v_add_f64 v[2:3], v[2:3], v[37:38]
	s_delay_alu instid0(VALU_DEP_3) | instskip(NEXT) | instid1(VALU_DEP_2)
	v_add_f64 v[0:1], v[0:1], v[6:7]
	v_add_f64 v[2:3], v[2:3], v[29:30]
	s_delay_alu instid0(VALU_DEP_2) | instskip(NEXT) | instid1(VALU_DEP_2)
	v_add_f64 v[0:1], v[0:1], v[4:5]
	v_mul_f64 v[4:5], s[6:7], v[2:3]
	v_mul_f64 v[2:3], s[4:5], v[2:3]
	s_delay_alu instid0(VALU_DEP_2) | instskip(NEXT) | instid1(VALU_DEP_2)
	v_fma_f64 v[4:5], s[4:5], v[0:1], -v[4:5]
	v_fma_f64 v[2:3], s[6:7], v[0:1], v[2:3]
	s_waitcnt vmcnt(0)
	s_delay_alu instid0(VALU_DEP_2) | instskip(NEXT) | instid1(VALU_DEP_2)
	v_add_f64 v[0:1], v[23:24], v[4:5]
	v_add_f64 v[2:3], v[25:26], v[2:3]
	global_store_b128 v[11:12], v[0:3], off
	s_branch .LBB922_4
.LBB922_11:
	v_cmp_eq_u32_e32 vcc_lo, v8, v10
	v_cmp_gt_i32_e64 s0, s9, v8
	s_delay_alu instid0(VALU_DEP_1) | instskip(NEXT) | instid1(SALU_CYCLE_1)
	s_and_b32 s0, vcc_lo, s0
	s_and_saveexec_b32 s1, s0
	s_cbranch_execz .LBB922_13
; %bb.12:
	v_mad_i64_i32 v[0:1], null, s3, v8, 0
	v_lshlrev_b64 v[2:3], 4, v[8:9]
	s_delay_alu instid0(VALU_DEP_2) | instskip(NEXT) | instid1(VALU_DEP_1)
	v_lshlrev_b64 v[0:1], 4, v[0:1]
	v_add_co_u32 v4, vcc_lo, s8, v0
	s_delay_alu instid0(VALU_DEP_2) | instskip(SKIP_1) | instid1(VALU_DEP_3)
	v_add_co_ci_u32_e32 v1, vcc_lo, s11, v1, vcc_lo
	v_mov_b32_e32 v0, 0
	v_add_co_u32 v2, vcc_lo, v4, v2
	s_delay_alu instid0(VALU_DEP_3) | instskip(NEXT) | instid1(VALU_DEP_3)
	v_add_co_ci_u32_e32 v3, vcc_lo, v1, v3, vcc_lo
	v_mov_b32_e32 v1, v0
	global_store_b64 v[2:3], v[0:1], off offset:8
.LBB922_13:
	s_nop 0
	s_sendmsg sendmsg(MSG_DEALLOC_VGPRS)
	s_endpgm
	.section	.rodata,"a",@progbits
	.p2align	6, 0x0
	.amdhsa_kernel _ZL26rocblas_syr2k_her2k_kernelIiLb0ELb1ELb0ELi32EPK19rocblas_complex_numIdEPKS3_PKPS1_EvbiT_T4_T5_S9_lSB_S9_lT6_S9_li
		.amdhsa_group_segment_fixed_size 32768
		.amdhsa_private_segment_fixed_size 0
		.amdhsa_kernarg_size 100
		.amdhsa_user_sgpr_count 13
		.amdhsa_user_sgpr_dispatch_ptr 0
		.amdhsa_user_sgpr_queue_ptr 0
		.amdhsa_user_sgpr_kernarg_segment_ptr 1
		.amdhsa_user_sgpr_dispatch_id 0
		.amdhsa_user_sgpr_private_segment_size 0
		.amdhsa_wavefront_size32 1
		.amdhsa_uses_dynamic_stack 0
		.amdhsa_enable_private_segment 0
		.amdhsa_system_sgpr_workgroup_id_x 1
		.amdhsa_system_sgpr_workgroup_id_y 1
		.amdhsa_system_sgpr_workgroup_id_z 1
		.amdhsa_system_sgpr_workgroup_info 0
		.amdhsa_system_vgpr_workitem_id 1
		.amdhsa_next_free_vgpr 61
		.amdhsa_next_free_sgpr 26
		.amdhsa_reserve_vcc 1
		.amdhsa_float_round_mode_32 0
		.amdhsa_float_round_mode_16_64 0
		.amdhsa_float_denorm_mode_32 3
		.amdhsa_float_denorm_mode_16_64 3
		.amdhsa_dx10_clamp 1
		.amdhsa_ieee_mode 1
		.amdhsa_fp16_overflow 0
		.amdhsa_workgroup_processor_mode 1
		.amdhsa_memory_ordered 1
		.amdhsa_forward_progress 0
		.amdhsa_shared_vgpr_count 0
		.amdhsa_exception_fp_ieee_invalid_op 0
		.amdhsa_exception_fp_denorm_src 0
		.amdhsa_exception_fp_ieee_div_zero 0
		.amdhsa_exception_fp_ieee_overflow 0
		.amdhsa_exception_fp_ieee_underflow 0
		.amdhsa_exception_fp_ieee_inexact 0
		.amdhsa_exception_int_div_zero 0
	.end_amdhsa_kernel
	.section	.text._ZL26rocblas_syr2k_her2k_kernelIiLb0ELb1ELb0ELi32EPK19rocblas_complex_numIdEPKS3_PKPS1_EvbiT_T4_T5_S9_lSB_S9_lT6_S9_li,"axG",@progbits,_ZL26rocblas_syr2k_her2k_kernelIiLb0ELb1ELb0ELi32EPK19rocblas_complex_numIdEPKS3_PKPS1_EvbiT_T4_T5_S9_lSB_S9_lT6_S9_li,comdat
.Lfunc_end922:
	.size	_ZL26rocblas_syr2k_her2k_kernelIiLb0ELb1ELb0ELi32EPK19rocblas_complex_numIdEPKS3_PKPS1_EvbiT_T4_T5_S9_lSB_S9_lT6_S9_li, .Lfunc_end922-_ZL26rocblas_syr2k_her2k_kernelIiLb0ELb1ELb0ELi32EPK19rocblas_complex_numIdEPKS3_PKPS1_EvbiT_T4_T5_S9_lSB_S9_lT6_S9_li
                                        ; -- End function
	.section	.AMDGPU.csdata,"",@progbits
; Kernel info:
; codeLenInByte = 3176
; NumSgprs: 28
; NumVgprs: 61
; ScratchSize: 0
; MemoryBound: 1
; FloatMode: 240
; IeeeMode: 1
; LDSByteSize: 32768 bytes/workgroup (compile time only)
; SGPRBlocks: 3
; VGPRBlocks: 7
; NumSGPRsForWavesPerEU: 28
; NumVGPRsForWavesPerEU: 61
; Occupancy: 16
; WaveLimiterHint : 1
; COMPUTE_PGM_RSRC2:SCRATCH_EN: 0
; COMPUTE_PGM_RSRC2:USER_SGPR: 13
; COMPUTE_PGM_RSRC2:TRAP_HANDLER: 0
; COMPUTE_PGM_RSRC2:TGID_X_EN: 1
; COMPUTE_PGM_RSRC2:TGID_Y_EN: 1
; COMPUTE_PGM_RSRC2:TGID_Z_EN: 1
; COMPUTE_PGM_RSRC2:TIDIG_COMP_CNT: 1
	.section	.text._ZL26rocblas_syr2k_her2k_kernelIiLb0ELb1ELb1ELi32EPK19rocblas_complex_numIdEPKS3_PKPS1_EvbiT_T4_T5_S9_lSB_S9_lT6_S9_li,"axG",@progbits,_ZL26rocblas_syr2k_her2k_kernelIiLb0ELb1ELb1ELi32EPK19rocblas_complex_numIdEPKS3_PKPS1_EvbiT_T4_T5_S9_lSB_S9_lT6_S9_li,comdat
	.globl	_ZL26rocblas_syr2k_her2k_kernelIiLb0ELb1ELb1ELi32EPK19rocblas_complex_numIdEPKS3_PKPS1_EvbiT_T4_T5_S9_lSB_S9_lT6_S9_li ; -- Begin function _ZL26rocblas_syr2k_her2k_kernelIiLb0ELb1ELb1ELi32EPK19rocblas_complex_numIdEPKS3_PKPS1_EvbiT_T4_T5_S9_lSB_S9_lT6_S9_li
	.p2align	8
	.type	_ZL26rocblas_syr2k_her2k_kernelIiLb0ELb1ELb1ELi32EPK19rocblas_complex_numIdEPKS3_PKPS1_EvbiT_T4_T5_S9_lSB_S9_lT6_S9_li,@function
_ZL26rocblas_syr2k_her2k_kernelIiLb0ELb1ELb1ELi32EPK19rocblas_complex_numIdEPKS3_PKPS1_EvbiT_T4_T5_S9_lSB_S9_lT6_S9_li: ; @_ZL26rocblas_syr2k_her2k_kernelIiLb0ELb1ELb1ELi32EPK19rocblas_complex_numIdEPKS3_PKPS1_EvbiT_T4_T5_S9_lSB_S9_lT6_S9_li
; %bb.0:
	s_load_b128 s[16:19], s[0:1], 0x10
	s_waitcnt lgkmcnt(0)
	s_load_b128 s[4:7], s[16:17], 0x0
	s_waitcnt lgkmcnt(0)
	v_cmp_eq_f64_e64 s2, s[4:5], 0
	v_cmp_eq_f64_e64 s3, s[6:7], 0
	s_delay_alu instid0(VALU_DEP_1) | instskip(NEXT) | instid1(SALU_CYCLE_1)
	s_and_b32 s2, s2, s3
	s_and_b32 vcc_lo, exec_lo, s2
	s_cbranch_vccnz .LBB923_13
; %bb.1:
	s_load_b128 s[8:11], s[0:1], 0x0
	s_waitcnt lgkmcnt(0)
	s_lshl_b32 s11, s14, 5
	s_and_b32 s2, 1, s8
	s_lshl_b32 s8, s13, 5
	s_cmp_eq_u32 s2, 1
	s_cselect_b32 s2, -1, 0
	s_delay_alu instid0(SALU_CYCLE_1) | instskip(SKIP_2) | instid1(SALU_CYCLE_1)
	s_and_b32 s3, s2, exec_lo
	s_cselect_b32 s3, s8, s11
	s_cselect_b32 s12, s11, s8
	s_cmp_gt_i32 s3, s12
	s_cbranch_scc1 .LBB923_13
; %bb.2:
	s_mov_b32 s24, s15
	s_clause 0x1
	s_load_b128 s[12:15], s[0:1], 0x40
	s_load_b32 s3, s[0:1], 0x50
	s_mov_b32 s25, 0
	s_load_b64 s[20:21], s[0:1], 0x58
	s_lshl_b64 s[16:17], s[24:25], 3
	v_and_b32_e32 v14, 0x3ff, v0
	v_bfe_u32 v15, v0, 10, 10
	s_delay_alu instid0(VALU_DEP_2) | instskip(NEXT) | instid1(VALU_DEP_2)
	v_add_nc_u32_e32 v8, s8, v14
	v_add_nc_u32_e32 v16, s11, v15
	s_delay_alu instid0(VALU_DEP_2)
	v_cmp_gt_i32_e32 vcc_lo, s9, v8
	v_ashrrev_i32_e32 v9, 31, v8
	s_waitcnt lgkmcnt(0)
	s_add_u32 s14, s14, s16
	s_addc_u32 s15, s15, s17
	s_load_b64 s[14:15], s[14:15], 0x0
	s_lshl_b64 s[20:21], s[20:21], 4
	s_waitcnt lgkmcnt(0)
	s_add_u32 s8, s14, s20
	s_addc_u32 s11, s15, s21
	s_cmp_lt_i32 s10, 1
	s_cbranch_scc1 .LBB923_11
; %bb.3:
	s_clause 0x2
	s_load_b128 s[20:23], s[0:1], 0x28
	s_load_b32 s24, s[0:1], 0x20
	s_load_b32 s26, s[0:1], 0x38
	s_add_u32 s14, s18, s16
	s_addc_u32 s15, s19, s17
	v_mad_i64_i32 v[0:1], null, s3, v16, 0
	s_load_b64 s[14:15], s[14:15], 0x0
	v_cndmask_b32_e64 v4, v8, v16, s2
	v_cndmask_b32_e64 v5, v16, v8, s2
	v_lshlrev_b32_e32 v6, 4, v15
	v_lshlrev_b32_e32 v17, 9, v14
	v_lshlrev_b64 v[2:3], 4, v[8:9]
	v_lshlrev_b64 v[0:1], 4, v[0:1]
	v_cmp_le_i32_e64 s1, v5, v4
	v_or_b32_e32 v19, 0x4000, v6
	v_add_nc_u32_e32 v18, v17, v6
	v_cmp_gt_i32_e64 s0, s9, v16
	v_add_co_u32 v10, s2, s8, v0
	s_waitcnt lgkmcnt(0)
	s_add_u32 s16, s22, s16
	s_addc_u32 s17, s23, s17
	v_mad_i64_i32 v[4:5], null, s24, v8, 0
	s_load_b64 s[16:17], s[16:17], 0x0
	v_mad_i64_i32 v[6:7], null, s26, v16, 0
	v_add_co_ci_u32_e64 v11, s2, s11, v1, s2
	s_lshl_b64 s[18:19], s[20:21], 4
	s_delay_alu instid0(VALU_DEP_3) | instskip(SKIP_2) | instid1(VALU_DEP_3)
	v_lshlrev_b64 v[0:1], 4, v[4:5]
	s_add_u32 s2, s14, s18
	s_addc_u32 s14, s15, s19
	v_lshlrev_b64 v[4:5], 4, v[6:7]
	s_lshl_b64 s[12:13], s[12:13], 4
	v_add_nc_u32_e32 v20, v19, v17
	v_add_co_u32 v21, s2, s2, v0
	s_delay_alu instid0(VALU_DEP_1) | instskip(SKIP_4) | instid1(VALU_DEP_1)
	v_add_co_ci_u32_e64 v22, s2, s14, v1, s2
	s_waitcnt lgkmcnt(0)
	s_add_u32 s2, s16, s12
	s_addc_u32 s12, s17, s13
	v_add_co_u32 v23, s2, s2, v4
	v_add_co_ci_u32_e64 v24, s2, s12, v5, s2
	v_add_co_u32 v10, s2, v10, v2
	s_delay_alu instid0(VALU_DEP_1) | instskip(SKIP_1) | instid1(SALU_CYCLE_1)
	v_add_co_ci_u32_e64 v11, s2, v11, v3, s2
	s_and_b32 s2, s0, vcc_lo
	s_and_b32 s2, s2, s1
	s_branch .LBB923_5
.LBB923_4:                              ;   in Loop: Header=BB923_5 Depth=1
	s_or_b32 exec_lo, exec_lo, s1
	s_add_i32 s25, s25, 32
	s_waitcnt_vscnt null, 0x0
	s_cmp_ge_i32 s25, s10
	s_barrier
	buffer_gl0_inv
	s_cbranch_scc1 .LBB923_11
.LBB923_5:                              ; =>This Inner Loop Header: Depth=1
	v_add_nc_u32_e32 v2, s25, v15
	v_mov_b32_e32 v0, 0
	v_mov_b32_e32 v1, 0
	s_delay_alu instid0(VALU_DEP_3) | instskip(NEXT) | instid1(VALU_DEP_2)
	v_cmp_gt_i32_e64 s1, s10, v2
	v_dual_mov_b32 v5, v1 :: v_dual_mov_b32 v4, v0
	v_dual_mov_b32 v7, v1 :: v_dual_mov_b32 v6, v0
	s_delay_alu instid0(VALU_DEP_3) | instskip(NEXT) | instid1(SALU_CYCLE_1)
	s_and_b32 s1, vcc_lo, s1
	s_and_saveexec_b32 s12, s1
	s_cbranch_execz .LBB923_7
; %bb.6:                                ;   in Loop: Header=BB923_5 Depth=1
	v_ashrrev_i32_e32 v3, 31, v2
	s_delay_alu instid0(VALU_DEP_1) | instskip(NEXT) | instid1(VALU_DEP_1)
	v_lshlrev_b64 v[2:3], 4, v[2:3]
	v_add_co_u32 v2, s1, v21, v2
	s_delay_alu instid0(VALU_DEP_1)
	v_add_co_ci_u32_e64 v3, s1, v22, v3, s1
	global_load_b128 v[4:7], v[2:3], off
	s_waitcnt vmcnt(0)
	v_xor_b32_e32 v7, 0x80000000, v7
.LBB923_7:                              ;   in Loop: Header=BB923_5 Depth=1
	s_or_b32 exec_lo, exec_lo, s12
	v_dual_mov_b32 v3, v1 :: v_dual_add_nc_u32 v12, s25, v14
	v_mov_b32_e32 v2, v0
	ds_store_b128 v18, v[4:7]
	v_cmp_gt_i32_e64 s1, s10, v12
	s_delay_alu instid0(VALU_DEP_1) | instskip(NEXT) | instid1(SALU_CYCLE_1)
	s_and_b32 s1, s0, s1
	s_and_saveexec_b32 s12, s1
	s_cbranch_execz .LBB923_9
; %bb.8:                                ;   in Loop: Header=BB923_5 Depth=1
	v_ashrrev_i32_e32 v13, 31, v12
	s_delay_alu instid0(VALU_DEP_1) | instskip(NEXT) | instid1(VALU_DEP_1)
	v_lshlrev_b64 v[0:1], 4, v[12:13]
	v_add_co_u32 v0, s1, v23, v0
	s_delay_alu instid0(VALU_DEP_1)
	v_add_co_ci_u32_e64 v1, s1, v24, v1, s1
	global_load_b128 v[0:3], v[0:1], off
.LBB923_9:                              ;   in Loop: Header=BB923_5 Depth=1
	s_or_b32 exec_lo, exec_lo, s12
	s_waitcnt vmcnt(0)
	ds_store_b128 v20, v[0:3]
	s_waitcnt lgkmcnt(0)
	s_barrier
	buffer_gl0_inv
	s_and_saveexec_b32 s1, s2
	s_cbranch_execz .LBB923_4
; %bb.10:                               ;   in Loop: Header=BB923_5 Depth=1
	ds_load_b128 v[0:3], v19
	ds_load_b128 v[4:7], v17
	ds_load_b128 v[25:28], v17 offset:16
	ds_load_b128 v[29:32], v19 offset:512
	;; [unrolled: 1-line block ×6, first 2 shown]
	s_waitcnt lgkmcnt(6)
	v_mul_f64 v[12:13], v[0:1], v[6:7]
	v_mul_f64 v[6:7], v[2:3], v[6:7]
	s_waitcnt lgkmcnt(4)
	v_mul_f64 v[49:50], v[29:30], v[27:28]
	s_delay_alu instid0(VALU_DEP_3)
	v_fma_f64 v[2:3], v[2:3], v[4:5], v[12:13]
	v_mul_f64 v[12:13], v[31:32], v[27:28]
	s_waitcnt lgkmcnt(2)
	v_mul_f64 v[27:28], v[33:34], v[39:40]
	v_fma_f64 v[0:1], v[0:1], v[4:5], -v[6:7]
	v_fma_f64 v[4:5], v[31:32], v[25:26], v[49:50]
	v_mul_f64 v[39:40], v[35:36], v[39:40]
	s_waitcnt lgkmcnt(0)
	v_mul_f64 v[49:50], v[45:46], v[43:44]
	v_mul_f64 v[43:44], v[47:48], v[43:44]
	v_add_f64 v[2:3], v[2:3], 0
	v_fma_f64 v[12:13], v[29:30], v[25:26], -v[12:13]
	v_fma_f64 v[35:36], v[35:36], v[37:38], v[27:28]
	v_add_f64 v[51:52], v[0:1], 0
	v_fma_f64 v[33:34], v[33:34], v[37:38], -v[39:40]
	v_fma_f64 v[37:38], v[47:48], v[41:42], v[49:50]
	v_add_f64 v[53:54], v[2:3], v[4:5]
	ds_load_b128 v[0:3], v17 offset:64
	ds_load_b128 v[4:7], v19 offset:2048
	ds_load_b128 v[25:28], v19 offset:2560
	ds_load_b128 v[29:32], v17 offset:80
	v_add_f64 v[12:13], v[51:52], v[12:13]
	v_fma_f64 v[51:52], v[45:46], v[41:42], -v[43:44]
	s_waitcnt lgkmcnt(2)
	v_mul_f64 v[55:56], v[4:5], v[2:3]
	v_mul_f64 v[2:3], v[6:7], v[2:3]
	s_waitcnt lgkmcnt(0)
	v_mul_f64 v[49:50], v[25:26], v[31:32]
	v_mul_f64 v[31:32], v[27:28], v[31:32]
	v_add_f64 v[35:36], v[53:54], v[35:36]
	v_add_f64 v[12:13], v[12:13], v[33:34]
	v_fma_f64 v[6:7], v[6:7], v[0:1], v[55:56]
	v_fma_f64 v[0:1], v[4:5], v[0:1], -v[2:3]
	v_fma_f64 v[2:3], v[27:28], v[29:30], v[49:50]
	v_fma_f64 v[49:50], v[25:26], v[29:30], -v[31:32]
	v_add_f64 v[53:54], v[35:36], v[37:38]
	ds_load_b128 v[33:36], v17 offset:96
	ds_load_b128 v[37:40], v19 offset:3072
	ds_load_b128 v[41:44], v19 offset:3584
	ds_load_b128 v[45:48], v17 offset:112
	v_add_f64 v[4:5], v[12:13], v[51:52]
	s_waitcnt lgkmcnt(2)
	v_mul_f64 v[55:56], v[37:38], v[35:36]
	v_mul_f64 v[12:13], v[39:40], v[35:36]
	s_waitcnt lgkmcnt(0)
	v_mul_f64 v[35:36], v[41:42], v[47:48]
	v_mul_f64 v[47:48], v[43:44], v[47:48]
	v_add_f64 v[6:7], v[53:54], v[6:7]
	v_add_f64 v[51:52], v[4:5], v[0:1]
	v_fma_f64 v[39:40], v[39:40], v[33:34], v[55:56]
	v_fma_f64 v[12:13], v[37:38], v[33:34], -v[12:13]
	v_fma_f64 v[33:34], v[43:44], v[45:46], v[35:36]
	v_add_f64 v[53:54], v[6:7], v[2:3]
	ds_load_b128 v[0:3], v17 offset:128
	ds_load_b128 v[4:7], v19 offset:4096
	ds_load_b128 v[25:28], v19 offset:4608
	ds_load_b128 v[29:32], v17 offset:144
	v_add_f64 v[35:36], v[51:52], v[49:50]
	v_fma_f64 v[51:52], v[41:42], v[45:46], -v[47:48]
	s_waitcnt lgkmcnt(2)
	v_mul_f64 v[55:56], v[4:5], v[2:3]
	v_mul_f64 v[2:3], v[6:7], v[2:3]
	s_waitcnt lgkmcnt(0)
	v_mul_f64 v[49:50], v[25:26], v[31:32]
	v_mul_f64 v[31:32], v[27:28], v[31:32]
	v_add_f64 v[37:38], v[53:54], v[39:40]
	v_add_f64 v[12:13], v[35:36], v[12:13]
	v_fma_f64 v[6:7], v[6:7], v[0:1], v[55:56]
	v_fma_f64 v[0:1], v[4:5], v[0:1], -v[2:3]
	v_fma_f64 v[2:3], v[27:28], v[29:30], v[49:50]
	v_fma_f64 v[49:50], v[25:26], v[29:30], -v[31:32]
	v_add_f64 v[53:54], v[37:38], v[33:34]
	ds_load_b128 v[33:36], v17 offset:160
	ds_load_b128 v[37:40], v19 offset:5120
	ds_load_b128 v[41:44], v19 offset:5632
	ds_load_b128 v[45:48], v17 offset:176
	v_add_f64 v[4:5], v[12:13], v[51:52]
	s_waitcnt lgkmcnt(2)
	v_mul_f64 v[55:56], v[37:38], v[35:36]
	v_mul_f64 v[12:13], v[39:40], v[35:36]
	s_waitcnt lgkmcnt(0)
	v_mul_f64 v[35:36], v[41:42], v[47:48]
	v_mul_f64 v[47:48], v[43:44], v[47:48]
	v_add_f64 v[6:7], v[53:54], v[6:7]
	v_add_f64 v[51:52], v[4:5], v[0:1]
	v_fma_f64 v[39:40], v[39:40], v[33:34], v[55:56]
	;; [unrolled: 36-line block ×5, first 2 shown]
	v_fma_f64 v[12:13], v[37:38], v[33:34], -v[12:13]
	v_fma_f64 v[33:34], v[43:44], v[45:46], v[35:36]
	v_add_f64 v[53:54], v[6:7], v[2:3]
	ds_load_b128 v[0:3], v17 offset:384
	ds_load_b128 v[4:7], v19 offset:12288
	;; [unrolled: 1-line block ×4, first 2 shown]
	v_add_f64 v[35:36], v[51:52], v[49:50]
	v_fma_f64 v[51:52], v[41:42], v[45:46], -v[47:48]
	s_waitcnt lgkmcnt(2)
	v_mul_f64 v[55:56], v[4:5], v[2:3]
	v_mul_f64 v[2:3], v[6:7], v[2:3]
	s_waitcnt lgkmcnt(0)
	v_mul_f64 v[49:50], v[25:26], v[31:32]
	v_mul_f64 v[31:32], v[27:28], v[31:32]
	v_add_f64 v[37:38], v[53:54], v[39:40]
	v_add_f64 v[12:13], v[35:36], v[12:13]
	v_fma_f64 v[6:7], v[6:7], v[0:1], v[55:56]
	v_fma_f64 v[0:1], v[4:5], v[0:1], -v[2:3]
	v_fma_f64 v[2:3], v[27:28], v[29:30], v[49:50]
	v_add_f64 v[53:54], v[37:38], v[33:34]
	ds_load_b128 v[33:36], v17 offset:416
	ds_load_b128 v[37:40], v19 offset:13312
	;; [unrolled: 1-line block ×4, first 2 shown]
	v_add_f64 v[4:5], v[12:13], v[51:52]
	s_waitcnt lgkmcnt(2)
	v_mul_f64 v[55:56], v[37:38], v[35:36]
	v_mul_f64 v[12:13], v[39:40], v[35:36]
	s_waitcnt lgkmcnt(0)
	v_mul_f64 v[35:36], v[41:42], v[47:48]
	v_mul_f64 v[47:48], v[43:44], v[47:48]
	v_add_f64 v[6:7], v[53:54], v[6:7]
	v_fma_f64 v[53:54], v[25:26], v[29:30], -v[31:32]
	v_fma_f64 v[39:40], v[39:40], v[33:34], v[55:56]
	v_add_f64 v[55:56], v[4:5], v[0:1]
	v_fma_f64 v[12:13], v[37:38], v[33:34], -v[12:13]
	v_fma_f64 v[33:34], v[43:44], v[45:46], v[35:36]
	v_add_f64 v[57:58], v[6:7], v[2:3]
	ds_load_b128 v[0:3], v17 offset:448
	ds_load_b128 v[4:7], v19 offset:14336
	global_load_b128 v[25:28], v[10:11], off
	ds_load_b128 v[29:32], v19 offset:14848
	ds_load_b128 v[49:52], v17 offset:464
	v_add_f64 v[35:36], v[55:56], v[53:54]
	s_waitcnt lgkmcnt(2)
	v_mul_f64 v[59:60], v[4:5], v[2:3]
	v_mul_f64 v[2:3], v[6:7], v[2:3]
	s_waitcnt lgkmcnt(0)
	v_mul_f64 v[53:54], v[29:30], v[51:52]
	v_fma_f64 v[55:56], v[41:42], v[45:46], -v[47:48]
	v_mul_f64 v[51:52], v[31:32], v[51:52]
	v_add_f64 v[37:38], v[57:58], v[39:40]
	v_add_f64 v[12:13], v[35:36], v[12:13]
	v_fma_f64 v[6:7], v[6:7], v[0:1], v[59:60]
	v_fma_f64 v[0:1], v[4:5], v[0:1], -v[2:3]
	v_fma_f64 v[2:3], v[31:32], v[49:50], v[53:54]
	v_fma_f64 v[29:30], v[29:30], v[49:50], -v[51:52]
	v_add_f64 v[57:58], v[37:38], v[33:34]
	ds_load_b128 v[33:36], v17 offset:480
	ds_load_b128 v[37:40], v19 offset:15360
	;; [unrolled: 1-line block ×4, first 2 shown]
	s_waitcnt lgkmcnt(2)
	v_mul_f64 v[59:60], v[37:38], v[35:36]
	v_add_f64 v[4:5], v[12:13], v[55:56]
	v_mul_f64 v[12:13], v[39:40], v[35:36]
	s_waitcnt lgkmcnt(0)
	v_mul_f64 v[31:32], v[41:42], v[47:48]
	v_add_f64 v[6:7], v[57:58], v[6:7]
	v_fma_f64 v[35:36], v[39:40], v[33:34], v[59:60]
	v_add_f64 v[0:1], v[4:5], v[0:1]
	v_mul_f64 v[4:5], v[43:44], v[47:48]
	s_delay_alu instid0(VALU_DEP_4)
	v_add_f64 v[2:3], v[6:7], v[2:3]
	v_fma_f64 v[6:7], v[37:38], v[33:34], -v[12:13]
	v_fma_f64 v[12:13], v[43:44], v[45:46], v[31:32]
	v_add_f64 v[0:1], v[0:1], v[29:30]
	v_fma_f64 v[4:5], v[41:42], v[45:46], -v[4:5]
	v_add_f64 v[2:3], v[2:3], v[35:36]
	s_delay_alu instid0(VALU_DEP_3) | instskip(NEXT) | instid1(VALU_DEP_2)
	v_add_f64 v[0:1], v[0:1], v[6:7]
	v_add_f64 v[2:3], v[2:3], v[12:13]
	s_delay_alu instid0(VALU_DEP_2) | instskip(NEXT) | instid1(VALU_DEP_2)
	v_add_f64 v[0:1], v[0:1], v[4:5]
	v_mul_f64 v[4:5], s[6:7], v[2:3]
	v_mul_f64 v[2:3], s[4:5], v[2:3]
	s_delay_alu instid0(VALU_DEP_2) | instskip(NEXT) | instid1(VALU_DEP_2)
	v_fma_f64 v[4:5], s[4:5], v[0:1], -v[4:5]
	v_fma_f64 v[2:3], s[6:7], v[0:1], v[2:3]
	s_waitcnt vmcnt(0)
	s_delay_alu instid0(VALU_DEP_2) | instskip(NEXT) | instid1(VALU_DEP_2)
	v_add_f64 v[0:1], v[25:26], v[4:5]
	v_add_f64 v[2:3], v[27:28], v[2:3]
	global_store_b128 v[10:11], v[0:3], off
	s_branch .LBB923_4
.LBB923_11:
	v_cmp_eq_u32_e32 vcc_lo, v8, v16
	v_cmp_gt_i32_e64 s0, s9, v8
	s_delay_alu instid0(VALU_DEP_1) | instskip(NEXT) | instid1(SALU_CYCLE_1)
	s_and_b32 s0, vcc_lo, s0
	s_and_saveexec_b32 s1, s0
	s_cbranch_execz .LBB923_13
; %bb.12:
	v_mad_i64_i32 v[0:1], null, s3, v8, 0
	v_lshlrev_b64 v[2:3], 4, v[8:9]
	s_delay_alu instid0(VALU_DEP_2) | instskip(NEXT) | instid1(VALU_DEP_1)
	v_lshlrev_b64 v[0:1], 4, v[0:1]
	v_add_co_u32 v4, vcc_lo, s8, v0
	s_delay_alu instid0(VALU_DEP_2) | instskip(SKIP_1) | instid1(VALU_DEP_3)
	v_add_co_ci_u32_e32 v1, vcc_lo, s11, v1, vcc_lo
	v_mov_b32_e32 v0, 0
	v_add_co_u32 v2, vcc_lo, v4, v2
	s_delay_alu instid0(VALU_DEP_3) | instskip(NEXT) | instid1(VALU_DEP_3)
	v_add_co_ci_u32_e32 v3, vcc_lo, v1, v3, vcc_lo
	v_mov_b32_e32 v1, v0
	global_store_b64 v[2:3], v[0:1], off offset:8
.LBB923_13:
	s_nop 0
	s_sendmsg sendmsg(MSG_DEALLOC_VGPRS)
	s_endpgm
	.section	.rodata,"a",@progbits
	.p2align	6, 0x0
	.amdhsa_kernel _ZL26rocblas_syr2k_her2k_kernelIiLb0ELb1ELb1ELi32EPK19rocblas_complex_numIdEPKS3_PKPS1_EvbiT_T4_T5_S9_lSB_S9_lT6_S9_li
		.amdhsa_group_segment_fixed_size 32768
		.amdhsa_private_segment_fixed_size 0
		.amdhsa_kernarg_size 100
		.amdhsa_user_sgpr_count 13
		.amdhsa_user_sgpr_dispatch_ptr 0
		.amdhsa_user_sgpr_queue_ptr 0
		.amdhsa_user_sgpr_kernarg_segment_ptr 1
		.amdhsa_user_sgpr_dispatch_id 0
		.amdhsa_user_sgpr_private_segment_size 0
		.amdhsa_wavefront_size32 1
		.amdhsa_uses_dynamic_stack 0
		.amdhsa_enable_private_segment 0
		.amdhsa_system_sgpr_workgroup_id_x 1
		.amdhsa_system_sgpr_workgroup_id_y 1
		.amdhsa_system_sgpr_workgroup_id_z 1
		.amdhsa_system_sgpr_workgroup_info 0
		.amdhsa_system_vgpr_workitem_id 1
		.amdhsa_next_free_vgpr 61
		.amdhsa_next_free_sgpr 27
		.amdhsa_reserve_vcc 1
		.amdhsa_float_round_mode_32 0
		.amdhsa_float_round_mode_16_64 0
		.amdhsa_float_denorm_mode_32 3
		.amdhsa_float_denorm_mode_16_64 3
		.amdhsa_dx10_clamp 1
		.amdhsa_ieee_mode 1
		.amdhsa_fp16_overflow 0
		.amdhsa_workgroup_processor_mode 1
		.amdhsa_memory_ordered 1
		.amdhsa_forward_progress 0
		.amdhsa_shared_vgpr_count 0
		.amdhsa_exception_fp_ieee_invalid_op 0
		.amdhsa_exception_fp_denorm_src 0
		.amdhsa_exception_fp_ieee_div_zero 0
		.amdhsa_exception_fp_ieee_overflow 0
		.amdhsa_exception_fp_ieee_underflow 0
		.amdhsa_exception_fp_ieee_inexact 0
		.amdhsa_exception_int_div_zero 0
	.end_amdhsa_kernel
	.section	.text._ZL26rocblas_syr2k_her2k_kernelIiLb0ELb1ELb1ELi32EPK19rocblas_complex_numIdEPKS3_PKPS1_EvbiT_T4_T5_S9_lSB_S9_lT6_S9_li,"axG",@progbits,_ZL26rocblas_syr2k_her2k_kernelIiLb0ELb1ELb1ELi32EPK19rocblas_complex_numIdEPKS3_PKPS1_EvbiT_T4_T5_S9_lSB_S9_lT6_S9_li,comdat
.Lfunc_end923:
	.size	_ZL26rocblas_syr2k_her2k_kernelIiLb0ELb1ELb1ELi32EPK19rocblas_complex_numIdEPKS3_PKPS1_EvbiT_T4_T5_S9_lSB_S9_lT6_S9_li, .Lfunc_end923-_ZL26rocblas_syr2k_her2k_kernelIiLb0ELb1ELb1ELi32EPK19rocblas_complex_numIdEPKS3_PKPS1_EvbiT_T4_T5_S9_lSB_S9_lT6_S9_li
                                        ; -- End function
	.section	.AMDGPU.csdata,"",@progbits
; Kernel info:
; codeLenInByte = 3192
; NumSgprs: 29
; NumVgprs: 61
; ScratchSize: 0
; MemoryBound: 1
; FloatMode: 240
; IeeeMode: 1
; LDSByteSize: 32768 bytes/workgroup (compile time only)
; SGPRBlocks: 3
; VGPRBlocks: 7
; NumSGPRsForWavesPerEU: 29
; NumVGPRsForWavesPerEU: 61
; Occupancy: 16
; WaveLimiterHint : 1
; COMPUTE_PGM_RSRC2:SCRATCH_EN: 0
; COMPUTE_PGM_RSRC2:USER_SGPR: 13
; COMPUTE_PGM_RSRC2:TRAP_HANDLER: 0
; COMPUTE_PGM_RSRC2:TGID_X_EN: 1
; COMPUTE_PGM_RSRC2:TGID_Y_EN: 1
; COMPUTE_PGM_RSRC2:TGID_Z_EN: 1
; COMPUTE_PGM_RSRC2:TIDIG_COMP_CNT: 1
	.section	.text._ZL26rocblas_syr2k_her2k_kernelIlLb0ELb0ELb0ELi32EfPKfPfEvbiT_T4_T5_S3_lS5_S3_lT6_S3_li,"axG",@progbits,_ZL26rocblas_syr2k_her2k_kernelIlLb0ELb0ELb0ELi32EfPKfPfEvbiT_T4_T5_S3_lS5_S3_lT6_S3_li,comdat
	.globl	_ZL26rocblas_syr2k_her2k_kernelIlLb0ELb0ELb0ELi32EfPKfPfEvbiT_T4_T5_S3_lS5_S3_lT6_S3_li ; -- Begin function _ZL26rocblas_syr2k_her2k_kernelIlLb0ELb0ELb0ELi32EfPKfPfEvbiT_T4_T5_S3_lS5_S3_lT6_S3_li
	.p2align	8
	.type	_ZL26rocblas_syr2k_her2k_kernelIlLb0ELb0ELb0ELi32EfPKfPfEvbiT_T4_T5_S3_lS5_S3_lT6_S3_li,@function
_ZL26rocblas_syr2k_her2k_kernelIlLb0ELb0ELb0ELi32EfPKfPfEvbiT_T4_T5_S3_lS5_S3_lT6_S3_li: ; @_ZL26rocblas_syr2k_her2k_kernelIlLb0ELb0ELb0ELi32EfPKfPfEvbiT_T4_T5_S3_lS5_S3_lT6_S3_li
; %bb.0:
	s_load_b32 s10, s[0:1], 0x10
	s_waitcnt lgkmcnt(0)
	v_cmp_eq_f32_e64 s2, s10, 0
	s_delay_alu instid0(VALU_DEP_1)
	s_and_b32 vcc_lo, exec_lo, s2
	s_cbranch_vccnz .LBB924_11
; %bb.1:
	s_load_b64 s[2:3], s[0:1], 0x0
	s_lshl_b32 s6, s14, 5
	s_lshl_b32 s7, s13, 5
	s_waitcnt lgkmcnt(0)
	s_and_b32 s2, 1, s2
	s_delay_alu instid0(SALU_CYCLE_1) | instskip(SKIP_1) | instid1(SALU_CYCLE_1)
	s_cmp_eq_u32 s2, 1
	s_cselect_b32 s2, -1, 0
	s_and_b32 s4, s2, exec_lo
	s_cselect_b32 s4, s7, s6
	s_cselect_b32 s5, s6, s7
	s_delay_alu instid0(SALU_CYCLE_1)
	s_cmp_gt_i32 s4, s5
	s_cbranch_scc1 .LBB924_11
; %bb.2:
	s_load_b64 s[4:5], s[0:1], 0x8
	s_waitcnt lgkmcnt(0)
	v_cmp_lt_i64_e64 s8, s[4:5], 1
	s_delay_alu instid0(VALU_DEP_1)
	s_and_b32 vcc_lo, exec_lo, s8
	s_cbranch_vccnz .LBB924_11
; %bb.3:
	s_clause 0x1
	s_load_b64 s[8:9], s[0:1], 0x58
	s_load_b512 s[16:31], s[0:1], 0x18
	v_bfe_u32 v6, v0, 10, 10
	v_and_b32_e32 v7, 0x3ff, v0
	s_delay_alu instid0(VALU_DEP_2) | instskip(NEXT) | instid1(VALU_DEP_1)
	v_dual_mov_b32 v3, 0 :: v_dual_add_nc_u32 v4, s6, v6
	v_dual_mov_b32 v5, v3 :: v_dual_add_nc_u32 v2, s7, v7
	s_mov_b32 s6, s3
	s_delay_alu instid0(VALU_DEP_2) | instskip(NEXT) | instid1(VALU_DEP_2)
	v_ashrrev_i32_e32 v1, 31, v4
	v_max_i32_e32 v0, v2, v4
	v_cndmask_b32_e64 v11, v2, v4, s2
	v_cndmask_b32_e64 v12, v4, v2, s2
	s_delay_alu instid0(VALU_DEP_3)
	v_cmp_gt_i32_e32 vcc_lo, s3, v0
	s_waitcnt lgkmcnt(0)
	s_mul_i32 s1, s15, s9
	v_mul_lo_u32 v14, v1, s30
	v_mul_lo_u32 v15, v4, s31
	v_mad_u64_u32 v[0:1], null, v4, s30, 0
	s_mul_hi_u32 s2, s15, s8
	s_mul_i32 s0, s15, s8
	s_add_i32 s1, s2, s1
	v_cmp_le_i32_e64 s2, v12, v11
	v_mad_u64_u32 v[16:17], null, s18, v6, 0
	s_delay_alu instid0(VALU_DEP_3) | instskip(SKIP_3) | instid1(VALU_DEP_3)
	v_add3_u32 v1, v1, v15, v14
	v_mov_b32_e32 v14, v2
	v_mad_u64_u32 v[12:13], null, s24, v7, 0
	s_lshl_b64 s[0:1], s[0:1], 2
	v_lshlrev_b64 v[0:1], 2, v[0:1]
	v_ashrrev_i32_e32 v15, 31, v2
	s_add_u32 s8, s28, s0
	s_addc_u32 s9, s29, s1
	s_and_b32 s11, s2, vcc_lo
	s_delay_alu instid0(VALU_DEP_3)
	v_mad_u64_u32 v[18:19], null, s25, v7, v[13:14]
	v_lshlrev_b32_e32 v10, 2, v6
	v_add_co_u32 v19, vcc_lo, s8, v0
	v_add_co_ci_u32_e32 v20, vcc_lo, s9, v1, vcc_lo
	v_lshlrev_b64 v[0:1], 2, v[14:15]
	v_mov_b32_e32 v13, v18
	v_or_b32_e32 v9, 0x1000, v10
	v_mov_b32_e32 v14, v17
	s_ashr_i32 s7, s3, 31
	s_mul_i32 s2, s27, s15
	s_mul_hi_u32 s3, s26, s15
	v_lshlrev_b64 v[12:13], 2, v[12:13]
	v_mad_u64_u32 v[17:18], null, s19, v6, v[14:15]
	s_add_i32 s3, s3, s2
	s_mul_i32 s2, s26, s15
	v_add_co_u32 v0, vcc_lo, v19, v0
	s_lshl_b64 s[2:3], s[2:3], 2
	v_add_co_ci_u32_e32 v1, vcc_lo, v20, v1, vcc_lo
	v_add_co_u32 v14, vcc_lo, s2, v12
	v_add_co_ci_u32_e32 v15, vcc_lo, s3, v13, vcc_lo
	s_mul_i32 s2, s21, s15
	s_mul_hi_u32 s3, s20, s15
	v_lshlrev_b64 v[12:13], 2, v[16:17]
	s_add_i32 s3, s3, s2
	s_mul_i32 s2, s20, s15
	v_cmp_gt_i64_e64 s1, s[6:7], v[4:5]
	v_lshlrev_b64 v[4:5], 2, v[4:5]
	s_lshl_b64 s[2:3], s[2:3], 2
	v_cmp_gt_i64_e64 s0, s[6:7], v[2:3]
	v_add_co_u32 v12, vcc_lo, s2, v12
	v_lshlrev_b64 v[2:3], 2, v[2:3]
	v_add_co_ci_u32_e32 v13, vcc_lo, s3, v13, vcc_lo
	v_add_co_u32 v4, vcc_lo, v14, v4
	v_add_co_ci_u32_e32 v5, vcc_lo, v15, v5, vcc_lo
	s_delay_alu instid0(VALU_DEP_4) | instskip(NEXT) | instid1(VALU_DEP_4)
	v_add_co_u32 v12, vcc_lo, v12, v2
	v_add_co_ci_u32_e32 v13, vcc_lo, v13, v3, vcc_lo
	v_lshlrev_b32_e32 v8, 7, v7
	v_add_co_u32 v2, vcc_lo, s22, v4
	v_add_co_ci_u32_e32 v3, vcc_lo, s23, v5, vcc_lo
	v_add_co_u32 v4, vcc_lo, s16, v12
	s_delay_alu instid0(VALU_DEP_4)
	v_add_nc_u32_e32 v10, v8, v10
	v_add_nc_u32_e32 v11, v9, v8
	v_add_co_ci_u32_e32 v5, vcc_lo, s17, v13, vcc_lo
	v_add_nc_u32_e32 v13, 0x800, v9
	v_add_nc_u32_e32 v12, 0x400, v9
	;; [unrolled: 1-line block ×3, first 2 shown]
	s_lshl_b64 s[2:3], s[24:25], 7
	s_lshl_b64 s[6:7], s[18:19], 7
	s_mov_b64 s[8:9], 0
	s_branch .LBB924_5
.LBB924_4:                              ;   in Loop: Header=BB924_5 Depth=1
	s_or_b32 exec_lo, exec_lo, s12
	s_add_u32 s8, s8, 32
	s_addc_u32 s9, s9, 0
	v_add_co_u32 v2, vcc_lo, v2, s2
	v_cmp_lt_i64_e64 s12, s[8:9], s[4:5]
	v_add_co_ci_u32_e32 v3, vcc_lo, s3, v3, vcc_lo
	v_add_co_u32 v4, vcc_lo, v4, s6
	v_add_co_ci_u32_e32 v5, vcc_lo, s7, v5, vcc_lo
	s_delay_alu instid0(VALU_DEP_4)
	s_and_b32 vcc_lo, exec_lo, s12
	s_waitcnt_vscnt null, 0x0
	s_barrier
	buffer_gl0_inv
	s_cbranch_vccz .LBB924_11
.LBB924_5:                              ; =>This Inner Loop Header: Depth=1
	v_add_co_u32 v15, s12, v6, s8
	s_delay_alu instid0(VALU_DEP_1) | instskip(NEXT) | instid1(VALU_DEP_1)
	v_add_co_ci_u32_e64 v16, null, 0, s9, s12
	v_cmp_gt_i64_e32 vcc_lo, s[4:5], v[15:16]
	v_mov_b32_e32 v15, 0
	s_and_b32 s13, s0, vcc_lo
	s_delay_alu instid0(SALU_CYCLE_1)
	s_and_saveexec_b32 s12, s13
	s_cbranch_execz .LBB924_7
; %bb.6:                                ;   in Loop: Header=BB924_5 Depth=1
	global_load_b32 v15, v[4:5], off
.LBB924_7:                              ;   in Loop: Header=BB924_5 Depth=1
	s_or_b32 exec_lo, exec_lo, s12
	v_add_co_u32 v16, s12, v7, s8
	s_delay_alu instid0(VALU_DEP_1)
	v_add_co_ci_u32_e64 v17, null, 0, s9, s12
	s_waitcnt vmcnt(0)
	ds_store_b32 v10, v15
	v_cmp_gt_i64_e32 vcc_lo, s[4:5], v[16:17]
	v_mov_b32_e32 v16, 0
	s_and_b32 s13, s1, vcc_lo
	s_delay_alu instid0(SALU_CYCLE_1)
	s_and_saveexec_b32 s12, s13
	s_cbranch_execz .LBB924_9
; %bb.8:                                ;   in Loop: Header=BB924_5 Depth=1
	global_load_b32 v16, v[2:3], off
.LBB924_9:                              ;   in Loop: Header=BB924_5 Depth=1
	s_or_b32 exec_lo, exec_lo, s12
	s_waitcnt vmcnt(0)
	ds_store_b32 v11, v16
	s_waitcnt lgkmcnt(0)
	s_barrier
	buffer_gl0_inv
	s_and_saveexec_b32 s12, s11
	s_cbranch_execz .LBB924_4
; %bb.10:                               ;   in Loop: Header=BB924_5 Depth=1
	global_load_b32 v29, v[0:1], off
	ds_load_2addr_b32 v[23:24], v9 offset1:32
	ds_load_b128 v[15:18], v8
	ds_load_2addr_b32 v[25:26], v9 offset0:64 offset1:96
	ds_load_b128 v[19:22], v8 offset:16
	ds_load_2addr_b32 v[27:28], v9 offset0:128 offset1:160
	s_waitcnt lgkmcnt(3)
	v_fma_f32 v30, v15, v23, 0
	s_delay_alu instid0(VALU_DEP_1) | instskip(SKIP_3) | instid1(VALU_DEP_1)
	v_fmac_f32_e32 v30, v16, v24
	ds_load_2addr_b32 v[23:24], v9 offset0:192 offset1:224
	s_waitcnt lgkmcnt(3)
	v_fmac_f32_e32 v30, v17, v25
	v_fmac_f32_e32 v30, v18, v26
	ds_load_2addr_b32 v[25:26], v12 offset1:32
	ds_load_b128 v[15:18], v8 offset:32
	s_waitcnt lgkmcnt(3)
	v_fmac_f32_e32 v30, v19, v27
	s_delay_alu instid0(VALU_DEP_1) | instskip(SKIP_3) | instid1(VALU_DEP_1)
	v_fmac_f32_e32 v30, v20, v28
	ds_load_2addr_b32 v[27:28], v12 offset0:64 offset1:96
	s_waitcnt lgkmcnt(3)
	v_fmac_f32_e32 v30, v21, v23
	v_fmac_f32_e32 v30, v22, v24
	ds_load_b128 v[19:22], v8 offset:48
	ds_load_2addr_b32 v[23:24], v12 offset0:128 offset1:160
	s_waitcnt lgkmcnt(3)
	v_fmac_f32_e32 v30, v15, v25
	s_delay_alu instid0(VALU_DEP_1) | instskip(SKIP_3) | instid1(VALU_DEP_1)
	v_fmac_f32_e32 v30, v16, v26
	ds_load_2addr_b32 v[25:26], v12 offset0:192 offset1:224
	s_waitcnt lgkmcnt(3)
	v_fmac_f32_e32 v30, v17, v27
	v_fmac_f32_e32 v30, v18, v28
	ds_load_2addr_b32 v[27:28], v13 offset1:32
	ds_load_b128 v[15:18], v8 offset:64
	s_waitcnt lgkmcnt(3)
	v_fmac_f32_e32 v30, v19, v23
	s_delay_alu instid0(VALU_DEP_1) | instskip(SKIP_3) | instid1(VALU_DEP_1)
	v_fmac_f32_e32 v30, v20, v24
	ds_load_2addr_b32 v[23:24], v13 offset0:64 offset1:96
	s_waitcnt lgkmcnt(3)
	v_fmac_f32_e32 v30, v21, v25
	v_fmac_f32_e32 v30, v22, v26
	ds_load_b128 v[19:22], v8 offset:80
	ds_load_2addr_b32 v[25:26], v13 offset0:128 offset1:160
	s_waitcnt lgkmcnt(3)
	v_fmac_f32_e32 v30, v15, v27
	;; [unrolled: 20-line block ×3, first 2 shown]
	s_delay_alu instid0(VALU_DEP_1) | instskip(SKIP_3) | instid1(VALU_DEP_1)
	v_fmac_f32_e32 v30, v16, v24
	ds_load_2addr_b32 v[15:16], v14 offset0:192 offset1:224
	s_waitcnt lgkmcnt(3)
	v_fmac_f32_e32 v30, v17, v25
	v_fmac_f32_e32 v30, v18, v26
	s_waitcnt lgkmcnt(1)
	s_delay_alu instid0(VALU_DEP_1) | instskip(NEXT) | instid1(VALU_DEP_1)
	v_fmac_f32_e32 v30, v19, v27
	v_fmac_f32_e32 v30, v20, v28
	s_waitcnt lgkmcnt(0)
	s_delay_alu instid0(VALU_DEP_1) | instskip(NEXT) | instid1(VALU_DEP_1)
	v_fmac_f32_e32 v30, v21, v15
	v_fmac_f32_e32 v30, v22, v16
	s_waitcnt vmcnt(0)
	s_delay_alu instid0(VALU_DEP_1)
	v_fmac_f32_e32 v29, s10, v30
	global_store_b32 v[0:1], v29, off
	s_branch .LBB924_4
.LBB924_11:
	s_endpgm
	.section	.rodata,"a",@progbits
	.p2align	6, 0x0
	.amdhsa_kernel _ZL26rocblas_syr2k_her2k_kernelIlLb0ELb0ELb0ELi32EfPKfPfEvbiT_T4_T5_S3_lS5_S3_lT6_S3_li
		.amdhsa_group_segment_fixed_size 8192
		.amdhsa_private_segment_fixed_size 0
		.amdhsa_kernarg_size 100
		.amdhsa_user_sgpr_count 13
		.amdhsa_user_sgpr_dispatch_ptr 0
		.amdhsa_user_sgpr_queue_ptr 0
		.amdhsa_user_sgpr_kernarg_segment_ptr 1
		.amdhsa_user_sgpr_dispatch_id 0
		.amdhsa_user_sgpr_private_segment_size 0
		.amdhsa_wavefront_size32 1
		.amdhsa_uses_dynamic_stack 0
		.amdhsa_enable_private_segment 0
		.amdhsa_system_sgpr_workgroup_id_x 1
		.amdhsa_system_sgpr_workgroup_id_y 1
		.amdhsa_system_sgpr_workgroup_id_z 1
		.amdhsa_system_sgpr_workgroup_info 0
		.amdhsa_system_vgpr_workitem_id 1
		.amdhsa_next_free_vgpr 31
		.amdhsa_next_free_sgpr 32
		.amdhsa_reserve_vcc 1
		.amdhsa_float_round_mode_32 0
		.amdhsa_float_round_mode_16_64 0
		.amdhsa_float_denorm_mode_32 3
		.amdhsa_float_denorm_mode_16_64 3
		.amdhsa_dx10_clamp 1
		.amdhsa_ieee_mode 1
		.amdhsa_fp16_overflow 0
		.amdhsa_workgroup_processor_mode 1
		.amdhsa_memory_ordered 1
		.amdhsa_forward_progress 0
		.amdhsa_shared_vgpr_count 0
		.amdhsa_exception_fp_ieee_invalid_op 0
		.amdhsa_exception_fp_denorm_src 0
		.amdhsa_exception_fp_ieee_div_zero 0
		.amdhsa_exception_fp_ieee_overflow 0
		.amdhsa_exception_fp_ieee_underflow 0
		.amdhsa_exception_fp_ieee_inexact 0
		.amdhsa_exception_int_div_zero 0
	.end_amdhsa_kernel
	.section	.text._ZL26rocblas_syr2k_her2k_kernelIlLb0ELb0ELb0ELi32EfPKfPfEvbiT_T4_T5_S3_lS5_S3_lT6_S3_li,"axG",@progbits,_ZL26rocblas_syr2k_her2k_kernelIlLb0ELb0ELb0ELi32EfPKfPfEvbiT_T4_T5_S3_lS5_S3_lT6_S3_li,comdat
.Lfunc_end924:
	.size	_ZL26rocblas_syr2k_her2k_kernelIlLb0ELb0ELb0ELi32EfPKfPfEvbiT_T4_T5_S3_lS5_S3_lT6_S3_li, .Lfunc_end924-_ZL26rocblas_syr2k_her2k_kernelIlLb0ELb0ELb0ELi32EfPKfPfEvbiT_T4_T5_S3_lS5_S3_lT6_S3_li
                                        ; -- End function
	.section	.AMDGPU.csdata,"",@progbits
; Kernel info:
; codeLenInByte = 1320
; NumSgprs: 34
; NumVgprs: 31
; ScratchSize: 0
; MemoryBound: 0
; FloatMode: 240
; IeeeMode: 1
; LDSByteSize: 8192 bytes/workgroup (compile time only)
; SGPRBlocks: 4
; VGPRBlocks: 3
; NumSGPRsForWavesPerEU: 34
; NumVGPRsForWavesPerEU: 31
; Occupancy: 16
; WaveLimiterHint : 0
; COMPUTE_PGM_RSRC2:SCRATCH_EN: 0
; COMPUTE_PGM_RSRC2:USER_SGPR: 13
; COMPUTE_PGM_RSRC2:TRAP_HANDLER: 0
; COMPUTE_PGM_RSRC2:TGID_X_EN: 1
; COMPUTE_PGM_RSRC2:TGID_Y_EN: 1
; COMPUTE_PGM_RSRC2:TGID_Z_EN: 1
; COMPUTE_PGM_RSRC2:TIDIG_COMP_CNT: 1
	.section	.text._ZL26rocblas_syr2k_her2k_kernelIlLb0ELb0ELb1ELi32EfPKfPfEvbiT_T4_T5_S3_lS5_S3_lT6_S3_li,"axG",@progbits,_ZL26rocblas_syr2k_her2k_kernelIlLb0ELb0ELb1ELi32EfPKfPfEvbiT_T4_T5_S3_lS5_S3_lT6_S3_li,comdat
	.globl	_ZL26rocblas_syr2k_her2k_kernelIlLb0ELb0ELb1ELi32EfPKfPfEvbiT_T4_T5_S3_lS5_S3_lT6_S3_li ; -- Begin function _ZL26rocblas_syr2k_her2k_kernelIlLb0ELb0ELb1ELi32EfPKfPfEvbiT_T4_T5_S3_lS5_S3_lT6_S3_li
	.p2align	8
	.type	_ZL26rocblas_syr2k_her2k_kernelIlLb0ELb0ELb1ELi32EfPKfPfEvbiT_T4_T5_S3_lS5_S3_lT6_S3_li,@function
_ZL26rocblas_syr2k_her2k_kernelIlLb0ELb0ELb1ELi32EfPKfPfEvbiT_T4_T5_S3_lS5_S3_lT6_S3_li: ; @_ZL26rocblas_syr2k_her2k_kernelIlLb0ELb0ELb1ELi32EfPKfPfEvbiT_T4_T5_S3_lS5_S3_lT6_S3_li
; %bb.0:
	s_load_b32 s6, s[0:1], 0x10
	s_waitcnt lgkmcnt(0)
	v_cmp_eq_f32_e64 s2, s6, 0
	s_delay_alu instid0(VALU_DEP_1)
	s_and_b32 vcc_lo, exec_lo, s2
	s_cbranch_vccnz .LBB925_11
; %bb.1:
	s_load_b64 s[2:3], s[0:1], 0x0
	s_lshl_b32 s7, s14, 5
	s_lshl_b32 s8, s13, 5
	s_waitcnt lgkmcnt(0)
	s_and_b32 s2, 1, s2
	s_delay_alu instid0(SALU_CYCLE_1) | instskip(SKIP_1) | instid1(SALU_CYCLE_1)
	s_cmp_eq_u32 s2, 1
	s_cselect_b32 s2, -1, 0
	s_and_b32 s4, s2, exec_lo
	s_cselect_b32 s4, s8, s7
	s_cselect_b32 s5, s7, s8
	s_delay_alu instid0(SALU_CYCLE_1)
	s_cmp_gt_i32 s4, s5
	s_cbranch_scc1 .LBB925_11
; %bb.2:
	s_load_b64 s[4:5], s[0:1], 0x8
	s_waitcnt lgkmcnt(0)
	v_cmp_lt_i64_e64 s9, s[4:5], 1
	s_delay_alu instid0(VALU_DEP_1)
	s_and_b32 vcc_lo, exec_lo, s9
	s_cbranch_vccnz .LBB925_11
; %bb.3:
	s_clause 0x1
	s_load_b64 s[10:11], s[0:1], 0x58
	s_load_b512 s[16:31], s[0:1], 0x18
	v_bfe_u32 v6, v0, 10, 10
	v_mov_b32_e32 v1, 0
	v_and_b32_e32 v7, 0x3ff, v0
	s_delay_alu instid0(VALU_DEP_2) | instskip(NEXT) | instid1(VALU_DEP_2)
	v_dual_mov_b32 v3, v1 :: v_dual_add_nc_u32 v2, s7, v6
	v_add_nc_u32_e32 v0, s8, v7
	s_mov_b32 s8, s3
	s_delay_alu instid0(VALU_DEP_2) | instskip(NEXT) | instid1(VALU_DEP_2)
	v_ashrrev_i32_e32 v4, 31, v2
	v_cndmask_b32_e64 v14, v0, v2, s2
	v_cndmask_b32_e64 v15, v2, v0, s2
	v_max_i32_e32 v19, v0, v2
	s_waitcnt lgkmcnt(0)
	s_mul_i32 s1, s15, s11
	v_mul_lo_u32 v16, v4, s30
	v_mul_lo_u32 v17, v2, s31
	v_mad_u64_u32 v[4:5], null, v2, s30, 0
	s_mul_hi_u32 s2, s15, s10
	v_mad_u64_u32 v[12:13], null, s24, v2, 0
	s_mul_i32 s0, s15, s10
	s_add_i32 s1, s2, s1
	v_lshlrev_b32_e32 v18, 2, v6
	s_delay_alu instid0(VALU_DEP_3)
	v_add3_u32 v5, v5, v17, v16
	s_lshl_b64 s[0:1], s[0:1], 2
	v_cmp_le_i32_e64 s2, v15, v14
	s_add_u32 s7, s28, s0
	s_addc_u32 s10, s29, s1
	s_ashr_i32 s9, s3, 31
	v_lshlrev_b64 v[4:5], 2, v[4:5]
	v_cmp_gt_i64_e64 s1, s[8:9], v[2:3]
	v_mov_b32_e32 v3, v13
	v_mad_u64_u32 v[14:15], null, s18, v0, 0
	v_lshlrev_b32_e32 v8, 7, v7
	v_cmp_gt_i64_e64 s0, s[8:9], v[0:1]
	s_delay_alu instid0(VALU_DEP_4) | instskip(SKIP_4) | instid1(VALU_DEP_1)
	v_mad_u64_u32 v[16:17], null, s25, v2, v[3:4]
	v_ashrrev_i32_e32 v1, 31, v0
	v_cmp_gt_i32_e32 vcc_lo, s3, v19
	v_mov_b32_e32 v3, v15
	v_add_co_u32 v17, s3, s7, v4
	v_add_co_ci_u32_e64 v19, s3, s10, v5, s3
	v_mov_b32_e32 v13, v16
	s_delay_alu instid0(VALU_DEP_4)
	v_mad_u64_u32 v[4:5], null, s19, v0, v[3:4]
	v_lshlrev_b64 v[1:2], 2, v[0:1]
	s_mul_i32 s3, s27, s15
	s_mul_hi_u32 s7, s26, s15
	v_lshlrev_b64 v[12:13], 2, v[12:13]
	s_add_i32 s9, s7, s3
	s_mul_i32 s8, s26, s15
	v_add_co_u32 v0, s3, v17, v1
	v_or_b32_e32 v9, 0x1000, v18
	s_lshl_b64 s[8:9], s[8:9], 2
	v_mov_b32_e32 v15, v4
	v_add_co_ci_u32_e64 v1, s3, v19, v2, s3
	v_add_co_u32 v4, s3, s8, v12
	s_delay_alu instid0(VALU_DEP_1)
	v_add_co_ci_u32_e64 v5, s3, s9, v13, s3
	s_mul_i32 s3, s21, s15
	s_mul_hi_u32 s7, s20, s15
	v_lshlrev_b64 v[2:3], 2, v[14:15]
	s_add_i32 s9, s7, s3
	s_mul_i32 s8, s20, s15
	v_lshlrev_b32_e32 v12, 2, v7
	s_lshl_b64 s[8:9], s[8:9], 2
	v_add_nc_u32_e32 v10, v8, v18
	v_add_co_u32 v2, s3, s8, v2
	s_delay_alu instid0(VALU_DEP_1) | instskip(SKIP_1) | instid1(VALU_DEP_1)
	v_add_co_ci_u32_e64 v3, s3, s9, v3, s3
	v_add_co_u32 v4, s3, v4, v12
	v_add_co_ci_u32_e64 v5, s3, 0, v5, s3
	s_delay_alu instid0(VALU_DEP_4) | instskip(NEXT) | instid1(VALU_DEP_1)
	v_add_co_u32 v12, s3, v2, v18
	v_add_co_ci_u32_e64 v13, s3, 0, v3, s3
	s_delay_alu instid0(VALU_DEP_4) | instskip(NEXT) | instid1(VALU_DEP_1)
	v_add_co_u32 v2, s3, s22, v4
	v_add_co_ci_u32_e64 v3, s3, s23, v5, s3
	s_delay_alu instid0(VALU_DEP_4)
	v_add_co_u32 v4, s3, s16, v12
	v_add_nc_u32_e32 v12, 0x400, v9
	v_add_nc_u32_e32 v11, v9, v8
	v_add_co_ci_u32_e64 v5, s3, s17, v13, s3
	v_add_nc_u32_e32 v13, 0x800, v9
	v_add_nc_u32_e32 v14, 0xc00, v9
	s_and_b32 s7, s2, vcc_lo
	s_mov_b64 s[2:3], 0
	s_branch .LBB925_5
.LBB925_4:                              ;   in Loop: Header=BB925_5 Depth=1
	s_or_b32 exec_lo, exec_lo, s8
	s_add_u32 s2, s2, 32
	s_addc_u32 s3, s3, 0
	v_add_co_u32 v2, vcc_lo, 0x80, v2
	v_cmp_lt_i64_e64 s8, s[2:3], s[4:5]
	v_add_co_ci_u32_e32 v3, vcc_lo, 0, v3, vcc_lo
	v_add_co_u32 v4, vcc_lo, 0x80, v4
	v_add_co_ci_u32_e32 v5, vcc_lo, 0, v5, vcc_lo
	s_delay_alu instid0(VALU_DEP_4)
	s_and_b32 vcc_lo, exec_lo, s8
	s_waitcnt_vscnt null, 0x0
	s_barrier
	buffer_gl0_inv
	s_cbranch_vccz .LBB925_11
.LBB925_5:                              ; =>This Inner Loop Header: Depth=1
	v_add_co_u32 v15, s8, v6, s2
	s_delay_alu instid0(VALU_DEP_1) | instskip(NEXT) | instid1(VALU_DEP_1)
	v_add_co_ci_u32_e64 v16, null, 0, s3, s8
	v_cmp_gt_i64_e32 vcc_lo, s[4:5], v[15:16]
	v_mov_b32_e32 v15, 0
	s_and_b32 s9, s0, vcc_lo
	s_delay_alu instid0(SALU_CYCLE_1)
	s_and_saveexec_b32 s8, s9
	s_cbranch_execz .LBB925_7
; %bb.6:                                ;   in Loop: Header=BB925_5 Depth=1
	global_load_b32 v15, v[4:5], off
.LBB925_7:                              ;   in Loop: Header=BB925_5 Depth=1
	s_or_b32 exec_lo, exec_lo, s8
	v_add_co_u32 v16, s8, v7, s2
	s_delay_alu instid0(VALU_DEP_1)
	v_add_co_ci_u32_e64 v17, null, 0, s3, s8
	s_waitcnt vmcnt(0)
	ds_store_b32 v10, v15
	v_cmp_gt_i64_e32 vcc_lo, s[4:5], v[16:17]
	v_mov_b32_e32 v16, 0
	s_and_b32 s9, s1, vcc_lo
	s_delay_alu instid0(SALU_CYCLE_1)
	s_and_saveexec_b32 s8, s9
	s_cbranch_execz .LBB925_9
; %bb.8:                                ;   in Loop: Header=BB925_5 Depth=1
	global_load_b32 v16, v[2:3], off
.LBB925_9:                              ;   in Loop: Header=BB925_5 Depth=1
	s_or_b32 exec_lo, exec_lo, s8
	s_waitcnt vmcnt(0)
	ds_store_b32 v11, v16
	s_waitcnt lgkmcnt(0)
	s_barrier
	buffer_gl0_inv
	s_and_saveexec_b32 s8, s7
	s_cbranch_execz .LBB925_4
; %bb.10:                               ;   in Loop: Header=BB925_5 Depth=1
	global_load_b32 v29, v[0:1], off
	ds_load_2addr_b32 v[23:24], v9 offset1:32
	ds_load_b128 v[15:18], v8
	ds_load_2addr_b32 v[25:26], v9 offset0:64 offset1:96
	ds_load_b128 v[19:22], v8 offset:16
	ds_load_2addr_b32 v[27:28], v9 offset0:128 offset1:160
	s_waitcnt lgkmcnt(3)
	v_fma_f32 v30, v15, v23, 0
	s_delay_alu instid0(VALU_DEP_1) | instskip(SKIP_3) | instid1(VALU_DEP_1)
	v_fmac_f32_e32 v30, v16, v24
	ds_load_2addr_b32 v[23:24], v9 offset0:192 offset1:224
	s_waitcnt lgkmcnt(3)
	v_fmac_f32_e32 v30, v17, v25
	v_fmac_f32_e32 v30, v18, v26
	ds_load_2addr_b32 v[25:26], v12 offset1:32
	ds_load_b128 v[15:18], v8 offset:32
	s_waitcnt lgkmcnt(3)
	v_fmac_f32_e32 v30, v19, v27
	s_delay_alu instid0(VALU_DEP_1) | instskip(SKIP_3) | instid1(VALU_DEP_1)
	v_fmac_f32_e32 v30, v20, v28
	ds_load_2addr_b32 v[27:28], v12 offset0:64 offset1:96
	s_waitcnt lgkmcnt(3)
	v_fmac_f32_e32 v30, v21, v23
	v_fmac_f32_e32 v30, v22, v24
	ds_load_b128 v[19:22], v8 offset:48
	ds_load_2addr_b32 v[23:24], v12 offset0:128 offset1:160
	s_waitcnt lgkmcnt(3)
	v_fmac_f32_e32 v30, v15, v25
	s_delay_alu instid0(VALU_DEP_1) | instskip(SKIP_3) | instid1(VALU_DEP_1)
	v_fmac_f32_e32 v30, v16, v26
	ds_load_2addr_b32 v[25:26], v12 offset0:192 offset1:224
	s_waitcnt lgkmcnt(3)
	v_fmac_f32_e32 v30, v17, v27
	v_fmac_f32_e32 v30, v18, v28
	ds_load_2addr_b32 v[27:28], v13 offset1:32
	ds_load_b128 v[15:18], v8 offset:64
	s_waitcnt lgkmcnt(3)
	v_fmac_f32_e32 v30, v19, v23
	s_delay_alu instid0(VALU_DEP_1) | instskip(SKIP_3) | instid1(VALU_DEP_1)
	v_fmac_f32_e32 v30, v20, v24
	ds_load_2addr_b32 v[23:24], v13 offset0:64 offset1:96
	s_waitcnt lgkmcnt(3)
	v_fmac_f32_e32 v30, v21, v25
	v_fmac_f32_e32 v30, v22, v26
	ds_load_b128 v[19:22], v8 offset:80
	ds_load_2addr_b32 v[25:26], v13 offset0:128 offset1:160
	s_waitcnt lgkmcnt(3)
	v_fmac_f32_e32 v30, v15, v27
	;; [unrolled: 20-line block ×3, first 2 shown]
	s_delay_alu instid0(VALU_DEP_1) | instskip(SKIP_3) | instid1(VALU_DEP_1)
	v_fmac_f32_e32 v30, v16, v24
	ds_load_2addr_b32 v[15:16], v14 offset0:192 offset1:224
	s_waitcnt lgkmcnt(3)
	v_fmac_f32_e32 v30, v17, v25
	v_fmac_f32_e32 v30, v18, v26
	s_waitcnt lgkmcnt(1)
	s_delay_alu instid0(VALU_DEP_1) | instskip(NEXT) | instid1(VALU_DEP_1)
	v_fmac_f32_e32 v30, v19, v27
	v_fmac_f32_e32 v30, v20, v28
	s_waitcnt lgkmcnt(0)
	s_delay_alu instid0(VALU_DEP_1) | instskip(NEXT) | instid1(VALU_DEP_1)
	v_fmac_f32_e32 v30, v21, v15
	v_fmac_f32_e32 v30, v22, v16
	s_waitcnt vmcnt(0)
	s_delay_alu instid0(VALU_DEP_1)
	v_fmac_f32_e32 v29, s6, v30
	global_store_b32 v[0:1], v29, off
	s_branch .LBB925_4
.LBB925_11:
	s_endpgm
	.section	.rodata,"a",@progbits
	.p2align	6, 0x0
	.amdhsa_kernel _ZL26rocblas_syr2k_her2k_kernelIlLb0ELb0ELb1ELi32EfPKfPfEvbiT_T4_T5_S3_lS5_S3_lT6_S3_li
		.amdhsa_group_segment_fixed_size 8192
		.amdhsa_private_segment_fixed_size 0
		.amdhsa_kernarg_size 100
		.amdhsa_user_sgpr_count 13
		.amdhsa_user_sgpr_dispatch_ptr 0
		.amdhsa_user_sgpr_queue_ptr 0
		.amdhsa_user_sgpr_kernarg_segment_ptr 1
		.amdhsa_user_sgpr_dispatch_id 0
		.amdhsa_user_sgpr_private_segment_size 0
		.amdhsa_wavefront_size32 1
		.amdhsa_uses_dynamic_stack 0
		.amdhsa_enable_private_segment 0
		.amdhsa_system_sgpr_workgroup_id_x 1
		.amdhsa_system_sgpr_workgroup_id_y 1
		.amdhsa_system_sgpr_workgroup_id_z 1
		.amdhsa_system_sgpr_workgroup_info 0
		.amdhsa_system_vgpr_workitem_id 1
		.amdhsa_next_free_vgpr 31
		.amdhsa_next_free_sgpr 32
		.amdhsa_reserve_vcc 1
		.amdhsa_float_round_mode_32 0
		.amdhsa_float_round_mode_16_64 0
		.amdhsa_float_denorm_mode_32 3
		.amdhsa_float_denorm_mode_16_64 3
		.amdhsa_dx10_clamp 1
		.amdhsa_ieee_mode 1
		.amdhsa_fp16_overflow 0
		.amdhsa_workgroup_processor_mode 1
		.amdhsa_memory_ordered 1
		.amdhsa_forward_progress 0
		.amdhsa_shared_vgpr_count 0
		.amdhsa_exception_fp_ieee_invalid_op 0
		.amdhsa_exception_fp_denorm_src 0
		.amdhsa_exception_fp_ieee_div_zero 0
		.amdhsa_exception_fp_ieee_overflow 0
		.amdhsa_exception_fp_ieee_underflow 0
		.amdhsa_exception_fp_ieee_inexact 0
		.amdhsa_exception_int_div_zero 0
	.end_amdhsa_kernel
	.section	.text._ZL26rocblas_syr2k_her2k_kernelIlLb0ELb0ELb1ELi32EfPKfPfEvbiT_T4_T5_S3_lS5_S3_lT6_S3_li,"axG",@progbits,_ZL26rocblas_syr2k_her2k_kernelIlLb0ELb0ELb1ELi32EfPKfPfEvbiT_T4_T5_S3_lS5_S3_lT6_S3_li,comdat
.Lfunc_end925:
	.size	_ZL26rocblas_syr2k_her2k_kernelIlLb0ELb0ELb1ELi32EfPKfPfEvbiT_T4_T5_S3_lS5_S3_lT6_S3_li, .Lfunc_end925-_ZL26rocblas_syr2k_her2k_kernelIlLb0ELb0ELb1ELi32EfPKfPfEvbiT_T4_T5_S3_lS5_S3_lT6_S3_li
                                        ; -- End function
	.section	.AMDGPU.csdata,"",@progbits
; Kernel info:
; codeLenInByte = 1356
; NumSgprs: 34
; NumVgprs: 31
; ScratchSize: 0
; MemoryBound: 0
; FloatMode: 240
; IeeeMode: 1
; LDSByteSize: 8192 bytes/workgroup (compile time only)
; SGPRBlocks: 4
; VGPRBlocks: 3
; NumSGPRsForWavesPerEU: 34
; NumVGPRsForWavesPerEU: 31
; Occupancy: 16
; WaveLimiterHint : 0
; COMPUTE_PGM_RSRC2:SCRATCH_EN: 0
; COMPUTE_PGM_RSRC2:USER_SGPR: 13
; COMPUTE_PGM_RSRC2:TRAP_HANDLER: 0
; COMPUTE_PGM_RSRC2:TGID_X_EN: 1
; COMPUTE_PGM_RSRC2:TGID_Y_EN: 1
; COMPUTE_PGM_RSRC2:TGID_Z_EN: 1
; COMPUTE_PGM_RSRC2:TIDIG_COMP_CNT: 1
	.section	.text._ZL37rocblas_syrkx_herkx_restricted_kernelIlfLi16ELi32ELi8ELi1ELi1ELb0ELc84ELc76EKffEviT_PT9_S1_lS3_S1_lPT10_S1_li,"axG",@progbits,_ZL37rocblas_syrkx_herkx_restricted_kernelIlfLi16ELi32ELi8ELi1ELi1ELb0ELc84ELc76EKffEviT_PT9_S1_lS3_S1_lPT10_S1_li,comdat
	.globl	_ZL37rocblas_syrkx_herkx_restricted_kernelIlfLi16ELi32ELi8ELi1ELi1ELb0ELc84ELc76EKffEviT_PT9_S1_lS3_S1_lPT10_S1_li ; -- Begin function _ZL37rocblas_syrkx_herkx_restricted_kernelIlfLi16ELi32ELi8ELi1ELi1ELb0ELc84ELc76EKffEviT_PT9_S1_lS3_S1_lPT10_S1_li
	.p2align	8
	.type	_ZL37rocblas_syrkx_herkx_restricted_kernelIlfLi16ELi32ELi8ELi1ELi1ELb0ELc84ELc76EKffEviT_PT9_S1_lS3_S1_lPT10_S1_li,@function
_ZL37rocblas_syrkx_herkx_restricted_kernelIlfLi16ELi32ELi8ELi1ELi1ELb0ELc84ELc76EKffEviT_PT9_S1_lS3_S1_lPT10_S1_li: ; @_ZL37rocblas_syrkx_herkx_restricted_kernelIlfLi16ELi32ELi8ELi1ELi1ELb0ELc84ELc76EKffEviT_PT9_S1_lS3_S1_lPT10_S1_li
; %bb.0:
	s_load_b512 s[16:31], s[0:1], 0x8
	v_dual_mov_b32 v10, 0 :: v_dual_mov_b32 v9, 0
	v_dual_mov_b32 v6, 0 :: v_dual_and_b32 v7, 0x3ff, v0
	v_bfe_u32 v8, v0, 10, 10
	v_mov_b32_e32 v1, 0
	s_lshl_b32 s8, s13, 5
	s_lshl_b32 s9, s14, 5
	s_waitcnt lgkmcnt(0)
	v_cmp_lt_i64_e64 s2, s[16:17], 1
	s_delay_alu instid0(VALU_DEP_1)
	s_and_b32 vcc_lo, exec_lo, s2
	s_cbranch_vccnz .LBB926_3
; %bb.1:
	v_lshl_add_u32 v2, v8, 4, v7
	v_dual_mov_b32 v1, 0 :: v_dual_and_b32 v0, 7, v7
	s_mul_i32 s3, s23, s15
	s_mul_hi_u32 s4, s22, s15
	s_delay_alu instid0(VALU_DEP_2)
	v_and_b32_e32 v6, 31, v2
	v_lshrrev_b32_e32 v12, 3, v2
	v_mov_b32_e32 v3, v1
	v_lshrrev_b32_e32 v2, 5, v2
	v_lshlrev_b32_e32 v14, 2, v0
	v_add_nc_u32_e32 v9, s8, v6
	v_add_nc_u32_e32 v13, s9, v12
	s_mul_i32 s2, s22, s15
	s_add_i32 s3, s4, s3
	s_mul_hi_u32 s5, s28, s15
	v_ashrrev_i32_e32 v10, 31, v9
	v_ashrrev_i32_e32 v15, 31, v13
	v_mad_u64_u32 v[4:5], null, s20, v9, v[2:3]
	v_mul_lo_u32 v3, s21, v9
	s_delay_alu instid0(VALU_DEP_4)
	v_mul_lo_u32 v16, s20, v10
	v_mul_lo_u32 v17, v13, s27
	v_mad_u64_u32 v[9:10], null, v13, s26, v[0:1]
	v_mul_lo_u32 v13, v15, s26
	v_lshlrev_b32_e32 v0, 2, v6
	s_lshl_b64 s[2:3], s[2:3], 2
	v_lshlrev_b32_e32 v11, 2, v7
	v_add3_u32 v5, v3, v5, v16
	s_add_u32 s4, s18, s2
	v_lshl_or_b32 v0, v2, 7, v0
	s_mul_i32 s2, s29, s15
	v_add3_u32 v10, v13, v10, v17
	v_lshlrev_b64 v[2:3], 2, v[4:5]
	s_addc_u32 s6, s19, s3
	s_add_i32 s3, s5, s2
	s_mul_i32 s2, s28, s15
	v_lshlrev_b64 v[4:5], 2, v[9:10]
	s_lshl_b64 s[2:3], s[2:3], 2
	v_add_co_u32 v2, vcc_lo, s4, v2
	v_mov_b32_e32 v9, v1
	v_lshl_or_b32 v6, v12, 5, v14
	s_add_u32 s2, s24, s2
	v_add_co_ci_u32_e32 v3, vcc_lo, s6, v3, vcc_lo
	s_addc_u32 s3, s25, s3
	v_add_co_u32 v4, vcc_lo, s2, v4
	v_add_nc_u32_e32 v12, 0x400, v6
	v_mov_b32_e32 v6, v1
	v_lshl_add_u32 v13, v8, 5, 0x400
	v_add_co_ci_u32_e32 v5, vcc_lo, s3, v5, vcc_lo
	v_mov_b32_e32 v10, v1
	s_mov_b64 s[2:3], 0
.LBB926_2:                              ; =>This Inner Loop Header: Depth=1
	global_load_b32 v14, v[2:3], off
	global_load_b32 v15, v[4:5], off
	s_add_u32 s2, s2, 8
	v_add_co_u32 v2, vcc_lo, v2, 32
	s_addc_u32 s3, s3, 0
	v_add_co_ci_u32_e32 v3, vcc_lo, 0, v3, vcc_lo
	v_cmp_ge_u64_e64 s4, s[2:3], s[16:17]
	v_add_co_u32 v4, vcc_lo, v4, 32
	v_add_co_ci_u32_e32 v5, vcc_lo, 0, v5, vcc_lo
	s_waitcnt vmcnt(1)
	ds_store_b32 v0, v14
	s_waitcnt vmcnt(0)
	ds_store_b32 v12, v15
	s_waitcnt lgkmcnt(0)
	s_barrier
	buffer_gl0_inv
	ds_load_2addr_b32 v[30:31], v11 offset1:16
	ds_load_b128 v[14:17], v13
	ds_load_b128 v[18:21], v13 offset:512
	ds_load_2addr_b32 v[32:33], v11 offset0:32 offset1:48
	ds_load_2addr_b32 v[34:35], v11 offset0:64 offset1:80
	ds_load_b128 v[22:25], v13 offset:16
	ds_load_2addr_b32 v[36:37], v11 offset0:96 offset1:112
	ds_load_2addr_b32 v[38:39], v11 offset0:128 offset1:144
	;; [unrolled: 3-line block ×3, first 2 shown]
	ds_load_2addr_b32 v[44:45], v11 offset0:224 offset1:240
	s_and_b32 vcc_lo, exec_lo, s4
	s_waitcnt lgkmcnt(0)
	s_barrier
	buffer_gl0_inv
	v_fmac_f32_e32 v9, v31, v14
	v_fmac_f32_e32 v10, v30, v14
	;; [unrolled: 1-line block ×3, first 2 shown]
	s_delay_alu instid0(VALU_DEP_3) | instskip(NEXT) | instid1(VALU_DEP_3)
	v_dual_fmac_f32 v6, v30, v18 :: v_dual_fmac_f32 v9, v33, v15
	v_fmac_f32_e32 v10, v32, v15
	s_delay_alu instid0(VALU_DEP_3) | instskip(NEXT) | instid1(VALU_DEP_3)
	v_fmac_f32_e32 v1, v33, v19
	v_dual_fmac_f32 v6, v32, v19 :: v_dual_fmac_f32 v9, v35, v16
	s_delay_alu instid0(VALU_DEP_3) | instskip(NEXT) | instid1(VALU_DEP_3)
	v_fmac_f32_e32 v10, v34, v16
	v_fmac_f32_e32 v1, v35, v20
	s_delay_alu instid0(VALU_DEP_3) | instskip(NEXT) | instid1(VALU_DEP_3)
	v_dual_fmac_f32 v6, v34, v20 :: v_dual_fmac_f32 v9, v37, v17
	v_fmac_f32_e32 v10, v36, v17
	s_delay_alu instid0(VALU_DEP_3) | instskip(NEXT) | instid1(VALU_DEP_3)
	v_fmac_f32_e32 v1, v37, v21
	v_dual_fmac_f32 v6, v36, v21 :: v_dual_fmac_f32 v9, v39, v22
	s_delay_alu instid0(VALU_DEP_3) | instskip(NEXT) | instid1(VALU_DEP_3)
	v_fmac_f32_e32 v10, v38, v22
	v_fmac_f32_e32 v1, v39, v26
	;; [unrolled: 9-line block ×3, first 2 shown]
	s_delay_alu instid0(VALU_DEP_3) | instskip(NEXT) | instid1(VALU_DEP_3)
	v_dual_fmac_f32 v6, v42, v28 :: v_dual_fmac_f32 v9, v45, v25
	v_fmac_f32_e32 v10, v44, v25
	s_delay_alu instid0(VALU_DEP_3) | instskip(NEXT) | instid1(VALU_DEP_3)
	v_fmac_f32_e32 v1, v45, v29
	v_fmac_f32_e32 v6, v44, v29
	s_cbranch_vccz .LBB926_2
.LBB926_3:
	s_load_b128 s[4:7], s[0:1], 0x48
	v_add_nc_u32_e32 v0, s9, v8
	s_load_b32 s9, s[0:1], 0x0
	s_delay_alu instid0(VALU_DEP_1) | instskip(SKIP_1) | instid1(VALU_DEP_1)
	v_ashrrev_i32_e32 v2, 31, v0
	s_waitcnt lgkmcnt(0)
	v_mul_lo_u32 v5, v2, s4
	v_mul_lo_u32 v8, v0, s5
	v_mad_u64_u32 v[3:4], null, v0, s4, 0
	s_mul_i32 s1, s15, s7
	s_mul_hi_u32 s3, s15, s6
	s_mul_i32 s2, s15, s6
	s_add_i32 s3, s3, s1
	v_add_nc_u32_e32 v2, s8, v7
	s_lshl_b64 s[2:3], s[2:3], 2
	s_delay_alu instid0(VALU_DEP_2)
	v_add3_u32 v4, v4, v8, v5
	s_add_u32 s2, s30, s2
	s_addc_u32 s3, s31, s3
	v_cmp_le_i32_e64 s0, v0, v2
	v_cmp_gt_i32_e32 vcc_lo, s9, v2
	v_lshlrev_b64 v[3:4], 2, v[3:4]
	s_delay_alu instid0(VALU_DEP_3) | instskip(NEXT) | instid1(VALU_DEP_1)
	s_and_b32 s0, s0, vcc_lo
	v_add_co_u32 v7, s1, s2, v3
	s_delay_alu instid0(VALU_DEP_1)
	v_add_co_ci_u32_e64 v8, s1, s3, v4, s1
	s_and_saveexec_b32 s1, s0
	s_cbranch_execz .LBB926_5
; %bb.4:
	v_ashrrev_i32_e32 v3, 31, v2
	s_delay_alu instid0(VALU_DEP_1) | instskip(NEXT) | instid1(VALU_DEP_1)
	v_lshlrev_b64 v[3:4], 2, v[2:3]
	v_add_co_u32 v3, s0, v7, v3
	s_delay_alu instid0(VALU_DEP_1)
	v_add_co_ci_u32_e64 v4, s0, v8, v4, s0
	global_load_b32 v5, v[3:4], off
	s_waitcnt vmcnt(0)
	v_add_f32_e32 v5, v10, v5
	global_store_b32 v[3:4], v5, off
.LBB926_5:
	s_or_b32 exec_lo, exec_lo, s1
	v_add_nc_u32_e32 v4, 16, v2
	s_delay_alu instid0(VALU_DEP_1) | instskip(SKIP_1) | instid1(VALU_DEP_1)
	v_cmp_le_i32_e64 s1, v0, v4
	v_cmp_gt_i32_e64 s0, s9, v4
	s_and_b32 s1, s1, s0
	s_delay_alu instid0(SALU_CYCLE_1)
	s_and_saveexec_b32 s6, s1
	s_cbranch_execz .LBB926_7
; %bb.6:
	v_ashrrev_i32_e32 v5, 31, v4
	s_delay_alu instid0(VALU_DEP_1) | instskip(NEXT) | instid1(VALU_DEP_1)
	v_lshlrev_b64 v[10:11], 2, v[4:5]
	v_add_co_u32 v7, s1, v7, v10
	s_delay_alu instid0(VALU_DEP_1)
	v_add_co_ci_u32_e64 v8, s1, v8, v11, s1
	global_load_b32 v3, v[7:8], off
	s_waitcnt vmcnt(0)
	v_add_f32_e32 v3, v9, v3
	global_store_b32 v[7:8], v3, off
.LBB926_7:
	s_or_b32 exec_lo, exec_lo, s6
	v_add_nc_u32_e32 v0, 16, v0
	s_delay_alu instid0(VALU_DEP_1) | instskip(SKIP_3) | instid1(VALU_DEP_4)
	v_ashrrev_i32_e32 v3, 31, v0
	v_mul_lo_u32 v5, v0, s5
	v_mad_u64_u32 v[7:8], null, v0, s4, 0
	v_cmp_le_i32_e64 s1, v0, v2
	v_mul_lo_u32 v3, v3, s4
	s_delay_alu instid0(VALU_DEP_1) | instskip(NEXT) | instid1(VALU_DEP_1)
	v_add3_u32 v8, v8, v5, v3
	v_lshlrev_b64 v[7:8], 2, v[7:8]
	s_delay_alu instid0(VALU_DEP_1) | instskip(NEXT) | instid1(VALU_DEP_1)
	v_add_co_u32 v7, s2, s2, v7
	v_add_co_ci_u32_e64 v8, s2, s3, v8, s2
	s_and_b32 s2, s1, vcc_lo
	s_delay_alu instid0(SALU_CYCLE_1)
	s_and_saveexec_b32 s1, s2
	s_cbranch_execz .LBB926_9
; %bb.8:
	v_ashrrev_i32_e32 v3, 31, v2
	s_delay_alu instid0(VALU_DEP_1) | instskip(NEXT) | instid1(VALU_DEP_1)
	v_lshlrev_b64 v[2:3], 2, v[2:3]
	v_add_co_u32 v2, vcc_lo, v7, v2
	s_delay_alu instid0(VALU_DEP_2)
	v_add_co_ci_u32_e32 v3, vcc_lo, v8, v3, vcc_lo
	global_load_b32 v5, v[2:3], off
	s_waitcnt vmcnt(0)
	v_add_f32_e32 v5, v6, v5
	global_store_b32 v[2:3], v5, off
.LBB926_9:
	s_or_b32 exec_lo, exec_lo, s1
	v_cmp_le_i32_e32 vcc_lo, v0, v4
	s_and_b32 s0, vcc_lo, s0
	s_delay_alu instid0(SALU_CYCLE_1)
	s_and_saveexec_b32 s1, s0
	s_cbranch_execz .LBB926_11
; %bb.10:
	v_ashrrev_i32_e32 v5, 31, v4
	s_delay_alu instid0(VALU_DEP_1) | instskip(NEXT) | instid1(VALU_DEP_1)
	v_lshlrev_b64 v[2:3], 2, v[4:5]
	v_add_co_u32 v2, vcc_lo, v7, v2
	s_delay_alu instid0(VALU_DEP_2)
	v_add_co_ci_u32_e32 v3, vcc_lo, v8, v3, vcc_lo
	global_load_b32 v0, v[2:3], off
	s_waitcnt vmcnt(0)
	v_add_f32_e32 v0, v1, v0
	global_store_b32 v[2:3], v0, off
.LBB926_11:
	s_nop 0
	s_sendmsg sendmsg(MSG_DEALLOC_VGPRS)
	s_endpgm
	.section	.rodata,"a",@progbits
	.p2align	6, 0x0
	.amdhsa_kernel _ZL37rocblas_syrkx_herkx_restricted_kernelIlfLi16ELi32ELi8ELi1ELi1ELb0ELc84ELc76EKffEviT_PT9_S1_lS3_S1_lPT10_S1_li
		.amdhsa_group_segment_fixed_size 2048
		.amdhsa_private_segment_fixed_size 0
		.amdhsa_kernarg_size 92
		.amdhsa_user_sgpr_count 13
		.amdhsa_user_sgpr_dispatch_ptr 0
		.amdhsa_user_sgpr_queue_ptr 0
		.amdhsa_user_sgpr_kernarg_segment_ptr 1
		.amdhsa_user_sgpr_dispatch_id 0
		.amdhsa_user_sgpr_private_segment_size 0
		.amdhsa_wavefront_size32 1
		.amdhsa_uses_dynamic_stack 0
		.amdhsa_enable_private_segment 0
		.amdhsa_system_sgpr_workgroup_id_x 1
		.amdhsa_system_sgpr_workgroup_id_y 1
		.amdhsa_system_sgpr_workgroup_id_z 1
		.amdhsa_system_sgpr_workgroup_info 0
		.amdhsa_system_vgpr_workitem_id 1
		.amdhsa_next_free_vgpr 46
		.amdhsa_next_free_sgpr 32
		.amdhsa_reserve_vcc 1
		.amdhsa_float_round_mode_32 0
		.amdhsa_float_round_mode_16_64 0
		.amdhsa_float_denorm_mode_32 3
		.amdhsa_float_denorm_mode_16_64 3
		.amdhsa_dx10_clamp 1
		.amdhsa_ieee_mode 1
		.amdhsa_fp16_overflow 0
		.amdhsa_workgroup_processor_mode 1
		.amdhsa_memory_ordered 1
		.amdhsa_forward_progress 0
		.amdhsa_shared_vgpr_count 0
		.amdhsa_exception_fp_ieee_invalid_op 0
		.amdhsa_exception_fp_denorm_src 0
		.amdhsa_exception_fp_ieee_div_zero 0
		.amdhsa_exception_fp_ieee_overflow 0
		.amdhsa_exception_fp_ieee_underflow 0
		.amdhsa_exception_fp_ieee_inexact 0
		.amdhsa_exception_int_div_zero 0
	.end_amdhsa_kernel
	.section	.text._ZL37rocblas_syrkx_herkx_restricted_kernelIlfLi16ELi32ELi8ELi1ELi1ELb0ELc84ELc76EKffEviT_PT9_S1_lS3_S1_lPT10_S1_li,"axG",@progbits,_ZL37rocblas_syrkx_herkx_restricted_kernelIlfLi16ELi32ELi8ELi1ELi1ELb0ELc84ELc76EKffEviT_PT9_S1_lS3_S1_lPT10_S1_li,comdat
.Lfunc_end926:
	.size	_ZL37rocblas_syrkx_herkx_restricted_kernelIlfLi16ELi32ELi8ELi1ELi1ELb0ELc84ELc76EKffEviT_PT9_S1_lS3_S1_lPT10_S1_li, .Lfunc_end926-_ZL37rocblas_syrkx_herkx_restricted_kernelIlfLi16ELi32ELi8ELi1ELi1ELb0ELc84ELc76EKffEviT_PT9_S1_lS3_S1_lPT10_S1_li
                                        ; -- End function
	.section	.AMDGPU.csdata,"",@progbits
; Kernel info:
; codeLenInByte = 1312
; NumSgprs: 34
; NumVgprs: 46
; ScratchSize: 0
; MemoryBound: 0
; FloatMode: 240
; IeeeMode: 1
; LDSByteSize: 2048 bytes/workgroup (compile time only)
; SGPRBlocks: 4
; VGPRBlocks: 5
; NumSGPRsForWavesPerEU: 34
; NumVGPRsForWavesPerEU: 46
; Occupancy: 16
; WaveLimiterHint : 1
; COMPUTE_PGM_RSRC2:SCRATCH_EN: 0
; COMPUTE_PGM_RSRC2:USER_SGPR: 13
; COMPUTE_PGM_RSRC2:TRAP_HANDLER: 0
; COMPUTE_PGM_RSRC2:TGID_X_EN: 1
; COMPUTE_PGM_RSRC2:TGID_Y_EN: 1
; COMPUTE_PGM_RSRC2:TGID_Z_EN: 1
; COMPUTE_PGM_RSRC2:TIDIG_COMP_CNT: 1
	.section	.text._ZL37rocblas_syrkx_herkx_restricted_kernelIlfLi16ELi32ELi8ELi1ELi1ELb0ELc67ELc76EKffEviT_PT9_S1_lS3_S1_lPT10_S1_li,"axG",@progbits,_ZL37rocblas_syrkx_herkx_restricted_kernelIlfLi16ELi32ELi8ELi1ELi1ELb0ELc67ELc76EKffEviT_PT9_S1_lS3_S1_lPT10_S1_li,comdat
	.globl	_ZL37rocblas_syrkx_herkx_restricted_kernelIlfLi16ELi32ELi8ELi1ELi1ELb0ELc67ELc76EKffEviT_PT9_S1_lS3_S1_lPT10_S1_li ; -- Begin function _ZL37rocblas_syrkx_herkx_restricted_kernelIlfLi16ELi32ELi8ELi1ELi1ELb0ELc67ELc76EKffEviT_PT9_S1_lS3_S1_lPT10_S1_li
	.p2align	8
	.type	_ZL37rocblas_syrkx_herkx_restricted_kernelIlfLi16ELi32ELi8ELi1ELi1ELb0ELc67ELc76EKffEviT_PT9_S1_lS3_S1_lPT10_S1_li,@function
_ZL37rocblas_syrkx_herkx_restricted_kernelIlfLi16ELi32ELi8ELi1ELi1ELb0ELc67ELc76EKffEviT_PT9_S1_lS3_S1_lPT10_S1_li: ; @_ZL37rocblas_syrkx_herkx_restricted_kernelIlfLi16ELi32ELi8ELi1ELi1ELb0ELc67ELc76EKffEviT_PT9_S1_lS3_S1_lPT10_S1_li
; %bb.0:
	s_load_b512 s[16:31], s[0:1], 0x8
	v_dual_mov_b32 v10, 0 :: v_dual_mov_b32 v9, 0
	v_dual_mov_b32 v6, 0 :: v_dual_and_b32 v7, 0x3ff, v0
	v_bfe_u32 v8, v0, 10, 10
	v_mov_b32_e32 v1, 0
	s_lshl_b32 s8, s13, 5
	s_lshl_b32 s9, s14, 5
	s_waitcnt lgkmcnt(0)
	v_cmp_lt_i64_e64 s2, s[16:17], 1
	s_delay_alu instid0(VALU_DEP_1)
	s_and_b32 vcc_lo, exec_lo, s2
	s_cbranch_vccnz .LBB927_3
; %bb.1:
	v_lshl_add_u32 v2, v8, 4, v7
	v_dual_mov_b32 v1, 0 :: v_dual_and_b32 v0, 7, v7
	s_mul_i32 s3, s23, s15
	s_mul_hi_u32 s4, s22, s15
	s_delay_alu instid0(VALU_DEP_2)
	v_and_b32_e32 v6, 31, v2
	v_lshrrev_b32_e32 v12, 3, v2
	v_mov_b32_e32 v3, v1
	v_lshrrev_b32_e32 v2, 5, v2
	v_lshlrev_b32_e32 v14, 2, v0
	v_add_nc_u32_e32 v9, s8, v6
	v_add_nc_u32_e32 v13, s9, v12
	s_mul_i32 s2, s22, s15
	s_add_i32 s3, s4, s3
	s_mul_hi_u32 s5, s28, s15
	v_ashrrev_i32_e32 v10, 31, v9
	v_ashrrev_i32_e32 v15, 31, v13
	v_mad_u64_u32 v[4:5], null, s20, v9, v[2:3]
	v_mul_lo_u32 v3, s21, v9
	s_delay_alu instid0(VALU_DEP_4)
	v_mul_lo_u32 v16, s20, v10
	v_mul_lo_u32 v17, v13, s27
	v_mad_u64_u32 v[9:10], null, v13, s26, v[0:1]
	v_mul_lo_u32 v13, v15, s26
	v_lshlrev_b32_e32 v0, 2, v6
	s_lshl_b64 s[2:3], s[2:3], 2
	v_lshlrev_b32_e32 v11, 2, v7
	v_add3_u32 v5, v3, v5, v16
	s_add_u32 s4, s18, s2
	v_lshl_or_b32 v0, v2, 7, v0
	s_mul_i32 s2, s29, s15
	v_add3_u32 v10, v13, v10, v17
	v_lshlrev_b64 v[2:3], 2, v[4:5]
	s_addc_u32 s6, s19, s3
	s_add_i32 s3, s5, s2
	s_mul_i32 s2, s28, s15
	v_lshlrev_b64 v[4:5], 2, v[9:10]
	s_lshl_b64 s[2:3], s[2:3], 2
	v_add_co_u32 v2, vcc_lo, s4, v2
	v_mov_b32_e32 v9, v1
	v_lshl_or_b32 v6, v12, 5, v14
	s_add_u32 s2, s24, s2
	v_add_co_ci_u32_e32 v3, vcc_lo, s6, v3, vcc_lo
	s_addc_u32 s3, s25, s3
	v_add_co_u32 v4, vcc_lo, s2, v4
	v_add_nc_u32_e32 v12, 0x400, v6
	v_mov_b32_e32 v6, v1
	v_lshl_add_u32 v13, v8, 5, 0x400
	v_add_co_ci_u32_e32 v5, vcc_lo, s3, v5, vcc_lo
	v_mov_b32_e32 v10, v1
	s_mov_b64 s[2:3], 0
.LBB927_2:                              ; =>This Inner Loop Header: Depth=1
	global_load_b32 v14, v[2:3], off
	global_load_b32 v15, v[4:5], off
	s_add_u32 s2, s2, 8
	v_add_co_u32 v2, vcc_lo, v2, 32
	s_addc_u32 s3, s3, 0
	v_add_co_ci_u32_e32 v3, vcc_lo, 0, v3, vcc_lo
	v_cmp_ge_u64_e64 s4, s[2:3], s[16:17]
	v_add_co_u32 v4, vcc_lo, v4, 32
	v_add_co_ci_u32_e32 v5, vcc_lo, 0, v5, vcc_lo
	s_waitcnt vmcnt(1)
	ds_store_b32 v0, v14
	s_waitcnt vmcnt(0)
	ds_store_b32 v12, v15
	s_waitcnt lgkmcnt(0)
	s_barrier
	buffer_gl0_inv
	ds_load_2addr_b32 v[30:31], v11 offset1:16
	ds_load_b128 v[14:17], v13
	ds_load_b128 v[18:21], v13 offset:512
	ds_load_2addr_b32 v[32:33], v11 offset0:32 offset1:48
	ds_load_2addr_b32 v[34:35], v11 offset0:64 offset1:80
	ds_load_b128 v[22:25], v13 offset:16
	ds_load_2addr_b32 v[36:37], v11 offset0:96 offset1:112
	ds_load_2addr_b32 v[38:39], v11 offset0:128 offset1:144
	;; [unrolled: 3-line block ×3, first 2 shown]
	ds_load_2addr_b32 v[44:45], v11 offset0:224 offset1:240
	s_and_b32 vcc_lo, exec_lo, s4
	s_waitcnt lgkmcnt(0)
	s_barrier
	buffer_gl0_inv
	v_fmac_f32_e32 v9, v31, v14
	v_fmac_f32_e32 v10, v30, v14
	;; [unrolled: 1-line block ×3, first 2 shown]
	s_delay_alu instid0(VALU_DEP_3) | instskip(NEXT) | instid1(VALU_DEP_3)
	v_dual_fmac_f32 v6, v30, v18 :: v_dual_fmac_f32 v9, v33, v15
	v_fmac_f32_e32 v10, v32, v15
	s_delay_alu instid0(VALU_DEP_3) | instskip(NEXT) | instid1(VALU_DEP_3)
	v_fmac_f32_e32 v1, v33, v19
	v_dual_fmac_f32 v6, v32, v19 :: v_dual_fmac_f32 v9, v35, v16
	s_delay_alu instid0(VALU_DEP_3) | instskip(NEXT) | instid1(VALU_DEP_3)
	v_fmac_f32_e32 v10, v34, v16
	v_fmac_f32_e32 v1, v35, v20
	s_delay_alu instid0(VALU_DEP_3) | instskip(NEXT) | instid1(VALU_DEP_3)
	v_dual_fmac_f32 v6, v34, v20 :: v_dual_fmac_f32 v9, v37, v17
	v_fmac_f32_e32 v10, v36, v17
	s_delay_alu instid0(VALU_DEP_3) | instskip(NEXT) | instid1(VALU_DEP_3)
	v_fmac_f32_e32 v1, v37, v21
	v_dual_fmac_f32 v6, v36, v21 :: v_dual_fmac_f32 v9, v39, v22
	s_delay_alu instid0(VALU_DEP_3) | instskip(NEXT) | instid1(VALU_DEP_3)
	v_fmac_f32_e32 v10, v38, v22
	v_fmac_f32_e32 v1, v39, v26
	;; [unrolled: 9-line block ×3, first 2 shown]
	s_delay_alu instid0(VALU_DEP_3) | instskip(NEXT) | instid1(VALU_DEP_3)
	v_dual_fmac_f32 v6, v42, v28 :: v_dual_fmac_f32 v9, v45, v25
	v_fmac_f32_e32 v10, v44, v25
	s_delay_alu instid0(VALU_DEP_3) | instskip(NEXT) | instid1(VALU_DEP_3)
	v_fmac_f32_e32 v1, v45, v29
	v_fmac_f32_e32 v6, v44, v29
	s_cbranch_vccz .LBB927_2
.LBB927_3:
	s_load_b128 s[4:7], s[0:1], 0x48
	v_add_nc_u32_e32 v0, s9, v8
	s_load_b32 s9, s[0:1], 0x0
	s_delay_alu instid0(VALU_DEP_1) | instskip(SKIP_1) | instid1(VALU_DEP_1)
	v_ashrrev_i32_e32 v2, 31, v0
	s_waitcnt lgkmcnt(0)
	v_mul_lo_u32 v5, v2, s4
	v_mul_lo_u32 v8, v0, s5
	v_mad_u64_u32 v[3:4], null, v0, s4, 0
	s_mul_i32 s1, s15, s7
	s_mul_hi_u32 s3, s15, s6
	s_mul_i32 s2, s15, s6
	s_add_i32 s3, s3, s1
	v_add_nc_u32_e32 v2, s8, v7
	s_lshl_b64 s[2:3], s[2:3], 2
	s_delay_alu instid0(VALU_DEP_2)
	v_add3_u32 v4, v4, v8, v5
	s_add_u32 s2, s30, s2
	s_addc_u32 s3, s31, s3
	v_cmp_le_i32_e64 s0, v0, v2
	v_cmp_gt_i32_e32 vcc_lo, s9, v2
	v_lshlrev_b64 v[3:4], 2, v[3:4]
	s_delay_alu instid0(VALU_DEP_3) | instskip(NEXT) | instid1(VALU_DEP_1)
	s_and_b32 s0, s0, vcc_lo
	v_add_co_u32 v7, s1, s2, v3
	s_delay_alu instid0(VALU_DEP_1)
	v_add_co_ci_u32_e64 v8, s1, s3, v4, s1
	s_and_saveexec_b32 s1, s0
	s_cbranch_execz .LBB927_5
; %bb.4:
	v_ashrrev_i32_e32 v3, 31, v2
	s_delay_alu instid0(VALU_DEP_1) | instskip(NEXT) | instid1(VALU_DEP_1)
	v_lshlrev_b64 v[3:4], 2, v[2:3]
	v_add_co_u32 v3, s0, v7, v3
	s_delay_alu instid0(VALU_DEP_1)
	v_add_co_ci_u32_e64 v4, s0, v8, v4, s0
	global_load_b32 v5, v[3:4], off
	s_waitcnt vmcnt(0)
	v_add_f32_e32 v5, v10, v5
	global_store_b32 v[3:4], v5, off
.LBB927_5:
	s_or_b32 exec_lo, exec_lo, s1
	v_add_nc_u32_e32 v4, 16, v2
	s_delay_alu instid0(VALU_DEP_1) | instskip(SKIP_1) | instid1(VALU_DEP_1)
	v_cmp_le_i32_e64 s1, v0, v4
	v_cmp_gt_i32_e64 s0, s9, v4
	s_and_b32 s1, s1, s0
	s_delay_alu instid0(SALU_CYCLE_1)
	s_and_saveexec_b32 s6, s1
	s_cbranch_execz .LBB927_7
; %bb.6:
	v_ashrrev_i32_e32 v5, 31, v4
	s_delay_alu instid0(VALU_DEP_1) | instskip(NEXT) | instid1(VALU_DEP_1)
	v_lshlrev_b64 v[10:11], 2, v[4:5]
	v_add_co_u32 v7, s1, v7, v10
	s_delay_alu instid0(VALU_DEP_1)
	v_add_co_ci_u32_e64 v8, s1, v8, v11, s1
	global_load_b32 v3, v[7:8], off
	s_waitcnt vmcnt(0)
	v_add_f32_e32 v3, v9, v3
	global_store_b32 v[7:8], v3, off
.LBB927_7:
	s_or_b32 exec_lo, exec_lo, s6
	v_add_nc_u32_e32 v0, 16, v0
	s_delay_alu instid0(VALU_DEP_1) | instskip(SKIP_3) | instid1(VALU_DEP_4)
	v_ashrrev_i32_e32 v3, 31, v0
	v_mul_lo_u32 v5, v0, s5
	v_mad_u64_u32 v[7:8], null, v0, s4, 0
	v_cmp_le_i32_e64 s1, v0, v2
	v_mul_lo_u32 v3, v3, s4
	s_delay_alu instid0(VALU_DEP_1) | instskip(NEXT) | instid1(VALU_DEP_1)
	v_add3_u32 v8, v8, v5, v3
	v_lshlrev_b64 v[7:8], 2, v[7:8]
	s_delay_alu instid0(VALU_DEP_1) | instskip(NEXT) | instid1(VALU_DEP_1)
	v_add_co_u32 v7, s2, s2, v7
	v_add_co_ci_u32_e64 v8, s2, s3, v8, s2
	s_and_b32 s2, s1, vcc_lo
	s_delay_alu instid0(SALU_CYCLE_1)
	s_and_saveexec_b32 s1, s2
	s_cbranch_execz .LBB927_9
; %bb.8:
	v_ashrrev_i32_e32 v3, 31, v2
	s_delay_alu instid0(VALU_DEP_1) | instskip(NEXT) | instid1(VALU_DEP_1)
	v_lshlrev_b64 v[2:3], 2, v[2:3]
	v_add_co_u32 v2, vcc_lo, v7, v2
	s_delay_alu instid0(VALU_DEP_2)
	v_add_co_ci_u32_e32 v3, vcc_lo, v8, v3, vcc_lo
	global_load_b32 v5, v[2:3], off
	s_waitcnt vmcnt(0)
	v_add_f32_e32 v5, v6, v5
	global_store_b32 v[2:3], v5, off
.LBB927_9:
	s_or_b32 exec_lo, exec_lo, s1
	v_cmp_le_i32_e32 vcc_lo, v0, v4
	s_and_b32 s0, vcc_lo, s0
	s_delay_alu instid0(SALU_CYCLE_1)
	s_and_saveexec_b32 s1, s0
	s_cbranch_execz .LBB927_11
; %bb.10:
	v_ashrrev_i32_e32 v5, 31, v4
	s_delay_alu instid0(VALU_DEP_1) | instskip(NEXT) | instid1(VALU_DEP_1)
	v_lshlrev_b64 v[2:3], 2, v[4:5]
	v_add_co_u32 v2, vcc_lo, v7, v2
	s_delay_alu instid0(VALU_DEP_2)
	v_add_co_ci_u32_e32 v3, vcc_lo, v8, v3, vcc_lo
	global_load_b32 v0, v[2:3], off
	s_waitcnt vmcnt(0)
	v_add_f32_e32 v0, v1, v0
	global_store_b32 v[2:3], v0, off
.LBB927_11:
	s_nop 0
	s_sendmsg sendmsg(MSG_DEALLOC_VGPRS)
	s_endpgm
	.section	.rodata,"a",@progbits
	.p2align	6, 0x0
	.amdhsa_kernel _ZL37rocblas_syrkx_herkx_restricted_kernelIlfLi16ELi32ELi8ELi1ELi1ELb0ELc67ELc76EKffEviT_PT9_S1_lS3_S1_lPT10_S1_li
		.amdhsa_group_segment_fixed_size 2048
		.amdhsa_private_segment_fixed_size 0
		.amdhsa_kernarg_size 92
		.amdhsa_user_sgpr_count 13
		.amdhsa_user_sgpr_dispatch_ptr 0
		.amdhsa_user_sgpr_queue_ptr 0
		.amdhsa_user_sgpr_kernarg_segment_ptr 1
		.amdhsa_user_sgpr_dispatch_id 0
		.amdhsa_user_sgpr_private_segment_size 0
		.amdhsa_wavefront_size32 1
		.amdhsa_uses_dynamic_stack 0
		.amdhsa_enable_private_segment 0
		.amdhsa_system_sgpr_workgroup_id_x 1
		.amdhsa_system_sgpr_workgroup_id_y 1
		.amdhsa_system_sgpr_workgroup_id_z 1
		.amdhsa_system_sgpr_workgroup_info 0
		.amdhsa_system_vgpr_workitem_id 1
		.amdhsa_next_free_vgpr 46
		.amdhsa_next_free_sgpr 32
		.amdhsa_reserve_vcc 1
		.amdhsa_float_round_mode_32 0
		.amdhsa_float_round_mode_16_64 0
		.amdhsa_float_denorm_mode_32 3
		.amdhsa_float_denorm_mode_16_64 3
		.amdhsa_dx10_clamp 1
		.amdhsa_ieee_mode 1
		.amdhsa_fp16_overflow 0
		.amdhsa_workgroup_processor_mode 1
		.amdhsa_memory_ordered 1
		.amdhsa_forward_progress 0
		.amdhsa_shared_vgpr_count 0
		.amdhsa_exception_fp_ieee_invalid_op 0
		.amdhsa_exception_fp_denorm_src 0
		.amdhsa_exception_fp_ieee_div_zero 0
		.amdhsa_exception_fp_ieee_overflow 0
		.amdhsa_exception_fp_ieee_underflow 0
		.amdhsa_exception_fp_ieee_inexact 0
		.amdhsa_exception_int_div_zero 0
	.end_amdhsa_kernel
	.section	.text._ZL37rocblas_syrkx_herkx_restricted_kernelIlfLi16ELi32ELi8ELi1ELi1ELb0ELc67ELc76EKffEviT_PT9_S1_lS3_S1_lPT10_S1_li,"axG",@progbits,_ZL37rocblas_syrkx_herkx_restricted_kernelIlfLi16ELi32ELi8ELi1ELi1ELb0ELc67ELc76EKffEviT_PT9_S1_lS3_S1_lPT10_S1_li,comdat
.Lfunc_end927:
	.size	_ZL37rocblas_syrkx_herkx_restricted_kernelIlfLi16ELi32ELi8ELi1ELi1ELb0ELc67ELc76EKffEviT_PT9_S1_lS3_S1_lPT10_S1_li, .Lfunc_end927-_ZL37rocblas_syrkx_herkx_restricted_kernelIlfLi16ELi32ELi8ELi1ELi1ELb0ELc67ELc76EKffEviT_PT9_S1_lS3_S1_lPT10_S1_li
                                        ; -- End function
	.section	.AMDGPU.csdata,"",@progbits
; Kernel info:
; codeLenInByte = 1312
; NumSgprs: 34
; NumVgprs: 46
; ScratchSize: 0
; MemoryBound: 0
; FloatMode: 240
; IeeeMode: 1
; LDSByteSize: 2048 bytes/workgroup (compile time only)
; SGPRBlocks: 4
; VGPRBlocks: 5
; NumSGPRsForWavesPerEU: 34
; NumVGPRsForWavesPerEU: 46
; Occupancy: 16
; WaveLimiterHint : 1
; COMPUTE_PGM_RSRC2:SCRATCH_EN: 0
; COMPUTE_PGM_RSRC2:USER_SGPR: 13
; COMPUTE_PGM_RSRC2:TRAP_HANDLER: 0
; COMPUTE_PGM_RSRC2:TGID_X_EN: 1
; COMPUTE_PGM_RSRC2:TGID_Y_EN: 1
; COMPUTE_PGM_RSRC2:TGID_Z_EN: 1
; COMPUTE_PGM_RSRC2:TIDIG_COMP_CNT: 1
	.section	.text._ZL37rocblas_syrkx_herkx_restricted_kernelIlfLi16ELi32ELi8ELi1ELi1ELb0ELc78ELc76EKffEviT_PT9_S1_lS3_S1_lPT10_S1_li,"axG",@progbits,_ZL37rocblas_syrkx_herkx_restricted_kernelIlfLi16ELi32ELi8ELi1ELi1ELb0ELc78ELc76EKffEviT_PT9_S1_lS3_S1_lPT10_S1_li,comdat
	.globl	_ZL37rocblas_syrkx_herkx_restricted_kernelIlfLi16ELi32ELi8ELi1ELi1ELb0ELc78ELc76EKffEviT_PT9_S1_lS3_S1_lPT10_S1_li ; -- Begin function _ZL37rocblas_syrkx_herkx_restricted_kernelIlfLi16ELi32ELi8ELi1ELi1ELb0ELc78ELc76EKffEviT_PT9_S1_lS3_S1_lPT10_S1_li
	.p2align	8
	.type	_ZL37rocblas_syrkx_herkx_restricted_kernelIlfLi16ELi32ELi8ELi1ELi1ELb0ELc78ELc76EKffEviT_PT9_S1_lS3_S1_lPT10_S1_li,@function
_ZL37rocblas_syrkx_herkx_restricted_kernelIlfLi16ELi32ELi8ELi1ELi1ELb0ELc78ELc76EKffEviT_PT9_S1_lS3_S1_lPT10_S1_li: ; @_ZL37rocblas_syrkx_herkx_restricted_kernelIlfLi16ELi32ELi8ELi1ELi1ELb0ELc78ELc76EKffEviT_PT9_S1_lS3_S1_lPT10_S1_li
; %bb.0:
	s_load_b512 s[16:31], s[0:1], 0x8
	v_dual_mov_b32 v9, 0 :: v_dual_mov_b32 v8, 0
	v_dual_mov_b32 v7, 0 :: v_dual_mov_b32 v4, 0
	v_and_b32_e32 v5, 0x3ff, v0
	v_bfe_u32 v6, v0, 10, 10
	s_lshl_b32 s8, s13, 5
	s_lshl_b32 s9, s14, 5
	s_waitcnt lgkmcnt(0)
	v_cmp_lt_i64_e64 s2, s[16:17], 1
	s_delay_alu instid0(VALU_DEP_1)
	s_and_b32 vcc_lo, exec_lo, s2
	s_cbranch_vccnz .LBB928_3
; %bb.1:
	v_lshl_add_u32 v1, v6, 4, v5
	v_and_b32_e32 v15, 7, v5
	s_mul_i32 s3, s23, s15
	s_mul_hi_u32 s5, s22, s15
	s_mul_i32 s2, s22, s15
	v_and_b32_e32 v9, 31, v1
	v_lshrrev_b32_e32 v14, 3, v1
	v_lshrrev_b32_e32 v16, 5, v1
	s_add_i32 s3, s5, s3
	s_mul_i32 s6, s29, s15
	v_add_nc_u32_e32 v0, s8, v9
	v_add_nc_u32_e32 v2, s9, v14
	s_lshl_b64 s[2:3], s[2:3], 2
	s_mul_hi_u32 s7, s28, s15
	s_add_u32 s10, s18, s2
	v_ashrrev_i32_e32 v1, 31, v0
	v_ashrrev_i32_e32 v3, 31, v2
	s_mul_i32 s4, s28, s15
	s_addc_u32 s11, s19, s3
	s_add_i32 s5, s7, s6
	v_mad_u64_u32 v[7:8], null, v16, s20, v[0:1]
	v_mad_u64_u32 v[0:1], null, v15, s26, v[2:3]
	s_lshl_b64 s[4:5], s[4:5], 2
	s_lshl_b64 s[2:3], s[20:21], 5
	s_add_u32 s4, s24, s4
	s_addc_u32 s5, s25, s5
	s_delay_alu instid0(VALU_DEP_2) | instskip(SKIP_3) | instid1(VALU_DEP_3)
	v_mov_b32_e32 v2, v8
	v_lshlrev_b32_e32 v10, 2, v5
	v_lshl_add_u32 v11, v6, 5, 0x400
	s_mov_b64 s[6:7], 0
	v_mad_u64_u32 v[3:4], null, v16, s21, v[2:3]
	v_lshlrev_b32_e32 v4, 2, v9
	s_delay_alu instid0(VALU_DEP_2) | instskip(SKIP_2) | instid1(VALU_DEP_3)
	v_mov_b32_e32 v8, v3
	v_mad_u64_u32 v[12:13], null, v15, s27, v[1:2]
	v_lshlrev_b32_e32 v17, 2, v15
	v_lshlrev_b64 v[2:3], 2, v[7:8]
	s_delay_alu instid0(VALU_DEP_3) | instskip(SKIP_3) | instid1(VALU_DEP_4)
	v_mov_b32_e32 v1, v12
	v_lshl_or_b32 v12, v16, 7, v4
	v_mov_b32_e32 v4, 0
	v_lshl_or_b32 v9, v14, 5, v17
	v_lshlrev_b64 v[7:8], 2, v[0:1]
	v_add_co_u32 v0, vcc_lo, s10, v2
	v_add_co_ci_u32_e32 v1, vcc_lo, s11, v3, vcc_lo
	s_delay_alu instid0(VALU_DEP_4) | instskip(NEXT) | instid1(VALU_DEP_4)
	v_add_nc_u32_e32 v13, 0x400, v9
	v_add_co_u32 v2, vcc_lo, s4, v7
	v_add_co_ci_u32_e32 v3, vcc_lo, s5, v8, vcc_lo
	v_dual_mov_b32 v8, 0 :: v_dual_mov_b32 v7, 0
	v_mov_b32_e32 v9, 0
	s_lshl_b64 s[4:5], s[26:27], 5
.LBB928_2:                              ; =>This Inner Loop Header: Depth=1
	global_load_b32 v14, v[0:1], off
	global_load_b32 v15, v[2:3], off
	s_add_u32 s6, s6, 8
	v_add_co_u32 v0, vcc_lo, v0, s2
	s_addc_u32 s7, s7, 0
	v_add_co_ci_u32_e32 v1, vcc_lo, s3, v1, vcc_lo
	v_cmp_ge_u64_e64 s10, s[6:7], s[16:17]
	v_add_co_u32 v2, vcc_lo, v2, s4
	v_add_co_ci_u32_e32 v3, vcc_lo, s5, v3, vcc_lo
	s_waitcnt vmcnt(1)
	ds_store_b32 v12, v14
	s_waitcnt vmcnt(0)
	ds_store_b32 v13, v15
	s_waitcnt lgkmcnt(0)
	s_barrier
	buffer_gl0_inv
	ds_load_2addr_b32 v[30:31], v10 offset1:16
	ds_load_b128 v[14:17], v11
	ds_load_b128 v[18:21], v11 offset:512
	ds_load_2addr_b32 v[32:33], v10 offset0:32 offset1:48
	ds_load_2addr_b32 v[34:35], v10 offset0:64 offset1:80
	ds_load_b128 v[22:25], v11 offset:16
	ds_load_2addr_b32 v[36:37], v10 offset0:96 offset1:112
	ds_load_2addr_b32 v[38:39], v10 offset0:128 offset1:144
	ds_load_b128 v[26:29], v11 offset:528
	ds_load_2addr_b32 v[40:41], v10 offset0:160 offset1:176
	ds_load_2addr_b32 v[42:43], v10 offset0:192 offset1:208
	ds_load_2addr_b32 v[44:45], v10 offset0:224 offset1:240
	s_and_b32 vcc_lo, exec_lo, s10
	s_waitcnt lgkmcnt(0)
	s_barrier
	buffer_gl0_inv
	v_fmac_f32_e32 v8, v31, v14
	v_fmac_f32_e32 v9, v30, v14
	v_fmac_f32_e32 v4, v31, v18
	s_delay_alu instid0(VALU_DEP_3) | instskip(NEXT) | instid1(VALU_DEP_3)
	v_dual_fmac_f32 v7, v30, v18 :: v_dual_fmac_f32 v8, v33, v15
	v_fmac_f32_e32 v9, v32, v15
	s_delay_alu instid0(VALU_DEP_3) | instskip(NEXT) | instid1(VALU_DEP_3)
	v_fmac_f32_e32 v4, v33, v19
	v_dual_fmac_f32 v7, v32, v19 :: v_dual_fmac_f32 v8, v35, v16
	s_delay_alu instid0(VALU_DEP_3) | instskip(NEXT) | instid1(VALU_DEP_3)
	v_fmac_f32_e32 v9, v34, v16
	v_fmac_f32_e32 v4, v35, v20
	s_delay_alu instid0(VALU_DEP_3) | instskip(NEXT) | instid1(VALU_DEP_3)
	v_dual_fmac_f32 v7, v34, v20 :: v_dual_fmac_f32 v8, v37, v17
	v_fmac_f32_e32 v9, v36, v17
	s_delay_alu instid0(VALU_DEP_3) | instskip(NEXT) | instid1(VALU_DEP_3)
	v_fmac_f32_e32 v4, v37, v21
	v_dual_fmac_f32 v7, v36, v21 :: v_dual_fmac_f32 v8, v39, v22
	s_delay_alu instid0(VALU_DEP_3) | instskip(NEXT) | instid1(VALU_DEP_3)
	v_fmac_f32_e32 v9, v38, v22
	v_fmac_f32_e32 v4, v39, v26
	;; [unrolled: 9-line block ×3, first 2 shown]
	s_delay_alu instid0(VALU_DEP_3) | instskip(NEXT) | instid1(VALU_DEP_3)
	v_dual_fmac_f32 v7, v42, v28 :: v_dual_fmac_f32 v8, v45, v25
	v_fmac_f32_e32 v9, v44, v25
	s_delay_alu instid0(VALU_DEP_3) | instskip(NEXT) | instid1(VALU_DEP_3)
	v_fmac_f32_e32 v4, v45, v29
	v_fmac_f32_e32 v7, v44, v29
	s_cbranch_vccz .LBB928_2
.LBB928_3:
	s_load_b128 s[4:7], s[0:1], 0x48
	v_add_nc_u32_e32 v6, s9, v6
	s_load_b32 s9, s[0:1], 0x0
	s_delay_alu instid0(VALU_DEP_1) | instskip(SKIP_1) | instid1(VALU_DEP_1)
	v_ashrrev_i32_e32 v0, 31, v6
	s_waitcnt lgkmcnt(0)
	v_mul_lo_u32 v3, v0, s4
	v_mul_lo_u32 v10, v6, s5
	v_mad_u64_u32 v[1:2], null, v6, s4, 0
	s_mul_i32 s1, s15, s7
	s_mul_hi_u32 s3, s15, s6
	s_mul_i32 s2, s15, s6
	s_add_i32 s3, s3, s1
	v_add_nc_u32_e32 v0, s8, v5
	s_lshl_b64 s[2:3], s[2:3], 2
	s_delay_alu instid0(VALU_DEP_2)
	v_add3_u32 v2, v2, v10, v3
	s_add_u32 s2, s30, s2
	s_addc_u32 s3, s31, s3
	v_cmp_le_i32_e64 s0, v6, v0
	v_cmp_gt_i32_e32 vcc_lo, s9, v0
	v_lshlrev_b64 v[1:2], 2, v[1:2]
	s_delay_alu instid0(VALU_DEP_3) | instskip(NEXT) | instid1(VALU_DEP_1)
	s_and_b32 s0, s0, vcc_lo
	v_add_co_u32 v5, s1, s2, v1
	s_delay_alu instid0(VALU_DEP_1)
	v_add_co_ci_u32_e64 v10, s1, s3, v2, s1
	s_and_saveexec_b32 s1, s0
	s_cbranch_execz .LBB928_5
; %bb.4:
	v_ashrrev_i32_e32 v1, 31, v0
	s_delay_alu instid0(VALU_DEP_1) | instskip(NEXT) | instid1(VALU_DEP_1)
	v_lshlrev_b64 v[1:2], 2, v[0:1]
	v_add_co_u32 v1, s0, v5, v1
	s_delay_alu instid0(VALU_DEP_1)
	v_add_co_ci_u32_e64 v2, s0, v10, v2, s0
	global_load_b32 v3, v[1:2], off
	s_waitcnt vmcnt(0)
	v_add_f32_e32 v3, v9, v3
	global_store_b32 v[1:2], v3, off
.LBB928_5:
	s_or_b32 exec_lo, exec_lo, s1
	v_add_nc_u32_e32 v2, 16, v0
	s_delay_alu instid0(VALU_DEP_1) | instskip(SKIP_1) | instid1(VALU_DEP_1)
	v_cmp_le_i32_e64 s1, v6, v2
	v_cmp_gt_i32_e64 s0, s9, v2
	s_and_b32 s1, s1, s0
	s_delay_alu instid0(SALU_CYCLE_1)
	s_and_saveexec_b32 s6, s1
	s_cbranch_execz .LBB928_7
; %bb.6:
	v_ashrrev_i32_e32 v3, 31, v2
	s_delay_alu instid0(VALU_DEP_1) | instskip(NEXT) | instid1(VALU_DEP_1)
	v_lshlrev_b64 v[11:12], 2, v[2:3]
	v_add_co_u32 v9, s1, v5, v11
	s_delay_alu instid0(VALU_DEP_1)
	v_add_co_ci_u32_e64 v10, s1, v10, v12, s1
	global_load_b32 v1, v[9:10], off
	s_waitcnt vmcnt(0)
	v_add_f32_e32 v1, v8, v1
	global_store_b32 v[9:10], v1, off
.LBB928_7:
	s_or_b32 exec_lo, exec_lo, s6
	v_add_nc_u32_e32 v3, 16, v6
	s_delay_alu instid0(VALU_DEP_1) | instskip(SKIP_3) | instid1(VALU_DEP_4)
	v_ashrrev_i32_e32 v1, 31, v3
	v_mul_lo_u32 v8, v3, s5
	v_mad_u64_u32 v[5:6], null, v3, s4, 0
	v_cmp_le_i32_e64 s1, v3, v0
	v_mul_lo_u32 v1, v1, s4
	s_delay_alu instid0(VALU_DEP_1) | instskip(NEXT) | instid1(VALU_DEP_1)
	v_add3_u32 v6, v6, v8, v1
	v_lshlrev_b64 v[5:6], 2, v[5:6]
	s_delay_alu instid0(VALU_DEP_1) | instskip(NEXT) | instid1(VALU_DEP_1)
	v_add_co_u32 v5, s2, s2, v5
	v_add_co_ci_u32_e64 v6, s2, s3, v6, s2
	s_and_b32 s2, s1, vcc_lo
	s_delay_alu instid0(SALU_CYCLE_1)
	s_and_saveexec_b32 s1, s2
	s_cbranch_execz .LBB928_9
; %bb.8:
	v_ashrrev_i32_e32 v1, 31, v0
	s_delay_alu instid0(VALU_DEP_1) | instskip(NEXT) | instid1(VALU_DEP_1)
	v_lshlrev_b64 v[0:1], 2, v[0:1]
	v_add_co_u32 v0, vcc_lo, v5, v0
	s_delay_alu instid0(VALU_DEP_2)
	v_add_co_ci_u32_e32 v1, vcc_lo, v6, v1, vcc_lo
	global_load_b32 v8, v[0:1], off
	s_waitcnt vmcnt(0)
	v_add_f32_e32 v7, v7, v8
	global_store_b32 v[0:1], v7, off
.LBB928_9:
	s_or_b32 exec_lo, exec_lo, s1
	v_cmp_le_i32_e32 vcc_lo, v3, v2
	s_and_b32 s0, vcc_lo, s0
	s_delay_alu instid0(SALU_CYCLE_1)
	s_and_saveexec_b32 s1, s0
	s_cbranch_execz .LBB928_11
; %bb.10:
	v_ashrrev_i32_e32 v3, 31, v2
	s_delay_alu instid0(VALU_DEP_1) | instskip(NEXT) | instid1(VALU_DEP_1)
	v_lshlrev_b64 v[0:1], 2, v[2:3]
	v_add_co_u32 v0, vcc_lo, v5, v0
	s_delay_alu instid0(VALU_DEP_2)
	v_add_co_ci_u32_e32 v1, vcc_lo, v6, v1, vcc_lo
	global_load_b32 v2, v[0:1], off
	s_waitcnt vmcnt(0)
	v_add_f32_e32 v2, v4, v2
	global_store_b32 v[0:1], v2, off
.LBB928_11:
	s_nop 0
	s_sendmsg sendmsg(MSG_DEALLOC_VGPRS)
	s_endpgm
	.section	.rodata,"a",@progbits
	.p2align	6, 0x0
	.amdhsa_kernel _ZL37rocblas_syrkx_herkx_restricted_kernelIlfLi16ELi32ELi8ELi1ELi1ELb0ELc78ELc76EKffEviT_PT9_S1_lS3_S1_lPT10_S1_li
		.amdhsa_group_segment_fixed_size 2048
		.amdhsa_private_segment_fixed_size 0
		.amdhsa_kernarg_size 92
		.amdhsa_user_sgpr_count 13
		.amdhsa_user_sgpr_dispatch_ptr 0
		.amdhsa_user_sgpr_queue_ptr 0
		.amdhsa_user_sgpr_kernarg_segment_ptr 1
		.amdhsa_user_sgpr_dispatch_id 0
		.amdhsa_user_sgpr_private_segment_size 0
		.amdhsa_wavefront_size32 1
		.amdhsa_uses_dynamic_stack 0
		.amdhsa_enable_private_segment 0
		.amdhsa_system_sgpr_workgroup_id_x 1
		.amdhsa_system_sgpr_workgroup_id_y 1
		.amdhsa_system_sgpr_workgroup_id_z 1
		.amdhsa_system_sgpr_workgroup_info 0
		.amdhsa_system_vgpr_workitem_id 1
		.amdhsa_next_free_vgpr 46
		.amdhsa_next_free_sgpr 32
		.amdhsa_reserve_vcc 1
		.amdhsa_float_round_mode_32 0
		.amdhsa_float_round_mode_16_64 0
		.amdhsa_float_denorm_mode_32 3
		.amdhsa_float_denorm_mode_16_64 3
		.amdhsa_dx10_clamp 1
		.amdhsa_ieee_mode 1
		.amdhsa_fp16_overflow 0
		.amdhsa_workgroup_processor_mode 1
		.amdhsa_memory_ordered 1
		.amdhsa_forward_progress 0
		.amdhsa_shared_vgpr_count 0
		.amdhsa_exception_fp_ieee_invalid_op 0
		.amdhsa_exception_fp_denorm_src 0
		.amdhsa_exception_fp_ieee_div_zero 0
		.amdhsa_exception_fp_ieee_overflow 0
		.amdhsa_exception_fp_ieee_underflow 0
		.amdhsa_exception_fp_ieee_inexact 0
		.amdhsa_exception_int_div_zero 0
	.end_amdhsa_kernel
	.section	.text._ZL37rocblas_syrkx_herkx_restricted_kernelIlfLi16ELi32ELi8ELi1ELi1ELb0ELc78ELc76EKffEviT_PT9_S1_lS3_S1_lPT10_S1_li,"axG",@progbits,_ZL37rocblas_syrkx_herkx_restricted_kernelIlfLi16ELi32ELi8ELi1ELi1ELb0ELc78ELc76EKffEviT_PT9_S1_lS3_S1_lPT10_S1_li,comdat
.Lfunc_end928:
	.size	_ZL37rocblas_syrkx_herkx_restricted_kernelIlfLi16ELi32ELi8ELi1ELi1ELb0ELc78ELc76EKffEviT_PT9_S1_lS3_S1_lPT10_S1_li, .Lfunc_end928-_ZL37rocblas_syrkx_herkx_restricted_kernelIlfLi16ELi32ELi8ELi1ELi1ELb0ELc78ELc76EKffEviT_PT9_S1_lS3_S1_lPT10_S1_li
                                        ; -- End function
	.section	.AMDGPU.csdata,"",@progbits
; Kernel info:
; codeLenInByte = 1304
; NumSgprs: 34
; NumVgprs: 46
; ScratchSize: 0
; MemoryBound: 0
; FloatMode: 240
; IeeeMode: 1
; LDSByteSize: 2048 bytes/workgroup (compile time only)
; SGPRBlocks: 4
; VGPRBlocks: 5
; NumSGPRsForWavesPerEU: 34
; NumVGPRsForWavesPerEU: 46
; Occupancy: 16
; WaveLimiterHint : 1
; COMPUTE_PGM_RSRC2:SCRATCH_EN: 0
; COMPUTE_PGM_RSRC2:USER_SGPR: 13
; COMPUTE_PGM_RSRC2:TRAP_HANDLER: 0
; COMPUTE_PGM_RSRC2:TGID_X_EN: 1
; COMPUTE_PGM_RSRC2:TGID_Y_EN: 1
; COMPUTE_PGM_RSRC2:TGID_Z_EN: 1
; COMPUTE_PGM_RSRC2:TIDIG_COMP_CNT: 1
	.section	.text._ZL37rocblas_syrkx_herkx_restricted_kernelIlfLi16ELi32ELi8ELi1ELi1ELb0ELc84ELc85EKffEviT_PT9_S1_lS3_S1_lPT10_S1_li,"axG",@progbits,_ZL37rocblas_syrkx_herkx_restricted_kernelIlfLi16ELi32ELi8ELi1ELi1ELb0ELc84ELc85EKffEviT_PT9_S1_lS3_S1_lPT10_S1_li,comdat
	.globl	_ZL37rocblas_syrkx_herkx_restricted_kernelIlfLi16ELi32ELi8ELi1ELi1ELb0ELc84ELc85EKffEviT_PT9_S1_lS3_S1_lPT10_S1_li ; -- Begin function _ZL37rocblas_syrkx_herkx_restricted_kernelIlfLi16ELi32ELi8ELi1ELi1ELb0ELc84ELc85EKffEviT_PT9_S1_lS3_S1_lPT10_S1_li
	.p2align	8
	.type	_ZL37rocblas_syrkx_herkx_restricted_kernelIlfLi16ELi32ELi8ELi1ELi1ELb0ELc84ELc85EKffEviT_PT9_S1_lS3_S1_lPT10_S1_li,@function
_ZL37rocblas_syrkx_herkx_restricted_kernelIlfLi16ELi32ELi8ELi1ELi1ELb0ELc84ELc85EKffEviT_PT9_S1_lS3_S1_lPT10_S1_li: ; @_ZL37rocblas_syrkx_herkx_restricted_kernelIlfLi16ELi32ELi8ELi1ELi1ELb0ELc84ELc85EKffEviT_PT9_S1_lS3_S1_lPT10_S1_li
; %bb.0:
	s_load_b512 s[16:31], s[0:1], 0x8
	v_dual_mov_b32 v10, 0 :: v_dual_mov_b32 v9, 0
	v_dual_mov_b32 v6, 0 :: v_dual_and_b32 v7, 0x3ff, v0
	v_bfe_u32 v8, v0, 10, 10
	v_mov_b32_e32 v1, 0
	s_lshl_b32 s8, s13, 5
	s_lshl_b32 s9, s14, 5
	s_waitcnt lgkmcnt(0)
	v_cmp_lt_i64_e64 s2, s[16:17], 1
	s_delay_alu instid0(VALU_DEP_1)
	s_and_b32 vcc_lo, exec_lo, s2
	s_cbranch_vccnz .LBB929_3
; %bb.1:
	v_lshl_add_u32 v2, v8, 4, v7
	v_dual_mov_b32 v1, 0 :: v_dual_and_b32 v0, 7, v7
	s_mul_i32 s3, s23, s15
	s_mul_hi_u32 s4, s22, s15
	s_delay_alu instid0(VALU_DEP_2)
	v_and_b32_e32 v6, 31, v2
	v_lshrrev_b32_e32 v12, 3, v2
	v_mov_b32_e32 v3, v1
	v_lshrrev_b32_e32 v2, 5, v2
	v_lshlrev_b32_e32 v14, 2, v0
	v_add_nc_u32_e32 v9, s8, v6
	v_add_nc_u32_e32 v13, s9, v12
	s_mul_i32 s2, s22, s15
	s_add_i32 s3, s4, s3
	s_mul_hi_u32 s5, s28, s15
	v_ashrrev_i32_e32 v10, 31, v9
	v_ashrrev_i32_e32 v15, 31, v13
	v_mad_u64_u32 v[4:5], null, s20, v9, v[2:3]
	v_mul_lo_u32 v3, s21, v9
	s_delay_alu instid0(VALU_DEP_4)
	v_mul_lo_u32 v16, s20, v10
	v_mul_lo_u32 v17, v13, s27
	v_mad_u64_u32 v[9:10], null, v13, s26, v[0:1]
	v_mul_lo_u32 v13, v15, s26
	v_lshlrev_b32_e32 v0, 2, v6
	s_lshl_b64 s[2:3], s[2:3], 2
	v_lshlrev_b32_e32 v11, 2, v7
	v_add3_u32 v5, v3, v5, v16
	s_add_u32 s4, s18, s2
	v_lshl_or_b32 v0, v2, 7, v0
	s_mul_i32 s2, s29, s15
	v_add3_u32 v10, v13, v10, v17
	v_lshlrev_b64 v[2:3], 2, v[4:5]
	s_addc_u32 s6, s19, s3
	s_add_i32 s3, s5, s2
	s_mul_i32 s2, s28, s15
	v_lshlrev_b64 v[4:5], 2, v[9:10]
	s_lshl_b64 s[2:3], s[2:3], 2
	v_add_co_u32 v2, vcc_lo, s4, v2
	v_mov_b32_e32 v9, v1
	v_lshl_or_b32 v6, v12, 5, v14
	s_add_u32 s2, s24, s2
	v_add_co_ci_u32_e32 v3, vcc_lo, s6, v3, vcc_lo
	s_addc_u32 s3, s25, s3
	v_add_co_u32 v4, vcc_lo, s2, v4
	v_add_nc_u32_e32 v12, 0x400, v6
	v_mov_b32_e32 v6, v1
	v_lshl_add_u32 v13, v8, 5, 0x400
	v_add_co_ci_u32_e32 v5, vcc_lo, s3, v5, vcc_lo
	v_mov_b32_e32 v10, v1
	s_mov_b64 s[2:3], 0
.LBB929_2:                              ; =>This Inner Loop Header: Depth=1
	global_load_b32 v14, v[2:3], off
	global_load_b32 v15, v[4:5], off
	s_add_u32 s2, s2, 8
	v_add_co_u32 v2, vcc_lo, v2, 32
	s_addc_u32 s3, s3, 0
	v_add_co_ci_u32_e32 v3, vcc_lo, 0, v3, vcc_lo
	v_cmp_ge_u64_e64 s4, s[2:3], s[16:17]
	v_add_co_u32 v4, vcc_lo, v4, 32
	v_add_co_ci_u32_e32 v5, vcc_lo, 0, v5, vcc_lo
	s_waitcnt vmcnt(1)
	ds_store_b32 v0, v14
	s_waitcnt vmcnt(0)
	ds_store_b32 v12, v15
	s_waitcnt lgkmcnt(0)
	s_barrier
	buffer_gl0_inv
	ds_load_2addr_b32 v[30:31], v11 offset1:16
	ds_load_b128 v[14:17], v13
	ds_load_b128 v[18:21], v13 offset:512
	ds_load_2addr_b32 v[32:33], v11 offset0:32 offset1:48
	ds_load_2addr_b32 v[34:35], v11 offset0:64 offset1:80
	ds_load_b128 v[22:25], v13 offset:16
	ds_load_2addr_b32 v[36:37], v11 offset0:96 offset1:112
	ds_load_2addr_b32 v[38:39], v11 offset0:128 offset1:144
	;; [unrolled: 3-line block ×3, first 2 shown]
	ds_load_2addr_b32 v[44:45], v11 offset0:224 offset1:240
	s_and_b32 vcc_lo, exec_lo, s4
	s_waitcnt lgkmcnt(0)
	s_barrier
	buffer_gl0_inv
	v_fmac_f32_e32 v9, v31, v14
	v_fmac_f32_e32 v10, v30, v14
	;; [unrolled: 1-line block ×3, first 2 shown]
	s_delay_alu instid0(VALU_DEP_3) | instskip(NEXT) | instid1(VALU_DEP_3)
	v_dual_fmac_f32 v6, v30, v18 :: v_dual_fmac_f32 v9, v33, v15
	v_fmac_f32_e32 v10, v32, v15
	s_delay_alu instid0(VALU_DEP_3) | instskip(NEXT) | instid1(VALU_DEP_3)
	v_fmac_f32_e32 v1, v33, v19
	v_dual_fmac_f32 v6, v32, v19 :: v_dual_fmac_f32 v9, v35, v16
	s_delay_alu instid0(VALU_DEP_3) | instskip(NEXT) | instid1(VALU_DEP_3)
	v_fmac_f32_e32 v10, v34, v16
	v_fmac_f32_e32 v1, v35, v20
	s_delay_alu instid0(VALU_DEP_3) | instskip(NEXT) | instid1(VALU_DEP_3)
	v_dual_fmac_f32 v6, v34, v20 :: v_dual_fmac_f32 v9, v37, v17
	v_fmac_f32_e32 v10, v36, v17
	s_delay_alu instid0(VALU_DEP_3) | instskip(NEXT) | instid1(VALU_DEP_3)
	v_fmac_f32_e32 v1, v37, v21
	v_dual_fmac_f32 v6, v36, v21 :: v_dual_fmac_f32 v9, v39, v22
	s_delay_alu instid0(VALU_DEP_3) | instskip(NEXT) | instid1(VALU_DEP_3)
	v_fmac_f32_e32 v10, v38, v22
	v_fmac_f32_e32 v1, v39, v26
	;; [unrolled: 9-line block ×3, first 2 shown]
	s_delay_alu instid0(VALU_DEP_3) | instskip(NEXT) | instid1(VALU_DEP_3)
	v_dual_fmac_f32 v6, v42, v28 :: v_dual_fmac_f32 v9, v45, v25
	v_fmac_f32_e32 v10, v44, v25
	s_delay_alu instid0(VALU_DEP_3) | instskip(NEXT) | instid1(VALU_DEP_3)
	v_fmac_f32_e32 v1, v45, v29
	v_fmac_f32_e32 v6, v44, v29
	s_cbranch_vccz .LBB929_2
.LBB929_3:
	s_clause 0x1
	s_load_b128 s[4:7], s[0:1], 0x48
	s_load_b32 s2, s[0:1], 0x0
	v_add_nc_u32_e32 v0, s9, v8
	s_delay_alu instid0(VALU_DEP_1) | instskip(SKIP_1) | instid1(VALU_DEP_1)
	v_ashrrev_i32_e32 v2, 31, v0
	s_waitcnt lgkmcnt(0)
	v_mul_lo_u32 v5, v2, s4
	v_mul_lo_u32 v8, v0, s5
	v_mad_u64_u32 v[3:4], null, v0, s4, 0
	s_mul_i32 s1, s15, s7
	s_mul_hi_u32 s3, s15, s6
	s_mul_i32 s6, s15, s6
	s_add_i32 s7, s3, s1
	v_add_nc_u32_e32 v2, s8, v7
	s_lshl_b64 s[6:7], s[6:7], 2
	s_delay_alu instid0(VALU_DEP_2)
	v_add3_u32 v4, v4, v8, v5
	s_add_u32 s3, s30, s6
	v_cmp_gt_i32_e32 vcc_lo, s2, v0
	v_cmp_le_i32_e64 s0, v2, v0
	s_addc_u32 s6, s31, s7
	v_lshlrev_b64 v[3:4], 2, v[3:4]
	s_delay_alu instid0(VALU_DEP_2) | instskip(NEXT) | instid1(VALU_DEP_1)
	s_and_b32 s0, vcc_lo, s0
	v_add_co_u32 v7, s1, s3, v3
	s_delay_alu instid0(VALU_DEP_1)
	v_add_co_ci_u32_e64 v8, s1, s6, v4, s1
	s_and_saveexec_b32 s1, s0
	s_cbranch_execz .LBB929_5
; %bb.4:
	v_ashrrev_i32_e32 v3, 31, v2
	s_delay_alu instid0(VALU_DEP_1) | instskip(NEXT) | instid1(VALU_DEP_1)
	v_lshlrev_b64 v[3:4], 2, v[2:3]
	v_add_co_u32 v3, s0, v7, v3
	s_delay_alu instid0(VALU_DEP_1)
	v_add_co_ci_u32_e64 v4, s0, v8, v4, s0
	global_load_b32 v5, v[3:4], off
	s_waitcnt vmcnt(0)
	v_add_f32_e32 v5, v10, v5
	global_store_b32 v[3:4], v5, off
.LBB929_5:
	s_or_b32 exec_lo, exec_lo, s1
	v_add_nc_u32_e32 v4, 16, v2
	s_delay_alu instid0(VALU_DEP_1) | instskip(NEXT) | instid1(VALU_DEP_1)
	v_cmp_le_i32_e64 s0, v4, v0
	s_and_b32 s1, vcc_lo, s0
	s_delay_alu instid0(SALU_CYCLE_1)
	s_and_saveexec_b32 s0, s1
	s_cbranch_execz .LBB929_7
; %bb.6:
	v_ashrrev_i32_e32 v5, 31, v4
	s_delay_alu instid0(VALU_DEP_1) | instskip(NEXT) | instid1(VALU_DEP_1)
	v_lshlrev_b64 v[10:11], 2, v[4:5]
	v_add_co_u32 v7, vcc_lo, v7, v10
	s_delay_alu instid0(VALU_DEP_2)
	v_add_co_ci_u32_e32 v8, vcc_lo, v8, v11, vcc_lo
	global_load_b32 v3, v[7:8], off
	s_waitcnt vmcnt(0)
	v_add_f32_e32 v3, v9, v3
	global_store_b32 v[7:8], v3, off
.LBB929_7:
	s_or_b32 exec_lo, exec_lo, s0
	v_add_nc_u32_e32 v0, 16, v0
	s_delay_alu instid0(VALU_DEP_1) | instskip(SKIP_3) | instid1(VALU_DEP_4)
	v_ashrrev_i32_e32 v3, 31, v0
	v_mul_lo_u32 v5, v0, s5
	v_mad_u64_u32 v[7:8], null, v0, s4, 0
	v_cmp_gt_i32_e32 vcc_lo, s2, v0
	v_mul_lo_u32 v3, v3, s4
	v_cmp_le_i32_e64 s0, v2, v0
	s_delay_alu instid0(VALU_DEP_1) | instskip(NEXT) | instid1(VALU_DEP_2)
	s_and_b32 s0, vcc_lo, s0
	v_add3_u32 v8, v8, v5, v3
	s_delay_alu instid0(VALU_DEP_1) | instskip(NEXT) | instid1(VALU_DEP_1)
	v_lshlrev_b64 v[7:8], 2, v[7:8]
	v_add_co_u32 v7, s1, s3, v7
	s_delay_alu instid0(VALU_DEP_1)
	v_add_co_ci_u32_e64 v8, s1, s6, v8, s1
	s_and_saveexec_b32 s1, s0
	s_cbranch_execz .LBB929_9
; %bb.8:
	v_ashrrev_i32_e32 v3, 31, v2
	s_delay_alu instid0(VALU_DEP_1) | instskip(NEXT) | instid1(VALU_DEP_1)
	v_lshlrev_b64 v[2:3], 2, v[2:3]
	v_add_co_u32 v2, s0, v7, v2
	s_delay_alu instid0(VALU_DEP_1)
	v_add_co_ci_u32_e64 v3, s0, v8, v3, s0
	global_load_b32 v5, v[2:3], off
	s_waitcnt vmcnt(0)
	v_add_f32_e32 v5, v6, v5
	global_store_b32 v[2:3], v5, off
.LBB929_9:
	s_or_b32 exec_lo, exec_lo, s1
	v_cmp_le_i32_e64 s0, v4, v0
	s_delay_alu instid0(VALU_DEP_1) | instskip(NEXT) | instid1(SALU_CYCLE_1)
	s_and_b32 s0, vcc_lo, s0
	s_and_saveexec_b32 s1, s0
	s_cbranch_execz .LBB929_11
; %bb.10:
	v_ashrrev_i32_e32 v5, 31, v4
	s_delay_alu instid0(VALU_DEP_1) | instskip(NEXT) | instid1(VALU_DEP_1)
	v_lshlrev_b64 v[2:3], 2, v[4:5]
	v_add_co_u32 v2, vcc_lo, v7, v2
	s_delay_alu instid0(VALU_DEP_2)
	v_add_co_ci_u32_e32 v3, vcc_lo, v8, v3, vcc_lo
	global_load_b32 v0, v[2:3], off
	s_waitcnt vmcnt(0)
	v_add_f32_e32 v0, v1, v0
	global_store_b32 v[2:3], v0, off
.LBB929_11:
	s_nop 0
	s_sendmsg sendmsg(MSG_DEALLOC_VGPRS)
	s_endpgm
	.section	.rodata,"a",@progbits
	.p2align	6, 0x0
	.amdhsa_kernel _ZL37rocblas_syrkx_herkx_restricted_kernelIlfLi16ELi32ELi8ELi1ELi1ELb0ELc84ELc85EKffEviT_PT9_S1_lS3_S1_lPT10_S1_li
		.amdhsa_group_segment_fixed_size 2048
		.amdhsa_private_segment_fixed_size 0
		.amdhsa_kernarg_size 92
		.amdhsa_user_sgpr_count 13
		.amdhsa_user_sgpr_dispatch_ptr 0
		.amdhsa_user_sgpr_queue_ptr 0
		.amdhsa_user_sgpr_kernarg_segment_ptr 1
		.amdhsa_user_sgpr_dispatch_id 0
		.amdhsa_user_sgpr_private_segment_size 0
		.amdhsa_wavefront_size32 1
		.amdhsa_uses_dynamic_stack 0
		.amdhsa_enable_private_segment 0
		.amdhsa_system_sgpr_workgroup_id_x 1
		.amdhsa_system_sgpr_workgroup_id_y 1
		.amdhsa_system_sgpr_workgroup_id_z 1
		.amdhsa_system_sgpr_workgroup_info 0
		.amdhsa_system_vgpr_workitem_id 1
		.amdhsa_next_free_vgpr 46
		.amdhsa_next_free_sgpr 32
		.amdhsa_reserve_vcc 1
		.amdhsa_float_round_mode_32 0
		.amdhsa_float_round_mode_16_64 0
		.amdhsa_float_denorm_mode_32 3
		.amdhsa_float_denorm_mode_16_64 3
		.amdhsa_dx10_clamp 1
		.amdhsa_ieee_mode 1
		.amdhsa_fp16_overflow 0
		.amdhsa_workgroup_processor_mode 1
		.amdhsa_memory_ordered 1
		.amdhsa_forward_progress 0
		.amdhsa_shared_vgpr_count 0
		.amdhsa_exception_fp_ieee_invalid_op 0
		.amdhsa_exception_fp_denorm_src 0
		.amdhsa_exception_fp_ieee_div_zero 0
		.amdhsa_exception_fp_ieee_overflow 0
		.amdhsa_exception_fp_ieee_underflow 0
		.amdhsa_exception_fp_ieee_inexact 0
		.amdhsa_exception_int_div_zero 0
	.end_amdhsa_kernel
	.section	.text._ZL37rocblas_syrkx_herkx_restricted_kernelIlfLi16ELi32ELi8ELi1ELi1ELb0ELc84ELc85EKffEviT_PT9_S1_lS3_S1_lPT10_S1_li,"axG",@progbits,_ZL37rocblas_syrkx_herkx_restricted_kernelIlfLi16ELi32ELi8ELi1ELi1ELb0ELc84ELc85EKffEviT_PT9_S1_lS3_S1_lPT10_S1_li,comdat
.Lfunc_end929:
	.size	_ZL37rocblas_syrkx_herkx_restricted_kernelIlfLi16ELi32ELi8ELi1ELi1ELb0ELc84ELc85EKffEviT_PT9_S1_lS3_S1_lPT10_S1_li, .Lfunc_end929-_ZL37rocblas_syrkx_herkx_restricted_kernelIlfLi16ELi32ELi8ELi1ELi1ELb0ELc84ELc85EKffEviT_PT9_S1_lS3_S1_lPT10_S1_li
                                        ; -- End function
	.section	.AMDGPU.csdata,"",@progbits
; Kernel info:
; codeLenInByte = 1316
; NumSgprs: 34
; NumVgprs: 46
; ScratchSize: 0
; MemoryBound: 0
; FloatMode: 240
; IeeeMode: 1
; LDSByteSize: 2048 bytes/workgroup (compile time only)
; SGPRBlocks: 4
; VGPRBlocks: 5
; NumSGPRsForWavesPerEU: 34
; NumVGPRsForWavesPerEU: 46
; Occupancy: 16
; WaveLimiterHint : 1
; COMPUTE_PGM_RSRC2:SCRATCH_EN: 0
; COMPUTE_PGM_RSRC2:USER_SGPR: 13
; COMPUTE_PGM_RSRC2:TRAP_HANDLER: 0
; COMPUTE_PGM_RSRC2:TGID_X_EN: 1
; COMPUTE_PGM_RSRC2:TGID_Y_EN: 1
; COMPUTE_PGM_RSRC2:TGID_Z_EN: 1
; COMPUTE_PGM_RSRC2:TIDIG_COMP_CNT: 1
	.section	.text._ZL37rocblas_syrkx_herkx_restricted_kernelIlfLi16ELi32ELi8ELi1ELi1ELb0ELc67ELc85EKffEviT_PT9_S1_lS3_S1_lPT10_S1_li,"axG",@progbits,_ZL37rocblas_syrkx_herkx_restricted_kernelIlfLi16ELi32ELi8ELi1ELi1ELb0ELc67ELc85EKffEviT_PT9_S1_lS3_S1_lPT10_S1_li,comdat
	.globl	_ZL37rocblas_syrkx_herkx_restricted_kernelIlfLi16ELi32ELi8ELi1ELi1ELb0ELc67ELc85EKffEviT_PT9_S1_lS3_S1_lPT10_S1_li ; -- Begin function _ZL37rocblas_syrkx_herkx_restricted_kernelIlfLi16ELi32ELi8ELi1ELi1ELb0ELc67ELc85EKffEviT_PT9_S1_lS3_S1_lPT10_S1_li
	.p2align	8
	.type	_ZL37rocblas_syrkx_herkx_restricted_kernelIlfLi16ELi32ELi8ELi1ELi1ELb0ELc67ELc85EKffEviT_PT9_S1_lS3_S1_lPT10_S1_li,@function
_ZL37rocblas_syrkx_herkx_restricted_kernelIlfLi16ELi32ELi8ELi1ELi1ELb0ELc67ELc85EKffEviT_PT9_S1_lS3_S1_lPT10_S1_li: ; @_ZL37rocblas_syrkx_herkx_restricted_kernelIlfLi16ELi32ELi8ELi1ELi1ELb0ELc67ELc85EKffEviT_PT9_S1_lS3_S1_lPT10_S1_li
; %bb.0:
	s_load_b512 s[16:31], s[0:1], 0x8
	v_dual_mov_b32 v10, 0 :: v_dual_mov_b32 v9, 0
	v_dual_mov_b32 v6, 0 :: v_dual_and_b32 v7, 0x3ff, v0
	v_bfe_u32 v8, v0, 10, 10
	v_mov_b32_e32 v1, 0
	s_lshl_b32 s8, s13, 5
	s_lshl_b32 s9, s14, 5
	s_waitcnt lgkmcnt(0)
	v_cmp_lt_i64_e64 s2, s[16:17], 1
	s_delay_alu instid0(VALU_DEP_1)
	s_and_b32 vcc_lo, exec_lo, s2
	s_cbranch_vccnz .LBB930_3
; %bb.1:
	v_lshl_add_u32 v2, v8, 4, v7
	v_dual_mov_b32 v1, 0 :: v_dual_and_b32 v0, 7, v7
	s_mul_i32 s3, s23, s15
	s_mul_hi_u32 s4, s22, s15
	s_delay_alu instid0(VALU_DEP_2)
	v_and_b32_e32 v6, 31, v2
	v_lshrrev_b32_e32 v12, 3, v2
	v_mov_b32_e32 v3, v1
	v_lshrrev_b32_e32 v2, 5, v2
	v_lshlrev_b32_e32 v14, 2, v0
	v_add_nc_u32_e32 v9, s8, v6
	v_add_nc_u32_e32 v13, s9, v12
	s_mul_i32 s2, s22, s15
	s_add_i32 s3, s4, s3
	s_mul_hi_u32 s5, s28, s15
	v_ashrrev_i32_e32 v10, 31, v9
	v_ashrrev_i32_e32 v15, 31, v13
	v_mad_u64_u32 v[4:5], null, s20, v9, v[2:3]
	v_mul_lo_u32 v3, s21, v9
	s_delay_alu instid0(VALU_DEP_4)
	v_mul_lo_u32 v16, s20, v10
	v_mul_lo_u32 v17, v13, s27
	v_mad_u64_u32 v[9:10], null, v13, s26, v[0:1]
	v_mul_lo_u32 v13, v15, s26
	v_lshlrev_b32_e32 v0, 2, v6
	s_lshl_b64 s[2:3], s[2:3], 2
	v_lshlrev_b32_e32 v11, 2, v7
	v_add3_u32 v5, v3, v5, v16
	s_add_u32 s4, s18, s2
	v_lshl_or_b32 v0, v2, 7, v0
	s_mul_i32 s2, s29, s15
	v_add3_u32 v10, v13, v10, v17
	v_lshlrev_b64 v[2:3], 2, v[4:5]
	s_addc_u32 s6, s19, s3
	s_add_i32 s3, s5, s2
	s_mul_i32 s2, s28, s15
	v_lshlrev_b64 v[4:5], 2, v[9:10]
	s_lshl_b64 s[2:3], s[2:3], 2
	v_add_co_u32 v2, vcc_lo, s4, v2
	v_mov_b32_e32 v9, v1
	v_lshl_or_b32 v6, v12, 5, v14
	s_add_u32 s2, s24, s2
	v_add_co_ci_u32_e32 v3, vcc_lo, s6, v3, vcc_lo
	s_addc_u32 s3, s25, s3
	v_add_co_u32 v4, vcc_lo, s2, v4
	v_add_nc_u32_e32 v12, 0x400, v6
	v_mov_b32_e32 v6, v1
	v_lshl_add_u32 v13, v8, 5, 0x400
	v_add_co_ci_u32_e32 v5, vcc_lo, s3, v5, vcc_lo
	v_mov_b32_e32 v10, v1
	s_mov_b64 s[2:3], 0
.LBB930_2:                              ; =>This Inner Loop Header: Depth=1
	global_load_b32 v14, v[2:3], off
	global_load_b32 v15, v[4:5], off
	s_add_u32 s2, s2, 8
	v_add_co_u32 v2, vcc_lo, v2, 32
	s_addc_u32 s3, s3, 0
	v_add_co_ci_u32_e32 v3, vcc_lo, 0, v3, vcc_lo
	v_cmp_ge_u64_e64 s4, s[2:3], s[16:17]
	v_add_co_u32 v4, vcc_lo, v4, 32
	v_add_co_ci_u32_e32 v5, vcc_lo, 0, v5, vcc_lo
	s_waitcnt vmcnt(1)
	ds_store_b32 v0, v14
	s_waitcnt vmcnt(0)
	ds_store_b32 v12, v15
	s_waitcnt lgkmcnt(0)
	s_barrier
	buffer_gl0_inv
	ds_load_2addr_b32 v[30:31], v11 offset1:16
	ds_load_b128 v[14:17], v13
	ds_load_b128 v[18:21], v13 offset:512
	ds_load_2addr_b32 v[32:33], v11 offset0:32 offset1:48
	ds_load_2addr_b32 v[34:35], v11 offset0:64 offset1:80
	ds_load_b128 v[22:25], v13 offset:16
	ds_load_2addr_b32 v[36:37], v11 offset0:96 offset1:112
	ds_load_2addr_b32 v[38:39], v11 offset0:128 offset1:144
	;; [unrolled: 3-line block ×3, first 2 shown]
	ds_load_2addr_b32 v[44:45], v11 offset0:224 offset1:240
	s_and_b32 vcc_lo, exec_lo, s4
	s_waitcnt lgkmcnt(0)
	s_barrier
	buffer_gl0_inv
	v_fmac_f32_e32 v9, v31, v14
	v_fmac_f32_e32 v10, v30, v14
	;; [unrolled: 1-line block ×3, first 2 shown]
	s_delay_alu instid0(VALU_DEP_3) | instskip(NEXT) | instid1(VALU_DEP_3)
	v_dual_fmac_f32 v6, v30, v18 :: v_dual_fmac_f32 v9, v33, v15
	v_fmac_f32_e32 v10, v32, v15
	s_delay_alu instid0(VALU_DEP_3) | instskip(NEXT) | instid1(VALU_DEP_3)
	v_fmac_f32_e32 v1, v33, v19
	v_dual_fmac_f32 v6, v32, v19 :: v_dual_fmac_f32 v9, v35, v16
	s_delay_alu instid0(VALU_DEP_3) | instskip(NEXT) | instid1(VALU_DEP_3)
	v_fmac_f32_e32 v10, v34, v16
	v_fmac_f32_e32 v1, v35, v20
	s_delay_alu instid0(VALU_DEP_3) | instskip(NEXT) | instid1(VALU_DEP_3)
	v_dual_fmac_f32 v6, v34, v20 :: v_dual_fmac_f32 v9, v37, v17
	v_fmac_f32_e32 v10, v36, v17
	s_delay_alu instid0(VALU_DEP_3) | instskip(NEXT) | instid1(VALU_DEP_3)
	v_fmac_f32_e32 v1, v37, v21
	v_dual_fmac_f32 v6, v36, v21 :: v_dual_fmac_f32 v9, v39, v22
	s_delay_alu instid0(VALU_DEP_3) | instskip(NEXT) | instid1(VALU_DEP_3)
	v_fmac_f32_e32 v10, v38, v22
	v_fmac_f32_e32 v1, v39, v26
	;; [unrolled: 9-line block ×3, first 2 shown]
	s_delay_alu instid0(VALU_DEP_3) | instskip(NEXT) | instid1(VALU_DEP_3)
	v_dual_fmac_f32 v6, v42, v28 :: v_dual_fmac_f32 v9, v45, v25
	v_fmac_f32_e32 v10, v44, v25
	s_delay_alu instid0(VALU_DEP_3) | instskip(NEXT) | instid1(VALU_DEP_3)
	v_fmac_f32_e32 v1, v45, v29
	v_fmac_f32_e32 v6, v44, v29
	s_cbranch_vccz .LBB930_2
.LBB930_3:
	s_clause 0x1
	s_load_b128 s[4:7], s[0:1], 0x48
	s_load_b32 s2, s[0:1], 0x0
	v_add_nc_u32_e32 v0, s9, v8
	s_delay_alu instid0(VALU_DEP_1) | instskip(SKIP_1) | instid1(VALU_DEP_1)
	v_ashrrev_i32_e32 v2, 31, v0
	s_waitcnt lgkmcnt(0)
	v_mul_lo_u32 v5, v2, s4
	v_mul_lo_u32 v8, v0, s5
	v_mad_u64_u32 v[3:4], null, v0, s4, 0
	s_mul_i32 s1, s15, s7
	s_mul_hi_u32 s3, s15, s6
	s_mul_i32 s6, s15, s6
	s_add_i32 s7, s3, s1
	v_add_nc_u32_e32 v2, s8, v7
	s_lshl_b64 s[6:7], s[6:7], 2
	s_delay_alu instid0(VALU_DEP_2)
	v_add3_u32 v4, v4, v8, v5
	s_add_u32 s3, s30, s6
	v_cmp_gt_i32_e32 vcc_lo, s2, v0
	v_cmp_le_i32_e64 s0, v2, v0
	s_addc_u32 s6, s31, s7
	v_lshlrev_b64 v[3:4], 2, v[3:4]
	s_delay_alu instid0(VALU_DEP_2) | instskip(NEXT) | instid1(VALU_DEP_1)
	s_and_b32 s0, vcc_lo, s0
	v_add_co_u32 v7, s1, s3, v3
	s_delay_alu instid0(VALU_DEP_1)
	v_add_co_ci_u32_e64 v8, s1, s6, v4, s1
	s_and_saveexec_b32 s1, s0
	s_cbranch_execz .LBB930_5
; %bb.4:
	v_ashrrev_i32_e32 v3, 31, v2
	s_delay_alu instid0(VALU_DEP_1) | instskip(NEXT) | instid1(VALU_DEP_1)
	v_lshlrev_b64 v[3:4], 2, v[2:3]
	v_add_co_u32 v3, s0, v7, v3
	s_delay_alu instid0(VALU_DEP_1)
	v_add_co_ci_u32_e64 v4, s0, v8, v4, s0
	global_load_b32 v5, v[3:4], off
	s_waitcnt vmcnt(0)
	v_add_f32_e32 v5, v10, v5
	global_store_b32 v[3:4], v5, off
.LBB930_5:
	s_or_b32 exec_lo, exec_lo, s1
	v_add_nc_u32_e32 v4, 16, v2
	s_delay_alu instid0(VALU_DEP_1) | instskip(NEXT) | instid1(VALU_DEP_1)
	v_cmp_le_i32_e64 s0, v4, v0
	s_and_b32 s1, vcc_lo, s0
	s_delay_alu instid0(SALU_CYCLE_1)
	s_and_saveexec_b32 s0, s1
	s_cbranch_execz .LBB930_7
; %bb.6:
	v_ashrrev_i32_e32 v5, 31, v4
	s_delay_alu instid0(VALU_DEP_1) | instskip(NEXT) | instid1(VALU_DEP_1)
	v_lshlrev_b64 v[10:11], 2, v[4:5]
	v_add_co_u32 v7, vcc_lo, v7, v10
	s_delay_alu instid0(VALU_DEP_2)
	v_add_co_ci_u32_e32 v8, vcc_lo, v8, v11, vcc_lo
	global_load_b32 v3, v[7:8], off
	s_waitcnt vmcnt(0)
	v_add_f32_e32 v3, v9, v3
	global_store_b32 v[7:8], v3, off
.LBB930_7:
	s_or_b32 exec_lo, exec_lo, s0
	v_add_nc_u32_e32 v0, 16, v0
	s_delay_alu instid0(VALU_DEP_1) | instskip(SKIP_3) | instid1(VALU_DEP_4)
	v_ashrrev_i32_e32 v3, 31, v0
	v_mul_lo_u32 v5, v0, s5
	v_mad_u64_u32 v[7:8], null, v0, s4, 0
	v_cmp_gt_i32_e32 vcc_lo, s2, v0
	v_mul_lo_u32 v3, v3, s4
	v_cmp_le_i32_e64 s0, v2, v0
	s_delay_alu instid0(VALU_DEP_1) | instskip(NEXT) | instid1(VALU_DEP_2)
	s_and_b32 s0, vcc_lo, s0
	v_add3_u32 v8, v8, v5, v3
	s_delay_alu instid0(VALU_DEP_1) | instskip(NEXT) | instid1(VALU_DEP_1)
	v_lshlrev_b64 v[7:8], 2, v[7:8]
	v_add_co_u32 v7, s1, s3, v7
	s_delay_alu instid0(VALU_DEP_1)
	v_add_co_ci_u32_e64 v8, s1, s6, v8, s1
	s_and_saveexec_b32 s1, s0
	s_cbranch_execz .LBB930_9
; %bb.8:
	v_ashrrev_i32_e32 v3, 31, v2
	s_delay_alu instid0(VALU_DEP_1) | instskip(NEXT) | instid1(VALU_DEP_1)
	v_lshlrev_b64 v[2:3], 2, v[2:3]
	v_add_co_u32 v2, s0, v7, v2
	s_delay_alu instid0(VALU_DEP_1)
	v_add_co_ci_u32_e64 v3, s0, v8, v3, s0
	global_load_b32 v5, v[2:3], off
	s_waitcnt vmcnt(0)
	v_add_f32_e32 v5, v6, v5
	global_store_b32 v[2:3], v5, off
.LBB930_9:
	s_or_b32 exec_lo, exec_lo, s1
	v_cmp_le_i32_e64 s0, v4, v0
	s_delay_alu instid0(VALU_DEP_1) | instskip(NEXT) | instid1(SALU_CYCLE_1)
	s_and_b32 s0, vcc_lo, s0
	s_and_saveexec_b32 s1, s0
	s_cbranch_execz .LBB930_11
; %bb.10:
	v_ashrrev_i32_e32 v5, 31, v4
	s_delay_alu instid0(VALU_DEP_1) | instskip(NEXT) | instid1(VALU_DEP_1)
	v_lshlrev_b64 v[2:3], 2, v[4:5]
	v_add_co_u32 v2, vcc_lo, v7, v2
	s_delay_alu instid0(VALU_DEP_2)
	v_add_co_ci_u32_e32 v3, vcc_lo, v8, v3, vcc_lo
	global_load_b32 v0, v[2:3], off
	s_waitcnt vmcnt(0)
	v_add_f32_e32 v0, v1, v0
	global_store_b32 v[2:3], v0, off
.LBB930_11:
	s_nop 0
	s_sendmsg sendmsg(MSG_DEALLOC_VGPRS)
	s_endpgm
	.section	.rodata,"a",@progbits
	.p2align	6, 0x0
	.amdhsa_kernel _ZL37rocblas_syrkx_herkx_restricted_kernelIlfLi16ELi32ELi8ELi1ELi1ELb0ELc67ELc85EKffEviT_PT9_S1_lS3_S1_lPT10_S1_li
		.amdhsa_group_segment_fixed_size 2048
		.amdhsa_private_segment_fixed_size 0
		.amdhsa_kernarg_size 92
		.amdhsa_user_sgpr_count 13
		.amdhsa_user_sgpr_dispatch_ptr 0
		.amdhsa_user_sgpr_queue_ptr 0
		.amdhsa_user_sgpr_kernarg_segment_ptr 1
		.amdhsa_user_sgpr_dispatch_id 0
		.amdhsa_user_sgpr_private_segment_size 0
		.amdhsa_wavefront_size32 1
		.amdhsa_uses_dynamic_stack 0
		.amdhsa_enable_private_segment 0
		.amdhsa_system_sgpr_workgroup_id_x 1
		.amdhsa_system_sgpr_workgroup_id_y 1
		.amdhsa_system_sgpr_workgroup_id_z 1
		.amdhsa_system_sgpr_workgroup_info 0
		.amdhsa_system_vgpr_workitem_id 1
		.amdhsa_next_free_vgpr 46
		.amdhsa_next_free_sgpr 32
		.amdhsa_reserve_vcc 1
		.amdhsa_float_round_mode_32 0
		.amdhsa_float_round_mode_16_64 0
		.amdhsa_float_denorm_mode_32 3
		.amdhsa_float_denorm_mode_16_64 3
		.amdhsa_dx10_clamp 1
		.amdhsa_ieee_mode 1
		.amdhsa_fp16_overflow 0
		.amdhsa_workgroup_processor_mode 1
		.amdhsa_memory_ordered 1
		.amdhsa_forward_progress 0
		.amdhsa_shared_vgpr_count 0
		.amdhsa_exception_fp_ieee_invalid_op 0
		.amdhsa_exception_fp_denorm_src 0
		.amdhsa_exception_fp_ieee_div_zero 0
		.amdhsa_exception_fp_ieee_overflow 0
		.amdhsa_exception_fp_ieee_underflow 0
		.amdhsa_exception_fp_ieee_inexact 0
		.amdhsa_exception_int_div_zero 0
	.end_amdhsa_kernel
	.section	.text._ZL37rocblas_syrkx_herkx_restricted_kernelIlfLi16ELi32ELi8ELi1ELi1ELb0ELc67ELc85EKffEviT_PT9_S1_lS3_S1_lPT10_S1_li,"axG",@progbits,_ZL37rocblas_syrkx_herkx_restricted_kernelIlfLi16ELi32ELi8ELi1ELi1ELb0ELc67ELc85EKffEviT_PT9_S1_lS3_S1_lPT10_S1_li,comdat
.Lfunc_end930:
	.size	_ZL37rocblas_syrkx_herkx_restricted_kernelIlfLi16ELi32ELi8ELi1ELi1ELb0ELc67ELc85EKffEviT_PT9_S1_lS3_S1_lPT10_S1_li, .Lfunc_end930-_ZL37rocblas_syrkx_herkx_restricted_kernelIlfLi16ELi32ELi8ELi1ELi1ELb0ELc67ELc85EKffEviT_PT9_S1_lS3_S1_lPT10_S1_li
                                        ; -- End function
	.section	.AMDGPU.csdata,"",@progbits
; Kernel info:
; codeLenInByte = 1316
; NumSgprs: 34
; NumVgprs: 46
; ScratchSize: 0
; MemoryBound: 0
; FloatMode: 240
; IeeeMode: 1
; LDSByteSize: 2048 bytes/workgroup (compile time only)
; SGPRBlocks: 4
; VGPRBlocks: 5
; NumSGPRsForWavesPerEU: 34
; NumVGPRsForWavesPerEU: 46
; Occupancy: 16
; WaveLimiterHint : 1
; COMPUTE_PGM_RSRC2:SCRATCH_EN: 0
; COMPUTE_PGM_RSRC2:USER_SGPR: 13
; COMPUTE_PGM_RSRC2:TRAP_HANDLER: 0
; COMPUTE_PGM_RSRC2:TGID_X_EN: 1
; COMPUTE_PGM_RSRC2:TGID_Y_EN: 1
; COMPUTE_PGM_RSRC2:TGID_Z_EN: 1
; COMPUTE_PGM_RSRC2:TIDIG_COMP_CNT: 1
	.section	.text._ZL37rocblas_syrkx_herkx_restricted_kernelIlfLi16ELi32ELi8ELi1ELi1ELb0ELc78ELc85EKffEviT_PT9_S1_lS3_S1_lPT10_S1_li,"axG",@progbits,_ZL37rocblas_syrkx_herkx_restricted_kernelIlfLi16ELi32ELi8ELi1ELi1ELb0ELc78ELc85EKffEviT_PT9_S1_lS3_S1_lPT10_S1_li,comdat
	.globl	_ZL37rocblas_syrkx_herkx_restricted_kernelIlfLi16ELi32ELi8ELi1ELi1ELb0ELc78ELc85EKffEviT_PT9_S1_lS3_S1_lPT10_S1_li ; -- Begin function _ZL37rocblas_syrkx_herkx_restricted_kernelIlfLi16ELi32ELi8ELi1ELi1ELb0ELc78ELc85EKffEviT_PT9_S1_lS3_S1_lPT10_S1_li
	.p2align	8
	.type	_ZL37rocblas_syrkx_herkx_restricted_kernelIlfLi16ELi32ELi8ELi1ELi1ELb0ELc78ELc85EKffEviT_PT9_S1_lS3_S1_lPT10_S1_li,@function
_ZL37rocblas_syrkx_herkx_restricted_kernelIlfLi16ELi32ELi8ELi1ELi1ELb0ELc78ELc85EKffEviT_PT9_S1_lS3_S1_lPT10_S1_li: ; @_ZL37rocblas_syrkx_herkx_restricted_kernelIlfLi16ELi32ELi8ELi1ELi1ELb0ELc78ELc85EKffEviT_PT9_S1_lS3_S1_lPT10_S1_li
; %bb.0:
	s_load_b512 s[16:31], s[0:1], 0x8
	v_dual_mov_b32 v9, 0 :: v_dual_mov_b32 v8, 0
	v_dual_mov_b32 v7, 0 :: v_dual_mov_b32 v4, 0
	v_and_b32_e32 v5, 0x3ff, v0
	v_bfe_u32 v6, v0, 10, 10
	s_lshl_b32 s8, s13, 5
	s_lshl_b32 s9, s14, 5
	s_waitcnt lgkmcnt(0)
	v_cmp_lt_i64_e64 s2, s[16:17], 1
	s_delay_alu instid0(VALU_DEP_1)
	s_and_b32 vcc_lo, exec_lo, s2
	s_cbranch_vccnz .LBB931_3
; %bb.1:
	v_lshl_add_u32 v1, v6, 4, v5
	v_and_b32_e32 v15, 7, v5
	s_mul_i32 s3, s23, s15
	s_mul_hi_u32 s5, s22, s15
	s_mul_i32 s2, s22, s15
	v_and_b32_e32 v9, 31, v1
	v_lshrrev_b32_e32 v14, 3, v1
	v_lshrrev_b32_e32 v16, 5, v1
	s_add_i32 s3, s5, s3
	s_mul_i32 s6, s29, s15
	v_add_nc_u32_e32 v0, s8, v9
	v_add_nc_u32_e32 v2, s9, v14
	s_lshl_b64 s[2:3], s[2:3], 2
	s_mul_hi_u32 s7, s28, s15
	s_add_u32 s10, s18, s2
	v_ashrrev_i32_e32 v1, 31, v0
	v_ashrrev_i32_e32 v3, 31, v2
	s_mul_i32 s4, s28, s15
	s_addc_u32 s11, s19, s3
	s_add_i32 s5, s7, s6
	v_mad_u64_u32 v[7:8], null, v16, s20, v[0:1]
	v_mad_u64_u32 v[0:1], null, v15, s26, v[2:3]
	s_lshl_b64 s[4:5], s[4:5], 2
	s_lshl_b64 s[2:3], s[20:21], 5
	s_add_u32 s4, s24, s4
	s_addc_u32 s5, s25, s5
	s_delay_alu instid0(VALU_DEP_2) | instskip(SKIP_3) | instid1(VALU_DEP_3)
	v_mov_b32_e32 v2, v8
	v_lshlrev_b32_e32 v10, 2, v5
	v_lshl_add_u32 v11, v6, 5, 0x400
	s_mov_b64 s[6:7], 0
	v_mad_u64_u32 v[3:4], null, v16, s21, v[2:3]
	v_lshlrev_b32_e32 v4, 2, v9
	s_delay_alu instid0(VALU_DEP_2) | instskip(SKIP_2) | instid1(VALU_DEP_3)
	v_mov_b32_e32 v8, v3
	v_mad_u64_u32 v[12:13], null, v15, s27, v[1:2]
	v_lshlrev_b32_e32 v17, 2, v15
	v_lshlrev_b64 v[2:3], 2, v[7:8]
	s_delay_alu instid0(VALU_DEP_3) | instskip(SKIP_3) | instid1(VALU_DEP_4)
	v_mov_b32_e32 v1, v12
	v_lshl_or_b32 v12, v16, 7, v4
	v_mov_b32_e32 v4, 0
	v_lshl_or_b32 v9, v14, 5, v17
	v_lshlrev_b64 v[7:8], 2, v[0:1]
	v_add_co_u32 v0, vcc_lo, s10, v2
	v_add_co_ci_u32_e32 v1, vcc_lo, s11, v3, vcc_lo
	s_delay_alu instid0(VALU_DEP_4) | instskip(NEXT) | instid1(VALU_DEP_4)
	v_add_nc_u32_e32 v13, 0x400, v9
	v_add_co_u32 v2, vcc_lo, s4, v7
	v_add_co_ci_u32_e32 v3, vcc_lo, s5, v8, vcc_lo
	v_dual_mov_b32 v8, 0 :: v_dual_mov_b32 v7, 0
	v_mov_b32_e32 v9, 0
	s_lshl_b64 s[4:5], s[26:27], 5
.LBB931_2:                              ; =>This Inner Loop Header: Depth=1
	global_load_b32 v14, v[0:1], off
	global_load_b32 v15, v[2:3], off
	s_add_u32 s6, s6, 8
	v_add_co_u32 v0, vcc_lo, v0, s2
	s_addc_u32 s7, s7, 0
	v_add_co_ci_u32_e32 v1, vcc_lo, s3, v1, vcc_lo
	v_cmp_ge_u64_e64 s10, s[6:7], s[16:17]
	v_add_co_u32 v2, vcc_lo, v2, s4
	v_add_co_ci_u32_e32 v3, vcc_lo, s5, v3, vcc_lo
	s_waitcnt vmcnt(1)
	ds_store_b32 v12, v14
	s_waitcnt vmcnt(0)
	ds_store_b32 v13, v15
	s_waitcnt lgkmcnt(0)
	s_barrier
	buffer_gl0_inv
	ds_load_2addr_b32 v[30:31], v10 offset1:16
	ds_load_b128 v[14:17], v11
	ds_load_b128 v[18:21], v11 offset:512
	ds_load_2addr_b32 v[32:33], v10 offset0:32 offset1:48
	ds_load_2addr_b32 v[34:35], v10 offset0:64 offset1:80
	ds_load_b128 v[22:25], v11 offset:16
	ds_load_2addr_b32 v[36:37], v10 offset0:96 offset1:112
	ds_load_2addr_b32 v[38:39], v10 offset0:128 offset1:144
	ds_load_b128 v[26:29], v11 offset:528
	ds_load_2addr_b32 v[40:41], v10 offset0:160 offset1:176
	ds_load_2addr_b32 v[42:43], v10 offset0:192 offset1:208
	ds_load_2addr_b32 v[44:45], v10 offset0:224 offset1:240
	s_and_b32 vcc_lo, exec_lo, s10
	s_waitcnt lgkmcnt(0)
	s_barrier
	buffer_gl0_inv
	v_fmac_f32_e32 v8, v31, v14
	v_fmac_f32_e32 v9, v30, v14
	;; [unrolled: 1-line block ×3, first 2 shown]
	s_delay_alu instid0(VALU_DEP_3) | instskip(NEXT) | instid1(VALU_DEP_3)
	v_dual_fmac_f32 v7, v30, v18 :: v_dual_fmac_f32 v8, v33, v15
	v_fmac_f32_e32 v9, v32, v15
	s_delay_alu instid0(VALU_DEP_3) | instskip(NEXT) | instid1(VALU_DEP_3)
	v_fmac_f32_e32 v4, v33, v19
	v_dual_fmac_f32 v7, v32, v19 :: v_dual_fmac_f32 v8, v35, v16
	s_delay_alu instid0(VALU_DEP_3) | instskip(NEXT) | instid1(VALU_DEP_3)
	v_fmac_f32_e32 v9, v34, v16
	v_fmac_f32_e32 v4, v35, v20
	s_delay_alu instid0(VALU_DEP_3) | instskip(NEXT) | instid1(VALU_DEP_3)
	v_dual_fmac_f32 v7, v34, v20 :: v_dual_fmac_f32 v8, v37, v17
	v_fmac_f32_e32 v9, v36, v17
	s_delay_alu instid0(VALU_DEP_3) | instskip(NEXT) | instid1(VALU_DEP_3)
	v_fmac_f32_e32 v4, v37, v21
	v_dual_fmac_f32 v7, v36, v21 :: v_dual_fmac_f32 v8, v39, v22
	s_delay_alu instid0(VALU_DEP_3) | instskip(NEXT) | instid1(VALU_DEP_3)
	v_fmac_f32_e32 v9, v38, v22
	v_fmac_f32_e32 v4, v39, v26
	;; [unrolled: 9-line block ×3, first 2 shown]
	s_delay_alu instid0(VALU_DEP_3) | instskip(NEXT) | instid1(VALU_DEP_3)
	v_dual_fmac_f32 v7, v42, v28 :: v_dual_fmac_f32 v8, v45, v25
	v_fmac_f32_e32 v9, v44, v25
	s_delay_alu instid0(VALU_DEP_3) | instskip(NEXT) | instid1(VALU_DEP_3)
	v_fmac_f32_e32 v4, v45, v29
	v_fmac_f32_e32 v7, v44, v29
	s_cbranch_vccz .LBB931_2
.LBB931_3:
	s_clause 0x1
	s_load_b128 s[4:7], s[0:1], 0x48
	s_load_b32 s2, s[0:1], 0x0
	v_add_nc_u32_e32 v6, s9, v6
	s_delay_alu instid0(VALU_DEP_1) | instskip(SKIP_1) | instid1(VALU_DEP_1)
	v_ashrrev_i32_e32 v0, 31, v6
	s_waitcnt lgkmcnt(0)
	v_mul_lo_u32 v3, v0, s4
	v_mul_lo_u32 v10, v6, s5
	v_mad_u64_u32 v[1:2], null, v6, s4, 0
	s_mul_i32 s1, s15, s7
	s_mul_hi_u32 s3, s15, s6
	s_mul_i32 s6, s15, s6
	s_add_i32 s7, s3, s1
	v_add_nc_u32_e32 v0, s8, v5
	s_lshl_b64 s[6:7], s[6:7], 2
	s_delay_alu instid0(VALU_DEP_2)
	v_add3_u32 v2, v2, v10, v3
	s_add_u32 s3, s30, s6
	v_cmp_gt_i32_e32 vcc_lo, s2, v6
	v_cmp_le_i32_e64 s0, v0, v6
	s_addc_u32 s6, s31, s7
	v_lshlrev_b64 v[1:2], 2, v[1:2]
	s_delay_alu instid0(VALU_DEP_2) | instskip(NEXT) | instid1(VALU_DEP_1)
	s_and_b32 s0, vcc_lo, s0
	v_add_co_u32 v5, s1, s3, v1
	s_delay_alu instid0(VALU_DEP_1)
	v_add_co_ci_u32_e64 v10, s1, s6, v2, s1
	s_and_saveexec_b32 s1, s0
	s_cbranch_execz .LBB931_5
; %bb.4:
	v_ashrrev_i32_e32 v1, 31, v0
	s_delay_alu instid0(VALU_DEP_1) | instskip(NEXT) | instid1(VALU_DEP_1)
	v_lshlrev_b64 v[1:2], 2, v[0:1]
	v_add_co_u32 v1, s0, v5, v1
	s_delay_alu instid0(VALU_DEP_1)
	v_add_co_ci_u32_e64 v2, s0, v10, v2, s0
	global_load_b32 v3, v[1:2], off
	s_waitcnt vmcnt(0)
	v_add_f32_e32 v3, v9, v3
	global_store_b32 v[1:2], v3, off
.LBB931_5:
	s_or_b32 exec_lo, exec_lo, s1
	v_add_nc_u32_e32 v2, 16, v0
	s_delay_alu instid0(VALU_DEP_1) | instskip(NEXT) | instid1(VALU_DEP_1)
	v_cmp_le_i32_e64 s0, v2, v6
	s_and_b32 s1, vcc_lo, s0
	s_delay_alu instid0(SALU_CYCLE_1)
	s_and_saveexec_b32 s0, s1
	s_cbranch_execz .LBB931_7
; %bb.6:
	v_ashrrev_i32_e32 v3, 31, v2
	s_delay_alu instid0(VALU_DEP_1) | instskip(NEXT) | instid1(VALU_DEP_1)
	v_lshlrev_b64 v[11:12], 2, v[2:3]
	v_add_co_u32 v9, vcc_lo, v5, v11
	s_delay_alu instid0(VALU_DEP_2)
	v_add_co_ci_u32_e32 v10, vcc_lo, v10, v12, vcc_lo
	global_load_b32 v1, v[9:10], off
	s_waitcnt vmcnt(0)
	v_add_f32_e32 v1, v8, v1
	global_store_b32 v[9:10], v1, off
.LBB931_7:
	s_or_b32 exec_lo, exec_lo, s0
	v_add_nc_u32_e32 v3, 16, v6
	s_delay_alu instid0(VALU_DEP_1) | instskip(SKIP_3) | instid1(VALU_DEP_4)
	v_ashrrev_i32_e32 v1, 31, v3
	v_mul_lo_u32 v8, v3, s5
	v_mad_u64_u32 v[5:6], null, v3, s4, 0
	v_cmp_gt_i32_e32 vcc_lo, s2, v3
	v_mul_lo_u32 v1, v1, s4
	v_cmp_le_i32_e64 s0, v0, v3
	s_delay_alu instid0(VALU_DEP_1) | instskip(NEXT) | instid1(VALU_DEP_2)
	s_and_b32 s0, vcc_lo, s0
	v_add3_u32 v6, v6, v8, v1
	s_delay_alu instid0(VALU_DEP_1) | instskip(NEXT) | instid1(VALU_DEP_1)
	v_lshlrev_b64 v[5:6], 2, v[5:6]
	v_add_co_u32 v5, s1, s3, v5
	s_delay_alu instid0(VALU_DEP_1)
	v_add_co_ci_u32_e64 v6, s1, s6, v6, s1
	s_and_saveexec_b32 s1, s0
	s_cbranch_execz .LBB931_9
; %bb.8:
	v_ashrrev_i32_e32 v1, 31, v0
	s_delay_alu instid0(VALU_DEP_1) | instskip(NEXT) | instid1(VALU_DEP_1)
	v_lshlrev_b64 v[0:1], 2, v[0:1]
	v_add_co_u32 v0, s0, v5, v0
	s_delay_alu instid0(VALU_DEP_1)
	v_add_co_ci_u32_e64 v1, s0, v6, v1, s0
	global_load_b32 v8, v[0:1], off
	s_waitcnt vmcnt(0)
	v_add_f32_e32 v7, v7, v8
	global_store_b32 v[0:1], v7, off
.LBB931_9:
	s_or_b32 exec_lo, exec_lo, s1
	v_cmp_le_i32_e64 s0, v2, v3
	s_delay_alu instid0(VALU_DEP_1) | instskip(NEXT) | instid1(SALU_CYCLE_1)
	s_and_b32 s0, vcc_lo, s0
	s_and_saveexec_b32 s1, s0
	s_cbranch_execz .LBB931_11
; %bb.10:
	v_ashrrev_i32_e32 v3, 31, v2
	s_delay_alu instid0(VALU_DEP_1) | instskip(NEXT) | instid1(VALU_DEP_1)
	v_lshlrev_b64 v[0:1], 2, v[2:3]
	v_add_co_u32 v0, vcc_lo, v5, v0
	s_delay_alu instid0(VALU_DEP_2)
	v_add_co_ci_u32_e32 v1, vcc_lo, v6, v1, vcc_lo
	global_load_b32 v2, v[0:1], off
	s_waitcnt vmcnt(0)
	v_add_f32_e32 v2, v4, v2
	global_store_b32 v[0:1], v2, off
.LBB931_11:
	s_nop 0
	s_sendmsg sendmsg(MSG_DEALLOC_VGPRS)
	s_endpgm
	.section	.rodata,"a",@progbits
	.p2align	6, 0x0
	.amdhsa_kernel _ZL37rocblas_syrkx_herkx_restricted_kernelIlfLi16ELi32ELi8ELi1ELi1ELb0ELc78ELc85EKffEviT_PT9_S1_lS3_S1_lPT10_S1_li
		.amdhsa_group_segment_fixed_size 2048
		.amdhsa_private_segment_fixed_size 0
		.amdhsa_kernarg_size 92
		.amdhsa_user_sgpr_count 13
		.amdhsa_user_sgpr_dispatch_ptr 0
		.amdhsa_user_sgpr_queue_ptr 0
		.amdhsa_user_sgpr_kernarg_segment_ptr 1
		.amdhsa_user_sgpr_dispatch_id 0
		.amdhsa_user_sgpr_private_segment_size 0
		.amdhsa_wavefront_size32 1
		.amdhsa_uses_dynamic_stack 0
		.amdhsa_enable_private_segment 0
		.amdhsa_system_sgpr_workgroup_id_x 1
		.amdhsa_system_sgpr_workgroup_id_y 1
		.amdhsa_system_sgpr_workgroup_id_z 1
		.amdhsa_system_sgpr_workgroup_info 0
		.amdhsa_system_vgpr_workitem_id 1
		.amdhsa_next_free_vgpr 46
		.amdhsa_next_free_sgpr 32
		.amdhsa_reserve_vcc 1
		.amdhsa_float_round_mode_32 0
		.amdhsa_float_round_mode_16_64 0
		.amdhsa_float_denorm_mode_32 3
		.amdhsa_float_denorm_mode_16_64 3
		.amdhsa_dx10_clamp 1
		.amdhsa_ieee_mode 1
		.amdhsa_fp16_overflow 0
		.amdhsa_workgroup_processor_mode 1
		.amdhsa_memory_ordered 1
		.amdhsa_forward_progress 0
		.amdhsa_shared_vgpr_count 0
		.amdhsa_exception_fp_ieee_invalid_op 0
		.amdhsa_exception_fp_denorm_src 0
		.amdhsa_exception_fp_ieee_div_zero 0
		.amdhsa_exception_fp_ieee_overflow 0
		.amdhsa_exception_fp_ieee_underflow 0
		.amdhsa_exception_fp_ieee_inexact 0
		.amdhsa_exception_int_div_zero 0
	.end_amdhsa_kernel
	.section	.text._ZL37rocblas_syrkx_herkx_restricted_kernelIlfLi16ELi32ELi8ELi1ELi1ELb0ELc78ELc85EKffEviT_PT9_S1_lS3_S1_lPT10_S1_li,"axG",@progbits,_ZL37rocblas_syrkx_herkx_restricted_kernelIlfLi16ELi32ELi8ELi1ELi1ELb0ELc78ELc85EKffEviT_PT9_S1_lS3_S1_lPT10_S1_li,comdat
.Lfunc_end931:
	.size	_ZL37rocblas_syrkx_herkx_restricted_kernelIlfLi16ELi32ELi8ELi1ELi1ELb0ELc78ELc85EKffEviT_PT9_S1_lS3_S1_lPT10_S1_li, .Lfunc_end931-_ZL37rocblas_syrkx_herkx_restricted_kernelIlfLi16ELi32ELi8ELi1ELi1ELb0ELc78ELc85EKffEviT_PT9_S1_lS3_S1_lPT10_S1_li
                                        ; -- End function
	.section	.AMDGPU.csdata,"",@progbits
; Kernel info:
; codeLenInByte = 1308
; NumSgprs: 34
; NumVgprs: 46
; ScratchSize: 0
; MemoryBound: 0
; FloatMode: 240
; IeeeMode: 1
; LDSByteSize: 2048 bytes/workgroup (compile time only)
; SGPRBlocks: 4
; VGPRBlocks: 5
; NumSGPRsForWavesPerEU: 34
; NumVGPRsForWavesPerEU: 46
; Occupancy: 16
; WaveLimiterHint : 1
; COMPUTE_PGM_RSRC2:SCRATCH_EN: 0
; COMPUTE_PGM_RSRC2:USER_SGPR: 13
; COMPUTE_PGM_RSRC2:TRAP_HANDLER: 0
; COMPUTE_PGM_RSRC2:TGID_X_EN: 1
; COMPUTE_PGM_RSRC2:TGID_Y_EN: 1
; COMPUTE_PGM_RSRC2:TGID_Z_EN: 1
; COMPUTE_PGM_RSRC2:TIDIG_COMP_CNT: 1
	.section	.text._ZL37rocblas_syrkx_herkx_restricted_kernelIlfLi16ELi32ELi8ELi1ELin1ELb0ELc84ELc76EKffEviT_PT9_S1_lS3_S1_lPT10_S1_li,"axG",@progbits,_ZL37rocblas_syrkx_herkx_restricted_kernelIlfLi16ELi32ELi8ELi1ELin1ELb0ELc84ELc76EKffEviT_PT9_S1_lS3_S1_lPT10_S1_li,comdat
	.globl	_ZL37rocblas_syrkx_herkx_restricted_kernelIlfLi16ELi32ELi8ELi1ELin1ELb0ELc84ELc76EKffEviT_PT9_S1_lS3_S1_lPT10_S1_li ; -- Begin function _ZL37rocblas_syrkx_herkx_restricted_kernelIlfLi16ELi32ELi8ELi1ELin1ELb0ELc84ELc76EKffEviT_PT9_S1_lS3_S1_lPT10_S1_li
	.p2align	8
	.type	_ZL37rocblas_syrkx_herkx_restricted_kernelIlfLi16ELi32ELi8ELi1ELin1ELb0ELc84ELc76EKffEviT_PT9_S1_lS3_S1_lPT10_S1_li,@function
_ZL37rocblas_syrkx_herkx_restricted_kernelIlfLi16ELi32ELi8ELi1ELin1ELb0ELc84ELc76EKffEviT_PT9_S1_lS3_S1_lPT10_S1_li: ; @_ZL37rocblas_syrkx_herkx_restricted_kernelIlfLi16ELi32ELi8ELi1ELin1ELb0ELc84ELc76EKffEviT_PT9_S1_lS3_S1_lPT10_S1_li
; %bb.0:
	s_load_b512 s[16:31], s[0:1], 0x8
	v_dual_mov_b32 v10, 0 :: v_dual_mov_b32 v9, 0
	v_dual_mov_b32 v6, 0 :: v_dual_and_b32 v7, 0x3ff, v0
	v_bfe_u32 v8, v0, 10, 10
	v_mov_b32_e32 v1, 0
	s_lshl_b32 s8, s13, 5
	s_lshl_b32 s9, s14, 5
	s_waitcnt lgkmcnt(0)
	v_cmp_lt_i64_e64 s2, s[16:17], 1
	s_delay_alu instid0(VALU_DEP_1)
	s_and_b32 vcc_lo, exec_lo, s2
	s_cbranch_vccnz .LBB932_3
; %bb.1:
	v_lshl_add_u32 v2, v8, 4, v7
	v_dual_mov_b32 v1, 0 :: v_dual_and_b32 v0, 7, v7
	s_mul_i32 s3, s23, s15
	s_mul_hi_u32 s4, s22, s15
	s_delay_alu instid0(VALU_DEP_2)
	v_and_b32_e32 v6, 31, v2
	v_lshrrev_b32_e32 v12, 3, v2
	v_mov_b32_e32 v3, v1
	v_lshrrev_b32_e32 v2, 5, v2
	v_lshlrev_b32_e32 v14, 2, v0
	v_add_nc_u32_e32 v9, s8, v6
	v_add_nc_u32_e32 v13, s9, v12
	s_mul_i32 s2, s22, s15
	s_add_i32 s3, s4, s3
	s_mul_hi_u32 s5, s28, s15
	v_ashrrev_i32_e32 v10, 31, v9
	v_ashrrev_i32_e32 v15, 31, v13
	v_mad_u64_u32 v[4:5], null, s20, v9, v[2:3]
	v_mul_lo_u32 v3, s21, v9
	s_delay_alu instid0(VALU_DEP_4)
	v_mul_lo_u32 v16, s20, v10
	v_mul_lo_u32 v17, v13, s27
	v_mad_u64_u32 v[9:10], null, v13, s26, v[0:1]
	v_mul_lo_u32 v13, v15, s26
	v_lshlrev_b32_e32 v0, 2, v6
	s_lshl_b64 s[2:3], s[2:3], 2
	v_lshlrev_b32_e32 v11, 2, v7
	v_add3_u32 v5, v3, v5, v16
	s_add_u32 s4, s18, s2
	v_lshl_or_b32 v0, v2, 7, v0
	s_mul_i32 s2, s29, s15
	v_add3_u32 v10, v13, v10, v17
	v_lshlrev_b64 v[2:3], 2, v[4:5]
	s_addc_u32 s6, s19, s3
	s_add_i32 s3, s5, s2
	s_mul_i32 s2, s28, s15
	v_lshlrev_b64 v[4:5], 2, v[9:10]
	s_lshl_b64 s[2:3], s[2:3], 2
	v_add_co_u32 v2, vcc_lo, s4, v2
	v_mov_b32_e32 v9, v1
	v_lshl_or_b32 v6, v12, 5, v14
	s_add_u32 s2, s24, s2
	v_add_co_ci_u32_e32 v3, vcc_lo, s6, v3, vcc_lo
	s_addc_u32 s3, s25, s3
	v_add_co_u32 v4, vcc_lo, s2, v4
	v_add_nc_u32_e32 v12, 0x400, v6
	v_mov_b32_e32 v6, v1
	v_lshl_add_u32 v13, v8, 5, 0x400
	v_add_co_ci_u32_e32 v5, vcc_lo, s3, v5, vcc_lo
	v_mov_b32_e32 v10, v1
	s_mov_b64 s[2:3], 0
.LBB932_2:                              ; =>This Inner Loop Header: Depth=1
	global_load_b32 v14, v[2:3], off
	global_load_b32 v15, v[4:5], off
	s_add_u32 s2, s2, 8
	v_add_co_u32 v2, vcc_lo, v2, 32
	s_addc_u32 s3, s3, 0
	v_add_co_ci_u32_e32 v3, vcc_lo, 0, v3, vcc_lo
	v_cmp_ge_u64_e64 s4, s[2:3], s[16:17]
	v_add_co_u32 v4, vcc_lo, v4, 32
	v_add_co_ci_u32_e32 v5, vcc_lo, 0, v5, vcc_lo
	s_waitcnt vmcnt(1)
	ds_store_b32 v0, v14
	s_waitcnt vmcnt(0)
	ds_store_b32 v12, v15
	s_waitcnt lgkmcnt(0)
	s_barrier
	buffer_gl0_inv
	ds_load_2addr_b32 v[30:31], v11 offset1:16
	ds_load_b128 v[14:17], v13
	ds_load_b128 v[18:21], v13 offset:512
	ds_load_2addr_b32 v[32:33], v11 offset0:32 offset1:48
	ds_load_2addr_b32 v[34:35], v11 offset0:64 offset1:80
	ds_load_b128 v[22:25], v13 offset:16
	ds_load_2addr_b32 v[36:37], v11 offset0:96 offset1:112
	ds_load_2addr_b32 v[38:39], v11 offset0:128 offset1:144
	;; [unrolled: 3-line block ×3, first 2 shown]
	ds_load_2addr_b32 v[44:45], v11 offset0:224 offset1:240
	s_and_b32 vcc_lo, exec_lo, s4
	s_waitcnt lgkmcnt(0)
	s_barrier
	buffer_gl0_inv
	v_fmac_f32_e32 v9, v31, v14
	v_fmac_f32_e32 v10, v30, v14
	;; [unrolled: 1-line block ×3, first 2 shown]
	s_delay_alu instid0(VALU_DEP_3) | instskip(NEXT) | instid1(VALU_DEP_3)
	v_dual_fmac_f32 v6, v30, v18 :: v_dual_fmac_f32 v9, v33, v15
	v_fmac_f32_e32 v10, v32, v15
	s_delay_alu instid0(VALU_DEP_3) | instskip(NEXT) | instid1(VALU_DEP_3)
	v_fmac_f32_e32 v1, v33, v19
	v_dual_fmac_f32 v6, v32, v19 :: v_dual_fmac_f32 v9, v35, v16
	s_delay_alu instid0(VALU_DEP_3) | instskip(NEXT) | instid1(VALU_DEP_3)
	v_fmac_f32_e32 v10, v34, v16
	v_fmac_f32_e32 v1, v35, v20
	s_delay_alu instid0(VALU_DEP_3) | instskip(NEXT) | instid1(VALU_DEP_3)
	v_dual_fmac_f32 v6, v34, v20 :: v_dual_fmac_f32 v9, v37, v17
	v_fmac_f32_e32 v10, v36, v17
	s_delay_alu instid0(VALU_DEP_3) | instskip(NEXT) | instid1(VALU_DEP_3)
	v_fmac_f32_e32 v1, v37, v21
	v_dual_fmac_f32 v6, v36, v21 :: v_dual_fmac_f32 v9, v39, v22
	s_delay_alu instid0(VALU_DEP_3) | instskip(NEXT) | instid1(VALU_DEP_3)
	v_fmac_f32_e32 v10, v38, v22
	v_fmac_f32_e32 v1, v39, v26
	;; [unrolled: 9-line block ×3, first 2 shown]
	s_delay_alu instid0(VALU_DEP_3) | instskip(NEXT) | instid1(VALU_DEP_3)
	v_dual_fmac_f32 v6, v42, v28 :: v_dual_fmac_f32 v9, v45, v25
	v_fmac_f32_e32 v10, v44, v25
	s_delay_alu instid0(VALU_DEP_3) | instskip(NEXT) | instid1(VALU_DEP_3)
	v_fmac_f32_e32 v1, v45, v29
	v_fmac_f32_e32 v6, v44, v29
	s_cbranch_vccz .LBB932_2
.LBB932_3:
	s_load_b128 s[4:7], s[0:1], 0x48
	v_add_nc_u32_e32 v0, s9, v8
	s_load_b32 s9, s[0:1], 0x0
	s_delay_alu instid0(VALU_DEP_1) | instskip(SKIP_1) | instid1(VALU_DEP_1)
	v_ashrrev_i32_e32 v2, 31, v0
	s_waitcnt lgkmcnt(0)
	v_mul_lo_u32 v5, v2, s4
	v_mul_lo_u32 v8, v0, s5
	v_mad_u64_u32 v[3:4], null, v0, s4, 0
	s_mul_i32 s1, s15, s7
	s_mul_hi_u32 s3, s15, s6
	s_mul_i32 s2, s15, s6
	s_add_i32 s3, s3, s1
	v_add_nc_u32_e32 v2, s8, v7
	s_lshl_b64 s[2:3], s[2:3], 2
	s_delay_alu instid0(VALU_DEP_2)
	v_add3_u32 v4, v4, v8, v5
	s_add_u32 s2, s30, s2
	s_addc_u32 s3, s31, s3
	v_cmp_le_i32_e64 s0, v0, v2
	v_cmp_gt_i32_e32 vcc_lo, s9, v2
	v_lshlrev_b64 v[3:4], 2, v[3:4]
	s_delay_alu instid0(VALU_DEP_3) | instskip(NEXT) | instid1(VALU_DEP_1)
	s_and_b32 s0, s0, vcc_lo
	v_add_co_u32 v7, s1, s2, v3
	s_delay_alu instid0(VALU_DEP_1)
	v_add_co_ci_u32_e64 v8, s1, s3, v4, s1
	s_and_saveexec_b32 s1, s0
	s_cbranch_execz .LBB932_5
; %bb.4:
	v_ashrrev_i32_e32 v3, 31, v2
	s_delay_alu instid0(VALU_DEP_1) | instskip(NEXT) | instid1(VALU_DEP_1)
	v_lshlrev_b64 v[3:4], 2, v[2:3]
	v_add_co_u32 v3, s0, v7, v3
	s_delay_alu instid0(VALU_DEP_1)
	v_add_co_ci_u32_e64 v4, s0, v8, v4, s0
	global_load_b32 v5, v[3:4], off
	s_waitcnt vmcnt(0)
	v_sub_f32_e32 v5, v10, v5
	global_store_b32 v[3:4], v5, off
.LBB932_5:
	s_or_b32 exec_lo, exec_lo, s1
	v_add_nc_u32_e32 v4, 16, v2
	s_delay_alu instid0(VALU_DEP_1) | instskip(SKIP_1) | instid1(VALU_DEP_1)
	v_cmp_le_i32_e64 s1, v0, v4
	v_cmp_gt_i32_e64 s0, s9, v4
	s_and_b32 s1, s1, s0
	s_delay_alu instid0(SALU_CYCLE_1)
	s_and_saveexec_b32 s6, s1
	s_cbranch_execz .LBB932_7
; %bb.6:
	v_ashrrev_i32_e32 v5, 31, v4
	s_delay_alu instid0(VALU_DEP_1) | instskip(NEXT) | instid1(VALU_DEP_1)
	v_lshlrev_b64 v[10:11], 2, v[4:5]
	v_add_co_u32 v7, s1, v7, v10
	s_delay_alu instid0(VALU_DEP_1)
	v_add_co_ci_u32_e64 v8, s1, v8, v11, s1
	global_load_b32 v3, v[7:8], off
	s_waitcnt vmcnt(0)
	v_sub_f32_e32 v3, v9, v3
	global_store_b32 v[7:8], v3, off
.LBB932_7:
	s_or_b32 exec_lo, exec_lo, s6
	v_add_nc_u32_e32 v0, 16, v0
	s_delay_alu instid0(VALU_DEP_1) | instskip(SKIP_3) | instid1(VALU_DEP_4)
	v_ashrrev_i32_e32 v3, 31, v0
	v_mul_lo_u32 v5, v0, s5
	v_mad_u64_u32 v[7:8], null, v0, s4, 0
	v_cmp_le_i32_e64 s1, v0, v2
	v_mul_lo_u32 v3, v3, s4
	s_delay_alu instid0(VALU_DEP_1) | instskip(NEXT) | instid1(VALU_DEP_1)
	v_add3_u32 v8, v8, v5, v3
	v_lshlrev_b64 v[7:8], 2, v[7:8]
	s_delay_alu instid0(VALU_DEP_1) | instskip(NEXT) | instid1(VALU_DEP_1)
	v_add_co_u32 v7, s2, s2, v7
	v_add_co_ci_u32_e64 v8, s2, s3, v8, s2
	s_and_b32 s2, s1, vcc_lo
	s_delay_alu instid0(SALU_CYCLE_1)
	s_and_saveexec_b32 s1, s2
	s_cbranch_execz .LBB932_9
; %bb.8:
	v_ashrrev_i32_e32 v3, 31, v2
	s_delay_alu instid0(VALU_DEP_1) | instskip(NEXT) | instid1(VALU_DEP_1)
	v_lshlrev_b64 v[2:3], 2, v[2:3]
	v_add_co_u32 v2, vcc_lo, v7, v2
	s_delay_alu instid0(VALU_DEP_2)
	v_add_co_ci_u32_e32 v3, vcc_lo, v8, v3, vcc_lo
	global_load_b32 v5, v[2:3], off
	s_waitcnt vmcnt(0)
	v_sub_f32_e32 v5, v6, v5
	global_store_b32 v[2:3], v5, off
.LBB932_9:
	s_or_b32 exec_lo, exec_lo, s1
	v_cmp_le_i32_e32 vcc_lo, v0, v4
	s_and_b32 s0, vcc_lo, s0
	s_delay_alu instid0(SALU_CYCLE_1)
	s_and_saveexec_b32 s1, s0
	s_cbranch_execz .LBB932_11
; %bb.10:
	v_ashrrev_i32_e32 v5, 31, v4
	s_delay_alu instid0(VALU_DEP_1) | instskip(NEXT) | instid1(VALU_DEP_1)
	v_lshlrev_b64 v[2:3], 2, v[4:5]
	v_add_co_u32 v2, vcc_lo, v7, v2
	s_delay_alu instid0(VALU_DEP_2)
	v_add_co_ci_u32_e32 v3, vcc_lo, v8, v3, vcc_lo
	global_load_b32 v0, v[2:3], off
	s_waitcnt vmcnt(0)
	v_sub_f32_e32 v0, v1, v0
	global_store_b32 v[2:3], v0, off
.LBB932_11:
	s_nop 0
	s_sendmsg sendmsg(MSG_DEALLOC_VGPRS)
	s_endpgm
	.section	.rodata,"a",@progbits
	.p2align	6, 0x0
	.amdhsa_kernel _ZL37rocblas_syrkx_herkx_restricted_kernelIlfLi16ELi32ELi8ELi1ELin1ELb0ELc84ELc76EKffEviT_PT9_S1_lS3_S1_lPT10_S1_li
		.amdhsa_group_segment_fixed_size 2048
		.amdhsa_private_segment_fixed_size 0
		.amdhsa_kernarg_size 92
		.amdhsa_user_sgpr_count 13
		.amdhsa_user_sgpr_dispatch_ptr 0
		.amdhsa_user_sgpr_queue_ptr 0
		.amdhsa_user_sgpr_kernarg_segment_ptr 1
		.amdhsa_user_sgpr_dispatch_id 0
		.amdhsa_user_sgpr_private_segment_size 0
		.amdhsa_wavefront_size32 1
		.amdhsa_uses_dynamic_stack 0
		.amdhsa_enable_private_segment 0
		.amdhsa_system_sgpr_workgroup_id_x 1
		.amdhsa_system_sgpr_workgroup_id_y 1
		.amdhsa_system_sgpr_workgroup_id_z 1
		.amdhsa_system_sgpr_workgroup_info 0
		.amdhsa_system_vgpr_workitem_id 1
		.amdhsa_next_free_vgpr 46
		.amdhsa_next_free_sgpr 32
		.amdhsa_reserve_vcc 1
		.amdhsa_float_round_mode_32 0
		.amdhsa_float_round_mode_16_64 0
		.amdhsa_float_denorm_mode_32 3
		.amdhsa_float_denorm_mode_16_64 3
		.amdhsa_dx10_clamp 1
		.amdhsa_ieee_mode 1
		.amdhsa_fp16_overflow 0
		.amdhsa_workgroup_processor_mode 1
		.amdhsa_memory_ordered 1
		.amdhsa_forward_progress 0
		.amdhsa_shared_vgpr_count 0
		.amdhsa_exception_fp_ieee_invalid_op 0
		.amdhsa_exception_fp_denorm_src 0
		.amdhsa_exception_fp_ieee_div_zero 0
		.amdhsa_exception_fp_ieee_overflow 0
		.amdhsa_exception_fp_ieee_underflow 0
		.amdhsa_exception_fp_ieee_inexact 0
		.amdhsa_exception_int_div_zero 0
	.end_amdhsa_kernel
	.section	.text._ZL37rocblas_syrkx_herkx_restricted_kernelIlfLi16ELi32ELi8ELi1ELin1ELb0ELc84ELc76EKffEviT_PT9_S1_lS3_S1_lPT10_S1_li,"axG",@progbits,_ZL37rocblas_syrkx_herkx_restricted_kernelIlfLi16ELi32ELi8ELi1ELin1ELb0ELc84ELc76EKffEviT_PT9_S1_lS3_S1_lPT10_S1_li,comdat
.Lfunc_end932:
	.size	_ZL37rocblas_syrkx_herkx_restricted_kernelIlfLi16ELi32ELi8ELi1ELin1ELb0ELc84ELc76EKffEviT_PT9_S1_lS3_S1_lPT10_S1_li, .Lfunc_end932-_ZL37rocblas_syrkx_herkx_restricted_kernelIlfLi16ELi32ELi8ELi1ELin1ELb0ELc84ELc76EKffEviT_PT9_S1_lS3_S1_lPT10_S1_li
                                        ; -- End function
	.section	.AMDGPU.csdata,"",@progbits
; Kernel info:
; codeLenInByte = 1312
; NumSgprs: 34
; NumVgprs: 46
; ScratchSize: 0
; MemoryBound: 0
; FloatMode: 240
; IeeeMode: 1
; LDSByteSize: 2048 bytes/workgroup (compile time only)
; SGPRBlocks: 4
; VGPRBlocks: 5
; NumSGPRsForWavesPerEU: 34
; NumVGPRsForWavesPerEU: 46
; Occupancy: 16
; WaveLimiterHint : 1
; COMPUTE_PGM_RSRC2:SCRATCH_EN: 0
; COMPUTE_PGM_RSRC2:USER_SGPR: 13
; COMPUTE_PGM_RSRC2:TRAP_HANDLER: 0
; COMPUTE_PGM_RSRC2:TGID_X_EN: 1
; COMPUTE_PGM_RSRC2:TGID_Y_EN: 1
; COMPUTE_PGM_RSRC2:TGID_Z_EN: 1
; COMPUTE_PGM_RSRC2:TIDIG_COMP_CNT: 1
	.section	.text._ZL37rocblas_syrkx_herkx_restricted_kernelIlfLi16ELi32ELi8ELi1ELin1ELb0ELc67ELc76EKffEviT_PT9_S1_lS3_S1_lPT10_S1_li,"axG",@progbits,_ZL37rocblas_syrkx_herkx_restricted_kernelIlfLi16ELi32ELi8ELi1ELin1ELb0ELc67ELc76EKffEviT_PT9_S1_lS3_S1_lPT10_S1_li,comdat
	.globl	_ZL37rocblas_syrkx_herkx_restricted_kernelIlfLi16ELi32ELi8ELi1ELin1ELb0ELc67ELc76EKffEviT_PT9_S1_lS3_S1_lPT10_S1_li ; -- Begin function _ZL37rocblas_syrkx_herkx_restricted_kernelIlfLi16ELi32ELi8ELi1ELin1ELb0ELc67ELc76EKffEviT_PT9_S1_lS3_S1_lPT10_S1_li
	.p2align	8
	.type	_ZL37rocblas_syrkx_herkx_restricted_kernelIlfLi16ELi32ELi8ELi1ELin1ELb0ELc67ELc76EKffEviT_PT9_S1_lS3_S1_lPT10_S1_li,@function
_ZL37rocblas_syrkx_herkx_restricted_kernelIlfLi16ELi32ELi8ELi1ELin1ELb0ELc67ELc76EKffEviT_PT9_S1_lS3_S1_lPT10_S1_li: ; @_ZL37rocblas_syrkx_herkx_restricted_kernelIlfLi16ELi32ELi8ELi1ELin1ELb0ELc67ELc76EKffEviT_PT9_S1_lS3_S1_lPT10_S1_li
; %bb.0:
	s_load_b512 s[16:31], s[0:1], 0x8
	v_dual_mov_b32 v10, 0 :: v_dual_mov_b32 v9, 0
	v_dual_mov_b32 v6, 0 :: v_dual_and_b32 v7, 0x3ff, v0
	v_bfe_u32 v8, v0, 10, 10
	v_mov_b32_e32 v1, 0
	s_lshl_b32 s8, s13, 5
	s_lshl_b32 s9, s14, 5
	s_waitcnt lgkmcnt(0)
	v_cmp_lt_i64_e64 s2, s[16:17], 1
	s_delay_alu instid0(VALU_DEP_1)
	s_and_b32 vcc_lo, exec_lo, s2
	s_cbranch_vccnz .LBB933_3
; %bb.1:
	v_lshl_add_u32 v2, v8, 4, v7
	v_dual_mov_b32 v1, 0 :: v_dual_and_b32 v0, 7, v7
	s_mul_i32 s3, s23, s15
	s_mul_hi_u32 s4, s22, s15
	s_delay_alu instid0(VALU_DEP_2)
	v_and_b32_e32 v6, 31, v2
	v_lshrrev_b32_e32 v12, 3, v2
	v_mov_b32_e32 v3, v1
	v_lshrrev_b32_e32 v2, 5, v2
	v_lshlrev_b32_e32 v14, 2, v0
	v_add_nc_u32_e32 v9, s8, v6
	v_add_nc_u32_e32 v13, s9, v12
	s_mul_i32 s2, s22, s15
	s_add_i32 s3, s4, s3
	s_mul_hi_u32 s5, s28, s15
	v_ashrrev_i32_e32 v10, 31, v9
	v_ashrrev_i32_e32 v15, 31, v13
	v_mad_u64_u32 v[4:5], null, s20, v9, v[2:3]
	v_mul_lo_u32 v3, s21, v9
	s_delay_alu instid0(VALU_DEP_4)
	v_mul_lo_u32 v16, s20, v10
	v_mul_lo_u32 v17, v13, s27
	v_mad_u64_u32 v[9:10], null, v13, s26, v[0:1]
	v_mul_lo_u32 v13, v15, s26
	v_lshlrev_b32_e32 v0, 2, v6
	s_lshl_b64 s[2:3], s[2:3], 2
	v_lshlrev_b32_e32 v11, 2, v7
	v_add3_u32 v5, v3, v5, v16
	s_add_u32 s4, s18, s2
	v_lshl_or_b32 v0, v2, 7, v0
	s_mul_i32 s2, s29, s15
	v_add3_u32 v10, v13, v10, v17
	v_lshlrev_b64 v[2:3], 2, v[4:5]
	s_addc_u32 s6, s19, s3
	s_add_i32 s3, s5, s2
	s_mul_i32 s2, s28, s15
	v_lshlrev_b64 v[4:5], 2, v[9:10]
	s_lshl_b64 s[2:3], s[2:3], 2
	v_add_co_u32 v2, vcc_lo, s4, v2
	v_mov_b32_e32 v9, v1
	v_lshl_or_b32 v6, v12, 5, v14
	s_add_u32 s2, s24, s2
	v_add_co_ci_u32_e32 v3, vcc_lo, s6, v3, vcc_lo
	s_addc_u32 s3, s25, s3
	v_add_co_u32 v4, vcc_lo, s2, v4
	v_add_nc_u32_e32 v12, 0x400, v6
	v_mov_b32_e32 v6, v1
	v_lshl_add_u32 v13, v8, 5, 0x400
	v_add_co_ci_u32_e32 v5, vcc_lo, s3, v5, vcc_lo
	v_mov_b32_e32 v10, v1
	s_mov_b64 s[2:3], 0
.LBB933_2:                              ; =>This Inner Loop Header: Depth=1
	global_load_b32 v14, v[2:3], off
	global_load_b32 v15, v[4:5], off
	s_add_u32 s2, s2, 8
	v_add_co_u32 v2, vcc_lo, v2, 32
	s_addc_u32 s3, s3, 0
	v_add_co_ci_u32_e32 v3, vcc_lo, 0, v3, vcc_lo
	v_cmp_ge_u64_e64 s4, s[2:3], s[16:17]
	v_add_co_u32 v4, vcc_lo, v4, 32
	v_add_co_ci_u32_e32 v5, vcc_lo, 0, v5, vcc_lo
	s_waitcnt vmcnt(1)
	ds_store_b32 v0, v14
	s_waitcnt vmcnt(0)
	ds_store_b32 v12, v15
	s_waitcnt lgkmcnt(0)
	s_barrier
	buffer_gl0_inv
	ds_load_2addr_b32 v[30:31], v11 offset1:16
	ds_load_b128 v[14:17], v13
	ds_load_b128 v[18:21], v13 offset:512
	ds_load_2addr_b32 v[32:33], v11 offset0:32 offset1:48
	ds_load_2addr_b32 v[34:35], v11 offset0:64 offset1:80
	ds_load_b128 v[22:25], v13 offset:16
	ds_load_2addr_b32 v[36:37], v11 offset0:96 offset1:112
	ds_load_2addr_b32 v[38:39], v11 offset0:128 offset1:144
	;; [unrolled: 3-line block ×3, first 2 shown]
	ds_load_2addr_b32 v[44:45], v11 offset0:224 offset1:240
	s_and_b32 vcc_lo, exec_lo, s4
	s_waitcnt lgkmcnt(0)
	s_barrier
	buffer_gl0_inv
	v_fmac_f32_e32 v9, v31, v14
	v_fmac_f32_e32 v10, v30, v14
	;; [unrolled: 1-line block ×3, first 2 shown]
	s_delay_alu instid0(VALU_DEP_3) | instskip(NEXT) | instid1(VALU_DEP_3)
	v_dual_fmac_f32 v6, v30, v18 :: v_dual_fmac_f32 v9, v33, v15
	v_fmac_f32_e32 v10, v32, v15
	s_delay_alu instid0(VALU_DEP_3) | instskip(NEXT) | instid1(VALU_DEP_3)
	v_fmac_f32_e32 v1, v33, v19
	v_dual_fmac_f32 v6, v32, v19 :: v_dual_fmac_f32 v9, v35, v16
	s_delay_alu instid0(VALU_DEP_3) | instskip(NEXT) | instid1(VALU_DEP_3)
	v_fmac_f32_e32 v10, v34, v16
	v_fmac_f32_e32 v1, v35, v20
	s_delay_alu instid0(VALU_DEP_3) | instskip(NEXT) | instid1(VALU_DEP_3)
	v_dual_fmac_f32 v6, v34, v20 :: v_dual_fmac_f32 v9, v37, v17
	v_fmac_f32_e32 v10, v36, v17
	s_delay_alu instid0(VALU_DEP_3) | instskip(NEXT) | instid1(VALU_DEP_3)
	v_fmac_f32_e32 v1, v37, v21
	v_dual_fmac_f32 v6, v36, v21 :: v_dual_fmac_f32 v9, v39, v22
	s_delay_alu instid0(VALU_DEP_3) | instskip(NEXT) | instid1(VALU_DEP_3)
	v_fmac_f32_e32 v10, v38, v22
	v_fmac_f32_e32 v1, v39, v26
	;; [unrolled: 9-line block ×3, first 2 shown]
	s_delay_alu instid0(VALU_DEP_3) | instskip(NEXT) | instid1(VALU_DEP_3)
	v_dual_fmac_f32 v6, v42, v28 :: v_dual_fmac_f32 v9, v45, v25
	v_fmac_f32_e32 v10, v44, v25
	s_delay_alu instid0(VALU_DEP_3) | instskip(NEXT) | instid1(VALU_DEP_3)
	v_fmac_f32_e32 v1, v45, v29
	v_fmac_f32_e32 v6, v44, v29
	s_cbranch_vccz .LBB933_2
.LBB933_3:
	s_load_b128 s[4:7], s[0:1], 0x48
	v_add_nc_u32_e32 v0, s9, v8
	s_load_b32 s9, s[0:1], 0x0
	s_delay_alu instid0(VALU_DEP_1) | instskip(SKIP_1) | instid1(VALU_DEP_1)
	v_ashrrev_i32_e32 v2, 31, v0
	s_waitcnt lgkmcnt(0)
	v_mul_lo_u32 v5, v2, s4
	v_mul_lo_u32 v8, v0, s5
	v_mad_u64_u32 v[3:4], null, v0, s4, 0
	s_mul_i32 s1, s15, s7
	s_mul_hi_u32 s3, s15, s6
	s_mul_i32 s2, s15, s6
	s_add_i32 s3, s3, s1
	v_add_nc_u32_e32 v2, s8, v7
	s_lshl_b64 s[2:3], s[2:3], 2
	s_delay_alu instid0(VALU_DEP_2)
	v_add3_u32 v4, v4, v8, v5
	s_add_u32 s2, s30, s2
	s_addc_u32 s3, s31, s3
	v_cmp_le_i32_e64 s0, v0, v2
	v_cmp_gt_i32_e32 vcc_lo, s9, v2
	v_lshlrev_b64 v[3:4], 2, v[3:4]
	s_delay_alu instid0(VALU_DEP_3) | instskip(NEXT) | instid1(VALU_DEP_1)
	s_and_b32 s0, s0, vcc_lo
	v_add_co_u32 v7, s1, s2, v3
	s_delay_alu instid0(VALU_DEP_1)
	v_add_co_ci_u32_e64 v8, s1, s3, v4, s1
	s_and_saveexec_b32 s1, s0
	s_cbranch_execz .LBB933_5
; %bb.4:
	v_ashrrev_i32_e32 v3, 31, v2
	s_delay_alu instid0(VALU_DEP_1) | instskip(NEXT) | instid1(VALU_DEP_1)
	v_lshlrev_b64 v[3:4], 2, v[2:3]
	v_add_co_u32 v3, s0, v7, v3
	s_delay_alu instid0(VALU_DEP_1)
	v_add_co_ci_u32_e64 v4, s0, v8, v4, s0
	global_load_b32 v5, v[3:4], off
	s_waitcnt vmcnt(0)
	v_sub_f32_e32 v5, v10, v5
	global_store_b32 v[3:4], v5, off
.LBB933_5:
	s_or_b32 exec_lo, exec_lo, s1
	v_add_nc_u32_e32 v4, 16, v2
	s_delay_alu instid0(VALU_DEP_1) | instskip(SKIP_1) | instid1(VALU_DEP_1)
	v_cmp_le_i32_e64 s1, v0, v4
	v_cmp_gt_i32_e64 s0, s9, v4
	s_and_b32 s1, s1, s0
	s_delay_alu instid0(SALU_CYCLE_1)
	s_and_saveexec_b32 s6, s1
	s_cbranch_execz .LBB933_7
; %bb.6:
	v_ashrrev_i32_e32 v5, 31, v4
	s_delay_alu instid0(VALU_DEP_1) | instskip(NEXT) | instid1(VALU_DEP_1)
	v_lshlrev_b64 v[10:11], 2, v[4:5]
	v_add_co_u32 v7, s1, v7, v10
	s_delay_alu instid0(VALU_DEP_1)
	v_add_co_ci_u32_e64 v8, s1, v8, v11, s1
	global_load_b32 v3, v[7:8], off
	s_waitcnt vmcnt(0)
	v_sub_f32_e32 v3, v9, v3
	global_store_b32 v[7:8], v3, off
.LBB933_7:
	s_or_b32 exec_lo, exec_lo, s6
	v_add_nc_u32_e32 v0, 16, v0
	s_delay_alu instid0(VALU_DEP_1) | instskip(SKIP_3) | instid1(VALU_DEP_4)
	v_ashrrev_i32_e32 v3, 31, v0
	v_mul_lo_u32 v5, v0, s5
	v_mad_u64_u32 v[7:8], null, v0, s4, 0
	v_cmp_le_i32_e64 s1, v0, v2
	v_mul_lo_u32 v3, v3, s4
	s_delay_alu instid0(VALU_DEP_1) | instskip(NEXT) | instid1(VALU_DEP_1)
	v_add3_u32 v8, v8, v5, v3
	v_lshlrev_b64 v[7:8], 2, v[7:8]
	s_delay_alu instid0(VALU_DEP_1) | instskip(NEXT) | instid1(VALU_DEP_1)
	v_add_co_u32 v7, s2, s2, v7
	v_add_co_ci_u32_e64 v8, s2, s3, v8, s2
	s_and_b32 s2, s1, vcc_lo
	s_delay_alu instid0(SALU_CYCLE_1)
	s_and_saveexec_b32 s1, s2
	s_cbranch_execz .LBB933_9
; %bb.8:
	v_ashrrev_i32_e32 v3, 31, v2
	s_delay_alu instid0(VALU_DEP_1) | instskip(NEXT) | instid1(VALU_DEP_1)
	v_lshlrev_b64 v[2:3], 2, v[2:3]
	v_add_co_u32 v2, vcc_lo, v7, v2
	s_delay_alu instid0(VALU_DEP_2)
	v_add_co_ci_u32_e32 v3, vcc_lo, v8, v3, vcc_lo
	global_load_b32 v5, v[2:3], off
	s_waitcnt vmcnt(0)
	v_sub_f32_e32 v5, v6, v5
	global_store_b32 v[2:3], v5, off
.LBB933_9:
	s_or_b32 exec_lo, exec_lo, s1
	v_cmp_le_i32_e32 vcc_lo, v0, v4
	s_and_b32 s0, vcc_lo, s0
	s_delay_alu instid0(SALU_CYCLE_1)
	s_and_saveexec_b32 s1, s0
	s_cbranch_execz .LBB933_11
; %bb.10:
	v_ashrrev_i32_e32 v5, 31, v4
	s_delay_alu instid0(VALU_DEP_1) | instskip(NEXT) | instid1(VALU_DEP_1)
	v_lshlrev_b64 v[2:3], 2, v[4:5]
	v_add_co_u32 v2, vcc_lo, v7, v2
	s_delay_alu instid0(VALU_DEP_2)
	v_add_co_ci_u32_e32 v3, vcc_lo, v8, v3, vcc_lo
	global_load_b32 v0, v[2:3], off
	s_waitcnt vmcnt(0)
	v_sub_f32_e32 v0, v1, v0
	global_store_b32 v[2:3], v0, off
.LBB933_11:
	s_nop 0
	s_sendmsg sendmsg(MSG_DEALLOC_VGPRS)
	s_endpgm
	.section	.rodata,"a",@progbits
	.p2align	6, 0x0
	.amdhsa_kernel _ZL37rocblas_syrkx_herkx_restricted_kernelIlfLi16ELi32ELi8ELi1ELin1ELb0ELc67ELc76EKffEviT_PT9_S1_lS3_S1_lPT10_S1_li
		.amdhsa_group_segment_fixed_size 2048
		.amdhsa_private_segment_fixed_size 0
		.amdhsa_kernarg_size 92
		.amdhsa_user_sgpr_count 13
		.amdhsa_user_sgpr_dispatch_ptr 0
		.amdhsa_user_sgpr_queue_ptr 0
		.amdhsa_user_sgpr_kernarg_segment_ptr 1
		.amdhsa_user_sgpr_dispatch_id 0
		.amdhsa_user_sgpr_private_segment_size 0
		.amdhsa_wavefront_size32 1
		.amdhsa_uses_dynamic_stack 0
		.amdhsa_enable_private_segment 0
		.amdhsa_system_sgpr_workgroup_id_x 1
		.amdhsa_system_sgpr_workgroup_id_y 1
		.amdhsa_system_sgpr_workgroup_id_z 1
		.amdhsa_system_sgpr_workgroup_info 0
		.amdhsa_system_vgpr_workitem_id 1
		.amdhsa_next_free_vgpr 46
		.amdhsa_next_free_sgpr 32
		.amdhsa_reserve_vcc 1
		.amdhsa_float_round_mode_32 0
		.amdhsa_float_round_mode_16_64 0
		.amdhsa_float_denorm_mode_32 3
		.amdhsa_float_denorm_mode_16_64 3
		.amdhsa_dx10_clamp 1
		.amdhsa_ieee_mode 1
		.amdhsa_fp16_overflow 0
		.amdhsa_workgroup_processor_mode 1
		.amdhsa_memory_ordered 1
		.amdhsa_forward_progress 0
		.amdhsa_shared_vgpr_count 0
		.amdhsa_exception_fp_ieee_invalid_op 0
		.amdhsa_exception_fp_denorm_src 0
		.amdhsa_exception_fp_ieee_div_zero 0
		.amdhsa_exception_fp_ieee_overflow 0
		.amdhsa_exception_fp_ieee_underflow 0
		.amdhsa_exception_fp_ieee_inexact 0
		.amdhsa_exception_int_div_zero 0
	.end_amdhsa_kernel
	.section	.text._ZL37rocblas_syrkx_herkx_restricted_kernelIlfLi16ELi32ELi8ELi1ELin1ELb0ELc67ELc76EKffEviT_PT9_S1_lS3_S1_lPT10_S1_li,"axG",@progbits,_ZL37rocblas_syrkx_herkx_restricted_kernelIlfLi16ELi32ELi8ELi1ELin1ELb0ELc67ELc76EKffEviT_PT9_S1_lS3_S1_lPT10_S1_li,comdat
.Lfunc_end933:
	.size	_ZL37rocblas_syrkx_herkx_restricted_kernelIlfLi16ELi32ELi8ELi1ELin1ELb0ELc67ELc76EKffEviT_PT9_S1_lS3_S1_lPT10_S1_li, .Lfunc_end933-_ZL37rocblas_syrkx_herkx_restricted_kernelIlfLi16ELi32ELi8ELi1ELin1ELb0ELc67ELc76EKffEviT_PT9_S1_lS3_S1_lPT10_S1_li
                                        ; -- End function
	.section	.AMDGPU.csdata,"",@progbits
; Kernel info:
; codeLenInByte = 1312
; NumSgprs: 34
; NumVgprs: 46
; ScratchSize: 0
; MemoryBound: 0
; FloatMode: 240
; IeeeMode: 1
; LDSByteSize: 2048 bytes/workgroup (compile time only)
; SGPRBlocks: 4
; VGPRBlocks: 5
; NumSGPRsForWavesPerEU: 34
; NumVGPRsForWavesPerEU: 46
; Occupancy: 16
; WaveLimiterHint : 1
; COMPUTE_PGM_RSRC2:SCRATCH_EN: 0
; COMPUTE_PGM_RSRC2:USER_SGPR: 13
; COMPUTE_PGM_RSRC2:TRAP_HANDLER: 0
; COMPUTE_PGM_RSRC2:TGID_X_EN: 1
; COMPUTE_PGM_RSRC2:TGID_Y_EN: 1
; COMPUTE_PGM_RSRC2:TGID_Z_EN: 1
; COMPUTE_PGM_RSRC2:TIDIG_COMP_CNT: 1
	.section	.text._ZL37rocblas_syrkx_herkx_restricted_kernelIlfLi16ELi32ELi8ELi1ELin1ELb0ELc78ELc76EKffEviT_PT9_S1_lS3_S1_lPT10_S1_li,"axG",@progbits,_ZL37rocblas_syrkx_herkx_restricted_kernelIlfLi16ELi32ELi8ELi1ELin1ELb0ELc78ELc76EKffEviT_PT9_S1_lS3_S1_lPT10_S1_li,comdat
	.globl	_ZL37rocblas_syrkx_herkx_restricted_kernelIlfLi16ELi32ELi8ELi1ELin1ELb0ELc78ELc76EKffEviT_PT9_S1_lS3_S1_lPT10_S1_li ; -- Begin function _ZL37rocblas_syrkx_herkx_restricted_kernelIlfLi16ELi32ELi8ELi1ELin1ELb0ELc78ELc76EKffEviT_PT9_S1_lS3_S1_lPT10_S1_li
	.p2align	8
	.type	_ZL37rocblas_syrkx_herkx_restricted_kernelIlfLi16ELi32ELi8ELi1ELin1ELb0ELc78ELc76EKffEviT_PT9_S1_lS3_S1_lPT10_S1_li,@function
_ZL37rocblas_syrkx_herkx_restricted_kernelIlfLi16ELi32ELi8ELi1ELin1ELb0ELc78ELc76EKffEviT_PT9_S1_lS3_S1_lPT10_S1_li: ; @_ZL37rocblas_syrkx_herkx_restricted_kernelIlfLi16ELi32ELi8ELi1ELin1ELb0ELc78ELc76EKffEviT_PT9_S1_lS3_S1_lPT10_S1_li
; %bb.0:
	s_load_b512 s[16:31], s[0:1], 0x8
	v_dual_mov_b32 v9, 0 :: v_dual_mov_b32 v8, 0
	v_dual_mov_b32 v7, 0 :: v_dual_mov_b32 v4, 0
	v_and_b32_e32 v5, 0x3ff, v0
	v_bfe_u32 v6, v0, 10, 10
	s_lshl_b32 s8, s13, 5
	s_lshl_b32 s9, s14, 5
	s_waitcnt lgkmcnt(0)
	v_cmp_lt_i64_e64 s2, s[16:17], 1
	s_delay_alu instid0(VALU_DEP_1)
	s_and_b32 vcc_lo, exec_lo, s2
	s_cbranch_vccnz .LBB934_3
; %bb.1:
	v_lshl_add_u32 v1, v6, 4, v5
	v_and_b32_e32 v15, 7, v5
	s_mul_i32 s3, s23, s15
	s_mul_hi_u32 s5, s22, s15
	s_mul_i32 s2, s22, s15
	v_and_b32_e32 v9, 31, v1
	v_lshrrev_b32_e32 v14, 3, v1
	v_lshrrev_b32_e32 v16, 5, v1
	s_add_i32 s3, s5, s3
	s_mul_i32 s6, s29, s15
	v_add_nc_u32_e32 v0, s8, v9
	v_add_nc_u32_e32 v2, s9, v14
	s_lshl_b64 s[2:3], s[2:3], 2
	s_mul_hi_u32 s7, s28, s15
	s_add_u32 s10, s18, s2
	v_ashrrev_i32_e32 v1, 31, v0
	v_ashrrev_i32_e32 v3, 31, v2
	s_mul_i32 s4, s28, s15
	s_addc_u32 s11, s19, s3
	s_add_i32 s5, s7, s6
	v_mad_u64_u32 v[7:8], null, v16, s20, v[0:1]
	v_mad_u64_u32 v[0:1], null, v15, s26, v[2:3]
	s_lshl_b64 s[4:5], s[4:5], 2
	s_lshl_b64 s[2:3], s[20:21], 5
	s_add_u32 s4, s24, s4
	s_addc_u32 s5, s25, s5
	s_delay_alu instid0(VALU_DEP_2) | instskip(SKIP_3) | instid1(VALU_DEP_3)
	v_mov_b32_e32 v2, v8
	v_lshlrev_b32_e32 v10, 2, v5
	v_lshl_add_u32 v11, v6, 5, 0x400
	s_mov_b64 s[6:7], 0
	v_mad_u64_u32 v[3:4], null, v16, s21, v[2:3]
	v_lshlrev_b32_e32 v4, 2, v9
	s_delay_alu instid0(VALU_DEP_2) | instskip(SKIP_2) | instid1(VALU_DEP_3)
	v_mov_b32_e32 v8, v3
	v_mad_u64_u32 v[12:13], null, v15, s27, v[1:2]
	v_lshlrev_b32_e32 v17, 2, v15
	v_lshlrev_b64 v[2:3], 2, v[7:8]
	s_delay_alu instid0(VALU_DEP_3) | instskip(SKIP_3) | instid1(VALU_DEP_4)
	v_mov_b32_e32 v1, v12
	v_lshl_or_b32 v12, v16, 7, v4
	v_mov_b32_e32 v4, 0
	v_lshl_or_b32 v9, v14, 5, v17
	v_lshlrev_b64 v[7:8], 2, v[0:1]
	v_add_co_u32 v0, vcc_lo, s10, v2
	v_add_co_ci_u32_e32 v1, vcc_lo, s11, v3, vcc_lo
	s_delay_alu instid0(VALU_DEP_4) | instskip(NEXT) | instid1(VALU_DEP_4)
	v_add_nc_u32_e32 v13, 0x400, v9
	v_add_co_u32 v2, vcc_lo, s4, v7
	v_add_co_ci_u32_e32 v3, vcc_lo, s5, v8, vcc_lo
	v_dual_mov_b32 v8, 0 :: v_dual_mov_b32 v7, 0
	v_mov_b32_e32 v9, 0
	s_lshl_b64 s[4:5], s[26:27], 5
.LBB934_2:                              ; =>This Inner Loop Header: Depth=1
	global_load_b32 v14, v[0:1], off
	global_load_b32 v15, v[2:3], off
	s_add_u32 s6, s6, 8
	v_add_co_u32 v0, vcc_lo, v0, s2
	s_addc_u32 s7, s7, 0
	v_add_co_ci_u32_e32 v1, vcc_lo, s3, v1, vcc_lo
	v_cmp_ge_u64_e64 s10, s[6:7], s[16:17]
	v_add_co_u32 v2, vcc_lo, v2, s4
	v_add_co_ci_u32_e32 v3, vcc_lo, s5, v3, vcc_lo
	s_waitcnt vmcnt(1)
	ds_store_b32 v12, v14
	s_waitcnt vmcnt(0)
	ds_store_b32 v13, v15
	s_waitcnt lgkmcnt(0)
	s_barrier
	buffer_gl0_inv
	ds_load_2addr_b32 v[30:31], v10 offset1:16
	ds_load_b128 v[14:17], v11
	ds_load_b128 v[18:21], v11 offset:512
	ds_load_2addr_b32 v[32:33], v10 offset0:32 offset1:48
	ds_load_2addr_b32 v[34:35], v10 offset0:64 offset1:80
	ds_load_b128 v[22:25], v11 offset:16
	ds_load_2addr_b32 v[36:37], v10 offset0:96 offset1:112
	ds_load_2addr_b32 v[38:39], v10 offset0:128 offset1:144
	;; [unrolled: 3-line block ×3, first 2 shown]
	ds_load_2addr_b32 v[44:45], v10 offset0:224 offset1:240
	s_and_b32 vcc_lo, exec_lo, s10
	s_waitcnt lgkmcnt(0)
	s_barrier
	buffer_gl0_inv
	v_fmac_f32_e32 v8, v31, v14
	v_fmac_f32_e32 v9, v30, v14
	;; [unrolled: 1-line block ×3, first 2 shown]
	s_delay_alu instid0(VALU_DEP_3) | instskip(NEXT) | instid1(VALU_DEP_3)
	v_dual_fmac_f32 v7, v30, v18 :: v_dual_fmac_f32 v8, v33, v15
	v_fmac_f32_e32 v9, v32, v15
	s_delay_alu instid0(VALU_DEP_3) | instskip(NEXT) | instid1(VALU_DEP_3)
	v_fmac_f32_e32 v4, v33, v19
	v_dual_fmac_f32 v7, v32, v19 :: v_dual_fmac_f32 v8, v35, v16
	s_delay_alu instid0(VALU_DEP_3) | instskip(NEXT) | instid1(VALU_DEP_3)
	v_fmac_f32_e32 v9, v34, v16
	v_fmac_f32_e32 v4, v35, v20
	s_delay_alu instid0(VALU_DEP_3) | instskip(NEXT) | instid1(VALU_DEP_3)
	v_dual_fmac_f32 v7, v34, v20 :: v_dual_fmac_f32 v8, v37, v17
	v_fmac_f32_e32 v9, v36, v17
	s_delay_alu instid0(VALU_DEP_3) | instskip(NEXT) | instid1(VALU_DEP_3)
	v_fmac_f32_e32 v4, v37, v21
	v_dual_fmac_f32 v7, v36, v21 :: v_dual_fmac_f32 v8, v39, v22
	s_delay_alu instid0(VALU_DEP_3) | instskip(NEXT) | instid1(VALU_DEP_3)
	v_fmac_f32_e32 v9, v38, v22
	v_fmac_f32_e32 v4, v39, v26
	s_delay_alu instid0(VALU_DEP_3) | instskip(NEXT) | instid1(VALU_DEP_3)
	v_dual_fmac_f32 v7, v38, v26 :: v_dual_fmac_f32 v8, v41, v23
	v_fmac_f32_e32 v9, v40, v23
	s_delay_alu instid0(VALU_DEP_3) | instskip(NEXT) | instid1(VALU_DEP_3)
	v_fmac_f32_e32 v4, v41, v27
	v_dual_fmac_f32 v7, v40, v27 :: v_dual_fmac_f32 v8, v43, v24
	s_delay_alu instid0(VALU_DEP_3) | instskip(NEXT) | instid1(VALU_DEP_3)
	v_fmac_f32_e32 v9, v42, v24
	v_fmac_f32_e32 v4, v43, v28
	s_delay_alu instid0(VALU_DEP_3) | instskip(NEXT) | instid1(VALU_DEP_3)
	v_dual_fmac_f32 v7, v42, v28 :: v_dual_fmac_f32 v8, v45, v25
	v_fmac_f32_e32 v9, v44, v25
	s_delay_alu instid0(VALU_DEP_3) | instskip(NEXT) | instid1(VALU_DEP_3)
	v_fmac_f32_e32 v4, v45, v29
	v_fmac_f32_e32 v7, v44, v29
	s_cbranch_vccz .LBB934_2
.LBB934_3:
	s_load_b128 s[4:7], s[0:1], 0x48
	v_add_nc_u32_e32 v6, s9, v6
	s_load_b32 s9, s[0:1], 0x0
	s_delay_alu instid0(VALU_DEP_1) | instskip(SKIP_1) | instid1(VALU_DEP_1)
	v_ashrrev_i32_e32 v0, 31, v6
	s_waitcnt lgkmcnt(0)
	v_mul_lo_u32 v3, v0, s4
	v_mul_lo_u32 v10, v6, s5
	v_mad_u64_u32 v[1:2], null, v6, s4, 0
	s_mul_i32 s1, s15, s7
	s_mul_hi_u32 s3, s15, s6
	s_mul_i32 s2, s15, s6
	s_add_i32 s3, s3, s1
	v_add_nc_u32_e32 v0, s8, v5
	s_lshl_b64 s[2:3], s[2:3], 2
	s_delay_alu instid0(VALU_DEP_2)
	v_add3_u32 v2, v2, v10, v3
	s_add_u32 s2, s30, s2
	s_addc_u32 s3, s31, s3
	v_cmp_le_i32_e64 s0, v6, v0
	v_cmp_gt_i32_e32 vcc_lo, s9, v0
	v_lshlrev_b64 v[1:2], 2, v[1:2]
	s_delay_alu instid0(VALU_DEP_3) | instskip(NEXT) | instid1(VALU_DEP_1)
	s_and_b32 s0, s0, vcc_lo
	v_add_co_u32 v5, s1, s2, v1
	s_delay_alu instid0(VALU_DEP_1)
	v_add_co_ci_u32_e64 v10, s1, s3, v2, s1
	s_and_saveexec_b32 s1, s0
	s_cbranch_execz .LBB934_5
; %bb.4:
	v_ashrrev_i32_e32 v1, 31, v0
	s_delay_alu instid0(VALU_DEP_1) | instskip(NEXT) | instid1(VALU_DEP_1)
	v_lshlrev_b64 v[1:2], 2, v[0:1]
	v_add_co_u32 v1, s0, v5, v1
	s_delay_alu instid0(VALU_DEP_1)
	v_add_co_ci_u32_e64 v2, s0, v10, v2, s0
	global_load_b32 v3, v[1:2], off
	s_waitcnt vmcnt(0)
	v_sub_f32_e32 v3, v9, v3
	global_store_b32 v[1:2], v3, off
.LBB934_5:
	s_or_b32 exec_lo, exec_lo, s1
	v_add_nc_u32_e32 v2, 16, v0
	s_delay_alu instid0(VALU_DEP_1) | instskip(SKIP_1) | instid1(VALU_DEP_1)
	v_cmp_le_i32_e64 s1, v6, v2
	v_cmp_gt_i32_e64 s0, s9, v2
	s_and_b32 s1, s1, s0
	s_delay_alu instid0(SALU_CYCLE_1)
	s_and_saveexec_b32 s6, s1
	s_cbranch_execz .LBB934_7
; %bb.6:
	v_ashrrev_i32_e32 v3, 31, v2
	s_delay_alu instid0(VALU_DEP_1) | instskip(NEXT) | instid1(VALU_DEP_1)
	v_lshlrev_b64 v[11:12], 2, v[2:3]
	v_add_co_u32 v9, s1, v5, v11
	s_delay_alu instid0(VALU_DEP_1)
	v_add_co_ci_u32_e64 v10, s1, v10, v12, s1
	global_load_b32 v1, v[9:10], off
	s_waitcnt vmcnt(0)
	v_sub_f32_e32 v1, v8, v1
	global_store_b32 v[9:10], v1, off
.LBB934_7:
	s_or_b32 exec_lo, exec_lo, s6
	v_add_nc_u32_e32 v3, 16, v6
	s_delay_alu instid0(VALU_DEP_1) | instskip(SKIP_3) | instid1(VALU_DEP_4)
	v_ashrrev_i32_e32 v1, 31, v3
	v_mul_lo_u32 v8, v3, s5
	v_mad_u64_u32 v[5:6], null, v3, s4, 0
	v_cmp_le_i32_e64 s1, v3, v0
	v_mul_lo_u32 v1, v1, s4
	s_delay_alu instid0(VALU_DEP_1) | instskip(NEXT) | instid1(VALU_DEP_1)
	v_add3_u32 v6, v6, v8, v1
	v_lshlrev_b64 v[5:6], 2, v[5:6]
	s_delay_alu instid0(VALU_DEP_1) | instskip(NEXT) | instid1(VALU_DEP_1)
	v_add_co_u32 v5, s2, s2, v5
	v_add_co_ci_u32_e64 v6, s2, s3, v6, s2
	s_and_b32 s2, s1, vcc_lo
	s_delay_alu instid0(SALU_CYCLE_1)
	s_and_saveexec_b32 s1, s2
	s_cbranch_execz .LBB934_9
; %bb.8:
	v_ashrrev_i32_e32 v1, 31, v0
	s_delay_alu instid0(VALU_DEP_1) | instskip(NEXT) | instid1(VALU_DEP_1)
	v_lshlrev_b64 v[0:1], 2, v[0:1]
	v_add_co_u32 v0, vcc_lo, v5, v0
	s_delay_alu instid0(VALU_DEP_2)
	v_add_co_ci_u32_e32 v1, vcc_lo, v6, v1, vcc_lo
	global_load_b32 v8, v[0:1], off
	s_waitcnt vmcnt(0)
	v_sub_f32_e32 v7, v7, v8
	global_store_b32 v[0:1], v7, off
.LBB934_9:
	s_or_b32 exec_lo, exec_lo, s1
	v_cmp_le_i32_e32 vcc_lo, v3, v2
	s_and_b32 s0, vcc_lo, s0
	s_delay_alu instid0(SALU_CYCLE_1)
	s_and_saveexec_b32 s1, s0
	s_cbranch_execz .LBB934_11
; %bb.10:
	v_ashrrev_i32_e32 v3, 31, v2
	s_delay_alu instid0(VALU_DEP_1) | instskip(NEXT) | instid1(VALU_DEP_1)
	v_lshlrev_b64 v[0:1], 2, v[2:3]
	v_add_co_u32 v0, vcc_lo, v5, v0
	s_delay_alu instid0(VALU_DEP_2)
	v_add_co_ci_u32_e32 v1, vcc_lo, v6, v1, vcc_lo
	global_load_b32 v2, v[0:1], off
	s_waitcnt vmcnt(0)
	v_sub_f32_e32 v2, v4, v2
	global_store_b32 v[0:1], v2, off
.LBB934_11:
	s_nop 0
	s_sendmsg sendmsg(MSG_DEALLOC_VGPRS)
	s_endpgm
	.section	.rodata,"a",@progbits
	.p2align	6, 0x0
	.amdhsa_kernel _ZL37rocblas_syrkx_herkx_restricted_kernelIlfLi16ELi32ELi8ELi1ELin1ELb0ELc78ELc76EKffEviT_PT9_S1_lS3_S1_lPT10_S1_li
		.amdhsa_group_segment_fixed_size 2048
		.amdhsa_private_segment_fixed_size 0
		.amdhsa_kernarg_size 92
		.amdhsa_user_sgpr_count 13
		.amdhsa_user_sgpr_dispatch_ptr 0
		.amdhsa_user_sgpr_queue_ptr 0
		.amdhsa_user_sgpr_kernarg_segment_ptr 1
		.amdhsa_user_sgpr_dispatch_id 0
		.amdhsa_user_sgpr_private_segment_size 0
		.amdhsa_wavefront_size32 1
		.amdhsa_uses_dynamic_stack 0
		.amdhsa_enable_private_segment 0
		.amdhsa_system_sgpr_workgroup_id_x 1
		.amdhsa_system_sgpr_workgroup_id_y 1
		.amdhsa_system_sgpr_workgroup_id_z 1
		.amdhsa_system_sgpr_workgroup_info 0
		.amdhsa_system_vgpr_workitem_id 1
		.amdhsa_next_free_vgpr 46
		.amdhsa_next_free_sgpr 32
		.amdhsa_reserve_vcc 1
		.amdhsa_float_round_mode_32 0
		.amdhsa_float_round_mode_16_64 0
		.amdhsa_float_denorm_mode_32 3
		.amdhsa_float_denorm_mode_16_64 3
		.amdhsa_dx10_clamp 1
		.amdhsa_ieee_mode 1
		.amdhsa_fp16_overflow 0
		.amdhsa_workgroup_processor_mode 1
		.amdhsa_memory_ordered 1
		.amdhsa_forward_progress 0
		.amdhsa_shared_vgpr_count 0
		.amdhsa_exception_fp_ieee_invalid_op 0
		.amdhsa_exception_fp_denorm_src 0
		.amdhsa_exception_fp_ieee_div_zero 0
		.amdhsa_exception_fp_ieee_overflow 0
		.amdhsa_exception_fp_ieee_underflow 0
		.amdhsa_exception_fp_ieee_inexact 0
		.amdhsa_exception_int_div_zero 0
	.end_amdhsa_kernel
	.section	.text._ZL37rocblas_syrkx_herkx_restricted_kernelIlfLi16ELi32ELi8ELi1ELin1ELb0ELc78ELc76EKffEviT_PT9_S1_lS3_S1_lPT10_S1_li,"axG",@progbits,_ZL37rocblas_syrkx_herkx_restricted_kernelIlfLi16ELi32ELi8ELi1ELin1ELb0ELc78ELc76EKffEviT_PT9_S1_lS3_S1_lPT10_S1_li,comdat
.Lfunc_end934:
	.size	_ZL37rocblas_syrkx_herkx_restricted_kernelIlfLi16ELi32ELi8ELi1ELin1ELb0ELc78ELc76EKffEviT_PT9_S1_lS3_S1_lPT10_S1_li, .Lfunc_end934-_ZL37rocblas_syrkx_herkx_restricted_kernelIlfLi16ELi32ELi8ELi1ELin1ELb0ELc78ELc76EKffEviT_PT9_S1_lS3_S1_lPT10_S1_li
                                        ; -- End function
	.section	.AMDGPU.csdata,"",@progbits
; Kernel info:
; codeLenInByte = 1304
; NumSgprs: 34
; NumVgprs: 46
; ScratchSize: 0
; MemoryBound: 0
; FloatMode: 240
; IeeeMode: 1
; LDSByteSize: 2048 bytes/workgroup (compile time only)
; SGPRBlocks: 4
; VGPRBlocks: 5
; NumSGPRsForWavesPerEU: 34
; NumVGPRsForWavesPerEU: 46
; Occupancy: 16
; WaveLimiterHint : 1
; COMPUTE_PGM_RSRC2:SCRATCH_EN: 0
; COMPUTE_PGM_RSRC2:USER_SGPR: 13
; COMPUTE_PGM_RSRC2:TRAP_HANDLER: 0
; COMPUTE_PGM_RSRC2:TGID_X_EN: 1
; COMPUTE_PGM_RSRC2:TGID_Y_EN: 1
; COMPUTE_PGM_RSRC2:TGID_Z_EN: 1
; COMPUTE_PGM_RSRC2:TIDIG_COMP_CNT: 1
	.section	.text._ZL37rocblas_syrkx_herkx_restricted_kernelIlfLi16ELi32ELi8ELi1ELin1ELb0ELc84ELc85EKffEviT_PT9_S1_lS3_S1_lPT10_S1_li,"axG",@progbits,_ZL37rocblas_syrkx_herkx_restricted_kernelIlfLi16ELi32ELi8ELi1ELin1ELb0ELc84ELc85EKffEviT_PT9_S1_lS3_S1_lPT10_S1_li,comdat
	.globl	_ZL37rocblas_syrkx_herkx_restricted_kernelIlfLi16ELi32ELi8ELi1ELin1ELb0ELc84ELc85EKffEviT_PT9_S1_lS3_S1_lPT10_S1_li ; -- Begin function _ZL37rocblas_syrkx_herkx_restricted_kernelIlfLi16ELi32ELi8ELi1ELin1ELb0ELc84ELc85EKffEviT_PT9_S1_lS3_S1_lPT10_S1_li
	.p2align	8
	.type	_ZL37rocblas_syrkx_herkx_restricted_kernelIlfLi16ELi32ELi8ELi1ELin1ELb0ELc84ELc85EKffEviT_PT9_S1_lS3_S1_lPT10_S1_li,@function
_ZL37rocblas_syrkx_herkx_restricted_kernelIlfLi16ELi32ELi8ELi1ELin1ELb0ELc84ELc85EKffEviT_PT9_S1_lS3_S1_lPT10_S1_li: ; @_ZL37rocblas_syrkx_herkx_restricted_kernelIlfLi16ELi32ELi8ELi1ELin1ELb0ELc84ELc85EKffEviT_PT9_S1_lS3_S1_lPT10_S1_li
; %bb.0:
	s_load_b512 s[16:31], s[0:1], 0x8
	v_dual_mov_b32 v10, 0 :: v_dual_mov_b32 v9, 0
	v_dual_mov_b32 v6, 0 :: v_dual_and_b32 v7, 0x3ff, v0
	v_bfe_u32 v8, v0, 10, 10
	v_mov_b32_e32 v1, 0
	s_lshl_b32 s8, s13, 5
	s_lshl_b32 s9, s14, 5
	s_waitcnt lgkmcnt(0)
	v_cmp_lt_i64_e64 s2, s[16:17], 1
	s_delay_alu instid0(VALU_DEP_1)
	s_and_b32 vcc_lo, exec_lo, s2
	s_cbranch_vccnz .LBB935_3
; %bb.1:
	v_lshl_add_u32 v2, v8, 4, v7
	v_dual_mov_b32 v1, 0 :: v_dual_and_b32 v0, 7, v7
	s_mul_i32 s3, s23, s15
	s_mul_hi_u32 s4, s22, s15
	s_delay_alu instid0(VALU_DEP_2)
	v_and_b32_e32 v6, 31, v2
	v_lshrrev_b32_e32 v12, 3, v2
	v_mov_b32_e32 v3, v1
	v_lshrrev_b32_e32 v2, 5, v2
	v_lshlrev_b32_e32 v14, 2, v0
	v_add_nc_u32_e32 v9, s8, v6
	v_add_nc_u32_e32 v13, s9, v12
	s_mul_i32 s2, s22, s15
	s_add_i32 s3, s4, s3
	s_mul_hi_u32 s5, s28, s15
	v_ashrrev_i32_e32 v10, 31, v9
	v_ashrrev_i32_e32 v15, 31, v13
	v_mad_u64_u32 v[4:5], null, s20, v9, v[2:3]
	v_mul_lo_u32 v3, s21, v9
	s_delay_alu instid0(VALU_DEP_4)
	v_mul_lo_u32 v16, s20, v10
	v_mul_lo_u32 v17, v13, s27
	v_mad_u64_u32 v[9:10], null, v13, s26, v[0:1]
	v_mul_lo_u32 v13, v15, s26
	v_lshlrev_b32_e32 v0, 2, v6
	s_lshl_b64 s[2:3], s[2:3], 2
	v_lshlrev_b32_e32 v11, 2, v7
	v_add3_u32 v5, v3, v5, v16
	s_add_u32 s4, s18, s2
	v_lshl_or_b32 v0, v2, 7, v0
	s_mul_i32 s2, s29, s15
	v_add3_u32 v10, v13, v10, v17
	v_lshlrev_b64 v[2:3], 2, v[4:5]
	s_addc_u32 s6, s19, s3
	s_add_i32 s3, s5, s2
	s_mul_i32 s2, s28, s15
	v_lshlrev_b64 v[4:5], 2, v[9:10]
	s_lshl_b64 s[2:3], s[2:3], 2
	v_add_co_u32 v2, vcc_lo, s4, v2
	v_mov_b32_e32 v9, v1
	v_lshl_or_b32 v6, v12, 5, v14
	s_add_u32 s2, s24, s2
	v_add_co_ci_u32_e32 v3, vcc_lo, s6, v3, vcc_lo
	s_addc_u32 s3, s25, s3
	v_add_co_u32 v4, vcc_lo, s2, v4
	v_add_nc_u32_e32 v12, 0x400, v6
	v_mov_b32_e32 v6, v1
	v_lshl_add_u32 v13, v8, 5, 0x400
	v_add_co_ci_u32_e32 v5, vcc_lo, s3, v5, vcc_lo
	v_mov_b32_e32 v10, v1
	s_mov_b64 s[2:3], 0
.LBB935_2:                              ; =>This Inner Loop Header: Depth=1
	global_load_b32 v14, v[2:3], off
	global_load_b32 v15, v[4:5], off
	s_add_u32 s2, s2, 8
	v_add_co_u32 v2, vcc_lo, v2, 32
	s_addc_u32 s3, s3, 0
	v_add_co_ci_u32_e32 v3, vcc_lo, 0, v3, vcc_lo
	v_cmp_ge_u64_e64 s4, s[2:3], s[16:17]
	v_add_co_u32 v4, vcc_lo, v4, 32
	v_add_co_ci_u32_e32 v5, vcc_lo, 0, v5, vcc_lo
	s_waitcnt vmcnt(1)
	ds_store_b32 v0, v14
	s_waitcnt vmcnt(0)
	ds_store_b32 v12, v15
	s_waitcnt lgkmcnt(0)
	s_barrier
	buffer_gl0_inv
	ds_load_2addr_b32 v[30:31], v11 offset1:16
	ds_load_b128 v[14:17], v13
	ds_load_b128 v[18:21], v13 offset:512
	ds_load_2addr_b32 v[32:33], v11 offset0:32 offset1:48
	ds_load_2addr_b32 v[34:35], v11 offset0:64 offset1:80
	ds_load_b128 v[22:25], v13 offset:16
	ds_load_2addr_b32 v[36:37], v11 offset0:96 offset1:112
	ds_load_2addr_b32 v[38:39], v11 offset0:128 offset1:144
	;; [unrolled: 3-line block ×3, first 2 shown]
	ds_load_2addr_b32 v[44:45], v11 offset0:224 offset1:240
	s_and_b32 vcc_lo, exec_lo, s4
	s_waitcnt lgkmcnt(0)
	s_barrier
	buffer_gl0_inv
	v_fmac_f32_e32 v9, v31, v14
	v_fmac_f32_e32 v10, v30, v14
	;; [unrolled: 1-line block ×3, first 2 shown]
	s_delay_alu instid0(VALU_DEP_3) | instskip(NEXT) | instid1(VALU_DEP_3)
	v_dual_fmac_f32 v6, v30, v18 :: v_dual_fmac_f32 v9, v33, v15
	v_fmac_f32_e32 v10, v32, v15
	s_delay_alu instid0(VALU_DEP_3) | instskip(NEXT) | instid1(VALU_DEP_3)
	v_fmac_f32_e32 v1, v33, v19
	v_dual_fmac_f32 v6, v32, v19 :: v_dual_fmac_f32 v9, v35, v16
	s_delay_alu instid0(VALU_DEP_3) | instskip(NEXT) | instid1(VALU_DEP_3)
	v_fmac_f32_e32 v10, v34, v16
	v_fmac_f32_e32 v1, v35, v20
	s_delay_alu instid0(VALU_DEP_3) | instskip(NEXT) | instid1(VALU_DEP_3)
	v_dual_fmac_f32 v6, v34, v20 :: v_dual_fmac_f32 v9, v37, v17
	v_fmac_f32_e32 v10, v36, v17
	s_delay_alu instid0(VALU_DEP_3) | instskip(NEXT) | instid1(VALU_DEP_3)
	v_fmac_f32_e32 v1, v37, v21
	v_dual_fmac_f32 v6, v36, v21 :: v_dual_fmac_f32 v9, v39, v22
	s_delay_alu instid0(VALU_DEP_3) | instskip(NEXT) | instid1(VALU_DEP_3)
	v_fmac_f32_e32 v10, v38, v22
	v_fmac_f32_e32 v1, v39, v26
	;; [unrolled: 9-line block ×3, first 2 shown]
	s_delay_alu instid0(VALU_DEP_3) | instskip(NEXT) | instid1(VALU_DEP_3)
	v_dual_fmac_f32 v6, v42, v28 :: v_dual_fmac_f32 v9, v45, v25
	v_fmac_f32_e32 v10, v44, v25
	s_delay_alu instid0(VALU_DEP_3) | instskip(NEXT) | instid1(VALU_DEP_3)
	v_fmac_f32_e32 v1, v45, v29
	v_fmac_f32_e32 v6, v44, v29
	s_cbranch_vccz .LBB935_2
.LBB935_3:
	s_clause 0x1
	s_load_b128 s[4:7], s[0:1], 0x48
	s_load_b32 s2, s[0:1], 0x0
	v_add_nc_u32_e32 v0, s9, v8
	s_delay_alu instid0(VALU_DEP_1) | instskip(SKIP_1) | instid1(VALU_DEP_1)
	v_ashrrev_i32_e32 v2, 31, v0
	s_waitcnt lgkmcnt(0)
	v_mul_lo_u32 v5, v2, s4
	v_mul_lo_u32 v8, v0, s5
	v_mad_u64_u32 v[3:4], null, v0, s4, 0
	s_mul_i32 s1, s15, s7
	s_mul_hi_u32 s3, s15, s6
	s_mul_i32 s6, s15, s6
	s_add_i32 s7, s3, s1
	v_add_nc_u32_e32 v2, s8, v7
	s_lshl_b64 s[6:7], s[6:7], 2
	s_delay_alu instid0(VALU_DEP_2)
	v_add3_u32 v4, v4, v8, v5
	s_add_u32 s3, s30, s6
	v_cmp_gt_i32_e32 vcc_lo, s2, v0
	v_cmp_le_i32_e64 s0, v2, v0
	s_addc_u32 s6, s31, s7
	v_lshlrev_b64 v[3:4], 2, v[3:4]
	s_delay_alu instid0(VALU_DEP_2) | instskip(NEXT) | instid1(VALU_DEP_1)
	s_and_b32 s0, vcc_lo, s0
	v_add_co_u32 v7, s1, s3, v3
	s_delay_alu instid0(VALU_DEP_1)
	v_add_co_ci_u32_e64 v8, s1, s6, v4, s1
	s_and_saveexec_b32 s1, s0
	s_cbranch_execz .LBB935_5
; %bb.4:
	v_ashrrev_i32_e32 v3, 31, v2
	s_delay_alu instid0(VALU_DEP_1) | instskip(NEXT) | instid1(VALU_DEP_1)
	v_lshlrev_b64 v[3:4], 2, v[2:3]
	v_add_co_u32 v3, s0, v7, v3
	s_delay_alu instid0(VALU_DEP_1)
	v_add_co_ci_u32_e64 v4, s0, v8, v4, s0
	global_load_b32 v5, v[3:4], off
	s_waitcnt vmcnt(0)
	v_sub_f32_e32 v5, v10, v5
	global_store_b32 v[3:4], v5, off
.LBB935_5:
	s_or_b32 exec_lo, exec_lo, s1
	v_add_nc_u32_e32 v4, 16, v2
	s_delay_alu instid0(VALU_DEP_1) | instskip(NEXT) | instid1(VALU_DEP_1)
	v_cmp_le_i32_e64 s0, v4, v0
	s_and_b32 s1, vcc_lo, s0
	s_delay_alu instid0(SALU_CYCLE_1)
	s_and_saveexec_b32 s0, s1
	s_cbranch_execz .LBB935_7
; %bb.6:
	v_ashrrev_i32_e32 v5, 31, v4
	s_delay_alu instid0(VALU_DEP_1) | instskip(NEXT) | instid1(VALU_DEP_1)
	v_lshlrev_b64 v[10:11], 2, v[4:5]
	v_add_co_u32 v7, vcc_lo, v7, v10
	s_delay_alu instid0(VALU_DEP_2)
	v_add_co_ci_u32_e32 v8, vcc_lo, v8, v11, vcc_lo
	global_load_b32 v3, v[7:8], off
	s_waitcnt vmcnt(0)
	v_sub_f32_e32 v3, v9, v3
	global_store_b32 v[7:8], v3, off
.LBB935_7:
	s_or_b32 exec_lo, exec_lo, s0
	v_add_nc_u32_e32 v0, 16, v0
	s_delay_alu instid0(VALU_DEP_1) | instskip(SKIP_3) | instid1(VALU_DEP_4)
	v_ashrrev_i32_e32 v3, 31, v0
	v_mul_lo_u32 v5, v0, s5
	v_mad_u64_u32 v[7:8], null, v0, s4, 0
	v_cmp_gt_i32_e32 vcc_lo, s2, v0
	v_mul_lo_u32 v3, v3, s4
	v_cmp_le_i32_e64 s0, v2, v0
	s_delay_alu instid0(VALU_DEP_1) | instskip(NEXT) | instid1(VALU_DEP_2)
	s_and_b32 s0, vcc_lo, s0
	v_add3_u32 v8, v8, v5, v3
	s_delay_alu instid0(VALU_DEP_1) | instskip(NEXT) | instid1(VALU_DEP_1)
	v_lshlrev_b64 v[7:8], 2, v[7:8]
	v_add_co_u32 v7, s1, s3, v7
	s_delay_alu instid0(VALU_DEP_1)
	v_add_co_ci_u32_e64 v8, s1, s6, v8, s1
	s_and_saveexec_b32 s1, s0
	s_cbranch_execz .LBB935_9
; %bb.8:
	v_ashrrev_i32_e32 v3, 31, v2
	s_delay_alu instid0(VALU_DEP_1) | instskip(NEXT) | instid1(VALU_DEP_1)
	v_lshlrev_b64 v[2:3], 2, v[2:3]
	v_add_co_u32 v2, s0, v7, v2
	s_delay_alu instid0(VALU_DEP_1)
	v_add_co_ci_u32_e64 v3, s0, v8, v3, s0
	global_load_b32 v5, v[2:3], off
	s_waitcnt vmcnt(0)
	v_sub_f32_e32 v5, v6, v5
	global_store_b32 v[2:3], v5, off
.LBB935_9:
	s_or_b32 exec_lo, exec_lo, s1
	v_cmp_le_i32_e64 s0, v4, v0
	s_delay_alu instid0(VALU_DEP_1) | instskip(NEXT) | instid1(SALU_CYCLE_1)
	s_and_b32 s0, vcc_lo, s0
	s_and_saveexec_b32 s1, s0
	s_cbranch_execz .LBB935_11
; %bb.10:
	v_ashrrev_i32_e32 v5, 31, v4
	s_delay_alu instid0(VALU_DEP_1) | instskip(NEXT) | instid1(VALU_DEP_1)
	v_lshlrev_b64 v[2:3], 2, v[4:5]
	v_add_co_u32 v2, vcc_lo, v7, v2
	s_delay_alu instid0(VALU_DEP_2)
	v_add_co_ci_u32_e32 v3, vcc_lo, v8, v3, vcc_lo
	global_load_b32 v0, v[2:3], off
	s_waitcnt vmcnt(0)
	v_sub_f32_e32 v0, v1, v0
	global_store_b32 v[2:3], v0, off
.LBB935_11:
	s_nop 0
	s_sendmsg sendmsg(MSG_DEALLOC_VGPRS)
	s_endpgm
	.section	.rodata,"a",@progbits
	.p2align	6, 0x0
	.amdhsa_kernel _ZL37rocblas_syrkx_herkx_restricted_kernelIlfLi16ELi32ELi8ELi1ELin1ELb0ELc84ELc85EKffEviT_PT9_S1_lS3_S1_lPT10_S1_li
		.amdhsa_group_segment_fixed_size 2048
		.amdhsa_private_segment_fixed_size 0
		.amdhsa_kernarg_size 92
		.amdhsa_user_sgpr_count 13
		.amdhsa_user_sgpr_dispatch_ptr 0
		.amdhsa_user_sgpr_queue_ptr 0
		.amdhsa_user_sgpr_kernarg_segment_ptr 1
		.amdhsa_user_sgpr_dispatch_id 0
		.amdhsa_user_sgpr_private_segment_size 0
		.amdhsa_wavefront_size32 1
		.amdhsa_uses_dynamic_stack 0
		.amdhsa_enable_private_segment 0
		.amdhsa_system_sgpr_workgroup_id_x 1
		.amdhsa_system_sgpr_workgroup_id_y 1
		.amdhsa_system_sgpr_workgroup_id_z 1
		.amdhsa_system_sgpr_workgroup_info 0
		.amdhsa_system_vgpr_workitem_id 1
		.amdhsa_next_free_vgpr 46
		.amdhsa_next_free_sgpr 32
		.amdhsa_reserve_vcc 1
		.amdhsa_float_round_mode_32 0
		.amdhsa_float_round_mode_16_64 0
		.amdhsa_float_denorm_mode_32 3
		.amdhsa_float_denorm_mode_16_64 3
		.amdhsa_dx10_clamp 1
		.amdhsa_ieee_mode 1
		.amdhsa_fp16_overflow 0
		.amdhsa_workgroup_processor_mode 1
		.amdhsa_memory_ordered 1
		.amdhsa_forward_progress 0
		.amdhsa_shared_vgpr_count 0
		.amdhsa_exception_fp_ieee_invalid_op 0
		.amdhsa_exception_fp_denorm_src 0
		.amdhsa_exception_fp_ieee_div_zero 0
		.amdhsa_exception_fp_ieee_overflow 0
		.amdhsa_exception_fp_ieee_underflow 0
		.amdhsa_exception_fp_ieee_inexact 0
		.amdhsa_exception_int_div_zero 0
	.end_amdhsa_kernel
	.section	.text._ZL37rocblas_syrkx_herkx_restricted_kernelIlfLi16ELi32ELi8ELi1ELin1ELb0ELc84ELc85EKffEviT_PT9_S1_lS3_S1_lPT10_S1_li,"axG",@progbits,_ZL37rocblas_syrkx_herkx_restricted_kernelIlfLi16ELi32ELi8ELi1ELin1ELb0ELc84ELc85EKffEviT_PT9_S1_lS3_S1_lPT10_S1_li,comdat
.Lfunc_end935:
	.size	_ZL37rocblas_syrkx_herkx_restricted_kernelIlfLi16ELi32ELi8ELi1ELin1ELb0ELc84ELc85EKffEviT_PT9_S1_lS3_S1_lPT10_S1_li, .Lfunc_end935-_ZL37rocblas_syrkx_herkx_restricted_kernelIlfLi16ELi32ELi8ELi1ELin1ELb0ELc84ELc85EKffEviT_PT9_S1_lS3_S1_lPT10_S1_li
                                        ; -- End function
	.section	.AMDGPU.csdata,"",@progbits
; Kernel info:
; codeLenInByte = 1316
; NumSgprs: 34
; NumVgprs: 46
; ScratchSize: 0
; MemoryBound: 0
; FloatMode: 240
; IeeeMode: 1
; LDSByteSize: 2048 bytes/workgroup (compile time only)
; SGPRBlocks: 4
; VGPRBlocks: 5
; NumSGPRsForWavesPerEU: 34
; NumVGPRsForWavesPerEU: 46
; Occupancy: 16
; WaveLimiterHint : 1
; COMPUTE_PGM_RSRC2:SCRATCH_EN: 0
; COMPUTE_PGM_RSRC2:USER_SGPR: 13
; COMPUTE_PGM_RSRC2:TRAP_HANDLER: 0
; COMPUTE_PGM_RSRC2:TGID_X_EN: 1
; COMPUTE_PGM_RSRC2:TGID_Y_EN: 1
; COMPUTE_PGM_RSRC2:TGID_Z_EN: 1
; COMPUTE_PGM_RSRC2:TIDIG_COMP_CNT: 1
	.section	.text._ZL37rocblas_syrkx_herkx_restricted_kernelIlfLi16ELi32ELi8ELi1ELin1ELb0ELc67ELc85EKffEviT_PT9_S1_lS3_S1_lPT10_S1_li,"axG",@progbits,_ZL37rocblas_syrkx_herkx_restricted_kernelIlfLi16ELi32ELi8ELi1ELin1ELb0ELc67ELc85EKffEviT_PT9_S1_lS3_S1_lPT10_S1_li,comdat
	.globl	_ZL37rocblas_syrkx_herkx_restricted_kernelIlfLi16ELi32ELi8ELi1ELin1ELb0ELc67ELc85EKffEviT_PT9_S1_lS3_S1_lPT10_S1_li ; -- Begin function _ZL37rocblas_syrkx_herkx_restricted_kernelIlfLi16ELi32ELi8ELi1ELin1ELb0ELc67ELc85EKffEviT_PT9_S1_lS3_S1_lPT10_S1_li
	.p2align	8
	.type	_ZL37rocblas_syrkx_herkx_restricted_kernelIlfLi16ELi32ELi8ELi1ELin1ELb0ELc67ELc85EKffEviT_PT9_S1_lS3_S1_lPT10_S1_li,@function
_ZL37rocblas_syrkx_herkx_restricted_kernelIlfLi16ELi32ELi8ELi1ELin1ELb0ELc67ELc85EKffEviT_PT9_S1_lS3_S1_lPT10_S1_li: ; @_ZL37rocblas_syrkx_herkx_restricted_kernelIlfLi16ELi32ELi8ELi1ELin1ELb0ELc67ELc85EKffEviT_PT9_S1_lS3_S1_lPT10_S1_li
; %bb.0:
	s_load_b512 s[16:31], s[0:1], 0x8
	v_dual_mov_b32 v10, 0 :: v_dual_mov_b32 v9, 0
	v_dual_mov_b32 v6, 0 :: v_dual_and_b32 v7, 0x3ff, v0
	v_bfe_u32 v8, v0, 10, 10
	v_mov_b32_e32 v1, 0
	s_lshl_b32 s8, s13, 5
	s_lshl_b32 s9, s14, 5
	s_waitcnt lgkmcnt(0)
	v_cmp_lt_i64_e64 s2, s[16:17], 1
	s_delay_alu instid0(VALU_DEP_1)
	s_and_b32 vcc_lo, exec_lo, s2
	s_cbranch_vccnz .LBB936_3
; %bb.1:
	v_lshl_add_u32 v2, v8, 4, v7
	v_dual_mov_b32 v1, 0 :: v_dual_and_b32 v0, 7, v7
	s_mul_i32 s3, s23, s15
	s_mul_hi_u32 s4, s22, s15
	s_delay_alu instid0(VALU_DEP_2)
	v_and_b32_e32 v6, 31, v2
	v_lshrrev_b32_e32 v12, 3, v2
	v_mov_b32_e32 v3, v1
	v_lshrrev_b32_e32 v2, 5, v2
	v_lshlrev_b32_e32 v14, 2, v0
	v_add_nc_u32_e32 v9, s8, v6
	v_add_nc_u32_e32 v13, s9, v12
	s_mul_i32 s2, s22, s15
	s_add_i32 s3, s4, s3
	s_mul_hi_u32 s5, s28, s15
	v_ashrrev_i32_e32 v10, 31, v9
	v_ashrrev_i32_e32 v15, 31, v13
	v_mad_u64_u32 v[4:5], null, s20, v9, v[2:3]
	v_mul_lo_u32 v3, s21, v9
	s_delay_alu instid0(VALU_DEP_4)
	v_mul_lo_u32 v16, s20, v10
	v_mul_lo_u32 v17, v13, s27
	v_mad_u64_u32 v[9:10], null, v13, s26, v[0:1]
	v_mul_lo_u32 v13, v15, s26
	v_lshlrev_b32_e32 v0, 2, v6
	s_lshl_b64 s[2:3], s[2:3], 2
	v_lshlrev_b32_e32 v11, 2, v7
	v_add3_u32 v5, v3, v5, v16
	s_add_u32 s4, s18, s2
	v_lshl_or_b32 v0, v2, 7, v0
	s_mul_i32 s2, s29, s15
	v_add3_u32 v10, v13, v10, v17
	v_lshlrev_b64 v[2:3], 2, v[4:5]
	s_addc_u32 s6, s19, s3
	s_add_i32 s3, s5, s2
	s_mul_i32 s2, s28, s15
	v_lshlrev_b64 v[4:5], 2, v[9:10]
	s_lshl_b64 s[2:3], s[2:3], 2
	v_add_co_u32 v2, vcc_lo, s4, v2
	v_mov_b32_e32 v9, v1
	v_lshl_or_b32 v6, v12, 5, v14
	s_add_u32 s2, s24, s2
	v_add_co_ci_u32_e32 v3, vcc_lo, s6, v3, vcc_lo
	s_addc_u32 s3, s25, s3
	v_add_co_u32 v4, vcc_lo, s2, v4
	v_add_nc_u32_e32 v12, 0x400, v6
	v_mov_b32_e32 v6, v1
	v_lshl_add_u32 v13, v8, 5, 0x400
	v_add_co_ci_u32_e32 v5, vcc_lo, s3, v5, vcc_lo
	v_mov_b32_e32 v10, v1
	s_mov_b64 s[2:3], 0
.LBB936_2:                              ; =>This Inner Loop Header: Depth=1
	global_load_b32 v14, v[2:3], off
	global_load_b32 v15, v[4:5], off
	s_add_u32 s2, s2, 8
	v_add_co_u32 v2, vcc_lo, v2, 32
	s_addc_u32 s3, s3, 0
	v_add_co_ci_u32_e32 v3, vcc_lo, 0, v3, vcc_lo
	v_cmp_ge_u64_e64 s4, s[2:3], s[16:17]
	v_add_co_u32 v4, vcc_lo, v4, 32
	v_add_co_ci_u32_e32 v5, vcc_lo, 0, v5, vcc_lo
	s_waitcnt vmcnt(1)
	ds_store_b32 v0, v14
	s_waitcnt vmcnt(0)
	ds_store_b32 v12, v15
	s_waitcnt lgkmcnt(0)
	s_barrier
	buffer_gl0_inv
	ds_load_2addr_b32 v[30:31], v11 offset1:16
	ds_load_b128 v[14:17], v13
	ds_load_b128 v[18:21], v13 offset:512
	ds_load_2addr_b32 v[32:33], v11 offset0:32 offset1:48
	ds_load_2addr_b32 v[34:35], v11 offset0:64 offset1:80
	ds_load_b128 v[22:25], v13 offset:16
	ds_load_2addr_b32 v[36:37], v11 offset0:96 offset1:112
	ds_load_2addr_b32 v[38:39], v11 offset0:128 offset1:144
	;; [unrolled: 3-line block ×3, first 2 shown]
	ds_load_2addr_b32 v[44:45], v11 offset0:224 offset1:240
	s_and_b32 vcc_lo, exec_lo, s4
	s_waitcnt lgkmcnt(0)
	s_barrier
	buffer_gl0_inv
	v_fmac_f32_e32 v9, v31, v14
	v_fmac_f32_e32 v10, v30, v14
	;; [unrolled: 1-line block ×3, first 2 shown]
	s_delay_alu instid0(VALU_DEP_3) | instskip(NEXT) | instid1(VALU_DEP_3)
	v_dual_fmac_f32 v6, v30, v18 :: v_dual_fmac_f32 v9, v33, v15
	v_fmac_f32_e32 v10, v32, v15
	s_delay_alu instid0(VALU_DEP_3) | instskip(NEXT) | instid1(VALU_DEP_3)
	v_fmac_f32_e32 v1, v33, v19
	v_dual_fmac_f32 v6, v32, v19 :: v_dual_fmac_f32 v9, v35, v16
	s_delay_alu instid0(VALU_DEP_3) | instskip(NEXT) | instid1(VALU_DEP_3)
	v_fmac_f32_e32 v10, v34, v16
	v_fmac_f32_e32 v1, v35, v20
	s_delay_alu instid0(VALU_DEP_3) | instskip(NEXT) | instid1(VALU_DEP_3)
	v_dual_fmac_f32 v6, v34, v20 :: v_dual_fmac_f32 v9, v37, v17
	v_fmac_f32_e32 v10, v36, v17
	s_delay_alu instid0(VALU_DEP_3) | instskip(NEXT) | instid1(VALU_DEP_3)
	v_fmac_f32_e32 v1, v37, v21
	v_dual_fmac_f32 v6, v36, v21 :: v_dual_fmac_f32 v9, v39, v22
	s_delay_alu instid0(VALU_DEP_3) | instskip(NEXT) | instid1(VALU_DEP_3)
	v_fmac_f32_e32 v10, v38, v22
	v_fmac_f32_e32 v1, v39, v26
	;; [unrolled: 9-line block ×3, first 2 shown]
	s_delay_alu instid0(VALU_DEP_3) | instskip(NEXT) | instid1(VALU_DEP_3)
	v_dual_fmac_f32 v6, v42, v28 :: v_dual_fmac_f32 v9, v45, v25
	v_fmac_f32_e32 v10, v44, v25
	s_delay_alu instid0(VALU_DEP_3) | instskip(NEXT) | instid1(VALU_DEP_3)
	v_fmac_f32_e32 v1, v45, v29
	v_fmac_f32_e32 v6, v44, v29
	s_cbranch_vccz .LBB936_2
.LBB936_3:
	s_clause 0x1
	s_load_b128 s[4:7], s[0:1], 0x48
	s_load_b32 s2, s[0:1], 0x0
	v_add_nc_u32_e32 v0, s9, v8
	s_delay_alu instid0(VALU_DEP_1) | instskip(SKIP_1) | instid1(VALU_DEP_1)
	v_ashrrev_i32_e32 v2, 31, v0
	s_waitcnt lgkmcnt(0)
	v_mul_lo_u32 v5, v2, s4
	v_mul_lo_u32 v8, v0, s5
	v_mad_u64_u32 v[3:4], null, v0, s4, 0
	s_mul_i32 s1, s15, s7
	s_mul_hi_u32 s3, s15, s6
	s_mul_i32 s6, s15, s6
	s_add_i32 s7, s3, s1
	v_add_nc_u32_e32 v2, s8, v7
	s_lshl_b64 s[6:7], s[6:7], 2
	s_delay_alu instid0(VALU_DEP_2)
	v_add3_u32 v4, v4, v8, v5
	s_add_u32 s3, s30, s6
	v_cmp_gt_i32_e32 vcc_lo, s2, v0
	v_cmp_le_i32_e64 s0, v2, v0
	s_addc_u32 s6, s31, s7
	v_lshlrev_b64 v[3:4], 2, v[3:4]
	s_delay_alu instid0(VALU_DEP_2) | instskip(NEXT) | instid1(VALU_DEP_1)
	s_and_b32 s0, vcc_lo, s0
	v_add_co_u32 v7, s1, s3, v3
	s_delay_alu instid0(VALU_DEP_1)
	v_add_co_ci_u32_e64 v8, s1, s6, v4, s1
	s_and_saveexec_b32 s1, s0
	s_cbranch_execz .LBB936_5
; %bb.4:
	v_ashrrev_i32_e32 v3, 31, v2
	s_delay_alu instid0(VALU_DEP_1) | instskip(NEXT) | instid1(VALU_DEP_1)
	v_lshlrev_b64 v[3:4], 2, v[2:3]
	v_add_co_u32 v3, s0, v7, v3
	s_delay_alu instid0(VALU_DEP_1)
	v_add_co_ci_u32_e64 v4, s0, v8, v4, s0
	global_load_b32 v5, v[3:4], off
	s_waitcnt vmcnt(0)
	v_sub_f32_e32 v5, v10, v5
	global_store_b32 v[3:4], v5, off
.LBB936_5:
	s_or_b32 exec_lo, exec_lo, s1
	v_add_nc_u32_e32 v4, 16, v2
	s_delay_alu instid0(VALU_DEP_1) | instskip(NEXT) | instid1(VALU_DEP_1)
	v_cmp_le_i32_e64 s0, v4, v0
	s_and_b32 s1, vcc_lo, s0
	s_delay_alu instid0(SALU_CYCLE_1)
	s_and_saveexec_b32 s0, s1
	s_cbranch_execz .LBB936_7
; %bb.6:
	v_ashrrev_i32_e32 v5, 31, v4
	s_delay_alu instid0(VALU_DEP_1) | instskip(NEXT) | instid1(VALU_DEP_1)
	v_lshlrev_b64 v[10:11], 2, v[4:5]
	v_add_co_u32 v7, vcc_lo, v7, v10
	s_delay_alu instid0(VALU_DEP_2)
	v_add_co_ci_u32_e32 v8, vcc_lo, v8, v11, vcc_lo
	global_load_b32 v3, v[7:8], off
	s_waitcnt vmcnt(0)
	v_sub_f32_e32 v3, v9, v3
	global_store_b32 v[7:8], v3, off
.LBB936_7:
	s_or_b32 exec_lo, exec_lo, s0
	v_add_nc_u32_e32 v0, 16, v0
	s_delay_alu instid0(VALU_DEP_1) | instskip(SKIP_3) | instid1(VALU_DEP_4)
	v_ashrrev_i32_e32 v3, 31, v0
	v_mul_lo_u32 v5, v0, s5
	v_mad_u64_u32 v[7:8], null, v0, s4, 0
	v_cmp_gt_i32_e32 vcc_lo, s2, v0
	v_mul_lo_u32 v3, v3, s4
	v_cmp_le_i32_e64 s0, v2, v0
	s_delay_alu instid0(VALU_DEP_1) | instskip(NEXT) | instid1(VALU_DEP_2)
	s_and_b32 s0, vcc_lo, s0
	v_add3_u32 v8, v8, v5, v3
	s_delay_alu instid0(VALU_DEP_1) | instskip(NEXT) | instid1(VALU_DEP_1)
	v_lshlrev_b64 v[7:8], 2, v[7:8]
	v_add_co_u32 v7, s1, s3, v7
	s_delay_alu instid0(VALU_DEP_1)
	v_add_co_ci_u32_e64 v8, s1, s6, v8, s1
	s_and_saveexec_b32 s1, s0
	s_cbranch_execz .LBB936_9
; %bb.8:
	v_ashrrev_i32_e32 v3, 31, v2
	s_delay_alu instid0(VALU_DEP_1) | instskip(NEXT) | instid1(VALU_DEP_1)
	v_lshlrev_b64 v[2:3], 2, v[2:3]
	v_add_co_u32 v2, s0, v7, v2
	s_delay_alu instid0(VALU_DEP_1)
	v_add_co_ci_u32_e64 v3, s0, v8, v3, s0
	global_load_b32 v5, v[2:3], off
	s_waitcnt vmcnt(0)
	v_sub_f32_e32 v5, v6, v5
	global_store_b32 v[2:3], v5, off
.LBB936_9:
	s_or_b32 exec_lo, exec_lo, s1
	v_cmp_le_i32_e64 s0, v4, v0
	s_delay_alu instid0(VALU_DEP_1) | instskip(NEXT) | instid1(SALU_CYCLE_1)
	s_and_b32 s0, vcc_lo, s0
	s_and_saveexec_b32 s1, s0
	s_cbranch_execz .LBB936_11
; %bb.10:
	v_ashrrev_i32_e32 v5, 31, v4
	s_delay_alu instid0(VALU_DEP_1) | instskip(NEXT) | instid1(VALU_DEP_1)
	v_lshlrev_b64 v[2:3], 2, v[4:5]
	v_add_co_u32 v2, vcc_lo, v7, v2
	s_delay_alu instid0(VALU_DEP_2)
	v_add_co_ci_u32_e32 v3, vcc_lo, v8, v3, vcc_lo
	global_load_b32 v0, v[2:3], off
	s_waitcnt vmcnt(0)
	v_sub_f32_e32 v0, v1, v0
	global_store_b32 v[2:3], v0, off
.LBB936_11:
	s_nop 0
	s_sendmsg sendmsg(MSG_DEALLOC_VGPRS)
	s_endpgm
	.section	.rodata,"a",@progbits
	.p2align	6, 0x0
	.amdhsa_kernel _ZL37rocblas_syrkx_herkx_restricted_kernelIlfLi16ELi32ELi8ELi1ELin1ELb0ELc67ELc85EKffEviT_PT9_S1_lS3_S1_lPT10_S1_li
		.amdhsa_group_segment_fixed_size 2048
		.amdhsa_private_segment_fixed_size 0
		.amdhsa_kernarg_size 92
		.amdhsa_user_sgpr_count 13
		.amdhsa_user_sgpr_dispatch_ptr 0
		.amdhsa_user_sgpr_queue_ptr 0
		.amdhsa_user_sgpr_kernarg_segment_ptr 1
		.amdhsa_user_sgpr_dispatch_id 0
		.amdhsa_user_sgpr_private_segment_size 0
		.amdhsa_wavefront_size32 1
		.amdhsa_uses_dynamic_stack 0
		.amdhsa_enable_private_segment 0
		.amdhsa_system_sgpr_workgroup_id_x 1
		.amdhsa_system_sgpr_workgroup_id_y 1
		.amdhsa_system_sgpr_workgroup_id_z 1
		.amdhsa_system_sgpr_workgroup_info 0
		.amdhsa_system_vgpr_workitem_id 1
		.amdhsa_next_free_vgpr 46
		.amdhsa_next_free_sgpr 32
		.amdhsa_reserve_vcc 1
		.amdhsa_float_round_mode_32 0
		.amdhsa_float_round_mode_16_64 0
		.amdhsa_float_denorm_mode_32 3
		.amdhsa_float_denorm_mode_16_64 3
		.amdhsa_dx10_clamp 1
		.amdhsa_ieee_mode 1
		.amdhsa_fp16_overflow 0
		.amdhsa_workgroup_processor_mode 1
		.amdhsa_memory_ordered 1
		.amdhsa_forward_progress 0
		.amdhsa_shared_vgpr_count 0
		.amdhsa_exception_fp_ieee_invalid_op 0
		.amdhsa_exception_fp_denorm_src 0
		.amdhsa_exception_fp_ieee_div_zero 0
		.amdhsa_exception_fp_ieee_overflow 0
		.amdhsa_exception_fp_ieee_underflow 0
		.amdhsa_exception_fp_ieee_inexact 0
		.amdhsa_exception_int_div_zero 0
	.end_amdhsa_kernel
	.section	.text._ZL37rocblas_syrkx_herkx_restricted_kernelIlfLi16ELi32ELi8ELi1ELin1ELb0ELc67ELc85EKffEviT_PT9_S1_lS3_S1_lPT10_S1_li,"axG",@progbits,_ZL37rocblas_syrkx_herkx_restricted_kernelIlfLi16ELi32ELi8ELi1ELin1ELb0ELc67ELc85EKffEviT_PT9_S1_lS3_S1_lPT10_S1_li,comdat
.Lfunc_end936:
	.size	_ZL37rocblas_syrkx_herkx_restricted_kernelIlfLi16ELi32ELi8ELi1ELin1ELb0ELc67ELc85EKffEviT_PT9_S1_lS3_S1_lPT10_S1_li, .Lfunc_end936-_ZL37rocblas_syrkx_herkx_restricted_kernelIlfLi16ELi32ELi8ELi1ELin1ELb0ELc67ELc85EKffEviT_PT9_S1_lS3_S1_lPT10_S1_li
                                        ; -- End function
	.section	.AMDGPU.csdata,"",@progbits
; Kernel info:
; codeLenInByte = 1316
; NumSgprs: 34
; NumVgprs: 46
; ScratchSize: 0
; MemoryBound: 0
; FloatMode: 240
; IeeeMode: 1
; LDSByteSize: 2048 bytes/workgroup (compile time only)
; SGPRBlocks: 4
; VGPRBlocks: 5
; NumSGPRsForWavesPerEU: 34
; NumVGPRsForWavesPerEU: 46
; Occupancy: 16
; WaveLimiterHint : 1
; COMPUTE_PGM_RSRC2:SCRATCH_EN: 0
; COMPUTE_PGM_RSRC2:USER_SGPR: 13
; COMPUTE_PGM_RSRC2:TRAP_HANDLER: 0
; COMPUTE_PGM_RSRC2:TGID_X_EN: 1
; COMPUTE_PGM_RSRC2:TGID_Y_EN: 1
; COMPUTE_PGM_RSRC2:TGID_Z_EN: 1
; COMPUTE_PGM_RSRC2:TIDIG_COMP_CNT: 1
	.section	.text._ZL37rocblas_syrkx_herkx_restricted_kernelIlfLi16ELi32ELi8ELi1ELin1ELb0ELc78ELc85EKffEviT_PT9_S1_lS3_S1_lPT10_S1_li,"axG",@progbits,_ZL37rocblas_syrkx_herkx_restricted_kernelIlfLi16ELi32ELi8ELi1ELin1ELb0ELc78ELc85EKffEviT_PT9_S1_lS3_S1_lPT10_S1_li,comdat
	.globl	_ZL37rocblas_syrkx_herkx_restricted_kernelIlfLi16ELi32ELi8ELi1ELin1ELb0ELc78ELc85EKffEviT_PT9_S1_lS3_S1_lPT10_S1_li ; -- Begin function _ZL37rocblas_syrkx_herkx_restricted_kernelIlfLi16ELi32ELi8ELi1ELin1ELb0ELc78ELc85EKffEviT_PT9_S1_lS3_S1_lPT10_S1_li
	.p2align	8
	.type	_ZL37rocblas_syrkx_herkx_restricted_kernelIlfLi16ELi32ELi8ELi1ELin1ELb0ELc78ELc85EKffEviT_PT9_S1_lS3_S1_lPT10_S1_li,@function
_ZL37rocblas_syrkx_herkx_restricted_kernelIlfLi16ELi32ELi8ELi1ELin1ELb0ELc78ELc85EKffEviT_PT9_S1_lS3_S1_lPT10_S1_li: ; @_ZL37rocblas_syrkx_herkx_restricted_kernelIlfLi16ELi32ELi8ELi1ELin1ELb0ELc78ELc85EKffEviT_PT9_S1_lS3_S1_lPT10_S1_li
; %bb.0:
	s_load_b512 s[16:31], s[0:1], 0x8
	v_dual_mov_b32 v9, 0 :: v_dual_mov_b32 v8, 0
	v_dual_mov_b32 v7, 0 :: v_dual_mov_b32 v4, 0
	v_and_b32_e32 v5, 0x3ff, v0
	v_bfe_u32 v6, v0, 10, 10
	s_lshl_b32 s8, s13, 5
	s_lshl_b32 s9, s14, 5
	s_waitcnt lgkmcnt(0)
	v_cmp_lt_i64_e64 s2, s[16:17], 1
	s_delay_alu instid0(VALU_DEP_1)
	s_and_b32 vcc_lo, exec_lo, s2
	s_cbranch_vccnz .LBB937_3
; %bb.1:
	v_lshl_add_u32 v1, v6, 4, v5
	v_and_b32_e32 v15, 7, v5
	s_mul_i32 s3, s23, s15
	s_mul_hi_u32 s5, s22, s15
	s_mul_i32 s2, s22, s15
	v_and_b32_e32 v9, 31, v1
	v_lshrrev_b32_e32 v14, 3, v1
	v_lshrrev_b32_e32 v16, 5, v1
	s_add_i32 s3, s5, s3
	s_mul_i32 s6, s29, s15
	v_add_nc_u32_e32 v0, s8, v9
	v_add_nc_u32_e32 v2, s9, v14
	s_lshl_b64 s[2:3], s[2:3], 2
	s_mul_hi_u32 s7, s28, s15
	s_add_u32 s10, s18, s2
	v_ashrrev_i32_e32 v1, 31, v0
	v_ashrrev_i32_e32 v3, 31, v2
	s_mul_i32 s4, s28, s15
	s_addc_u32 s11, s19, s3
	s_add_i32 s5, s7, s6
	v_mad_u64_u32 v[7:8], null, v16, s20, v[0:1]
	v_mad_u64_u32 v[0:1], null, v15, s26, v[2:3]
	s_lshl_b64 s[4:5], s[4:5], 2
	s_lshl_b64 s[2:3], s[20:21], 5
	s_add_u32 s4, s24, s4
	s_addc_u32 s5, s25, s5
	s_delay_alu instid0(VALU_DEP_2) | instskip(SKIP_3) | instid1(VALU_DEP_3)
	v_mov_b32_e32 v2, v8
	v_lshlrev_b32_e32 v10, 2, v5
	v_lshl_add_u32 v11, v6, 5, 0x400
	s_mov_b64 s[6:7], 0
	v_mad_u64_u32 v[3:4], null, v16, s21, v[2:3]
	v_lshlrev_b32_e32 v4, 2, v9
	s_delay_alu instid0(VALU_DEP_2) | instskip(SKIP_2) | instid1(VALU_DEP_3)
	v_mov_b32_e32 v8, v3
	v_mad_u64_u32 v[12:13], null, v15, s27, v[1:2]
	v_lshlrev_b32_e32 v17, 2, v15
	v_lshlrev_b64 v[2:3], 2, v[7:8]
	s_delay_alu instid0(VALU_DEP_3) | instskip(SKIP_3) | instid1(VALU_DEP_4)
	v_mov_b32_e32 v1, v12
	v_lshl_or_b32 v12, v16, 7, v4
	v_mov_b32_e32 v4, 0
	v_lshl_or_b32 v9, v14, 5, v17
	v_lshlrev_b64 v[7:8], 2, v[0:1]
	v_add_co_u32 v0, vcc_lo, s10, v2
	v_add_co_ci_u32_e32 v1, vcc_lo, s11, v3, vcc_lo
	s_delay_alu instid0(VALU_DEP_4) | instskip(NEXT) | instid1(VALU_DEP_4)
	v_add_nc_u32_e32 v13, 0x400, v9
	v_add_co_u32 v2, vcc_lo, s4, v7
	v_add_co_ci_u32_e32 v3, vcc_lo, s5, v8, vcc_lo
	v_dual_mov_b32 v8, 0 :: v_dual_mov_b32 v7, 0
	v_mov_b32_e32 v9, 0
	s_lshl_b64 s[4:5], s[26:27], 5
.LBB937_2:                              ; =>This Inner Loop Header: Depth=1
	global_load_b32 v14, v[0:1], off
	global_load_b32 v15, v[2:3], off
	s_add_u32 s6, s6, 8
	v_add_co_u32 v0, vcc_lo, v0, s2
	s_addc_u32 s7, s7, 0
	v_add_co_ci_u32_e32 v1, vcc_lo, s3, v1, vcc_lo
	v_cmp_ge_u64_e64 s10, s[6:7], s[16:17]
	v_add_co_u32 v2, vcc_lo, v2, s4
	v_add_co_ci_u32_e32 v3, vcc_lo, s5, v3, vcc_lo
	s_waitcnt vmcnt(1)
	ds_store_b32 v12, v14
	s_waitcnt vmcnt(0)
	ds_store_b32 v13, v15
	s_waitcnt lgkmcnt(0)
	s_barrier
	buffer_gl0_inv
	ds_load_2addr_b32 v[30:31], v10 offset1:16
	ds_load_b128 v[14:17], v11
	ds_load_b128 v[18:21], v11 offset:512
	ds_load_2addr_b32 v[32:33], v10 offset0:32 offset1:48
	ds_load_2addr_b32 v[34:35], v10 offset0:64 offset1:80
	ds_load_b128 v[22:25], v11 offset:16
	ds_load_2addr_b32 v[36:37], v10 offset0:96 offset1:112
	ds_load_2addr_b32 v[38:39], v10 offset0:128 offset1:144
	ds_load_b128 v[26:29], v11 offset:528
	ds_load_2addr_b32 v[40:41], v10 offset0:160 offset1:176
	ds_load_2addr_b32 v[42:43], v10 offset0:192 offset1:208
	ds_load_2addr_b32 v[44:45], v10 offset0:224 offset1:240
	s_and_b32 vcc_lo, exec_lo, s10
	s_waitcnt lgkmcnt(0)
	s_barrier
	buffer_gl0_inv
	v_fmac_f32_e32 v8, v31, v14
	v_fmac_f32_e32 v9, v30, v14
	;; [unrolled: 1-line block ×3, first 2 shown]
	s_delay_alu instid0(VALU_DEP_3) | instskip(NEXT) | instid1(VALU_DEP_3)
	v_dual_fmac_f32 v7, v30, v18 :: v_dual_fmac_f32 v8, v33, v15
	v_fmac_f32_e32 v9, v32, v15
	s_delay_alu instid0(VALU_DEP_3) | instskip(NEXT) | instid1(VALU_DEP_3)
	v_fmac_f32_e32 v4, v33, v19
	v_dual_fmac_f32 v7, v32, v19 :: v_dual_fmac_f32 v8, v35, v16
	s_delay_alu instid0(VALU_DEP_3) | instskip(NEXT) | instid1(VALU_DEP_3)
	v_fmac_f32_e32 v9, v34, v16
	v_fmac_f32_e32 v4, v35, v20
	s_delay_alu instid0(VALU_DEP_3) | instskip(NEXT) | instid1(VALU_DEP_3)
	v_dual_fmac_f32 v7, v34, v20 :: v_dual_fmac_f32 v8, v37, v17
	v_fmac_f32_e32 v9, v36, v17
	s_delay_alu instid0(VALU_DEP_3) | instskip(NEXT) | instid1(VALU_DEP_3)
	v_fmac_f32_e32 v4, v37, v21
	v_dual_fmac_f32 v7, v36, v21 :: v_dual_fmac_f32 v8, v39, v22
	s_delay_alu instid0(VALU_DEP_3) | instskip(NEXT) | instid1(VALU_DEP_3)
	v_fmac_f32_e32 v9, v38, v22
	v_fmac_f32_e32 v4, v39, v26
	;; [unrolled: 9-line block ×3, first 2 shown]
	s_delay_alu instid0(VALU_DEP_3) | instskip(NEXT) | instid1(VALU_DEP_3)
	v_dual_fmac_f32 v7, v42, v28 :: v_dual_fmac_f32 v8, v45, v25
	v_fmac_f32_e32 v9, v44, v25
	s_delay_alu instid0(VALU_DEP_3) | instskip(NEXT) | instid1(VALU_DEP_3)
	v_fmac_f32_e32 v4, v45, v29
	v_fmac_f32_e32 v7, v44, v29
	s_cbranch_vccz .LBB937_2
.LBB937_3:
	s_clause 0x1
	s_load_b128 s[4:7], s[0:1], 0x48
	s_load_b32 s2, s[0:1], 0x0
	v_add_nc_u32_e32 v6, s9, v6
	s_delay_alu instid0(VALU_DEP_1) | instskip(SKIP_1) | instid1(VALU_DEP_1)
	v_ashrrev_i32_e32 v0, 31, v6
	s_waitcnt lgkmcnt(0)
	v_mul_lo_u32 v3, v0, s4
	v_mul_lo_u32 v10, v6, s5
	v_mad_u64_u32 v[1:2], null, v6, s4, 0
	s_mul_i32 s1, s15, s7
	s_mul_hi_u32 s3, s15, s6
	s_mul_i32 s6, s15, s6
	s_add_i32 s7, s3, s1
	v_add_nc_u32_e32 v0, s8, v5
	s_lshl_b64 s[6:7], s[6:7], 2
	s_delay_alu instid0(VALU_DEP_2)
	v_add3_u32 v2, v2, v10, v3
	s_add_u32 s3, s30, s6
	v_cmp_gt_i32_e32 vcc_lo, s2, v6
	v_cmp_le_i32_e64 s0, v0, v6
	s_addc_u32 s6, s31, s7
	v_lshlrev_b64 v[1:2], 2, v[1:2]
	s_delay_alu instid0(VALU_DEP_2) | instskip(NEXT) | instid1(VALU_DEP_1)
	s_and_b32 s0, vcc_lo, s0
	v_add_co_u32 v5, s1, s3, v1
	s_delay_alu instid0(VALU_DEP_1)
	v_add_co_ci_u32_e64 v10, s1, s6, v2, s1
	s_and_saveexec_b32 s1, s0
	s_cbranch_execz .LBB937_5
; %bb.4:
	v_ashrrev_i32_e32 v1, 31, v0
	s_delay_alu instid0(VALU_DEP_1) | instskip(NEXT) | instid1(VALU_DEP_1)
	v_lshlrev_b64 v[1:2], 2, v[0:1]
	v_add_co_u32 v1, s0, v5, v1
	s_delay_alu instid0(VALU_DEP_1)
	v_add_co_ci_u32_e64 v2, s0, v10, v2, s0
	global_load_b32 v3, v[1:2], off
	s_waitcnt vmcnt(0)
	v_sub_f32_e32 v3, v9, v3
	global_store_b32 v[1:2], v3, off
.LBB937_5:
	s_or_b32 exec_lo, exec_lo, s1
	v_add_nc_u32_e32 v2, 16, v0
	s_delay_alu instid0(VALU_DEP_1) | instskip(NEXT) | instid1(VALU_DEP_1)
	v_cmp_le_i32_e64 s0, v2, v6
	s_and_b32 s1, vcc_lo, s0
	s_delay_alu instid0(SALU_CYCLE_1)
	s_and_saveexec_b32 s0, s1
	s_cbranch_execz .LBB937_7
; %bb.6:
	v_ashrrev_i32_e32 v3, 31, v2
	s_delay_alu instid0(VALU_DEP_1) | instskip(NEXT) | instid1(VALU_DEP_1)
	v_lshlrev_b64 v[11:12], 2, v[2:3]
	v_add_co_u32 v9, vcc_lo, v5, v11
	s_delay_alu instid0(VALU_DEP_2)
	v_add_co_ci_u32_e32 v10, vcc_lo, v10, v12, vcc_lo
	global_load_b32 v1, v[9:10], off
	s_waitcnt vmcnt(0)
	v_sub_f32_e32 v1, v8, v1
	global_store_b32 v[9:10], v1, off
.LBB937_7:
	s_or_b32 exec_lo, exec_lo, s0
	v_add_nc_u32_e32 v3, 16, v6
	s_delay_alu instid0(VALU_DEP_1) | instskip(SKIP_3) | instid1(VALU_DEP_4)
	v_ashrrev_i32_e32 v1, 31, v3
	v_mul_lo_u32 v8, v3, s5
	v_mad_u64_u32 v[5:6], null, v3, s4, 0
	v_cmp_gt_i32_e32 vcc_lo, s2, v3
	v_mul_lo_u32 v1, v1, s4
	v_cmp_le_i32_e64 s0, v0, v3
	s_delay_alu instid0(VALU_DEP_1) | instskip(NEXT) | instid1(VALU_DEP_2)
	s_and_b32 s0, vcc_lo, s0
	v_add3_u32 v6, v6, v8, v1
	s_delay_alu instid0(VALU_DEP_1) | instskip(NEXT) | instid1(VALU_DEP_1)
	v_lshlrev_b64 v[5:6], 2, v[5:6]
	v_add_co_u32 v5, s1, s3, v5
	s_delay_alu instid0(VALU_DEP_1)
	v_add_co_ci_u32_e64 v6, s1, s6, v6, s1
	s_and_saveexec_b32 s1, s0
	s_cbranch_execz .LBB937_9
; %bb.8:
	v_ashrrev_i32_e32 v1, 31, v0
	s_delay_alu instid0(VALU_DEP_1) | instskip(NEXT) | instid1(VALU_DEP_1)
	v_lshlrev_b64 v[0:1], 2, v[0:1]
	v_add_co_u32 v0, s0, v5, v0
	s_delay_alu instid0(VALU_DEP_1)
	v_add_co_ci_u32_e64 v1, s0, v6, v1, s0
	global_load_b32 v8, v[0:1], off
	s_waitcnt vmcnt(0)
	v_sub_f32_e32 v7, v7, v8
	global_store_b32 v[0:1], v7, off
.LBB937_9:
	s_or_b32 exec_lo, exec_lo, s1
	v_cmp_le_i32_e64 s0, v2, v3
	s_delay_alu instid0(VALU_DEP_1) | instskip(NEXT) | instid1(SALU_CYCLE_1)
	s_and_b32 s0, vcc_lo, s0
	s_and_saveexec_b32 s1, s0
	s_cbranch_execz .LBB937_11
; %bb.10:
	v_ashrrev_i32_e32 v3, 31, v2
	s_delay_alu instid0(VALU_DEP_1) | instskip(NEXT) | instid1(VALU_DEP_1)
	v_lshlrev_b64 v[0:1], 2, v[2:3]
	v_add_co_u32 v0, vcc_lo, v5, v0
	s_delay_alu instid0(VALU_DEP_2)
	v_add_co_ci_u32_e32 v1, vcc_lo, v6, v1, vcc_lo
	global_load_b32 v2, v[0:1], off
	s_waitcnt vmcnt(0)
	v_sub_f32_e32 v2, v4, v2
	global_store_b32 v[0:1], v2, off
.LBB937_11:
	s_nop 0
	s_sendmsg sendmsg(MSG_DEALLOC_VGPRS)
	s_endpgm
	.section	.rodata,"a",@progbits
	.p2align	6, 0x0
	.amdhsa_kernel _ZL37rocblas_syrkx_herkx_restricted_kernelIlfLi16ELi32ELi8ELi1ELin1ELb0ELc78ELc85EKffEviT_PT9_S1_lS3_S1_lPT10_S1_li
		.amdhsa_group_segment_fixed_size 2048
		.amdhsa_private_segment_fixed_size 0
		.amdhsa_kernarg_size 92
		.amdhsa_user_sgpr_count 13
		.amdhsa_user_sgpr_dispatch_ptr 0
		.amdhsa_user_sgpr_queue_ptr 0
		.amdhsa_user_sgpr_kernarg_segment_ptr 1
		.amdhsa_user_sgpr_dispatch_id 0
		.amdhsa_user_sgpr_private_segment_size 0
		.amdhsa_wavefront_size32 1
		.amdhsa_uses_dynamic_stack 0
		.amdhsa_enable_private_segment 0
		.amdhsa_system_sgpr_workgroup_id_x 1
		.amdhsa_system_sgpr_workgroup_id_y 1
		.amdhsa_system_sgpr_workgroup_id_z 1
		.amdhsa_system_sgpr_workgroup_info 0
		.amdhsa_system_vgpr_workitem_id 1
		.amdhsa_next_free_vgpr 46
		.amdhsa_next_free_sgpr 32
		.amdhsa_reserve_vcc 1
		.amdhsa_float_round_mode_32 0
		.amdhsa_float_round_mode_16_64 0
		.amdhsa_float_denorm_mode_32 3
		.amdhsa_float_denorm_mode_16_64 3
		.amdhsa_dx10_clamp 1
		.amdhsa_ieee_mode 1
		.amdhsa_fp16_overflow 0
		.amdhsa_workgroup_processor_mode 1
		.amdhsa_memory_ordered 1
		.amdhsa_forward_progress 0
		.amdhsa_shared_vgpr_count 0
		.amdhsa_exception_fp_ieee_invalid_op 0
		.amdhsa_exception_fp_denorm_src 0
		.amdhsa_exception_fp_ieee_div_zero 0
		.amdhsa_exception_fp_ieee_overflow 0
		.amdhsa_exception_fp_ieee_underflow 0
		.amdhsa_exception_fp_ieee_inexact 0
		.amdhsa_exception_int_div_zero 0
	.end_amdhsa_kernel
	.section	.text._ZL37rocblas_syrkx_herkx_restricted_kernelIlfLi16ELi32ELi8ELi1ELin1ELb0ELc78ELc85EKffEviT_PT9_S1_lS3_S1_lPT10_S1_li,"axG",@progbits,_ZL37rocblas_syrkx_herkx_restricted_kernelIlfLi16ELi32ELi8ELi1ELin1ELb0ELc78ELc85EKffEviT_PT9_S1_lS3_S1_lPT10_S1_li,comdat
.Lfunc_end937:
	.size	_ZL37rocblas_syrkx_herkx_restricted_kernelIlfLi16ELi32ELi8ELi1ELin1ELb0ELc78ELc85EKffEviT_PT9_S1_lS3_S1_lPT10_S1_li, .Lfunc_end937-_ZL37rocblas_syrkx_herkx_restricted_kernelIlfLi16ELi32ELi8ELi1ELin1ELb0ELc78ELc85EKffEviT_PT9_S1_lS3_S1_lPT10_S1_li
                                        ; -- End function
	.section	.AMDGPU.csdata,"",@progbits
; Kernel info:
; codeLenInByte = 1308
; NumSgprs: 34
; NumVgprs: 46
; ScratchSize: 0
; MemoryBound: 0
; FloatMode: 240
; IeeeMode: 1
; LDSByteSize: 2048 bytes/workgroup (compile time only)
; SGPRBlocks: 4
; VGPRBlocks: 5
; NumSGPRsForWavesPerEU: 34
; NumVGPRsForWavesPerEU: 46
; Occupancy: 16
; WaveLimiterHint : 1
; COMPUTE_PGM_RSRC2:SCRATCH_EN: 0
; COMPUTE_PGM_RSRC2:USER_SGPR: 13
; COMPUTE_PGM_RSRC2:TRAP_HANDLER: 0
; COMPUTE_PGM_RSRC2:TGID_X_EN: 1
; COMPUTE_PGM_RSRC2:TGID_Y_EN: 1
; COMPUTE_PGM_RSRC2:TGID_Z_EN: 1
; COMPUTE_PGM_RSRC2:TIDIG_COMP_CNT: 1
	.section	.text._ZL37rocblas_syrkx_herkx_restricted_kernelIlfLi16ELi32ELi8ELi1ELi0ELb0ELc84ELc76EKffEviT_PT9_S1_lS3_S1_lPT10_S1_li,"axG",@progbits,_ZL37rocblas_syrkx_herkx_restricted_kernelIlfLi16ELi32ELi8ELi1ELi0ELb0ELc84ELc76EKffEviT_PT9_S1_lS3_S1_lPT10_S1_li,comdat
	.globl	_ZL37rocblas_syrkx_herkx_restricted_kernelIlfLi16ELi32ELi8ELi1ELi0ELb0ELc84ELc76EKffEviT_PT9_S1_lS3_S1_lPT10_S1_li ; -- Begin function _ZL37rocblas_syrkx_herkx_restricted_kernelIlfLi16ELi32ELi8ELi1ELi0ELb0ELc84ELc76EKffEviT_PT9_S1_lS3_S1_lPT10_S1_li
	.p2align	8
	.type	_ZL37rocblas_syrkx_herkx_restricted_kernelIlfLi16ELi32ELi8ELi1ELi0ELb0ELc84ELc76EKffEviT_PT9_S1_lS3_S1_lPT10_S1_li,@function
_ZL37rocblas_syrkx_herkx_restricted_kernelIlfLi16ELi32ELi8ELi1ELi0ELb0ELc84ELc76EKffEviT_PT9_S1_lS3_S1_lPT10_S1_li: ; @_ZL37rocblas_syrkx_herkx_restricted_kernelIlfLi16ELi32ELi8ELi1ELi0ELb0ELc84ELc76EKffEviT_PT9_S1_lS3_S1_lPT10_S1_li
; %bb.0:
	s_load_b512 s[16:31], s[0:1], 0x8
	v_dual_mov_b32 v10, 0 :: v_dual_mov_b32 v9, 0
	v_dual_mov_b32 v6, 0 :: v_dual_and_b32 v7, 0x3ff, v0
	v_bfe_u32 v8, v0, 10, 10
	v_mov_b32_e32 v1, 0
	s_lshl_b32 s8, s13, 5
	s_lshl_b32 s9, s14, 5
	s_waitcnt lgkmcnt(0)
	v_cmp_lt_i64_e64 s2, s[16:17], 1
	s_delay_alu instid0(VALU_DEP_1)
	s_and_b32 vcc_lo, exec_lo, s2
	s_cbranch_vccnz .LBB938_3
; %bb.1:
	v_lshl_add_u32 v2, v8, 4, v7
	v_dual_mov_b32 v1, 0 :: v_dual_and_b32 v0, 7, v7
	s_mul_i32 s3, s23, s15
	s_mul_hi_u32 s4, s22, s15
	s_delay_alu instid0(VALU_DEP_2)
	v_and_b32_e32 v6, 31, v2
	v_lshrrev_b32_e32 v12, 3, v2
	v_mov_b32_e32 v3, v1
	v_lshrrev_b32_e32 v2, 5, v2
	v_lshlrev_b32_e32 v14, 2, v0
	v_add_nc_u32_e32 v9, s8, v6
	v_add_nc_u32_e32 v13, s9, v12
	s_mul_i32 s2, s22, s15
	s_add_i32 s3, s4, s3
	s_mul_hi_u32 s5, s28, s15
	v_ashrrev_i32_e32 v10, 31, v9
	v_ashrrev_i32_e32 v15, 31, v13
	v_mad_u64_u32 v[4:5], null, s20, v9, v[2:3]
	v_mul_lo_u32 v3, s21, v9
	s_delay_alu instid0(VALU_DEP_4)
	v_mul_lo_u32 v16, s20, v10
	v_mul_lo_u32 v17, v13, s27
	v_mad_u64_u32 v[9:10], null, v13, s26, v[0:1]
	v_mul_lo_u32 v13, v15, s26
	v_lshlrev_b32_e32 v0, 2, v6
	s_lshl_b64 s[2:3], s[2:3], 2
	v_lshlrev_b32_e32 v11, 2, v7
	v_add3_u32 v5, v3, v5, v16
	s_add_u32 s4, s18, s2
	v_lshl_or_b32 v0, v2, 7, v0
	s_mul_i32 s2, s29, s15
	v_add3_u32 v10, v13, v10, v17
	v_lshlrev_b64 v[2:3], 2, v[4:5]
	s_addc_u32 s6, s19, s3
	s_add_i32 s3, s5, s2
	s_mul_i32 s2, s28, s15
	v_lshlrev_b64 v[4:5], 2, v[9:10]
	s_lshl_b64 s[2:3], s[2:3], 2
	v_add_co_u32 v2, vcc_lo, s4, v2
	v_mov_b32_e32 v9, v1
	v_lshl_or_b32 v6, v12, 5, v14
	s_add_u32 s2, s24, s2
	v_add_co_ci_u32_e32 v3, vcc_lo, s6, v3, vcc_lo
	s_addc_u32 s3, s25, s3
	v_add_co_u32 v4, vcc_lo, s2, v4
	v_add_nc_u32_e32 v12, 0x400, v6
	v_mov_b32_e32 v6, v1
	v_lshl_add_u32 v13, v8, 5, 0x400
	v_add_co_ci_u32_e32 v5, vcc_lo, s3, v5, vcc_lo
	v_mov_b32_e32 v10, v1
	s_mov_b64 s[2:3], 0
.LBB938_2:                              ; =>This Inner Loop Header: Depth=1
	global_load_b32 v14, v[2:3], off
	global_load_b32 v15, v[4:5], off
	s_add_u32 s2, s2, 8
	v_add_co_u32 v2, vcc_lo, v2, 32
	s_addc_u32 s3, s3, 0
	v_add_co_ci_u32_e32 v3, vcc_lo, 0, v3, vcc_lo
	v_cmp_ge_u64_e64 s4, s[2:3], s[16:17]
	v_add_co_u32 v4, vcc_lo, v4, 32
	v_add_co_ci_u32_e32 v5, vcc_lo, 0, v5, vcc_lo
	s_waitcnt vmcnt(1)
	ds_store_b32 v0, v14
	s_waitcnt vmcnt(0)
	ds_store_b32 v12, v15
	s_waitcnt lgkmcnt(0)
	s_barrier
	buffer_gl0_inv
	ds_load_2addr_b32 v[30:31], v11 offset1:16
	ds_load_b128 v[14:17], v13
	ds_load_b128 v[18:21], v13 offset:512
	ds_load_2addr_b32 v[32:33], v11 offset0:32 offset1:48
	ds_load_2addr_b32 v[34:35], v11 offset0:64 offset1:80
	ds_load_b128 v[22:25], v13 offset:16
	ds_load_2addr_b32 v[36:37], v11 offset0:96 offset1:112
	ds_load_2addr_b32 v[38:39], v11 offset0:128 offset1:144
	;; [unrolled: 3-line block ×3, first 2 shown]
	ds_load_2addr_b32 v[44:45], v11 offset0:224 offset1:240
	s_and_b32 vcc_lo, exec_lo, s4
	s_waitcnt lgkmcnt(0)
	s_barrier
	buffer_gl0_inv
	v_fmac_f32_e32 v9, v31, v14
	v_fmac_f32_e32 v10, v30, v14
	;; [unrolled: 1-line block ×3, first 2 shown]
	s_delay_alu instid0(VALU_DEP_3) | instskip(NEXT) | instid1(VALU_DEP_3)
	v_dual_fmac_f32 v6, v30, v18 :: v_dual_fmac_f32 v9, v33, v15
	v_fmac_f32_e32 v10, v32, v15
	s_delay_alu instid0(VALU_DEP_3) | instskip(NEXT) | instid1(VALU_DEP_3)
	v_fmac_f32_e32 v1, v33, v19
	v_dual_fmac_f32 v6, v32, v19 :: v_dual_fmac_f32 v9, v35, v16
	s_delay_alu instid0(VALU_DEP_3) | instskip(NEXT) | instid1(VALU_DEP_3)
	v_fmac_f32_e32 v10, v34, v16
	v_fmac_f32_e32 v1, v35, v20
	s_delay_alu instid0(VALU_DEP_3) | instskip(NEXT) | instid1(VALU_DEP_3)
	v_dual_fmac_f32 v6, v34, v20 :: v_dual_fmac_f32 v9, v37, v17
	v_fmac_f32_e32 v10, v36, v17
	s_delay_alu instid0(VALU_DEP_3) | instskip(NEXT) | instid1(VALU_DEP_3)
	v_fmac_f32_e32 v1, v37, v21
	v_dual_fmac_f32 v6, v36, v21 :: v_dual_fmac_f32 v9, v39, v22
	s_delay_alu instid0(VALU_DEP_3) | instskip(NEXT) | instid1(VALU_DEP_3)
	v_fmac_f32_e32 v10, v38, v22
	v_fmac_f32_e32 v1, v39, v26
	;; [unrolled: 9-line block ×3, first 2 shown]
	s_delay_alu instid0(VALU_DEP_3) | instskip(NEXT) | instid1(VALU_DEP_3)
	v_dual_fmac_f32 v6, v42, v28 :: v_dual_fmac_f32 v9, v45, v25
	v_fmac_f32_e32 v10, v44, v25
	s_delay_alu instid0(VALU_DEP_3) | instskip(NEXT) | instid1(VALU_DEP_3)
	v_fmac_f32_e32 v1, v45, v29
	v_fmac_f32_e32 v6, v44, v29
	s_cbranch_vccz .LBB938_2
.LBB938_3:
	s_load_b128 s[4:7], s[0:1], 0x48
	v_add_nc_u32_e32 v0, s9, v8
	s_load_b32 s9, s[0:1], 0x0
	s_delay_alu instid0(VALU_DEP_1) | instskip(SKIP_1) | instid1(VALU_DEP_1)
	v_ashrrev_i32_e32 v2, 31, v0
	s_waitcnt lgkmcnt(0)
	v_mul_lo_u32 v5, v2, s4
	v_mul_lo_u32 v8, v0, s5
	v_mad_u64_u32 v[3:4], null, v0, s4, 0
	s_mul_i32 s1, s15, s7
	s_mul_hi_u32 s3, s15, s6
	s_mul_i32 s2, s15, s6
	s_add_i32 s3, s3, s1
	v_add_nc_u32_e32 v2, s8, v7
	s_lshl_b64 s[2:3], s[2:3], 2
	s_delay_alu instid0(VALU_DEP_2)
	v_add3_u32 v4, v4, v8, v5
	s_add_u32 s2, s30, s2
	s_addc_u32 s3, s31, s3
	v_cmp_le_i32_e64 s0, v0, v2
	v_cmp_gt_i32_e32 vcc_lo, s9, v2
	v_lshlrev_b64 v[3:4], 2, v[3:4]
	s_delay_alu instid0(VALU_DEP_3) | instskip(NEXT) | instid1(VALU_DEP_1)
	s_and_b32 s0, s0, vcc_lo
	v_add_co_u32 v7, s1, s2, v3
	s_delay_alu instid0(VALU_DEP_1)
	v_add_co_ci_u32_e64 v8, s1, s3, v4, s1
	s_and_saveexec_b32 s1, s0
	s_cbranch_execz .LBB938_5
; %bb.4:
	v_ashrrev_i32_e32 v3, 31, v2
	s_delay_alu instid0(VALU_DEP_1) | instskip(NEXT) | instid1(VALU_DEP_1)
	v_lshlrev_b64 v[3:4], 2, v[2:3]
	v_add_co_u32 v3, s0, v7, v3
	s_delay_alu instid0(VALU_DEP_1)
	v_add_co_ci_u32_e64 v4, s0, v8, v4, s0
	global_store_b32 v[3:4], v10, off
.LBB938_5:
	s_or_b32 exec_lo, exec_lo, s1
	v_add_nc_u32_e32 v4, 16, v2
	s_delay_alu instid0(VALU_DEP_1) | instskip(SKIP_1) | instid1(VALU_DEP_1)
	v_cmp_le_i32_e64 s1, v0, v4
	v_cmp_gt_i32_e64 s0, s9, v4
	s_and_b32 s1, s1, s0
	s_delay_alu instid0(SALU_CYCLE_1)
	s_and_saveexec_b32 s6, s1
	s_cbranch_execz .LBB938_7
; %bb.6:
	v_ashrrev_i32_e32 v5, 31, v4
	s_delay_alu instid0(VALU_DEP_1) | instskip(NEXT) | instid1(VALU_DEP_1)
	v_lshlrev_b64 v[10:11], 2, v[4:5]
	v_add_co_u32 v7, s1, v7, v10
	s_delay_alu instid0(VALU_DEP_1)
	v_add_co_ci_u32_e64 v8, s1, v8, v11, s1
	global_store_b32 v[7:8], v9, off
.LBB938_7:
	s_or_b32 exec_lo, exec_lo, s6
	v_add_nc_u32_e32 v0, 16, v0
	s_delay_alu instid0(VALU_DEP_1) | instskip(SKIP_3) | instid1(VALU_DEP_4)
	v_ashrrev_i32_e32 v3, 31, v0
	v_mul_lo_u32 v5, v0, s5
	v_mad_u64_u32 v[7:8], null, v0, s4, 0
	v_cmp_le_i32_e64 s1, v0, v2
	v_mul_lo_u32 v3, v3, s4
	s_delay_alu instid0(VALU_DEP_1) | instskip(NEXT) | instid1(VALU_DEP_1)
	v_add3_u32 v8, v8, v5, v3
	v_lshlrev_b64 v[7:8], 2, v[7:8]
	s_delay_alu instid0(VALU_DEP_1) | instskip(NEXT) | instid1(VALU_DEP_1)
	v_add_co_u32 v7, s2, s2, v7
	v_add_co_ci_u32_e64 v8, s2, s3, v8, s2
	s_and_b32 s2, s1, vcc_lo
	s_delay_alu instid0(SALU_CYCLE_1)
	s_and_saveexec_b32 s1, s2
	s_cbranch_execz .LBB938_9
; %bb.8:
	v_ashrrev_i32_e32 v3, 31, v2
	s_delay_alu instid0(VALU_DEP_1) | instskip(NEXT) | instid1(VALU_DEP_1)
	v_lshlrev_b64 v[2:3], 2, v[2:3]
	v_add_co_u32 v2, vcc_lo, v7, v2
	s_delay_alu instid0(VALU_DEP_2)
	v_add_co_ci_u32_e32 v3, vcc_lo, v8, v3, vcc_lo
	global_store_b32 v[2:3], v6, off
.LBB938_9:
	s_or_b32 exec_lo, exec_lo, s1
	v_cmp_le_i32_e32 vcc_lo, v0, v4
	s_and_b32 s0, vcc_lo, s0
	s_delay_alu instid0(SALU_CYCLE_1)
	s_and_saveexec_b32 s1, s0
	s_cbranch_execz .LBB938_11
; %bb.10:
	v_ashrrev_i32_e32 v5, 31, v4
	s_delay_alu instid0(VALU_DEP_1) | instskip(NEXT) | instid1(VALU_DEP_1)
	v_lshlrev_b64 v[2:3], 2, v[4:5]
	v_add_co_u32 v2, vcc_lo, v7, v2
	s_delay_alu instid0(VALU_DEP_2)
	v_add_co_ci_u32_e32 v3, vcc_lo, v8, v3, vcc_lo
	global_store_b32 v[2:3], v1, off
.LBB938_11:
	s_nop 0
	s_sendmsg sendmsg(MSG_DEALLOC_VGPRS)
	s_endpgm
	.section	.rodata,"a",@progbits
	.p2align	6, 0x0
	.amdhsa_kernel _ZL37rocblas_syrkx_herkx_restricted_kernelIlfLi16ELi32ELi8ELi1ELi0ELb0ELc84ELc76EKffEviT_PT9_S1_lS3_S1_lPT10_S1_li
		.amdhsa_group_segment_fixed_size 2048
		.amdhsa_private_segment_fixed_size 0
		.amdhsa_kernarg_size 92
		.amdhsa_user_sgpr_count 13
		.amdhsa_user_sgpr_dispatch_ptr 0
		.amdhsa_user_sgpr_queue_ptr 0
		.amdhsa_user_sgpr_kernarg_segment_ptr 1
		.amdhsa_user_sgpr_dispatch_id 0
		.amdhsa_user_sgpr_private_segment_size 0
		.amdhsa_wavefront_size32 1
		.amdhsa_uses_dynamic_stack 0
		.amdhsa_enable_private_segment 0
		.amdhsa_system_sgpr_workgroup_id_x 1
		.amdhsa_system_sgpr_workgroup_id_y 1
		.amdhsa_system_sgpr_workgroup_id_z 1
		.amdhsa_system_sgpr_workgroup_info 0
		.amdhsa_system_vgpr_workitem_id 1
		.amdhsa_next_free_vgpr 46
		.amdhsa_next_free_sgpr 32
		.amdhsa_reserve_vcc 1
		.amdhsa_float_round_mode_32 0
		.amdhsa_float_round_mode_16_64 0
		.amdhsa_float_denorm_mode_32 3
		.amdhsa_float_denorm_mode_16_64 3
		.amdhsa_dx10_clamp 1
		.amdhsa_ieee_mode 1
		.amdhsa_fp16_overflow 0
		.amdhsa_workgroup_processor_mode 1
		.amdhsa_memory_ordered 1
		.amdhsa_forward_progress 0
		.amdhsa_shared_vgpr_count 0
		.amdhsa_exception_fp_ieee_invalid_op 0
		.amdhsa_exception_fp_denorm_src 0
		.amdhsa_exception_fp_ieee_div_zero 0
		.amdhsa_exception_fp_ieee_overflow 0
		.amdhsa_exception_fp_ieee_underflow 0
		.amdhsa_exception_fp_ieee_inexact 0
		.amdhsa_exception_int_div_zero 0
	.end_amdhsa_kernel
	.section	.text._ZL37rocblas_syrkx_herkx_restricted_kernelIlfLi16ELi32ELi8ELi1ELi0ELb0ELc84ELc76EKffEviT_PT9_S1_lS3_S1_lPT10_S1_li,"axG",@progbits,_ZL37rocblas_syrkx_herkx_restricted_kernelIlfLi16ELi32ELi8ELi1ELi0ELb0ELc84ELc76EKffEviT_PT9_S1_lS3_S1_lPT10_S1_li,comdat
.Lfunc_end938:
	.size	_ZL37rocblas_syrkx_herkx_restricted_kernelIlfLi16ELi32ELi8ELi1ELi0ELb0ELc84ELc76EKffEviT_PT9_S1_lS3_S1_lPT10_S1_li, .Lfunc_end938-_ZL37rocblas_syrkx_herkx_restricted_kernelIlfLi16ELi32ELi8ELi1ELi0ELb0ELc84ELc76EKffEviT_PT9_S1_lS3_S1_lPT10_S1_li
                                        ; -- End function
	.section	.AMDGPU.csdata,"",@progbits
; Kernel info:
; codeLenInByte = 1248
; NumSgprs: 34
; NumVgprs: 46
; ScratchSize: 0
; MemoryBound: 0
; FloatMode: 240
; IeeeMode: 1
; LDSByteSize: 2048 bytes/workgroup (compile time only)
; SGPRBlocks: 4
; VGPRBlocks: 5
; NumSGPRsForWavesPerEU: 34
; NumVGPRsForWavesPerEU: 46
; Occupancy: 16
; WaveLimiterHint : 1
; COMPUTE_PGM_RSRC2:SCRATCH_EN: 0
; COMPUTE_PGM_RSRC2:USER_SGPR: 13
; COMPUTE_PGM_RSRC2:TRAP_HANDLER: 0
; COMPUTE_PGM_RSRC2:TGID_X_EN: 1
; COMPUTE_PGM_RSRC2:TGID_Y_EN: 1
; COMPUTE_PGM_RSRC2:TGID_Z_EN: 1
; COMPUTE_PGM_RSRC2:TIDIG_COMP_CNT: 1
	.section	.text._ZL37rocblas_syrkx_herkx_restricted_kernelIlfLi16ELi32ELi8ELi1ELi0ELb0ELc67ELc76EKffEviT_PT9_S1_lS3_S1_lPT10_S1_li,"axG",@progbits,_ZL37rocblas_syrkx_herkx_restricted_kernelIlfLi16ELi32ELi8ELi1ELi0ELb0ELc67ELc76EKffEviT_PT9_S1_lS3_S1_lPT10_S1_li,comdat
	.globl	_ZL37rocblas_syrkx_herkx_restricted_kernelIlfLi16ELi32ELi8ELi1ELi0ELb0ELc67ELc76EKffEviT_PT9_S1_lS3_S1_lPT10_S1_li ; -- Begin function _ZL37rocblas_syrkx_herkx_restricted_kernelIlfLi16ELi32ELi8ELi1ELi0ELb0ELc67ELc76EKffEviT_PT9_S1_lS3_S1_lPT10_S1_li
	.p2align	8
	.type	_ZL37rocblas_syrkx_herkx_restricted_kernelIlfLi16ELi32ELi8ELi1ELi0ELb0ELc67ELc76EKffEviT_PT9_S1_lS3_S1_lPT10_S1_li,@function
_ZL37rocblas_syrkx_herkx_restricted_kernelIlfLi16ELi32ELi8ELi1ELi0ELb0ELc67ELc76EKffEviT_PT9_S1_lS3_S1_lPT10_S1_li: ; @_ZL37rocblas_syrkx_herkx_restricted_kernelIlfLi16ELi32ELi8ELi1ELi0ELb0ELc67ELc76EKffEviT_PT9_S1_lS3_S1_lPT10_S1_li
; %bb.0:
	s_load_b512 s[16:31], s[0:1], 0x8
	v_dual_mov_b32 v10, 0 :: v_dual_mov_b32 v9, 0
	v_dual_mov_b32 v6, 0 :: v_dual_and_b32 v7, 0x3ff, v0
	v_bfe_u32 v8, v0, 10, 10
	v_mov_b32_e32 v1, 0
	s_lshl_b32 s8, s13, 5
	s_lshl_b32 s9, s14, 5
	s_waitcnt lgkmcnt(0)
	v_cmp_lt_i64_e64 s2, s[16:17], 1
	s_delay_alu instid0(VALU_DEP_1)
	s_and_b32 vcc_lo, exec_lo, s2
	s_cbranch_vccnz .LBB939_3
; %bb.1:
	v_lshl_add_u32 v2, v8, 4, v7
	v_dual_mov_b32 v1, 0 :: v_dual_and_b32 v0, 7, v7
	s_mul_i32 s3, s23, s15
	s_mul_hi_u32 s4, s22, s15
	s_delay_alu instid0(VALU_DEP_2)
	v_and_b32_e32 v6, 31, v2
	v_lshrrev_b32_e32 v12, 3, v2
	v_mov_b32_e32 v3, v1
	v_lshrrev_b32_e32 v2, 5, v2
	v_lshlrev_b32_e32 v14, 2, v0
	v_add_nc_u32_e32 v9, s8, v6
	v_add_nc_u32_e32 v13, s9, v12
	s_mul_i32 s2, s22, s15
	s_add_i32 s3, s4, s3
	s_mul_hi_u32 s5, s28, s15
	v_ashrrev_i32_e32 v10, 31, v9
	v_ashrrev_i32_e32 v15, 31, v13
	v_mad_u64_u32 v[4:5], null, s20, v9, v[2:3]
	v_mul_lo_u32 v3, s21, v9
	s_delay_alu instid0(VALU_DEP_4)
	v_mul_lo_u32 v16, s20, v10
	v_mul_lo_u32 v17, v13, s27
	v_mad_u64_u32 v[9:10], null, v13, s26, v[0:1]
	v_mul_lo_u32 v13, v15, s26
	v_lshlrev_b32_e32 v0, 2, v6
	s_lshl_b64 s[2:3], s[2:3], 2
	v_lshlrev_b32_e32 v11, 2, v7
	v_add3_u32 v5, v3, v5, v16
	s_add_u32 s4, s18, s2
	v_lshl_or_b32 v0, v2, 7, v0
	s_mul_i32 s2, s29, s15
	v_add3_u32 v10, v13, v10, v17
	v_lshlrev_b64 v[2:3], 2, v[4:5]
	s_addc_u32 s6, s19, s3
	s_add_i32 s3, s5, s2
	s_mul_i32 s2, s28, s15
	v_lshlrev_b64 v[4:5], 2, v[9:10]
	s_lshl_b64 s[2:3], s[2:3], 2
	v_add_co_u32 v2, vcc_lo, s4, v2
	v_mov_b32_e32 v9, v1
	v_lshl_or_b32 v6, v12, 5, v14
	s_add_u32 s2, s24, s2
	v_add_co_ci_u32_e32 v3, vcc_lo, s6, v3, vcc_lo
	s_addc_u32 s3, s25, s3
	v_add_co_u32 v4, vcc_lo, s2, v4
	v_add_nc_u32_e32 v12, 0x400, v6
	v_mov_b32_e32 v6, v1
	v_lshl_add_u32 v13, v8, 5, 0x400
	v_add_co_ci_u32_e32 v5, vcc_lo, s3, v5, vcc_lo
	v_mov_b32_e32 v10, v1
	s_mov_b64 s[2:3], 0
.LBB939_2:                              ; =>This Inner Loop Header: Depth=1
	global_load_b32 v14, v[2:3], off
	global_load_b32 v15, v[4:5], off
	s_add_u32 s2, s2, 8
	v_add_co_u32 v2, vcc_lo, v2, 32
	s_addc_u32 s3, s3, 0
	v_add_co_ci_u32_e32 v3, vcc_lo, 0, v3, vcc_lo
	v_cmp_ge_u64_e64 s4, s[2:3], s[16:17]
	v_add_co_u32 v4, vcc_lo, v4, 32
	v_add_co_ci_u32_e32 v5, vcc_lo, 0, v5, vcc_lo
	s_waitcnt vmcnt(1)
	ds_store_b32 v0, v14
	s_waitcnt vmcnt(0)
	ds_store_b32 v12, v15
	s_waitcnt lgkmcnt(0)
	s_barrier
	buffer_gl0_inv
	ds_load_2addr_b32 v[30:31], v11 offset1:16
	ds_load_b128 v[14:17], v13
	ds_load_b128 v[18:21], v13 offset:512
	ds_load_2addr_b32 v[32:33], v11 offset0:32 offset1:48
	ds_load_2addr_b32 v[34:35], v11 offset0:64 offset1:80
	ds_load_b128 v[22:25], v13 offset:16
	ds_load_2addr_b32 v[36:37], v11 offset0:96 offset1:112
	ds_load_2addr_b32 v[38:39], v11 offset0:128 offset1:144
	;; [unrolled: 3-line block ×3, first 2 shown]
	ds_load_2addr_b32 v[44:45], v11 offset0:224 offset1:240
	s_and_b32 vcc_lo, exec_lo, s4
	s_waitcnt lgkmcnt(0)
	s_barrier
	buffer_gl0_inv
	v_fmac_f32_e32 v9, v31, v14
	v_fmac_f32_e32 v10, v30, v14
	;; [unrolled: 1-line block ×3, first 2 shown]
	s_delay_alu instid0(VALU_DEP_3) | instskip(NEXT) | instid1(VALU_DEP_3)
	v_dual_fmac_f32 v6, v30, v18 :: v_dual_fmac_f32 v9, v33, v15
	v_fmac_f32_e32 v10, v32, v15
	s_delay_alu instid0(VALU_DEP_3) | instskip(NEXT) | instid1(VALU_DEP_3)
	v_fmac_f32_e32 v1, v33, v19
	v_dual_fmac_f32 v6, v32, v19 :: v_dual_fmac_f32 v9, v35, v16
	s_delay_alu instid0(VALU_DEP_3) | instskip(NEXT) | instid1(VALU_DEP_3)
	v_fmac_f32_e32 v10, v34, v16
	v_fmac_f32_e32 v1, v35, v20
	s_delay_alu instid0(VALU_DEP_3) | instskip(NEXT) | instid1(VALU_DEP_3)
	v_dual_fmac_f32 v6, v34, v20 :: v_dual_fmac_f32 v9, v37, v17
	v_fmac_f32_e32 v10, v36, v17
	s_delay_alu instid0(VALU_DEP_3) | instskip(NEXT) | instid1(VALU_DEP_3)
	v_fmac_f32_e32 v1, v37, v21
	v_dual_fmac_f32 v6, v36, v21 :: v_dual_fmac_f32 v9, v39, v22
	s_delay_alu instid0(VALU_DEP_3) | instskip(NEXT) | instid1(VALU_DEP_3)
	v_fmac_f32_e32 v10, v38, v22
	v_fmac_f32_e32 v1, v39, v26
	;; [unrolled: 9-line block ×3, first 2 shown]
	s_delay_alu instid0(VALU_DEP_3) | instskip(NEXT) | instid1(VALU_DEP_3)
	v_dual_fmac_f32 v6, v42, v28 :: v_dual_fmac_f32 v9, v45, v25
	v_fmac_f32_e32 v10, v44, v25
	s_delay_alu instid0(VALU_DEP_3) | instskip(NEXT) | instid1(VALU_DEP_3)
	v_fmac_f32_e32 v1, v45, v29
	v_fmac_f32_e32 v6, v44, v29
	s_cbranch_vccz .LBB939_2
.LBB939_3:
	s_load_b128 s[4:7], s[0:1], 0x48
	v_add_nc_u32_e32 v0, s9, v8
	s_load_b32 s9, s[0:1], 0x0
	s_delay_alu instid0(VALU_DEP_1) | instskip(SKIP_1) | instid1(VALU_DEP_1)
	v_ashrrev_i32_e32 v2, 31, v0
	s_waitcnt lgkmcnt(0)
	v_mul_lo_u32 v5, v2, s4
	v_mul_lo_u32 v8, v0, s5
	v_mad_u64_u32 v[3:4], null, v0, s4, 0
	s_mul_i32 s1, s15, s7
	s_mul_hi_u32 s3, s15, s6
	s_mul_i32 s2, s15, s6
	s_add_i32 s3, s3, s1
	v_add_nc_u32_e32 v2, s8, v7
	s_lshl_b64 s[2:3], s[2:3], 2
	s_delay_alu instid0(VALU_DEP_2)
	v_add3_u32 v4, v4, v8, v5
	s_add_u32 s2, s30, s2
	s_addc_u32 s3, s31, s3
	v_cmp_le_i32_e64 s0, v0, v2
	v_cmp_gt_i32_e32 vcc_lo, s9, v2
	v_lshlrev_b64 v[3:4], 2, v[3:4]
	s_delay_alu instid0(VALU_DEP_3) | instskip(NEXT) | instid1(VALU_DEP_1)
	s_and_b32 s0, s0, vcc_lo
	v_add_co_u32 v7, s1, s2, v3
	s_delay_alu instid0(VALU_DEP_1)
	v_add_co_ci_u32_e64 v8, s1, s3, v4, s1
	s_and_saveexec_b32 s1, s0
	s_cbranch_execz .LBB939_5
; %bb.4:
	v_ashrrev_i32_e32 v3, 31, v2
	s_delay_alu instid0(VALU_DEP_1) | instskip(NEXT) | instid1(VALU_DEP_1)
	v_lshlrev_b64 v[3:4], 2, v[2:3]
	v_add_co_u32 v3, s0, v7, v3
	s_delay_alu instid0(VALU_DEP_1)
	v_add_co_ci_u32_e64 v4, s0, v8, v4, s0
	global_store_b32 v[3:4], v10, off
.LBB939_5:
	s_or_b32 exec_lo, exec_lo, s1
	v_add_nc_u32_e32 v4, 16, v2
	s_delay_alu instid0(VALU_DEP_1) | instskip(SKIP_1) | instid1(VALU_DEP_1)
	v_cmp_le_i32_e64 s1, v0, v4
	v_cmp_gt_i32_e64 s0, s9, v4
	s_and_b32 s1, s1, s0
	s_delay_alu instid0(SALU_CYCLE_1)
	s_and_saveexec_b32 s6, s1
	s_cbranch_execz .LBB939_7
; %bb.6:
	v_ashrrev_i32_e32 v5, 31, v4
	s_delay_alu instid0(VALU_DEP_1) | instskip(NEXT) | instid1(VALU_DEP_1)
	v_lshlrev_b64 v[10:11], 2, v[4:5]
	v_add_co_u32 v7, s1, v7, v10
	s_delay_alu instid0(VALU_DEP_1)
	v_add_co_ci_u32_e64 v8, s1, v8, v11, s1
	global_store_b32 v[7:8], v9, off
.LBB939_7:
	s_or_b32 exec_lo, exec_lo, s6
	v_add_nc_u32_e32 v0, 16, v0
	s_delay_alu instid0(VALU_DEP_1) | instskip(SKIP_3) | instid1(VALU_DEP_4)
	v_ashrrev_i32_e32 v3, 31, v0
	v_mul_lo_u32 v5, v0, s5
	v_mad_u64_u32 v[7:8], null, v0, s4, 0
	v_cmp_le_i32_e64 s1, v0, v2
	v_mul_lo_u32 v3, v3, s4
	s_delay_alu instid0(VALU_DEP_1) | instskip(NEXT) | instid1(VALU_DEP_1)
	v_add3_u32 v8, v8, v5, v3
	v_lshlrev_b64 v[7:8], 2, v[7:8]
	s_delay_alu instid0(VALU_DEP_1) | instskip(NEXT) | instid1(VALU_DEP_1)
	v_add_co_u32 v7, s2, s2, v7
	v_add_co_ci_u32_e64 v8, s2, s3, v8, s2
	s_and_b32 s2, s1, vcc_lo
	s_delay_alu instid0(SALU_CYCLE_1)
	s_and_saveexec_b32 s1, s2
	s_cbranch_execz .LBB939_9
; %bb.8:
	v_ashrrev_i32_e32 v3, 31, v2
	s_delay_alu instid0(VALU_DEP_1) | instskip(NEXT) | instid1(VALU_DEP_1)
	v_lshlrev_b64 v[2:3], 2, v[2:3]
	v_add_co_u32 v2, vcc_lo, v7, v2
	s_delay_alu instid0(VALU_DEP_2)
	v_add_co_ci_u32_e32 v3, vcc_lo, v8, v3, vcc_lo
	global_store_b32 v[2:3], v6, off
.LBB939_9:
	s_or_b32 exec_lo, exec_lo, s1
	v_cmp_le_i32_e32 vcc_lo, v0, v4
	s_and_b32 s0, vcc_lo, s0
	s_delay_alu instid0(SALU_CYCLE_1)
	s_and_saveexec_b32 s1, s0
	s_cbranch_execz .LBB939_11
; %bb.10:
	v_ashrrev_i32_e32 v5, 31, v4
	s_delay_alu instid0(VALU_DEP_1) | instskip(NEXT) | instid1(VALU_DEP_1)
	v_lshlrev_b64 v[2:3], 2, v[4:5]
	v_add_co_u32 v2, vcc_lo, v7, v2
	s_delay_alu instid0(VALU_DEP_2)
	v_add_co_ci_u32_e32 v3, vcc_lo, v8, v3, vcc_lo
	global_store_b32 v[2:3], v1, off
.LBB939_11:
	s_nop 0
	s_sendmsg sendmsg(MSG_DEALLOC_VGPRS)
	s_endpgm
	.section	.rodata,"a",@progbits
	.p2align	6, 0x0
	.amdhsa_kernel _ZL37rocblas_syrkx_herkx_restricted_kernelIlfLi16ELi32ELi8ELi1ELi0ELb0ELc67ELc76EKffEviT_PT9_S1_lS3_S1_lPT10_S1_li
		.amdhsa_group_segment_fixed_size 2048
		.amdhsa_private_segment_fixed_size 0
		.amdhsa_kernarg_size 92
		.amdhsa_user_sgpr_count 13
		.amdhsa_user_sgpr_dispatch_ptr 0
		.amdhsa_user_sgpr_queue_ptr 0
		.amdhsa_user_sgpr_kernarg_segment_ptr 1
		.amdhsa_user_sgpr_dispatch_id 0
		.amdhsa_user_sgpr_private_segment_size 0
		.amdhsa_wavefront_size32 1
		.amdhsa_uses_dynamic_stack 0
		.amdhsa_enable_private_segment 0
		.amdhsa_system_sgpr_workgroup_id_x 1
		.amdhsa_system_sgpr_workgroup_id_y 1
		.amdhsa_system_sgpr_workgroup_id_z 1
		.amdhsa_system_sgpr_workgroup_info 0
		.amdhsa_system_vgpr_workitem_id 1
		.amdhsa_next_free_vgpr 46
		.amdhsa_next_free_sgpr 32
		.amdhsa_reserve_vcc 1
		.amdhsa_float_round_mode_32 0
		.amdhsa_float_round_mode_16_64 0
		.amdhsa_float_denorm_mode_32 3
		.amdhsa_float_denorm_mode_16_64 3
		.amdhsa_dx10_clamp 1
		.amdhsa_ieee_mode 1
		.amdhsa_fp16_overflow 0
		.amdhsa_workgroup_processor_mode 1
		.amdhsa_memory_ordered 1
		.amdhsa_forward_progress 0
		.amdhsa_shared_vgpr_count 0
		.amdhsa_exception_fp_ieee_invalid_op 0
		.amdhsa_exception_fp_denorm_src 0
		.amdhsa_exception_fp_ieee_div_zero 0
		.amdhsa_exception_fp_ieee_overflow 0
		.amdhsa_exception_fp_ieee_underflow 0
		.amdhsa_exception_fp_ieee_inexact 0
		.amdhsa_exception_int_div_zero 0
	.end_amdhsa_kernel
	.section	.text._ZL37rocblas_syrkx_herkx_restricted_kernelIlfLi16ELi32ELi8ELi1ELi0ELb0ELc67ELc76EKffEviT_PT9_S1_lS3_S1_lPT10_S1_li,"axG",@progbits,_ZL37rocblas_syrkx_herkx_restricted_kernelIlfLi16ELi32ELi8ELi1ELi0ELb0ELc67ELc76EKffEviT_PT9_S1_lS3_S1_lPT10_S1_li,comdat
.Lfunc_end939:
	.size	_ZL37rocblas_syrkx_herkx_restricted_kernelIlfLi16ELi32ELi8ELi1ELi0ELb0ELc67ELc76EKffEviT_PT9_S1_lS3_S1_lPT10_S1_li, .Lfunc_end939-_ZL37rocblas_syrkx_herkx_restricted_kernelIlfLi16ELi32ELi8ELi1ELi0ELb0ELc67ELc76EKffEviT_PT9_S1_lS3_S1_lPT10_S1_li
                                        ; -- End function
	.section	.AMDGPU.csdata,"",@progbits
; Kernel info:
; codeLenInByte = 1248
; NumSgprs: 34
; NumVgprs: 46
; ScratchSize: 0
; MemoryBound: 0
; FloatMode: 240
; IeeeMode: 1
; LDSByteSize: 2048 bytes/workgroup (compile time only)
; SGPRBlocks: 4
; VGPRBlocks: 5
; NumSGPRsForWavesPerEU: 34
; NumVGPRsForWavesPerEU: 46
; Occupancy: 16
; WaveLimiterHint : 1
; COMPUTE_PGM_RSRC2:SCRATCH_EN: 0
; COMPUTE_PGM_RSRC2:USER_SGPR: 13
; COMPUTE_PGM_RSRC2:TRAP_HANDLER: 0
; COMPUTE_PGM_RSRC2:TGID_X_EN: 1
; COMPUTE_PGM_RSRC2:TGID_Y_EN: 1
; COMPUTE_PGM_RSRC2:TGID_Z_EN: 1
; COMPUTE_PGM_RSRC2:TIDIG_COMP_CNT: 1
	.section	.text._ZL37rocblas_syrkx_herkx_restricted_kernelIlfLi16ELi32ELi8ELi1ELi0ELb0ELc78ELc76EKffEviT_PT9_S1_lS3_S1_lPT10_S1_li,"axG",@progbits,_ZL37rocblas_syrkx_herkx_restricted_kernelIlfLi16ELi32ELi8ELi1ELi0ELb0ELc78ELc76EKffEviT_PT9_S1_lS3_S1_lPT10_S1_li,comdat
	.globl	_ZL37rocblas_syrkx_herkx_restricted_kernelIlfLi16ELi32ELi8ELi1ELi0ELb0ELc78ELc76EKffEviT_PT9_S1_lS3_S1_lPT10_S1_li ; -- Begin function _ZL37rocblas_syrkx_herkx_restricted_kernelIlfLi16ELi32ELi8ELi1ELi0ELb0ELc78ELc76EKffEviT_PT9_S1_lS3_S1_lPT10_S1_li
	.p2align	8
	.type	_ZL37rocblas_syrkx_herkx_restricted_kernelIlfLi16ELi32ELi8ELi1ELi0ELb0ELc78ELc76EKffEviT_PT9_S1_lS3_S1_lPT10_S1_li,@function
_ZL37rocblas_syrkx_herkx_restricted_kernelIlfLi16ELi32ELi8ELi1ELi0ELb0ELc78ELc76EKffEviT_PT9_S1_lS3_S1_lPT10_S1_li: ; @_ZL37rocblas_syrkx_herkx_restricted_kernelIlfLi16ELi32ELi8ELi1ELi0ELb0ELc78ELc76EKffEviT_PT9_S1_lS3_S1_lPT10_S1_li
; %bb.0:
	s_load_b512 s[16:31], s[0:1], 0x8
	v_dual_mov_b32 v9, 0 :: v_dual_mov_b32 v8, 0
	v_dual_mov_b32 v7, 0 :: v_dual_mov_b32 v4, 0
	v_and_b32_e32 v5, 0x3ff, v0
	v_bfe_u32 v6, v0, 10, 10
	s_lshl_b32 s8, s13, 5
	s_lshl_b32 s9, s14, 5
	s_waitcnt lgkmcnt(0)
	v_cmp_lt_i64_e64 s2, s[16:17], 1
	s_delay_alu instid0(VALU_DEP_1)
	s_and_b32 vcc_lo, exec_lo, s2
	s_cbranch_vccnz .LBB940_3
; %bb.1:
	v_lshl_add_u32 v1, v6, 4, v5
	v_and_b32_e32 v15, 7, v5
	s_mul_i32 s3, s23, s15
	s_mul_hi_u32 s5, s22, s15
	s_mul_i32 s2, s22, s15
	v_and_b32_e32 v9, 31, v1
	v_lshrrev_b32_e32 v14, 3, v1
	v_lshrrev_b32_e32 v16, 5, v1
	s_add_i32 s3, s5, s3
	s_mul_i32 s6, s29, s15
	v_add_nc_u32_e32 v0, s8, v9
	v_add_nc_u32_e32 v2, s9, v14
	s_lshl_b64 s[2:3], s[2:3], 2
	s_mul_hi_u32 s7, s28, s15
	s_add_u32 s10, s18, s2
	v_ashrrev_i32_e32 v1, 31, v0
	v_ashrrev_i32_e32 v3, 31, v2
	s_mul_i32 s4, s28, s15
	s_addc_u32 s11, s19, s3
	s_add_i32 s5, s7, s6
	v_mad_u64_u32 v[7:8], null, v16, s20, v[0:1]
	v_mad_u64_u32 v[0:1], null, v15, s26, v[2:3]
	s_lshl_b64 s[4:5], s[4:5], 2
	s_lshl_b64 s[2:3], s[20:21], 5
	s_add_u32 s4, s24, s4
	s_addc_u32 s5, s25, s5
	s_delay_alu instid0(VALU_DEP_2) | instskip(SKIP_3) | instid1(VALU_DEP_3)
	v_mov_b32_e32 v2, v8
	v_lshlrev_b32_e32 v10, 2, v5
	v_lshl_add_u32 v11, v6, 5, 0x400
	s_mov_b64 s[6:7], 0
	v_mad_u64_u32 v[3:4], null, v16, s21, v[2:3]
	v_lshlrev_b32_e32 v4, 2, v9
	s_delay_alu instid0(VALU_DEP_2) | instskip(SKIP_2) | instid1(VALU_DEP_3)
	v_mov_b32_e32 v8, v3
	v_mad_u64_u32 v[12:13], null, v15, s27, v[1:2]
	v_lshlrev_b32_e32 v17, 2, v15
	v_lshlrev_b64 v[2:3], 2, v[7:8]
	s_delay_alu instid0(VALU_DEP_3) | instskip(SKIP_3) | instid1(VALU_DEP_4)
	v_mov_b32_e32 v1, v12
	v_lshl_or_b32 v12, v16, 7, v4
	v_mov_b32_e32 v4, 0
	v_lshl_or_b32 v9, v14, 5, v17
	v_lshlrev_b64 v[7:8], 2, v[0:1]
	v_add_co_u32 v0, vcc_lo, s10, v2
	v_add_co_ci_u32_e32 v1, vcc_lo, s11, v3, vcc_lo
	s_delay_alu instid0(VALU_DEP_4) | instskip(NEXT) | instid1(VALU_DEP_4)
	v_add_nc_u32_e32 v13, 0x400, v9
	v_add_co_u32 v2, vcc_lo, s4, v7
	v_add_co_ci_u32_e32 v3, vcc_lo, s5, v8, vcc_lo
	v_dual_mov_b32 v8, 0 :: v_dual_mov_b32 v7, 0
	v_mov_b32_e32 v9, 0
	s_lshl_b64 s[4:5], s[26:27], 5
.LBB940_2:                              ; =>This Inner Loop Header: Depth=1
	global_load_b32 v14, v[0:1], off
	global_load_b32 v15, v[2:3], off
	s_add_u32 s6, s6, 8
	v_add_co_u32 v0, vcc_lo, v0, s2
	s_addc_u32 s7, s7, 0
	v_add_co_ci_u32_e32 v1, vcc_lo, s3, v1, vcc_lo
	v_cmp_ge_u64_e64 s10, s[6:7], s[16:17]
	v_add_co_u32 v2, vcc_lo, v2, s4
	v_add_co_ci_u32_e32 v3, vcc_lo, s5, v3, vcc_lo
	s_waitcnt vmcnt(1)
	ds_store_b32 v12, v14
	s_waitcnt vmcnt(0)
	ds_store_b32 v13, v15
	s_waitcnt lgkmcnt(0)
	s_barrier
	buffer_gl0_inv
	ds_load_2addr_b32 v[30:31], v10 offset1:16
	ds_load_b128 v[14:17], v11
	ds_load_b128 v[18:21], v11 offset:512
	ds_load_2addr_b32 v[32:33], v10 offset0:32 offset1:48
	ds_load_2addr_b32 v[34:35], v10 offset0:64 offset1:80
	ds_load_b128 v[22:25], v11 offset:16
	ds_load_2addr_b32 v[36:37], v10 offset0:96 offset1:112
	ds_load_2addr_b32 v[38:39], v10 offset0:128 offset1:144
	;; [unrolled: 3-line block ×3, first 2 shown]
	ds_load_2addr_b32 v[44:45], v10 offset0:224 offset1:240
	s_and_b32 vcc_lo, exec_lo, s10
	s_waitcnt lgkmcnt(0)
	s_barrier
	buffer_gl0_inv
	v_fmac_f32_e32 v8, v31, v14
	v_fmac_f32_e32 v9, v30, v14
	;; [unrolled: 1-line block ×3, first 2 shown]
	s_delay_alu instid0(VALU_DEP_3) | instskip(NEXT) | instid1(VALU_DEP_3)
	v_dual_fmac_f32 v7, v30, v18 :: v_dual_fmac_f32 v8, v33, v15
	v_fmac_f32_e32 v9, v32, v15
	s_delay_alu instid0(VALU_DEP_3) | instskip(NEXT) | instid1(VALU_DEP_3)
	v_fmac_f32_e32 v4, v33, v19
	v_dual_fmac_f32 v7, v32, v19 :: v_dual_fmac_f32 v8, v35, v16
	s_delay_alu instid0(VALU_DEP_3) | instskip(NEXT) | instid1(VALU_DEP_3)
	v_fmac_f32_e32 v9, v34, v16
	v_fmac_f32_e32 v4, v35, v20
	s_delay_alu instid0(VALU_DEP_3) | instskip(NEXT) | instid1(VALU_DEP_3)
	v_dual_fmac_f32 v7, v34, v20 :: v_dual_fmac_f32 v8, v37, v17
	v_fmac_f32_e32 v9, v36, v17
	s_delay_alu instid0(VALU_DEP_3) | instskip(NEXT) | instid1(VALU_DEP_3)
	v_fmac_f32_e32 v4, v37, v21
	v_dual_fmac_f32 v7, v36, v21 :: v_dual_fmac_f32 v8, v39, v22
	s_delay_alu instid0(VALU_DEP_3) | instskip(NEXT) | instid1(VALU_DEP_3)
	v_fmac_f32_e32 v9, v38, v22
	v_fmac_f32_e32 v4, v39, v26
	;; [unrolled: 9-line block ×3, first 2 shown]
	s_delay_alu instid0(VALU_DEP_3) | instskip(NEXT) | instid1(VALU_DEP_3)
	v_dual_fmac_f32 v7, v42, v28 :: v_dual_fmac_f32 v8, v45, v25
	v_fmac_f32_e32 v9, v44, v25
	s_delay_alu instid0(VALU_DEP_3) | instskip(NEXT) | instid1(VALU_DEP_3)
	v_fmac_f32_e32 v4, v45, v29
	v_fmac_f32_e32 v7, v44, v29
	s_cbranch_vccz .LBB940_2
.LBB940_3:
	s_load_b128 s[4:7], s[0:1], 0x48
	v_add_nc_u32_e32 v6, s9, v6
	s_load_b32 s9, s[0:1], 0x0
	s_delay_alu instid0(VALU_DEP_1) | instskip(SKIP_1) | instid1(VALU_DEP_1)
	v_ashrrev_i32_e32 v0, 31, v6
	s_waitcnt lgkmcnt(0)
	v_mul_lo_u32 v3, v0, s4
	v_mul_lo_u32 v10, v6, s5
	v_mad_u64_u32 v[1:2], null, v6, s4, 0
	s_mul_i32 s1, s15, s7
	s_mul_hi_u32 s3, s15, s6
	s_mul_i32 s2, s15, s6
	s_add_i32 s3, s3, s1
	v_add_nc_u32_e32 v0, s8, v5
	s_lshl_b64 s[2:3], s[2:3], 2
	s_delay_alu instid0(VALU_DEP_2)
	v_add3_u32 v2, v2, v10, v3
	s_add_u32 s2, s30, s2
	s_addc_u32 s3, s31, s3
	v_cmp_le_i32_e64 s0, v6, v0
	v_cmp_gt_i32_e32 vcc_lo, s9, v0
	v_lshlrev_b64 v[1:2], 2, v[1:2]
	s_delay_alu instid0(VALU_DEP_3) | instskip(NEXT) | instid1(VALU_DEP_1)
	s_and_b32 s0, s0, vcc_lo
	v_add_co_u32 v5, s1, s2, v1
	s_delay_alu instid0(VALU_DEP_1)
	v_add_co_ci_u32_e64 v10, s1, s3, v2, s1
	s_and_saveexec_b32 s1, s0
	s_cbranch_execz .LBB940_5
; %bb.4:
	v_ashrrev_i32_e32 v1, 31, v0
	s_delay_alu instid0(VALU_DEP_1) | instskip(NEXT) | instid1(VALU_DEP_1)
	v_lshlrev_b64 v[1:2], 2, v[0:1]
	v_add_co_u32 v1, s0, v5, v1
	s_delay_alu instid0(VALU_DEP_1)
	v_add_co_ci_u32_e64 v2, s0, v10, v2, s0
	global_store_b32 v[1:2], v9, off
.LBB940_5:
	s_or_b32 exec_lo, exec_lo, s1
	v_add_nc_u32_e32 v2, 16, v0
	s_delay_alu instid0(VALU_DEP_1) | instskip(SKIP_1) | instid1(VALU_DEP_1)
	v_cmp_le_i32_e64 s1, v6, v2
	v_cmp_gt_i32_e64 s0, s9, v2
	s_and_b32 s1, s1, s0
	s_delay_alu instid0(SALU_CYCLE_1)
	s_and_saveexec_b32 s6, s1
	s_cbranch_execz .LBB940_7
; %bb.6:
	v_ashrrev_i32_e32 v3, 31, v2
	s_delay_alu instid0(VALU_DEP_1) | instskip(NEXT) | instid1(VALU_DEP_1)
	v_lshlrev_b64 v[11:12], 2, v[2:3]
	v_add_co_u32 v9, s1, v5, v11
	s_delay_alu instid0(VALU_DEP_1)
	v_add_co_ci_u32_e64 v10, s1, v10, v12, s1
	global_store_b32 v[9:10], v8, off
.LBB940_7:
	s_or_b32 exec_lo, exec_lo, s6
	v_add_nc_u32_e32 v3, 16, v6
	s_delay_alu instid0(VALU_DEP_1) | instskip(SKIP_3) | instid1(VALU_DEP_4)
	v_ashrrev_i32_e32 v1, 31, v3
	v_mul_lo_u32 v8, v3, s5
	v_mad_u64_u32 v[5:6], null, v3, s4, 0
	v_cmp_le_i32_e64 s1, v3, v0
	v_mul_lo_u32 v1, v1, s4
	s_delay_alu instid0(VALU_DEP_1) | instskip(NEXT) | instid1(VALU_DEP_1)
	v_add3_u32 v6, v6, v8, v1
	v_lshlrev_b64 v[5:6], 2, v[5:6]
	s_delay_alu instid0(VALU_DEP_1) | instskip(NEXT) | instid1(VALU_DEP_1)
	v_add_co_u32 v5, s2, s2, v5
	v_add_co_ci_u32_e64 v6, s2, s3, v6, s2
	s_and_b32 s2, s1, vcc_lo
	s_delay_alu instid0(SALU_CYCLE_1)
	s_and_saveexec_b32 s1, s2
	s_cbranch_execz .LBB940_9
; %bb.8:
	v_ashrrev_i32_e32 v1, 31, v0
	s_delay_alu instid0(VALU_DEP_1) | instskip(NEXT) | instid1(VALU_DEP_1)
	v_lshlrev_b64 v[0:1], 2, v[0:1]
	v_add_co_u32 v0, vcc_lo, v5, v0
	s_delay_alu instid0(VALU_DEP_2)
	v_add_co_ci_u32_e32 v1, vcc_lo, v6, v1, vcc_lo
	global_store_b32 v[0:1], v7, off
.LBB940_9:
	s_or_b32 exec_lo, exec_lo, s1
	v_cmp_le_i32_e32 vcc_lo, v3, v2
	s_and_b32 s0, vcc_lo, s0
	s_delay_alu instid0(SALU_CYCLE_1)
	s_and_saveexec_b32 s1, s0
	s_cbranch_execz .LBB940_11
; %bb.10:
	v_ashrrev_i32_e32 v3, 31, v2
	s_delay_alu instid0(VALU_DEP_1) | instskip(NEXT) | instid1(VALU_DEP_1)
	v_lshlrev_b64 v[0:1], 2, v[2:3]
	v_add_co_u32 v0, vcc_lo, v5, v0
	s_delay_alu instid0(VALU_DEP_2)
	v_add_co_ci_u32_e32 v1, vcc_lo, v6, v1, vcc_lo
	global_store_b32 v[0:1], v4, off
.LBB940_11:
	s_nop 0
	s_sendmsg sendmsg(MSG_DEALLOC_VGPRS)
	s_endpgm
	.section	.rodata,"a",@progbits
	.p2align	6, 0x0
	.amdhsa_kernel _ZL37rocblas_syrkx_herkx_restricted_kernelIlfLi16ELi32ELi8ELi1ELi0ELb0ELc78ELc76EKffEviT_PT9_S1_lS3_S1_lPT10_S1_li
		.amdhsa_group_segment_fixed_size 2048
		.amdhsa_private_segment_fixed_size 0
		.amdhsa_kernarg_size 92
		.amdhsa_user_sgpr_count 13
		.amdhsa_user_sgpr_dispatch_ptr 0
		.amdhsa_user_sgpr_queue_ptr 0
		.amdhsa_user_sgpr_kernarg_segment_ptr 1
		.amdhsa_user_sgpr_dispatch_id 0
		.amdhsa_user_sgpr_private_segment_size 0
		.amdhsa_wavefront_size32 1
		.amdhsa_uses_dynamic_stack 0
		.amdhsa_enable_private_segment 0
		.amdhsa_system_sgpr_workgroup_id_x 1
		.amdhsa_system_sgpr_workgroup_id_y 1
		.amdhsa_system_sgpr_workgroup_id_z 1
		.amdhsa_system_sgpr_workgroup_info 0
		.amdhsa_system_vgpr_workitem_id 1
		.amdhsa_next_free_vgpr 46
		.amdhsa_next_free_sgpr 32
		.amdhsa_reserve_vcc 1
		.amdhsa_float_round_mode_32 0
		.amdhsa_float_round_mode_16_64 0
		.amdhsa_float_denorm_mode_32 3
		.amdhsa_float_denorm_mode_16_64 3
		.amdhsa_dx10_clamp 1
		.amdhsa_ieee_mode 1
		.amdhsa_fp16_overflow 0
		.amdhsa_workgroup_processor_mode 1
		.amdhsa_memory_ordered 1
		.amdhsa_forward_progress 0
		.amdhsa_shared_vgpr_count 0
		.amdhsa_exception_fp_ieee_invalid_op 0
		.amdhsa_exception_fp_denorm_src 0
		.amdhsa_exception_fp_ieee_div_zero 0
		.amdhsa_exception_fp_ieee_overflow 0
		.amdhsa_exception_fp_ieee_underflow 0
		.amdhsa_exception_fp_ieee_inexact 0
		.amdhsa_exception_int_div_zero 0
	.end_amdhsa_kernel
	.section	.text._ZL37rocblas_syrkx_herkx_restricted_kernelIlfLi16ELi32ELi8ELi1ELi0ELb0ELc78ELc76EKffEviT_PT9_S1_lS3_S1_lPT10_S1_li,"axG",@progbits,_ZL37rocblas_syrkx_herkx_restricted_kernelIlfLi16ELi32ELi8ELi1ELi0ELb0ELc78ELc76EKffEviT_PT9_S1_lS3_S1_lPT10_S1_li,comdat
.Lfunc_end940:
	.size	_ZL37rocblas_syrkx_herkx_restricted_kernelIlfLi16ELi32ELi8ELi1ELi0ELb0ELc78ELc76EKffEviT_PT9_S1_lS3_S1_lPT10_S1_li, .Lfunc_end940-_ZL37rocblas_syrkx_herkx_restricted_kernelIlfLi16ELi32ELi8ELi1ELi0ELb0ELc78ELc76EKffEviT_PT9_S1_lS3_S1_lPT10_S1_li
                                        ; -- End function
	.section	.AMDGPU.csdata,"",@progbits
; Kernel info:
; codeLenInByte = 1240
; NumSgprs: 34
; NumVgprs: 46
; ScratchSize: 0
; MemoryBound: 0
; FloatMode: 240
; IeeeMode: 1
; LDSByteSize: 2048 bytes/workgroup (compile time only)
; SGPRBlocks: 4
; VGPRBlocks: 5
; NumSGPRsForWavesPerEU: 34
; NumVGPRsForWavesPerEU: 46
; Occupancy: 16
; WaveLimiterHint : 1
; COMPUTE_PGM_RSRC2:SCRATCH_EN: 0
; COMPUTE_PGM_RSRC2:USER_SGPR: 13
; COMPUTE_PGM_RSRC2:TRAP_HANDLER: 0
; COMPUTE_PGM_RSRC2:TGID_X_EN: 1
; COMPUTE_PGM_RSRC2:TGID_Y_EN: 1
; COMPUTE_PGM_RSRC2:TGID_Z_EN: 1
; COMPUTE_PGM_RSRC2:TIDIG_COMP_CNT: 1
	.section	.text._ZL37rocblas_syrkx_herkx_restricted_kernelIlfLi16ELi32ELi8ELi1ELi0ELb0ELc84ELc85EKffEviT_PT9_S1_lS3_S1_lPT10_S1_li,"axG",@progbits,_ZL37rocblas_syrkx_herkx_restricted_kernelIlfLi16ELi32ELi8ELi1ELi0ELb0ELc84ELc85EKffEviT_PT9_S1_lS3_S1_lPT10_S1_li,comdat
	.globl	_ZL37rocblas_syrkx_herkx_restricted_kernelIlfLi16ELi32ELi8ELi1ELi0ELb0ELc84ELc85EKffEviT_PT9_S1_lS3_S1_lPT10_S1_li ; -- Begin function _ZL37rocblas_syrkx_herkx_restricted_kernelIlfLi16ELi32ELi8ELi1ELi0ELb0ELc84ELc85EKffEviT_PT9_S1_lS3_S1_lPT10_S1_li
	.p2align	8
	.type	_ZL37rocblas_syrkx_herkx_restricted_kernelIlfLi16ELi32ELi8ELi1ELi0ELb0ELc84ELc85EKffEviT_PT9_S1_lS3_S1_lPT10_S1_li,@function
_ZL37rocblas_syrkx_herkx_restricted_kernelIlfLi16ELi32ELi8ELi1ELi0ELb0ELc84ELc85EKffEviT_PT9_S1_lS3_S1_lPT10_S1_li: ; @_ZL37rocblas_syrkx_herkx_restricted_kernelIlfLi16ELi32ELi8ELi1ELi0ELb0ELc84ELc85EKffEviT_PT9_S1_lS3_S1_lPT10_S1_li
; %bb.0:
	s_load_b512 s[16:31], s[0:1], 0x8
	v_dual_mov_b32 v10, 0 :: v_dual_mov_b32 v9, 0
	v_dual_mov_b32 v6, 0 :: v_dual_and_b32 v7, 0x3ff, v0
	v_bfe_u32 v8, v0, 10, 10
	v_mov_b32_e32 v1, 0
	s_lshl_b32 s8, s13, 5
	s_lshl_b32 s9, s14, 5
	s_waitcnt lgkmcnt(0)
	v_cmp_lt_i64_e64 s2, s[16:17], 1
	s_delay_alu instid0(VALU_DEP_1)
	s_and_b32 vcc_lo, exec_lo, s2
	s_cbranch_vccnz .LBB941_3
; %bb.1:
	v_lshl_add_u32 v2, v8, 4, v7
	v_dual_mov_b32 v1, 0 :: v_dual_and_b32 v0, 7, v7
	s_mul_i32 s3, s23, s15
	s_mul_hi_u32 s4, s22, s15
	s_delay_alu instid0(VALU_DEP_2)
	v_and_b32_e32 v6, 31, v2
	v_lshrrev_b32_e32 v12, 3, v2
	v_mov_b32_e32 v3, v1
	v_lshrrev_b32_e32 v2, 5, v2
	v_lshlrev_b32_e32 v14, 2, v0
	v_add_nc_u32_e32 v9, s8, v6
	v_add_nc_u32_e32 v13, s9, v12
	s_mul_i32 s2, s22, s15
	s_add_i32 s3, s4, s3
	s_mul_hi_u32 s5, s28, s15
	v_ashrrev_i32_e32 v10, 31, v9
	v_ashrrev_i32_e32 v15, 31, v13
	v_mad_u64_u32 v[4:5], null, s20, v9, v[2:3]
	v_mul_lo_u32 v3, s21, v9
	s_delay_alu instid0(VALU_DEP_4)
	v_mul_lo_u32 v16, s20, v10
	v_mul_lo_u32 v17, v13, s27
	v_mad_u64_u32 v[9:10], null, v13, s26, v[0:1]
	v_mul_lo_u32 v13, v15, s26
	v_lshlrev_b32_e32 v0, 2, v6
	s_lshl_b64 s[2:3], s[2:3], 2
	v_lshlrev_b32_e32 v11, 2, v7
	v_add3_u32 v5, v3, v5, v16
	s_add_u32 s4, s18, s2
	v_lshl_or_b32 v0, v2, 7, v0
	s_mul_i32 s2, s29, s15
	v_add3_u32 v10, v13, v10, v17
	v_lshlrev_b64 v[2:3], 2, v[4:5]
	s_addc_u32 s6, s19, s3
	s_add_i32 s3, s5, s2
	s_mul_i32 s2, s28, s15
	v_lshlrev_b64 v[4:5], 2, v[9:10]
	s_lshl_b64 s[2:3], s[2:3], 2
	v_add_co_u32 v2, vcc_lo, s4, v2
	v_mov_b32_e32 v9, v1
	v_lshl_or_b32 v6, v12, 5, v14
	s_add_u32 s2, s24, s2
	v_add_co_ci_u32_e32 v3, vcc_lo, s6, v3, vcc_lo
	s_addc_u32 s3, s25, s3
	v_add_co_u32 v4, vcc_lo, s2, v4
	v_add_nc_u32_e32 v12, 0x400, v6
	v_mov_b32_e32 v6, v1
	v_lshl_add_u32 v13, v8, 5, 0x400
	v_add_co_ci_u32_e32 v5, vcc_lo, s3, v5, vcc_lo
	v_mov_b32_e32 v10, v1
	s_mov_b64 s[2:3], 0
.LBB941_2:                              ; =>This Inner Loop Header: Depth=1
	global_load_b32 v14, v[2:3], off
	global_load_b32 v15, v[4:5], off
	s_add_u32 s2, s2, 8
	v_add_co_u32 v2, vcc_lo, v2, 32
	s_addc_u32 s3, s3, 0
	v_add_co_ci_u32_e32 v3, vcc_lo, 0, v3, vcc_lo
	v_cmp_ge_u64_e64 s4, s[2:3], s[16:17]
	v_add_co_u32 v4, vcc_lo, v4, 32
	v_add_co_ci_u32_e32 v5, vcc_lo, 0, v5, vcc_lo
	s_waitcnt vmcnt(1)
	ds_store_b32 v0, v14
	s_waitcnt vmcnt(0)
	ds_store_b32 v12, v15
	s_waitcnt lgkmcnt(0)
	s_barrier
	buffer_gl0_inv
	ds_load_2addr_b32 v[30:31], v11 offset1:16
	ds_load_b128 v[14:17], v13
	ds_load_b128 v[18:21], v13 offset:512
	ds_load_2addr_b32 v[32:33], v11 offset0:32 offset1:48
	ds_load_2addr_b32 v[34:35], v11 offset0:64 offset1:80
	ds_load_b128 v[22:25], v13 offset:16
	ds_load_2addr_b32 v[36:37], v11 offset0:96 offset1:112
	ds_load_2addr_b32 v[38:39], v11 offset0:128 offset1:144
	ds_load_b128 v[26:29], v13 offset:528
	ds_load_2addr_b32 v[40:41], v11 offset0:160 offset1:176
	ds_load_2addr_b32 v[42:43], v11 offset0:192 offset1:208
	ds_load_2addr_b32 v[44:45], v11 offset0:224 offset1:240
	s_and_b32 vcc_lo, exec_lo, s4
	s_waitcnt lgkmcnt(0)
	s_barrier
	buffer_gl0_inv
	v_fmac_f32_e32 v9, v31, v14
	v_fmac_f32_e32 v10, v30, v14
	v_fmac_f32_e32 v1, v31, v18
	s_delay_alu instid0(VALU_DEP_3) | instskip(NEXT) | instid1(VALU_DEP_3)
	v_dual_fmac_f32 v6, v30, v18 :: v_dual_fmac_f32 v9, v33, v15
	v_fmac_f32_e32 v10, v32, v15
	s_delay_alu instid0(VALU_DEP_3) | instskip(NEXT) | instid1(VALU_DEP_3)
	v_fmac_f32_e32 v1, v33, v19
	v_dual_fmac_f32 v6, v32, v19 :: v_dual_fmac_f32 v9, v35, v16
	s_delay_alu instid0(VALU_DEP_3) | instskip(NEXT) | instid1(VALU_DEP_3)
	v_fmac_f32_e32 v10, v34, v16
	v_fmac_f32_e32 v1, v35, v20
	s_delay_alu instid0(VALU_DEP_3) | instskip(NEXT) | instid1(VALU_DEP_3)
	v_dual_fmac_f32 v6, v34, v20 :: v_dual_fmac_f32 v9, v37, v17
	v_fmac_f32_e32 v10, v36, v17
	s_delay_alu instid0(VALU_DEP_3) | instskip(NEXT) | instid1(VALU_DEP_3)
	v_fmac_f32_e32 v1, v37, v21
	v_dual_fmac_f32 v6, v36, v21 :: v_dual_fmac_f32 v9, v39, v22
	s_delay_alu instid0(VALU_DEP_3) | instskip(NEXT) | instid1(VALU_DEP_3)
	v_fmac_f32_e32 v10, v38, v22
	v_fmac_f32_e32 v1, v39, v26
	;; [unrolled: 9-line block ×3, first 2 shown]
	s_delay_alu instid0(VALU_DEP_3) | instskip(NEXT) | instid1(VALU_DEP_3)
	v_dual_fmac_f32 v6, v42, v28 :: v_dual_fmac_f32 v9, v45, v25
	v_fmac_f32_e32 v10, v44, v25
	s_delay_alu instid0(VALU_DEP_3) | instskip(NEXT) | instid1(VALU_DEP_3)
	v_fmac_f32_e32 v1, v45, v29
	v_fmac_f32_e32 v6, v44, v29
	s_cbranch_vccz .LBB941_2
.LBB941_3:
	s_clause 0x1
	s_load_b128 s[4:7], s[0:1], 0x48
	s_load_b32 s2, s[0:1], 0x0
	v_add_nc_u32_e32 v0, s9, v8
	s_delay_alu instid0(VALU_DEP_1) | instskip(SKIP_1) | instid1(VALU_DEP_1)
	v_ashrrev_i32_e32 v2, 31, v0
	s_waitcnt lgkmcnt(0)
	v_mul_lo_u32 v5, v2, s4
	v_mul_lo_u32 v8, v0, s5
	v_mad_u64_u32 v[3:4], null, v0, s4, 0
	s_mul_i32 s1, s15, s7
	s_mul_hi_u32 s3, s15, s6
	s_mul_i32 s6, s15, s6
	s_add_i32 s7, s3, s1
	v_add_nc_u32_e32 v2, s8, v7
	s_lshl_b64 s[6:7], s[6:7], 2
	s_delay_alu instid0(VALU_DEP_2)
	v_add3_u32 v4, v4, v8, v5
	s_add_u32 s3, s30, s6
	v_cmp_gt_i32_e32 vcc_lo, s2, v0
	v_cmp_le_i32_e64 s0, v2, v0
	s_addc_u32 s6, s31, s7
	v_lshlrev_b64 v[3:4], 2, v[3:4]
	s_delay_alu instid0(VALU_DEP_2) | instskip(NEXT) | instid1(VALU_DEP_1)
	s_and_b32 s0, vcc_lo, s0
	v_add_co_u32 v7, s1, s3, v3
	s_delay_alu instid0(VALU_DEP_1)
	v_add_co_ci_u32_e64 v8, s1, s6, v4, s1
	s_and_saveexec_b32 s1, s0
	s_cbranch_execz .LBB941_5
; %bb.4:
	v_ashrrev_i32_e32 v3, 31, v2
	s_delay_alu instid0(VALU_DEP_1) | instskip(NEXT) | instid1(VALU_DEP_1)
	v_lshlrev_b64 v[3:4], 2, v[2:3]
	v_add_co_u32 v3, s0, v7, v3
	s_delay_alu instid0(VALU_DEP_1)
	v_add_co_ci_u32_e64 v4, s0, v8, v4, s0
	global_store_b32 v[3:4], v10, off
.LBB941_5:
	s_or_b32 exec_lo, exec_lo, s1
	v_add_nc_u32_e32 v4, 16, v2
	s_delay_alu instid0(VALU_DEP_1) | instskip(NEXT) | instid1(VALU_DEP_1)
	v_cmp_le_i32_e64 s0, v4, v0
	s_and_b32 s1, vcc_lo, s0
	s_delay_alu instid0(SALU_CYCLE_1)
	s_and_saveexec_b32 s0, s1
	s_cbranch_execz .LBB941_7
; %bb.6:
	v_ashrrev_i32_e32 v5, 31, v4
	s_delay_alu instid0(VALU_DEP_1) | instskip(NEXT) | instid1(VALU_DEP_1)
	v_lshlrev_b64 v[10:11], 2, v[4:5]
	v_add_co_u32 v7, vcc_lo, v7, v10
	s_delay_alu instid0(VALU_DEP_2)
	v_add_co_ci_u32_e32 v8, vcc_lo, v8, v11, vcc_lo
	global_store_b32 v[7:8], v9, off
.LBB941_7:
	s_or_b32 exec_lo, exec_lo, s0
	v_add_nc_u32_e32 v0, 16, v0
	s_delay_alu instid0(VALU_DEP_1) | instskip(SKIP_3) | instid1(VALU_DEP_4)
	v_ashrrev_i32_e32 v3, 31, v0
	v_mul_lo_u32 v5, v0, s5
	v_mad_u64_u32 v[7:8], null, v0, s4, 0
	v_cmp_gt_i32_e32 vcc_lo, s2, v0
	v_mul_lo_u32 v3, v3, s4
	v_cmp_le_i32_e64 s0, v2, v0
	s_delay_alu instid0(VALU_DEP_1) | instskip(NEXT) | instid1(VALU_DEP_2)
	s_and_b32 s0, vcc_lo, s0
	v_add3_u32 v8, v8, v5, v3
	s_delay_alu instid0(VALU_DEP_1) | instskip(NEXT) | instid1(VALU_DEP_1)
	v_lshlrev_b64 v[7:8], 2, v[7:8]
	v_add_co_u32 v7, s1, s3, v7
	s_delay_alu instid0(VALU_DEP_1)
	v_add_co_ci_u32_e64 v8, s1, s6, v8, s1
	s_and_saveexec_b32 s1, s0
	s_cbranch_execz .LBB941_9
; %bb.8:
	v_ashrrev_i32_e32 v3, 31, v2
	s_delay_alu instid0(VALU_DEP_1) | instskip(NEXT) | instid1(VALU_DEP_1)
	v_lshlrev_b64 v[2:3], 2, v[2:3]
	v_add_co_u32 v2, s0, v7, v2
	s_delay_alu instid0(VALU_DEP_1)
	v_add_co_ci_u32_e64 v3, s0, v8, v3, s0
	global_store_b32 v[2:3], v6, off
.LBB941_9:
	s_or_b32 exec_lo, exec_lo, s1
	v_cmp_le_i32_e64 s0, v4, v0
	s_delay_alu instid0(VALU_DEP_1) | instskip(NEXT) | instid1(SALU_CYCLE_1)
	s_and_b32 s0, vcc_lo, s0
	s_and_saveexec_b32 s1, s0
	s_cbranch_execz .LBB941_11
; %bb.10:
	v_ashrrev_i32_e32 v5, 31, v4
	s_delay_alu instid0(VALU_DEP_1) | instskip(NEXT) | instid1(VALU_DEP_1)
	v_lshlrev_b64 v[2:3], 2, v[4:5]
	v_add_co_u32 v2, vcc_lo, v7, v2
	s_delay_alu instid0(VALU_DEP_2)
	v_add_co_ci_u32_e32 v3, vcc_lo, v8, v3, vcc_lo
	global_store_b32 v[2:3], v1, off
.LBB941_11:
	s_nop 0
	s_sendmsg sendmsg(MSG_DEALLOC_VGPRS)
	s_endpgm
	.section	.rodata,"a",@progbits
	.p2align	6, 0x0
	.amdhsa_kernel _ZL37rocblas_syrkx_herkx_restricted_kernelIlfLi16ELi32ELi8ELi1ELi0ELb0ELc84ELc85EKffEviT_PT9_S1_lS3_S1_lPT10_S1_li
		.amdhsa_group_segment_fixed_size 2048
		.amdhsa_private_segment_fixed_size 0
		.amdhsa_kernarg_size 92
		.amdhsa_user_sgpr_count 13
		.amdhsa_user_sgpr_dispatch_ptr 0
		.amdhsa_user_sgpr_queue_ptr 0
		.amdhsa_user_sgpr_kernarg_segment_ptr 1
		.amdhsa_user_sgpr_dispatch_id 0
		.amdhsa_user_sgpr_private_segment_size 0
		.amdhsa_wavefront_size32 1
		.amdhsa_uses_dynamic_stack 0
		.amdhsa_enable_private_segment 0
		.amdhsa_system_sgpr_workgroup_id_x 1
		.amdhsa_system_sgpr_workgroup_id_y 1
		.amdhsa_system_sgpr_workgroup_id_z 1
		.amdhsa_system_sgpr_workgroup_info 0
		.amdhsa_system_vgpr_workitem_id 1
		.amdhsa_next_free_vgpr 46
		.amdhsa_next_free_sgpr 32
		.amdhsa_reserve_vcc 1
		.amdhsa_float_round_mode_32 0
		.amdhsa_float_round_mode_16_64 0
		.amdhsa_float_denorm_mode_32 3
		.amdhsa_float_denorm_mode_16_64 3
		.amdhsa_dx10_clamp 1
		.amdhsa_ieee_mode 1
		.amdhsa_fp16_overflow 0
		.amdhsa_workgroup_processor_mode 1
		.amdhsa_memory_ordered 1
		.amdhsa_forward_progress 0
		.amdhsa_shared_vgpr_count 0
		.amdhsa_exception_fp_ieee_invalid_op 0
		.amdhsa_exception_fp_denorm_src 0
		.amdhsa_exception_fp_ieee_div_zero 0
		.amdhsa_exception_fp_ieee_overflow 0
		.amdhsa_exception_fp_ieee_underflow 0
		.amdhsa_exception_fp_ieee_inexact 0
		.amdhsa_exception_int_div_zero 0
	.end_amdhsa_kernel
	.section	.text._ZL37rocblas_syrkx_herkx_restricted_kernelIlfLi16ELi32ELi8ELi1ELi0ELb0ELc84ELc85EKffEviT_PT9_S1_lS3_S1_lPT10_S1_li,"axG",@progbits,_ZL37rocblas_syrkx_herkx_restricted_kernelIlfLi16ELi32ELi8ELi1ELi0ELb0ELc84ELc85EKffEviT_PT9_S1_lS3_S1_lPT10_S1_li,comdat
.Lfunc_end941:
	.size	_ZL37rocblas_syrkx_herkx_restricted_kernelIlfLi16ELi32ELi8ELi1ELi0ELb0ELc84ELc85EKffEviT_PT9_S1_lS3_S1_lPT10_S1_li, .Lfunc_end941-_ZL37rocblas_syrkx_herkx_restricted_kernelIlfLi16ELi32ELi8ELi1ELi0ELb0ELc84ELc85EKffEviT_PT9_S1_lS3_S1_lPT10_S1_li
                                        ; -- End function
	.section	.AMDGPU.csdata,"",@progbits
; Kernel info:
; codeLenInByte = 1252
; NumSgprs: 34
; NumVgprs: 46
; ScratchSize: 0
; MemoryBound: 0
; FloatMode: 240
; IeeeMode: 1
; LDSByteSize: 2048 bytes/workgroup (compile time only)
; SGPRBlocks: 4
; VGPRBlocks: 5
; NumSGPRsForWavesPerEU: 34
; NumVGPRsForWavesPerEU: 46
; Occupancy: 16
; WaveLimiterHint : 1
; COMPUTE_PGM_RSRC2:SCRATCH_EN: 0
; COMPUTE_PGM_RSRC2:USER_SGPR: 13
; COMPUTE_PGM_RSRC2:TRAP_HANDLER: 0
; COMPUTE_PGM_RSRC2:TGID_X_EN: 1
; COMPUTE_PGM_RSRC2:TGID_Y_EN: 1
; COMPUTE_PGM_RSRC2:TGID_Z_EN: 1
; COMPUTE_PGM_RSRC2:TIDIG_COMP_CNT: 1
	.section	.text._ZL37rocblas_syrkx_herkx_restricted_kernelIlfLi16ELi32ELi8ELi1ELi0ELb0ELc67ELc85EKffEviT_PT9_S1_lS3_S1_lPT10_S1_li,"axG",@progbits,_ZL37rocblas_syrkx_herkx_restricted_kernelIlfLi16ELi32ELi8ELi1ELi0ELb0ELc67ELc85EKffEviT_PT9_S1_lS3_S1_lPT10_S1_li,comdat
	.globl	_ZL37rocblas_syrkx_herkx_restricted_kernelIlfLi16ELi32ELi8ELi1ELi0ELb0ELc67ELc85EKffEviT_PT9_S1_lS3_S1_lPT10_S1_li ; -- Begin function _ZL37rocblas_syrkx_herkx_restricted_kernelIlfLi16ELi32ELi8ELi1ELi0ELb0ELc67ELc85EKffEviT_PT9_S1_lS3_S1_lPT10_S1_li
	.p2align	8
	.type	_ZL37rocblas_syrkx_herkx_restricted_kernelIlfLi16ELi32ELi8ELi1ELi0ELb0ELc67ELc85EKffEviT_PT9_S1_lS3_S1_lPT10_S1_li,@function
_ZL37rocblas_syrkx_herkx_restricted_kernelIlfLi16ELi32ELi8ELi1ELi0ELb0ELc67ELc85EKffEviT_PT9_S1_lS3_S1_lPT10_S1_li: ; @_ZL37rocblas_syrkx_herkx_restricted_kernelIlfLi16ELi32ELi8ELi1ELi0ELb0ELc67ELc85EKffEviT_PT9_S1_lS3_S1_lPT10_S1_li
; %bb.0:
	s_load_b512 s[16:31], s[0:1], 0x8
	v_dual_mov_b32 v10, 0 :: v_dual_mov_b32 v9, 0
	v_dual_mov_b32 v6, 0 :: v_dual_and_b32 v7, 0x3ff, v0
	v_bfe_u32 v8, v0, 10, 10
	v_mov_b32_e32 v1, 0
	s_lshl_b32 s8, s13, 5
	s_lshl_b32 s9, s14, 5
	s_waitcnt lgkmcnt(0)
	v_cmp_lt_i64_e64 s2, s[16:17], 1
	s_delay_alu instid0(VALU_DEP_1)
	s_and_b32 vcc_lo, exec_lo, s2
	s_cbranch_vccnz .LBB942_3
; %bb.1:
	v_lshl_add_u32 v2, v8, 4, v7
	v_dual_mov_b32 v1, 0 :: v_dual_and_b32 v0, 7, v7
	s_mul_i32 s3, s23, s15
	s_mul_hi_u32 s4, s22, s15
	s_delay_alu instid0(VALU_DEP_2)
	v_and_b32_e32 v6, 31, v2
	v_lshrrev_b32_e32 v12, 3, v2
	v_mov_b32_e32 v3, v1
	v_lshrrev_b32_e32 v2, 5, v2
	v_lshlrev_b32_e32 v14, 2, v0
	v_add_nc_u32_e32 v9, s8, v6
	v_add_nc_u32_e32 v13, s9, v12
	s_mul_i32 s2, s22, s15
	s_add_i32 s3, s4, s3
	s_mul_hi_u32 s5, s28, s15
	v_ashrrev_i32_e32 v10, 31, v9
	v_ashrrev_i32_e32 v15, 31, v13
	v_mad_u64_u32 v[4:5], null, s20, v9, v[2:3]
	v_mul_lo_u32 v3, s21, v9
	s_delay_alu instid0(VALU_DEP_4)
	v_mul_lo_u32 v16, s20, v10
	v_mul_lo_u32 v17, v13, s27
	v_mad_u64_u32 v[9:10], null, v13, s26, v[0:1]
	v_mul_lo_u32 v13, v15, s26
	v_lshlrev_b32_e32 v0, 2, v6
	s_lshl_b64 s[2:3], s[2:3], 2
	v_lshlrev_b32_e32 v11, 2, v7
	v_add3_u32 v5, v3, v5, v16
	s_add_u32 s4, s18, s2
	v_lshl_or_b32 v0, v2, 7, v0
	s_mul_i32 s2, s29, s15
	v_add3_u32 v10, v13, v10, v17
	v_lshlrev_b64 v[2:3], 2, v[4:5]
	s_addc_u32 s6, s19, s3
	s_add_i32 s3, s5, s2
	s_mul_i32 s2, s28, s15
	v_lshlrev_b64 v[4:5], 2, v[9:10]
	s_lshl_b64 s[2:3], s[2:3], 2
	v_add_co_u32 v2, vcc_lo, s4, v2
	v_mov_b32_e32 v9, v1
	v_lshl_or_b32 v6, v12, 5, v14
	s_add_u32 s2, s24, s2
	v_add_co_ci_u32_e32 v3, vcc_lo, s6, v3, vcc_lo
	s_addc_u32 s3, s25, s3
	v_add_co_u32 v4, vcc_lo, s2, v4
	v_add_nc_u32_e32 v12, 0x400, v6
	v_mov_b32_e32 v6, v1
	v_lshl_add_u32 v13, v8, 5, 0x400
	v_add_co_ci_u32_e32 v5, vcc_lo, s3, v5, vcc_lo
	v_mov_b32_e32 v10, v1
	s_mov_b64 s[2:3], 0
.LBB942_2:                              ; =>This Inner Loop Header: Depth=1
	global_load_b32 v14, v[2:3], off
	global_load_b32 v15, v[4:5], off
	s_add_u32 s2, s2, 8
	v_add_co_u32 v2, vcc_lo, v2, 32
	s_addc_u32 s3, s3, 0
	v_add_co_ci_u32_e32 v3, vcc_lo, 0, v3, vcc_lo
	v_cmp_ge_u64_e64 s4, s[2:3], s[16:17]
	v_add_co_u32 v4, vcc_lo, v4, 32
	v_add_co_ci_u32_e32 v5, vcc_lo, 0, v5, vcc_lo
	s_waitcnt vmcnt(1)
	ds_store_b32 v0, v14
	s_waitcnt vmcnt(0)
	ds_store_b32 v12, v15
	s_waitcnt lgkmcnt(0)
	s_barrier
	buffer_gl0_inv
	ds_load_2addr_b32 v[30:31], v11 offset1:16
	ds_load_b128 v[14:17], v13
	ds_load_b128 v[18:21], v13 offset:512
	ds_load_2addr_b32 v[32:33], v11 offset0:32 offset1:48
	ds_load_2addr_b32 v[34:35], v11 offset0:64 offset1:80
	ds_load_b128 v[22:25], v13 offset:16
	ds_load_2addr_b32 v[36:37], v11 offset0:96 offset1:112
	ds_load_2addr_b32 v[38:39], v11 offset0:128 offset1:144
	;; [unrolled: 3-line block ×3, first 2 shown]
	ds_load_2addr_b32 v[44:45], v11 offset0:224 offset1:240
	s_and_b32 vcc_lo, exec_lo, s4
	s_waitcnt lgkmcnt(0)
	s_barrier
	buffer_gl0_inv
	v_fmac_f32_e32 v9, v31, v14
	v_fmac_f32_e32 v10, v30, v14
	v_fmac_f32_e32 v1, v31, v18
	s_delay_alu instid0(VALU_DEP_3) | instskip(NEXT) | instid1(VALU_DEP_3)
	v_dual_fmac_f32 v6, v30, v18 :: v_dual_fmac_f32 v9, v33, v15
	v_fmac_f32_e32 v10, v32, v15
	s_delay_alu instid0(VALU_DEP_3) | instskip(NEXT) | instid1(VALU_DEP_3)
	v_fmac_f32_e32 v1, v33, v19
	v_dual_fmac_f32 v6, v32, v19 :: v_dual_fmac_f32 v9, v35, v16
	s_delay_alu instid0(VALU_DEP_3) | instskip(NEXT) | instid1(VALU_DEP_3)
	v_fmac_f32_e32 v10, v34, v16
	v_fmac_f32_e32 v1, v35, v20
	s_delay_alu instid0(VALU_DEP_3) | instskip(NEXT) | instid1(VALU_DEP_3)
	v_dual_fmac_f32 v6, v34, v20 :: v_dual_fmac_f32 v9, v37, v17
	v_fmac_f32_e32 v10, v36, v17
	s_delay_alu instid0(VALU_DEP_3) | instskip(NEXT) | instid1(VALU_DEP_3)
	v_fmac_f32_e32 v1, v37, v21
	v_dual_fmac_f32 v6, v36, v21 :: v_dual_fmac_f32 v9, v39, v22
	s_delay_alu instid0(VALU_DEP_3) | instskip(NEXT) | instid1(VALU_DEP_3)
	v_fmac_f32_e32 v10, v38, v22
	v_fmac_f32_e32 v1, v39, v26
	;; [unrolled: 9-line block ×3, first 2 shown]
	s_delay_alu instid0(VALU_DEP_3) | instskip(NEXT) | instid1(VALU_DEP_3)
	v_dual_fmac_f32 v6, v42, v28 :: v_dual_fmac_f32 v9, v45, v25
	v_fmac_f32_e32 v10, v44, v25
	s_delay_alu instid0(VALU_DEP_3) | instskip(NEXT) | instid1(VALU_DEP_3)
	v_fmac_f32_e32 v1, v45, v29
	v_fmac_f32_e32 v6, v44, v29
	s_cbranch_vccz .LBB942_2
.LBB942_3:
	s_clause 0x1
	s_load_b128 s[4:7], s[0:1], 0x48
	s_load_b32 s2, s[0:1], 0x0
	v_add_nc_u32_e32 v0, s9, v8
	s_delay_alu instid0(VALU_DEP_1) | instskip(SKIP_1) | instid1(VALU_DEP_1)
	v_ashrrev_i32_e32 v2, 31, v0
	s_waitcnt lgkmcnt(0)
	v_mul_lo_u32 v5, v2, s4
	v_mul_lo_u32 v8, v0, s5
	v_mad_u64_u32 v[3:4], null, v0, s4, 0
	s_mul_i32 s1, s15, s7
	s_mul_hi_u32 s3, s15, s6
	s_mul_i32 s6, s15, s6
	s_add_i32 s7, s3, s1
	v_add_nc_u32_e32 v2, s8, v7
	s_lshl_b64 s[6:7], s[6:7], 2
	s_delay_alu instid0(VALU_DEP_2)
	v_add3_u32 v4, v4, v8, v5
	s_add_u32 s3, s30, s6
	v_cmp_gt_i32_e32 vcc_lo, s2, v0
	v_cmp_le_i32_e64 s0, v2, v0
	s_addc_u32 s6, s31, s7
	v_lshlrev_b64 v[3:4], 2, v[3:4]
	s_delay_alu instid0(VALU_DEP_2) | instskip(NEXT) | instid1(VALU_DEP_1)
	s_and_b32 s0, vcc_lo, s0
	v_add_co_u32 v7, s1, s3, v3
	s_delay_alu instid0(VALU_DEP_1)
	v_add_co_ci_u32_e64 v8, s1, s6, v4, s1
	s_and_saveexec_b32 s1, s0
	s_cbranch_execz .LBB942_5
; %bb.4:
	v_ashrrev_i32_e32 v3, 31, v2
	s_delay_alu instid0(VALU_DEP_1) | instskip(NEXT) | instid1(VALU_DEP_1)
	v_lshlrev_b64 v[3:4], 2, v[2:3]
	v_add_co_u32 v3, s0, v7, v3
	s_delay_alu instid0(VALU_DEP_1)
	v_add_co_ci_u32_e64 v4, s0, v8, v4, s0
	global_store_b32 v[3:4], v10, off
.LBB942_5:
	s_or_b32 exec_lo, exec_lo, s1
	v_add_nc_u32_e32 v4, 16, v2
	s_delay_alu instid0(VALU_DEP_1) | instskip(NEXT) | instid1(VALU_DEP_1)
	v_cmp_le_i32_e64 s0, v4, v0
	s_and_b32 s1, vcc_lo, s0
	s_delay_alu instid0(SALU_CYCLE_1)
	s_and_saveexec_b32 s0, s1
	s_cbranch_execz .LBB942_7
; %bb.6:
	v_ashrrev_i32_e32 v5, 31, v4
	s_delay_alu instid0(VALU_DEP_1) | instskip(NEXT) | instid1(VALU_DEP_1)
	v_lshlrev_b64 v[10:11], 2, v[4:5]
	v_add_co_u32 v7, vcc_lo, v7, v10
	s_delay_alu instid0(VALU_DEP_2)
	v_add_co_ci_u32_e32 v8, vcc_lo, v8, v11, vcc_lo
	global_store_b32 v[7:8], v9, off
.LBB942_7:
	s_or_b32 exec_lo, exec_lo, s0
	v_add_nc_u32_e32 v0, 16, v0
	s_delay_alu instid0(VALU_DEP_1) | instskip(SKIP_3) | instid1(VALU_DEP_4)
	v_ashrrev_i32_e32 v3, 31, v0
	v_mul_lo_u32 v5, v0, s5
	v_mad_u64_u32 v[7:8], null, v0, s4, 0
	v_cmp_gt_i32_e32 vcc_lo, s2, v0
	v_mul_lo_u32 v3, v3, s4
	v_cmp_le_i32_e64 s0, v2, v0
	s_delay_alu instid0(VALU_DEP_1) | instskip(NEXT) | instid1(VALU_DEP_2)
	s_and_b32 s0, vcc_lo, s0
	v_add3_u32 v8, v8, v5, v3
	s_delay_alu instid0(VALU_DEP_1) | instskip(NEXT) | instid1(VALU_DEP_1)
	v_lshlrev_b64 v[7:8], 2, v[7:8]
	v_add_co_u32 v7, s1, s3, v7
	s_delay_alu instid0(VALU_DEP_1)
	v_add_co_ci_u32_e64 v8, s1, s6, v8, s1
	s_and_saveexec_b32 s1, s0
	s_cbranch_execz .LBB942_9
; %bb.8:
	v_ashrrev_i32_e32 v3, 31, v2
	s_delay_alu instid0(VALU_DEP_1) | instskip(NEXT) | instid1(VALU_DEP_1)
	v_lshlrev_b64 v[2:3], 2, v[2:3]
	v_add_co_u32 v2, s0, v7, v2
	s_delay_alu instid0(VALU_DEP_1)
	v_add_co_ci_u32_e64 v3, s0, v8, v3, s0
	global_store_b32 v[2:3], v6, off
.LBB942_9:
	s_or_b32 exec_lo, exec_lo, s1
	v_cmp_le_i32_e64 s0, v4, v0
	s_delay_alu instid0(VALU_DEP_1) | instskip(NEXT) | instid1(SALU_CYCLE_1)
	s_and_b32 s0, vcc_lo, s0
	s_and_saveexec_b32 s1, s0
	s_cbranch_execz .LBB942_11
; %bb.10:
	v_ashrrev_i32_e32 v5, 31, v4
	s_delay_alu instid0(VALU_DEP_1) | instskip(NEXT) | instid1(VALU_DEP_1)
	v_lshlrev_b64 v[2:3], 2, v[4:5]
	v_add_co_u32 v2, vcc_lo, v7, v2
	s_delay_alu instid0(VALU_DEP_2)
	v_add_co_ci_u32_e32 v3, vcc_lo, v8, v3, vcc_lo
	global_store_b32 v[2:3], v1, off
.LBB942_11:
	s_nop 0
	s_sendmsg sendmsg(MSG_DEALLOC_VGPRS)
	s_endpgm
	.section	.rodata,"a",@progbits
	.p2align	6, 0x0
	.amdhsa_kernel _ZL37rocblas_syrkx_herkx_restricted_kernelIlfLi16ELi32ELi8ELi1ELi0ELb0ELc67ELc85EKffEviT_PT9_S1_lS3_S1_lPT10_S1_li
		.amdhsa_group_segment_fixed_size 2048
		.amdhsa_private_segment_fixed_size 0
		.amdhsa_kernarg_size 92
		.amdhsa_user_sgpr_count 13
		.amdhsa_user_sgpr_dispatch_ptr 0
		.amdhsa_user_sgpr_queue_ptr 0
		.amdhsa_user_sgpr_kernarg_segment_ptr 1
		.amdhsa_user_sgpr_dispatch_id 0
		.amdhsa_user_sgpr_private_segment_size 0
		.amdhsa_wavefront_size32 1
		.amdhsa_uses_dynamic_stack 0
		.amdhsa_enable_private_segment 0
		.amdhsa_system_sgpr_workgroup_id_x 1
		.amdhsa_system_sgpr_workgroup_id_y 1
		.amdhsa_system_sgpr_workgroup_id_z 1
		.amdhsa_system_sgpr_workgroup_info 0
		.amdhsa_system_vgpr_workitem_id 1
		.amdhsa_next_free_vgpr 46
		.amdhsa_next_free_sgpr 32
		.amdhsa_reserve_vcc 1
		.amdhsa_float_round_mode_32 0
		.amdhsa_float_round_mode_16_64 0
		.amdhsa_float_denorm_mode_32 3
		.amdhsa_float_denorm_mode_16_64 3
		.amdhsa_dx10_clamp 1
		.amdhsa_ieee_mode 1
		.amdhsa_fp16_overflow 0
		.amdhsa_workgroup_processor_mode 1
		.amdhsa_memory_ordered 1
		.amdhsa_forward_progress 0
		.amdhsa_shared_vgpr_count 0
		.amdhsa_exception_fp_ieee_invalid_op 0
		.amdhsa_exception_fp_denorm_src 0
		.amdhsa_exception_fp_ieee_div_zero 0
		.amdhsa_exception_fp_ieee_overflow 0
		.amdhsa_exception_fp_ieee_underflow 0
		.amdhsa_exception_fp_ieee_inexact 0
		.amdhsa_exception_int_div_zero 0
	.end_amdhsa_kernel
	.section	.text._ZL37rocblas_syrkx_herkx_restricted_kernelIlfLi16ELi32ELi8ELi1ELi0ELb0ELc67ELc85EKffEviT_PT9_S1_lS3_S1_lPT10_S1_li,"axG",@progbits,_ZL37rocblas_syrkx_herkx_restricted_kernelIlfLi16ELi32ELi8ELi1ELi0ELb0ELc67ELc85EKffEviT_PT9_S1_lS3_S1_lPT10_S1_li,comdat
.Lfunc_end942:
	.size	_ZL37rocblas_syrkx_herkx_restricted_kernelIlfLi16ELi32ELi8ELi1ELi0ELb0ELc67ELc85EKffEviT_PT9_S1_lS3_S1_lPT10_S1_li, .Lfunc_end942-_ZL37rocblas_syrkx_herkx_restricted_kernelIlfLi16ELi32ELi8ELi1ELi0ELb0ELc67ELc85EKffEviT_PT9_S1_lS3_S1_lPT10_S1_li
                                        ; -- End function
	.section	.AMDGPU.csdata,"",@progbits
; Kernel info:
; codeLenInByte = 1252
; NumSgprs: 34
; NumVgprs: 46
; ScratchSize: 0
; MemoryBound: 0
; FloatMode: 240
; IeeeMode: 1
; LDSByteSize: 2048 bytes/workgroup (compile time only)
; SGPRBlocks: 4
; VGPRBlocks: 5
; NumSGPRsForWavesPerEU: 34
; NumVGPRsForWavesPerEU: 46
; Occupancy: 16
; WaveLimiterHint : 1
; COMPUTE_PGM_RSRC2:SCRATCH_EN: 0
; COMPUTE_PGM_RSRC2:USER_SGPR: 13
; COMPUTE_PGM_RSRC2:TRAP_HANDLER: 0
; COMPUTE_PGM_RSRC2:TGID_X_EN: 1
; COMPUTE_PGM_RSRC2:TGID_Y_EN: 1
; COMPUTE_PGM_RSRC2:TGID_Z_EN: 1
; COMPUTE_PGM_RSRC2:TIDIG_COMP_CNT: 1
	.section	.text._ZL37rocblas_syrkx_herkx_restricted_kernelIlfLi16ELi32ELi8ELi1ELi0ELb0ELc78ELc85EKffEviT_PT9_S1_lS3_S1_lPT10_S1_li,"axG",@progbits,_ZL37rocblas_syrkx_herkx_restricted_kernelIlfLi16ELi32ELi8ELi1ELi0ELb0ELc78ELc85EKffEviT_PT9_S1_lS3_S1_lPT10_S1_li,comdat
	.globl	_ZL37rocblas_syrkx_herkx_restricted_kernelIlfLi16ELi32ELi8ELi1ELi0ELb0ELc78ELc85EKffEviT_PT9_S1_lS3_S1_lPT10_S1_li ; -- Begin function _ZL37rocblas_syrkx_herkx_restricted_kernelIlfLi16ELi32ELi8ELi1ELi0ELb0ELc78ELc85EKffEviT_PT9_S1_lS3_S1_lPT10_S1_li
	.p2align	8
	.type	_ZL37rocblas_syrkx_herkx_restricted_kernelIlfLi16ELi32ELi8ELi1ELi0ELb0ELc78ELc85EKffEviT_PT9_S1_lS3_S1_lPT10_S1_li,@function
_ZL37rocblas_syrkx_herkx_restricted_kernelIlfLi16ELi32ELi8ELi1ELi0ELb0ELc78ELc85EKffEviT_PT9_S1_lS3_S1_lPT10_S1_li: ; @_ZL37rocblas_syrkx_herkx_restricted_kernelIlfLi16ELi32ELi8ELi1ELi0ELb0ELc78ELc85EKffEviT_PT9_S1_lS3_S1_lPT10_S1_li
; %bb.0:
	s_load_b512 s[16:31], s[0:1], 0x8
	v_dual_mov_b32 v9, 0 :: v_dual_mov_b32 v8, 0
	v_dual_mov_b32 v7, 0 :: v_dual_mov_b32 v4, 0
	v_and_b32_e32 v5, 0x3ff, v0
	v_bfe_u32 v6, v0, 10, 10
	s_lshl_b32 s8, s13, 5
	s_lshl_b32 s9, s14, 5
	s_waitcnt lgkmcnt(0)
	v_cmp_lt_i64_e64 s2, s[16:17], 1
	s_delay_alu instid0(VALU_DEP_1)
	s_and_b32 vcc_lo, exec_lo, s2
	s_cbranch_vccnz .LBB943_3
; %bb.1:
	v_lshl_add_u32 v1, v6, 4, v5
	v_and_b32_e32 v15, 7, v5
	s_mul_i32 s3, s23, s15
	s_mul_hi_u32 s5, s22, s15
	s_mul_i32 s2, s22, s15
	v_and_b32_e32 v9, 31, v1
	v_lshrrev_b32_e32 v14, 3, v1
	v_lshrrev_b32_e32 v16, 5, v1
	s_add_i32 s3, s5, s3
	s_mul_i32 s6, s29, s15
	v_add_nc_u32_e32 v0, s8, v9
	v_add_nc_u32_e32 v2, s9, v14
	s_lshl_b64 s[2:3], s[2:3], 2
	s_mul_hi_u32 s7, s28, s15
	s_add_u32 s10, s18, s2
	v_ashrrev_i32_e32 v1, 31, v0
	v_ashrrev_i32_e32 v3, 31, v2
	s_mul_i32 s4, s28, s15
	s_addc_u32 s11, s19, s3
	s_add_i32 s5, s7, s6
	v_mad_u64_u32 v[7:8], null, v16, s20, v[0:1]
	v_mad_u64_u32 v[0:1], null, v15, s26, v[2:3]
	s_lshl_b64 s[4:5], s[4:5], 2
	s_lshl_b64 s[2:3], s[20:21], 5
	s_add_u32 s4, s24, s4
	s_addc_u32 s5, s25, s5
	s_delay_alu instid0(VALU_DEP_2) | instskip(SKIP_3) | instid1(VALU_DEP_3)
	v_mov_b32_e32 v2, v8
	v_lshlrev_b32_e32 v10, 2, v5
	v_lshl_add_u32 v11, v6, 5, 0x400
	s_mov_b64 s[6:7], 0
	v_mad_u64_u32 v[3:4], null, v16, s21, v[2:3]
	v_lshlrev_b32_e32 v4, 2, v9
	s_delay_alu instid0(VALU_DEP_2) | instskip(SKIP_2) | instid1(VALU_DEP_3)
	v_mov_b32_e32 v8, v3
	v_mad_u64_u32 v[12:13], null, v15, s27, v[1:2]
	v_lshlrev_b32_e32 v17, 2, v15
	v_lshlrev_b64 v[2:3], 2, v[7:8]
	s_delay_alu instid0(VALU_DEP_3) | instskip(SKIP_3) | instid1(VALU_DEP_4)
	v_mov_b32_e32 v1, v12
	v_lshl_or_b32 v12, v16, 7, v4
	v_mov_b32_e32 v4, 0
	v_lshl_or_b32 v9, v14, 5, v17
	v_lshlrev_b64 v[7:8], 2, v[0:1]
	v_add_co_u32 v0, vcc_lo, s10, v2
	v_add_co_ci_u32_e32 v1, vcc_lo, s11, v3, vcc_lo
	s_delay_alu instid0(VALU_DEP_4) | instskip(NEXT) | instid1(VALU_DEP_4)
	v_add_nc_u32_e32 v13, 0x400, v9
	v_add_co_u32 v2, vcc_lo, s4, v7
	v_add_co_ci_u32_e32 v3, vcc_lo, s5, v8, vcc_lo
	v_dual_mov_b32 v8, 0 :: v_dual_mov_b32 v7, 0
	v_mov_b32_e32 v9, 0
	s_lshl_b64 s[4:5], s[26:27], 5
.LBB943_2:                              ; =>This Inner Loop Header: Depth=1
	global_load_b32 v14, v[0:1], off
	global_load_b32 v15, v[2:3], off
	s_add_u32 s6, s6, 8
	v_add_co_u32 v0, vcc_lo, v0, s2
	s_addc_u32 s7, s7, 0
	v_add_co_ci_u32_e32 v1, vcc_lo, s3, v1, vcc_lo
	v_cmp_ge_u64_e64 s10, s[6:7], s[16:17]
	v_add_co_u32 v2, vcc_lo, v2, s4
	v_add_co_ci_u32_e32 v3, vcc_lo, s5, v3, vcc_lo
	s_waitcnt vmcnt(1)
	ds_store_b32 v12, v14
	s_waitcnt vmcnt(0)
	ds_store_b32 v13, v15
	s_waitcnt lgkmcnt(0)
	s_barrier
	buffer_gl0_inv
	ds_load_2addr_b32 v[30:31], v10 offset1:16
	ds_load_b128 v[14:17], v11
	ds_load_b128 v[18:21], v11 offset:512
	ds_load_2addr_b32 v[32:33], v10 offset0:32 offset1:48
	ds_load_2addr_b32 v[34:35], v10 offset0:64 offset1:80
	ds_load_b128 v[22:25], v11 offset:16
	ds_load_2addr_b32 v[36:37], v10 offset0:96 offset1:112
	ds_load_2addr_b32 v[38:39], v10 offset0:128 offset1:144
	;; [unrolled: 3-line block ×3, first 2 shown]
	ds_load_2addr_b32 v[44:45], v10 offset0:224 offset1:240
	s_and_b32 vcc_lo, exec_lo, s10
	s_waitcnt lgkmcnt(0)
	s_barrier
	buffer_gl0_inv
	v_fmac_f32_e32 v8, v31, v14
	v_fmac_f32_e32 v9, v30, v14
	;; [unrolled: 1-line block ×3, first 2 shown]
	s_delay_alu instid0(VALU_DEP_3) | instskip(NEXT) | instid1(VALU_DEP_3)
	v_dual_fmac_f32 v7, v30, v18 :: v_dual_fmac_f32 v8, v33, v15
	v_fmac_f32_e32 v9, v32, v15
	s_delay_alu instid0(VALU_DEP_3) | instskip(NEXT) | instid1(VALU_DEP_3)
	v_fmac_f32_e32 v4, v33, v19
	v_dual_fmac_f32 v7, v32, v19 :: v_dual_fmac_f32 v8, v35, v16
	s_delay_alu instid0(VALU_DEP_3) | instskip(NEXT) | instid1(VALU_DEP_3)
	v_fmac_f32_e32 v9, v34, v16
	v_fmac_f32_e32 v4, v35, v20
	s_delay_alu instid0(VALU_DEP_3) | instskip(NEXT) | instid1(VALU_DEP_3)
	v_dual_fmac_f32 v7, v34, v20 :: v_dual_fmac_f32 v8, v37, v17
	v_fmac_f32_e32 v9, v36, v17
	s_delay_alu instid0(VALU_DEP_3) | instskip(NEXT) | instid1(VALU_DEP_3)
	v_fmac_f32_e32 v4, v37, v21
	v_dual_fmac_f32 v7, v36, v21 :: v_dual_fmac_f32 v8, v39, v22
	s_delay_alu instid0(VALU_DEP_3) | instskip(NEXT) | instid1(VALU_DEP_3)
	v_fmac_f32_e32 v9, v38, v22
	v_fmac_f32_e32 v4, v39, v26
	;; [unrolled: 9-line block ×3, first 2 shown]
	s_delay_alu instid0(VALU_DEP_3) | instskip(NEXT) | instid1(VALU_DEP_3)
	v_dual_fmac_f32 v7, v42, v28 :: v_dual_fmac_f32 v8, v45, v25
	v_fmac_f32_e32 v9, v44, v25
	s_delay_alu instid0(VALU_DEP_3) | instskip(NEXT) | instid1(VALU_DEP_3)
	v_fmac_f32_e32 v4, v45, v29
	v_fmac_f32_e32 v7, v44, v29
	s_cbranch_vccz .LBB943_2
.LBB943_3:
	s_clause 0x1
	s_load_b128 s[4:7], s[0:1], 0x48
	s_load_b32 s2, s[0:1], 0x0
	v_add_nc_u32_e32 v6, s9, v6
	s_delay_alu instid0(VALU_DEP_1) | instskip(SKIP_1) | instid1(VALU_DEP_1)
	v_ashrrev_i32_e32 v0, 31, v6
	s_waitcnt lgkmcnt(0)
	v_mul_lo_u32 v3, v0, s4
	v_mul_lo_u32 v10, v6, s5
	v_mad_u64_u32 v[1:2], null, v6, s4, 0
	s_mul_i32 s1, s15, s7
	s_mul_hi_u32 s3, s15, s6
	s_mul_i32 s6, s15, s6
	s_add_i32 s7, s3, s1
	v_add_nc_u32_e32 v0, s8, v5
	s_lshl_b64 s[6:7], s[6:7], 2
	s_delay_alu instid0(VALU_DEP_2)
	v_add3_u32 v2, v2, v10, v3
	s_add_u32 s3, s30, s6
	v_cmp_gt_i32_e32 vcc_lo, s2, v6
	v_cmp_le_i32_e64 s0, v0, v6
	s_addc_u32 s6, s31, s7
	v_lshlrev_b64 v[1:2], 2, v[1:2]
	s_delay_alu instid0(VALU_DEP_2) | instskip(NEXT) | instid1(VALU_DEP_1)
	s_and_b32 s0, vcc_lo, s0
	v_add_co_u32 v5, s1, s3, v1
	s_delay_alu instid0(VALU_DEP_1)
	v_add_co_ci_u32_e64 v10, s1, s6, v2, s1
	s_and_saveexec_b32 s1, s0
	s_cbranch_execz .LBB943_5
; %bb.4:
	v_ashrrev_i32_e32 v1, 31, v0
	s_delay_alu instid0(VALU_DEP_1) | instskip(NEXT) | instid1(VALU_DEP_1)
	v_lshlrev_b64 v[1:2], 2, v[0:1]
	v_add_co_u32 v1, s0, v5, v1
	s_delay_alu instid0(VALU_DEP_1)
	v_add_co_ci_u32_e64 v2, s0, v10, v2, s0
	global_store_b32 v[1:2], v9, off
.LBB943_5:
	s_or_b32 exec_lo, exec_lo, s1
	v_add_nc_u32_e32 v2, 16, v0
	s_delay_alu instid0(VALU_DEP_1) | instskip(NEXT) | instid1(VALU_DEP_1)
	v_cmp_le_i32_e64 s0, v2, v6
	s_and_b32 s1, vcc_lo, s0
	s_delay_alu instid0(SALU_CYCLE_1)
	s_and_saveexec_b32 s0, s1
	s_cbranch_execz .LBB943_7
; %bb.6:
	v_ashrrev_i32_e32 v3, 31, v2
	s_delay_alu instid0(VALU_DEP_1) | instskip(NEXT) | instid1(VALU_DEP_1)
	v_lshlrev_b64 v[11:12], 2, v[2:3]
	v_add_co_u32 v9, vcc_lo, v5, v11
	s_delay_alu instid0(VALU_DEP_2)
	v_add_co_ci_u32_e32 v10, vcc_lo, v10, v12, vcc_lo
	global_store_b32 v[9:10], v8, off
.LBB943_7:
	s_or_b32 exec_lo, exec_lo, s0
	v_add_nc_u32_e32 v3, 16, v6
	s_delay_alu instid0(VALU_DEP_1) | instskip(SKIP_3) | instid1(VALU_DEP_4)
	v_ashrrev_i32_e32 v1, 31, v3
	v_mul_lo_u32 v8, v3, s5
	v_mad_u64_u32 v[5:6], null, v3, s4, 0
	v_cmp_gt_i32_e32 vcc_lo, s2, v3
	v_mul_lo_u32 v1, v1, s4
	v_cmp_le_i32_e64 s0, v0, v3
	s_delay_alu instid0(VALU_DEP_1) | instskip(NEXT) | instid1(VALU_DEP_2)
	s_and_b32 s0, vcc_lo, s0
	v_add3_u32 v6, v6, v8, v1
	s_delay_alu instid0(VALU_DEP_1) | instskip(NEXT) | instid1(VALU_DEP_1)
	v_lshlrev_b64 v[5:6], 2, v[5:6]
	v_add_co_u32 v5, s1, s3, v5
	s_delay_alu instid0(VALU_DEP_1)
	v_add_co_ci_u32_e64 v6, s1, s6, v6, s1
	s_and_saveexec_b32 s1, s0
	s_cbranch_execz .LBB943_9
; %bb.8:
	v_ashrrev_i32_e32 v1, 31, v0
	s_delay_alu instid0(VALU_DEP_1) | instskip(NEXT) | instid1(VALU_DEP_1)
	v_lshlrev_b64 v[0:1], 2, v[0:1]
	v_add_co_u32 v0, s0, v5, v0
	s_delay_alu instid0(VALU_DEP_1)
	v_add_co_ci_u32_e64 v1, s0, v6, v1, s0
	global_store_b32 v[0:1], v7, off
.LBB943_9:
	s_or_b32 exec_lo, exec_lo, s1
	v_cmp_le_i32_e64 s0, v2, v3
	s_delay_alu instid0(VALU_DEP_1) | instskip(NEXT) | instid1(SALU_CYCLE_1)
	s_and_b32 s0, vcc_lo, s0
	s_and_saveexec_b32 s1, s0
	s_cbranch_execz .LBB943_11
; %bb.10:
	v_ashrrev_i32_e32 v3, 31, v2
	s_delay_alu instid0(VALU_DEP_1) | instskip(NEXT) | instid1(VALU_DEP_1)
	v_lshlrev_b64 v[0:1], 2, v[2:3]
	v_add_co_u32 v0, vcc_lo, v5, v0
	s_delay_alu instid0(VALU_DEP_2)
	v_add_co_ci_u32_e32 v1, vcc_lo, v6, v1, vcc_lo
	global_store_b32 v[0:1], v4, off
.LBB943_11:
	s_nop 0
	s_sendmsg sendmsg(MSG_DEALLOC_VGPRS)
	s_endpgm
	.section	.rodata,"a",@progbits
	.p2align	6, 0x0
	.amdhsa_kernel _ZL37rocblas_syrkx_herkx_restricted_kernelIlfLi16ELi32ELi8ELi1ELi0ELb0ELc78ELc85EKffEviT_PT9_S1_lS3_S1_lPT10_S1_li
		.amdhsa_group_segment_fixed_size 2048
		.amdhsa_private_segment_fixed_size 0
		.amdhsa_kernarg_size 92
		.amdhsa_user_sgpr_count 13
		.amdhsa_user_sgpr_dispatch_ptr 0
		.amdhsa_user_sgpr_queue_ptr 0
		.amdhsa_user_sgpr_kernarg_segment_ptr 1
		.amdhsa_user_sgpr_dispatch_id 0
		.amdhsa_user_sgpr_private_segment_size 0
		.amdhsa_wavefront_size32 1
		.amdhsa_uses_dynamic_stack 0
		.amdhsa_enable_private_segment 0
		.amdhsa_system_sgpr_workgroup_id_x 1
		.amdhsa_system_sgpr_workgroup_id_y 1
		.amdhsa_system_sgpr_workgroup_id_z 1
		.amdhsa_system_sgpr_workgroup_info 0
		.amdhsa_system_vgpr_workitem_id 1
		.amdhsa_next_free_vgpr 46
		.amdhsa_next_free_sgpr 32
		.amdhsa_reserve_vcc 1
		.amdhsa_float_round_mode_32 0
		.amdhsa_float_round_mode_16_64 0
		.amdhsa_float_denorm_mode_32 3
		.amdhsa_float_denorm_mode_16_64 3
		.amdhsa_dx10_clamp 1
		.amdhsa_ieee_mode 1
		.amdhsa_fp16_overflow 0
		.amdhsa_workgroup_processor_mode 1
		.amdhsa_memory_ordered 1
		.amdhsa_forward_progress 0
		.amdhsa_shared_vgpr_count 0
		.amdhsa_exception_fp_ieee_invalid_op 0
		.amdhsa_exception_fp_denorm_src 0
		.amdhsa_exception_fp_ieee_div_zero 0
		.amdhsa_exception_fp_ieee_overflow 0
		.amdhsa_exception_fp_ieee_underflow 0
		.amdhsa_exception_fp_ieee_inexact 0
		.amdhsa_exception_int_div_zero 0
	.end_amdhsa_kernel
	.section	.text._ZL37rocblas_syrkx_herkx_restricted_kernelIlfLi16ELi32ELi8ELi1ELi0ELb0ELc78ELc85EKffEviT_PT9_S1_lS3_S1_lPT10_S1_li,"axG",@progbits,_ZL37rocblas_syrkx_herkx_restricted_kernelIlfLi16ELi32ELi8ELi1ELi0ELb0ELc78ELc85EKffEviT_PT9_S1_lS3_S1_lPT10_S1_li,comdat
.Lfunc_end943:
	.size	_ZL37rocblas_syrkx_herkx_restricted_kernelIlfLi16ELi32ELi8ELi1ELi0ELb0ELc78ELc85EKffEviT_PT9_S1_lS3_S1_lPT10_S1_li, .Lfunc_end943-_ZL37rocblas_syrkx_herkx_restricted_kernelIlfLi16ELi32ELi8ELi1ELi0ELb0ELc78ELc85EKffEviT_PT9_S1_lS3_S1_lPT10_S1_li
                                        ; -- End function
	.section	.AMDGPU.csdata,"",@progbits
; Kernel info:
; codeLenInByte = 1244
; NumSgprs: 34
; NumVgprs: 46
; ScratchSize: 0
; MemoryBound: 0
; FloatMode: 240
; IeeeMode: 1
; LDSByteSize: 2048 bytes/workgroup (compile time only)
; SGPRBlocks: 4
; VGPRBlocks: 5
; NumSGPRsForWavesPerEU: 34
; NumVGPRsForWavesPerEU: 46
; Occupancy: 16
; WaveLimiterHint : 1
; COMPUTE_PGM_RSRC2:SCRATCH_EN: 0
; COMPUTE_PGM_RSRC2:USER_SGPR: 13
; COMPUTE_PGM_RSRC2:TRAP_HANDLER: 0
; COMPUTE_PGM_RSRC2:TGID_X_EN: 1
; COMPUTE_PGM_RSRC2:TGID_Y_EN: 1
; COMPUTE_PGM_RSRC2:TGID_Z_EN: 1
; COMPUTE_PGM_RSRC2:TIDIG_COMP_CNT: 1
	.section	.text._ZL37rocblas_syrkx_herkx_restricted_kernelIlfLi16ELi32ELi8ELin1ELi0ELb0ELc84ELc76EKffEviT_PT9_S1_lS3_S1_lPT10_S1_li,"axG",@progbits,_ZL37rocblas_syrkx_herkx_restricted_kernelIlfLi16ELi32ELi8ELin1ELi0ELb0ELc84ELc76EKffEviT_PT9_S1_lS3_S1_lPT10_S1_li,comdat
	.globl	_ZL37rocblas_syrkx_herkx_restricted_kernelIlfLi16ELi32ELi8ELin1ELi0ELb0ELc84ELc76EKffEviT_PT9_S1_lS3_S1_lPT10_S1_li ; -- Begin function _ZL37rocblas_syrkx_herkx_restricted_kernelIlfLi16ELi32ELi8ELin1ELi0ELb0ELc84ELc76EKffEviT_PT9_S1_lS3_S1_lPT10_S1_li
	.p2align	8
	.type	_ZL37rocblas_syrkx_herkx_restricted_kernelIlfLi16ELi32ELi8ELin1ELi0ELb0ELc84ELc76EKffEviT_PT9_S1_lS3_S1_lPT10_S1_li,@function
_ZL37rocblas_syrkx_herkx_restricted_kernelIlfLi16ELi32ELi8ELin1ELi0ELb0ELc84ELc76EKffEviT_PT9_S1_lS3_S1_lPT10_S1_li: ; @_ZL37rocblas_syrkx_herkx_restricted_kernelIlfLi16ELi32ELi8ELin1ELi0ELb0ELc84ELc76EKffEviT_PT9_S1_lS3_S1_lPT10_S1_li
; %bb.0:
	s_load_b512 s[16:31], s[0:1], 0x8
	v_dual_mov_b32 v10, 0 :: v_dual_mov_b32 v9, 0
	v_dual_mov_b32 v6, 0 :: v_dual_and_b32 v7, 0x3ff, v0
	v_bfe_u32 v8, v0, 10, 10
	v_mov_b32_e32 v1, 0
	s_lshl_b32 s8, s13, 5
	s_lshl_b32 s9, s14, 5
	s_waitcnt lgkmcnt(0)
	v_cmp_lt_i64_e64 s2, s[16:17], 1
	s_delay_alu instid0(VALU_DEP_1)
	s_and_b32 vcc_lo, exec_lo, s2
	s_cbranch_vccnz .LBB944_3
; %bb.1:
	v_lshl_add_u32 v2, v8, 4, v7
	v_dual_mov_b32 v1, 0 :: v_dual_and_b32 v0, 7, v7
	s_mul_i32 s3, s23, s15
	s_mul_hi_u32 s4, s22, s15
	s_delay_alu instid0(VALU_DEP_2)
	v_and_b32_e32 v6, 31, v2
	v_lshrrev_b32_e32 v12, 3, v2
	v_mov_b32_e32 v3, v1
	v_lshrrev_b32_e32 v2, 5, v2
	v_lshlrev_b32_e32 v14, 2, v0
	v_add_nc_u32_e32 v9, s8, v6
	v_add_nc_u32_e32 v13, s9, v12
	s_mul_i32 s2, s22, s15
	s_add_i32 s3, s4, s3
	s_mul_hi_u32 s5, s28, s15
	v_ashrrev_i32_e32 v10, 31, v9
	v_ashrrev_i32_e32 v15, 31, v13
	v_mad_u64_u32 v[4:5], null, s20, v9, v[2:3]
	v_mul_lo_u32 v3, s21, v9
	s_delay_alu instid0(VALU_DEP_4)
	v_mul_lo_u32 v16, s20, v10
	v_mul_lo_u32 v17, v13, s27
	v_mad_u64_u32 v[9:10], null, v13, s26, v[0:1]
	v_mul_lo_u32 v13, v15, s26
	v_lshlrev_b32_e32 v0, 2, v6
	s_lshl_b64 s[2:3], s[2:3], 2
	v_lshlrev_b32_e32 v11, 2, v7
	v_add3_u32 v5, v3, v5, v16
	s_add_u32 s4, s18, s2
	v_lshl_or_b32 v0, v2, 7, v0
	s_mul_i32 s2, s29, s15
	v_add3_u32 v10, v13, v10, v17
	v_lshlrev_b64 v[2:3], 2, v[4:5]
	s_addc_u32 s6, s19, s3
	s_add_i32 s3, s5, s2
	s_mul_i32 s2, s28, s15
	v_lshlrev_b64 v[4:5], 2, v[9:10]
	s_lshl_b64 s[2:3], s[2:3], 2
	v_add_co_u32 v2, vcc_lo, s4, v2
	v_mov_b32_e32 v9, v1
	v_lshl_or_b32 v6, v12, 5, v14
	s_add_u32 s2, s24, s2
	v_add_co_ci_u32_e32 v3, vcc_lo, s6, v3, vcc_lo
	s_addc_u32 s3, s25, s3
	v_add_co_u32 v4, vcc_lo, s2, v4
	v_add_nc_u32_e32 v12, 0x400, v6
	v_mov_b32_e32 v6, v1
	v_lshl_add_u32 v13, v8, 5, 0x400
	v_add_co_ci_u32_e32 v5, vcc_lo, s3, v5, vcc_lo
	v_mov_b32_e32 v10, v1
	s_mov_b64 s[2:3], 0
.LBB944_2:                              ; =>This Inner Loop Header: Depth=1
	global_load_b32 v14, v[2:3], off
	global_load_b32 v15, v[4:5], off
	s_add_u32 s2, s2, 8
	v_add_co_u32 v2, vcc_lo, v2, 32
	s_addc_u32 s3, s3, 0
	v_add_co_ci_u32_e32 v3, vcc_lo, 0, v3, vcc_lo
	v_cmp_ge_u64_e64 s4, s[2:3], s[16:17]
	v_add_co_u32 v4, vcc_lo, v4, 32
	v_add_co_ci_u32_e32 v5, vcc_lo, 0, v5, vcc_lo
	s_waitcnt vmcnt(1)
	ds_store_b32 v0, v14
	s_waitcnt vmcnt(0)
	ds_store_b32 v12, v15
	s_waitcnt lgkmcnt(0)
	s_barrier
	buffer_gl0_inv
	ds_load_2addr_b32 v[30:31], v11 offset1:16
	ds_load_b128 v[14:17], v13
	ds_load_b128 v[18:21], v13 offset:512
	ds_load_2addr_b32 v[32:33], v11 offset0:32 offset1:48
	ds_load_2addr_b32 v[34:35], v11 offset0:64 offset1:80
	ds_load_b128 v[22:25], v13 offset:16
	ds_load_2addr_b32 v[36:37], v11 offset0:96 offset1:112
	ds_load_2addr_b32 v[38:39], v11 offset0:128 offset1:144
	;; [unrolled: 3-line block ×3, first 2 shown]
	ds_load_2addr_b32 v[44:45], v11 offset0:224 offset1:240
	s_and_b32 vcc_lo, exec_lo, s4
	s_waitcnt lgkmcnt(0)
	s_barrier
	buffer_gl0_inv
	v_fmac_f32_e32 v9, v31, v14
	v_fmac_f32_e32 v10, v30, v14
	;; [unrolled: 1-line block ×3, first 2 shown]
	s_delay_alu instid0(VALU_DEP_3) | instskip(NEXT) | instid1(VALU_DEP_3)
	v_dual_fmac_f32 v6, v30, v18 :: v_dual_fmac_f32 v9, v33, v15
	v_fmac_f32_e32 v10, v32, v15
	s_delay_alu instid0(VALU_DEP_3) | instskip(NEXT) | instid1(VALU_DEP_3)
	v_fmac_f32_e32 v1, v33, v19
	v_dual_fmac_f32 v6, v32, v19 :: v_dual_fmac_f32 v9, v35, v16
	s_delay_alu instid0(VALU_DEP_3) | instskip(NEXT) | instid1(VALU_DEP_3)
	v_fmac_f32_e32 v10, v34, v16
	v_fmac_f32_e32 v1, v35, v20
	s_delay_alu instid0(VALU_DEP_3) | instskip(NEXT) | instid1(VALU_DEP_3)
	v_dual_fmac_f32 v6, v34, v20 :: v_dual_fmac_f32 v9, v37, v17
	v_fmac_f32_e32 v10, v36, v17
	s_delay_alu instid0(VALU_DEP_3) | instskip(NEXT) | instid1(VALU_DEP_3)
	v_fmac_f32_e32 v1, v37, v21
	v_dual_fmac_f32 v6, v36, v21 :: v_dual_fmac_f32 v9, v39, v22
	s_delay_alu instid0(VALU_DEP_3) | instskip(NEXT) | instid1(VALU_DEP_3)
	v_fmac_f32_e32 v10, v38, v22
	v_fmac_f32_e32 v1, v39, v26
	;; [unrolled: 9-line block ×3, first 2 shown]
	s_delay_alu instid0(VALU_DEP_3) | instskip(NEXT) | instid1(VALU_DEP_3)
	v_dual_fmac_f32 v6, v42, v28 :: v_dual_fmac_f32 v9, v45, v25
	v_fmac_f32_e32 v10, v44, v25
	s_delay_alu instid0(VALU_DEP_3) | instskip(NEXT) | instid1(VALU_DEP_3)
	v_fmac_f32_e32 v1, v45, v29
	v_fmac_f32_e32 v6, v44, v29
	s_cbranch_vccz .LBB944_2
.LBB944_3:
	s_load_b128 s[4:7], s[0:1], 0x48
	v_add_nc_u32_e32 v0, s9, v8
	s_load_b32 s9, s[0:1], 0x0
	s_delay_alu instid0(VALU_DEP_1) | instskip(SKIP_1) | instid1(VALU_DEP_1)
	v_ashrrev_i32_e32 v2, 31, v0
	s_waitcnt lgkmcnt(0)
	v_mul_lo_u32 v5, v2, s4
	v_mul_lo_u32 v8, v0, s5
	v_mad_u64_u32 v[3:4], null, v0, s4, 0
	s_mul_i32 s1, s15, s7
	s_mul_hi_u32 s3, s15, s6
	s_mul_i32 s2, s15, s6
	s_add_i32 s3, s3, s1
	v_add_nc_u32_e32 v2, s8, v7
	s_lshl_b64 s[2:3], s[2:3], 2
	s_delay_alu instid0(VALU_DEP_2)
	v_add3_u32 v4, v4, v8, v5
	s_add_u32 s2, s30, s2
	s_addc_u32 s3, s31, s3
	v_cmp_le_i32_e64 s0, v0, v2
	v_cmp_gt_i32_e32 vcc_lo, s9, v2
	v_lshlrev_b64 v[3:4], 2, v[3:4]
	s_delay_alu instid0(VALU_DEP_3) | instskip(NEXT) | instid1(VALU_DEP_1)
	s_and_b32 s0, s0, vcc_lo
	v_add_co_u32 v7, s1, s2, v3
	s_delay_alu instid0(VALU_DEP_1)
	v_add_co_ci_u32_e64 v8, s1, s3, v4, s1
	s_and_saveexec_b32 s1, s0
	s_cbranch_execz .LBB944_5
; %bb.4:
	v_ashrrev_i32_e32 v3, 31, v2
	v_xor_b32_e32 v5, 0x80000000, v10
	s_delay_alu instid0(VALU_DEP_2) | instskip(NEXT) | instid1(VALU_DEP_1)
	v_lshlrev_b64 v[3:4], 2, v[2:3]
	v_add_co_u32 v3, s0, v7, v3
	s_delay_alu instid0(VALU_DEP_1)
	v_add_co_ci_u32_e64 v4, s0, v8, v4, s0
	global_store_b32 v[3:4], v5, off
.LBB944_5:
	s_or_b32 exec_lo, exec_lo, s1
	v_add_nc_u32_e32 v4, 16, v2
	s_delay_alu instid0(VALU_DEP_1) | instskip(SKIP_1) | instid1(VALU_DEP_1)
	v_cmp_le_i32_e64 s1, v0, v4
	v_cmp_gt_i32_e64 s0, s9, v4
	s_and_b32 s1, s1, s0
	s_delay_alu instid0(SALU_CYCLE_1)
	s_and_saveexec_b32 s6, s1
	s_cbranch_execz .LBB944_7
; %bb.6:
	v_ashrrev_i32_e32 v5, 31, v4
	v_xor_b32_e32 v3, 0x80000000, v9
	s_delay_alu instid0(VALU_DEP_2) | instskip(NEXT) | instid1(VALU_DEP_1)
	v_lshlrev_b64 v[10:11], 2, v[4:5]
	v_add_co_u32 v7, s1, v7, v10
	s_delay_alu instid0(VALU_DEP_1)
	v_add_co_ci_u32_e64 v8, s1, v8, v11, s1
	global_store_b32 v[7:8], v3, off
.LBB944_7:
	s_or_b32 exec_lo, exec_lo, s6
	v_add_nc_u32_e32 v5, 16, v0
	s_delay_alu instid0(VALU_DEP_1) | instskip(SKIP_3) | instid1(VALU_DEP_4)
	v_ashrrev_i32_e32 v0, 31, v5
	v_mul_lo_u32 v3, v5, s5
	v_mad_u64_u32 v[7:8], null, v5, s4, 0
	v_cmp_le_i32_e64 s1, v5, v2
	v_mul_lo_u32 v0, v0, s4
	s_delay_alu instid0(VALU_DEP_1) | instskip(NEXT) | instid1(VALU_DEP_1)
	v_add3_u32 v8, v8, v3, v0
	v_lshlrev_b64 v[7:8], 2, v[7:8]
	s_delay_alu instid0(VALU_DEP_1) | instskip(NEXT) | instid1(VALU_DEP_1)
	v_add_co_u32 v0, s2, s2, v7
	v_add_co_ci_u32_e64 v7, s2, s3, v8, s2
	s_and_b32 s2, s1, vcc_lo
	s_delay_alu instid0(SALU_CYCLE_1)
	s_and_saveexec_b32 s1, s2
	s_cbranch_execz .LBB944_9
; %bb.8:
	v_ashrrev_i32_e32 v3, 31, v2
	v_xor_b32_e32 v6, 0x80000000, v6
	s_delay_alu instid0(VALU_DEP_2) | instskip(NEXT) | instid1(VALU_DEP_1)
	v_lshlrev_b64 v[2:3], 2, v[2:3]
	v_add_co_u32 v2, vcc_lo, v0, v2
	s_delay_alu instid0(VALU_DEP_2)
	v_add_co_ci_u32_e32 v3, vcc_lo, v7, v3, vcc_lo
	global_store_b32 v[2:3], v6, off
.LBB944_9:
	s_or_b32 exec_lo, exec_lo, s1
	v_cmp_le_i32_e32 vcc_lo, v5, v4
	s_and_b32 s0, vcc_lo, s0
	s_delay_alu instid0(SALU_CYCLE_1)
	s_and_saveexec_b32 s1, s0
	s_cbranch_execz .LBB944_11
; %bb.10:
	v_ashrrev_i32_e32 v5, 31, v4
	s_delay_alu instid0(VALU_DEP_1) | instskip(SKIP_1) | instid1(VALU_DEP_2)
	v_lshlrev_b64 v[2:3], 2, v[4:5]
	v_xor_b32_e32 v4, 0x80000000, v1
	v_add_co_u32 v0, vcc_lo, v0, v2
	s_delay_alu instid0(VALU_DEP_3)
	v_add_co_ci_u32_e32 v1, vcc_lo, v7, v3, vcc_lo
	global_store_b32 v[0:1], v4, off
.LBB944_11:
	s_nop 0
	s_sendmsg sendmsg(MSG_DEALLOC_VGPRS)
	s_endpgm
	.section	.rodata,"a",@progbits
	.p2align	6, 0x0
	.amdhsa_kernel _ZL37rocblas_syrkx_herkx_restricted_kernelIlfLi16ELi32ELi8ELin1ELi0ELb0ELc84ELc76EKffEviT_PT9_S1_lS3_S1_lPT10_S1_li
		.amdhsa_group_segment_fixed_size 2048
		.amdhsa_private_segment_fixed_size 0
		.amdhsa_kernarg_size 92
		.amdhsa_user_sgpr_count 13
		.amdhsa_user_sgpr_dispatch_ptr 0
		.amdhsa_user_sgpr_queue_ptr 0
		.amdhsa_user_sgpr_kernarg_segment_ptr 1
		.amdhsa_user_sgpr_dispatch_id 0
		.amdhsa_user_sgpr_private_segment_size 0
		.amdhsa_wavefront_size32 1
		.amdhsa_uses_dynamic_stack 0
		.amdhsa_enable_private_segment 0
		.amdhsa_system_sgpr_workgroup_id_x 1
		.amdhsa_system_sgpr_workgroup_id_y 1
		.amdhsa_system_sgpr_workgroup_id_z 1
		.amdhsa_system_sgpr_workgroup_info 0
		.amdhsa_system_vgpr_workitem_id 1
		.amdhsa_next_free_vgpr 46
		.amdhsa_next_free_sgpr 32
		.amdhsa_reserve_vcc 1
		.amdhsa_float_round_mode_32 0
		.amdhsa_float_round_mode_16_64 0
		.amdhsa_float_denorm_mode_32 3
		.amdhsa_float_denorm_mode_16_64 3
		.amdhsa_dx10_clamp 1
		.amdhsa_ieee_mode 1
		.amdhsa_fp16_overflow 0
		.amdhsa_workgroup_processor_mode 1
		.amdhsa_memory_ordered 1
		.amdhsa_forward_progress 0
		.amdhsa_shared_vgpr_count 0
		.amdhsa_exception_fp_ieee_invalid_op 0
		.amdhsa_exception_fp_denorm_src 0
		.amdhsa_exception_fp_ieee_div_zero 0
		.amdhsa_exception_fp_ieee_overflow 0
		.amdhsa_exception_fp_ieee_underflow 0
		.amdhsa_exception_fp_ieee_inexact 0
		.amdhsa_exception_int_div_zero 0
	.end_amdhsa_kernel
	.section	.text._ZL37rocblas_syrkx_herkx_restricted_kernelIlfLi16ELi32ELi8ELin1ELi0ELb0ELc84ELc76EKffEviT_PT9_S1_lS3_S1_lPT10_S1_li,"axG",@progbits,_ZL37rocblas_syrkx_herkx_restricted_kernelIlfLi16ELi32ELi8ELin1ELi0ELb0ELc84ELc76EKffEviT_PT9_S1_lS3_S1_lPT10_S1_li,comdat
.Lfunc_end944:
	.size	_ZL37rocblas_syrkx_herkx_restricted_kernelIlfLi16ELi32ELi8ELin1ELi0ELb0ELc84ELc76EKffEviT_PT9_S1_lS3_S1_lPT10_S1_li, .Lfunc_end944-_ZL37rocblas_syrkx_herkx_restricted_kernelIlfLi16ELi32ELi8ELin1ELi0ELb0ELc84ELc76EKffEviT_PT9_S1_lS3_S1_lPT10_S1_li
                                        ; -- End function
	.section	.AMDGPU.csdata,"",@progbits
; Kernel info:
; codeLenInByte = 1280
; NumSgprs: 34
; NumVgprs: 46
; ScratchSize: 0
; MemoryBound: 0
; FloatMode: 240
; IeeeMode: 1
; LDSByteSize: 2048 bytes/workgroup (compile time only)
; SGPRBlocks: 4
; VGPRBlocks: 5
; NumSGPRsForWavesPerEU: 34
; NumVGPRsForWavesPerEU: 46
; Occupancy: 16
; WaveLimiterHint : 1
; COMPUTE_PGM_RSRC2:SCRATCH_EN: 0
; COMPUTE_PGM_RSRC2:USER_SGPR: 13
; COMPUTE_PGM_RSRC2:TRAP_HANDLER: 0
; COMPUTE_PGM_RSRC2:TGID_X_EN: 1
; COMPUTE_PGM_RSRC2:TGID_Y_EN: 1
; COMPUTE_PGM_RSRC2:TGID_Z_EN: 1
; COMPUTE_PGM_RSRC2:TIDIG_COMP_CNT: 1
	.section	.text._ZL37rocblas_syrkx_herkx_restricted_kernelIlfLi16ELi32ELi8ELin1ELi0ELb0ELc67ELc76EKffEviT_PT9_S1_lS3_S1_lPT10_S1_li,"axG",@progbits,_ZL37rocblas_syrkx_herkx_restricted_kernelIlfLi16ELi32ELi8ELin1ELi0ELb0ELc67ELc76EKffEviT_PT9_S1_lS3_S1_lPT10_S1_li,comdat
	.globl	_ZL37rocblas_syrkx_herkx_restricted_kernelIlfLi16ELi32ELi8ELin1ELi0ELb0ELc67ELc76EKffEviT_PT9_S1_lS3_S1_lPT10_S1_li ; -- Begin function _ZL37rocblas_syrkx_herkx_restricted_kernelIlfLi16ELi32ELi8ELin1ELi0ELb0ELc67ELc76EKffEviT_PT9_S1_lS3_S1_lPT10_S1_li
	.p2align	8
	.type	_ZL37rocblas_syrkx_herkx_restricted_kernelIlfLi16ELi32ELi8ELin1ELi0ELb0ELc67ELc76EKffEviT_PT9_S1_lS3_S1_lPT10_S1_li,@function
_ZL37rocblas_syrkx_herkx_restricted_kernelIlfLi16ELi32ELi8ELin1ELi0ELb0ELc67ELc76EKffEviT_PT9_S1_lS3_S1_lPT10_S1_li: ; @_ZL37rocblas_syrkx_herkx_restricted_kernelIlfLi16ELi32ELi8ELin1ELi0ELb0ELc67ELc76EKffEviT_PT9_S1_lS3_S1_lPT10_S1_li
; %bb.0:
	s_load_b512 s[16:31], s[0:1], 0x8
	v_dual_mov_b32 v10, 0 :: v_dual_mov_b32 v9, 0
	v_dual_mov_b32 v6, 0 :: v_dual_and_b32 v7, 0x3ff, v0
	v_bfe_u32 v8, v0, 10, 10
	v_mov_b32_e32 v1, 0
	s_lshl_b32 s8, s13, 5
	s_lshl_b32 s9, s14, 5
	s_waitcnt lgkmcnt(0)
	v_cmp_lt_i64_e64 s2, s[16:17], 1
	s_delay_alu instid0(VALU_DEP_1)
	s_and_b32 vcc_lo, exec_lo, s2
	s_cbranch_vccnz .LBB945_3
; %bb.1:
	v_lshl_add_u32 v2, v8, 4, v7
	v_dual_mov_b32 v1, 0 :: v_dual_and_b32 v0, 7, v7
	s_mul_i32 s3, s23, s15
	s_mul_hi_u32 s4, s22, s15
	s_delay_alu instid0(VALU_DEP_2)
	v_and_b32_e32 v6, 31, v2
	v_lshrrev_b32_e32 v12, 3, v2
	v_mov_b32_e32 v3, v1
	v_lshrrev_b32_e32 v2, 5, v2
	v_lshlrev_b32_e32 v14, 2, v0
	v_add_nc_u32_e32 v9, s8, v6
	v_add_nc_u32_e32 v13, s9, v12
	s_mul_i32 s2, s22, s15
	s_add_i32 s3, s4, s3
	s_mul_hi_u32 s5, s28, s15
	v_ashrrev_i32_e32 v10, 31, v9
	v_ashrrev_i32_e32 v15, 31, v13
	v_mad_u64_u32 v[4:5], null, s20, v9, v[2:3]
	v_mul_lo_u32 v3, s21, v9
	s_delay_alu instid0(VALU_DEP_4)
	v_mul_lo_u32 v16, s20, v10
	v_mul_lo_u32 v17, v13, s27
	v_mad_u64_u32 v[9:10], null, v13, s26, v[0:1]
	v_mul_lo_u32 v13, v15, s26
	v_lshlrev_b32_e32 v0, 2, v6
	s_lshl_b64 s[2:3], s[2:3], 2
	v_lshlrev_b32_e32 v11, 2, v7
	v_add3_u32 v5, v3, v5, v16
	s_add_u32 s4, s18, s2
	v_lshl_or_b32 v0, v2, 7, v0
	s_mul_i32 s2, s29, s15
	v_add3_u32 v10, v13, v10, v17
	v_lshlrev_b64 v[2:3], 2, v[4:5]
	s_addc_u32 s6, s19, s3
	s_add_i32 s3, s5, s2
	s_mul_i32 s2, s28, s15
	v_lshlrev_b64 v[4:5], 2, v[9:10]
	s_lshl_b64 s[2:3], s[2:3], 2
	v_add_co_u32 v2, vcc_lo, s4, v2
	v_mov_b32_e32 v9, v1
	v_lshl_or_b32 v6, v12, 5, v14
	s_add_u32 s2, s24, s2
	v_add_co_ci_u32_e32 v3, vcc_lo, s6, v3, vcc_lo
	s_addc_u32 s3, s25, s3
	v_add_co_u32 v4, vcc_lo, s2, v4
	v_add_nc_u32_e32 v12, 0x400, v6
	v_mov_b32_e32 v6, v1
	v_lshl_add_u32 v13, v8, 5, 0x400
	v_add_co_ci_u32_e32 v5, vcc_lo, s3, v5, vcc_lo
	v_mov_b32_e32 v10, v1
	s_mov_b64 s[2:3], 0
.LBB945_2:                              ; =>This Inner Loop Header: Depth=1
	global_load_b32 v14, v[2:3], off
	global_load_b32 v15, v[4:5], off
	s_add_u32 s2, s2, 8
	v_add_co_u32 v2, vcc_lo, v2, 32
	s_addc_u32 s3, s3, 0
	v_add_co_ci_u32_e32 v3, vcc_lo, 0, v3, vcc_lo
	v_cmp_ge_u64_e64 s4, s[2:3], s[16:17]
	v_add_co_u32 v4, vcc_lo, v4, 32
	v_add_co_ci_u32_e32 v5, vcc_lo, 0, v5, vcc_lo
	s_waitcnt vmcnt(1)
	ds_store_b32 v0, v14
	s_waitcnt vmcnt(0)
	ds_store_b32 v12, v15
	s_waitcnt lgkmcnt(0)
	s_barrier
	buffer_gl0_inv
	ds_load_2addr_b32 v[30:31], v11 offset1:16
	ds_load_b128 v[14:17], v13
	ds_load_b128 v[18:21], v13 offset:512
	ds_load_2addr_b32 v[32:33], v11 offset0:32 offset1:48
	ds_load_2addr_b32 v[34:35], v11 offset0:64 offset1:80
	ds_load_b128 v[22:25], v13 offset:16
	ds_load_2addr_b32 v[36:37], v11 offset0:96 offset1:112
	ds_load_2addr_b32 v[38:39], v11 offset0:128 offset1:144
	;; [unrolled: 3-line block ×3, first 2 shown]
	ds_load_2addr_b32 v[44:45], v11 offset0:224 offset1:240
	s_and_b32 vcc_lo, exec_lo, s4
	s_waitcnt lgkmcnt(0)
	s_barrier
	buffer_gl0_inv
	v_fmac_f32_e32 v9, v31, v14
	v_fmac_f32_e32 v10, v30, v14
	;; [unrolled: 1-line block ×3, first 2 shown]
	s_delay_alu instid0(VALU_DEP_3) | instskip(NEXT) | instid1(VALU_DEP_3)
	v_dual_fmac_f32 v6, v30, v18 :: v_dual_fmac_f32 v9, v33, v15
	v_fmac_f32_e32 v10, v32, v15
	s_delay_alu instid0(VALU_DEP_3) | instskip(NEXT) | instid1(VALU_DEP_3)
	v_fmac_f32_e32 v1, v33, v19
	v_dual_fmac_f32 v6, v32, v19 :: v_dual_fmac_f32 v9, v35, v16
	s_delay_alu instid0(VALU_DEP_3) | instskip(NEXT) | instid1(VALU_DEP_3)
	v_fmac_f32_e32 v10, v34, v16
	v_fmac_f32_e32 v1, v35, v20
	s_delay_alu instid0(VALU_DEP_3) | instskip(NEXT) | instid1(VALU_DEP_3)
	v_dual_fmac_f32 v6, v34, v20 :: v_dual_fmac_f32 v9, v37, v17
	v_fmac_f32_e32 v10, v36, v17
	s_delay_alu instid0(VALU_DEP_3) | instskip(NEXT) | instid1(VALU_DEP_3)
	v_fmac_f32_e32 v1, v37, v21
	v_dual_fmac_f32 v6, v36, v21 :: v_dual_fmac_f32 v9, v39, v22
	s_delay_alu instid0(VALU_DEP_3) | instskip(NEXT) | instid1(VALU_DEP_3)
	v_fmac_f32_e32 v10, v38, v22
	v_fmac_f32_e32 v1, v39, v26
	;; [unrolled: 9-line block ×3, first 2 shown]
	s_delay_alu instid0(VALU_DEP_3) | instskip(NEXT) | instid1(VALU_DEP_3)
	v_dual_fmac_f32 v6, v42, v28 :: v_dual_fmac_f32 v9, v45, v25
	v_fmac_f32_e32 v10, v44, v25
	s_delay_alu instid0(VALU_DEP_3) | instskip(NEXT) | instid1(VALU_DEP_3)
	v_fmac_f32_e32 v1, v45, v29
	v_fmac_f32_e32 v6, v44, v29
	s_cbranch_vccz .LBB945_2
.LBB945_3:
	s_load_b128 s[4:7], s[0:1], 0x48
	v_add_nc_u32_e32 v0, s9, v8
	s_load_b32 s9, s[0:1], 0x0
	s_delay_alu instid0(VALU_DEP_1) | instskip(SKIP_1) | instid1(VALU_DEP_1)
	v_ashrrev_i32_e32 v2, 31, v0
	s_waitcnt lgkmcnt(0)
	v_mul_lo_u32 v5, v2, s4
	v_mul_lo_u32 v8, v0, s5
	v_mad_u64_u32 v[3:4], null, v0, s4, 0
	s_mul_i32 s1, s15, s7
	s_mul_hi_u32 s3, s15, s6
	s_mul_i32 s2, s15, s6
	s_add_i32 s3, s3, s1
	v_add_nc_u32_e32 v2, s8, v7
	s_lshl_b64 s[2:3], s[2:3], 2
	s_delay_alu instid0(VALU_DEP_2)
	v_add3_u32 v4, v4, v8, v5
	s_add_u32 s2, s30, s2
	s_addc_u32 s3, s31, s3
	v_cmp_le_i32_e64 s0, v0, v2
	v_cmp_gt_i32_e32 vcc_lo, s9, v2
	v_lshlrev_b64 v[3:4], 2, v[3:4]
	s_delay_alu instid0(VALU_DEP_3) | instskip(NEXT) | instid1(VALU_DEP_1)
	s_and_b32 s0, s0, vcc_lo
	v_add_co_u32 v7, s1, s2, v3
	s_delay_alu instid0(VALU_DEP_1)
	v_add_co_ci_u32_e64 v8, s1, s3, v4, s1
	s_and_saveexec_b32 s1, s0
	s_cbranch_execz .LBB945_5
; %bb.4:
	v_ashrrev_i32_e32 v3, 31, v2
	v_xor_b32_e32 v5, 0x80000000, v10
	s_delay_alu instid0(VALU_DEP_2) | instskip(NEXT) | instid1(VALU_DEP_1)
	v_lshlrev_b64 v[3:4], 2, v[2:3]
	v_add_co_u32 v3, s0, v7, v3
	s_delay_alu instid0(VALU_DEP_1)
	v_add_co_ci_u32_e64 v4, s0, v8, v4, s0
	global_store_b32 v[3:4], v5, off
.LBB945_5:
	s_or_b32 exec_lo, exec_lo, s1
	v_add_nc_u32_e32 v4, 16, v2
	s_delay_alu instid0(VALU_DEP_1) | instskip(SKIP_1) | instid1(VALU_DEP_1)
	v_cmp_le_i32_e64 s1, v0, v4
	v_cmp_gt_i32_e64 s0, s9, v4
	s_and_b32 s1, s1, s0
	s_delay_alu instid0(SALU_CYCLE_1)
	s_and_saveexec_b32 s6, s1
	s_cbranch_execz .LBB945_7
; %bb.6:
	v_ashrrev_i32_e32 v5, 31, v4
	v_xor_b32_e32 v3, 0x80000000, v9
	s_delay_alu instid0(VALU_DEP_2) | instskip(NEXT) | instid1(VALU_DEP_1)
	v_lshlrev_b64 v[10:11], 2, v[4:5]
	v_add_co_u32 v7, s1, v7, v10
	s_delay_alu instid0(VALU_DEP_1)
	v_add_co_ci_u32_e64 v8, s1, v8, v11, s1
	global_store_b32 v[7:8], v3, off
.LBB945_7:
	s_or_b32 exec_lo, exec_lo, s6
	v_add_nc_u32_e32 v5, 16, v0
	s_delay_alu instid0(VALU_DEP_1) | instskip(SKIP_3) | instid1(VALU_DEP_4)
	v_ashrrev_i32_e32 v0, 31, v5
	v_mul_lo_u32 v3, v5, s5
	v_mad_u64_u32 v[7:8], null, v5, s4, 0
	v_cmp_le_i32_e64 s1, v5, v2
	v_mul_lo_u32 v0, v0, s4
	s_delay_alu instid0(VALU_DEP_1) | instskip(NEXT) | instid1(VALU_DEP_1)
	v_add3_u32 v8, v8, v3, v0
	v_lshlrev_b64 v[7:8], 2, v[7:8]
	s_delay_alu instid0(VALU_DEP_1) | instskip(NEXT) | instid1(VALU_DEP_1)
	v_add_co_u32 v0, s2, s2, v7
	v_add_co_ci_u32_e64 v7, s2, s3, v8, s2
	s_and_b32 s2, s1, vcc_lo
	s_delay_alu instid0(SALU_CYCLE_1)
	s_and_saveexec_b32 s1, s2
	s_cbranch_execz .LBB945_9
; %bb.8:
	v_ashrrev_i32_e32 v3, 31, v2
	v_xor_b32_e32 v6, 0x80000000, v6
	s_delay_alu instid0(VALU_DEP_2) | instskip(NEXT) | instid1(VALU_DEP_1)
	v_lshlrev_b64 v[2:3], 2, v[2:3]
	v_add_co_u32 v2, vcc_lo, v0, v2
	s_delay_alu instid0(VALU_DEP_2)
	v_add_co_ci_u32_e32 v3, vcc_lo, v7, v3, vcc_lo
	global_store_b32 v[2:3], v6, off
.LBB945_9:
	s_or_b32 exec_lo, exec_lo, s1
	v_cmp_le_i32_e32 vcc_lo, v5, v4
	s_and_b32 s0, vcc_lo, s0
	s_delay_alu instid0(SALU_CYCLE_1)
	s_and_saveexec_b32 s1, s0
	s_cbranch_execz .LBB945_11
; %bb.10:
	v_ashrrev_i32_e32 v5, 31, v4
	s_delay_alu instid0(VALU_DEP_1) | instskip(SKIP_1) | instid1(VALU_DEP_2)
	v_lshlrev_b64 v[2:3], 2, v[4:5]
	v_xor_b32_e32 v4, 0x80000000, v1
	v_add_co_u32 v0, vcc_lo, v0, v2
	s_delay_alu instid0(VALU_DEP_3)
	v_add_co_ci_u32_e32 v1, vcc_lo, v7, v3, vcc_lo
	global_store_b32 v[0:1], v4, off
.LBB945_11:
	s_nop 0
	s_sendmsg sendmsg(MSG_DEALLOC_VGPRS)
	s_endpgm
	.section	.rodata,"a",@progbits
	.p2align	6, 0x0
	.amdhsa_kernel _ZL37rocblas_syrkx_herkx_restricted_kernelIlfLi16ELi32ELi8ELin1ELi0ELb0ELc67ELc76EKffEviT_PT9_S1_lS3_S1_lPT10_S1_li
		.amdhsa_group_segment_fixed_size 2048
		.amdhsa_private_segment_fixed_size 0
		.amdhsa_kernarg_size 92
		.amdhsa_user_sgpr_count 13
		.amdhsa_user_sgpr_dispatch_ptr 0
		.amdhsa_user_sgpr_queue_ptr 0
		.amdhsa_user_sgpr_kernarg_segment_ptr 1
		.amdhsa_user_sgpr_dispatch_id 0
		.amdhsa_user_sgpr_private_segment_size 0
		.amdhsa_wavefront_size32 1
		.amdhsa_uses_dynamic_stack 0
		.amdhsa_enable_private_segment 0
		.amdhsa_system_sgpr_workgroup_id_x 1
		.amdhsa_system_sgpr_workgroup_id_y 1
		.amdhsa_system_sgpr_workgroup_id_z 1
		.amdhsa_system_sgpr_workgroup_info 0
		.amdhsa_system_vgpr_workitem_id 1
		.amdhsa_next_free_vgpr 46
		.amdhsa_next_free_sgpr 32
		.amdhsa_reserve_vcc 1
		.amdhsa_float_round_mode_32 0
		.amdhsa_float_round_mode_16_64 0
		.amdhsa_float_denorm_mode_32 3
		.amdhsa_float_denorm_mode_16_64 3
		.amdhsa_dx10_clamp 1
		.amdhsa_ieee_mode 1
		.amdhsa_fp16_overflow 0
		.amdhsa_workgroup_processor_mode 1
		.amdhsa_memory_ordered 1
		.amdhsa_forward_progress 0
		.amdhsa_shared_vgpr_count 0
		.amdhsa_exception_fp_ieee_invalid_op 0
		.amdhsa_exception_fp_denorm_src 0
		.amdhsa_exception_fp_ieee_div_zero 0
		.amdhsa_exception_fp_ieee_overflow 0
		.amdhsa_exception_fp_ieee_underflow 0
		.amdhsa_exception_fp_ieee_inexact 0
		.amdhsa_exception_int_div_zero 0
	.end_amdhsa_kernel
	.section	.text._ZL37rocblas_syrkx_herkx_restricted_kernelIlfLi16ELi32ELi8ELin1ELi0ELb0ELc67ELc76EKffEviT_PT9_S1_lS3_S1_lPT10_S1_li,"axG",@progbits,_ZL37rocblas_syrkx_herkx_restricted_kernelIlfLi16ELi32ELi8ELin1ELi0ELb0ELc67ELc76EKffEviT_PT9_S1_lS3_S1_lPT10_S1_li,comdat
.Lfunc_end945:
	.size	_ZL37rocblas_syrkx_herkx_restricted_kernelIlfLi16ELi32ELi8ELin1ELi0ELb0ELc67ELc76EKffEviT_PT9_S1_lS3_S1_lPT10_S1_li, .Lfunc_end945-_ZL37rocblas_syrkx_herkx_restricted_kernelIlfLi16ELi32ELi8ELin1ELi0ELb0ELc67ELc76EKffEviT_PT9_S1_lS3_S1_lPT10_S1_li
                                        ; -- End function
	.section	.AMDGPU.csdata,"",@progbits
; Kernel info:
; codeLenInByte = 1280
; NumSgprs: 34
; NumVgprs: 46
; ScratchSize: 0
; MemoryBound: 0
; FloatMode: 240
; IeeeMode: 1
; LDSByteSize: 2048 bytes/workgroup (compile time only)
; SGPRBlocks: 4
; VGPRBlocks: 5
; NumSGPRsForWavesPerEU: 34
; NumVGPRsForWavesPerEU: 46
; Occupancy: 16
; WaveLimiterHint : 1
; COMPUTE_PGM_RSRC2:SCRATCH_EN: 0
; COMPUTE_PGM_RSRC2:USER_SGPR: 13
; COMPUTE_PGM_RSRC2:TRAP_HANDLER: 0
; COMPUTE_PGM_RSRC2:TGID_X_EN: 1
; COMPUTE_PGM_RSRC2:TGID_Y_EN: 1
; COMPUTE_PGM_RSRC2:TGID_Z_EN: 1
; COMPUTE_PGM_RSRC2:TIDIG_COMP_CNT: 1
	.section	.text._ZL37rocblas_syrkx_herkx_restricted_kernelIlfLi16ELi32ELi8ELin1ELi0ELb0ELc78ELc76EKffEviT_PT9_S1_lS3_S1_lPT10_S1_li,"axG",@progbits,_ZL37rocblas_syrkx_herkx_restricted_kernelIlfLi16ELi32ELi8ELin1ELi0ELb0ELc78ELc76EKffEviT_PT9_S1_lS3_S1_lPT10_S1_li,comdat
	.globl	_ZL37rocblas_syrkx_herkx_restricted_kernelIlfLi16ELi32ELi8ELin1ELi0ELb0ELc78ELc76EKffEviT_PT9_S1_lS3_S1_lPT10_S1_li ; -- Begin function _ZL37rocblas_syrkx_herkx_restricted_kernelIlfLi16ELi32ELi8ELin1ELi0ELb0ELc78ELc76EKffEviT_PT9_S1_lS3_S1_lPT10_S1_li
	.p2align	8
	.type	_ZL37rocblas_syrkx_herkx_restricted_kernelIlfLi16ELi32ELi8ELin1ELi0ELb0ELc78ELc76EKffEviT_PT9_S1_lS3_S1_lPT10_S1_li,@function
_ZL37rocblas_syrkx_herkx_restricted_kernelIlfLi16ELi32ELi8ELin1ELi0ELb0ELc78ELc76EKffEviT_PT9_S1_lS3_S1_lPT10_S1_li: ; @_ZL37rocblas_syrkx_herkx_restricted_kernelIlfLi16ELi32ELi8ELin1ELi0ELb0ELc78ELc76EKffEviT_PT9_S1_lS3_S1_lPT10_S1_li
; %bb.0:
	s_load_b512 s[16:31], s[0:1], 0x8
	v_dual_mov_b32 v9, 0 :: v_dual_mov_b32 v8, 0
	v_dual_mov_b32 v7, 0 :: v_dual_mov_b32 v4, 0
	v_and_b32_e32 v5, 0x3ff, v0
	v_bfe_u32 v6, v0, 10, 10
	s_lshl_b32 s8, s13, 5
	s_lshl_b32 s9, s14, 5
	s_waitcnt lgkmcnt(0)
	v_cmp_lt_i64_e64 s2, s[16:17], 1
	s_delay_alu instid0(VALU_DEP_1)
	s_and_b32 vcc_lo, exec_lo, s2
	s_cbranch_vccnz .LBB946_3
; %bb.1:
	v_lshl_add_u32 v1, v6, 4, v5
	v_and_b32_e32 v15, 7, v5
	s_mul_i32 s3, s23, s15
	s_mul_hi_u32 s5, s22, s15
	s_mul_i32 s2, s22, s15
	v_and_b32_e32 v9, 31, v1
	v_lshrrev_b32_e32 v14, 3, v1
	v_lshrrev_b32_e32 v16, 5, v1
	s_add_i32 s3, s5, s3
	s_mul_i32 s6, s29, s15
	v_add_nc_u32_e32 v0, s8, v9
	v_add_nc_u32_e32 v2, s9, v14
	s_lshl_b64 s[2:3], s[2:3], 2
	s_mul_hi_u32 s7, s28, s15
	s_add_u32 s10, s18, s2
	v_ashrrev_i32_e32 v1, 31, v0
	v_ashrrev_i32_e32 v3, 31, v2
	s_mul_i32 s4, s28, s15
	s_addc_u32 s11, s19, s3
	s_add_i32 s5, s7, s6
	v_mad_u64_u32 v[7:8], null, v16, s20, v[0:1]
	v_mad_u64_u32 v[0:1], null, v15, s26, v[2:3]
	s_lshl_b64 s[4:5], s[4:5], 2
	s_lshl_b64 s[2:3], s[20:21], 5
	s_add_u32 s4, s24, s4
	s_addc_u32 s5, s25, s5
	s_delay_alu instid0(VALU_DEP_2) | instskip(SKIP_3) | instid1(VALU_DEP_3)
	v_mov_b32_e32 v2, v8
	v_lshlrev_b32_e32 v10, 2, v5
	v_lshl_add_u32 v11, v6, 5, 0x400
	s_mov_b64 s[6:7], 0
	v_mad_u64_u32 v[3:4], null, v16, s21, v[2:3]
	v_lshlrev_b32_e32 v4, 2, v9
	s_delay_alu instid0(VALU_DEP_2) | instskip(SKIP_2) | instid1(VALU_DEP_3)
	v_mov_b32_e32 v8, v3
	v_mad_u64_u32 v[12:13], null, v15, s27, v[1:2]
	v_lshlrev_b32_e32 v17, 2, v15
	v_lshlrev_b64 v[2:3], 2, v[7:8]
	s_delay_alu instid0(VALU_DEP_3) | instskip(SKIP_3) | instid1(VALU_DEP_4)
	v_mov_b32_e32 v1, v12
	v_lshl_or_b32 v12, v16, 7, v4
	v_mov_b32_e32 v4, 0
	v_lshl_or_b32 v9, v14, 5, v17
	v_lshlrev_b64 v[7:8], 2, v[0:1]
	v_add_co_u32 v0, vcc_lo, s10, v2
	v_add_co_ci_u32_e32 v1, vcc_lo, s11, v3, vcc_lo
	s_delay_alu instid0(VALU_DEP_4) | instskip(NEXT) | instid1(VALU_DEP_4)
	v_add_nc_u32_e32 v13, 0x400, v9
	v_add_co_u32 v2, vcc_lo, s4, v7
	v_add_co_ci_u32_e32 v3, vcc_lo, s5, v8, vcc_lo
	v_dual_mov_b32 v8, 0 :: v_dual_mov_b32 v7, 0
	v_mov_b32_e32 v9, 0
	s_lshl_b64 s[4:5], s[26:27], 5
.LBB946_2:                              ; =>This Inner Loop Header: Depth=1
	global_load_b32 v14, v[0:1], off
	global_load_b32 v15, v[2:3], off
	s_add_u32 s6, s6, 8
	v_add_co_u32 v0, vcc_lo, v0, s2
	s_addc_u32 s7, s7, 0
	v_add_co_ci_u32_e32 v1, vcc_lo, s3, v1, vcc_lo
	v_cmp_ge_u64_e64 s10, s[6:7], s[16:17]
	v_add_co_u32 v2, vcc_lo, v2, s4
	v_add_co_ci_u32_e32 v3, vcc_lo, s5, v3, vcc_lo
	s_waitcnt vmcnt(1)
	ds_store_b32 v12, v14
	s_waitcnt vmcnt(0)
	ds_store_b32 v13, v15
	s_waitcnt lgkmcnt(0)
	s_barrier
	buffer_gl0_inv
	ds_load_2addr_b32 v[30:31], v10 offset1:16
	ds_load_b128 v[14:17], v11
	ds_load_b128 v[18:21], v11 offset:512
	ds_load_2addr_b32 v[32:33], v10 offset0:32 offset1:48
	ds_load_2addr_b32 v[34:35], v10 offset0:64 offset1:80
	ds_load_b128 v[22:25], v11 offset:16
	ds_load_2addr_b32 v[36:37], v10 offset0:96 offset1:112
	ds_load_2addr_b32 v[38:39], v10 offset0:128 offset1:144
	;; [unrolled: 3-line block ×3, first 2 shown]
	ds_load_2addr_b32 v[44:45], v10 offset0:224 offset1:240
	s_and_b32 vcc_lo, exec_lo, s10
	s_waitcnt lgkmcnt(0)
	s_barrier
	buffer_gl0_inv
	v_fmac_f32_e32 v8, v31, v14
	v_fmac_f32_e32 v9, v30, v14
	;; [unrolled: 1-line block ×3, first 2 shown]
	s_delay_alu instid0(VALU_DEP_3) | instskip(NEXT) | instid1(VALU_DEP_3)
	v_dual_fmac_f32 v7, v30, v18 :: v_dual_fmac_f32 v8, v33, v15
	v_fmac_f32_e32 v9, v32, v15
	s_delay_alu instid0(VALU_DEP_3) | instskip(NEXT) | instid1(VALU_DEP_3)
	v_fmac_f32_e32 v4, v33, v19
	v_dual_fmac_f32 v7, v32, v19 :: v_dual_fmac_f32 v8, v35, v16
	s_delay_alu instid0(VALU_DEP_3) | instskip(NEXT) | instid1(VALU_DEP_3)
	v_fmac_f32_e32 v9, v34, v16
	v_fmac_f32_e32 v4, v35, v20
	s_delay_alu instid0(VALU_DEP_3) | instskip(NEXT) | instid1(VALU_DEP_3)
	v_dual_fmac_f32 v7, v34, v20 :: v_dual_fmac_f32 v8, v37, v17
	v_fmac_f32_e32 v9, v36, v17
	s_delay_alu instid0(VALU_DEP_3) | instskip(NEXT) | instid1(VALU_DEP_3)
	v_fmac_f32_e32 v4, v37, v21
	v_dual_fmac_f32 v7, v36, v21 :: v_dual_fmac_f32 v8, v39, v22
	s_delay_alu instid0(VALU_DEP_3) | instskip(NEXT) | instid1(VALU_DEP_3)
	v_fmac_f32_e32 v9, v38, v22
	v_fmac_f32_e32 v4, v39, v26
	;; [unrolled: 9-line block ×3, first 2 shown]
	s_delay_alu instid0(VALU_DEP_3) | instskip(NEXT) | instid1(VALU_DEP_3)
	v_dual_fmac_f32 v7, v42, v28 :: v_dual_fmac_f32 v8, v45, v25
	v_fmac_f32_e32 v9, v44, v25
	s_delay_alu instid0(VALU_DEP_3) | instskip(NEXT) | instid1(VALU_DEP_3)
	v_fmac_f32_e32 v4, v45, v29
	v_fmac_f32_e32 v7, v44, v29
	s_cbranch_vccz .LBB946_2
.LBB946_3:
	s_load_b128 s[4:7], s[0:1], 0x48
	v_add_nc_u32_e32 v6, s9, v6
	s_load_b32 s9, s[0:1], 0x0
	s_delay_alu instid0(VALU_DEP_1) | instskip(SKIP_1) | instid1(VALU_DEP_1)
	v_ashrrev_i32_e32 v0, 31, v6
	s_waitcnt lgkmcnt(0)
	v_mul_lo_u32 v3, v0, s4
	v_mul_lo_u32 v10, v6, s5
	v_mad_u64_u32 v[1:2], null, v6, s4, 0
	s_mul_i32 s1, s15, s7
	s_mul_hi_u32 s3, s15, s6
	s_mul_i32 s2, s15, s6
	s_add_i32 s3, s3, s1
	v_add_nc_u32_e32 v0, s8, v5
	s_lshl_b64 s[2:3], s[2:3], 2
	s_delay_alu instid0(VALU_DEP_2)
	v_add3_u32 v2, v2, v10, v3
	s_add_u32 s2, s30, s2
	s_addc_u32 s3, s31, s3
	v_cmp_le_i32_e64 s0, v6, v0
	v_cmp_gt_i32_e32 vcc_lo, s9, v0
	v_lshlrev_b64 v[1:2], 2, v[1:2]
	s_delay_alu instid0(VALU_DEP_3) | instskip(NEXT) | instid1(VALU_DEP_1)
	s_and_b32 s0, s0, vcc_lo
	v_add_co_u32 v5, s1, s2, v1
	s_delay_alu instid0(VALU_DEP_1)
	v_add_co_ci_u32_e64 v10, s1, s3, v2, s1
	s_and_saveexec_b32 s1, s0
	s_cbranch_execz .LBB946_5
; %bb.4:
	v_ashrrev_i32_e32 v1, 31, v0
	v_xor_b32_e32 v3, 0x80000000, v9
	s_delay_alu instid0(VALU_DEP_2) | instskip(NEXT) | instid1(VALU_DEP_1)
	v_lshlrev_b64 v[1:2], 2, v[0:1]
	v_add_co_u32 v1, s0, v5, v1
	s_delay_alu instid0(VALU_DEP_1)
	v_add_co_ci_u32_e64 v2, s0, v10, v2, s0
	global_store_b32 v[1:2], v3, off
.LBB946_5:
	s_or_b32 exec_lo, exec_lo, s1
	v_add_nc_u32_e32 v2, 16, v0
	s_delay_alu instid0(VALU_DEP_1) | instskip(SKIP_1) | instid1(VALU_DEP_1)
	v_cmp_le_i32_e64 s1, v6, v2
	v_cmp_gt_i32_e64 s0, s9, v2
	s_and_b32 s1, s1, s0
	s_delay_alu instid0(SALU_CYCLE_1)
	s_and_saveexec_b32 s6, s1
	s_cbranch_execz .LBB946_7
; %bb.6:
	v_ashrrev_i32_e32 v3, 31, v2
	v_xor_b32_e32 v1, 0x80000000, v8
	s_delay_alu instid0(VALU_DEP_2) | instskip(NEXT) | instid1(VALU_DEP_1)
	v_lshlrev_b64 v[11:12], 2, v[2:3]
	v_add_co_u32 v8, s1, v5, v11
	s_delay_alu instid0(VALU_DEP_1)
	v_add_co_ci_u32_e64 v9, s1, v10, v12, s1
	global_store_b32 v[8:9], v1, off
.LBB946_7:
	s_or_b32 exec_lo, exec_lo, s6
	v_add_nc_u32_e32 v3, 16, v6
	s_delay_alu instid0(VALU_DEP_1) | instskip(SKIP_3) | instid1(VALU_DEP_4)
	v_ashrrev_i32_e32 v1, 31, v3
	v_mul_lo_u32 v8, v3, s5
	v_mad_u64_u32 v[5:6], null, v3, s4, 0
	v_cmp_le_i32_e64 s1, v3, v0
	v_mul_lo_u32 v1, v1, s4
	s_delay_alu instid0(VALU_DEP_1) | instskip(NEXT) | instid1(VALU_DEP_1)
	v_add3_u32 v6, v6, v8, v1
	v_lshlrev_b64 v[5:6], 2, v[5:6]
	s_delay_alu instid0(VALU_DEP_1) | instskip(NEXT) | instid1(VALU_DEP_1)
	v_add_co_u32 v5, s2, s2, v5
	v_add_co_ci_u32_e64 v6, s2, s3, v6, s2
	s_and_b32 s2, s1, vcc_lo
	s_delay_alu instid0(SALU_CYCLE_1)
	s_and_saveexec_b32 s1, s2
	s_cbranch_execz .LBB946_9
; %bb.8:
	v_ashrrev_i32_e32 v1, 31, v0
	v_xor_b32_e32 v7, 0x80000000, v7
	s_delay_alu instid0(VALU_DEP_2) | instskip(NEXT) | instid1(VALU_DEP_1)
	v_lshlrev_b64 v[0:1], 2, v[0:1]
	v_add_co_u32 v0, vcc_lo, v5, v0
	s_delay_alu instid0(VALU_DEP_2)
	v_add_co_ci_u32_e32 v1, vcc_lo, v6, v1, vcc_lo
	global_store_b32 v[0:1], v7, off
.LBB946_9:
	s_or_b32 exec_lo, exec_lo, s1
	v_cmp_le_i32_e32 vcc_lo, v3, v2
	s_and_b32 s0, vcc_lo, s0
	s_delay_alu instid0(SALU_CYCLE_1)
	s_and_saveexec_b32 s1, s0
	s_cbranch_execz .LBB946_11
; %bb.10:
	v_ashrrev_i32_e32 v3, 31, v2
	s_delay_alu instid0(VALU_DEP_1) | instskip(SKIP_1) | instid1(VALU_DEP_2)
	v_lshlrev_b64 v[0:1], 2, v[2:3]
	v_xor_b32_e32 v2, 0x80000000, v4
	v_add_co_u32 v0, vcc_lo, v5, v0
	s_delay_alu instid0(VALU_DEP_3)
	v_add_co_ci_u32_e32 v1, vcc_lo, v6, v1, vcc_lo
	global_store_b32 v[0:1], v2, off
.LBB946_11:
	s_nop 0
	s_sendmsg sendmsg(MSG_DEALLOC_VGPRS)
	s_endpgm
	.section	.rodata,"a",@progbits
	.p2align	6, 0x0
	.amdhsa_kernel _ZL37rocblas_syrkx_herkx_restricted_kernelIlfLi16ELi32ELi8ELin1ELi0ELb0ELc78ELc76EKffEviT_PT9_S1_lS3_S1_lPT10_S1_li
		.amdhsa_group_segment_fixed_size 2048
		.amdhsa_private_segment_fixed_size 0
		.amdhsa_kernarg_size 92
		.amdhsa_user_sgpr_count 13
		.amdhsa_user_sgpr_dispatch_ptr 0
		.amdhsa_user_sgpr_queue_ptr 0
		.amdhsa_user_sgpr_kernarg_segment_ptr 1
		.amdhsa_user_sgpr_dispatch_id 0
		.amdhsa_user_sgpr_private_segment_size 0
		.amdhsa_wavefront_size32 1
		.amdhsa_uses_dynamic_stack 0
		.amdhsa_enable_private_segment 0
		.amdhsa_system_sgpr_workgroup_id_x 1
		.amdhsa_system_sgpr_workgroup_id_y 1
		.amdhsa_system_sgpr_workgroup_id_z 1
		.amdhsa_system_sgpr_workgroup_info 0
		.amdhsa_system_vgpr_workitem_id 1
		.amdhsa_next_free_vgpr 46
		.amdhsa_next_free_sgpr 32
		.amdhsa_reserve_vcc 1
		.amdhsa_float_round_mode_32 0
		.amdhsa_float_round_mode_16_64 0
		.amdhsa_float_denorm_mode_32 3
		.amdhsa_float_denorm_mode_16_64 3
		.amdhsa_dx10_clamp 1
		.amdhsa_ieee_mode 1
		.amdhsa_fp16_overflow 0
		.amdhsa_workgroup_processor_mode 1
		.amdhsa_memory_ordered 1
		.amdhsa_forward_progress 0
		.amdhsa_shared_vgpr_count 0
		.amdhsa_exception_fp_ieee_invalid_op 0
		.amdhsa_exception_fp_denorm_src 0
		.amdhsa_exception_fp_ieee_div_zero 0
		.amdhsa_exception_fp_ieee_overflow 0
		.amdhsa_exception_fp_ieee_underflow 0
		.amdhsa_exception_fp_ieee_inexact 0
		.amdhsa_exception_int_div_zero 0
	.end_amdhsa_kernel
	.section	.text._ZL37rocblas_syrkx_herkx_restricted_kernelIlfLi16ELi32ELi8ELin1ELi0ELb0ELc78ELc76EKffEviT_PT9_S1_lS3_S1_lPT10_S1_li,"axG",@progbits,_ZL37rocblas_syrkx_herkx_restricted_kernelIlfLi16ELi32ELi8ELin1ELi0ELb0ELc78ELc76EKffEviT_PT9_S1_lS3_S1_lPT10_S1_li,comdat
.Lfunc_end946:
	.size	_ZL37rocblas_syrkx_herkx_restricted_kernelIlfLi16ELi32ELi8ELin1ELi0ELb0ELc78ELc76EKffEviT_PT9_S1_lS3_S1_lPT10_S1_li, .Lfunc_end946-_ZL37rocblas_syrkx_herkx_restricted_kernelIlfLi16ELi32ELi8ELin1ELi0ELb0ELc78ELc76EKffEviT_PT9_S1_lS3_S1_lPT10_S1_li
                                        ; -- End function
	.section	.AMDGPU.csdata,"",@progbits
; Kernel info:
; codeLenInByte = 1272
; NumSgprs: 34
; NumVgprs: 46
; ScratchSize: 0
; MemoryBound: 0
; FloatMode: 240
; IeeeMode: 1
; LDSByteSize: 2048 bytes/workgroup (compile time only)
; SGPRBlocks: 4
; VGPRBlocks: 5
; NumSGPRsForWavesPerEU: 34
; NumVGPRsForWavesPerEU: 46
; Occupancy: 16
; WaveLimiterHint : 1
; COMPUTE_PGM_RSRC2:SCRATCH_EN: 0
; COMPUTE_PGM_RSRC2:USER_SGPR: 13
; COMPUTE_PGM_RSRC2:TRAP_HANDLER: 0
; COMPUTE_PGM_RSRC2:TGID_X_EN: 1
; COMPUTE_PGM_RSRC2:TGID_Y_EN: 1
; COMPUTE_PGM_RSRC2:TGID_Z_EN: 1
; COMPUTE_PGM_RSRC2:TIDIG_COMP_CNT: 1
	.section	.text._ZL37rocblas_syrkx_herkx_restricted_kernelIlfLi16ELi32ELi8ELin1ELi0ELb0ELc84ELc85EKffEviT_PT9_S1_lS3_S1_lPT10_S1_li,"axG",@progbits,_ZL37rocblas_syrkx_herkx_restricted_kernelIlfLi16ELi32ELi8ELin1ELi0ELb0ELc84ELc85EKffEviT_PT9_S1_lS3_S1_lPT10_S1_li,comdat
	.globl	_ZL37rocblas_syrkx_herkx_restricted_kernelIlfLi16ELi32ELi8ELin1ELi0ELb0ELc84ELc85EKffEviT_PT9_S1_lS3_S1_lPT10_S1_li ; -- Begin function _ZL37rocblas_syrkx_herkx_restricted_kernelIlfLi16ELi32ELi8ELin1ELi0ELb0ELc84ELc85EKffEviT_PT9_S1_lS3_S1_lPT10_S1_li
	.p2align	8
	.type	_ZL37rocblas_syrkx_herkx_restricted_kernelIlfLi16ELi32ELi8ELin1ELi0ELb0ELc84ELc85EKffEviT_PT9_S1_lS3_S1_lPT10_S1_li,@function
_ZL37rocblas_syrkx_herkx_restricted_kernelIlfLi16ELi32ELi8ELin1ELi0ELb0ELc84ELc85EKffEviT_PT9_S1_lS3_S1_lPT10_S1_li: ; @_ZL37rocblas_syrkx_herkx_restricted_kernelIlfLi16ELi32ELi8ELin1ELi0ELb0ELc84ELc85EKffEviT_PT9_S1_lS3_S1_lPT10_S1_li
; %bb.0:
	s_load_b512 s[16:31], s[0:1], 0x8
	v_dual_mov_b32 v10, 0 :: v_dual_mov_b32 v9, 0
	v_dual_mov_b32 v6, 0 :: v_dual_and_b32 v7, 0x3ff, v0
	v_bfe_u32 v8, v0, 10, 10
	v_mov_b32_e32 v1, 0
	s_lshl_b32 s8, s13, 5
	s_lshl_b32 s9, s14, 5
	s_waitcnt lgkmcnt(0)
	v_cmp_lt_i64_e64 s2, s[16:17], 1
	s_delay_alu instid0(VALU_DEP_1)
	s_and_b32 vcc_lo, exec_lo, s2
	s_cbranch_vccnz .LBB947_3
; %bb.1:
	v_lshl_add_u32 v2, v8, 4, v7
	v_dual_mov_b32 v1, 0 :: v_dual_and_b32 v0, 7, v7
	s_mul_i32 s3, s23, s15
	s_mul_hi_u32 s4, s22, s15
	s_delay_alu instid0(VALU_DEP_2)
	v_and_b32_e32 v6, 31, v2
	v_lshrrev_b32_e32 v12, 3, v2
	v_mov_b32_e32 v3, v1
	v_lshrrev_b32_e32 v2, 5, v2
	v_lshlrev_b32_e32 v14, 2, v0
	v_add_nc_u32_e32 v9, s8, v6
	v_add_nc_u32_e32 v13, s9, v12
	s_mul_i32 s2, s22, s15
	s_add_i32 s3, s4, s3
	s_mul_hi_u32 s5, s28, s15
	v_ashrrev_i32_e32 v10, 31, v9
	v_ashrrev_i32_e32 v15, 31, v13
	v_mad_u64_u32 v[4:5], null, s20, v9, v[2:3]
	v_mul_lo_u32 v3, s21, v9
	s_delay_alu instid0(VALU_DEP_4)
	v_mul_lo_u32 v16, s20, v10
	v_mul_lo_u32 v17, v13, s27
	v_mad_u64_u32 v[9:10], null, v13, s26, v[0:1]
	v_mul_lo_u32 v13, v15, s26
	v_lshlrev_b32_e32 v0, 2, v6
	s_lshl_b64 s[2:3], s[2:3], 2
	v_lshlrev_b32_e32 v11, 2, v7
	v_add3_u32 v5, v3, v5, v16
	s_add_u32 s4, s18, s2
	v_lshl_or_b32 v0, v2, 7, v0
	s_mul_i32 s2, s29, s15
	v_add3_u32 v10, v13, v10, v17
	v_lshlrev_b64 v[2:3], 2, v[4:5]
	s_addc_u32 s6, s19, s3
	s_add_i32 s3, s5, s2
	s_mul_i32 s2, s28, s15
	v_lshlrev_b64 v[4:5], 2, v[9:10]
	s_lshl_b64 s[2:3], s[2:3], 2
	v_add_co_u32 v2, vcc_lo, s4, v2
	v_mov_b32_e32 v9, v1
	v_lshl_or_b32 v6, v12, 5, v14
	s_add_u32 s2, s24, s2
	v_add_co_ci_u32_e32 v3, vcc_lo, s6, v3, vcc_lo
	s_addc_u32 s3, s25, s3
	v_add_co_u32 v4, vcc_lo, s2, v4
	v_add_nc_u32_e32 v12, 0x400, v6
	v_mov_b32_e32 v6, v1
	v_lshl_add_u32 v13, v8, 5, 0x400
	v_add_co_ci_u32_e32 v5, vcc_lo, s3, v5, vcc_lo
	v_mov_b32_e32 v10, v1
	s_mov_b64 s[2:3], 0
.LBB947_2:                              ; =>This Inner Loop Header: Depth=1
	global_load_b32 v14, v[2:3], off
	global_load_b32 v15, v[4:5], off
	s_add_u32 s2, s2, 8
	v_add_co_u32 v2, vcc_lo, v2, 32
	s_addc_u32 s3, s3, 0
	v_add_co_ci_u32_e32 v3, vcc_lo, 0, v3, vcc_lo
	v_cmp_ge_u64_e64 s4, s[2:3], s[16:17]
	v_add_co_u32 v4, vcc_lo, v4, 32
	v_add_co_ci_u32_e32 v5, vcc_lo, 0, v5, vcc_lo
	s_waitcnt vmcnt(1)
	ds_store_b32 v0, v14
	s_waitcnt vmcnt(0)
	ds_store_b32 v12, v15
	s_waitcnt lgkmcnt(0)
	s_barrier
	buffer_gl0_inv
	ds_load_2addr_b32 v[30:31], v11 offset1:16
	ds_load_b128 v[14:17], v13
	ds_load_b128 v[18:21], v13 offset:512
	ds_load_2addr_b32 v[32:33], v11 offset0:32 offset1:48
	ds_load_2addr_b32 v[34:35], v11 offset0:64 offset1:80
	ds_load_b128 v[22:25], v13 offset:16
	ds_load_2addr_b32 v[36:37], v11 offset0:96 offset1:112
	ds_load_2addr_b32 v[38:39], v11 offset0:128 offset1:144
	ds_load_b128 v[26:29], v13 offset:528
	ds_load_2addr_b32 v[40:41], v11 offset0:160 offset1:176
	ds_load_2addr_b32 v[42:43], v11 offset0:192 offset1:208
	ds_load_2addr_b32 v[44:45], v11 offset0:224 offset1:240
	s_and_b32 vcc_lo, exec_lo, s4
	s_waitcnt lgkmcnt(0)
	s_barrier
	buffer_gl0_inv
	v_fmac_f32_e32 v9, v31, v14
	v_fmac_f32_e32 v10, v30, v14
	;; [unrolled: 1-line block ×3, first 2 shown]
	s_delay_alu instid0(VALU_DEP_3) | instskip(NEXT) | instid1(VALU_DEP_3)
	v_dual_fmac_f32 v6, v30, v18 :: v_dual_fmac_f32 v9, v33, v15
	v_fmac_f32_e32 v10, v32, v15
	s_delay_alu instid0(VALU_DEP_3) | instskip(NEXT) | instid1(VALU_DEP_3)
	v_fmac_f32_e32 v1, v33, v19
	v_dual_fmac_f32 v6, v32, v19 :: v_dual_fmac_f32 v9, v35, v16
	s_delay_alu instid0(VALU_DEP_3) | instskip(NEXT) | instid1(VALU_DEP_3)
	v_fmac_f32_e32 v10, v34, v16
	v_fmac_f32_e32 v1, v35, v20
	s_delay_alu instid0(VALU_DEP_3) | instskip(NEXT) | instid1(VALU_DEP_3)
	v_dual_fmac_f32 v6, v34, v20 :: v_dual_fmac_f32 v9, v37, v17
	v_fmac_f32_e32 v10, v36, v17
	s_delay_alu instid0(VALU_DEP_3) | instskip(NEXT) | instid1(VALU_DEP_3)
	v_fmac_f32_e32 v1, v37, v21
	v_dual_fmac_f32 v6, v36, v21 :: v_dual_fmac_f32 v9, v39, v22
	s_delay_alu instid0(VALU_DEP_3) | instskip(NEXT) | instid1(VALU_DEP_3)
	v_fmac_f32_e32 v10, v38, v22
	v_fmac_f32_e32 v1, v39, v26
	;; [unrolled: 9-line block ×3, first 2 shown]
	s_delay_alu instid0(VALU_DEP_3) | instskip(NEXT) | instid1(VALU_DEP_3)
	v_dual_fmac_f32 v6, v42, v28 :: v_dual_fmac_f32 v9, v45, v25
	v_fmac_f32_e32 v10, v44, v25
	s_delay_alu instid0(VALU_DEP_3) | instskip(NEXT) | instid1(VALU_DEP_3)
	v_fmac_f32_e32 v1, v45, v29
	v_fmac_f32_e32 v6, v44, v29
	s_cbranch_vccz .LBB947_2
.LBB947_3:
	s_clause 0x1
	s_load_b128 s[4:7], s[0:1], 0x48
	s_load_b32 s2, s[0:1], 0x0
	v_add_nc_u32_e32 v0, s9, v8
	s_delay_alu instid0(VALU_DEP_1) | instskip(SKIP_1) | instid1(VALU_DEP_1)
	v_ashrrev_i32_e32 v2, 31, v0
	s_waitcnt lgkmcnt(0)
	v_mul_lo_u32 v5, v2, s4
	v_mul_lo_u32 v8, v0, s5
	v_mad_u64_u32 v[3:4], null, v0, s4, 0
	s_mul_i32 s1, s15, s7
	s_mul_hi_u32 s3, s15, s6
	s_mul_i32 s6, s15, s6
	s_add_i32 s7, s3, s1
	v_add_nc_u32_e32 v2, s8, v7
	s_lshl_b64 s[6:7], s[6:7], 2
	s_delay_alu instid0(VALU_DEP_2)
	v_add3_u32 v4, v4, v8, v5
	s_add_u32 s3, s30, s6
	v_cmp_gt_i32_e32 vcc_lo, s2, v0
	v_cmp_le_i32_e64 s0, v2, v0
	s_addc_u32 s6, s31, s7
	v_lshlrev_b64 v[3:4], 2, v[3:4]
	s_delay_alu instid0(VALU_DEP_2) | instskip(NEXT) | instid1(VALU_DEP_1)
	s_and_b32 s0, vcc_lo, s0
	v_add_co_u32 v7, s1, s3, v3
	s_delay_alu instid0(VALU_DEP_1)
	v_add_co_ci_u32_e64 v8, s1, s6, v4, s1
	s_and_saveexec_b32 s1, s0
	s_cbranch_execz .LBB947_5
; %bb.4:
	v_ashrrev_i32_e32 v3, 31, v2
	v_xor_b32_e32 v5, 0x80000000, v10
	s_delay_alu instid0(VALU_DEP_2) | instskip(NEXT) | instid1(VALU_DEP_1)
	v_lshlrev_b64 v[3:4], 2, v[2:3]
	v_add_co_u32 v3, s0, v7, v3
	s_delay_alu instid0(VALU_DEP_1)
	v_add_co_ci_u32_e64 v4, s0, v8, v4, s0
	global_store_b32 v[3:4], v5, off
.LBB947_5:
	s_or_b32 exec_lo, exec_lo, s1
	v_add_nc_u32_e32 v4, 16, v2
	s_delay_alu instid0(VALU_DEP_1) | instskip(NEXT) | instid1(VALU_DEP_1)
	v_cmp_le_i32_e64 s0, v4, v0
	s_and_b32 s1, vcc_lo, s0
	s_delay_alu instid0(SALU_CYCLE_1)
	s_and_saveexec_b32 s0, s1
	s_cbranch_execz .LBB947_7
; %bb.6:
	v_ashrrev_i32_e32 v5, 31, v4
	v_xor_b32_e32 v3, 0x80000000, v9
	s_delay_alu instid0(VALU_DEP_2) | instskip(NEXT) | instid1(VALU_DEP_1)
	v_lshlrev_b64 v[10:11], 2, v[4:5]
	v_add_co_u32 v7, vcc_lo, v7, v10
	s_delay_alu instid0(VALU_DEP_2)
	v_add_co_ci_u32_e32 v8, vcc_lo, v8, v11, vcc_lo
	global_store_b32 v[7:8], v3, off
.LBB947_7:
	s_or_b32 exec_lo, exec_lo, s0
	v_add_nc_u32_e32 v0, 16, v0
	s_delay_alu instid0(VALU_DEP_1) | instskip(SKIP_3) | instid1(VALU_DEP_4)
	v_ashrrev_i32_e32 v3, 31, v0
	v_mul_lo_u32 v5, v0, s5
	v_mad_u64_u32 v[7:8], null, v0, s4, 0
	v_cmp_gt_i32_e32 vcc_lo, s2, v0
	v_mul_lo_u32 v3, v3, s4
	v_cmp_le_i32_e64 s0, v2, v0
	s_delay_alu instid0(VALU_DEP_1) | instskip(NEXT) | instid1(VALU_DEP_2)
	s_and_b32 s0, vcc_lo, s0
	v_add3_u32 v8, v8, v5, v3
	s_delay_alu instid0(VALU_DEP_1) | instskip(NEXT) | instid1(VALU_DEP_1)
	v_lshlrev_b64 v[7:8], 2, v[7:8]
	v_add_co_u32 v7, s1, s3, v7
	s_delay_alu instid0(VALU_DEP_1)
	v_add_co_ci_u32_e64 v8, s1, s6, v8, s1
	s_and_saveexec_b32 s1, s0
	s_cbranch_execz .LBB947_9
; %bb.8:
	v_ashrrev_i32_e32 v3, 31, v2
	v_xor_b32_e32 v5, 0x80000000, v6
	s_delay_alu instid0(VALU_DEP_2) | instskip(NEXT) | instid1(VALU_DEP_1)
	v_lshlrev_b64 v[2:3], 2, v[2:3]
	v_add_co_u32 v2, s0, v7, v2
	s_delay_alu instid0(VALU_DEP_1)
	v_add_co_ci_u32_e64 v3, s0, v8, v3, s0
	global_store_b32 v[2:3], v5, off
.LBB947_9:
	s_or_b32 exec_lo, exec_lo, s1
	v_cmp_le_i32_e64 s0, v4, v0
	s_delay_alu instid0(VALU_DEP_1) | instskip(NEXT) | instid1(SALU_CYCLE_1)
	s_and_b32 s0, vcc_lo, s0
	s_and_saveexec_b32 s1, s0
	s_cbranch_execz .LBB947_11
; %bb.10:
	v_ashrrev_i32_e32 v5, 31, v4
	s_delay_alu instid0(VALU_DEP_1) | instskip(SKIP_1) | instid1(VALU_DEP_2)
	v_lshlrev_b64 v[2:3], 2, v[4:5]
	v_xor_b32_e32 v4, 0x80000000, v1
	v_add_co_u32 v0, vcc_lo, v7, v2
	s_delay_alu instid0(VALU_DEP_3)
	v_add_co_ci_u32_e32 v1, vcc_lo, v8, v3, vcc_lo
	global_store_b32 v[0:1], v4, off
.LBB947_11:
	s_nop 0
	s_sendmsg sendmsg(MSG_DEALLOC_VGPRS)
	s_endpgm
	.section	.rodata,"a",@progbits
	.p2align	6, 0x0
	.amdhsa_kernel _ZL37rocblas_syrkx_herkx_restricted_kernelIlfLi16ELi32ELi8ELin1ELi0ELb0ELc84ELc85EKffEviT_PT9_S1_lS3_S1_lPT10_S1_li
		.amdhsa_group_segment_fixed_size 2048
		.amdhsa_private_segment_fixed_size 0
		.amdhsa_kernarg_size 92
		.amdhsa_user_sgpr_count 13
		.amdhsa_user_sgpr_dispatch_ptr 0
		.amdhsa_user_sgpr_queue_ptr 0
		.amdhsa_user_sgpr_kernarg_segment_ptr 1
		.amdhsa_user_sgpr_dispatch_id 0
		.amdhsa_user_sgpr_private_segment_size 0
		.amdhsa_wavefront_size32 1
		.amdhsa_uses_dynamic_stack 0
		.amdhsa_enable_private_segment 0
		.amdhsa_system_sgpr_workgroup_id_x 1
		.amdhsa_system_sgpr_workgroup_id_y 1
		.amdhsa_system_sgpr_workgroup_id_z 1
		.amdhsa_system_sgpr_workgroup_info 0
		.amdhsa_system_vgpr_workitem_id 1
		.amdhsa_next_free_vgpr 46
		.amdhsa_next_free_sgpr 32
		.amdhsa_reserve_vcc 1
		.amdhsa_float_round_mode_32 0
		.amdhsa_float_round_mode_16_64 0
		.amdhsa_float_denorm_mode_32 3
		.amdhsa_float_denorm_mode_16_64 3
		.amdhsa_dx10_clamp 1
		.amdhsa_ieee_mode 1
		.amdhsa_fp16_overflow 0
		.amdhsa_workgroup_processor_mode 1
		.amdhsa_memory_ordered 1
		.amdhsa_forward_progress 0
		.amdhsa_shared_vgpr_count 0
		.amdhsa_exception_fp_ieee_invalid_op 0
		.amdhsa_exception_fp_denorm_src 0
		.amdhsa_exception_fp_ieee_div_zero 0
		.amdhsa_exception_fp_ieee_overflow 0
		.amdhsa_exception_fp_ieee_underflow 0
		.amdhsa_exception_fp_ieee_inexact 0
		.amdhsa_exception_int_div_zero 0
	.end_amdhsa_kernel
	.section	.text._ZL37rocblas_syrkx_herkx_restricted_kernelIlfLi16ELi32ELi8ELin1ELi0ELb0ELc84ELc85EKffEviT_PT9_S1_lS3_S1_lPT10_S1_li,"axG",@progbits,_ZL37rocblas_syrkx_herkx_restricted_kernelIlfLi16ELi32ELi8ELin1ELi0ELb0ELc84ELc85EKffEviT_PT9_S1_lS3_S1_lPT10_S1_li,comdat
.Lfunc_end947:
	.size	_ZL37rocblas_syrkx_herkx_restricted_kernelIlfLi16ELi32ELi8ELin1ELi0ELb0ELc84ELc85EKffEviT_PT9_S1_lS3_S1_lPT10_S1_li, .Lfunc_end947-_ZL37rocblas_syrkx_herkx_restricted_kernelIlfLi16ELi32ELi8ELin1ELi0ELb0ELc84ELc85EKffEviT_PT9_S1_lS3_S1_lPT10_S1_li
                                        ; -- End function
	.section	.AMDGPU.csdata,"",@progbits
; Kernel info:
; codeLenInByte = 1284
; NumSgprs: 34
; NumVgprs: 46
; ScratchSize: 0
; MemoryBound: 0
; FloatMode: 240
; IeeeMode: 1
; LDSByteSize: 2048 bytes/workgroup (compile time only)
; SGPRBlocks: 4
; VGPRBlocks: 5
; NumSGPRsForWavesPerEU: 34
; NumVGPRsForWavesPerEU: 46
; Occupancy: 16
; WaveLimiterHint : 1
; COMPUTE_PGM_RSRC2:SCRATCH_EN: 0
; COMPUTE_PGM_RSRC2:USER_SGPR: 13
; COMPUTE_PGM_RSRC2:TRAP_HANDLER: 0
; COMPUTE_PGM_RSRC2:TGID_X_EN: 1
; COMPUTE_PGM_RSRC2:TGID_Y_EN: 1
; COMPUTE_PGM_RSRC2:TGID_Z_EN: 1
; COMPUTE_PGM_RSRC2:TIDIG_COMP_CNT: 1
	.section	.text._ZL37rocblas_syrkx_herkx_restricted_kernelIlfLi16ELi32ELi8ELin1ELi0ELb0ELc67ELc85EKffEviT_PT9_S1_lS3_S1_lPT10_S1_li,"axG",@progbits,_ZL37rocblas_syrkx_herkx_restricted_kernelIlfLi16ELi32ELi8ELin1ELi0ELb0ELc67ELc85EKffEviT_PT9_S1_lS3_S1_lPT10_S1_li,comdat
	.globl	_ZL37rocblas_syrkx_herkx_restricted_kernelIlfLi16ELi32ELi8ELin1ELi0ELb0ELc67ELc85EKffEviT_PT9_S1_lS3_S1_lPT10_S1_li ; -- Begin function _ZL37rocblas_syrkx_herkx_restricted_kernelIlfLi16ELi32ELi8ELin1ELi0ELb0ELc67ELc85EKffEviT_PT9_S1_lS3_S1_lPT10_S1_li
	.p2align	8
	.type	_ZL37rocblas_syrkx_herkx_restricted_kernelIlfLi16ELi32ELi8ELin1ELi0ELb0ELc67ELc85EKffEviT_PT9_S1_lS3_S1_lPT10_S1_li,@function
_ZL37rocblas_syrkx_herkx_restricted_kernelIlfLi16ELi32ELi8ELin1ELi0ELb0ELc67ELc85EKffEviT_PT9_S1_lS3_S1_lPT10_S1_li: ; @_ZL37rocblas_syrkx_herkx_restricted_kernelIlfLi16ELi32ELi8ELin1ELi0ELb0ELc67ELc85EKffEviT_PT9_S1_lS3_S1_lPT10_S1_li
; %bb.0:
	s_load_b512 s[16:31], s[0:1], 0x8
	v_dual_mov_b32 v10, 0 :: v_dual_mov_b32 v9, 0
	v_dual_mov_b32 v6, 0 :: v_dual_and_b32 v7, 0x3ff, v0
	v_bfe_u32 v8, v0, 10, 10
	v_mov_b32_e32 v1, 0
	s_lshl_b32 s8, s13, 5
	s_lshl_b32 s9, s14, 5
	s_waitcnt lgkmcnt(0)
	v_cmp_lt_i64_e64 s2, s[16:17], 1
	s_delay_alu instid0(VALU_DEP_1)
	s_and_b32 vcc_lo, exec_lo, s2
	s_cbranch_vccnz .LBB948_3
; %bb.1:
	v_lshl_add_u32 v2, v8, 4, v7
	v_dual_mov_b32 v1, 0 :: v_dual_and_b32 v0, 7, v7
	s_mul_i32 s3, s23, s15
	s_mul_hi_u32 s4, s22, s15
	s_delay_alu instid0(VALU_DEP_2)
	v_and_b32_e32 v6, 31, v2
	v_lshrrev_b32_e32 v12, 3, v2
	v_mov_b32_e32 v3, v1
	v_lshrrev_b32_e32 v2, 5, v2
	v_lshlrev_b32_e32 v14, 2, v0
	v_add_nc_u32_e32 v9, s8, v6
	v_add_nc_u32_e32 v13, s9, v12
	s_mul_i32 s2, s22, s15
	s_add_i32 s3, s4, s3
	s_mul_hi_u32 s5, s28, s15
	v_ashrrev_i32_e32 v10, 31, v9
	v_ashrrev_i32_e32 v15, 31, v13
	v_mad_u64_u32 v[4:5], null, s20, v9, v[2:3]
	v_mul_lo_u32 v3, s21, v9
	s_delay_alu instid0(VALU_DEP_4)
	v_mul_lo_u32 v16, s20, v10
	v_mul_lo_u32 v17, v13, s27
	v_mad_u64_u32 v[9:10], null, v13, s26, v[0:1]
	v_mul_lo_u32 v13, v15, s26
	v_lshlrev_b32_e32 v0, 2, v6
	s_lshl_b64 s[2:3], s[2:3], 2
	v_lshlrev_b32_e32 v11, 2, v7
	v_add3_u32 v5, v3, v5, v16
	s_add_u32 s4, s18, s2
	v_lshl_or_b32 v0, v2, 7, v0
	s_mul_i32 s2, s29, s15
	v_add3_u32 v10, v13, v10, v17
	v_lshlrev_b64 v[2:3], 2, v[4:5]
	s_addc_u32 s6, s19, s3
	s_add_i32 s3, s5, s2
	s_mul_i32 s2, s28, s15
	v_lshlrev_b64 v[4:5], 2, v[9:10]
	s_lshl_b64 s[2:3], s[2:3], 2
	v_add_co_u32 v2, vcc_lo, s4, v2
	v_mov_b32_e32 v9, v1
	v_lshl_or_b32 v6, v12, 5, v14
	s_add_u32 s2, s24, s2
	v_add_co_ci_u32_e32 v3, vcc_lo, s6, v3, vcc_lo
	s_addc_u32 s3, s25, s3
	v_add_co_u32 v4, vcc_lo, s2, v4
	v_add_nc_u32_e32 v12, 0x400, v6
	v_mov_b32_e32 v6, v1
	v_lshl_add_u32 v13, v8, 5, 0x400
	v_add_co_ci_u32_e32 v5, vcc_lo, s3, v5, vcc_lo
	v_mov_b32_e32 v10, v1
	s_mov_b64 s[2:3], 0
.LBB948_2:                              ; =>This Inner Loop Header: Depth=1
	global_load_b32 v14, v[2:3], off
	global_load_b32 v15, v[4:5], off
	s_add_u32 s2, s2, 8
	v_add_co_u32 v2, vcc_lo, v2, 32
	s_addc_u32 s3, s3, 0
	v_add_co_ci_u32_e32 v3, vcc_lo, 0, v3, vcc_lo
	v_cmp_ge_u64_e64 s4, s[2:3], s[16:17]
	v_add_co_u32 v4, vcc_lo, v4, 32
	v_add_co_ci_u32_e32 v5, vcc_lo, 0, v5, vcc_lo
	s_waitcnt vmcnt(1)
	ds_store_b32 v0, v14
	s_waitcnt vmcnt(0)
	ds_store_b32 v12, v15
	s_waitcnt lgkmcnt(0)
	s_barrier
	buffer_gl0_inv
	ds_load_2addr_b32 v[30:31], v11 offset1:16
	ds_load_b128 v[14:17], v13
	ds_load_b128 v[18:21], v13 offset:512
	ds_load_2addr_b32 v[32:33], v11 offset0:32 offset1:48
	ds_load_2addr_b32 v[34:35], v11 offset0:64 offset1:80
	ds_load_b128 v[22:25], v13 offset:16
	ds_load_2addr_b32 v[36:37], v11 offset0:96 offset1:112
	ds_load_2addr_b32 v[38:39], v11 offset0:128 offset1:144
	;; [unrolled: 3-line block ×3, first 2 shown]
	ds_load_2addr_b32 v[44:45], v11 offset0:224 offset1:240
	s_and_b32 vcc_lo, exec_lo, s4
	s_waitcnt lgkmcnt(0)
	s_barrier
	buffer_gl0_inv
	v_fmac_f32_e32 v9, v31, v14
	v_fmac_f32_e32 v10, v30, v14
	;; [unrolled: 1-line block ×3, first 2 shown]
	s_delay_alu instid0(VALU_DEP_3) | instskip(NEXT) | instid1(VALU_DEP_3)
	v_dual_fmac_f32 v6, v30, v18 :: v_dual_fmac_f32 v9, v33, v15
	v_fmac_f32_e32 v10, v32, v15
	s_delay_alu instid0(VALU_DEP_3) | instskip(NEXT) | instid1(VALU_DEP_3)
	v_fmac_f32_e32 v1, v33, v19
	v_dual_fmac_f32 v6, v32, v19 :: v_dual_fmac_f32 v9, v35, v16
	s_delay_alu instid0(VALU_DEP_3) | instskip(NEXT) | instid1(VALU_DEP_3)
	v_fmac_f32_e32 v10, v34, v16
	v_fmac_f32_e32 v1, v35, v20
	s_delay_alu instid0(VALU_DEP_3) | instskip(NEXT) | instid1(VALU_DEP_3)
	v_dual_fmac_f32 v6, v34, v20 :: v_dual_fmac_f32 v9, v37, v17
	v_fmac_f32_e32 v10, v36, v17
	s_delay_alu instid0(VALU_DEP_3) | instskip(NEXT) | instid1(VALU_DEP_3)
	v_fmac_f32_e32 v1, v37, v21
	v_dual_fmac_f32 v6, v36, v21 :: v_dual_fmac_f32 v9, v39, v22
	s_delay_alu instid0(VALU_DEP_3) | instskip(NEXT) | instid1(VALU_DEP_3)
	v_fmac_f32_e32 v10, v38, v22
	v_fmac_f32_e32 v1, v39, v26
	;; [unrolled: 9-line block ×3, first 2 shown]
	s_delay_alu instid0(VALU_DEP_3) | instskip(NEXT) | instid1(VALU_DEP_3)
	v_dual_fmac_f32 v6, v42, v28 :: v_dual_fmac_f32 v9, v45, v25
	v_fmac_f32_e32 v10, v44, v25
	s_delay_alu instid0(VALU_DEP_3) | instskip(NEXT) | instid1(VALU_DEP_3)
	v_fmac_f32_e32 v1, v45, v29
	v_fmac_f32_e32 v6, v44, v29
	s_cbranch_vccz .LBB948_2
.LBB948_3:
	s_clause 0x1
	s_load_b128 s[4:7], s[0:1], 0x48
	s_load_b32 s2, s[0:1], 0x0
	v_add_nc_u32_e32 v0, s9, v8
	s_delay_alu instid0(VALU_DEP_1) | instskip(SKIP_1) | instid1(VALU_DEP_1)
	v_ashrrev_i32_e32 v2, 31, v0
	s_waitcnt lgkmcnt(0)
	v_mul_lo_u32 v5, v2, s4
	v_mul_lo_u32 v8, v0, s5
	v_mad_u64_u32 v[3:4], null, v0, s4, 0
	s_mul_i32 s1, s15, s7
	s_mul_hi_u32 s3, s15, s6
	s_mul_i32 s6, s15, s6
	s_add_i32 s7, s3, s1
	v_add_nc_u32_e32 v2, s8, v7
	s_lshl_b64 s[6:7], s[6:7], 2
	s_delay_alu instid0(VALU_DEP_2)
	v_add3_u32 v4, v4, v8, v5
	s_add_u32 s3, s30, s6
	v_cmp_gt_i32_e32 vcc_lo, s2, v0
	v_cmp_le_i32_e64 s0, v2, v0
	s_addc_u32 s6, s31, s7
	v_lshlrev_b64 v[3:4], 2, v[3:4]
	s_delay_alu instid0(VALU_DEP_2) | instskip(NEXT) | instid1(VALU_DEP_1)
	s_and_b32 s0, vcc_lo, s0
	v_add_co_u32 v7, s1, s3, v3
	s_delay_alu instid0(VALU_DEP_1)
	v_add_co_ci_u32_e64 v8, s1, s6, v4, s1
	s_and_saveexec_b32 s1, s0
	s_cbranch_execz .LBB948_5
; %bb.4:
	v_ashrrev_i32_e32 v3, 31, v2
	v_xor_b32_e32 v5, 0x80000000, v10
	s_delay_alu instid0(VALU_DEP_2) | instskip(NEXT) | instid1(VALU_DEP_1)
	v_lshlrev_b64 v[3:4], 2, v[2:3]
	v_add_co_u32 v3, s0, v7, v3
	s_delay_alu instid0(VALU_DEP_1)
	v_add_co_ci_u32_e64 v4, s0, v8, v4, s0
	global_store_b32 v[3:4], v5, off
.LBB948_5:
	s_or_b32 exec_lo, exec_lo, s1
	v_add_nc_u32_e32 v4, 16, v2
	s_delay_alu instid0(VALU_DEP_1) | instskip(NEXT) | instid1(VALU_DEP_1)
	v_cmp_le_i32_e64 s0, v4, v0
	s_and_b32 s1, vcc_lo, s0
	s_delay_alu instid0(SALU_CYCLE_1)
	s_and_saveexec_b32 s0, s1
	s_cbranch_execz .LBB948_7
; %bb.6:
	v_ashrrev_i32_e32 v5, 31, v4
	v_xor_b32_e32 v3, 0x80000000, v9
	s_delay_alu instid0(VALU_DEP_2) | instskip(NEXT) | instid1(VALU_DEP_1)
	v_lshlrev_b64 v[10:11], 2, v[4:5]
	v_add_co_u32 v7, vcc_lo, v7, v10
	s_delay_alu instid0(VALU_DEP_2)
	v_add_co_ci_u32_e32 v8, vcc_lo, v8, v11, vcc_lo
	global_store_b32 v[7:8], v3, off
.LBB948_7:
	s_or_b32 exec_lo, exec_lo, s0
	v_add_nc_u32_e32 v0, 16, v0
	s_delay_alu instid0(VALU_DEP_1) | instskip(SKIP_3) | instid1(VALU_DEP_4)
	v_ashrrev_i32_e32 v3, 31, v0
	v_mul_lo_u32 v5, v0, s5
	v_mad_u64_u32 v[7:8], null, v0, s4, 0
	v_cmp_gt_i32_e32 vcc_lo, s2, v0
	v_mul_lo_u32 v3, v3, s4
	v_cmp_le_i32_e64 s0, v2, v0
	s_delay_alu instid0(VALU_DEP_1) | instskip(NEXT) | instid1(VALU_DEP_2)
	s_and_b32 s0, vcc_lo, s0
	v_add3_u32 v8, v8, v5, v3
	s_delay_alu instid0(VALU_DEP_1) | instskip(NEXT) | instid1(VALU_DEP_1)
	v_lshlrev_b64 v[7:8], 2, v[7:8]
	v_add_co_u32 v7, s1, s3, v7
	s_delay_alu instid0(VALU_DEP_1)
	v_add_co_ci_u32_e64 v8, s1, s6, v8, s1
	s_and_saveexec_b32 s1, s0
	s_cbranch_execz .LBB948_9
; %bb.8:
	v_ashrrev_i32_e32 v3, 31, v2
	v_xor_b32_e32 v5, 0x80000000, v6
	s_delay_alu instid0(VALU_DEP_2) | instskip(NEXT) | instid1(VALU_DEP_1)
	v_lshlrev_b64 v[2:3], 2, v[2:3]
	v_add_co_u32 v2, s0, v7, v2
	s_delay_alu instid0(VALU_DEP_1)
	v_add_co_ci_u32_e64 v3, s0, v8, v3, s0
	global_store_b32 v[2:3], v5, off
.LBB948_9:
	s_or_b32 exec_lo, exec_lo, s1
	v_cmp_le_i32_e64 s0, v4, v0
	s_delay_alu instid0(VALU_DEP_1) | instskip(NEXT) | instid1(SALU_CYCLE_1)
	s_and_b32 s0, vcc_lo, s0
	s_and_saveexec_b32 s1, s0
	s_cbranch_execz .LBB948_11
; %bb.10:
	v_ashrrev_i32_e32 v5, 31, v4
	s_delay_alu instid0(VALU_DEP_1) | instskip(SKIP_1) | instid1(VALU_DEP_2)
	v_lshlrev_b64 v[2:3], 2, v[4:5]
	v_xor_b32_e32 v4, 0x80000000, v1
	v_add_co_u32 v0, vcc_lo, v7, v2
	s_delay_alu instid0(VALU_DEP_3)
	v_add_co_ci_u32_e32 v1, vcc_lo, v8, v3, vcc_lo
	global_store_b32 v[0:1], v4, off
.LBB948_11:
	s_nop 0
	s_sendmsg sendmsg(MSG_DEALLOC_VGPRS)
	s_endpgm
	.section	.rodata,"a",@progbits
	.p2align	6, 0x0
	.amdhsa_kernel _ZL37rocblas_syrkx_herkx_restricted_kernelIlfLi16ELi32ELi8ELin1ELi0ELb0ELc67ELc85EKffEviT_PT9_S1_lS3_S1_lPT10_S1_li
		.amdhsa_group_segment_fixed_size 2048
		.amdhsa_private_segment_fixed_size 0
		.amdhsa_kernarg_size 92
		.amdhsa_user_sgpr_count 13
		.amdhsa_user_sgpr_dispatch_ptr 0
		.amdhsa_user_sgpr_queue_ptr 0
		.amdhsa_user_sgpr_kernarg_segment_ptr 1
		.amdhsa_user_sgpr_dispatch_id 0
		.amdhsa_user_sgpr_private_segment_size 0
		.amdhsa_wavefront_size32 1
		.amdhsa_uses_dynamic_stack 0
		.amdhsa_enable_private_segment 0
		.amdhsa_system_sgpr_workgroup_id_x 1
		.amdhsa_system_sgpr_workgroup_id_y 1
		.amdhsa_system_sgpr_workgroup_id_z 1
		.amdhsa_system_sgpr_workgroup_info 0
		.amdhsa_system_vgpr_workitem_id 1
		.amdhsa_next_free_vgpr 46
		.amdhsa_next_free_sgpr 32
		.amdhsa_reserve_vcc 1
		.amdhsa_float_round_mode_32 0
		.amdhsa_float_round_mode_16_64 0
		.amdhsa_float_denorm_mode_32 3
		.amdhsa_float_denorm_mode_16_64 3
		.amdhsa_dx10_clamp 1
		.amdhsa_ieee_mode 1
		.amdhsa_fp16_overflow 0
		.amdhsa_workgroup_processor_mode 1
		.amdhsa_memory_ordered 1
		.amdhsa_forward_progress 0
		.amdhsa_shared_vgpr_count 0
		.amdhsa_exception_fp_ieee_invalid_op 0
		.amdhsa_exception_fp_denorm_src 0
		.amdhsa_exception_fp_ieee_div_zero 0
		.amdhsa_exception_fp_ieee_overflow 0
		.amdhsa_exception_fp_ieee_underflow 0
		.amdhsa_exception_fp_ieee_inexact 0
		.amdhsa_exception_int_div_zero 0
	.end_amdhsa_kernel
	.section	.text._ZL37rocblas_syrkx_herkx_restricted_kernelIlfLi16ELi32ELi8ELin1ELi0ELb0ELc67ELc85EKffEviT_PT9_S1_lS3_S1_lPT10_S1_li,"axG",@progbits,_ZL37rocblas_syrkx_herkx_restricted_kernelIlfLi16ELi32ELi8ELin1ELi0ELb0ELc67ELc85EKffEviT_PT9_S1_lS3_S1_lPT10_S1_li,comdat
.Lfunc_end948:
	.size	_ZL37rocblas_syrkx_herkx_restricted_kernelIlfLi16ELi32ELi8ELin1ELi0ELb0ELc67ELc85EKffEviT_PT9_S1_lS3_S1_lPT10_S1_li, .Lfunc_end948-_ZL37rocblas_syrkx_herkx_restricted_kernelIlfLi16ELi32ELi8ELin1ELi0ELb0ELc67ELc85EKffEviT_PT9_S1_lS3_S1_lPT10_S1_li
                                        ; -- End function
	.section	.AMDGPU.csdata,"",@progbits
; Kernel info:
; codeLenInByte = 1284
; NumSgprs: 34
; NumVgprs: 46
; ScratchSize: 0
; MemoryBound: 0
; FloatMode: 240
; IeeeMode: 1
; LDSByteSize: 2048 bytes/workgroup (compile time only)
; SGPRBlocks: 4
; VGPRBlocks: 5
; NumSGPRsForWavesPerEU: 34
; NumVGPRsForWavesPerEU: 46
; Occupancy: 16
; WaveLimiterHint : 1
; COMPUTE_PGM_RSRC2:SCRATCH_EN: 0
; COMPUTE_PGM_RSRC2:USER_SGPR: 13
; COMPUTE_PGM_RSRC2:TRAP_HANDLER: 0
; COMPUTE_PGM_RSRC2:TGID_X_EN: 1
; COMPUTE_PGM_RSRC2:TGID_Y_EN: 1
; COMPUTE_PGM_RSRC2:TGID_Z_EN: 1
; COMPUTE_PGM_RSRC2:TIDIG_COMP_CNT: 1
	.section	.text._ZL37rocblas_syrkx_herkx_restricted_kernelIlfLi16ELi32ELi8ELin1ELi0ELb0ELc78ELc85EKffEviT_PT9_S1_lS3_S1_lPT10_S1_li,"axG",@progbits,_ZL37rocblas_syrkx_herkx_restricted_kernelIlfLi16ELi32ELi8ELin1ELi0ELb0ELc78ELc85EKffEviT_PT9_S1_lS3_S1_lPT10_S1_li,comdat
	.globl	_ZL37rocblas_syrkx_herkx_restricted_kernelIlfLi16ELi32ELi8ELin1ELi0ELb0ELc78ELc85EKffEviT_PT9_S1_lS3_S1_lPT10_S1_li ; -- Begin function _ZL37rocblas_syrkx_herkx_restricted_kernelIlfLi16ELi32ELi8ELin1ELi0ELb0ELc78ELc85EKffEviT_PT9_S1_lS3_S1_lPT10_S1_li
	.p2align	8
	.type	_ZL37rocblas_syrkx_herkx_restricted_kernelIlfLi16ELi32ELi8ELin1ELi0ELb0ELc78ELc85EKffEviT_PT9_S1_lS3_S1_lPT10_S1_li,@function
_ZL37rocblas_syrkx_herkx_restricted_kernelIlfLi16ELi32ELi8ELin1ELi0ELb0ELc78ELc85EKffEviT_PT9_S1_lS3_S1_lPT10_S1_li: ; @_ZL37rocblas_syrkx_herkx_restricted_kernelIlfLi16ELi32ELi8ELin1ELi0ELb0ELc78ELc85EKffEviT_PT9_S1_lS3_S1_lPT10_S1_li
; %bb.0:
	s_load_b512 s[16:31], s[0:1], 0x8
	v_dual_mov_b32 v9, 0 :: v_dual_mov_b32 v8, 0
	v_dual_mov_b32 v7, 0 :: v_dual_mov_b32 v4, 0
	v_and_b32_e32 v5, 0x3ff, v0
	v_bfe_u32 v6, v0, 10, 10
	s_lshl_b32 s8, s13, 5
	s_lshl_b32 s9, s14, 5
	s_waitcnt lgkmcnt(0)
	v_cmp_lt_i64_e64 s2, s[16:17], 1
	s_delay_alu instid0(VALU_DEP_1)
	s_and_b32 vcc_lo, exec_lo, s2
	s_cbranch_vccnz .LBB949_3
; %bb.1:
	v_lshl_add_u32 v1, v6, 4, v5
	v_and_b32_e32 v15, 7, v5
	s_mul_i32 s3, s23, s15
	s_mul_hi_u32 s5, s22, s15
	s_mul_i32 s2, s22, s15
	v_and_b32_e32 v9, 31, v1
	v_lshrrev_b32_e32 v14, 3, v1
	v_lshrrev_b32_e32 v16, 5, v1
	s_add_i32 s3, s5, s3
	s_mul_i32 s6, s29, s15
	v_add_nc_u32_e32 v0, s8, v9
	v_add_nc_u32_e32 v2, s9, v14
	s_lshl_b64 s[2:3], s[2:3], 2
	s_mul_hi_u32 s7, s28, s15
	s_add_u32 s10, s18, s2
	v_ashrrev_i32_e32 v1, 31, v0
	v_ashrrev_i32_e32 v3, 31, v2
	s_mul_i32 s4, s28, s15
	s_addc_u32 s11, s19, s3
	s_add_i32 s5, s7, s6
	v_mad_u64_u32 v[7:8], null, v16, s20, v[0:1]
	v_mad_u64_u32 v[0:1], null, v15, s26, v[2:3]
	s_lshl_b64 s[4:5], s[4:5], 2
	s_lshl_b64 s[2:3], s[20:21], 5
	s_add_u32 s4, s24, s4
	s_addc_u32 s5, s25, s5
	s_delay_alu instid0(VALU_DEP_2) | instskip(SKIP_3) | instid1(VALU_DEP_3)
	v_mov_b32_e32 v2, v8
	v_lshlrev_b32_e32 v10, 2, v5
	v_lshl_add_u32 v11, v6, 5, 0x400
	s_mov_b64 s[6:7], 0
	v_mad_u64_u32 v[3:4], null, v16, s21, v[2:3]
	v_lshlrev_b32_e32 v4, 2, v9
	s_delay_alu instid0(VALU_DEP_2) | instskip(SKIP_2) | instid1(VALU_DEP_3)
	v_mov_b32_e32 v8, v3
	v_mad_u64_u32 v[12:13], null, v15, s27, v[1:2]
	v_lshlrev_b32_e32 v17, 2, v15
	v_lshlrev_b64 v[2:3], 2, v[7:8]
	s_delay_alu instid0(VALU_DEP_3) | instskip(SKIP_3) | instid1(VALU_DEP_4)
	v_mov_b32_e32 v1, v12
	v_lshl_or_b32 v12, v16, 7, v4
	v_mov_b32_e32 v4, 0
	v_lshl_or_b32 v9, v14, 5, v17
	v_lshlrev_b64 v[7:8], 2, v[0:1]
	v_add_co_u32 v0, vcc_lo, s10, v2
	v_add_co_ci_u32_e32 v1, vcc_lo, s11, v3, vcc_lo
	s_delay_alu instid0(VALU_DEP_4) | instskip(NEXT) | instid1(VALU_DEP_4)
	v_add_nc_u32_e32 v13, 0x400, v9
	v_add_co_u32 v2, vcc_lo, s4, v7
	v_add_co_ci_u32_e32 v3, vcc_lo, s5, v8, vcc_lo
	v_dual_mov_b32 v8, 0 :: v_dual_mov_b32 v7, 0
	v_mov_b32_e32 v9, 0
	s_lshl_b64 s[4:5], s[26:27], 5
.LBB949_2:                              ; =>This Inner Loop Header: Depth=1
	global_load_b32 v14, v[0:1], off
	global_load_b32 v15, v[2:3], off
	s_add_u32 s6, s6, 8
	v_add_co_u32 v0, vcc_lo, v0, s2
	s_addc_u32 s7, s7, 0
	v_add_co_ci_u32_e32 v1, vcc_lo, s3, v1, vcc_lo
	v_cmp_ge_u64_e64 s10, s[6:7], s[16:17]
	v_add_co_u32 v2, vcc_lo, v2, s4
	v_add_co_ci_u32_e32 v3, vcc_lo, s5, v3, vcc_lo
	s_waitcnt vmcnt(1)
	ds_store_b32 v12, v14
	s_waitcnt vmcnt(0)
	ds_store_b32 v13, v15
	s_waitcnt lgkmcnt(0)
	s_barrier
	buffer_gl0_inv
	ds_load_2addr_b32 v[30:31], v10 offset1:16
	ds_load_b128 v[14:17], v11
	ds_load_b128 v[18:21], v11 offset:512
	ds_load_2addr_b32 v[32:33], v10 offset0:32 offset1:48
	ds_load_2addr_b32 v[34:35], v10 offset0:64 offset1:80
	ds_load_b128 v[22:25], v11 offset:16
	ds_load_2addr_b32 v[36:37], v10 offset0:96 offset1:112
	ds_load_2addr_b32 v[38:39], v10 offset0:128 offset1:144
	;; [unrolled: 3-line block ×3, first 2 shown]
	ds_load_2addr_b32 v[44:45], v10 offset0:224 offset1:240
	s_and_b32 vcc_lo, exec_lo, s10
	s_waitcnt lgkmcnt(0)
	s_barrier
	buffer_gl0_inv
	v_fmac_f32_e32 v8, v31, v14
	v_fmac_f32_e32 v9, v30, v14
	;; [unrolled: 1-line block ×3, first 2 shown]
	s_delay_alu instid0(VALU_DEP_3) | instskip(NEXT) | instid1(VALU_DEP_3)
	v_dual_fmac_f32 v7, v30, v18 :: v_dual_fmac_f32 v8, v33, v15
	v_fmac_f32_e32 v9, v32, v15
	s_delay_alu instid0(VALU_DEP_3) | instskip(NEXT) | instid1(VALU_DEP_3)
	v_fmac_f32_e32 v4, v33, v19
	v_dual_fmac_f32 v7, v32, v19 :: v_dual_fmac_f32 v8, v35, v16
	s_delay_alu instid0(VALU_DEP_3) | instskip(NEXT) | instid1(VALU_DEP_3)
	v_fmac_f32_e32 v9, v34, v16
	v_fmac_f32_e32 v4, v35, v20
	s_delay_alu instid0(VALU_DEP_3) | instskip(NEXT) | instid1(VALU_DEP_3)
	v_dual_fmac_f32 v7, v34, v20 :: v_dual_fmac_f32 v8, v37, v17
	v_fmac_f32_e32 v9, v36, v17
	s_delay_alu instid0(VALU_DEP_3) | instskip(NEXT) | instid1(VALU_DEP_3)
	v_fmac_f32_e32 v4, v37, v21
	v_dual_fmac_f32 v7, v36, v21 :: v_dual_fmac_f32 v8, v39, v22
	s_delay_alu instid0(VALU_DEP_3) | instskip(NEXT) | instid1(VALU_DEP_3)
	v_fmac_f32_e32 v9, v38, v22
	v_fmac_f32_e32 v4, v39, v26
	;; [unrolled: 9-line block ×3, first 2 shown]
	s_delay_alu instid0(VALU_DEP_3) | instskip(NEXT) | instid1(VALU_DEP_3)
	v_dual_fmac_f32 v7, v42, v28 :: v_dual_fmac_f32 v8, v45, v25
	v_fmac_f32_e32 v9, v44, v25
	s_delay_alu instid0(VALU_DEP_3) | instskip(NEXT) | instid1(VALU_DEP_3)
	v_fmac_f32_e32 v4, v45, v29
	v_fmac_f32_e32 v7, v44, v29
	s_cbranch_vccz .LBB949_2
.LBB949_3:
	s_clause 0x1
	s_load_b128 s[4:7], s[0:1], 0x48
	s_load_b32 s2, s[0:1], 0x0
	v_add_nc_u32_e32 v6, s9, v6
	s_delay_alu instid0(VALU_DEP_1) | instskip(SKIP_1) | instid1(VALU_DEP_1)
	v_ashrrev_i32_e32 v0, 31, v6
	s_waitcnt lgkmcnt(0)
	v_mul_lo_u32 v3, v0, s4
	v_mul_lo_u32 v10, v6, s5
	v_mad_u64_u32 v[1:2], null, v6, s4, 0
	s_mul_i32 s1, s15, s7
	s_mul_hi_u32 s3, s15, s6
	s_mul_i32 s6, s15, s6
	s_add_i32 s7, s3, s1
	v_add_nc_u32_e32 v0, s8, v5
	s_lshl_b64 s[6:7], s[6:7], 2
	s_delay_alu instid0(VALU_DEP_2)
	v_add3_u32 v2, v2, v10, v3
	s_add_u32 s3, s30, s6
	v_cmp_gt_i32_e32 vcc_lo, s2, v6
	v_cmp_le_i32_e64 s0, v0, v6
	s_addc_u32 s6, s31, s7
	v_lshlrev_b64 v[1:2], 2, v[1:2]
	s_delay_alu instid0(VALU_DEP_2) | instskip(NEXT) | instid1(VALU_DEP_1)
	s_and_b32 s0, vcc_lo, s0
	v_add_co_u32 v5, s1, s3, v1
	s_delay_alu instid0(VALU_DEP_1)
	v_add_co_ci_u32_e64 v10, s1, s6, v2, s1
	s_and_saveexec_b32 s1, s0
	s_cbranch_execz .LBB949_5
; %bb.4:
	v_ashrrev_i32_e32 v1, 31, v0
	v_xor_b32_e32 v3, 0x80000000, v9
	s_delay_alu instid0(VALU_DEP_2) | instskip(NEXT) | instid1(VALU_DEP_1)
	v_lshlrev_b64 v[1:2], 2, v[0:1]
	v_add_co_u32 v1, s0, v5, v1
	s_delay_alu instid0(VALU_DEP_1)
	v_add_co_ci_u32_e64 v2, s0, v10, v2, s0
	global_store_b32 v[1:2], v3, off
.LBB949_5:
	s_or_b32 exec_lo, exec_lo, s1
	v_add_nc_u32_e32 v2, 16, v0
	s_delay_alu instid0(VALU_DEP_1) | instskip(NEXT) | instid1(VALU_DEP_1)
	v_cmp_le_i32_e64 s0, v2, v6
	s_and_b32 s1, vcc_lo, s0
	s_delay_alu instid0(SALU_CYCLE_1)
	s_and_saveexec_b32 s0, s1
	s_cbranch_execz .LBB949_7
; %bb.6:
	v_ashrrev_i32_e32 v3, 31, v2
	v_xor_b32_e32 v1, 0x80000000, v8
	s_delay_alu instid0(VALU_DEP_2) | instskip(NEXT) | instid1(VALU_DEP_1)
	v_lshlrev_b64 v[11:12], 2, v[2:3]
	v_add_co_u32 v8, vcc_lo, v5, v11
	s_delay_alu instid0(VALU_DEP_2)
	v_add_co_ci_u32_e32 v9, vcc_lo, v10, v12, vcc_lo
	global_store_b32 v[8:9], v1, off
.LBB949_7:
	s_or_b32 exec_lo, exec_lo, s0
	v_add_nc_u32_e32 v3, 16, v6
	s_delay_alu instid0(VALU_DEP_1) | instskip(SKIP_3) | instid1(VALU_DEP_4)
	v_ashrrev_i32_e32 v1, 31, v3
	v_mul_lo_u32 v8, v3, s5
	v_mad_u64_u32 v[5:6], null, v3, s4, 0
	v_cmp_gt_i32_e32 vcc_lo, s2, v3
	v_mul_lo_u32 v1, v1, s4
	v_cmp_le_i32_e64 s0, v0, v3
	s_delay_alu instid0(VALU_DEP_1) | instskip(NEXT) | instid1(VALU_DEP_2)
	s_and_b32 s0, vcc_lo, s0
	v_add3_u32 v6, v6, v8, v1
	s_delay_alu instid0(VALU_DEP_1) | instskip(NEXT) | instid1(VALU_DEP_1)
	v_lshlrev_b64 v[5:6], 2, v[5:6]
	v_add_co_u32 v5, s1, s3, v5
	s_delay_alu instid0(VALU_DEP_1)
	v_add_co_ci_u32_e64 v6, s1, s6, v6, s1
	s_and_saveexec_b32 s1, s0
	s_cbranch_execz .LBB949_9
; %bb.8:
	v_ashrrev_i32_e32 v1, 31, v0
	v_xor_b32_e32 v7, 0x80000000, v7
	s_delay_alu instid0(VALU_DEP_2) | instskip(NEXT) | instid1(VALU_DEP_1)
	v_lshlrev_b64 v[0:1], 2, v[0:1]
	v_add_co_u32 v0, s0, v5, v0
	s_delay_alu instid0(VALU_DEP_1)
	v_add_co_ci_u32_e64 v1, s0, v6, v1, s0
	global_store_b32 v[0:1], v7, off
.LBB949_9:
	s_or_b32 exec_lo, exec_lo, s1
	v_cmp_le_i32_e64 s0, v2, v3
	s_delay_alu instid0(VALU_DEP_1) | instskip(NEXT) | instid1(SALU_CYCLE_1)
	s_and_b32 s0, vcc_lo, s0
	s_and_saveexec_b32 s1, s0
	s_cbranch_execz .LBB949_11
; %bb.10:
	v_ashrrev_i32_e32 v3, 31, v2
	s_delay_alu instid0(VALU_DEP_1) | instskip(SKIP_1) | instid1(VALU_DEP_2)
	v_lshlrev_b64 v[0:1], 2, v[2:3]
	v_xor_b32_e32 v2, 0x80000000, v4
	v_add_co_u32 v0, vcc_lo, v5, v0
	s_delay_alu instid0(VALU_DEP_3)
	v_add_co_ci_u32_e32 v1, vcc_lo, v6, v1, vcc_lo
	global_store_b32 v[0:1], v2, off
.LBB949_11:
	s_nop 0
	s_sendmsg sendmsg(MSG_DEALLOC_VGPRS)
	s_endpgm
	.section	.rodata,"a",@progbits
	.p2align	6, 0x0
	.amdhsa_kernel _ZL37rocblas_syrkx_herkx_restricted_kernelIlfLi16ELi32ELi8ELin1ELi0ELb0ELc78ELc85EKffEviT_PT9_S1_lS3_S1_lPT10_S1_li
		.amdhsa_group_segment_fixed_size 2048
		.amdhsa_private_segment_fixed_size 0
		.amdhsa_kernarg_size 92
		.amdhsa_user_sgpr_count 13
		.amdhsa_user_sgpr_dispatch_ptr 0
		.amdhsa_user_sgpr_queue_ptr 0
		.amdhsa_user_sgpr_kernarg_segment_ptr 1
		.amdhsa_user_sgpr_dispatch_id 0
		.amdhsa_user_sgpr_private_segment_size 0
		.amdhsa_wavefront_size32 1
		.amdhsa_uses_dynamic_stack 0
		.amdhsa_enable_private_segment 0
		.amdhsa_system_sgpr_workgroup_id_x 1
		.amdhsa_system_sgpr_workgroup_id_y 1
		.amdhsa_system_sgpr_workgroup_id_z 1
		.amdhsa_system_sgpr_workgroup_info 0
		.amdhsa_system_vgpr_workitem_id 1
		.amdhsa_next_free_vgpr 46
		.amdhsa_next_free_sgpr 32
		.amdhsa_reserve_vcc 1
		.amdhsa_float_round_mode_32 0
		.amdhsa_float_round_mode_16_64 0
		.amdhsa_float_denorm_mode_32 3
		.amdhsa_float_denorm_mode_16_64 3
		.amdhsa_dx10_clamp 1
		.amdhsa_ieee_mode 1
		.amdhsa_fp16_overflow 0
		.amdhsa_workgroup_processor_mode 1
		.amdhsa_memory_ordered 1
		.amdhsa_forward_progress 0
		.amdhsa_shared_vgpr_count 0
		.amdhsa_exception_fp_ieee_invalid_op 0
		.amdhsa_exception_fp_denorm_src 0
		.amdhsa_exception_fp_ieee_div_zero 0
		.amdhsa_exception_fp_ieee_overflow 0
		.amdhsa_exception_fp_ieee_underflow 0
		.amdhsa_exception_fp_ieee_inexact 0
		.amdhsa_exception_int_div_zero 0
	.end_amdhsa_kernel
	.section	.text._ZL37rocblas_syrkx_herkx_restricted_kernelIlfLi16ELi32ELi8ELin1ELi0ELb0ELc78ELc85EKffEviT_PT9_S1_lS3_S1_lPT10_S1_li,"axG",@progbits,_ZL37rocblas_syrkx_herkx_restricted_kernelIlfLi16ELi32ELi8ELin1ELi0ELb0ELc78ELc85EKffEviT_PT9_S1_lS3_S1_lPT10_S1_li,comdat
.Lfunc_end949:
	.size	_ZL37rocblas_syrkx_herkx_restricted_kernelIlfLi16ELi32ELi8ELin1ELi0ELb0ELc78ELc85EKffEviT_PT9_S1_lS3_S1_lPT10_S1_li, .Lfunc_end949-_ZL37rocblas_syrkx_herkx_restricted_kernelIlfLi16ELi32ELi8ELin1ELi0ELb0ELc78ELc85EKffEviT_PT9_S1_lS3_S1_lPT10_S1_li
                                        ; -- End function
	.section	.AMDGPU.csdata,"",@progbits
; Kernel info:
; codeLenInByte = 1276
; NumSgprs: 34
; NumVgprs: 46
; ScratchSize: 0
; MemoryBound: 0
; FloatMode: 240
; IeeeMode: 1
; LDSByteSize: 2048 bytes/workgroup (compile time only)
; SGPRBlocks: 4
; VGPRBlocks: 5
; NumSGPRsForWavesPerEU: 34
; NumVGPRsForWavesPerEU: 46
; Occupancy: 16
; WaveLimiterHint : 1
; COMPUTE_PGM_RSRC2:SCRATCH_EN: 0
; COMPUTE_PGM_RSRC2:USER_SGPR: 13
; COMPUTE_PGM_RSRC2:TRAP_HANDLER: 0
; COMPUTE_PGM_RSRC2:TGID_X_EN: 1
; COMPUTE_PGM_RSRC2:TGID_Y_EN: 1
; COMPUTE_PGM_RSRC2:TGID_Z_EN: 1
; COMPUTE_PGM_RSRC2:TIDIG_COMP_CNT: 1
	.section	.text._ZL37rocblas_syrkx_herkx_restricted_kernelIlfLi16ELi32ELi8ELb1ELb0ELc84ELc76EKffEviT_T0_PT8_S1_lS4_S1_lS2_PT9_S1_li,"axG",@progbits,_ZL37rocblas_syrkx_herkx_restricted_kernelIlfLi16ELi32ELi8ELb1ELb0ELc84ELc76EKffEviT_T0_PT8_S1_lS4_S1_lS2_PT9_S1_li,comdat
	.globl	_ZL37rocblas_syrkx_herkx_restricted_kernelIlfLi16ELi32ELi8ELb1ELb0ELc84ELc76EKffEviT_T0_PT8_S1_lS4_S1_lS2_PT9_S1_li ; -- Begin function _ZL37rocblas_syrkx_herkx_restricted_kernelIlfLi16ELi32ELi8ELb1ELb0ELc84ELc76EKffEviT_T0_PT8_S1_lS4_S1_lS2_PT9_S1_li
	.p2align	8
	.type	_ZL37rocblas_syrkx_herkx_restricted_kernelIlfLi16ELi32ELi8ELb1ELb0ELc84ELc76EKffEviT_T0_PT8_S1_lS4_S1_lS2_PT9_S1_li,@function
_ZL37rocblas_syrkx_herkx_restricted_kernelIlfLi16ELi32ELi8ELb1ELb0ELc84ELc76EKffEviT_T0_PT8_S1_lS4_S1_lS2_PT9_S1_li: ; @_ZL37rocblas_syrkx_herkx_restricted_kernelIlfLi16ELi32ELi8ELb1ELb0ELc84ELc76EKffEviT_T0_PT8_S1_lS4_S1_lS2_PT9_S1_li
; %bb.0:
	s_load_b64 s[2:3], s[0:1], 0x8
	v_dual_mov_b32 v10, 0 :: v_dual_mov_b32 v9, 0
	v_dual_mov_b32 v7, 0 :: v_dual_and_b32 v6, 0x3ff, v0
	v_bfe_u32 v8, v0, 10, 10
	v_mov_b32_e32 v1, 0
	s_lshl_b32 s12, s13, 5
	s_lshl_b32 s13, s14, 5
	s_waitcnt lgkmcnt(0)
	v_cmp_lt_i64_e64 s4, s[2:3], 1
	s_delay_alu instid0(VALU_DEP_1)
	s_and_b32 vcc_lo, exec_lo, s4
	s_cbranch_vccnz .LBB950_3
; %bb.1:
	s_load_b128 s[16:19], s[0:1], 0x38
	v_lshl_add_u32 v2, v8, 4, v6
	s_load_b256 s[4:11], s[0:1], 0x18
	v_dual_mov_b32 v1, 0 :: v_dual_and_b32 v0, 7, v6
	v_lshlrev_b32_e32 v11, 2, v6
	s_delay_alu instid0(VALU_DEP_3) | instskip(SKIP_1) | instid1(VALU_DEP_4)
	v_lshrrev_b32_e32 v4, 3, v2
	v_and_b32_e32 v5, 31, v2
	v_lshlrev_b32_e32 v9, 2, v0
	v_lshrrev_b32_e32 v2, 5, v2
	v_mov_b32_e32 v3, v1
	v_add_nc_u32_e32 v7, s13, v4
	v_add_nc_u32_e32 v12, s12, v5
	v_lshlrev_b32_e32 v13, 2, v5
	v_lshl_or_b32 v14, v4, 5, v9
	s_delay_alu instid0(VALU_DEP_4) | instskip(NEXT) | instid1(VALU_DEP_4)
	v_ashrrev_i32_e32 v10, 31, v7
	v_ashrrev_i32_e32 v9, 31, v12
	s_waitcnt lgkmcnt(0)
	v_mul_lo_u32 v16, v7, s17
	s_delay_alu instid0(VALU_DEP_3)
	v_mul_lo_u32 v15, v10, s16
	v_mad_u64_u32 v[4:5], null, v7, s16, v[0:1]
	v_lshl_or_b32 v0, v2, 7, v13
	v_mul_lo_u32 v7, s6, v9
	v_mad_u64_u32 v[9:10], null, s6, v12, v[2:3]
	v_mul_lo_u32 v13, s7, v12
	s_mul_i32 s14, s19, s15
	s_mul_hi_u32 s17, s18, s15
	v_add3_u32 v5, v15, v5, v16
	s_mul_i32 s16, s18, s15
	s_add_i32 s17, s17, s14
	v_add_nc_u32_e32 v12, 0x400, v14
	s_lshl_b64 s[6:7], s[16:17], 2
	v_add3_u32 v10, v13, v10, v7
	v_mov_b32_e32 v7, v1
	v_lshlrev_b64 v[2:3], 2, v[4:5]
	s_add_u32 s10, s10, s6
	s_addc_u32 s11, s11, s7
	s_mul_i32 s6, s9, s15
	s_mul_hi_u32 s7, s8, s15
	v_lshlrev_b64 v[4:5], 2, v[9:10]
	s_add_i32 s7, s7, s6
	s_mul_i32 s6, s8, s15
	v_add_co_u32 v2, vcc_lo, s10, v2
	s_lshl_b64 s[6:7], s[6:7], 2
	v_add_co_ci_u32_e32 v3, vcc_lo, s11, v3, vcc_lo
	s_add_u32 s4, s4, s6
	s_addc_u32 s5, s5, s7
	v_add_co_u32 v4, vcc_lo, s4, v4
	v_lshl_add_u32 v13, v8, 5, 0x400
	v_add_co_ci_u32_e32 v5, vcc_lo, s5, v5, vcc_lo
	v_mov_b32_e32 v9, v1
	v_mov_b32_e32 v10, v1
	s_mov_b64 s[4:5], 0
.LBB950_2:                              ; =>This Inner Loop Header: Depth=1
	global_load_b32 v14, v[4:5], off
	global_load_b32 v15, v[2:3], off
	s_add_u32 s4, s4, 8
	v_add_co_u32 v2, vcc_lo, v2, 32
	s_addc_u32 s5, s5, 0
	v_add_co_ci_u32_e32 v3, vcc_lo, 0, v3, vcc_lo
	v_cmp_ge_u64_e64 s6, s[4:5], s[2:3]
	v_add_co_u32 v4, vcc_lo, v4, 32
	v_add_co_ci_u32_e32 v5, vcc_lo, 0, v5, vcc_lo
	s_waitcnt vmcnt(1)
	ds_store_b32 v0, v14
	s_waitcnt vmcnt(0)
	ds_store_b32 v12, v15
	s_waitcnt lgkmcnt(0)
	s_barrier
	buffer_gl0_inv
	ds_load_2addr_b32 v[30:31], v11 offset1:16
	ds_load_b128 v[14:17], v13
	ds_load_b128 v[18:21], v13 offset:512
	ds_load_2addr_b32 v[32:33], v11 offset0:32 offset1:48
	ds_load_2addr_b32 v[34:35], v11 offset0:64 offset1:80
	ds_load_b128 v[22:25], v13 offset:16
	ds_load_2addr_b32 v[36:37], v11 offset0:96 offset1:112
	ds_load_2addr_b32 v[38:39], v11 offset0:128 offset1:144
	;; [unrolled: 3-line block ×3, first 2 shown]
	ds_load_2addr_b32 v[44:45], v11 offset0:224 offset1:240
	s_and_b32 vcc_lo, exec_lo, s6
	s_waitcnt lgkmcnt(0)
	s_barrier
	buffer_gl0_inv
	v_fmac_f32_e32 v9, v31, v14
	s_delay_alu instid0(VALU_DEP_1) | instskip(NEXT) | instid1(VALU_DEP_1)
	v_dual_fmac_f32 v10, v30, v14 :: v_dual_fmac_f32 v9, v33, v15
	v_dual_fmac_f32 v10, v32, v15 :: v_dual_fmac_f32 v1, v31, v18
	s_delay_alu instid0(VALU_DEP_1) | instskip(NEXT) | instid1(VALU_DEP_1)
	v_fmac_f32_e32 v10, v34, v16
	v_dual_fmac_f32 v7, v30, v18 :: v_dual_fmac_f32 v10, v36, v17
	s_delay_alu instid0(VALU_DEP_1) | instskip(NEXT) | instid1(VALU_DEP_1)
	v_dual_fmac_f32 v7, v32, v19 :: v_dual_fmac_f32 v10, v38, v22
	v_dual_fmac_f32 v9, v35, v16 :: v_dual_fmac_f32 v10, v40, v23
	v_fmac_f32_e32 v1, v33, v19
	s_delay_alu instid0(VALU_DEP_2) | instskip(NEXT) | instid1(VALU_DEP_4)
	v_dual_fmac_f32 v9, v37, v17 :: v_dual_fmac_f32 v10, v42, v24
	v_fmac_f32_e32 v7, v34, v20
	s_delay_alu instid0(VALU_DEP_3) | instskip(NEXT) | instid1(VALU_DEP_3)
	v_fmac_f32_e32 v1, v35, v20
	v_dual_fmac_f32 v9, v39, v22 :: v_dual_fmac_f32 v10, v44, v25
	s_delay_alu instid0(VALU_DEP_3) | instskip(NEXT) | instid1(VALU_DEP_3)
	v_fmac_f32_e32 v7, v36, v21
	v_fmac_f32_e32 v1, v37, v21
	s_delay_alu instid0(VALU_DEP_3) | instskip(NEXT) | instid1(VALU_DEP_3)
	v_fmac_f32_e32 v9, v41, v23
	v_fmac_f32_e32 v7, v38, v26
	;; [unrolled: 3-line block ×5, first 2 shown]
	s_delay_alu instid0(VALU_DEP_3) | instskip(NEXT) | instid1(VALU_DEP_2)
	v_fmac_f32_e32 v1, v43, v28
	v_fmac_f32_e32 v7, v44, v29
	s_delay_alu instid0(VALU_DEP_2)
	v_fmac_f32_e32 v1, v45, v29
	s_cbranch_vccz .LBB950_2
.LBB950_3:
	s_clause 0x1
	s_load_b128 s[4:7], s[0:1], 0x50
	s_load_b64 s[10:11], s[0:1], 0x60
	v_add_nc_u32_e32 v0, s13, v8
	s_clause 0x1
	s_load_b32 s8, s[0:1], 0x0
	s_load_b32 s3, s[0:1], 0x10
	s_delay_alu instid0(VALU_DEP_1) | instskip(SKIP_1) | instid1(VALU_DEP_1)
	v_ashrrev_i32_e32 v2, 31, v0
	s_waitcnt lgkmcnt(0)
	v_mul_lo_u32 v5, v2, s6
	v_mul_lo_u32 v8, v0, s7
	v_mad_u64_u32 v[3:4], null, v0, s6, 0
	s_mul_i32 s1, s15, s11
	s_mul_hi_u32 s2, s15, s10
	s_mul_i32 s10, s15, s10
	s_add_i32 s11, s2, s1
	v_add_nc_u32_e32 v2, s12, v6
	s_lshl_b64 s[10:11], s[10:11], 2
	s_delay_alu instid0(VALU_DEP_2)
	v_add3_u32 v4, v4, v8, v5
	s_add_u32 s2, s4, s10
	s_addc_u32 s4, s5, s11
	v_cmp_le_i32_e64 s0, v0, v2
	v_cmp_gt_i32_e32 vcc_lo, s8, v2
	v_lshlrev_b64 v[3:4], 2, v[3:4]
	s_delay_alu instid0(VALU_DEP_3) | instskip(NEXT) | instid1(VALU_DEP_1)
	s_and_b32 s0, s0, vcc_lo
	v_add_co_u32 v6, s1, s2, v3
	s_delay_alu instid0(VALU_DEP_1)
	v_add_co_ci_u32_e64 v8, s1, s4, v4, s1
	s_and_saveexec_b32 s1, s0
	s_cbranch_execz .LBB950_5
; %bb.4:
	v_ashrrev_i32_e32 v3, 31, v2
	v_mul_f32_e32 v5, s3, v10
	s_delay_alu instid0(VALU_DEP_2) | instskip(NEXT) | instid1(VALU_DEP_1)
	v_lshlrev_b64 v[3:4], 2, v[2:3]
	v_add_co_u32 v3, s0, v6, v3
	s_delay_alu instid0(VALU_DEP_1)
	v_add_co_ci_u32_e64 v4, s0, v8, v4, s0
	global_store_b32 v[3:4], v5, off
.LBB950_5:
	s_or_b32 exec_lo, exec_lo, s1
	v_add_nc_u32_e32 v4, 16, v2
	s_delay_alu instid0(VALU_DEP_1) | instskip(SKIP_1) | instid1(VALU_DEP_1)
	v_cmp_le_i32_e64 s1, v0, v4
	v_cmp_gt_i32_e64 s0, s8, v4
	s_and_b32 s1, s1, s0
	s_delay_alu instid0(SALU_CYCLE_1)
	s_and_saveexec_b32 s5, s1
	s_cbranch_execz .LBB950_7
; %bb.6:
	v_ashrrev_i32_e32 v5, 31, v4
	v_mul_f32_e32 v3, s3, v9
	s_delay_alu instid0(VALU_DEP_2) | instskip(NEXT) | instid1(VALU_DEP_1)
	v_lshlrev_b64 v[10:11], 2, v[4:5]
	v_add_co_u32 v5, s1, v6, v10
	s_delay_alu instid0(VALU_DEP_1)
	v_add_co_ci_u32_e64 v6, s1, v8, v11, s1
	global_store_b32 v[5:6], v3, off
.LBB950_7:
	s_or_b32 exec_lo, exec_lo, s5
	v_add_nc_u32_e32 v5, 16, v0
	s_delay_alu instid0(VALU_DEP_1) | instskip(SKIP_3) | instid1(VALU_DEP_4)
	v_ashrrev_i32_e32 v0, 31, v5
	v_mul_lo_u32 v3, v5, s7
	v_mad_u64_u32 v[8:9], null, v5, s6, 0
	v_cmp_le_i32_e64 s1, v5, v2
	v_mul_lo_u32 v0, v0, s6
	s_delay_alu instid0(VALU_DEP_1) | instskip(NEXT) | instid1(VALU_DEP_1)
	v_add3_u32 v9, v9, v3, v0
	v_lshlrev_b64 v[8:9], 2, v[8:9]
	s_delay_alu instid0(VALU_DEP_1) | instskip(NEXT) | instid1(VALU_DEP_1)
	v_add_co_u32 v0, s2, s2, v8
	v_add_co_ci_u32_e64 v6, s2, s4, v9, s2
	s_and_b32 s2, s1, vcc_lo
	s_delay_alu instid0(SALU_CYCLE_1)
	s_and_saveexec_b32 s1, s2
	s_cbranch_execz .LBB950_9
; %bb.8:
	v_ashrrev_i32_e32 v3, 31, v2
	v_mul_f32_e32 v7, s3, v7
	s_delay_alu instid0(VALU_DEP_2) | instskip(NEXT) | instid1(VALU_DEP_1)
	v_lshlrev_b64 v[2:3], 2, v[2:3]
	v_add_co_u32 v2, vcc_lo, v0, v2
	s_delay_alu instid0(VALU_DEP_2)
	v_add_co_ci_u32_e32 v3, vcc_lo, v6, v3, vcc_lo
	global_store_b32 v[2:3], v7, off
.LBB950_9:
	s_or_b32 exec_lo, exec_lo, s1
	v_cmp_le_i32_e32 vcc_lo, v5, v4
	s_and_b32 s0, vcc_lo, s0
	s_delay_alu instid0(SALU_CYCLE_1)
	s_and_saveexec_b32 s1, s0
	s_cbranch_execz .LBB950_11
; %bb.10:
	v_ashrrev_i32_e32 v5, 31, v4
	s_delay_alu instid0(VALU_DEP_1) | instskip(SKIP_1) | instid1(VALU_DEP_2)
	v_lshlrev_b64 v[2:3], 2, v[4:5]
	v_mul_f32_e32 v4, s3, v1
	v_add_co_u32 v0, vcc_lo, v0, v2
	s_delay_alu instid0(VALU_DEP_3)
	v_add_co_ci_u32_e32 v1, vcc_lo, v6, v3, vcc_lo
	global_store_b32 v[0:1], v4, off
.LBB950_11:
	s_nop 0
	s_sendmsg sendmsg(MSG_DEALLOC_VGPRS)
	s_endpgm
	.section	.rodata,"a",@progbits
	.p2align	6, 0x0
	.amdhsa_kernel _ZL37rocblas_syrkx_herkx_restricted_kernelIlfLi16ELi32ELi8ELb1ELb0ELc84ELc76EKffEviT_T0_PT8_S1_lS4_S1_lS2_PT9_S1_li
		.amdhsa_group_segment_fixed_size 2048
		.amdhsa_private_segment_fixed_size 0
		.amdhsa_kernarg_size 108
		.amdhsa_user_sgpr_count 13
		.amdhsa_user_sgpr_dispatch_ptr 0
		.amdhsa_user_sgpr_queue_ptr 0
		.amdhsa_user_sgpr_kernarg_segment_ptr 1
		.amdhsa_user_sgpr_dispatch_id 0
		.amdhsa_user_sgpr_private_segment_size 0
		.amdhsa_wavefront_size32 1
		.amdhsa_uses_dynamic_stack 0
		.amdhsa_enable_private_segment 0
		.amdhsa_system_sgpr_workgroup_id_x 1
		.amdhsa_system_sgpr_workgroup_id_y 1
		.amdhsa_system_sgpr_workgroup_id_z 1
		.amdhsa_system_sgpr_workgroup_info 0
		.amdhsa_system_vgpr_workitem_id 1
		.amdhsa_next_free_vgpr 46
		.amdhsa_next_free_sgpr 20
		.amdhsa_reserve_vcc 1
		.amdhsa_float_round_mode_32 0
		.amdhsa_float_round_mode_16_64 0
		.amdhsa_float_denorm_mode_32 3
		.amdhsa_float_denorm_mode_16_64 3
		.amdhsa_dx10_clamp 1
		.amdhsa_ieee_mode 1
		.amdhsa_fp16_overflow 0
		.amdhsa_workgroup_processor_mode 1
		.amdhsa_memory_ordered 1
		.amdhsa_forward_progress 0
		.amdhsa_shared_vgpr_count 0
		.amdhsa_exception_fp_ieee_invalid_op 0
		.amdhsa_exception_fp_denorm_src 0
		.amdhsa_exception_fp_ieee_div_zero 0
		.amdhsa_exception_fp_ieee_overflow 0
		.amdhsa_exception_fp_ieee_underflow 0
		.amdhsa_exception_fp_ieee_inexact 0
		.amdhsa_exception_int_div_zero 0
	.end_amdhsa_kernel
	.section	.text._ZL37rocblas_syrkx_herkx_restricted_kernelIlfLi16ELi32ELi8ELb1ELb0ELc84ELc76EKffEviT_T0_PT8_S1_lS4_S1_lS2_PT9_S1_li,"axG",@progbits,_ZL37rocblas_syrkx_herkx_restricted_kernelIlfLi16ELi32ELi8ELb1ELb0ELc84ELc76EKffEviT_T0_PT8_S1_lS4_S1_lS2_PT9_S1_li,comdat
.Lfunc_end950:
	.size	_ZL37rocblas_syrkx_herkx_restricted_kernelIlfLi16ELi32ELi8ELb1ELb0ELc84ELc76EKffEviT_T0_PT8_S1_lS4_S1_lS2_PT9_S1_li, .Lfunc_end950-_ZL37rocblas_syrkx_herkx_restricted_kernelIlfLi16ELi32ELi8ELb1ELb0ELc84ELc76EKffEviT_T0_PT8_S1_lS4_S1_lS2_PT9_S1_li
                                        ; -- End function
	.section	.AMDGPU.csdata,"",@progbits
; Kernel info:
; codeLenInByte = 1316
; NumSgprs: 22
; NumVgprs: 46
; ScratchSize: 0
; MemoryBound: 0
; FloatMode: 240
; IeeeMode: 1
; LDSByteSize: 2048 bytes/workgroup (compile time only)
; SGPRBlocks: 2
; VGPRBlocks: 5
; NumSGPRsForWavesPerEU: 22
; NumVGPRsForWavesPerEU: 46
; Occupancy: 16
; WaveLimiterHint : 0
; COMPUTE_PGM_RSRC2:SCRATCH_EN: 0
; COMPUTE_PGM_RSRC2:USER_SGPR: 13
; COMPUTE_PGM_RSRC2:TRAP_HANDLER: 0
; COMPUTE_PGM_RSRC2:TGID_X_EN: 1
; COMPUTE_PGM_RSRC2:TGID_Y_EN: 1
; COMPUTE_PGM_RSRC2:TGID_Z_EN: 1
; COMPUTE_PGM_RSRC2:TIDIG_COMP_CNT: 1
	.section	.text._ZL37rocblas_syrkx_herkx_restricted_kernelIlfLi16ELi32ELi8ELb1ELb0ELc67ELc76EKffEviT_T0_PT8_S1_lS4_S1_lS2_PT9_S1_li,"axG",@progbits,_ZL37rocblas_syrkx_herkx_restricted_kernelIlfLi16ELi32ELi8ELb1ELb0ELc67ELc76EKffEviT_T0_PT8_S1_lS4_S1_lS2_PT9_S1_li,comdat
	.globl	_ZL37rocblas_syrkx_herkx_restricted_kernelIlfLi16ELi32ELi8ELb1ELb0ELc67ELc76EKffEviT_T0_PT8_S1_lS4_S1_lS2_PT9_S1_li ; -- Begin function _ZL37rocblas_syrkx_herkx_restricted_kernelIlfLi16ELi32ELi8ELb1ELb0ELc67ELc76EKffEviT_T0_PT8_S1_lS4_S1_lS2_PT9_S1_li
	.p2align	8
	.type	_ZL37rocblas_syrkx_herkx_restricted_kernelIlfLi16ELi32ELi8ELb1ELb0ELc67ELc76EKffEviT_T0_PT8_S1_lS4_S1_lS2_PT9_S1_li,@function
_ZL37rocblas_syrkx_herkx_restricted_kernelIlfLi16ELi32ELi8ELb1ELb0ELc67ELc76EKffEviT_T0_PT8_S1_lS4_S1_lS2_PT9_S1_li: ; @_ZL37rocblas_syrkx_herkx_restricted_kernelIlfLi16ELi32ELi8ELb1ELb0ELc67ELc76EKffEviT_T0_PT8_S1_lS4_S1_lS2_PT9_S1_li
; %bb.0:
	s_load_b64 s[2:3], s[0:1], 0x8
	v_dual_mov_b32 v10, 0 :: v_dual_mov_b32 v9, 0
	v_dual_mov_b32 v7, 0 :: v_dual_and_b32 v6, 0x3ff, v0
	v_bfe_u32 v8, v0, 10, 10
	v_mov_b32_e32 v1, 0
	s_lshl_b32 s12, s13, 5
	s_lshl_b32 s13, s14, 5
	s_waitcnt lgkmcnt(0)
	v_cmp_lt_i64_e64 s4, s[2:3], 1
	s_delay_alu instid0(VALU_DEP_1)
	s_and_b32 vcc_lo, exec_lo, s4
	s_cbranch_vccnz .LBB951_3
; %bb.1:
	s_load_b128 s[16:19], s[0:1], 0x38
	v_lshl_add_u32 v2, v8, 4, v6
	s_load_b256 s[4:11], s[0:1], 0x18
	v_dual_mov_b32 v1, 0 :: v_dual_and_b32 v0, 7, v6
	v_lshlrev_b32_e32 v11, 2, v6
	s_delay_alu instid0(VALU_DEP_3) | instskip(SKIP_1) | instid1(VALU_DEP_4)
	v_lshrrev_b32_e32 v4, 3, v2
	v_and_b32_e32 v5, 31, v2
	v_lshlrev_b32_e32 v9, 2, v0
	v_lshrrev_b32_e32 v2, 5, v2
	v_mov_b32_e32 v3, v1
	v_add_nc_u32_e32 v7, s13, v4
	v_add_nc_u32_e32 v12, s12, v5
	v_lshlrev_b32_e32 v13, 2, v5
	v_lshl_or_b32 v14, v4, 5, v9
	s_delay_alu instid0(VALU_DEP_4) | instskip(NEXT) | instid1(VALU_DEP_4)
	v_ashrrev_i32_e32 v10, 31, v7
	v_ashrrev_i32_e32 v9, 31, v12
	s_waitcnt lgkmcnt(0)
	v_mul_lo_u32 v16, v7, s17
	s_delay_alu instid0(VALU_DEP_3)
	v_mul_lo_u32 v15, v10, s16
	v_mad_u64_u32 v[4:5], null, v7, s16, v[0:1]
	v_lshl_or_b32 v0, v2, 7, v13
	v_mul_lo_u32 v7, s6, v9
	v_mad_u64_u32 v[9:10], null, s6, v12, v[2:3]
	v_mul_lo_u32 v13, s7, v12
	s_mul_i32 s14, s19, s15
	s_mul_hi_u32 s17, s18, s15
	v_add3_u32 v5, v15, v5, v16
	s_mul_i32 s16, s18, s15
	s_add_i32 s17, s17, s14
	v_add_nc_u32_e32 v12, 0x400, v14
	s_lshl_b64 s[6:7], s[16:17], 2
	v_add3_u32 v10, v13, v10, v7
	v_mov_b32_e32 v7, v1
	v_lshlrev_b64 v[2:3], 2, v[4:5]
	s_add_u32 s10, s10, s6
	s_addc_u32 s11, s11, s7
	s_mul_i32 s6, s9, s15
	s_mul_hi_u32 s7, s8, s15
	v_lshlrev_b64 v[4:5], 2, v[9:10]
	s_add_i32 s7, s7, s6
	s_mul_i32 s6, s8, s15
	v_add_co_u32 v2, vcc_lo, s10, v2
	s_lshl_b64 s[6:7], s[6:7], 2
	v_add_co_ci_u32_e32 v3, vcc_lo, s11, v3, vcc_lo
	s_add_u32 s4, s4, s6
	s_addc_u32 s5, s5, s7
	v_add_co_u32 v4, vcc_lo, s4, v4
	v_lshl_add_u32 v13, v8, 5, 0x400
	v_add_co_ci_u32_e32 v5, vcc_lo, s5, v5, vcc_lo
	v_mov_b32_e32 v9, v1
	v_mov_b32_e32 v10, v1
	s_mov_b64 s[4:5], 0
.LBB951_2:                              ; =>This Inner Loop Header: Depth=1
	global_load_b32 v14, v[4:5], off
	global_load_b32 v15, v[2:3], off
	s_add_u32 s4, s4, 8
	v_add_co_u32 v2, vcc_lo, v2, 32
	s_addc_u32 s5, s5, 0
	v_add_co_ci_u32_e32 v3, vcc_lo, 0, v3, vcc_lo
	v_cmp_ge_u64_e64 s6, s[4:5], s[2:3]
	v_add_co_u32 v4, vcc_lo, v4, 32
	v_add_co_ci_u32_e32 v5, vcc_lo, 0, v5, vcc_lo
	s_waitcnt vmcnt(1)
	ds_store_b32 v0, v14
	s_waitcnt vmcnt(0)
	ds_store_b32 v12, v15
	s_waitcnt lgkmcnt(0)
	s_barrier
	buffer_gl0_inv
	ds_load_2addr_b32 v[30:31], v11 offset1:16
	ds_load_b128 v[14:17], v13
	ds_load_b128 v[18:21], v13 offset:512
	ds_load_2addr_b32 v[32:33], v11 offset0:32 offset1:48
	ds_load_2addr_b32 v[34:35], v11 offset0:64 offset1:80
	ds_load_b128 v[22:25], v13 offset:16
	ds_load_2addr_b32 v[36:37], v11 offset0:96 offset1:112
	ds_load_2addr_b32 v[38:39], v11 offset0:128 offset1:144
	;; [unrolled: 3-line block ×3, first 2 shown]
	ds_load_2addr_b32 v[44:45], v11 offset0:224 offset1:240
	s_and_b32 vcc_lo, exec_lo, s6
	s_waitcnt lgkmcnt(0)
	s_barrier
	buffer_gl0_inv
	v_fmac_f32_e32 v9, v31, v14
	s_delay_alu instid0(VALU_DEP_1) | instskip(NEXT) | instid1(VALU_DEP_1)
	v_dual_fmac_f32 v10, v30, v14 :: v_dual_fmac_f32 v9, v33, v15
	v_dual_fmac_f32 v10, v32, v15 :: v_dual_fmac_f32 v1, v31, v18
	s_delay_alu instid0(VALU_DEP_1) | instskip(NEXT) | instid1(VALU_DEP_1)
	v_fmac_f32_e32 v10, v34, v16
	v_dual_fmac_f32 v7, v30, v18 :: v_dual_fmac_f32 v10, v36, v17
	s_delay_alu instid0(VALU_DEP_1) | instskip(NEXT) | instid1(VALU_DEP_1)
	v_dual_fmac_f32 v7, v32, v19 :: v_dual_fmac_f32 v10, v38, v22
	v_dual_fmac_f32 v9, v35, v16 :: v_dual_fmac_f32 v10, v40, v23
	v_fmac_f32_e32 v1, v33, v19
	s_delay_alu instid0(VALU_DEP_2) | instskip(NEXT) | instid1(VALU_DEP_4)
	v_dual_fmac_f32 v9, v37, v17 :: v_dual_fmac_f32 v10, v42, v24
	v_fmac_f32_e32 v7, v34, v20
	s_delay_alu instid0(VALU_DEP_3) | instskip(NEXT) | instid1(VALU_DEP_3)
	v_fmac_f32_e32 v1, v35, v20
	v_dual_fmac_f32 v9, v39, v22 :: v_dual_fmac_f32 v10, v44, v25
	s_delay_alu instid0(VALU_DEP_3) | instskip(NEXT) | instid1(VALU_DEP_3)
	v_fmac_f32_e32 v7, v36, v21
	v_fmac_f32_e32 v1, v37, v21
	s_delay_alu instid0(VALU_DEP_3) | instskip(NEXT) | instid1(VALU_DEP_3)
	v_fmac_f32_e32 v9, v41, v23
	v_fmac_f32_e32 v7, v38, v26
	;; [unrolled: 3-line block ×5, first 2 shown]
	s_delay_alu instid0(VALU_DEP_3) | instskip(NEXT) | instid1(VALU_DEP_2)
	v_fmac_f32_e32 v1, v43, v28
	v_fmac_f32_e32 v7, v44, v29
	s_delay_alu instid0(VALU_DEP_2)
	v_fmac_f32_e32 v1, v45, v29
	s_cbranch_vccz .LBB951_2
.LBB951_3:
	s_clause 0x1
	s_load_b128 s[4:7], s[0:1], 0x50
	s_load_b64 s[10:11], s[0:1], 0x60
	v_add_nc_u32_e32 v0, s13, v8
	s_clause 0x1
	s_load_b32 s8, s[0:1], 0x0
	s_load_b32 s3, s[0:1], 0x10
	s_delay_alu instid0(VALU_DEP_1) | instskip(SKIP_1) | instid1(VALU_DEP_1)
	v_ashrrev_i32_e32 v2, 31, v0
	s_waitcnt lgkmcnt(0)
	v_mul_lo_u32 v5, v2, s6
	v_mul_lo_u32 v8, v0, s7
	v_mad_u64_u32 v[3:4], null, v0, s6, 0
	s_mul_i32 s1, s15, s11
	s_mul_hi_u32 s2, s15, s10
	s_mul_i32 s10, s15, s10
	s_add_i32 s11, s2, s1
	v_add_nc_u32_e32 v2, s12, v6
	s_lshl_b64 s[10:11], s[10:11], 2
	s_delay_alu instid0(VALU_DEP_2)
	v_add3_u32 v4, v4, v8, v5
	s_add_u32 s2, s4, s10
	s_addc_u32 s4, s5, s11
	v_cmp_le_i32_e64 s0, v0, v2
	v_cmp_gt_i32_e32 vcc_lo, s8, v2
	v_lshlrev_b64 v[3:4], 2, v[3:4]
	s_delay_alu instid0(VALU_DEP_3) | instskip(NEXT) | instid1(VALU_DEP_1)
	s_and_b32 s0, s0, vcc_lo
	v_add_co_u32 v6, s1, s2, v3
	s_delay_alu instid0(VALU_DEP_1)
	v_add_co_ci_u32_e64 v8, s1, s4, v4, s1
	s_and_saveexec_b32 s1, s0
	s_cbranch_execz .LBB951_5
; %bb.4:
	v_ashrrev_i32_e32 v3, 31, v2
	v_mul_f32_e32 v5, s3, v10
	s_delay_alu instid0(VALU_DEP_2) | instskip(NEXT) | instid1(VALU_DEP_1)
	v_lshlrev_b64 v[3:4], 2, v[2:3]
	v_add_co_u32 v3, s0, v6, v3
	s_delay_alu instid0(VALU_DEP_1)
	v_add_co_ci_u32_e64 v4, s0, v8, v4, s0
	global_store_b32 v[3:4], v5, off
.LBB951_5:
	s_or_b32 exec_lo, exec_lo, s1
	v_add_nc_u32_e32 v4, 16, v2
	s_delay_alu instid0(VALU_DEP_1) | instskip(SKIP_1) | instid1(VALU_DEP_1)
	v_cmp_le_i32_e64 s1, v0, v4
	v_cmp_gt_i32_e64 s0, s8, v4
	s_and_b32 s1, s1, s0
	s_delay_alu instid0(SALU_CYCLE_1)
	s_and_saveexec_b32 s5, s1
	s_cbranch_execz .LBB951_7
; %bb.6:
	v_ashrrev_i32_e32 v5, 31, v4
	v_mul_f32_e32 v3, s3, v9
	s_delay_alu instid0(VALU_DEP_2) | instskip(NEXT) | instid1(VALU_DEP_1)
	v_lshlrev_b64 v[10:11], 2, v[4:5]
	v_add_co_u32 v5, s1, v6, v10
	s_delay_alu instid0(VALU_DEP_1)
	v_add_co_ci_u32_e64 v6, s1, v8, v11, s1
	global_store_b32 v[5:6], v3, off
.LBB951_7:
	s_or_b32 exec_lo, exec_lo, s5
	v_add_nc_u32_e32 v5, 16, v0
	s_delay_alu instid0(VALU_DEP_1) | instskip(SKIP_3) | instid1(VALU_DEP_4)
	v_ashrrev_i32_e32 v0, 31, v5
	v_mul_lo_u32 v3, v5, s7
	v_mad_u64_u32 v[8:9], null, v5, s6, 0
	v_cmp_le_i32_e64 s1, v5, v2
	v_mul_lo_u32 v0, v0, s6
	s_delay_alu instid0(VALU_DEP_1) | instskip(NEXT) | instid1(VALU_DEP_1)
	v_add3_u32 v9, v9, v3, v0
	v_lshlrev_b64 v[8:9], 2, v[8:9]
	s_delay_alu instid0(VALU_DEP_1) | instskip(NEXT) | instid1(VALU_DEP_1)
	v_add_co_u32 v0, s2, s2, v8
	v_add_co_ci_u32_e64 v6, s2, s4, v9, s2
	s_and_b32 s2, s1, vcc_lo
	s_delay_alu instid0(SALU_CYCLE_1)
	s_and_saveexec_b32 s1, s2
	s_cbranch_execz .LBB951_9
; %bb.8:
	v_ashrrev_i32_e32 v3, 31, v2
	v_mul_f32_e32 v7, s3, v7
	s_delay_alu instid0(VALU_DEP_2) | instskip(NEXT) | instid1(VALU_DEP_1)
	v_lshlrev_b64 v[2:3], 2, v[2:3]
	v_add_co_u32 v2, vcc_lo, v0, v2
	s_delay_alu instid0(VALU_DEP_2)
	v_add_co_ci_u32_e32 v3, vcc_lo, v6, v3, vcc_lo
	global_store_b32 v[2:3], v7, off
.LBB951_9:
	s_or_b32 exec_lo, exec_lo, s1
	v_cmp_le_i32_e32 vcc_lo, v5, v4
	s_and_b32 s0, vcc_lo, s0
	s_delay_alu instid0(SALU_CYCLE_1)
	s_and_saveexec_b32 s1, s0
	s_cbranch_execz .LBB951_11
; %bb.10:
	v_ashrrev_i32_e32 v5, 31, v4
	s_delay_alu instid0(VALU_DEP_1) | instskip(SKIP_1) | instid1(VALU_DEP_2)
	v_lshlrev_b64 v[2:3], 2, v[4:5]
	v_mul_f32_e32 v4, s3, v1
	v_add_co_u32 v0, vcc_lo, v0, v2
	s_delay_alu instid0(VALU_DEP_3)
	v_add_co_ci_u32_e32 v1, vcc_lo, v6, v3, vcc_lo
	global_store_b32 v[0:1], v4, off
.LBB951_11:
	s_nop 0
	s_sendmsg sendmsg(MSG_DEALLOC_VGPRS)
	s_endpgm
	.section	.rodata,"a",@progbits
	.p2align	6, 0x0
	.amdhsa_kernel _ZL37rocblas_syrkx_herkx_restricted_kernelIlfLi16ELi32ELi8ELb1ELb0ELc67ELc76EKffEviT_T0_PT8_S1_lS4_S1_lS2_PT9_S1_li
		.amdhsa_group_segment_fixed_size 2048
		.amdhsa_private_segment_fixed_size 0
		.amdhsa_kernarg_size 108
		.amdhsa_user_sgpr_count 13
		.amdhsa_user_sgpr_dispatch_ptr 0
		.amdhsa_user_sgpr_queue_ptr 0
		.amdhsa_user_sgpr_kernarg_segment_ptr 1
		.amdhsa_user_sgpr_dispatch_id 0
		.amdhsa_user_sgpr_private_segment_size 0
		.amdhsa_wavefront_size32 1
		.amdhsa_uses_dynamic_stack 0
		.amdhsa_enable_private_segment 0
		.amdhsa_system_sgpr_workgroup_id_x 1
		.amdhsa_system_sgpr_workgroup_id_y 1
		.amdhsa_system_sgpr_workgroup_id_z 1
		.amdhsa_system_sgpr_workgroup_info 0
		.amdhsa_system_vgpr_workitem_id 1
		.amdhsa_next_free_vgpr 46
		.amdhsa_next_free_sgpr 20
		.amdhsa_reserve_vcc 1
		.amdhsa_float_round_mode_32 0
		.amdhsa_float_round_mode_16_64 0
		.amdhsa_float_denorm_mode_32 3
		.amdhsa_float_denorm_mode_16_64 3
		.amdhsa_dx10_clamp 1
		.amdhsa_ieee_mode 1
		.amdhsa_fp16_overflow 0
		.amdhsa_workgroup_processor_mode 1
		.amdhsa_memory_ordered 1
		.amdhsa_forward_progress 0
		.amdhsa_shared_vgpr_count 0
		.amdhsa_exception_fp_ieee_invalid_op 0
		.amdhsa_exception_fp_denorm_src 0
		.amdhsa_exception_fp_ieee_div_zero 0
		.amdhsa_exception_fp_ieee_overflow 0
		.amdhsa_exception_fp_ieee_underflow 0
		.amdhsa_exception_fp_ieee_inexact 0
		.amdhsa_exception_int_div_zero 0
	.end_amdhsa_kernel
	.section	.text._ZL37rocblas_syrkx_herkx_restricted_kernelIlfLi16ELi32ELi8ELb1ELb0ELc67ELc76EKffEviT_T0_PT8_S1_lS4_S1_lS2_PT9_S1_li,"axG",@progbits,_ZL37rocblas_syrkx_herkx_restricted_kernelIlfLi16ELi32ELi8ELb1ELb0ELc67ELc76EKffEviT_T0_PT8_S1_lS4_S1_lS2_PT9_S1_li,comdat
.Lfunc_end951:
	.size	_ZL37rocblas_syrkx_herkx_restricted_kernelIlfLi16ELi32ELi8ELb1ELb0ELc67ELc76EKffEviT_T0_PT8_S1_lS4_S1_lS2_PT9_S1_li, .Lfunc_end951-_ZL37rocblas_syrkx_herkx_restricted_kernelIlfLi16ELi32ELi8ELb1ELb0ELc67ELc76EKffEviT_T0_PT8_S1_lS4_S1_lS2_PT9_S1_li
                                        ; -- End function
	.section	.AMDGPU.csdata,"",@progbits
; Kernel info:
; codeLenInByte = 1316
; NumSgprs: 22
; NumVgprs: 46
; ScratchSize: 0
; MemoryBound: 0
; FloatMode: 240
; IeeeMode: 1
; LDSByteSize: 2048 bytes/workgroup (compile time only)
; SGPRBlocks: 2
; VGPRBlocks: 5
; NumSGPRsForWavesPerEU: 22
; NumVGPRsForWavesPerEU: 46
; Occupancy: 16
; WaveLimiterHint : 0
; COMPUTE_PGM_RSRC2:SCRATCH_EN: 0
; COMPUTE_PGM_RSRC2:USER_SGPR: 13
; COMPUTE_PGM_RSRC2:TRAP_HANDLER: 0
; COMPUTE_PGM_RSRC2:TGID_X_EN: 1
; COMPUTE_PGM_RSRC2:TGID_Y_EN: 1
; COMPUTE_PGM_RSRC2:TGID_Z_EN: 1
; COMPUTE_PGM_RSRC2:TIDIG_COMP_CNT: 1
	.section	.text._ZL37rocblas_syrkx_herkx_restricted_kernelIlfLi16ELi32ELi8ELb1ELb0ELc78ELc76EKffEviT_T0_PT8_S1_lS4_S1_lS2_PT9_S1_li,"axG",@progbits,_ZL37rocblas_syrkx_herkx_restricted_kernelIlfLi16ELi32ELi8ELb1ELb0ELc78ELc76EKffEviT_T0_PT8_S1_lS4_S1_lS2_PT9_S1_li,comdat
	.globl	_ZL37rocblas_syrkx_herkx_restricted_kernelIlfLi16ELi32ELi8ELb1ELb0ELc78ELc76EKffEviT_T0_PT8_S1_lS4_S1_lS2_PT9_S1_li ; -- Begin function _ZL37rocblas_syrkx_herkx_restricted_kernelIlfLi16ELi32ELi8ELb1ELb0ELc78ELc76EKffEviT_T0_PT8_S1_lS4_S1_lS2_PT9_S1_li
	.p2align	8
	.type	_ZL37rocblas_syrkx_herkx_restricted_kernelIlfLi16ELi32ELi8ELb1ELb0ELc78ELc76EKffEviT_T0_PT8_S1_lS4_S1_lS2_PT9_S1_li,@function
_ZL37rocblas_syrkx_herkx_restricted_kernelIlfLi16ELi32ELi8ELb1ELb0ELc78ELc76EKffEviT_T0_PT8_S1_lS4_S1_lS2_PT9_S1_li: ; @_ZL37rocblas_syrkx_herkx_restricted_kernelIlfLi16ELi32ELi8ELb1ELb0ELc78ELc76EKffEviT_T0_PT8_S1_lS4_S1_lS2_PT9_S1_li
; %bb.0:
	s_load_b64 s[2:3], s[0:1], 0x8
	v_dual_mov_b32 v11, 0 :: v_dual_mov_b32 v8, 0
	v_dual_mov_b32 v7, 0 :: v_dual_mov_b32 v4, 0
	v_and_b32_e32 v5, 0x3ff, v0
	v_bfe_u32 v6, v0, 10, 10
	s_lshl_b32 s12, s13, 5
	s_lshl_b32 s13, s14, 5
	s_waitcnt lgkmcnt(0)
	v_cmp_lt_i64_e64 s4, s[2:3], 1
	s_delay_alu instid0(VALU_DEP_1)
	s_and_b32 vcc_lo, exec_lo, s4
	s_cbranch_vccnz .LBB952_3
; %bb.1:
	s_load_b128 s[16:19], s[0:1], 0x38
	v_lshl_add_u32 v1, v6, 4, v5
	s_load_b256 s[4:11], s[0:1], 0x18
	v_and_b32_e32 v11, 7, v5
	v_lshlrev_b32_e32 v9, 2, v5
	v_lshl_add_u32 v10, v6, 5, 0x400
	v_lshrrev_b32_e32 v4, 3, v1
	v_and_b32_e32 v3, 31, v1
	v_lshrrev_b32_e32 v13, 5, v1
	v_lshlrev_b32_e32 v12, 2, v11
	s_delay_alu instid0(VALU_DEP_4) | instskip(NEXT) | instid1(VALU_DEP_4)
	v_add_nc_u32_e32 v0, s13, v4
	v_add_nc_u32_e32 v2, s12, v3
	v_lshlrev_b32_e32 v14, 2, v3
	s_delay_alu instid0(VALU_DEP_4) | instskip(NEXT) | instid1(VALU_DEP_4)
	v_lshl_or_b32 v16, v4, 5, v12
	v_ashrrev_i32_e32 v1, 31, v0
	s_delay_alu instid0(VALU_DEP_4) | instskip(NEXT) | instid1(VALU_DEP_4)
	v_ashrrev_i32_e32 v3, 31, v2
	v_lshl_or_b32 v12, v13, 7, v14
	s_waitcnt lgkmcnt(0)
	s_mul_i32 s14, s19, s15
	v_mad_u64_u32 v[7:8], null, v11, s16, v[0:1]
	v_mad_u64_u32 v[0:1], null, v13, s6, v[2:3]
	s_mul_hi_u32 s19, s18, s15
	s_mul_i32 s18, s18, s15
	s_add_i32 s19, s19, s14
	s_mul_i32 s9, s9, s15
	s_delay_alu instid0(VALU_DEP_2)
	v_mov_b32_e32 v2, v8
	s_lshl_b64 s[18:19], s[18:19], 2
	s_mul_hi_u32 s14, s8, s15
	s_add_u32 s18, s10, s18
	s_mul_i32 s8, s8, s15
	v_mad_u64_u32 v[3:4], null, v11, s17, v[2:3]
	v_mad_u64_u32 v[14:15], null, v13, s7, v[1:2]
	s_addc_u32 s19, s11, s19
	s_add_i32 s9, s14, s9
	v_add_nc_u32_e32 v13, 0x400, v16
	s_lshl_b64 s[10:11], s[8:9], 2
	s_delay_alu instid0(VALU_DEP_3) | instskip(SKIP_1) | instid1(VALU_DEP_3)
	v_mov_b32_e32 v8, v3
	s_lshl_b64 s[8:9], s[16:17], 5
	v_mov_b32_e32 v1, v14
	s_add_u32 s4, s4, s10
	s_addc_u32 s5, s5, s11
	v_lshlrev_b64 v[2:3], 2, v[7:8]
	v_mov_b32_e32 v4, 0
	v_lshlrev_b64 v[7:8], 2, v[0:1]
	v_mov_b32_e32 v11, 0
	s_delay_alu instid0(VALU_DEP_4) | instskip(SKIP_1) | instid1(VALU_DEP_4)
	v_add_co_u32 v0, vcc_lo, s18, v2
	v_add_co_ci_u32_e32 v1, vcc_lo, s19, v3, vcc_lo
	v_add_co_u32 v2, vcc_lo, s4, v7
	v_add_co_ci_u32_e32 v3, vcc_lo, s5, v8, vcc_lo
	v_dual_mov_b32 v8, 0 :: v_dual_mov_b32 v7, 0
	s_lshl_b64 s[4:5], s[6:7], 5
	s_mov_b64 s[6:7], 0
.LBB952_2:                              ; =>This Inner Loop Header: Depth=1
	global_load_b32 v14, v[2:3], off
	global_load_b32 v15, v[0:1], off
	s_add_u32 s6, s6, 8
	v_add_co_u32 v0, vcc_lo, v0, s8
	s_addc_u32 s7, s7, 0
	v_add_co_ci_u32_e32 v1, vcc_lo, s9, v1, vcc_lo
	v_cmp_ge_u64_e64 s10, s[6:7], s[2:3]
	v_add_co_u32 v2, vcc_lo, v2, s4
	v_add_co_ci_u32_e32 v3, vcc_lo, s5, v3, vcc_lo
	s_waitcnt vmcnt(1)
	ds_store_b32 v12, v14
	s_waitcnt vmcnt(0)
	ds_store_b32 v13, v15
	s_waitcnt lgkmcnt(0)
	s_barrier
	buffer_gl0_inv
	ds_load_2addr_b32 v[30:31], v9 offset1:16
	ds_load_b128 v[14:17], v10
	ds_load_b128 v[18:21], v10 offset:512
	ds_load_2addr_b32 v[32:33], v9 offset0:32 offset1:48
	ds_load_2addr_b32 v[34:35], v9 offset0:64 offset1:80
	ds_load_b128 v[22:25], v10 offset:16
	ds_load_2addr_b32 v[36:37], v9 offset0:96 offset1:112
	ds_load_2addr_b32 v[38:39], v9 offset0:128 offset1:144
	;; [unrolled: 3-line block ×3, first 2 shown]
	ds_load_2addr_b32 v[44:45], v9 offset0:224 offset1:240
	s_and_b32 vcc_lo, exec_lo, s10
	s_waitcnt lgkmcnt(0)
	s_barrier
	buffer_gl0_inv
	v_fmac_f32_e32 v8, v31, v14
	v_fmac_f32_e32 v11, v30, v14
	;; [unrolled: 1-line block ×3, first 2 shown]
	s_delay_alu instid0(VALU_DEP_3) | instskip(NEXT) | instid1(VALU_DEP_3)
	v_dual_fmac_f32 v7, v30, v18 :: v_dual_fmac_f32 v8, v33, v15
	v_fmac_f32_e32 v11, v32, v15
	s_delay_alu instid0(VALU_DEP_3) | instskip(NEXT) | instid1(VALU_DEP_3)
	v_fmac_f32_e32 v4, v33, v19
	v_dual_fmac_f32 v7, v32, v19 :: v_dual_fmac_f32 v8, v35, v16
	s_delay_alu instid0(VALU_DEP_3) | instskip(NEXT) | instid1(VALU_DEP_3)
	v_fmac_f32_e32 v11, v34, v16
	v_fmac_f32_e32 v4, v35, v20
	s_delay_alu instid0(VALU_DEP_3) | instskip(NEXT) | instid1(VALU_DEP_3)
	v_dual_fmac_f32 v7, v34, v20 :: v_dual_fmac_f32 v8, v37, v17
	v_fmac_f32_e32 v11, v36, v17
	s_delay_alu instid0(VALU_DEP_3) | instskip(NEXT) | instid1(VALU_DEP_3)
	v_fmac_f32_e32 v4, v37, v21
	v_dual_fmac_f32 v7, v36, v21 :: v_dual_fmac_f32 v8, v39, v22
	s_delay_alu instid0(VALU_DEP_3) | instskip(NEXT) | instid1(VALU_DEP_3)
	v_fmac_f32_e32 v11, v38, v22
	v_fmac_f32_e32 v4, v39, v26
	s_delay_alu instid0(VALU_DEP_3) | instskip(NEXT) | instid1(VALU_DEP_3)
	v_dual_fmac_f32 v7, v38, v26 :: v_dual_fmac_f32 v8, v41, v23
	v_fmac_f32_e32 v11, v40, v23
	s_delay_alu instid0(VALU_DEP_3) | instskip(NEXT) | instid1(VALU_DEP_3)
	v_fmac_f32_e32 v4, v41, v27
	v_dual_fmac_f32 v7, v40, v27 :: v_dual_fmac_f32 v8, v43, v24
	s_delay_alu instid0(VALU_DEP_3) | instskip(NEXT) | instid1(VALU_DEP_3)
	v_fmac_f32_e32 v11, v42, v24
	v_fmac_f32_e32 v4, v43, v28
	s_delay_alu instid0(VALU_DEP_3) | instskip(NEXT) | instid1(VALU_DEP_3)
	v_dual_fmac_f32 v7, v42, v28 :: v_dual_fmac_f32 v8, v45, v25
	v_fmac_f32_e32 v11, v44, v25
	s_delay_alu instid0(VALU_DEP_3) | instskip(NEXT) | instid1(VALU_DEP_3)
	v_fmac_f32_e32 v4, v45, v29
	v_fmac_f32_e32 v7, v44, v29
	s_cbranch_vccz .LBB952_2
.LBB952_3:
	s_clause 0x1
	s_load_b128 s[4:7], s[0:1], 0x50
	s_load_b64 s[10:11], s[0:1], 0x60
	v_add_nc_u32_e32 v6, s13, v6
	s_clause 0x1
	s_load_b32 s8, s[0:1], 0x0
	s_load_b32 s3, s[0:1], 0x10
	s_delay_alu instid0(VALU_DEP_1) | instskip(SKIP_1) | instid1(VALU_DEP_1)
	v_ashrrev_i32_e32 v0, 31, v6
	s_waitcnt lgkmcnt(0)
	v_mul_lo_u32 v3, v0, s6
	v_mul_lo_u32 v9, v6, s7
	v_mad_u64_u32 v[1:2], null, v6, s6, 0
	s_mul_i32 s1, s15, s11
	s_mul_hi_u32 s2, s15, s10
	s_mul_i32 s10, s15, s10
	s_add_i32 s11, s2, s1
	v_add_nc_u32_e32 v0, s12, v5
	s_lshl_b64 s[10:11], s[10:11], 2
	s_delay_alu instid0(VALU_DEP_2)
	v_add3_u32 v2, v2, v9, v3
	s_add_u32 s2, s4, s10
	s_addc_u32 s4, s5, s11
	v_cmp_le_i32_e64 s0, v6, v0
	v_cmp_gt_i32_e32 vcc_lo, s8, v0
	v_lshlrev_b64 v[1:2], 2, v[1:2]
	s_delay_alu instid0(VALU_DEP_3) | instskip(NEXT) | instid1(VALU_DEP_1)
	s_and_b32 s0, s0, vcc_lo
	v_add_co_u32 v5, s1, s2, v1
	s_delay_alu instid0(VALU_DEP_1)
	v_add_co_ci_u32_e64 v9, s1, s4, v2, s1
	s_and_saveexec_b32 s1, s0
	s_cbranch_execz .LBB952_5
; %bb.4:
	v_ashrrev_i32_e32 v1, 31, v0
	v_mul_f32_e32 v3, s3, v11
	s_delay_alu instid0(VALU_DEP_2) | instskip(NEXT) | instid1(VALU_DEP_1)
	v_lshlrev_b64 v[1:2], 2, v[0:1]
	v_add_co_u32 v1, s0, v5, v1
	s_delay_alu instid0(VALU_DEP_1)
	v_add_co_ci_u32_e64 v2, s0, v9, v2, s0
	global_store_b32 v[1:2], v3, off
.LBB952_5:
	s_or_b32 exec_lo, exec_lo, s1
	v_add_nc_u32_e32 v2, 16, v0
	s_delay_alu instid0(VALU_DEP_1) | instskip(SKIP_1) | instid1(VALU_DEP_1)
	v_cmp_le_i32_e64 s1, v6, v2
	v_cmp_gt_i32_e64 s0, s8, v2
	s_and_b32 s1, s1, s0
	s_delay_alu instid0(SALU_CYCLE_1)
	s_and_saveexec_b32 s5, s1
	s_cbranch_execz .LBB952_7
; %bb.6:
	v_ashrrev_i32_e32 v3, 31, v2
	v_mul_f32_e32 v1, s3, v8
	s_delay_alu instid0(VALU_DEP_2) | instskip(NEXT) | instid1(VALU_DEP_1)
	v_lshlrev_b64 v[10:11], 2, v[2:3]
	v_add_co_u32 v8, s1, v5, v10
	s_delay_alu instid0(VALU_DEP_1)
	v_add_co_ci_u32_e64 v9, s1, v9, v11, s1
	global_store_b32 v[8:9], v1, off
.LBB952_7:
	s_or_b32 exec_lo, exec_lo, s5
	v_add_nc_u32_e32 v3, 16, v6
	s_delay_alu instid0(VALU_DEP_1) | instskip(SKIP_3) | instid1(VALU_DEP_4)
	v_ashrrev_i32_e32 v1, 31, v3
	v_mul_lo_u32 v8, v3, s7
	v_mad_u64_u32 v[5:6], null, v3, s6, 0
	v_cmp_le_i32_e64 s1, v3, v0
	v_mul_lo_u32 v1, v1, s6
	s_delay_alu instid0(VALU_DEP_1) | instskip(NEXT) | instid1(VALU_DEP_1)
	v_add3_u32 v6, v6, v8, v1
	v_lshlrev_b64 v[5:6], 2, v[5:6]
	s_delay_alu instid0(VALU_DEP_1) | instskip(NEXT) | instid1(VALU_DEP_1)
	v_add_co_u32 v5, s2, s2, v5
	v_add_co_ci_u32_e64 v6, s2, s4, v6, s2
	s_and_b32 s2, s1, vcc_lo
	s_delay_alu instid0(SALU_CYCLE_1)
	s_and_saveexec_b32 s1, s2
	s_cbranch_execz .LBB952_9
; %bb.8:
	v_ashrrev_i32_e32 v1, 31, v0
	v_mul_f32_e32 v7, s3, v7
	s_delay_alu instid0(VALU_DEP_2) | instskip(NEXT) | instid1(VALU_DEP_1)
	v_lshlrev_b64 v[0:1], 2, v[0:1]
	v_add_co_u32 v0, vcc_lo, v5, v0
	s_delay_alu instid0(VALU_DEP_2)
	v_add_co_ci_u32_e32 v1, vcc_lo, v6, v1, vcc_lo
	global_store_b32 v[0:1], v7, off
.LBB952_9:
	s_or_b32 exec_lo, exec_lo, s1
	v_cmp_le_i32_e32 vcc_lo, v3, v2
	s_and_b32 s0, vcc_lo, s0
	s_delay_alu instid0(SALU_CYCLE_1)
	s_and_saveexec_b32 s1, s0
	s_cbranch_execz .LBB952_11
; %bb.10:
	v_ashrrev_i32_e32 v3, 31, v2
	s_delay_alu instid0(VALU_DEP_1) | instskip(SKIP_1) | instid1(VALU_DEP_2)
	v_lshlrev_b64 v[0:1], 2, v[2:3]
	v_mul_f32_e32 v2, s3, v4
	v_add_co_u32 v0, vcc_lo, v5, v0
	s_delay_alu instid0(VALU_DEP_3)
	v_add_co_ci_u32_e32 v1, vcc_lo, v6, v1, vcc_lo
	global_store_b32 v[0:1], v2, off
.LBB952_11:
	s_nop 0
	s_sendmsg sendmsg(MSG_DEALLOC_VGPRS)
	s_endpgm
	.section	.rodata,"a",@progbits
	.p2align	6, 0x0
	.amdhsa_kernel _ZL37rocblas_syrkx_herkx_restricted_kernelIlfLi16ELi32ELi8ELb1ELb0ELc78ELc76EKffEviT_T0_PT8_S1_lS4_S1_lS2_PT9_S1_li
		.amdhsa_group_segment_fixed_size 2048
		.amdhsa_private_segment_fixed_size 0
		.amdhsa_kernarg_size 108
		.amdhsa_user_sgpr_count 13
		.amdhsa_user_sgpr_dispatch_ptr 0
		.amdhsa_user_sgpr_queue_ptr 0
		.amdhsa_user_sgpr_kernarg_segment_ptr 1
		.amdhsa_user_sgpr_dispatch_id 0
		.amdhsa_user_sgpr_private_segment_size 0
		.amdhsa_wavefront_size32 1
		.amdhsa_uses_dynamic_stack 0
		.amdhsa_enable_private_segment 0
		.amdhsa_system_sgpr_workgroup_id_x 1
		.amdhsa_system_sgpr_workgroup_id_y 1
		.amdhsa_system_sgpr_workgroup_id_z 1
		.amdhsa_system_sgpr_workgroup_info 0
		.amdhsa_system_vgpr_workitem_id 1
		.amdhsa_next_free_vgpr 46
		.amdhsa_next_free_sgpr 20
		.amdhsa_reserve_vcc 1
		.amdhsa_float_round_mode_32 0
		.amdhsa_float_round_mode_16_64 0
		.amdhsa_float_denorm_mode_32 3
		.amdhsa_float_denorm_mode_16_64 3
		.amdhsa_dx10_clamp 1
		.amdhsa_ieee_mode 1
		.amdhsa_fp16_overflow 0
		.amdhsa_workgroup_processor_mode 1
		.amdhsa_memory_ordered 1
		.amdhsa_forward_progress 0
		.amdhsa_shared_vgpr_count 0
		.amdhsa_exception_fp_ieee_invalid_op 0
		.amdhsa_exception_fp_denorm_src 0
		.amdhsa_exception_fp_ieee_div_zero 0
		.amdhsa_exception_fp_ieee_overflow 0
		.amdhsa_exception_fp_ieee_underflow 0
		.amdhsa_exception_fp_ieee_inexact 0
		.amdhsa_exception_int_div_zero 0
	.end_amdhsa_kernel
	.section	.text._ZL37rocblas_syrkx_herkx_restricted_kernelIlfLi16ELi32ELi8ELb1ELb0ELc78ELc76EKffEviT_T0_PT8_S1_lS4_S1_lS2_PT9_S1_li,"axG",@progbits,_ZL37rocblas_syrkx_herkx_restricted_kernelIlfLi16ELi32ELi8ELb1ELb0ELc78ELc76EKffEviT_T0_PT8_S1_lS4_S1_lS2_PT9_S1_li,comdat
.Lfunc_end952:
	.size	_ZL37rocblas_syrkx_herkx_restricted_kernelIlfLi16ELi32ELi8ELb1ELb0ELc78ELc76EKffEviT_T0_PT8_S1_lS4_S1_lS2_PT9_S1_li, .Lfunc_end952-_ZL37rocblas_syrkx_herkx_restricted_kernelIlfLi16ELi32ELi8ELb1ELb0ELc78ELc76EKffEviT_T0_PT8_S1_lS4_S1_lS2_PT9_S1_li
                                        ; -- End function
	.section	.AMDGPU.csdata,"",@progbits
; Kernel info:
; codeLenInByte = 1308
; NumSgprs: 22
; NumVgprs: 46
; ScratchSize: 0
; MemoryBound: 0
; FloatMode: 240
; IeeeMode: 1
; LDSByteSize: 2048 bytes/workgroup (compile time only)
; SGPRBlocks: 2
; VGPRBlocks: 5
; NumSGPRsForWavesPerEU: 22
; NumVGPRsForWavesPerEU: 46
; Occupancy: 16
; WaveLimiterHint : 0
; COMPUTE_PGM_RSRC2:SCRATCH_EN: 0
; COMPUTE_PGM_RSRC2:USER_SGPR: 13
; COMPUTE_PGM_RSRC2:TRAP_HANDLER: 0
; COMPUTE_PGM_RSRC2:TGID_X_EN: 1
; COMPUTE_PGM_RSRC2:TGID_Y_EN: 1
; COMPUTE_PGM_RSRC2:TGID_Z_EN: 1
; COMPUTE_PGM_RSRC2:TIDIG_COMP_CNT: 1
	.section	.text._ZL37rocblas_syrkx_herkx_restricted_kernelIlfLi16ELi32ELi8ELb1ELb0ELc84ELc85EKffEviT_T0_PT8_S1_lS4_S1_lS2_PT9_S1_li,"axG",@progbits,_ZL37rocblas_syrkx_herkx_restricted_kernelIlfLi16ELi32ELi8ELb1ELb0ELc84ELc85EKffEviT_T0_PT8_S1_lS4_S1_lS2_PT9_S1_li,comdat
	.globl	_ZL37rocblas_syrkx_herkx_restricted_kernelIlfLi16ELi32ELi8ELb1ELb0ELc84ELc85EKffEviT_T0_PT8_S1_lS4_S1_lS2_PT9_S1_li ; -- Begin function _ZL37rocblas_syrkx_herkx_restricted_kernelIlfLi16ELi32ELi8ELb1ELb0ELc84ELc85EKffEviT_T0_PT8_S1_lS4_S1_lS2_PT9_S1_li
	.p2align	8
	.type	_ZL37rocblas_syrkx_herkx_restricted_kernelIlfLi16ELi32ELi8ELb1ELb0ELc84ELc85EKffEviT_T0_PT8_S1_lS4_S1_lS2_PT9_S1_li,@function
_ZL37rocblas_syrkx_herkx_restricted_kernelIlfLi16ELi32ELi8ELb1ELb0ELc84ELc85EKffEviT_T0_PT8_S1_lS4_S1_lS2_PT9_S1_li: ; @_ZL37rocblas_syrkx_herkx_restricted_kernelIlfLi16ELi32ELi8ELb1ELb0ELc84ELc85EKffEviT_T0_PT8_S1_lS4_S1_lS2_PT9_S1_li
; %bb.0:
	s_load_b64 s[2:3], s[0:1], 0x8
	v_dual_mov_b32 v10, 0 :: v_dual_mov_b32 v9, 0
	v_dual_mov_b32 v7, 0 :: v_dual_and_b32 v6, 0x3ff, v0
	v_bfe_u32 v8, v0, 10, 10
	v_mov_b32_e32 v1, 0
	s_lshl_b32 s12, s13, 5
	s_lshl_b32 s13, s14, 5
	s_waitcnt lgkmcnt(0)
	v_cmp_lt_i64_e64 s4, s[2:3], 1
	s_delay_alu instid0(VALU_DEP_1)
	s_and_b32 vcc_lo, exec_lo, s4
	s_cbranch_vccnz .LBB953_3
; %bb.1:
	s_load_b128 s[16:19], s[0:1], 0x38
	v_lshl_add_u32 v2, v8, 4, v6
	s_load_b256 s[4:11], s[0:1], 0x18
	v_dual_mov_b32 v1, 0 :: v_dual_and_b32 v0, 7, v6
	v_lshlrev_b32_e32 v11, 2, v6
	s_delay_alu instid0(VALU_DEP_3) | instskip(SKIP_1) | instid1(VALU_DEP_4)
	v_lshrrev_b32_e32 v4, 3, v2
	v_and_b32_e32 v5, 31, v2
	v_lshlrev_b32_e32 v9, 2, v0
	v_lshrrev_b32_e32 v2, 5, v2
	v_mov_b32_e32 v3, v1
	v_add_nc_u32_e32 v7, s13, v4
	v_add_nc_u32_e32 v12, s12, v5
	v_lshlrev_b32_e32 v13, 2, v5
	v_lshl_or_b32 v14, v4, 5, v9
	s_delay_alu instid0(VALU_DEP_4) | instskip(NEXT) | instid1(VALU_DEP_4)
	v_ashrrev_i32_e32 v10, 31, v7
	v_ashrrev_i32_e32 v9, 31, v12
	s_waitcnt lgkmcnt(0)
	v_mul_lo_u32 v16, v7, s17
	s_delay_alu instid0(VALU_DEP_3)
	v_mul_lo_u32 v15, v10, s16
	v_mad_u64_u32 v[4:5], null, v7, s16, v[0:1]
	v_lshl_or_b32 v0, v2, 7, v13
	v_mul_lo_u32 v7, s6, v9
	v_mad_u64_u32 v[9:10], null, s6, v12, v[2:3]
	v_mul_lo_u32 v13, s7, v12
	s_mul_i32 s14, s19, s15
	s_mul_hi_u32 s17, s18, s15
	v_add3_u32 v5, v15, v5, v16
	s_mul_i32 s16, s18, s15
	s_add_i32 s17, s17, s14
	v_add_nc_u32_e32 v12, 0x400, v14
	s_lshl_b64 s[6:7], s[16:17], 2
	v_add3_u32 v10, v13, v10, v7
	v_mov_b32_e32 v7, v1
	v_lshlrev_b64 v[2:3], 2, v[4:5]
	s_add_u32 s10, s10, s6
	s_addc_u32 s11, s11, s7
	s_mul_i32 s6, s9, s15
	s_mul_hi_u32 s7, s8, s15
	v_lshlrev_b64 v[4:5], 2, v[9:10]
	s_add_i32 s7, s7, s6
	s_mul_i32 s6, s8, s15
	v_add_co_u32 v2, vcc_lo, s10, v2
	s_lshl_b64 s[6:7], s[6:7], 2
	v_add_co_ci_u32_e32 v3, vcc_lo, s11, v3, vcc_lo
	s_add_u32 s4, s4, s6
	s_addc_u32 s5, s5, s7
	v_add_co_u32 v4, vcc_lo, s4, v4
	v_lshl_add_u32 v13, v8, 5, 0x400
	v_add_co_ci_u32_e32 v5, vcc_lo, s5, v5, vcc_lo
	v_mov_b32_e32 v9, v1
	v_mov_b32_e32 v10, v1
	s_mov_b64 s[4:5], 0
.LBB953_2:                              ; =>This Inner Loop Header: Depth=1
	global_load_b32 v14, v[4:5], off
	global_load_b32 v15, v[2:3], off
	s_add_u32 s4, s4, 8
	v_add_co_u32 v2, vcc_lo, v2, 32
	s_addc_u32 s5, s5, 0
	v_add_co_ci_u32_e32 v3, vcc_lo, 0, v3, vcc_lo
	v_cmp_ge_u64_e64 s6, s[4:5], s[2:3]
	v_add_co_u32 v4, vcc_lo, v4, 32
	v_add_co_ci_u32_e32 v5, vcc_lo, 0, v5, vcc_lo
	s_waitcnt vmcnt(1)
	ds_store_b32 v0, v14
	s_waitcnt vmcnt(0)
	ds_store_b32 v12, v15
	s_waitcnt lgkmcnt(0)
	s_barrier
	buffer_gl0_inv
	ds_load_2addr_b32 v[30:31], v11 offset1:16
	ds_load_b128 v[14:17], v13
	ds_load_b128 v[18:21], v13 offset:512
	ds_load_2addr_b32 v[32:33], v11 offset0:32 offset1:48
	ds_load_2addr_b32 v[34:35], v11 offset0:64 offset1:80
	ds_load_b128 v[22:25], v13 offset:16
	ds_load_2addr_b32 v[36:37], v11 offset0:96 offset1:112
	ds_load_2addr_b32 v[38:39], v11 offset0:128 offset1:144
	;; [unrolled: 3-line block ×3, first 2 shown]
	ds_load_2addr_b32 v[44:45], v11 offset0:224 offset1:240
	s_and_b32 vcc_lo, exec_lo, s6
	s_waitcnt lgkmcnt(0)
	s_barrier
	buffer_gl0_inv
	v_fmac_f32_e32 v9, v31, v14
	s_delay_alu instid0(VALU_DEP_1) | instskip(NEXT) | instid1(VALU_DEP_1)
	v_dual_fmac_f32 v10, v30, v14 :: v_dual_fmac_f32 v9, v33, v15
	v_dual_fmac_f32 v10, v32, v15 :: v_dual_fmac_f32 v1, v31, v18
	s_delay_alu instid0(VALU_DEP_1) | instskip(NEXT) | instid1(VALU_DEP_1)
	v_fmac_f32_e32 v10, v34, v16
	v_dual_fmac_f32 v7, v30, v18 :: v_dual_fmac_f32 v10, v36, v17
	s_delay_alu instid0(VALU_DEP_1) | instskip(NEXT) | instid1(VALU_DEP_1)
	v_dual_fmac_f32 v7, v32, v19 :: v_dual_fmac_f32 v10, v38, v22
	v_dual_fmac_f32 v9, v35, v16 :: v_dual_fmac_f32 v10, v40, v23
	v_fmac_f32_e32 v1, v33, v19
	s_delay_alu instid0(VALU_DEP_2) | instskip(NEXT) | instid1(VALU_DEP_4)
	v_dual_fmac_f32 v9, v37, v17 :: v_dual_fmac_f32 v10, v42, v24
	v_fmac_f32_e32 v7, v34, v20
	s_delay_alu instid0(VALU_DEP_3) | instskip(NEXT) | instid1(VALU_DEP_3)
	v_fmac_f32_e32 v1, v35, v20
	v_dual_fmac_f32 v9, v39, v22 :: v_dual_fmac_f32 v10, v44, v25
	s_delay_alu instid0(VALU_DEP_3) | instskip(NEXT) | instid1(VALU_DEP_3)
	v_fmac_f32_e32 v7, v36, v21
	v_fmac_f32_e32 v1, v37, v21
	s_delay_alu instid0(VALU_DEP_3) | instskip(NEXT) | instid1(VALU_DEP_3)
	v_fmac_f32_e32 v9, v41, v23
	v_fmac_f32_e32 v7, v38, v26
	;; [unrolled: 3-line block ×5, first 2 shown]
	s_delay_alu instid0(VALU_DEP_3) | instskip(NEXT) | instid1(VALU_DEP_2)
	v_fmac_f32_e32 v1, v43, v28
	v_fmac_f32_e32 v7, v44, v29
	s_delay_alu instid0(VALU_DEP_2)
	v_fmac_f32_e32 v1, v45, v29
	s_cbranch_vccz .LBB953_2
.LBB953_3:
	s_clause 0x1
	s_load_b128 s[4:7], s[0:1], 0x50
	s_load_b64 s[8:9], s[0:1], 0x60
	v_add_nc_u32_e32 v0, s13, v8
	s_clause 0x1
	s_load_b32 s3, s[0:1], 0x0
	s_load_b32 s2, s[0:1], 0x10
	s_delay_alu instid0(VALU_DEP_1) | instskip(SKIP_1) | instid1(VALU_DEP_1)
	v_ashrrev_i32_e32 v2, 31, v0
	s_waitcnt lgkmcnt(0)
	v_mul_lo_u32 v5, v2, s6
	v_mul_lo_u32 v8, v0, s7
	v_mad_u64_u32 v[3:4], null, v0, s6, 0
	s_mul_i32 s1, s15, s9
	s_mul_hi_u32 s9, s15, s8
	s_mul_i32 s8, s15, s8
	s_add_i32 s9, s9, s1
	v_add_nc_u32_e32 v2, s12, v6
	s_lshl_b64 s[8:9], s[8:9], 2
	s_delay_alu instid0(VALU_DEP_2)
	v_add3_u32 v4, v4, v8, v5
	s_add_u32 s4, s4, s8
	v_cmp_gt_i32_e32 vcc_lo, s3, v0
	v_cmp_le_i32_e64 s0, v2, v0
	s_addc_u32 s5, s5, s9
	v_lshlrev_b64 v[3:4], 2, v[3:4]
	s_delay_alu instid0(VALU_DEP_2) | instskip(NEXT) | instid1(VALU_DEP_1)
	s_and_b32 s0, vcc_lo, s0
	v_add_co_u32 v6, s1, s4, v3
	s_delay_alu instid0(VALU_DEP_1)
	v_add_co_ci_u32_e64 v8, s1, s5, v4, s1
	s_and_saveexec_b32 s1, s0
	s_cbranch_execz .LBB953_5
; %bb.4:
	v_ashrrev_i32_e32 v3, 31, v2
	v_mul_f32_e32 v5, s2, v10
	s_delay_alu instid0(VALU_DEP_2) | instskip(NEXT) | instid1(VALU_DEP_1)
	v_lshlrev_b64 v[3:4], 2, v[2:3]
	v_add_co_u32 v3, s0, v6, v3
	s_delay_alu instid0(VALU_DEP_1)
	v_add_co_ci_u32_e64 v4, s0, v8, v4, s0
	global_store_b32 v[3:4], v5, off
.LBB953_5:
	s_or_b32 exec_lo, exec_lo, s1
	v_add_nc_u32_e32 v4, 16, v2
	s_delay_alu instid0(VALU_DEP_1) | instskip(NEXT) | instid1(VALU_DEP_1)
	v_cmp_le_i32_e64 s0, v4, v0
	s_and_b32 s1, vcc_lo, s0
	s_delay_alu instid0(SALU_CYCLE_1)
	s_and_saveexec_b32 s0, s1
	s_cbranch_execz .LBB953_7
; %bb.6:
	v_ashrrev_i32_e32 v5, 31, v4
	v_mul_f32_e32 v3, s2, v9
	s_delay_alu instid0(VALU_DEP_2) | instskip(NEXT) | instid1(VALU_DEP_1)
	v_lshlrev_b64 v[10:11], 2, v[4:5]
	v_add_co_u32 v5, vcc_lo, v6, v10
	s_delay_alu instid0(VALU_DEP_2)
	v_add_co_ci_u32_e32 v6, vcc_lo, v8, v11, vcc_lo
	global_store_b32 v[5:6], v3, off
.LBB953_7:
	s_or_b32 exec_lo, exec_lo, s0
	v_add_nc_u32_e32 v0, 16, v0
	s_delay_alu instid0(VALU_DEP_1) | instskip(SKIP_3) | instid1(VALU_DEP_4)
	v_ashrrev_i32_e32 v3, 31, v0
	v_mul_lo_u32 v8, v0, s7
	v_mad_u64_u32 v[5:6], null, v0, s6, 0
	v_cmp_gt_i32_e32 vcc_lo, s3, v0
	v_mul_lo_u32 v3, v3, s6
	v_cmp_le_i32_e64 s0, v2, v0
	s_delay_alu instid0(VALU_DEP_1) | instskip(NEXT) | instid1(VALU_DEP_2)
	s_and_b32 s0, vcc_lo, s0
	v_add3_u32 v6, v6, v8, v3
	s_delay_alu instid0(VALU_DEP_1) | instskip(NEXT) | instid1(VALU_DEP_1)
	v_lshlrev_b64 v[8:9], 2, v[5:6]
	v_add_co_u32 v6, s1, s4, v8
	s_delay_alu instid0(VALU_DEP_1)
	v_add_co_ci_u32_e64 v8, s1, s5, v9, s1
	s_and_saveexec_b32 s1, s0
	s_cbranch_execz .LBB953_9
; %bb.8:
	v_ashrrev_i32_e32 v3, 31, v2
	v_mul_f32_e32 v5, s2, v7
	s_delay_alu instid0(VALU_DEP_2) | instskip(NEXT) | instid1(VALU_DEP_1)
	v_lshlrev_b64 v[2:3], 2, v[2:3]
	v_add_co_u32 v2, s0, v6, v2
	s_delay_alu instid0(VALU_DEP_1)
	v_add_co_ci_u32_e64 v3, s0, v8, v3, s0
	global_store_b32 v[2:3], v5, off
.LBB953_9:
	s_or_b32 exec_lo, exec_lo, s1
	v_cmp_le_i32_e64 s0, v4, v0
	s_delay_alu instid0(VALU_DEP_1) | instskip(NEXT) | instid1(SALU_CYCLE_1)
	s_and_b32 s0, vcc_lo, s0
	s_and_saveexec_b32 s1, s0
	s_cbranch_execz .LBB953_11
; %bb.10:
	v_ashrrev_i32_e32 v5, 31, v4
	s_delay_alu instid0(VALU_DEP_1) | instskip(SKIP_1) | instid1(VALU_DEP_2)
	v_lshlrev_b64 v[2:3], 2, v[4:5]
	v_mul_f32_e32 v4, s2, v1
	v_add_co_u32 v0, vcc_lo, v6, v2
	s_delay_alu instid0(VALU_DEP_3)
	v_add_co_ci_u32_e32 v1, vcc_lo, v8, v3, vcc_lo
	global_store_b32 v[0:1], v4, off
.LBB953_11:
	s_nop 0
	s_sendmsg sendmsg(MSG_DEALLOC_VGPRS)
	s_endpgm
	.section	.rodata,"a",@progbits
	.p2align	6, 0x0
	.amdhsa_kernel _ZL37rocblas_syrkx_herkx_restricted_kernelIlfLi16ELi32ELi8ELb1ELb0ELc84ELc85EKffEviT_T0_PT8_S1_lS4_S1_lS2_PT9_S1_li
		.amdhsa_group_segment_fixed_size 2048
		.amdhsa_private_segment_fixed_size 0
		.amdhsa_kernarg_size 108
		.amdhsa_user_sgpr_count 13
		.amdhsa_user_sgpr_dispatch_ptr 0
		.amdhsa_user_sgpr_queue_ptr 0
		.amdhsa_user_sgpr_kernarg_segment_ptr 1
		.amdhsa_user_sgpr_dispatch_id 0
		.amdhsa_user_sgpr_private_segment_size 0
		.amdhsa_wavefront_size32 1
		.amdhsa_uses_dynamic_stack 0
		.amdhsa_enable_private_segment 0
		.amdhsa_system_sgpr_workgroup_id_x 1
		.amdhsa_system_sgpr_workgroup_id_y 1
		.amdhsa_system_sgpr_workgroup_id_z 1
		.amdhsa_system_sgpr_workgroup_info 0
		.amdhsa_system_vgpr_workitem_id 1
		.amdhsa_next_free_vgpr 46
		.amdhsa_next_free_sgpr 20
		.amdhsa_reserve_vcc 1
		.amdhsa_float_round_mode_32 0
		.amdhsa_float_round_mode_16_64 0
		.amdhsa_float_denorm_mode_32 3
		.amdhsa_float_denorm_mode_16_64 3
		.amdhsa_dx10_clamp 1
		.amdhsa_ieee_mode 1
		.amdhsa_fp16_overflow 0
		.amdhsa_workgroup_processor_mode 1
		.amdhsa_memory_ordered 1
		.amdhsa_forward_progress 0
		.amdhsa_shared_vgpr_count 0
		.amdhsa_exception_fp_ieee_invalid_op 0
		.amdhsa_exception_fp_denorm_src 0
		.amdhsa_exception_fp_ieee_div_zero 0
		.amdhsa_exception_fp_ieee_overflow 0
		.amdhsa_exception_fp_ieee_underflow 0
		.amdhsa_exception_fp_ieee_inexact 0
		.amdhsa_exception_int_div_zero 0
	.end_amdhsa_kernel
	.section	.text._ZL37rocblas_syrkx_herkx_restricted_kernelIlfLi16ELi32ELi8ELb1ELb0ELc84ELc85EKffEviT_T0_PT8_S1_lS4_S1_lS2_PT9_S1_li,"axG",@progbits,_ZL37rocblas_syrkx_herkx_restricted_kernelIlfLi16ELi32ELi8ELb1ELb0ELc84ELc85EKffEviT_T0_PT8_S1_lS4_S1_lS2_PT9_S1_li,comdat
.Lfunc_end953:
	.size	_ZL37rocblas_syrkx_herkx_restricted_kernelIlfLi16ELi32ELi8ELb1ELb0ELc84ELc85EKffEviT_T0_PT8_S1_lS4_S1_lS2_PT9_S1_li, .Lfunc_end953-_ZL37rocblas_syrkx_herkx_restricted_kernelIlfLi16ELi32ELi8ELb1ELb0ELc84ELc85EKffEviT_T0_PT8_S1_lS4_S1_lS2_PT9_S1_li
                                        ; -- End function
	.section	.AMDGPU.csdata,"",@progbits
; Kernel info:
; codeLenInByte = 1316
; NumSgprs: 22
; NumVgprs: 46
; ScratchSize: 0
; MemoryBound: 0
; FloatMode: 240
; IeeeMode: 1
; LDSByteSize: 2048 bytes/workgroup (compile time only)
; SGPRBlocks: 2
; VGPRBlocks: 5
; NumSGPRsForWavesPerEU: 22
; NumVGPRsForWavesPerEU: 46
; Occupancy: 16
; WaveLimiterHint : 0
; COMPUTE_PGM_RSRC2:SCRATCH_EN: 0
; COMPUTE_PGM_RSRC2:USER_SGPR: 13
; COMPUTE_PGM_RSRC2:TRAP_HANDLER: 0
; COMPUTE_PGM_RSRC2:TGID_X_EN: 1
; COMPUTE_PGM_RSRC2:TGID_Y_EN: 1
; COMPUTE_PGM_RSRC2:TGID_Z_EN: 1
; COMPUTE_PGM_RSRC2:TIDIG_COMP_CNT: 1
	.section	.text._ZL37rocblas_syrkx_herkx_restricted_kernelIlfLi16ELi32ELi8ELb1ELb0ELc67ELc85EKffEviT_T0_PT8_S1_lS4_S1_lS2_PT9_S1_li,"axG",@progbits,_ZL37rocblas_syrkx_herkx_restricted_kernelIlfLi16ELi32ELi8ELb1ELb0ELc67ELc85EKffEviT_T0_PT8_S1_lS4_S1_lS2_PT9_S1_li,comdat
	.globl	_ZL37rocblas_syrkx_herkx_restricted_kernelIlfLi16ELi32ELi8ELb1ELb0ELc67ELc85EKffEviT_T0_PT8_S1_lS4_S1_lS2_PT9_S1_li ; -- Begin function _ZL37rocblas_syrkx_herkx_restricted_kernelIlfLi16ELi32ELi8ELb1ELb0ELc67ELc85EKffEviT_T0_PT8_S1_lS4_S1_lS2_PT9_S1_li
	.p2align	8
	.type	_ZL37rocblas_syrkx_herkx_restricted_kernelIlfLi16ELi32ELi8ELb1ELb0ELc67ELc85EKffEviT_T0_PT8_S1_lS4_S1_lS2_PT9_S1_li,@function
_ZL37rocblas_syrkx_herkx_restricted_kernelIlfLi16ELi32ELi8ELb1ELb0ELc67ELc85EKffEviT_T0_PT8_S1_lS4_S1_lS2_PT9_S1_li: ; @_ZL37rocblas_syrkx_herkx_restricted_kernelIlfLi16ELi32ELi8ELb1ELb0ELc67ELc85EKffEviT_T0_PT8_S1_lS4_S1_lS2_PT9_S1_li
; %bb.0:
	s_load_b64 s[2:3], s[0:1], 0x8
	v_dual_mov_b32 v10, 0 :: v_dual_mov_b32 v9, 0
	v_dual_mov_b32 v7, 0 :: v_dual_and_b32 v6, 0x3ff, v0
	v_bfe_u32 v8, v0, 10, 10
	v_mov_b32_e32 v1, 0
	s_lshl_b32 s12, s13, 5
	s_lshl_b32 s13, s14, 5
	s_waitcnt lgkmcnt(0)
	v_cmp_lt_i64_e64 s4, s[2:3], 1
	s_delay_alu instid0(VALU_DEP_1)
	s_and_b32 vcc_lo, exec_lo, s4
	s_cbranch_vccnz .LBB954_3
; %bb.1:
	s_load_b128 s[16:19], s[0:1], 0x38
	v_lshl_add_u32 v2, v8, 4, v6
	s_load_b256 s[4:11], s[0:1], 0x18
	v_dual_mov_b32 v1, 0 :: v_dual_and_b32 v0, 7, v6
	v_lshlrev_b32_e32 v11, 2, v6
	s_delay_alu instid0(VALU_DEP_3) | instskip(SKIP_1) | instid1(VALU_DEP_4)
	v_lshrrev_b32_e32 v4, 3, v2
	v_and_b32_e32 v5, 31, v2
	v_lshlrev_b32_e32 v9, 2, v0
	v_lshrrev_b32_e32 v2, 5, v2
	v_mov_b32_e32 v3, v1
	v_add_nc_u32_e32 v7, s13, v4
	v_add_nc_u32_e32 v12, s12, v5
	v_lshlrev_b32_e32 v13, 2, v5
	v_lshl_or_b32 v14, v4, 5, v9
	s_delay_alu instid0(VALU_DEP_4) | instskip(NEXT) | instid1(VALU_DEP_4)
	v_ashrrev_i32_e32 v10, 31, v7
	v_ashrrev_i32_e32 v9, 31, v12
	s_waitcnt lgkmcnt(0)
	v_mul_lo_u32 v16, v7, s17
	s_delay_alu instid0(VALU_DEP_3)
	v_mul_lo_u32 v15, v10, s16
	v_mad_u64_u32 v[4:5], null, v7, s16, v[0:1]
	v_lshl_or_b32 v0, v2, 7, v13
	v_mul_lo_u32 v7, s6, v9
	v_mad_u64_u32 v[9:10], null, s6, v12, v[2:3]
	v_mul_lo_u32 v13, s7, v12
	s_mul_i32 s14, s19, s15
	s_mul_hi_u32 s17, s18, s15
	v_add3_u32 v5, v15, v5, v16
	s_mul_i32 s16, s18, s15
	s_add_i32 s17, s17, s14
	v_add_nc_u32_e32 v12, 0x400, v14
	s_lshl_b64 s[6:7], s[16:17], 2
	v_add3_u32 v10, v13, v10, v7
	v_mov_b32_e32 v7, v1
	v_lshlrev_b64 v[2:3], 2, v[4:5]
	s_add_u32 s10, s10, s6
	s_addc_u32 s11, s11, s7
	s_mul_i32 s6, s9, s15
	s_mul_hi_u32 s7, s8, s15
	v_lshlrev_b64 v[4:5], 2, v[9:10]
	s_add_i32 s7, s7, s6
	s_mul_i32 s6, s8, s15
	v_add_co_u32 v2, vcc_lo, s10, v2
	s_lshl_b64 s[6:7], s[6:7], 2
	v_add_co_ci_u32_e32 v3, vcc_lo, s11, v3, vcc_lo
	s_add_u32 s4, s4, s6
	s_addc_u32 s5, s5, s7
	v_add_co_u32 v4, vcc_lo, s4, v4
	v_lshl_add_u32 v13, v8, 5, 0x400
	v_add_co_ci_u32_e32 v5, vcc_lo, s5, v5, vcc_lo
	v_mov_b32_e32 v9, v1
	v_mov_b32_e32 v10, v1
	s_mov_b64 s[4:5], 0
.LBB954_2:                              ; =>This Inner Loop Header: Depth=1
	global_load_b32 v14, v[4:5], off
	global_load_b32 v15, v[2:3], off
	s_add_u32 s4, s4, 8
	v_add_co_u32 v2, vcc_lo, v2, 32
	s_addc_u32 s5, s5, 0
	v_add_co_ci_u32_e32 v3, vcc_lo, 0, v3, vcc_lo
	v_cmp_ge_u64_e64 s6, s[4:5], s[2:3]
	v_add_co_u32 v4, vcc_lo, v4, 32
	v_add_co_ci_u32_e32 v5, vcc_lo, 0, v5, vcc_lo
	s_waitcnt vmcnt(1)
	ds_store_b32 v0, v14
	s_waitcnt vmcnt(0)
	ds_store_b32 v12, v15
	s_waitcnt lgkmcnt(0)
	s_barrier
	buffer_gl0_inv
	ds_load_2addr_b32 v[30:31], v11 offset1:16
	ds_load_b128 v[14:17], v13
	ds_load_b128 v[18:21], v13 offset:512
	ds_load_2addr_b32 v[32:33], v11 offset0:32 offset1:48
	ds_load_2addr_b32 v[34:35], v11 offset0:64 offset1:80
	ds_load_b128 v[22:25], v13 offset:16
	ds_load_2addr_b32 v[36:37], v11 offset0:96 offset1:112
	ds_load_2addr_b32 v[38:39], v11 offset0:128 offset1:144
	;; [unrolled: 3-line block ×3, first 2 shown]
	ds_load_2addr_b32 v[44:45], v11 offset0:224 offset1:240
	s_and_b32 vcc_lo, exec_lo, s6
	s_waitcnt lgkmcnt(0)
	s_barrier
	buffer_gl0_inv
	v_fmac_f32_e32 v9, v31, v14
	s_delay_alu instid0(VALU_DEP_1) | instskip(NEXT) | instid1(VALU_DEP_1)
	v_dual_fmac_f32 v10, v30, v14 :: v_dual_fmac_f32 v9, v33, v15
	v_dual_fmac_f32 v10, v32, v15 :: v_dual_fmac_f32 v1, v31, v18
	s_delay_alu instid0(VALU_DEP_1) | instskip(NEXT) | instid1(VALU_DEP_1)
	v_fmac_f32_e32 v10, v34, v16
	v_dual_fmac_f32 v7, v30, v18 :: v_dual_fmac_f32 v10, v36, v17
	s_delay_alu instid0(VALU_DEP_1) | instskip(NEXT) | instid1(VALU_DEP_1)
	v_dual_fmac_f32 v7, v32, v19 :: v_dual_fmac_f32 v10, v38, v22
	v_dual_fmac_f32 v9, v35, v16 :: v_dual_fmac_f32 v10, v40, v23
	v_fmac_f32_e32 v1, v33, v19
	s_delay_alu instid0(VALU_DEP_2) | instskip(NEXT) | instid1(VALU_DEP_4)
	v_dual_fmac_f32 v9, v37, v17 :: v_dual_fmac_f32 v10, v42, v24
	v_fmac_f32_e32 v7, v34, v20
	s_delay_alu instid0(VALU_DEP_3) | instskip(NEXT) | instid1(VALU_DEP_3)
	v_fmac_f32_e32 v1, v35, v20
	v_dual_fmac_f32 v9, v39, v22 :: v_dual_fmac_f32 v10, v44, v25
	s_delay_alu instid0(VALU_DEP_3) | instskip(NEXT) | instid1(VALU_DEP_3)
	v_fmac_f32_e32 v7, v36, v21
	v_fmac_f32_e32 v1, v37, v21
	s_delay_alu instid0(VALU_DEP_3) | instskip(NEXT) | instid1(VALU_DEP_3)
	v_fmac_f32_e32 v9, v41, v23
	v_fmac_f32_e32 v7, v38, v26
	;; [unrolled: 3-line block ×5, first 2 shown]
	s_delay_alu instid0(VALU_DEP_3) | instskip(NEXT) | instid1(VALU_DEP_2)
	v_fmac_f32_e32 v1, v43, v28
	v_fmac_f32_e32 v7, v44, v29
	s_delay_alu instid0(VALU_DEP_2)
	v_fmac_f32_e32 v1, v45, v29
	s_cbranch_vccz .LBB954_2
.LBB954_3:
	s_clause 0x1
	s_load_b128 s[4:7], s[0:1], 0x50
	s_load_b64 s[8:9], s[0:1], 0x60
	v_add_nc_u32_e32 v0, s13, v8
	s_clause 0x1
	s_load_b32 s3, s[0:1], 0x0
	s_load_b32 s2, s[0:1], 0x10
	s_delay_alu instid0(VALU_DEP_1) | instskip(SKIP_1) | instid1(VALU_DEP_1)
	v_ashrrev_i32_e32 v2, 31, v0
	s_waitcnt lgkmcnt(0)
	v_mul_lo_u32 v5, v2, s6
	v_mul_lo_u32 v8, v0, s7
	v_mad_u64_u32 v[3:4], null, v0, s6, 0
	s_mul_i32 s1, s15, s9
	s_mul_hi_u32 s9, s15, s8
	s_mul_i32 s8, s15, s8
	s_add_i32 s9, s9, s1
	v_add_nc_u32_e32 v2, s12, v6
	s_lshl_b64 s[8:9], s[8:9], 2
	s_delay_alu instid0(VALU_DEP_2)
	v_add3_u32 v4, v4, v8, v5
	s_add_u32 s4, s4, s8
	v_cmp_gt_i32_e32 vcc_lo, s3, v0
	v_cmp_le_i32_e64 s0, v2, v0
	s_addc_u32 s5, s5, s9
	v_lshlrev_b64 v[3:4], 2, v[3:4]
	s_delay_alu instid0(VALU_DEP_2) | instskip(NEXT) | instid1(VALU_DEP_1)
	s_and_b32 s0, vcc_lo, s0
	v_add_co_u32 v6, s1, s4, v3
	s_delay_alu instid0(VALU_DEP_1)
	v_add_co_ci_u32_e64 v8, s1, s5, v4, s1
	s_and_saveexec_b32 s1, s0
	s_cbranch_execz .LBB954_5
; %bb.4:
	v_ashrrev_i32_e32 v3, 31, v2
	v_mul_f32_e32 v5, s2, v10
	s_delay_alu instid0(VALU_DEP_2) | instskip(NEXT) | instid1(VALU_DEP_1)
	v_lshlrev_b64 v[3:4], 2, v[2:3]
	v_add_co_u32 v3, s0, v6, v3
	s_delay_alu instid0(VALU_DEP_1)
	v_add_co_ci_u32_e64 v4, s0, v8, v4, s0
	global_store_b32 v[3:4], v5, off
.LBB954_5:
	s_or_b32 exec_lo, exec_lo, s1
	v_add_nc_u32_e32 v4, 16, v2
	s_delay_alu instid0(VALU_DEP_1) | instskip(NEXT) | instid1(VALU_DEP_1)
	v_cmp_le_i32_e64 s0, v4, v0
	s_and_b32 s1, vcc_lo, s0
	s_delay_alu instid0(SALU_CYCLE_1)
	s_and_saveexec_b32 s0, s1
	s_cbranch_execz .LBB954_7
; %bb.6:
	v_ashrrev_i32_e32 v5, 31, v4
	v_mul_f32_e32 v3, s2, v9
	s_delay_alu instid0(VALU_DEP_2) | instskip(NEXT) | instid1(VALU_DEP_1)
	v_lshlrev_b64 v[10:11], 2, v[4:5]
	v_add_co_u32 v5, vcc_lo, v6, v10
	s_delay_alu instid0(VALU_DEP_2)
	v_add_co_ci_u32_e32 v6, vcc_lo, v8, v11, vcc_lo
	global_store_b32 v[5:6], v3, off
.LBB954_7:
	s_or_b32 exec_lo, exec_lo, s0
	v_add_nc_u32_e32 v0, 16, v0
	s_delay_alu instid0(VALU_DEP_1) | instskip(SKIP_3) | instid1(VALU_DEP_4)
	v_ashrrev_i32_e32 v3, 31, v0
	v_mul_lo_u32 v8, v0, s7
	v_mad_u64_u32 v[5:6], null, v0, s6, 0
	v_cmp_gt_i32_e32 vcc_lo, s3, v0
	v_mul_lo_u32 v3, v3, s6
	v_cmp_le_i32_e64 s0, v2, v0
	s_delay_alu instid0(VALU_DEP_1) | instskip(NEXT) | instid1(VALU_DEP_2)
	s_and_b32 s0, vcc_lo, s0
	v_add3_u32 v6, v6, v8, v3
	s_delay_alu instid0(VALU_DEP_1) | instskip(NEXT) | instid1(VALU_DEP_1)
	v_lshlrev_b64 v[8:9], 2, v[5:6]
	v_add_co_u32 v6, s1, s4, v8
	s_delay_alu instid0(VALU_DEP_1)
	v_add_co_ci_u32_e64 v8, s1, s5, v9, s1
	s_and_saveexec_b32 s1, s0
	s_cbranch_execz .LBB954_9
; %bb.8:
	v_ashrrev_i32_e32 v3, 31, v2
	v_mul_f32_e32 v5, s2, v7
	s_delay_alu instid0(VALU_DEP_2) | instskip(NEXT) | instid1(VALU_DEP_1)
	v_lshlrev_b64 v[2:3], 2, v[2:3]
	v_add_co_u32 v2, s0, v6, v2
	s_delay_alu instid0(VALU_DEP_1)
	v_add_co_ci_u32_e64 v3, s0, v8, v3, s0
	global_store_b32 v[2:3], v5, off
.LBB954_9:
	s_or_b32 exec_lo, exec_lo, s1
	v_cmp_le_i32_e64 s0, v4, v0
	s_delay_alu instid0(VALU_DEP_1) | instskip(NEXT) | instid1(SALU_CYCLE_1)
	s_and_b32 s0, vcc_lo, s0
	s_and_saveexec_b32 s1, s0
	s_cbranch_execz .LBB954_11
; %bb.10:
	v_ashrrev_i32_e32 v5, 31, v4
	s_delay_alu instid0(VALU_DEP_1) | instskip(SKIP_1) | instid1(VALU_DEP_2)
	v_lshlrev_b64 v[2:3], 2, v[4:5]
	v_mul_f32_e32 v4, s2, v1
	v_add_co_u32 v0, vcc_lo, v6, v2
	s_delay_alu instid0(VALU_DEP_3)
	v_add_co_ci_u32_e32 v1, vcc_lo, v8, v3, vcc_lo
	global_store_b32 v[0:1], v4, off
.LBB954_11:
	s_nop 0
	s_sendmsg sendmsg(MSG_DEALLOC_VGPRS)
	s_endpgm
	.section	.rodata,"a",@progbits
	.p2align	6, 0x0
	.amdhsa_kernel _ZL37rocblas_syrkx_herkx_restricted_kernelIlfLi16ELi32ELi8ELb1ELb0ELc67ELc85EKffEviT_T0_PT8_S1_lS4_S1_lS2_PT9_S1_li
		.amdhsa_group_segment_fixed_size 2048
		.amdhsa_private_segment_fixed_size 0
		.amdhsa_kernarg_size 108
		.amdhsa_user_sgpr_count 13
		.amdhsa_user_sgpr_dispatch_ptr 0
		.amdhsa_user_sgpr_queue_ptr 0
		.amdhsa_user_sgpr_kernarg_segment_ptr 1
		.amdhsa_user_sgpr_dispatch_id 0
		.amdhsa_user_sgpr_private_segment_size 0
		.amdhsa_wavefront_size32 1
		.amdhsa_uses_dynamic_stack 0
		.amdhsa_enable_private_segment 0
		.amdhsa_system_sgpr_workgroup_id_x 1
		.amdhsa_system_sgpr_workgroup_id_y 1
		.amdhsa_system_sgpr_workgroup_id_z 1
		.amdhsa_system_sgpr_workgroup_info 0
		.amdhsa_system_vgpr_workitem_id 1
		.amdhsa_next_free_vgpr 46
		.amdhsa_next_free_sgpr 20
		.amdhsa_reserve_vcc 1
		.amdhsa_float_round_mode_32 0
		.amdhsa_float_round_mode_16_64 0
		.amdhsa_float_denorm_mode_32 3
		.amdhsa_float_denorm_mode_16_64 3
		.amdhsa_dx10_clamp 1
		.amdhsa_ieee_mode 1
		.amdhsa_fp16_overflow 0
		.amdhsa_workgroup_processor_mode 1
		.amdhsa_memory_ordered 1
		.amdhsa_forward_progress 0
		.amdhsa_shared_vgpr_count 0
		.amdhsa_exception_fp_ieee_invalid_op 0
		.amdhsa_exception_fp_denorm_src 0
		.amdhsa_exception_fp_ieee_div_zero 0
		.amdhsa_exception_fp_ieee_overflow 0
		.amdhsa_exception_fp_ieee_underflow 0
		.amdhsa_exception_fp_ieee_inexact 0
		.amdhsa_exception_int_div_zero 0
	.end_amdhsa_kernel
	.section	.text._ZL37rocblas_syrkx_herkx_restricted_kernelIlfLi16ELi32ELi8ELb1ELb0ELc67ELc85EKffEviT_T0_PT8_S1_lS4_S1_lS2_PT9_S1_li,"axG",@progbits,_ZL37rocblas_syrkx_herkx_restricted_kernelIlfLi16ELi32ELi8ELb1ELb0ELc67ELc85EKffEviT_T0_PT8_S1_lS4_S1_lS2_PT9_S1_li,comdat
.Lfunc_end954:
	.size	_ZL37rocblas_syrkx_herkx_restricted_kernelIlfLi16ELi32ELi8ELb1ELb0ELc67ELc85EKffEviT_T0_PT8_S1_lS4_S1_lS2_PT9_S1_li, .Lfunc_end954-_ZL37rocblas_syrkx_herkx_restricted_kernelIlfLi16ELi32ELi8ELb1ELb0ELc67ELc85EKffEviT_T0_PT8_S1_lS4_S1_lS2_PT9_S1_li
                                        ; -- End function
	.section	.AMDGPU.csdata,"",@progbits
; Kernel info:
; codeLenInByte = 1316
; NumSgprs: 22
; NumVgprs: 46
; ScratchSize: 0
; MemoryBound: 0
; FloatMode: 240
; IeeeMode: 1
; LDSByteSize: 2048 bytes/workgroup (compile time only)
; SGPRBlocks: 2
; VGPRBlocks: 5
; NumSGPRsForWavesPerEU: 22
; NumVGPRsForWavesPerEU: 46
; Occupancy: 16
; WaveLimiterHint : 0
; COMPUTE_PGM_RSRC2:SCRATCH_EN: 0
; COMPUTE_PGM_RSRC2:USER_SGPR: 13
; COMPUTE_PGM_RSRC2:TRAP_HANDLER: 0
; COMPUTE_PGM_RSRC2:TGID_X_EN: 1
; COMPUTE_PGM_RSRC2:TGID_Y_EN: 1
; COMPUTE_PGM_RSRC2:TGID_Z_EN: 1
; COMPUTE_PGM_RSRC2:TIDIG_COMP_CNT: 1
	.section	.text._ZL37rocblas_syrkx_herkx_restricted_kernelIlfLi16ELi32ELi8ELb1ELb0ELc78ELc85EKffEviT_T0_PT8_S1_lS4_S1_lS2_PT9_S1_li,"axG",@progbits,_ZL37rocblas_syrkx_herkx_restricted_kernelIlfLi16ELi32ELi8ELb1ELb0ELc78ELc85EKffEviT_T0_PT8_S1_lS4_S1_lS2_PT9_S1_li,comdat
	.globl	_ZL37rocblas_syrkx_herkx_restricted_kernelIlfLi16ELi32ELi8ELb1ELb0ELc78ELc85EKffEviT_T0_PT8_S1_lS4_S1_lS2_PT9_S1_li ; -- Begin function _ZL37rocblas_syrkx_herkx_restricted_kernelIlfLi16ELi32ELi8ELb1ELb0ELc78ELc85EKffEviT_T0_PT8_S1_lS4_S1_lS2_PT9_S1_li
	.p2align	8
	.type	_ZL37rocblas_syrkx_herkx_restricted_kernelIlfLi16ELi32ELi8ELb1ELb0ELc78ELc85EKffEviT_T0_PT8_S1_lS4_S1_lS2_PT9_S1_li,@function
_ZL37rocblas_syrkx_herkx_restricted_kernelIlfLi16ELi32ELi8ELb1ELb0ELc78ELc85EKffEviT_T0_PT8_S1_lS4_S1_lS2_PT9_S1_li: ; @_ZL37rocblas_syrkx_herkx_restricted_kernelIlfLi16ELi32ELi8ELb1ELb0ELc78ELc85EKffEviT_T0_PT8_S1_lS4_S1_lS2_PT9_S1_li
; %bb.0:
	s_load_b64 s[2:3], s[0:1], 0x8
	v_dual_mov_b32 v10, 0 :: v_dual_mov_b32 v7, 0
	v_dual_mov_b32 v8, 0 :: v_dual_and_b32 v5, 0x3ff, v0
	v_bfe_u32 v6, v0, 10, 10
	v_mov_b32_e32 v4, 0
	s_lshl_b32 s12, s13, 5
	s_lshl_b32 s13, s14, 5
	s_waitcnt lgkmcnt(0)
	v_cmp_lt_i64_e64 s4, s[2:3], 1
	s_delay_alu instid0(VALU_DEP_1)
	s_and_b32 vcc_lo, exec_lo, s4
	s_cbranch_vccnz .LBB955_3
; %bb.1:
	s_load_b128 s[16:19], s[0:1], 0x38
	v_lshl_add_u32 v1, v6, 4, v5
	s_load_b256 s[4:11], s[0:1], 0x18
	v_and_b32_e32 v10, 7, v5
	v_lshl_add_u32 v11, v6, 5, 0x400
	s_delay_alu instid0(VALU_DEP_3) | instskip(SKIP_3) | instid1(VALU_DEP_4)
	v_lshrrev_b32_e32 v4, 3, v1
	v_and_b32_e32 v3, 31, v1
	v_lshrrev_b32_e32 v13, 5, v1
	v_lshlrev_b32_e32 v12, 2, v10
	v_add_nc_u32_e32 v0, s13, v4
	s_delay_alu instid0(VALU_DEP_4) | instskip(SKIP_1) | instid1(VALU_DEP_4)
	v_add_nc_u32_e32 v2, s12, v3
	v_lshlrev_b32_e32 v14, 2, v3
	v_lshl_or_b32 v16, v4, 5, v12
	s_delay_alu instid0(VALU_DEP_4) | instskip(NEXT) | instid1(VALU_DEP_4)
	v_ashrrev_i32_e32 v1, 31, v0
	v_ashrrev_i32_e32 v3, 31, v2
	s_delay_alu instid0(VALU_DEP_4)
	v_lshl_or_b32 v12, v13, 7, v14
	s_waitcnt lgkmcnt(0)
	s_mul_i32 s14, s19, s15
	v_mad_u64_u32 v[7:8], null, v10, s16, v[0:1]
	v_mad_u64_u32 v[0:1], null, v13, s6, v[2:3]
	s_mul_hi_u32 s19, s18, s15
	s_mul_i32 s18, s18, s15
	s_add_i32 s19, s19, s14
	s_mul_i32 s9, s9, s15
	s_delay_alu instid0(VALU_DEP_2)
	v_mov_b32_e32 v2, v8
	s_lshl_b64 s[18:19], s[18:19], 2
	s_mul_hi_u32 s14, s8, s15
	s_add_u32 s18, s10, s18
	s_mul_i32 s8, s8, s15
	v_mad_u64_u32 v[14:15], null, v13, s7, v[1:2]
	s_addc_u32 s19, s11, s19
	s_add_i32 s9, s14, s9
	v_add_nc_u32_e32 v13, 0x400, v16
	s_lshl_b64 s[10:11], s[8:9], 2
	s_lshl_b64 s[8:9], s[16:17], 5
	s_add_u32 s4, s4, s10
	s_delay_alu instid0(VALU_DEP_2) | instskip(SKIP_4) | instid1(VALU_DEP_3)
	v_mov_b32_e32 v1, v14
	v_mad_u64_u32 v[3:4], null, v10, s17, v[2:3]
	v_dual_mov_b32 v4, 0 :: v_dual_lshlrev_b32 v9, 2, v5
	s_addc_u32 s5, s5, s11
	v_mov_b32_e32 v10, 0
	v_mov_b32_e32 v8, v3
	s_delay_alu instid0(VALU_DEP_1) | instskip(SKIP_1) | instid1(VALU_DEP_2)
	v_lshlrev_b64 v[2:3], 2, v[7:8]
	v_lshlrev_b64 v[7:8], 2, v[0:1]
	v_add_co_u32 v0, vcc_lo, s18, v2
	s_delay_alu instid0(VALU_DEP_3) | instskip(NEXT) | instid1(VALU_DEP_3)
	v_add_co_ci_u32_e32 v1, vcc_lo, s19, v3, vcc_lo
	v_add_co_u32 v2, vcc_lo, s4, v7
	s_delay_alu instid0(VALU_DEP_4)
	v_add_co_ci_u32_e32 v3, vcc_lo, s5, v8, vcc_lo
	v_dual_mov_b32 v7, 0 :: v_dual_mov_b32 v8, 0
	s_lshl_b64 s[4:5], s[6:7], 5
	s_mov_b64 s[6:7], 0
.LBB955_2:                              ; =>This Inner Loop Header: Depth=1
	global_load_b32 v14, v[2:3], off
	global_load_b32 v15, v[0:1], off
	s_add_u32 s6, s6, 8
	v_add_co_u32 v0, vcc_lo, v0, s8
	s_addc_u32 s7, s7, 0
	v_add_co_ci_u32_e32 v1, vcc_lo, s9, v1, vcc_lo
	v_cmp_ge_u64_e64 s10, s[6:7], s[2:3]
	v_add_co_u32 v2, vcc_lo, v2, s4
	v_add_co_ci_u32_e32 v3, vcc_lo, s5, v3, vcc_lo
	s_waitcnt vmcnt(1)
	ds_store_b32 v12, v14
	s_waitcnt vmcnt(0)
	ds_store_b32 v13, v15
	s_waitcnt lgkmcnt(0)
	s_barrier
	buffer_gl0_inv
	ds_load_2addr_b32 v[30:31], v9 offset1:16
	ds_load_b128 v[14:17], v11
	ds_load_b128 v[18:21], v11 offset:512
	ds_load_2addr_b32 v[32:33], v9 offset0:32 offset1:48
	ds_load_2addr_b32 v[34:35], v9 offset0:64 offset1:80
	ds_load_b128 v[22:25], v11 offset:16
	ds_load_2addr_b32 v[36:37], v9 offset0:96 offset1:112
	ds_load_2addr_b32 v[38:39], v9 offset0:128 offset1:144
	;; [unrolled: 3-line block ×3, first 2 shown]
	ds_load_2addr_b32 v[44:45], v9 offset0:224 offset1:240
	s_and_b32 vcc_lo, exec_lo, s10
	s_waitcnt lgkmcnt(0)
	s_barrier
	buffer_gl0_inv
	v_fmac_f32_e32 v7, v30, v18
	s_delay_alu instid0(VALU_DEP_1) | instskip(SKIP_1) | instid1(VALU_DEP_2)
	v_dual_fmac_f32 v10, v30, v14 :: v_dual_fmac_f32 v7, v32, v19
	v_fmac_f32_e32 v8, v31, v14
	v_dual_fmac_f32 v10, v32, v15 :: v_dual_fmac_f32 v7, v34, v20
	s_delay_alu instid0(VALU_DEP_1) | instskip(NEXT) | instid1(VALU_DEP_1)
	v_dual_fmac_f32 v4, v31, v18 :: v_dual_fmac_f32 v7, v36, v21
	v_dual_fmac_f32 v8, v33, v15 :: v_dual_fmac_f32 v7, v38, v26
	s_delay_alu instid0(VALU_DEP_1) | instskip(NEXT) | instid1(VALU_DEP_3)
	v_dual_fmac_f32 v10, v34, v16 :: v_dual_fmac_f32 v7, v40, v27
	v_fmac_f32_e32 v4, v33, v19
	s_delay_alu instid0(VALU_DEP_2) | instskip(NEXT) | instid1(VALU_DEP_4)
	v_dual_fmac_f32 v10, v36, v17 :: v_dual_fmac_f32 v7, v42, v28
	v_fmac_f32_e32 v8, v35, v16
	s_delay_alu instid0(VALU_DEP_3) | instskip(NEXT) | instid1(VALU_DEP_3)
	v_fmac_f32_e32 v4, v35, v20
	v_dual_fmac_f32 v10, v38, v22 :: v_dual_fmac_f32 v7, v44, v29
	s_delay_alu instid0(VALU_DEP_3) | instskip(NEXT) | instid1(VALU_DEP_3)
	v_fmac_f32_e32 v8, v37, v17
	v_fmac_f32_e32 v4, v37, v21
	s_delay_alu instid0(VALU_DEP_3) | instskip(NEXT) | instid1(VALU_DEP_3)
	v_fmac_f32_e32 v10, v40, v23
	v_fmac_f32_e32 v8, v39, v22
	;; [unrolled: 3-line block ×5, first 2 shown]
	s_delay_alu instid0(VALU_DEP_3) | instskip(NEXT) | instid1(VALU_DEP_2)
	v_fmac_f32_e32 v4, v43, v28
	v_fmac_f32_e32 v8, v45, v25
	s_delay_alu instid0(VALU_DEP_2)
	v_fmac_f32_e32 v4, v45, v29
	s_cbranch_vccz .LBB955_2
.LBB955_3:
	s_clause 0x1
	s_load_b128 s[4:7], s[0:1], 0x50
	s_load_b64 s[8:9], s[0:1], 0x60
	v_add_nc_u32_e32 v6, s13, v6
	s_clause 0x1
	s_load_b32 s3, s[0:1], 0x0
	s_load_b32 s2, s[0:1], 0x10
	s_delay_alu instid0(VALU_DEP_1) | instskip(SKIP_1) | instid1(VALU_DEP_1)
	v_ashrrev_i32_e32 v0, 31, v6
	s_waitcnt lgkmcnt(0)
	v_mul_lo_u32 v3, v0, s6
	v_mul_lo_u32 v9, v6, s7
	v_mad_u64_u32 v[1:2], null, v6, s6, 0
	s_mul_i32 s1, s15, s9
	s_mul_hi_u32 s9, s15, s8
	s_mul_i32 s8, s15, s8
	s_add_i32 s9, s9, s1
	v_add_nc_u32_e32 v0, s12, v5
	s_lshl_b64 s[8:9], s[8:9], 2
	s_delay_alu instid0(VALU_DEP_2)
	v_add3_u32 v2, v2, v9, v3
	s_add_u32 s4, s4, s8
	v_cmp_gt_i32_e32 vcc_lo, s3, v6
	v_cmp_le_i32_e64 s0, v0, v6
	s_addc_u32 s5, s5, s9
	v_lshlrev_b64 v[1:2], 2, v[1:2]
	s_delay_alu instid0(VALU_DEP_2) | instskip(NEXT) | instid1(VALU_DEP_1)
	s_and_b32 s0, vcc_lo, s0
	v_add_co_u32 v5, s1, s4, v1
	s_delay_alu instid0(VALU_DEP_1)
	v_add_co_ci_u32_e64 v9, s1, s5, v2, s1
	s_and_saveexec_b32 s1, s0
	s_cbranch_execz .LBB955_5
; %bb.4:
	v_ashrrev_i32_e32 v1, 31, v0
	v_mul_f32_e32 v3, s2, v10
	s_delay_alu instid0(VALU_DEP_2) | instskip(NEXT) | instid1(VALU_DEP_1)
	v_lshlrev_b64 v[1:2], 2, v[0:1]
	v_add_co_u32 v1, s0, v5, v1
	s_delay_alu instid0(VALU_DEP_1)
	v_add_co_ci_u32_e64 v2, s0, v9, v2, s0
	global_store_b32 v[1:2], v3, off
.LBB955_5:
	s_or_b32 exec_lo, exec_lo, s1
	v_add_nc_u32_e32 v2, 16, v0
	s_delay_alu instid0(VALU_DEP_1) | instskip(NEXT) | instid1(VALU_DEP_1)
	v_cmp_le_i32_e64 s0, v2, v6
	s_and_b32 s1, vcc_lo, s0
	s_delay_alu instid0(SALU_CYCLE_1)
	s_and_saveexec_b32 s0, s1
	s_cbranch_execz .LBB955_7
; %bb.6:
	v_ashrrev_i32_e32 v3, 31, v2
	v_mul_f32_e32 v1, s2, v8
	s_delay_alu instid0(VALU_DEP_2) | instskip(NEXT) | instid1(VALU_DEP_1)
	v_lshlrev_b64 v[10:11], 2, v[2:3]
	v_add_co_u32 v8, vcc_lo, v5, v10
	s_delay_alu instid0(VALU_DEP_2)
	v_add_co_ci_u32_e32 v9, vcc_lo, v9, v11, vcc_lo
	global_store_b32 v[8:9], v1, off
.LBB955_7:
	s_or_b32 exec_lo, exec_lo, s0
	v_add_nc_u32_e32 v3, 16, v6
	s_delay_alu instid0(VALU_DEP_1) | instskip(SKIP_3) | instid1(VALU_DEP_4)
	v_ashrrev_i32_e32 v1, 31, v3
	v_mul_lo_u32 v8, v3, s7
	v_mad_u64_u32 v[5:6], null, v3, s6, 0
	v_cmp_gt_i32_e32 vcc_lo, s3, v3
	v_mul_lo_u32 v1, v1, s6
	v_cmp_le_i32_e64 s0, v0, v3
	s_delay_alu instid0(VALU_DEP_1) | instskip(NEXT) | instid1(VALU_DEP_2)
	s_and_b32 s0, vcc_lo, s0
	v_add3_u32 v6, v6, v8, v1
	s_delay_alu instid0(VALU_DEP_1) | instskip(NEXT) | instid1(VALU_DEP_1)
	v_lshlrev_b64 v[5:6], 2, v[5:6]
	v_add_co_u32 v5, s1, s4, v5
	s_delay_alu instid0(VALU_DEP_1)
	v_add_co_ci_u32_e64 v6, s1, s5, v6, s1
	s_and_saveexec_b32 s1, s0
	s_cbranch_execz .LBB955_9
; %bb.8:
	v_ashrrev_i32_e32 v1, 31, v0
	v_mul_f32_e32 v7, s2, v7
	s_delay_alu instid0(VALU_DEP_2) | instskip(NEXT) | instid1(VALU_DEP_1)
	v_lshlrev_b64 v[0:1], 2, v[0:1]
	v_add_co_u32 v0, s0, v5, v0
	s_delay_alu instid0(VALU_DEP_1)
	v_add_co_ci_u32_e64 v1, s0, v6, v1, s0
	global_store_b32 v[0:1], v7, off
.LBB955_9:
	s_or_b32 exec_lo, exec_lo, s1
	v_cmp_le_i32_e64 s0, v2, v3
	s_delay_alu instid0(VALU_DEP_1) | instskip(NEXT) | instid1(SALU_CYCLE_1)
	s_and_b32 s0, vcc_lo, s0
	s_and_saveexec_b32 s1, s0
	s_cbranch_execz .LBB955_11
; %bb.10:
	v_ashrrev_i32_e32 v3, 31, v2
	s_delay_alu instid0(VALU_DEP_1) | instskip(SKIP_1) | instid1(VALU_DEP_2)
	v_lshlrev_b64 v[0:1], 2, v[2:3]
	v_mul_f32_e32 v2, s2, v4
	v_add_co_u32 v0, vcc_lo, v5, v0
	s_delay_alu instid0(VALU_DEP_3)
	v_add_co_ci_u32_e32 v1, vcc_lo, v6, v1, vcc_lo
	global_store_b32 v[0:1], v2, off
.LBB955_11:
	s_nop 0
	s_sendmsg sendmsg(MSG_DEALLOC_VGPRS)
	s_endpgm
	.section	.rodata,"a",@progbits
	.p2align	6, 0x0
	.amdhsa_kernel _ZL37rocblas_syrkx_herkx_restricted_kernelIlfLi16ELi32ELi8ELb1ELb0ELc78ELc85EKffEviT_T0_PT8_S1_lS4_S1_lS2_PT9_S1_li
		.amdhsa_group_segment_fixed_size 2048
		.amdhsa_private_segment_fixed_size 0
		.amdhsa_kernarg_size 108
		.amdhsa_user_sgpr_count 13
		.amdhsa_user_sgpr_dispatch_ptr 0
		.amdhsa_user_sgpr_queue_ptr 0
		.amdhsa_user_sgpr_kernarg_segment_ptr 1
		.amdhsa_user_sgpr_dispatch_id 0
		.amdhsa_user_sgpr_private_segment_size 0
		.amdhsa_wavefront_size32 1
		.amdhsa_uses_dynamic_stack 0
		.amdhsa_enable_private_segment 0
		.amdhsa_system_sgpr_workgroup_id_x 1
		.amdhsa_system_sgpr_workgroup_id_y 1
		.amdhsa_system_sgpr_workgroup_id_z 1
		.amdhsa_system_sgpr_workgroup_info 0
		.amdhsa_system_vgpr_workitem_id 1
		.amdhsa_next_free_vgpr 46
		.amdhsa_next_free_sgpr 20
		.amdhsa_reserve_vcc 1
		.amdhsa_float_round_mode_32 0
		.amdhsa_float_round_mode_16_64 0
		.amdhsa_float_denorm_mode_32 3
		.amdhsa_float_denorm_mode_16_64 3
		.amdhsa_dx10_clamp 1
		.amdhsa_ieee_mode 1
		.amdhsa_fp16_overflow 0
		.amdhsa_workgroup_processor_mode 1
		.amdhsa_memory_ordered 1
		.amdhsa_forward_progress 0
		.amdhsa_shared_vgpr_count 0
		.amdhsa_exception_fp_ieee_invalid_op 0
		.amdhsa_exception_fp_denorm_src 0
		.amdhsa_exception_fp_ieee_div_zero 0
		.amdhsa_exception_fp_ieee_overflow 0
		.amdhsa_exception_fp_ieee_underflow 0
		.amdhsa_exception_fp_ieee_inexact 0
		.amdhsa_exception_int_div_zero 0
	.end_amdhsa_kernel
	.section	.text._ZL37rocblas_syrkx_herkx_restricted_kernelIlfLi16ELi32ELi8ELb1ELb0ELc78ELc85EKffEviT_T0_PT8_S1_lS4_S1_lS2_PT9_S1_li,"axG",@progbits,_ZL37rocblas_syrkx_herkx_restricted_kernelIlfLi16ELi32ELi8ELb1ELb0ELc78ELc85EKffEviT_T0_PT8_S1_lS4_S1_lS2_PT9_S1_li,comdat
.Lfunc_end955:
	.size	_ZL37rocblas_syrkx_herkx_restricted_kernelIlfLi16ELi32ELi8ELb1ELb0ELc78ELc85EKffEviT_T0_PT8_S1_lS4_S1_lS2_PT9_S1_li, .Lfunc_end955-_ZL37rocblas_syrkx_herkx_restricted_kernelIlfLi16ELi32ELi8ELb1ELb0ELc78ELc85EKffEviT_T0_PT8_S1_lS4_S1_lS2_PT9_S1_li
                                        ; -- End function
	.section	.AMDGPU.csdata,"",@progbits
; Kernel info:
; codeLenInByte = 1324
; NumSgprs: 22
; NumVgprs: 46
; ScratchSize: 0
; MemoryBound: 0
; FloatMode: 240
; IeeeMode: 1
; LDSByteSize: 2048 bytes/workgroup (compile time only)
; SGPRBlocks: 2
; VGPRBlocks: 5
; NumSGPRsForWavesPerEU: 22
; NumVGPRsForWavesPerEU: 46
; Occupancy: 16
; WaveLimiterHint : 0
; COMPUTE_PGM_RSRC2:SCRATCH_EN: 0
; COMPUTE_PGM_RSRC2:USER_SGPR: 13
; COMPUTE_PGM_RSRC2:TRAP_HANDLER: 0
; COMPUTE_PGM_RSRC2:TGID_X_EN: 1
; COMPUTE_PGM_RSRC2:TGID_Y_EN: 1
; COMPUTE_PGM_RSRC2:TGID_Z_EN: 1
; COMPUTE_PGM_RSRC2:TIDIG_COMP_CNT: 1
	.section	.text._ZL37rocblas_syrkx_herkx_restricted_kernelIlfLi16ELi32ELi8ELb0ELb0ELc84ELc76EKffEviT_T0_PT8_S1_lS4_S1_lS2_PT9_S1_li,"axG",@progbits,_ZL37rocblas_syrkx_herkx_restricted_kernelIlfLi16ELi32ELi8ELb0ELb0ELc84ELc76EKffEviT_T0_PT8_S1_lS4_S1_lS2_PT9_S1_li,comdat
	.globl	_ZL37rocblas_syrkx_herkx_restricted_kernelIlfLi16ELi32ELi8ELb0ELb0ELc84ELc76EKffEviT_T0_PT8_S1_lS4_S1_lS2_PT9_S1_li ; -- Begin function _ZL37rocblas_syrkx_herkx_restricted_kernelIlfLi16ELi32ELi8ELb0ELb0ELc84ELc76EKffEviT_T0_PT8_S1_lS4_S1_lS2_PT9_S1_li
	.p2align	8
	.type	_ZL37rocblas_syrkx_herkx_restricted_kernelIlfLi16ELi32ELi8ELb0ELb0ELc84ELc76EKffEviT_T0_PT8_S1_lS4_S1_lS2_PT9_S1_li,@function
_ZL37rocblas_syrkx_herkx_restricted_kernelIlfLi16ELi32ELi8ELb0ELb0ELc84ELc76EKffEviT_T0_PT8_S1_lS4_S1_lS2_PT9_S1_li: ; @_ZL37rocblas_syrkx_herkx_restricted_kernelIlfLi16ELi32ELi8ELb0ELb0ELc84ELc76EKffEviT_T0_PT8_S1_lS4_S1_lS2_PT9_S1_li
; %bb.0:
	s_load_b64 s[2:3], s[0:1], 0x8
	v_dual_mov_b32 v10, 0 :: v_dual_mov_b32 v9, 0
	v_dual_mov_b32 v6, 0 :: v_dual_and_b32 v7, 0x3ff, v0
	v_bfe_u32 v8, v0, 10, 10
	v_mov_b32_e32 v1, 0
	s_lshl_b32 s12, s13, 5
	s_lshl_b32 s13, s14, 5
	s_waitcnt lgkmcnt(0)
	v_cmp_lt_i64_e64 s4, s[2:3], 1
	s_delay_alu instid0(VALU_DEP_1)
	s_and_b32 vcc_lo, exec_lo, s4
	s_cbranch_vccnz .LBB956_3
; %bb.1:
	s_load_b128 s[16:19], s[0:1], 0x38
	v_lshl_add_u32 v2, v8, 4, v7
	s_load_b256 s[4:11], s[0:1], 0x18
	v_dual_mov_b32 v1, 0 :: v_dual_and_b32 v0, 7, v7
	v_lshlrev_b32_e32 v11, 2, v7
	s_delay_alu instid0(VALU_DEP_3) | instskip(SKIP_1) | instid1(VALU_DEP_4)
	v_lshrrev_b32_e32 v4, 3, v2
	v_and_b32_e32 v5, 31, v2
	v_lshlrev_b32_e32 v9, 2, v0
	v_lshrrev_b32_e32 v2, 5, v2
	s_delay_alu instid0(VALU_DEP_4) | instskip(NEXT) | instid1(VALU_DEP_4)
	v_dual_mov_b32 v3, v1 :: v_dual_add_nc_u32 v6, s13, v4
	v_add_nc_u32_e32 v12, s12, v5
	v_lshlrev_b32_e32 v13, 2, v5
	v_lshl_or_b32 v14, v4, 5, v9
	s_delay_alu instid0(VALU_DEP_4) | instskip(NEXT) | instid1(VALU_DEP_4)
	v_ashrrev_i32_e32 v10, 31, v6
	v_ashrrev_i32_e32 v9, 31, v12
	s_waitcnt lgkmcnt(0)
	v_mul_lo_u32 v16, v6, s17
	s_delay_alu instid0(VALU_DEP_3)
	v_mul_lo_u32 v15, v10, s16
	v_mad_u64_u32 v[4:5], null, v6, s16, v[0:1]
	v_lshl_or_b32 v0, v2, 7, v13
	v_mul_lo_u32 v6, s6, v9
	v_mad_u64_u32 v[9:10], null, s6, v12, v[2:3]
	v_mul_lo_u32 v13, s7, v12
	s_mul_i32 s14, s19, s15
	s_mul_hi_u32 s17, s18, s15
	v_add3_u32 v5, v15, v5, v16
	s_mul_i32 s16, s18, s15
	s_add_i32 s17, s17, s14
	v_add_nc_u32_e32 v12, 0x400, v14
	s_lshl_b64 s[6:7], s[16:17], 2
	v_add3_u32 v10, v13, v10, v6
	v_lshlrev_b64 v[2:3], 2, v[4:5]
	s_add_u32 s10, s10, s6
	s_addc_u32 s11, s11, s7
	s_mul_i32 s6, s9, s15
	s_mul_hi_u32 s7, s8, s15
	v_lshlrev_b64 v[4:5], 2, v[9:10]
	v_mov_b32_e32 v9, v1
	s_add_i32 s7, s7, s6
	s_mul_i32 s6, s8, s15
	v_add_co_u32 v2, vcc_lo, s10, v2
	s_lshl_b64 s[6:7], s[6:7], 2
	v_add_co_ci_u32_e32 v3, vcc_lo, s11, v3, vcc_lo
	s_add_u32 s4, s4, s6
	s_addc_u32 s5, s5, s7
	v_add_co_u32 v4, vcc_lo, s4, v4
	v_lshl_add_u32 v13, v8, 5, 0x400
	v_add_co_ci_u32_e32 v5, vcc_lo, s5, v5, vcc_lo
	v_mov_b32_e32 v6, v1
	v_mov_b32_e32 v10, v1
	s_mov_b64 s[4:5], 0
.LBB956_2:                              ; =>This Inner Loop Header: Depth=1
	global_load_b32 v14, v[4:5], off
	global_load_b32 v15, v[2:3], off
	s_add_u32 s4, s4, 8
	v_add_co_u32 v2, vcc_lo, v2, 32
	s_addc_u32 s5, s5, 0
	v_add_co_ci_u32_e32 v3, vcc_lo, 0, v3, vcc_lo
	v_cmp_ge_u64_e64 s6, s[4:5], s[2:3]
	v_add_co_u32 v4, vcc_lo, v4, 32
	v_add_co_ci_u32_e32 v5, vcc_lo, 0, v5, vcc_lo
	s_waitcnt vmcnt(1)
	ds_store_b32 v0, v14
	s_waitcnt vmcnt(0)
	ds_store_b32 v12, v15
	s_waitcnt lgkmcnt(0)
	s_barrier
	buffer_gl0_inv
	ds_load_2addr_b32 v[30:31], v11 offset1:16
	ds_load_b128 v[14:17], v13
	ds_load_b128 v[18:21], v13 offset:512
	ds_load_2addr_b32 v[32:33], v11 offset0:32 offset1:48
	ds_load_2addr_b32 v[34:35], v11 offset0:64 offset1:80
	ds_load_b128 v[22:25], v13 offset:16
	ds_load_2addr_b32 v[36:37], v11 offset0:96 offset1:112
	ds_load_2addr_b32 v[38:39], v11 offset0:128 offset1:144
	;; [unrolled: 3-line block ×3, first 2 shown]
	ds_load_2addr_b32 v[44:45], v11 offset0:224 offset1:240
	s_and_b32 vcc_lo, exec_lo, s6
	s_waitcnt lgkmcnt(0)
	s_barrier
	buffer_gl0_inv
	v_fmac_f32_e32 v9, v31, v14
	v_fmac_f32_e32 v10, v30, v14
	v_fmac_f32_e32 v1, v31, v18
	s_delay_alu instid0(VALU_DEP_3) | instskip(NEXT) | instid1(VALU_DEP_3)
	v_dual_fmac_f32 v6, v30, v18 :: v_dual_fmac_f32 v9, v33, v15
	v_fmac_f32_e32 v10, v32, v15
	s_delay_alu instid0(VALU_DEP_3) | instskip(NEXT) | instid1(VALU_DEP_3)
	v_fmac_f32_e32 v1, v33, v19
	v_dual_fmac_f32 v6, v32, v19 :: v_dual_fmac_f32 v9, v35, v16
	s_delay_alu instid0(VALU_DEP_3) | instskip(NEXT) | instid1(VALU_DEP_3)
	v_fmac_f32_e32 v10, v34, v16
	v_fmac_f32_e32 v1, v35, v20
	s_delay_alu instid0(VALU_DEP_3) | instskip(NEXT) | instid1(VALU_DEP_3)
	v_dual_fmac_f32 v6, v34, v20 :: v_dual_fmac_f32 v9, v37, v17
	v_fmac_f32_e32 v10, v36, v17
	s_delay_alu instid0(VALU_DEP_3) | instskip(NEXT) | instid1(VALU_DEP_3)
	v_fmac_f32_e32 v1, v37, v21
	v_dual_fmac_f32 v6, v36, v21 :: v_dual_fmac_f32 v9, v39, v22
	s_delay_alu instid0(VALU_DEP_3) | instskip(NEXT) | instid1(VALU_DEP_3)
	v_fmac_f32_e32 v10, v38, v22
	v_fmac_f32_e32 v1, v39, v26
	;; [unrolled: 9-line block ×3, first 2 shown]
	s_delay_alu instid0(VALU_DEP_3) | instskip(NEXT) | instid1(VALU_DEP_3)
	v_dual_fmac_f32 v6, v42, v28 :: v_dual_fmac_f32 v9, v45, v25
	v_fmac_f32_e32 v10, v44, v25
	s_delay_alu instid0(VALU_DEP_3) | instskip(NEXT) | instid1(VALU_DEP_3)
	v_fmac_f32_e32 v1, v45, v29
	v_fmac_f32_e32 v6, v44, v29
	s_cbranch_vccz .LBB956_2
.LBB956_3:
	s_clause 0x1
	s_load_b128 s[4:7], s[0:1], 0x50
	s_load_b32 s9, s[0:1], 0x0
	v_add_nc_u32_e32 v0, s13, v8
	s_clause 0x2
	s_load_b64 s[10:11], s[0:1], 0x60
	s_load_b32 s3, s[0:1], 0x10
	s_load_b32 s8, s[0:1], 0x48
	v_ashrrev_i32_e32 v2, 31, v0
	s_waitcnt lgkmcnt(0)
	s_delay_alu instid0(VALU_DEP_1)
	v_mul_lo_u32 v5, v2, s6
	v_mul_lo_u32 v8, v0, s7
	v_mad_u64_u32 v[3:4], null, v0, s6, 0
	s_mul_i32 s1, s15, s11
	s_mul_hi_u32 s2, s15, s10
	s_mul_i32 s10, s15, s10
	s_add_i32 s11, s2, s1
	v_add_nc_u32_e32 v2, s12, v7
	s_lshl_b64 s[10:11], s[10:11], 2
	s_delay_alu instid0(VALU_DEP_2)
	v_add3_u32 v4, v4, v8, v5
	s_add_u32 s2, s4, s10
	s_addc_u32 s4, s5, s11
	v_cmp_le_i32_e64 s0, v0, v2
	v_cmp_gt_i32_e32 vcc_lo, s9, v2
	v_lshlrev_b64 v[3:4], 2, v[3:4]
	s_delay_alu instid0(VALU_DEP_3) | instskip(NEXT) | instid1(VALU_DEP_1)
	s_and_b32 s0, s0, vcc_lo
	v_add_co_u32 v7, s1, s2, v3
	s_delay_alu instid0(VALU_DEP_1)
	v_add_co_ci_u32_e64 v8, s1, s4, v4, s1
	s_and_saveexec_b32 s1, s0
	s_cbranch_execz .LBB956_5
; %bb.4:
	v_ashrrev_i32_e32 v3, 31, v2
	s_delay_alu instid0(VALU_DEP_1) | instskip(NEXT) | instid1(VALU_DEP_1)
	v_lshlrev_b64 v[3:4], 2, v[2:3]
	v_add_co_u32 v3, s0, v7, v3
	s_delay_alu instid0(VALU_DEP_1) | instskip(SKIP_3) | instid1(VALU_DEP_1)
	v_add_co_ci_u32_e64 v4, s0, v8, v4, s0
	global_load_b32 v5, v[3:4], off
	s_waitcnt vmcnt(0)
	v_mul_f32_e32 v5, s8, v5
	v_fmac_f32_e32 v5, s3, v10
	global_store_b32 v[3:4], v5, off
.LBB956_5:
	s_or_b32 exec_lo, exec_lo, s1
	v_add_nc_u32_e32 v4, 16, v2
	s_delay_alu instid0(VALU_DEP_1) | instskip(SKIP_1) | instid1(VALU_DEP_1)
	v_cmp_le_i32_e64 s1, v0, v4
	v_cmp_gt_i32_e64 s0, s9, v4
	s_and_b32 s1, s1, s0
	s_delay_alu instid0(SALU_CYCLE_1)
	s_and_saveexec_b32 s5, s1
	s_cbranch_execz .LBB956_7
; %bb.6:
	v_ashrrev_i32_e32 v5, 31, v4
	s_delay_alu instid0(VALU_DEP_1) | instskip(NEXT) | instid1(VALU_DEP_1)
	v_lshlrev_b64 v[10:11], 2, v[4:5]
	v_add_co_u32 v7, s1, v7, v10
	s_delay_alu instid0(VALU_DEP_1) | instskip(SKIP_3) | instid1(VALU_DEP_1)
	v_add_co_ci_u32_e64 v8, s1, v8, v11, s1
	global_load_b32 v3, v[7:8], off
	s_waitcnt vmcnt(0)
	v_mul_f32_e32 v3, s8, v3
	v_fmac_f32_e32 v3, s3, v9
	global_store_b32 v[7:8], v3, off
.LBB956_7:
	s_or_b32 exec_lo, exec_lo, s5
	v_add_nc_u32_e32 v0, 16, v0
	s_delay_alu instid0(VALU_DEP_1) | instskip(SKIP_3) | instid1(VALU_DEP_4)
	v_ashrrev_i32_e32 v3, 31, v0
	v_mul_lo_u32 v5, v0, s7
	v_mad_u64_u32 v[7:8], null, v0, s6, 0
	v_cmp_le_i32_e64 s1, v0, v2
	v_mul_lo_u32 v3, v3, s6
	s_delay_alu instid0(VALU_DEP_1) | instskip(NEXT) | instid1(VALU_DEP_1)
	v_add3_u32 v8, v8, v5, v3
	v_lshlrev_b64 v[7:8], 2, v[7:8]
	s_delay_alu instid0(VALU_DEP_1) | instskip(NEXT) | instid1(VALU_DEP_1)
	v_add_co_u32 v7, s2, s2, v7
	v_add_co_ci_u32_e64 v8, s2, s4, v8, s2
	s_and_b32 s2, s1, vcc_lo
	s_delay_alu instid0(SALU_CYCLE_1)
	s_and_saveexec_b32 s1, s2
	s_cbranch_execz .LBB956_9
; %bb.8:
	v_ashrrev_i32_e32 v3, 31, v2
	s_delay_alu instid0(VALU_DEP_1) | instskip(NEXT) | instid1(VALU_DEP_1)
	v_lshlrev_b64 v[2:3], 2, v[2:3]
	v_add_co_u32 v2, vcc_lo, v7, v2
	s_delay_alu instid0(VALU_DEP_2) | instskip(SKIP_3) | instid1(VALU_DEP_1)
	v_add_co_ci_u32_e32 v3, vcc_lo, v8, v3, vcc_lo
	global_load_b32 v5, v[2:3], off
	s_waitcnt vmcnt(0)
	v_mul_f32_e32 v5, s8, v5
	v_fmac_f32_e32 v5, s3, v6
	global_store_b32 v[2:3], v5, off
.LBB956_9:
	s_or_b32 exec_lo, exec_lo, s1
	v_cmp_le_i32_e32 vcc_lo, v0, v4
	s_and_b32 s0, vcc_lo, s0
	s_delay_alu instid0(SALU_CYCLE_1)
	s_and_saveexec_b32 s1, s0
	s_cbranch_execz .LBB956_11
; %bb.10:
	v_ashrrev_i32_e32 v5, 31, v4
	s_delay_alu instid0(VALU_DEP_1) | instskip(NEXT) | instid1(VALU_DEP_1)
	v_lshlrev_b64 v[2:3], 2, v[4:5]
	v_add_co_u32 v2, vcc_lo, v7, v2
	s_delay_alu instid0(VALU_DEP_2) | instskip(SKIP_3) | instid1(VALU_DEP_1)
	v_add_co_ci_u32_e32 v3, vcc_lo, v8, v3, vcc_lo
	global_load_b32 v0, v[2:3], off
	s_waitcnt vmcnt(0)
	v_mul_f32_e32 v0, s8, v0
	v_fmac_f32_e32 v0, s3, v1
	global_store_b32 v[2:3], v0, off
.LBB956_11:
	s_nop 0
	s_sendmsg sendmsg(MSG_DEALLOC_VGPRS)
	s_endpgm
	.section	.rodata,"a",@progbits
	.p2align	6, 0x0
	.amdhsa_kernel _ZL37rocblas_syrkx_herkx_restricted_kernelIlfLi16ELi32ELi8ELb0ELb0ELc84ELc76EKffEviT_T0_PT8_S1_lS4_S1_lS2_PT9_S1_li
		.amdhsa_group_segment_fixed_size 2048
		.amdhsa_private_segment_fixed_size 0
		.amdhsa_kernarg_size 108
		.amdhsa_user_sgpr_count 13
		.amdhsa_user_sgpr_dispatch_ptr 0
		.amdhsa_user_sgpr_queue_ptr 0
		.amdhsa_user_sgpr_kernarg_segment_ptr 1
		.amdhsa_user_sgpr_dispatch_id 0
		.amdhsa_user_sgpr_private_segment_size 0
		.amdhsa_wavefront_size32 1
		.amdhsa_uses_dynamic_stack 0
		.amdhsa_enable_private_segment 0
		.amdhsa_system_sgpr_workgroup_id_x 1
		.amdhsa_system_sgpr_workgroup_id_y 1
		.amdhsa_system_sgpr_workgroup_id_z 1
		.amdhsa_system_sgpr_workgroup_info 0
		.amdhsa_system_vgpr_workitem_id 1
		.amdhsa_next_free_vgpr 46
		.amdhsa_next_free_sgpr 20
		.amdhsa_reserve_vcc 1
		.amdhsa_float_round_mode_32 0
		.amdhsa_float_round_mode_16_64 0
		.amdhsa_float_denorm_mode_32 3
		.amdhsa_float_denorm_mode_16_64 3
		.amdhsa_dx10_clamp 1
		.amdhsa_ieee_mode 1
		.amdhsa_fp16_overflow 0
		.amdhsa_workgroup_processor_mode 1
		.amdhsa_memory_ordered 1
		.amdhsa_forward_progress 0
		.amdhsa_shared_vgpr_count 0
		.amdhsa_exception_fp_ieee_invalid_op 0
		.amdhsa_exception_fp_denorm_src 0
		.amdhsa_exception_fp_ieee_div_zero 0
		.amdhsa_exception_fp_ieee_overflow 0
		.amdhsa_exception_fp_ieee_underflow 0
		.amdhsa_exception_fp_ieee_inexact 0
		.amdhsa_exception_int_div_zero 0
	.end_amdhsa_kernel
	.section	.text._ZL37rocblas_syrkx_herkx_restricted_kernelIlfLi16ELi32ELi8ELb0ELb0ELc84ELc76EKffEviT_T0_PT8_S1_lS4_S1_lS2_PT9_S1_li,"axG",@progbits,_ZL37rocblas_syrkx_herkx_restricted_kernelIlfLi16ELi32ELi8ELb0ELb0ELc84ELc76EKffEviT_T0_PT8_S1_lS4_S1_lS2_PT9_S1_li,comdat
.Lfunc_end956:
	.size	_ZL37rocblas_syrkx_herkx_restricted_kernelIlfLi16ELi32ELi8ELb0ELb0ELc84ELc76EKffEviT_T0_PT8_S1_lS4_S1_lS2_PT9_S1_li, .Lfunc_end956-_ZL37rocblas_syrkx_herkx_restricted_kernelIlfLi16ELi32ELi8ELb0ELb0ELc84ELc76EKffEviT_T0_PT8_S1_lS4_S1_lS2_PT9_S1_li
                                        ; -- End function
	.section	.AMDGPU.csdata,"",@progbits
; Kernel info:
; codeLenInByte = 1388
; NumSgprs: 22
; NumVgprs: 46
; ScratchSize: 0
; MemoryBound: 0
; FloatMode: 240
; IeeeMode: 1
; LDSByteSize: 2048 bytes/workgroup (compile time only)
; SGPRBlocks: 2
; VGPRBlocks: 5
; NumSGPRsForWavesPerEU: 22
; NumVGPRsForWavesPerEU: 46
; Occupancy: 16
; WaveLimiterHint : 0
; COMPUTE_PGM_RSRC2:SCRATCH_EN: 0
; COMPUTE_PGM_RSRC2:USER_SGPR: 13
; COMPUTE_PGM_RSRC2:TRAP_HANDLER: 0
; COMPUTE_PGM_RSRC2:TGID_X_EN: 1
; COMPUTE_PGM_RSRC2:TGID_Y_EN: 1
; COMPUTE_PGM_RSRC2:TGID_Z_EN: 1
; COMPUTE_PGM_RSRC2:TIDIG_COMP_CNT: 1
	.section	.text._ZL37rocblas_syrkx_herkx_restricted_kernelIlfLi16ELi32ELi8ELb0ELb0ELc67ELc76EKffEviT_T0_PT8_S1_lS4_S1_lS2_PT9_S1_li,"axG",@progbits,_ZL37rocblas_syrkx_herkx_restricted_kernelIlfLi16ELi32ELi8ELb0ELb0ELc67ELc76EKffEviT_T0_PT8_S1_lS4_S1_lS2_PT9_S1_li,comdat
	.globl	_ZL37rocblas_syrkx_herkx_restricted_kernelIlfLi16ELi32ELi8ELb0ELb0ELc67ELc76EKffEviT_T0_PT8_S1_lS4_S1_lS2_PT9_S1_li ; -- Begin function _ZL37rocblas_syrkx_herkx_restricted_kernelIlfLi16ELi32ELi8ELb0ELb0ELc67ELc76EKffEviT_T0_PT8_S1_lS4_S1_lS2_PT9_S1_li
	.p2align	8
	.type	_ZL37rocblas_syrkx_herkx_restricted_kernelIlfLi16ELi32ELi8ELb0ELb0ELc67ELc76EKffEviT_T0_PT8_S1_lS4_S1_lS2_PT9_S1_li,@function
_ZL37rocblas_syrkx_herkx_restricted_kernelIlfLi16ELi32ELi8ELb0ELb0ELc67ELc76EKffEviT_T0_PT8_S1_lS4_S1_lS2_PT9_S1_li: ; @_ZL37rocblas_syrkx_herkx_restricted_kernelIlfLi16ELi32ELi8ELb0ELb0ELc67ELc76EKffEviT_T0_PT8_S1_lS4_S1_lS2_PT9_S1_li
; %bb.0:
	s_load_b64 s[2:3], s[0:1], 0x8
	v_dual_mov_b32 v10, 0 :: v_dual_mov_b32 v9, 0
	v_dual_mov_b32 v6, 0 :: v_dual_and_b32 v7, 0x3ff, v0
	v_bfe_u32 v8, v0, 10, 10
	v_mov_b32_e32 v1, 0
	s_lshl_b32 s12, s13, 5
	s_lshl_b32 s13, s14, 5
	s_waitcnt lgkmcnt(0)
	v_cmp_lt_i64_e64 s4, s[2:3], 1
	s_delay_alu instid0(VALU_DEP_1)
	s_and_b32 vcc_lo, exec_lo, s4
	s_cbranch_vccnz .LBB957_3
; %bb.1:
	s_load_b128 s[16:19], s[0:1], 0x38
	v_lshl_add_u32 v2, v8, 4, v7
	s_load_b256 s[4:11], s[0:1], 0x18
	v_dual_mov_b32 v1, 0 :: v_dual_and_b32 v0, 7, v7
	v_lshlrev_b32_e32 v11, 2, v7
	s_delay_alu instid0(VALU_DEP_3) | instskip(SKIP_1) | instid1(VALU_DEP_4)
	v_lshrrev_b32_e32 v4, 3, v2
	v_and_b32_e32 v5, 31, v2
	v_lshlrev_b32_e32 v9, 2, v0
	v_lshrrev_b32_e32 v2, 5, v2
	s_delay_alu instid0(VALU_DEP_4) | instskip(NEXT) | instid1(VALU_DEP_4)
	v_dual_mov_b32 v3, v1 :: v_dual_add_nc_u32 v6, s13, v4
	v_add_nc_u32_e32 v12, s12, v5
	v_lshlrev_b32_e32 v13, 2, v5
	v_lshl_or_b32 v14, v4, 5, v9
	s_delay_alu instid0(VALU_DEP_4) | instskip(NEXT) | instid1(VALU_DEP_4)
	v_ashrrev_i32_e32 v10, 31, v6
	v_ashrrev_i32_e32 v9, 31, v12
	s_waitcnt lgkmcnt(0)
	v_mul_lo_u32 v16, v6, s17
	s_delay_alu instid0(VALU_DEP_3)
	v_mul_lo_u32 v15, v10, s16
	v_mad_u64_u32 v[4:5], null, v6, s16, v[0:1]
	v_lshl_or_b32 v0, v2, 7, v13
	v_mul_lo_u32 v6, s6, v9
	v_mad_u64_u32 v[9:10], null, s6, v12, v[2:3]
	v_mul_lo_u32 v13, s7, v12
	s_mul_i32 s14, s19, s15
	s_mul_hi_u32 s17, s18, s15
	v_add3_u32 v5, v15, v5, v16
	s_mul_i32 s16, s18, s15
	s_add_i32 s17, s17, s14
	v_add_nc_u32_e32 v12, 0x400, v14
	s_lshl_b64 s[6:7], s[16:17], 2
	v_add3_u32 v10, v13, v10, v6
	v_lshlrev_b64 v[2:3], 2, v[4:5]
	s_add_u32 s10, s10, s6
	s_addc_u32 s11, s11, s7
	s_mul_i32 s6, s9, s15
	s_mul_hi_u32 s7, s8, s15
	v_lshlrev_b64 v[4:5], 2, v[9:10]
	v_mov_b32_e32 v9, v1
	s_add_i32 s7, s7, s6
	s_mul_i32 s6, s8, s15
	v_add_co_u32 v2, vcc_lo, s10, v2
	s_lshl_b64 s[6:7], s[6:7], 2
	v_add_co_ci_u32_e32 v3, vcc_lo, s11, v3, vcc_lo
	s_add_u32 s4, s4, s6
	s_addc_u32 s5, s5, s7
	v_add_co_u32 v4, vcc_lo, s4, v4
	v_lshl_add_u32 v13, v8, 5, 0x400
	v_add_co_ci_u32_e32 v5, vcc_lo, s5, v5, vcc_lo
	v_mov_b32_e32 v6, v1
	v_mov_b32_e32 v10, v1
	s_mov_b64 s[4:5], 0
.LBB957_2:                              ; =>This Inner Loop Header: Depth=1
	global_load_b32 v14, v[4:5], off
	global_load_b32 v15, v[2:3], off
	s_add_u32 s4, s4, 8
	v_add_co_u32 v2, vcc_lo, v2, 32
	s_addc_u32 s5, s5, 0
	v_add_co_ci_u32_e32 v3, vcc_lo, 0, v3, vcc_lo
	v_cmp_ge_u64_e64 s6, s[4:5], s[2:3]
	v_add_co_u32 v4, vcc_lo, v4, 32
	v_add_co_ci_u32_e32 v5, vcc_lo, 0, v5, vcc_lo
	s_waitcnt vmcnt(1)
	ds_store_b32 v0, v14
	s_waitcnt vmcnt(0)
	ds_store_b32 v12, v15
	s_waitcnt lgkmcnt(0)
	s_barrier
	buffer_gl0_inv
	ds_load_2addr_b32 v[30:31], v11 offset1:16
	ds_load_b128 v[14:17], v13
	ds_load_b128 v[18:21], v13 offset:512
	ds_load_2addr_b32 v[32:33], v11 offset0:32 offset1:48
	ds_load_2addr_b32 v[34:35], v11 offset0:64 offset1:80
	ds_load_b128 v[22:25], v13 offset:16
	ds_load_2addr_b32 v[36:37], v11 offset0:96 offset1:112
	ds_load_2addr_b32 v[38:39], v11 offset0:128 offset1:144
	;; [unrolled: 3-line block ×3, first 2 shown]
	ds_load_2addr_b32 v[44:45], v11 offset0:224 offset1:240
	s_and_b32 vcc_lo, exec_lo, s6
	s_waitcnt lgkmcnt(0)
	s_barrier
	buffer_gl0_inv
	v_fmac_f32_e32 v9, v31, v14
	v_fmac_f32_e32 v10, v30, v14
	;; [unrolled: 1-line block ×3, first 2 shown]
	s_delay_alu instid0(VALU_DEP_3) | instskip(NEXT) | instid1(VALU_DEP_3)
	v_dual_fmac_f32 v6, v30, v18 :: v_dual_fmac_f32 v9, v33, v15
	v_fmac_f32_e32 v10, v32, v15
	s_delay_alu instid0(VALU_DEP_3) | instskip(NEXT) | instid1(VALU_DEP_3)
	v_fmac_f32_e32 v1, v33, v19
	v_dual_fmac_f32 v6, v32, v19 :: v_dual_fmac_f32 v9, v35, v16
	s_delay_alu instid0(VALU_DEP_3) | instskip(NEXT) | instid1(VALU_DEP_3)
	v_fmac_f32_e32 v10, v34, v16
	v_fmac_f32_e32 v1, v35, v20
	s_delay_alu instid0(VALU_DEP_3) | instskip(NEXT) | instid1(VALU_DEP_3)
	v_dual_fmac_f32 v6, v34, v20 :: v_dual_fmac_f32 v9, v37, v17
	v_fmac_f32_e32 v10, v36, v17
	s_delay_alu instid0(VALU_DEP_3) | instskip(NEXT) | instid1(VALU_DEP_3)
	v_fmac_f32_e32 v1, v37, v21
	v_dual_fmac_f32 v6, v36, v21 :: v_dual_fmac_f32 v9, v39, v22
	s_delay_alu instid0(VALU_DEP_3) | instskip(NEXT) | instid1(VALU_DEP_3)
	v_fmac_f32_e32 v10, v38, v22
	v_fmac_f32_e32 v1, v39, v26
	;; [unrolled: 9-line block ×3, first 2 shown]
	s_delay_alu instid0(VALU_DEP_3) | instskip(NEXT) | instid1(VALU_DEP_3)
	v_dual_fmac_f32 v6, v42, v28 :: v_dual_fmac_f32 v9, v45, v25
	v_fmac_f32_e32 v10, v44, v25
	s_delay_alu instid0(VALU_DEP_3) | instskip(NEXT) | instid1(VALU_DEP_3)
	v_fmac_f32_e32 v1, v45, v29
	v_fmac_f32_e32 v6, v44, v29
	s_cbranch_vccz .LBB957_2
.LBB957_3:
	s_clause 0x1
	s_load_b128 s[4:7], s[0:1], 0x50
	s_load_b32 s9, s[0:1], 0x0
	v_add_nc_u32_e32 v0, s13, v8
	s_clause 0x2
	s_load_b64 s[10:11], s[0:1], 0x60
	s_load_b32 s3, s[0:1], 0x10
	s_load_b32 s8, s[0:1], 0x48
	v_ashrrev_i32_e32 v2, 31, v0
	s_waitcnt lgkmcnt(0)
	s_delay_alu instid0(VALU_DEP_1)
	v_mul_lo_u32 v5, v2, s6
	v_mul_lo_u32 v8, v0, s7
	v_mad_u64_u32 v[3:4], null, v0, s6, 0
	s_mul_i32 s1, s15, s11
	s_mul_hi_u32 s2, s15, s10
	s_mul_i32 s10, s15, s10
	s_add_i32 s11, s2, s1
	v_add_nc_u32_e32 v2, s12, v7
	s_lshl_b64 s[10:11], s[10:11], 2
	s_delay_alu instid0(VALU_DEP_2)
	v_add3_u32 v4, v4, v8, v5
	s_add_u32 s2, s4, s10
	s_addc_u32 s4, s5, s11
	v_cmp_le_i32_e64 s0, v0, v2
	v_cmp_gt_i32_e32 vcc_lo, s9, v2
	v_lshlrev_b64 v[3:4], 2, v[3:4]
	s_delay_alu instid0(VALU_DEP_3) | instskip(NEXT) | instid1(VALU_DEP_1)
	s_and_b32 s0, s0, vcc_lo
	v_add_co_u32 v7, s1, s2, v3
	s_delay_alu instid0(VALU_DEP_1)
	v_add_co_ci_u32_e64 v8, s1, s4, v4, s1
	s_and_saveexec_b32 s1, s0
	s_cbranch_execz .LBB957_5
; %bb.4:
	v_ashrrev_i32_e32 v3, 31, v2
	s_delay_alu instid0(VALU_DEP_1) | instskip(NEXT) | instid1(VALU_DEP_1)
	v_lshlrev_b64 v[3:4], 2, v[2:3]
	v_add_co_u32 v3, s0, v7, v3
	s_delay_alu instid0(VALU_DEP_1) | instskip(SKIP_3) | instid1(VALU_DEP_1)
	v_add_co_ci_u32_e64 v4, s0, v8, v4, s0
	global_load_b32 v5, v[3:4], off
	s_waitcnt vmcnt(0)
	v_mul_f32_e32 v5, s8, v5
	v_fmac_f32_e32 v5, s3, v10
	global_store_b32 v[3:4], v5, off
.LBB957_5:
	s_or_b32 exec_lo, exec_lo, s1
	v_add_nc_u32_e32 v4, 16, v2
	s_delay_alu instid0(VALU_DEP_1) | instskip(SKIP_1) | instid1(VALU_DEP_1)
	v_cmp_le_i32_e64 s1, v0, v4
	v_cmp_gt_i32_e64 s0, s9, v4
	s_and_b32 s1, s1, s0
	s_delay_alu instid0(SALU_CYCLE_1)
	s_and_saveexec_b32 s5, s1
	s_cbranch_execz .LBB957_7
; %bb.6:
	v_ashrrev_i32_e32 v5, 31, v4
	s_delay_alu instid0(VALU_DEP_1) | instskip(NEXT) | instid1(VALU_DEP_1)
	v_lshlrev_b64 v[10:11], 2, v[4:5]
	v_add_co_u32 v7, s1, v7, v10
	s_delay_alu instid0(VALU_DEP_1) | instskip(SKIP_3) | instid1(VALU_DEP_1)
	v_add_co_ci_u32_e64 v8, s1, v8, v11, s1
	global_load_b32 v3, v[7:8], off
	s_waitcnt vmcnt(0)
	v_mul_f32_e32 v3, s8, v3
	v_fmac_f32_e32 v3, s3, v9
	global_store_b32 v[7:8], v3, off
.LBB957_7:
	s_or_b32 exec_lo, exec_lo, s5
	v_add_nc_u32_e32 v0, 16, v0
	s_delay_alu instid0(VALU_DEP_1) | instskip(SKIP_3) | instid1(VALU_DEP_4)
	v_ashrrev_i32_e32 v3, 31, v0
	v_mul_lo_u32 v5, v0, s7
	v_mad_u64_u32 v[7:8], null, v0, s6, 0
	v_cmp_le_i32_e64 s1, v0, v2
	v_mul_lo_u32 v3, v3, s6
	s_delay_alu instid0(VALU_DEP_1) | instskip(NEXT) | instid1(VALU_DEP_1)
	v_add3_u32 v8, v8, v5, v3
	v_lshlrev_b64 v[7:8], 2, v[7:8]
	s_delay_alu instid0(VALU_DEP_1) | instskip(NEXT) | instid1(VALU_DEP_1)
	v_add_co_u32 v7, s2, s2, v7
	v_add_co_ci_u32_e64 v8, s2, s4, v8, s2
	s_and_b32 s2, s1, vcc_lo
	s_delay_alu instid0(SALU_CYCLE_1)
	s_and_saveexec_b32 s1, s2
	s_cbranch_execz .LBB957_9
; %bb.8:
	v_ashrrev_i32_e32 v3, 31, v2
	s_delay_alu instid0(VALU_DEP_1) | instskip(NEXT) | instid1(VALU_DEP_1)
	v_lshlrev_b64 v[2:3], 2, v[2:3]
	v_add_co_u32 v2, vcc_lo, v7, v2
	s_delay_alu instid0(VALU_DEP_2) | instskip(SKIP_3) | instid1(VALU_DEP_1)
	v_add_co_ci_u32_e32 v3, vcc_lo, v8, v3, vcc_lo
	global_load_b32 v5, v[2:3], off
	s_waitcnt vmcnt(0)
	v_mul_f32_e32 v5, s8, v5
	v_fmac_f32_e32 v5, s3, v6
	global_store_b32 v[2:3], v5, off
.LBB957_9:
	s_or_b32 exec_lo, exec_lo, s1
	v_cmp_le_i32_e32 vcc_lo, v0, v4
	s_and_b32 s0, vcc_lo, s0
	s_delay_alu instid0(SALU_CYCLE_1)
	s_and_saveexec_b32 s1, s0
	s_cbranch_execz .LBB957_11
; %bb.10:
	v_ashrrev_i32_e32 v5, 31, v4
	s_delay_alu instid0(VALU_DEP_1) | instskip(NEXT) | instid1(VALU_DEP_1)
	v_lshlrev_b64 v[2:3], 2, v[4:5]
	v_add_co_u32 v2, vcc_lo, v7, v2
	s_delay_alu instid0(VALU_DEP_2) | instskip(SKIP_3) | instid1(VALU_DEP_1)
	v_add_co_ci_u32_e32 v3, vcc_lo, v8, v3, vcc_lo
	global_load_b32 v0, v[2:3], off
	s_waitcnt vmcnt(0)
	v_mul_f32_e32 v0, s8, v0
	v_fmac_f32_e32 v0, s3, v1
	global_store_b32 v[2:3], v0, off
.LBB957_11:
	s_nop 0
	s_sendmsg sendmsg(MSG_DEALLOC_VGPRS)
	s_endpgm
	.section	.rodata,"a",@progbits
	.p2align	6, 0x0
	.amdhsa_kernel _ZL37rocblas_syrkx_herkx_restricted_kernelIlfLi16ELi32ELi8ELb0ELb0ELc67ELc76EKffEviT_T0_PT8_S1_lS4_S1_lS2_PT9_S1_li
		.amdhsa_group_segment_fixed_size 2048
		.amdhsa_private_segment_fixed_size 0
		.amdhsa_kernarg_size 108
		.amdhsa_user_sgpr_count 13
		.amdhsa_user_sgpr_dispatch_ptr 0
		.amdhsa_user_sgpr_queue_ptr 0
		.amdhsa_user_sgpr_kernarg_segment_ptr 1
		.amdhsa_user_sgpr_dispatch_id 0
		.amdhsa_user_sgpr_private_segment_size 0
		.amdhsa_wavefront_size32 1
		.amdhsa_uses_dynamic_stack 0
		.amdhsa_enable_private_segment 0
		.amdhsa_system_sgpr_workgroup_id_x 1
		.amdhsa_system_sgpr_workgroup_id_y 1
		.amdhsa_system_sgpr_workgroup_id_z 1
		.amdhsa_system_sgpr_workgroup_info 0
		.amdhsa_system_vgpr_workitem_id 1
		.amdhsa_next_free_vgpr 46
		.amdhsa_next_free_sgpr 20
		.amdhsa_reserve_vcc 1
		.amdhsa_float_round_mode_32 0
		.amdhsa_float_round_mode_16_64 0
		.amdhsa_float_denorm_mode_32 3
		.amdhsa_float_denorm_mode_16_64 3
		.amdhsa_dx10_clamp 1
		.amdhsa_ieee_mode 1
		.amdhsa_fp16_overflow 0
		.amdhsa_workgroup_processor_mode 1
		.amdhsa_memory_ordered 1
		.amdhsa_forward_progress 0
		.amdhsa_shared_vgpr_count 0
		.amdhsa_exception_fp_ieee_invalid_op 0
		.amdhsa_exception_fp_denorm_src 0
		.amdhsa_exception_fp_ieee_div_zero 0
		.amdhsa_exception_fp_ieee_overflow 0
		.amdhsa_exception_fp_ieee_underflow 0
		.amdhsa_exception_fp_ieee_inexact 0
		.amdhsa_exception_int_div_zero 0
	.end_amdhsa_kernel
	.section	.text._ZL37rocblas_syrkx_herkx_restricted_kernelIlfLi16ELi32ELi8ELb0ELb0ELc67ELc76EKffEviT_T0_PT8_S1_lS4_S1_lS2_PT9_S1_li,"axG",@progbits,_ZL37rocblas_syrkx_herkx_restricted_kernelIlfLi16ELi32ELi8ELb0ELb0ELc67ELc76EKffEviT_T0_PT8_S1_lS4_S1_lS2_PT9_S1_li,comdat
.Lfunc_end957:
	.size	_ZL37rocblas_syrkx_herkx_restricted_kernelIlfLi16ELi32ELi8ELb0ELb0ELc67ELc76EKffEviT_T0_PT8_S1_lS4_S1_lS2_PT9_S1_li, .Lfunc_end957-_ZL37rocblas_syrkx_herkx_restricted_kernelIlfLi16ELi32ELi8ELb0ELb0ELc67ELc76EKffEviT_T0_PT8_S1_lS4_S1_lS2_PT9_S1_li
                                        ; -- End function
	.section	.AMDGPU.csdata,"",@progbits
; Kernel info:
; codeLenInByte = 1388
; NumSgprs: 22
; NumVgprs: 46
; ScratchSize: 0
; MemoryBound: 0
; FloatMode: 240
; IeeeMode: 1
; LDSByteSize: 2048 bytes/workgroup (compile time only)
; SGPRBlocks: 2
; VGPRBlocks: 5
; NumSGPRsForWavesPerEU: 22
; NumVGPRsForWavesPerEU: 46
; Occupancy: 16
; WaveLimiterHint : 0
; COMPUTE_PGM_RSRC2:SCRATCH_EN: 0
; COMPUTE_PGM_RSRC2:USER_SGPR: 13
; COMPUTE_PGM_RSRC2:TRAP_HANDLER: 0
; COMPUTE_PGM_RSRC2:TGID_X_EN: 1
; COMPUTE_PGM_RSRC2:TGID_Y_EN: 1
; COMPUTE_PGM_RSRC2:TGID_Z_EN: 1
; COMPUTE_PGM_RSRC2:TIDIG_COMP_CNT: 1
	.section	.text._ZL37rocblas_syrkx_herkx_restricted_kernelIlfLi16ELi32ELi8ELb0ELb0ELc78ELc76EKffEviT_T0_PT8_S1_lS4_S1_lS2_PT9_S1_li,"axG",@progbits,_ZL37rocblas_syrkx_herkx_restricted_kernelIlfLi16ELi32ELi8ELb0ELb0ELc78ELc76EKffEviT_T0_PT8_S1_lS4_S1_lS2_PT9_S1_li,comdat
	.globl	_ZL37rocblas_syrkx_herkx_restricted_kernelIlfLi16ELi32ELi8ELb0ELb0ELc78ELc76EKffEviT_T0_PT8_S1_lS4_S1_lS2_PT9_S1_li ; -- Begin function _ZL37rocblas_syrkx_herkx_restricted_kernelIlfLi16ELi32ELi8ELb0ELb0ELc78ELc76EKffEviT_T0_PT8_S1_lS4_S1_lS2_PT9_S1_li
	.p2align	8
	.type	_ZL37rocblas_syrkx_herkx_restricted_kernelIlfLi16ELi32ELi8ELb0ELb0ELc78ELc76EKffEviT_T0_PT8_S1_lS4_S1_lS2_PT9_S1_li,@function
_ZL37rocblas_syrkx_herkx_restricted_kernelIlfLi16ELi32ELi8ELb0ELb0ELc78ELc76EKffEviT_T0_PT8_S1_lS4_S1_lS2_PT9_S1_li: ; @_ZL37rocblas_syrkx_herkx_restricted_kernelIlfLi16ELi32ELi8ELb0ELb0ELc78ELc76EKffEviT_T0_PT8_S1_lS4_S1_lS2_PT9_S1_li
; %bb.0:
	s_load_b64 s[2:3], s[0:1], 0x8
	v_dual_mov_b32 v9, 0 :: v_dual_mov_b32 v8, 0
	v_dual_mov_b32 v6, 0 :: v_dual_and_b32 v5, 0x3ff, v0
	v_bfe_u32 v7, v0, 10, 10
	v_mov_b32_e32 v4, 0
	s_lshl_b32 s12, s13, 5
	s_lshl_b32 s13, s14, 5
	s_waitcnt lgkmcnt(0)
	v_cmp_lt_i64_e64 s4, s[2:3], 1
	s_delay_alu instid0(VALU_DEP_1)
	s_and_b32 vcc_lo, exec_lo, s4
	s_cbranch_vccnz .LBB958_3
; %bb.1:
	s_load_b128 s[16:19], s[0:1], 0x38
	v_lshl_add_u32 v1, v7, 4, v5
	s_load_b256 s[4:11], s[0:1], 0x18
	v_and_b32_e32 v6, 7, v5
	v_lshlrev_b32_e32 v10, 2, v5
	v_lshl_add_u32 v11, v7, 5, 0x400
	v_lshrrev_b32_e32 v4, 3, v1
	v_and_b32_e32 v3, 31, v1
	v_lshrrev_b32_e32 v13, 5, v1
	v_lshlrev_b32_e32 v12, 2, v6
	s_delay_alu instid0(VALU_DEP_4) | instskip(NEXT) | instid1(VALU_DEP_4)
	v_add_nc_u32_e32 v0, s13, v4
	v_add_nc_u32_e32 v2, s12, v3
	v_lshlrev_b32_e32 v14, 2, v3
	s_delay_alu instid0(VALU_DEP_4) | instskip(NEXT) | instid1(VALU_DEP_4)
	v_lshl_or_b32 v16, v4, 5, v12
	v_ashrrev_i32_e32 v1, 31, v0
	s_delay_alu instid0(VALU_DEP_4) | instskip(NEXT) | instid1(VALU_DEP_4)
	v_ashrrev_i32_e32 v3, 31, v2
	v_lshl_or_b32 v12, v13, 7, v14
	s_waitcnt lgkmcnt(0)
	s_mul_i32 s14, s19, s15
	v_mad_u64_u32 v[8:9], null, v6, s16, v[0:1]
	v_mad_u64_u32 v[0:1], null, v13, s6, v[2:3]
	s_mul_hi_u32 s19, s18, s15
	s_mul_i32 s18, s18, s15
	s_add_i32 s19, s19, s14
	s_mul_i32 s9, s9, s15
	s_delay_alu instid0(VALU_DEP_2)
	v_mov_b32_e32 v2, v9
	s_lshl_b64 s[18:19], s[18:19], 2
	s_mul_hi_u32 s14, s8, s15
	s_add_u32 s18, s10, s18
	s_mul_i32 s8, s8, s15
	v_mad_u64_u32 v[3:4], null, v6, s17, v[2:3]
	v_mad_u64_u32 v[14:15], null, v13, s7, v[1:2]
	s_addc_u32 s19, s11, s19
	s_add_i32 s9, s14, s9
	v_dual_mov_b32 v4, 0 :: v_dual_add_nc_u32 v13, 0x400, v16
	s_delay_alu instid0(VALU_DEP_3) | instskip(SKIP_1) | instid1(VALU_DEP_3)
	v_mov_b32_e32 v9, v3
	s_lshl_b64 s[10:11], s[8:9], 2
	v_mov_b32_e32 v1, v14
	s_lshl_b64 s[8:9], s[16:17], 5
	s_add_u32 s4, s4, s10
	v_lshlrev_b64 v[2:3], 2, v[8:9]
	s_addc_u32 s5, s5, s11
	v_lshlrev_b64 v[8:9], 2, v[0:1]
	v_mov_b32_e32 v6, 0
	s_delay_alu instid0(VALU_DEP_3) | instskip(NEXT) | instid1(VALU_DEP_4)
	v_add_co_u32 v0, vcc_lo, s18, v2
	v_add_co_ci_u32_e32 v1, vcc_lo, s19, v3, vcc_lo
	s_delay_alu instid0(VALU_DEP_4)
	v_add_co_u32 v2, vcc_lo, s4, v8
	v_add_co_ci_u32_e32 v3, vcc_lo, s5, v9, vcc_lo
	v_dual_mov_b32 v8, 0 :: v_dual_mov_b32 v9, 0
	s_lshl_b64 s[4:5], s[6:7], 5
	s_mov_b64 s[6:7], 0
.LBB958_2:                              ; =>This Inner Loop Header: Depth=1
	global_load_b32 v14, v[2:3], off
	global_load_b32 v15, v[0:1], off
	s_add_u32 s6, s6, 8
	v_add_co_u32 v0, vcc_lo, v0, s8
	s_addc_u32 s7, s7, 0
	v_add_co_ci_u32_e32 v1, vcc_lo, s9, v1, vcc_lo
	v_cmp_ge_u64_e64 s10, s[6:7], s[2:3]
	v_add_co_u32 v2, vcc_lo, v2, s4
	v_add_co_ci_u32_e32 v3, vcc_lo, s5, v3, vcc_lo
	s_waitcnt vmcnt(1)
	ds_store_b32 v12, v14
	s_waitcnt vmcnt(0)
	ds_store_b32 v13, v15
	s_waitcnt lgkmcnt(0)
	s_barrier
	buffer_gl0_inv
	ds_load_2addr_b32 v[30:31], v10 offset1:16
	ds_load_b128 v[14:17], v11
	ds_load_b128 v[18:21], v11 offset:512
	ds_load_2addr_b32 v[32:33], v10 offset0:32 offset1:48
	ds_load_2addr_b32 v[34:35], v10 offset0:64 offset1:80
	ds_load_b128 v[22:25], v11 offset:16
	ds_load_2addr_b32 v[36:37], v10 offset0:96 offset1:112
	ds_load_2addr_b32 v[38:39], v10 offset0:128 offset1:144
	;; [unrolled: 3-line block ×3, first 2 shown]
	ds_load_2addr_b32 v[44:45], v10 offset0:224 offset1:240
	s_and_b32 vcc_lo, exec_lo, s10
	s_waitcnt lgkmcnt(0)
	s_barrier
	buffer_gl0_inv
	v_fmac_f32_e32 v8, v31, v14
	s_delay_alu instid0(VALU_DEP_1) | instskip(NEXT) | instid1(VALU_DEP_1)
	v_dual_fmac_f32 v9, v30, v14 :: v_dual_fmac_f32 v8, v33, v15
	v_dual_fmac_f32 v9, v32, v15 :: v_dual_fmac_f32 v4, v31, v18
	s_delay_alu instid0(VALU_DEP_1) | instskip(NEXT) | instid1(VALU_DEP_1)
	v_fmac_f32_e32 v9, v34, v16
	v_dual_fmac_f32 v6, v30, v18 :: v_dual_fmac_f32 v9, v36, v17
	s_delay_alu instid0(VALU_DEP_1) | instskip(NEXT) | instid1(VALU_DEP_1)
	v_dual_fmac_f32 v6, v32, v19 :: v_dual_fmac_f32 v9, v38, v22
	v_dual_fmac_f32 v8, v35, v16 :: v_dual_fmac_f32 v9, v40, v23
	v_fmac_f32_e32 v4, v33, v19
	s_delay_alu instid0(VALU_DEP_2) | instskip(NEXT) | instid1(VALU_DEP_4)
	v_dual_fmac_f32 v8, v37, v17 :: v_dual_fmac_f32 v9, v42, v24
	v_fmac_f32_e32 v6, v34, v20
	s_delay_alu instid0(VALU_DEP_3) | instskip(NEXT) | instid1(VALU_DEP_3)
	v_fmac_f32_e32 v4, v35, v20
	v_dual_fmac_f32 v8, v39, v22 :: v_dual_fmac_f32 v9, v44, v25
	s_delay_alu instid0(VALU_DEP_3) | instskip(NEXT) | instid1(VALU_DEP_3)
	v_fmac_f32_e32 v6, v36, v21
	v_fmac_f32_e32 v4, v37, v21
	s_delay_alu instid0(VALU_DEP_3) | instskip(NEXT) | instid1(VALU_DEP_3)
	v_fmac_f32_e32 v8, v41, v23
	v_fmac_f32_e32 v6, v38, v26
	;; [unrolled: 3-line block ×5, first 2 shown]
	s_delay_alu instid0(VALU_DEP_3) | instskip(NEXT) | instid1(VALU_DEP_2)
	v_fmac_f32_e32 v4, v43, v28
	v_fmac_f32_e32 v6, v44, v29
	s_delay_alu instid0(VALU_DEP_2)
	v_fmac_f32_e32 v4, v45, v29
	s_cbranch_vccz .LBB958_2
.LBB958_3:
	s_clause 0x1
	s_load_b128 s[4:7], s[0:1], 0x50
	s_load_b32 s9, s[0:1], 0x0
	v_add_nc_u32_e32 v7, s13, v7
	s_clause 0x2
	s_load_b64 s[10:11], s[0:1], 0x60
	s_load_b32 s3, s[0:1], 0x10
	s_load_b32 s8, s[0:1], 0x48
	v_ashrrev_i32_e32 v0, 31, v7
	s_waitcnt lgkmcnt(0)
	s_delay_alu instid0(VALU_DEP_1)
	v_mul_lo_u32 v3, v0, s6
	v_mul_lo_u32 v10, v7, s7
	v_mad_u64_u32 v[1:2], null, v7, s6, 0
	s_mul_i32 s1, s15, s11
	s_mul_hi_u32 s2, s15, s10
	s_mul_i32 s10, s15, s10
	s_add_i32 s11, s2, s1
	v_add_nc_u32_e32 v0, s12, v5
	s_lshl_b64 s[10:11], s[10:11], 2
	s_delay_alu instid0(VALU_DEP_2)
	v_add3_u32 v2, v2, v10, v3
	s_add_u32 s2, s4, s10
	s_addc_u32 s4, s5, s11
	v_cmp_le_i32_e64 s0, v7, v0
	v_cmp_gt_i32_e32 vcc_lo, s9, v0
	v_lshlrev_b64 v[1:2], 2, v[1:2]
	s_delay_alu instid0(VALU_DEP_3) | instskip(NEXT) | instid1(VALU_DEP_1)
	s_and_b32 s0, s0, vcc_lo
	v_add_co_u32 v5, s1, s2, v1
	s_delay_alu instid0(VALU_DEP_1)
	v_add_co_ci_u32_e64 v10, s1, s4, v2, s1
	s_and_saveexec_b32 s1, s0
	s_cbranch_execz .LBB958_5
; %bb.4:
	v_ashrrev_i32_e32 v1, 31, v0
	s_delay_alu instid0(VALU_DEP_1) | instskip(NEXT) | instid1(VALU_DEP_1)
	v_lshlrev_b64 v[1:2], 2, v[0:1]
	v_add_co_u32 v1, s0, v5, v1
	s_delay_alu instid0(VALU_DEP_1) | instskip(SKIP_3) | instid1(VALU_DEP_1)
	v_add_co_ci_u32_e64 v2, s0, v10, v2, s0
	global_load_b32 v3, v[1:2], off
	s_waitcnt vmcnt(0)
	v_mul_f32_e32 v3, s8, v3
	v_fmac_f32_e32 v3, s3, v9
	global_store_b32 v[1:2], v3, off
.LBB958_5:
	s_or_b32 exec_lo, exec_lo, s1
	v_add_nc_u32_e32 v2, 16, v0
	s_delay_alu instid0(VALU_DEP_1) | instskip(SKIP_1) | instid1(VALU_DEP_1)
	v_cmp_le_i32_e64 s1, v7, v2
	v_cmp_gt_i32_e64 s0, s9, v2
	s_and_b32 s1, s1, s0
	s_delay_alu instid0(SALU_CYCLE_1)
	s_and_saveexec_b32 s5, s1
	s_cbranch_execz .LBB958_7
; %bb.6:
	v_ashrrev_i32_e32 v3, 31, v2
	s_delay_alu instid0(VALU_DEP_1) | instskip(NEXT) | instid1(VALU_DEP_1)
	v_lshlrev_b64 v[11:12], 2, v[2:3]
	v_add_co_u32 v9, s1, v5, v11
	s_delay_alu instid0(VALU_DEP_1) | instskip(SKIP_3) | instid1(VALU_DEP_1)
	v_add_co_ci_u32_e64 v10, s1, v10, v12, s1
	global_load_b32 v1, v[9:10], off
	s_waitcnt vmcnt(0)
	v_mul_f32_e32 v1, s8, v1
	v_fmac_f32_e32 v1, s3, v8
	global_store_b32 v[9:10], v1, off
.LBB958_7:
	s_or_b32 exec_lo, exec_lo, s5
	v_add_nc_u32_e32 v3, 16, v7
	s_delay_alu instid0(VALU_DEP_1) | instskip(SKIP_3) | instid1(VALU_DEP_4)
	v_ashrrev_i32_e32 v1, 31, v3
	v_mul_lo_u32 v5, v3, s7
	v_mad_u64_u32 v[7:8], null, v3, s6, 0
	v_cmp_le_i32_e64 s1, v3, v0
	v_mul_lo_u32 v1, v1, s6
	s_delay_alu instid0(VALU_DEP_1) | instskip(NEXT) | instid1(VALU_DEP_1)
	v_add3_u32 v8, v8, v5, v1
	v_lshlrev_b64 v[7:8], 2, v[7:8]
	s_delay_alu instid0(VALU_DEP_1) | instskip(NEXT) | instid1(VALU_DEP_1)
	v_add_co_u32 v5, s2, s2, v7
	v_add_co_ci_u32_e64 v7, s2, s4, v8, s2
	s_and_b32 s2, s1, vcc_lo
	s_delay_alu instid0(SALU_CYCLE_1)
	s_and_saveexec_b32 s1, s2
	s_cbranch_execz .LBB958_9
; %bb.8:
	v_ashrrev_i32_e32 v1, 31, v0
	s_delay_alu instid0(VALU_DEP_1) | instskip(NEXT) | instid1(VALU_DEP_1)
	v_lshlrev_b64 v[0:1], 2, v[0:1]
	v_add_co_u32 v0, vcc_lo, v5, v0
	s_delay_alu instid0(VALU_DEP_2) | instskip(SKIP_3) | instid1(VALU_DEP_1)
	v_add_co_ci_u32_e32 v1, vcc_lo, v7, v1, vcc_lo
	global_load_b32 v8, v[0:1], off
	s_waitcnt vmcnt(0)
	v_mul_f32_e32 v8, s8, v8
	v_fmac_f32_e32 v8, s3, v6
	global_store_b32 v[0:1], v8, off
.LBB958_9:
	s_or_b32 exec_lo, exec_lo, s1
	v_cmp_le_i32_e32 vcc_lo, v3, v2
	s_and_b32 s0, vcc_lo, s0
	s_delay_alu instid0(SALU_CYCLE_1)
	s_and_saveexec_b32 s1, s0
	s_cbranch_execz .LBB958_11
; %bb.10:
	v_ashrrev_i32_e32 v3, 31, v2
	s_delay_alu instid0(VALU_DEP_1) | instskip(NEXT) | instid1(VALU_DEP_1)
	v_lshlrev_b64 v[0:1], 2, v[2:3]
	v_add_co_u32 v0, vcc_lo, v5, v0
	s_delay_alu instid0(VALU_DEP_2) | instskip(SKIP_3) | instid1(VALU_DEP_1)
	v_add_co_ci_u32_e32 v1, vcc_lo, v7, v1, vcc_lo
	global_load_b32 v2, v[0:1], off
	s_waitcnt vmcnt(0)
	v_mul_f32_e32 v2, s8, v2
	v_fmac_f32_e32 v2, s3, v4
	global_store_b32 v[0:1], v2, off
.LBB958_11:
	s_nop 0
	s_sendmsg sendmsg(MSG_DEALLOC_VGPRS)
	s_endpgm
	.section	.rodata,"a",@progbits
	.p2align	6, 0x0
	.amdhsa_kernel _ZL37rocblas_syrkx_herkx_restricted_kernelIlfLi16ELi32ELi8ELb0ELb0ELc78ELc76EKffEviT_T0_PT8_S1_lS4_S1_lS2_PT9_S1_li
		.amdhsa_group_segment_fixed_size 2048
		.amdhsa_private_segment_fixed_size 0
		.amdhsa_kernarg_size 108
		.amdhsa_user_sgpr_count 13
		.amdhsa_user_sgpr_dispatch_ptr 0
		.amdhsa_user_sgpr_queue_ptr 0
		.amdhsa_user_sgpr_kernarg_segment_ptr 1
		.amdhsa_user_sgpr_dispatch_id 0
		.amdhsa_user_sgpr_private_segment_size 0
		.amdhsa_wavefront_size32 1
		.amdhsa_uses_dynamic_stack 0
		.amdhsa_enable_private_segment 0
		.amdhsa_system_sgpr_workgroup_id_x 1
		.amdhsa_system_sgpr_workgroup_id_y 1
		.amdhsa_system_sgpr_workgroup_id_z 1
		.amdhsa_system_sgpr_workgroup_info 0
		.amdhsa_system_vgpr_workitem_id 1
		.amdhsa_next_free_vgpr 46
		.amdhsa_next_free_sgpr 20
		.amdhsa_reserve_vcc 1
		.amdhsa_float_round_mode_32 0
		.amdhsa_float_round_mode_16_64 0
		.amdhsa_float_denorm_mode_32 3
		.amdhsa_float_denorm_mode_16_64 3
		.amdhsa_dx10_clamp 1
		.amdhsa_ieee_mode 1
		.amdhsa_fp16_overflow 0
		.amdhsa_workgroup_processor_mode 1
		.amdhsa_memory_ordered 1
		.amdhsa_forward_progress 0
		.amdhsa_shared_vgpr_count 0
		.amdhsa_exception_fp_ieee_invalid_op 0
		.amdhsa_exception_fp_denorm_src 0
		.amdhsa_exception_fp_ieee_div_zero 0
		.amdhsa_exception_fp_ieee_overflow 0
		.amdhsa_exception_fp_ieee_underflow 0
		.amdhsa_exception_fp_ieee_inexact 0
		.amdhsa_exception_int_div_zero 0
	.end_amdhsa_kernel
	.section	.text._ZL37rocblas_syrkx_herkx_restricted_kernelIlfLi16ELi32ELi8ELb0ELb0ELc78ELc76EKffEviT_T0_PT8_S1_lS4_S1_lS2_PT9_S1_li,"axG",@progbits,_ZL37rocblas_syrkx_herkx_restricted_kernelIlfLi16ELi32ELi8ELb0ELb0ELc78ELc76EKffEviT_T0_PT8_S1_lS4_S1_lS2_PT9_S1_li,comdat
.Lfunc_end958:
	.size	_ZL37rocblas_syrkx_herkx_restricted_kernelIlfLi16ELi32ELi8ELb0ELb0ELc78ELc76EKffEviT_T0_PT8_S1_lS4_S1_lS2_PT9_S1_li, .Lfunc_end958-_ZL37rocblas_syrkx_herkx_restricted_kernelIlfLi16ELi32ELi8ELb0ELb0ELc78ELc76EKffEviT_T0_PT8_S1_lS4_S1_lS2_PT9_S1_li
                                        ; -- End function
	.section	.AMDGPU.csdata,"",@progbits
; Kernel info:
; codeLenInByte = 1388
; NumSgprs: 22
; NumVgprs: 46
; ScratchSize: 0
; MemoryBound: 0
; FloatMode: 240
; IeeeMode: 1
; LDSByteSize: 2048 bytes/workgroup (compile time only)
; SGPRBlocks: 2
; VGPRBlocks: 5
; NumSGPRsForWavesPerEU: 22
; NumVGPRsForWavesPerEU: 46
; Occupancy: 16
; WaveLimiterHint : 0
; COMPUTE_PGM_RSRC2:SCRATCH_EN: 0
; COMPUTE_PGM_RSRC2:USER_SGPR: 13
; COMPUTE_PGM_RSRC2:TRAP_HANDLER: 0
; COMPUTE_PGM_RSRC2:TGID_X_EN: 1
; COMPUTE_PGM_RSRC2:TGID_Y_EN: 1
; COMPUTE_PGM_RSRC2:TGID_Z_EN: 1
; COMPUTE_PGM_RSRC2:TIDIG_COMP_CNT: 1
	.section	.text._ZL37rocblas_syrkx_herkx_restricted_kernelIlfLi16ELi32ELi8ELb0ELb0ELc84ELc85EKffEviT_T0_PT8_S1_lS4_S1_lS2_PT9_S1_li,"axG",@progbits,_ZL37rocblas_syrkx_herkx_restricted_kernelIlfLi16ELi32ELi8ELb0ELb0ELc84ELc85EKffEviT_T0_PT8_S1_lS4_S1_lS2_PT9_S1_li,comdat
	.globl	_ZL37rocblas_syrkx_herkx_restricted_kernelIlfLi16ELi32ELi8ELb0ELb0ELc84ELc85EKffEviT_T0_PT8_S1_lS4_S1_lS2_PT9_S1_li ; -- Begin function _ZL37rocblas_syrkx_herkx_restricted_kernelIlfLi16ELi32ELi8ELb0ELb0ELc84ELc85EKffEviT_T0_PT8_S1_lS4_S1_lS2_PT9_S1_li
	.p2align	8
	.type	_ZL37rocblas_syrkx_herkx_restricted_kernelIlfLi16ELi32ELi8ELb0ELb0ELc84ELc85EKffEviT_T0_PT8_S1_lS4_S1_lS2_PT9_S1_li,@function
_ZL37rocblas_syrkx_herkx_restricted_kernelIlfLi16ELi32ELi8ELb0ELb0ELc84ELc85EKffEviT_T0_PT8_S1_lS4_S1_lS2_PT9_S1_li: ; @_ZL37rocblas_syrkx_herkx_restricted_kernelIlfLi16ELi32ELi8ELb0ELb0ELc84ELc85EKffEviT_T0_PT8_S1_lS4_S1_lS2_PT9_S1_li
; %bb.0:
	s_load_b64 s[2:3], s[0:1], 0x8
	v_dual_mov_b32 v10, 0 :: v_dual_mov_b32 v9, 0
	v_dual_mov_b32 v6, 0 :: v_dual_and_b32 v7, 0x3ff, v0
	v_bfe_u32 v8, v0, 10, 10
	v_mov_b32_e32 v1, 0
	s_lshl_b32 s12, s13, 5
	s_lshl_b32 s13, s14, 5
	s_waitcnt lgkmcnt(0)
	v_cmp_lt_i64_e64 s4, s[2:3], 1
	s_delay_alu instid0(VALU_DEP_1)
	s_and_b32 vcc_lo, exec_lo, s4
	s_cbranch_vccnz .LBB959_3
; %bb.1:
	s_load_b128 s[16:19], s[0:1], 0x38
	v_lshl_add_u32 v2, v8, 4, v7
	s_load_b256 s[4:11], s[0:1], 0x18
	v_dual_mov_b32 v1, 0 :: v_dual_and_b32 v0, 7, v7
	v_lshlrev_b32_e32 v11, 2, v7
	s_delay_alu instid0(VALU_DEP_3) | instskip(SKIP_1) | instid1(VALU_DEP_4)
	v_lshrrev_b32_e32 v4, 3, v2
	v_and_b32_e32 v5, 31, v2
	v_lshlrev_b32_e32 v9, 2, v0
	v_lshrrev_b32_e32 v2, 5, v2
	s_delay_alu instid0(VALU_DEP_4) | instskip(NEXT) | instid1(VALU_DEP_4)
	v_dual_mov_b32 v3, v1 :: v_dual_add_nc_u32 v6, s13, v4
	v_add_nc_u32_e32 v12, s12, v5
	v_lshlrev_b32_e32 v13, 2, v5
	v_lshl_or_b32 v14, v4, 5, v9
	s_delay_alu instid0(VALU_DEP_4) | instskip(NEXT) | instid1(VALU_DEP_4)
	v_ashrrev_i32_e32 v10, 31, v6
	v_ashrrev_i32_e32 v9, 31, v12
	s_waitcnt lgkmcnt(0)
	v_mul_lo_u32 v16, v6, s17
	s_delay_alu instid0(VALU_DEP_3)
	v_mul_lo_u32 v15, v10, s16
	v_mad_u64_u32 v[4:5], null, v6, s16, v[0:1]
	v_lshl_or_b32 v0, v2, 7, v13
	v_mul_lo_u32 v6, s6, v9
	v_mad_u64_u32 v[9:10], null, s6, v12, v[2:3]
	v_mul_lo_u32 v13, s7, v12
	s_mul_i32 s14, s19, s15
	s_mul_hi_u32 s17, s18, s15
	v_add3_u32 v5, v15, v5, v16
	s_mul_i32 s16, s18, s15
	s_add_i32 s17, s17, s14
	v_add_nc_u32_e32 v12, 0x400, v14
	s_lshl_b64 s[6:7], s[16:17], 2
	v_add3_u32 v10, v13, v10, v6
	v_lshlrev_b64 v[2:3], 2, v[4:5]
	s_add_u32 s10, s10, s6
	s_addc_u32 s11, s11, s7
	s_mul_i32 s6, s9, s15
	s_mul_hi_u32 s7, s8, s15
	v_lshlrev_b64 v[4:5], 2, v[9:10]
	v_mov_b32_e32 v9, v1
	s_add_i32 s7, s7, s6
	s_mul_i32 s6, s8, s15
	v_add_co_u32 v2, vcc_lo, s10, v2
	s_lshl_b64 s[6:7], s[6:7], 2
	v_add_co_ci_u32_e32 v3, vcc_lo, s11, v3, vcc_lo
	s_add_u32 s4, s4, s6
	s_addc_u32 s5, s5, s7
	v_add_co_u32 v4, vcc_lo, s4, v4
	v_lshl_add_u32 v13, v8, 5, 0x400
	v_add_co_ci_u32_e32 v5, vcc_lo, s5, v5, vcc_lo
	v_mov_b32_e32 v6, v1
	v_mov_b32_e32 v10, v1
	s_mov_b64 s[4:5], 0
.LBB959_2:                              ; =>This Inner Loop Header: Depth=1
	global_load_b32 v14, v[4:5], off
	global_load_b32 v15, v[2:3], off
	s_add_u32 s4, s4, 8
	v_add_co_u32 v2, vcc_lo, v2, 32
	s_addc_u32 s5, s5, 0
	v_add_co_ci_u32_e32 v3, vcc_lo, 0, v3, vcc_lo
	v_cmp_ge_u64_e64 s6, s[4:5], s[2:3]
	v_add_co_u32 v4, vcc_lo, v4, 32
	v_add_co_ci_u32_e32 v5, vcc_lo, 0, v5, vcc_lo
	s_waitcnt vmcnt(1)
	ds_store_b32 v0, v14
	s_waitcnt vmcnt(0)
	ds_store_b32 v12, v15
	s_waitcnt lgkmcnt(0)
	s_barrier
	buffer_gl0_inv
	ds_load_2addr_b32 v[30:31], v11 offset1:16
	ds_load_b128 v[14:17], v13
	ds_load_b128 v[18:21], v13 offset:512
	ds_load_2addr_b32 v[32:33], v11 offset0:32 offset1:48
	ds_load_2addr_b32 v[34:35], v11 offset0:64 offset1:80
	ds_load_b128 v[22:25], v13 offset:16
	ds_load_2addr_b32 v[36:37], v11 offset0:96 offset1:112
	ds_load_2addr_b32 v[38:39], v11 offset0:128 offset1:144
	ds_load_b128 v[26:29], v13 offset:528
	ds_load_2addr_b32 v[40:41], v11 offset0:160 offset1:176
	ds_load_2addr_b32 v[42:43], v11 offset0:192 offset1:208
	ds_load_2addr_b32 v[44:45], v11 offset0:224 offset1:240
	s_and_b32 vcc_lo, exec_lo, s6
	s_waitcnt lgkmcnt(0)
	s_barrier
	buffer_gl0_inv
	v_fmac_f32_e32 v9, v31, v14
	v_fmac_f32_e32 v10, v30, v14
	;; [unrolled: 1-line block ×3, first 2 shown]
	s_delay_alu instid0(VALU_DEP_3) | instskip(NEXT) | instid1(VALU_DEP_3)
	v_dual_fmac_f32 v6, v30, v18 :: v_dual_fmac_f32 v9, v33, v15
	v_fmac_f32_e32 v10, v32, v15
	s_delay_alu instid0(VALU_DEP_3) | instskip(NEXT) | instid1(VALU_DEP_3)
	v_fmac_f32_e32 v1, v33, v19
	v_dual_fmac_f32 v6, v32, v19 :: v_dual_fmac_f32 v9, v35, v16
	s_delay_alu instid0(VALU_DEP_3) | instskip(NEXT) | instid1(VALU_DEP_3)
	v_fmac_f32_e32 v10, v34, v16
	v_fmac_f32_e32 v1, v35, v20
	s_delay_alu instid0(VALU_DEP_3) | instskip(NEXT) | instid1(VALU_DEP_3)
	v_dual_fmac_f32 v6, v34, v20 :: v_dual_fmac_f32 v9, v37, v17
	v_fmac_f32_e32 v10, v36, v17
	s_delay_alu instid0(VALU_DEP_3) | instskip(NEXT) | instid1(VALU_DEP_3)
	v_fmac_f32_e32 v1, v37, v21
	v_dual_fmac_f32 v6, v36, v21 :: v_dual_fmac_f32 v9, v39, v22
	s_delay_alu instid0(VALU_DEP_3) | instskip(NEXT) | instid1(VALU_DEP_3)
	v_fmac_f32_e32 v10, v38, v22
	v_fmac_f32_e32 v1, v39, v26
	;; [unrolled: 9-line block ×3, first 2 shown]
	s_delay_alu instid0(VALU_DEP_3) | instskip(NEXT) | instid1(VALU_DEP_3)
	v_dual_fmac_f32 v6, v42, v28 :: v_dual_fmac_f32 v9, v45, v25
	v_fmac_f32_e32 v10, v44, v25
	s_delay_alu instid0(VALU_DEP_3) | instskip(NEXT) | instid1(VALU_DEP_3)
	v_fmac_f32_e32 v1, v45, v29
	v_fmac_f32_e32 v6, v44, v29
	s_cbranch_vccz .LBB959_2
.LBB959_3:
	s_clause 0x1
	s_load_b128 s[4:7], s[0:1], 0x50
	s_load_b32 s8, s[0:1], 0x0
	v_add_nc_u32_e32 v0, s13, v8
	s_clause 0x2
	s_load_b64 s[10:11], s[0:1], 0x60
	s_load_b32 s2, s[0:1], 0x10
	s_load_b32 s3, s[0:1], 0x48
	v_ashrrev_i32_e32 v2, 31, v0
	s_waitcnt lgkmcnt(0)
	s_delay_alu instid0(VALU_DEP_1)
	v_mul_lo_u32 v5, v2, s6
	v_mul_lo_u32 v8, v0, s7
	v_mad_u64_u32 v[3:4], null, v0, s6, 0
	s_mul_i32 s1, s15, s11
	s_mul_hi_u32 s9, s15, s10
	s_mul_i32 s10, s15, s10
	s_add_i32 s11, s9, s1
	v_add_nc_u32_e32 v2, s12, v7
	s_lshl_b64 s[10:11], s[10:11], 2
	s_delay_alu instid0(VALU_DEP_2)
	v_add3_u32 v4, v4, v8, v5
	s_add_u32 s4, s4, s10
	v_cmp_gt_i32_e32 vcc_lo, s8, v0
	v_cmp_le_i32_e64 s0, v2, v0
	s_addc_u32 s5, s5, s11
	v_lshlrev_b64 v[3:4], 2, v[3:4]
	s_delay_alu instid0(VALU_DEP_2) | instskip(NEXT) | instid1(VALU_DEP_1)
	s_and_b32 s0, vcc_lo, s0
	v_add_co_u32 v7, s1, s4, v3
	s_delay_alu instid0(VALU_DEP_1)
	v_add_co_ci_u32_e64 v8, s1, s5, v4, s1
	s_and_saveexec_b32 s1, s0
	s_cbranch_execz .LBB959_5
; %bb.4:
	v_ashrrev_i32_e32 v3, 31, v2
	s_delay_alu instid0(VALU_DEP_1) | instskip(NEXT) | instid1(VALU_DEP_1)
	v_lshlrev_b64 v[3:4], 2, v[2:3]
	v_add_co_u32 v3, s0, v7, v3
	s_delay_alu instid0(VALU_DEP_1) | instskip(SKIP_3) | instid1(VALU_DEP_1)
	v_add_co_ci_u32_e64 v4, s0, v8, v4, s0
	global_load_b32 v5, v[3:4], off
	s_waitcnt vmcnt(0)
	v_mul_f32_e32 v5, s3, v5
	v_fmac_f32_e32 v5, s2, v10
	global_store_b32 v[3:4], v5, off
.LBB959_5:
	s_or_b32 exec_lo, exec_lo, s1
	v_add_nc_u32_e32 v4, 16, v2
	s_delay_alu instid0(VALU_DEP_1) | instskip(NEXT) | instid1(VALU_DEP_1)
	v_cmp_le_i32_e64 s0, v4, v0
	s_and_b32 s1, vcc_lo, s0
	s_delay_alu instid0(SALU_CYCLE_1)
	s_and_saveexec_b32 s0, s1
	s_cbranch_execz .LBB959_7
; %bb.6:
	v_ashrrev_i32_e32 v5, 31, v4
	s_delay_alu instid0(VALU_DEP_1) | instskip(NEXT) | instid1(VALU_DEP_1)
	v_lshlrev_b64 v[10:11], 2, v[4:5]
	v_add_co_u32 v7, vcc_lo, v7, v10
	s_delay_alu instid0(VALU_DEP_2) | instskip(SKIP_3) | instid1(VALU_DEP_1)
	v_add_co_ci_u32_e32 v8, vcc_lo, v8, v11, vcc_lo
	global_load_b32 v3, v[7:8], off
	s_waitcnt vmcnt(0)
	v_mul_f32_e32 v3, s3, v3
	v_fmac_f32_e32 v3, s2, v9
	global_store_b32 v[7:8], v3, off
.LBB959_7:
	s_or_b32 exec_lo, exec_lo, s0
	v_add_nc_u32_e32 v0, 16, v0
	s_delay_alu instid0(VALU_DEP_1) | instskip(SKIP_3) | instid1(VALU_DEP_4)
	v_ashrrev_i32_e32 v3, 31, v0
	v_mul_lo_u32 v5, v0, s7
	v_mad_u64_u32 v[7:8], null, v0, s6, 0
	v_cmp_gt_i32_e32 vcc_lo, s8, v0
	v_mul_lo_u32 v3, v3, s6
	v_cmp_le_i32_e64 s0, v2, v0
	s_delay_alu instid0(VALU_DEP_1) | instskip(NEXT) | instid1(VALU_DEP_2)
	s_and_b32 s0, vcc_lo, s0
	v_add3_u32 v8, v8, v5, v3
	s_delay_alu instid0(VALU_DEP_1) | instskip(NEXT) | instid1(VALU_DEP_1)
	v_lshlrev_b64 v[7:8], 2, v[7:8]
	v_add_co_u32 v7, s1, s4, v7
	s_delay_alu instid0(VALU_DEP_1)
	v_add_co_ci_u32_e64 v8, s1, s5, v8, s1
	s_and_saveexec_b32 s1, s0
	s_cbranch_execz .LBB959_9
; %bb.8:
	v_ashrrev_i32_e32 v3, 31, v2
	s_delay_alu instid0(VALU_DEP_1) | instskip(NEXT) | instid1(VALU_DEP_1)
	v_lshlrev_b64 v[2:3], 2, v[2:3]
	v_add_co_u32 v2, s0, v7, v2
	s_delay_alu instid0(VALU_DEP_1) | instskip(SKIP_3) | instid1(VALU_DEP_1)
	v_add_co_ci_u32_e64 v3, s0, v8, v3, s0
	global_load_b32 v5, v[2:3], off
	s_waitcnt vmcnt(0)
	v_mul_f32_e32 v5, s3, v5
	v_fmac_f32_e32 v5, s2, v6
	global_store_b32 v[2:3], v5, off
.LBB959_9:
	s_or_b32 exec_lo, exec_lo, s1
	v_cmp_le_i32_e64 s0, v4, v0
	s_delay_alu instid0(VALU_DEP_1) | instskip(NEXT) | instid1(SALU_CYCLE_1)
	s_and_b32 s0, vcc_lo, s0
	s_and_saveexec_b32 s1, s0
	s_cbranch_execz .LBB959_11
; %bb.10:
	v_ashrrev_i32_e32 v5, 31, v4
	s_delay_alu instid0(VALU_DEP_1) | instskip(NEXT) | instid1(VALU_DEP_1)
	v_lshlrev_b64 v[2:3], 2, v[4:5]
	v_add_co_u32 v2, vcc_lo, v7, v2
	s_delay_alu instid0(VALU_DEP_2) | instskip(SKIP_3) | instid1(VALU_DEP_1)
	v_add_co_ci_u32_e32 v3, vcc_lo, v8, v3, vcc_lo
	global_load_b32 v0, v[2:3], off
	s_waitcnt vmcnt(0)
	v_mul_f32_e32 v0, s3, v0
	v_fmac_f32_e32 v0, s2, v1
	global_store_b32 v[2:3], v0, off
.LBB959_11:
	s_nop 0
	s_sendmsg sendmsg(MSG_DEALLOC_VGPRS)
	s_endpgm
	.section	.rodata,"a",@progbits
	.p2align	6, 0x0
	.amdhsa_kernel _ZL37rocblas_syrkx_herkx_restricted_kernelIlfLi16ELi32ELi8ELb0ELb0ELc84ELc85EKffEviT_T0_PT8_S1_lS4_S1_lS2_PT9_S1_li
		.amdhsa_group_segment_fixed_size 2048
		.amdhsa_private_segment_fixed_size 0
		.amdhsa_kernarg_size 108
		.amdhsa_user_sgpr_count 13
		.amdhsa_user_sgpr_dispatch_ptr 0
		.amdhsa_user_sgpr_queue_ptr 0
		.amdhsa_user_sgpr_kernarg_segment_ptr 1
		.amdhsa_user_sgpr_dispatch_id 0
		.amdhsa_user_sgpr_private_segment_size 0
		.amdhsa_wavefront_size32 1
		.amdhsa_uses_dynamic_stack 0
		.amdhsa_enable_private_segment 0
		.amdhsa_system_sgpr_workgroup_id_x 1
		.amdhsa_system_sgpr_workgroup_id_y 1
		.amdhsa_system_sgpr_workgroup_id_z 1
		.amdhsa_system_sgpr_workgroup_info 0
		.amdhsa_system_vgpr_workitem_id 1
		.amdhsa_next_free_vgpr 46
		.amdhsa_next_free_sgpr 20
		.amdhsa_reserve_vcc 1
		.amdhsa_float_round_mode_32 0
		.amdhsa_float_round_mode_16_64 0
		.amdhsa_float_denorm_mode_32 3
		.amdhsa_float_denorm_mode_16_64 3
		.amdhsa_dx10_clamp 1
		.amdhsa_ieee_mode 1
		.amdhsa_fp16_overflow 0
		.amdhsa_workgroup_processor_mode 1
		.amdhsa_memory_ordered 1
		.amdhsa_forward_progress 0
		.amdhsa_shared_vgpr_count 0
		.amdhsa_exception_fp_ieee_invalid_op 0
		.amdhsa_exception_fp_denorm_src 0
		.amdhsa_exception_fp_ieee_div_zero 0
		.amdhsa_exception_fp_ieee_overflow 0
		.amdhsa_exception_fp_ieee_underflow 0
		.amdhsa_exception_fp_ieee_inexact 0
		.amdhsa_exception_int_div_zero 0
	.end_amdhsa_kernel
	.section	.text._ZL37rocblas_syrkx_herkx_restricted_kernelIlfLi16ELi32ELi8ELb0ELb0ELc84ELc85EKffEviT_T0_PT8_S1_lS4_S1_lS2_PT9_S1_li,"axG",@progbits,_ZL37rocblas_syrkx_herkx_restricted_kernelIlfLi16ELi32ELi8ELb0ELb0ELc84ELc85EKffEviT_T0_PT8_S1_lS4_S1_lS2_PT9_S1_li,comdat
.Lfunc_end959:
	.size	_ZL37rocblas_syrkx_herkx_restricted_kernelIlfLi16ELi32ELi8ELb0ELb0ELc84ELc85EKffEviT_T0_PT8_S1_lS4_S1_lS2_PT9_S1_li, .Lfunc_end959-_ZL37rocblas_syrkx_herkx_restricted_kernelIlfLi16ELi32ELi8ELb0ELb0ELc84ELc85EKffEviT_T0_PT8_S1_lS4_S1_lS2_PT9_S1_li
                                        ; -- End function
	.section	.AMDGPU.csdata,"",@progbits
; Kernel info:
; codeLenInByte = 1388
; NumSgprs: 22
; NumVgprs: 46
; ScratchSize: 0
; MemoryBound: 0
; FloatMode: 240
; IeeeMode: 1
; LDSByteSize: 2048 bytes/workgroup (compile time only)
; SGPRBlocks: 2
; VGPRBlocks: 5
; NumSGPRsForWavesPerEU: 22
; NumVGPRsForWavesPerEU: 46
; Occupancy: 16
; WaveLimiterHint : 0
; COMPUTE_PGM_RSRC2:SCRATCH_EN: 0
; COMPUTE_PGM_RSRC2:USER_SGPR: 13
; COMPUTE_PGM_RSRC2:TRAP_HANDLER: 0
; COMPUTE_PGM_RSRC2:TGID_X_EN: 1
; COMPUTE_PGM_RSRC2:TGID_Y_EN: 1
; COMPUTE_PGM_RSRC2:TGID_Z_EN: 1
; COMPUTE_PGM_RSRC2:TIDIG_COMP_CNT: 1
	.section	.text._ZL37rocblas_syrkx_herkx_restricted_kernelIlfLi16ELi32ELi8ELb0ELb0ELc67ELc85EKffEviT_T0_PT8_S1_lS4_S1_lS2_PT9_S1_li,"axG",@progbits,_ZL37rocblas_syrkx_herkx_restricted_kernelIlfLi16ELi32ELi8ELb0ELb0ELc67ELc85EKffEviT_T0_PT8_S1_lS4_S1_lS2_PT9_S1_li,comdat
	.globl	_ZL37rocblas_syrkx_herkx_restricted_kernelIlfLi16ELi32ELi8ELb0ELb0ELc67ELc85EKffEviT_T0_PT8_S1_lS4_S1_lS2_PT9_S1_li ; -- Begin function _ZL37rocblas_syrkx_herkx_restricted_kernelIlfLi16ELi32ELi8ELb0ELb0ELc67ELc85EKffEviT_T0_PT8_S1_lS4_S1_lS2_PT9_S1_li
	.p2align	8
	.type	_ZL37rocblas_syrkx_herkx_restricted_kernelIlfLi16ELi32ELi8ELb0ELb0ELc67ELc85EKffEviT_T0_PT8_S1_lS4_S1_lS2_PT9_S1_li,@function
_ZL37rocblas_syrkx_herkx_restricted_kernelIlfLi16ELi32ELi8ELb0ELb0ELc67ELc85EKffEviT_T0_PT8_S1_lS4_S1_lS2_PT9_S1_li: ; @_ZL37rocblas_syrkx_herkx_restricted_kernelIlfLi16ELi32ELi8ELb0ELb0ELc67ELc85EKffEviT_T0_PT8_S1_lS4_S1_lS2_PT9_S1_li
; %bb.0:
	s_load_b64 s[2:3], s[0:1], 0x8
	v_dual_mov_b32 v10, 0 :: v_dual_mov_b32 v9, 0
	v_dual_mov_b32 v6, 0 :: v_dual_and_b32 v7, 0x3ff, v0
	v_bfe_u32 v8, v0, 10, 10
	v_mov_b32_e32 v1, 0
	s_lshl_b32 s12, s13, 5
	s_lshl_b32 s13, s14, 5
	s_waitcnt lgkmcnt(0)
	v_cmp_lt_i64_e64 s4, s[2:3], 1
	s_delay_alu instid0(VALU_DEP_1)
	s_and_b32 vcc_lo, exec_lo, s4
	s_cbranch_vccnz .LBB960_3
; %bb.1:
	s_load_b128 s[16:19], s[0:1], 0x38
	v_lshl_add_u32 v2, v8, 4, v7
	s_load_b256 s[4:11], s[0:1], 0x18
	v_dual_mov_b32 v1, 0 :: v_dual_and_b32 v0, 7, v7
	v_lshlrev_b32_e32 v11, 2, v7
	s_delay_alu instid0(VALU_DEP_3) | instskip(SKIP_1) | instid1(VALU_DEP_4)
	v_lshrrev_b32_e32 v4, 3, v2
	v_and_b32_e32 v5, 31, v2
	v_lshlrev_b32_e32 v9, 2, v0
	v_lshrrev_b32_e32 v2, 5, v2
	s_delay_alu instid0(VALU_DEP_4) | instskip(NEXT) | instid1(VALU_DEP_4)
	v_dual_mov_b32 v3, v1 :: v_dual_add_nc_u32 v6, s13, v4
	v_add_nc_u32_e32 v12, s12, v5
	v_lshlrev_b32_e32 v13, 2, v5
	v_lshl_or_b32 v14, v4, 5, v9
	s_delay_alu instid0(VALU_DEP_4) | instskip(NEXT) | instid1(VALU_DEP_4)
	v_ashrrev_i32_e32 v10, 31, v6
	v_ashrrev_i32_e32 v9, 31, v12
	s_waitcnt lgkmcnt(0)
	v_mul_lo_u32 v16, v6, s17
	s_delay_alu instid0(VALU_DEP_3)
	v_mul_lo_u32 v15, v10, s16
	v_mad_u64_u32 v[4:5], null, v6, s16, v[0:1]
	v_lshl_or_b32 v0, v2, 7, v13
	v_mul_lo_u32 v6, s6, v9
	v_mad_u64_u32 v[9:10], null, s6, v12, v[2:3]
	v_mul_lo_u32 v13, s7, v12
	s_mul_i32 s14, s19, s15
	s_mul_hi_u32 s17, s18, s15
	v_add3_u32 v5, v15, v5, v16
	s_mul_i32 s16, s18, s15
	s_add_i32 s17, s17, s14
	v_add_nc_u32_e32 v12, 0x400, v14
	s_lshl_b64 s[6:7], s[16:17], 2
	v_add3_u32 v10, v13, v10, v6
	v_lshlrev_b64 v[2:3], 2, v[4:5]
	s_add_u32 s10, s10, s6
	s_addc_u32 s11, s11, s7
	s_mul_i32 s6, s9, s15
	s_mul_hi_u32 s7, s8, s15
	v_lshlrev_b64 v[4:5], 2, v[9:10]
	v_mov_b32_e32 v9, v1
	s_add_i32 s7, s7, s6
	s_mul_i32 s6, s8, s15
	v_add_co_u32 v2, vcc_lo, s10, v2
	s_lshl_b64 s[6:7], s[6:7], 2
	v_add_co_ci_u32_e32 v3, vcc_lo, s11, v3, vcc_lo
	s_add_u32 s4, s4, s6
	s_addc_u32 s5, s5, s7
	v_add_co_u32 v4, vcc_lo, s4, v4
	v_lshl_add_u32 v13, v8, 5, 0x400
	v_add_co_ci_u32_e32 v5, vcc_lo, s5, v5, vcc_lo
	v_mov_b32_e32 v6, v1
	v_mov_b32_e32 v10, v1
	s_mov_b64 s[4:5], 0
.LBB960_2:                              ; =>This Inner Loop Header: Depth=1
	global_load_b32 v14, v[4:5], off
	global_load_b32 v15, v[2:3], off
	s_add_u32 s4, s4, 8
	v_add_co_u32 v2, vcc_lo, v2, 32
	s_addc_u32 s5, s5, 0
	v_add_co_ci_u32_e32 v3, vcc_lo, 0, v3, vcc_lo
	v_cmp_ge_u64_e64 s6, s[4:5], s[2:3]
	v_add_co_u32 v4, vcc_lo, v4, 32
	v_add_co_ci_u32_e32 v5, vcc_lo, 0, v5, vcc_lo
	s_waitcnt vmcnt(1)
	ds_store_b32 v0, v14
	s_waitcnt vmcnt(0)
	ds_store_b32 v12, v15
	s_waitcnt lgkmcnt(0)
	s_barrier
	buffer_gl0_inv
	ds_load_2addr_b32 v[30:31], v11 offset1:16
	ds_load_b128 v[14:17], v13
	ds_load_b128 v[18:21], v13 offset:512
	ds_load_2addr_b32 v[32:33], v11 offset0:32 offset1:48
	ds_load_2addr_b32 v[34:35], v11 offset0:64 offset1:80
	ds_load_b128 v[22:25], v13 offset:16
	ds_load_2addr_b32 v[36:37], v11 offset0:96 offset1:112
	ds_load_2addr_b32 v[38:39], v11 offset0:128 offset1:144
	;; [unrolled: 3-line block ×3, first 2 shown]
	ds_load_2addr_b32 v[44:45], v11 offset0:224 offset1:240
	s_and_b32 vcc_lo, exec_lo, s6
	s_waitcnt lgkmcnt(0)
	s_barrier
	buffer_gl0_inv
	v_fmac_f32_e32 v9, v31, v14
	v_fmac_f32_e32 v10, v30, v14
	;; [unrolled: 1-line block ×3, first 2 shown]
	s_delay_alu instid0(VALU_DEP_3) | instskip(NEXT) | instid1(VALU_DEP_3)
	v_dual_fmac_f32 v6, v30, v18 :: v_dual_fmac_f32 v9, v33, v15
	v_fmac_f32_e32 v10, v32, v15
	s_delay_alu instid0(VALU_DEP_3) | instskip(NEXT) | instid1(VALU_DEP_3)
	v_fmac_f32_e32 v1, v33, v19
	v_dual_fmac_f32 v6, v32, v19 :: v_dual_fmac_f32 v9, v35, v16
	s_delay_alu instid0(VALU_DEP_3) | instskip(NEXT) | instid1(VALU_DEP_3)
	v_fmac_f32_e32 v10, v34, v16
	v_fmac_f32_e32 v1, v35, v20
	s_delay_alu instid0(VALU_DEP_3) | instskip(NEXT) | instid1(VALU_DEP_3)
	v_dual_fmac_f32 v6, v34, v20 :: v_dual_fmac_f32 v9, v37, v17
	v_fmac_f32_e32 v10, v36, v17
	s_delay_alu instid0(VALU_DEP_3) | instskip(NEXT) | instid1(VALU_DEP_3)
	v_fmac_f32_e32 v1, v37, v21
	v_dual_fmac_f32 v6, v36, v21 :: v_dual_fmac_f32 v9, v39, v22
	s_delay_alu instid0(VALU_DEP_3) | instskip(NEXT) | instid1(VALU_DEP_3)
	v_fmac_f32_e32 v10, v38, v22
	v_fmac_f32_e32 v1, v39, v26
	;; [unrolled: 9-line block ×3, first 2 shown]
	s_delay_alu instid0(VALU_DEP_3) | instskip(NEXT) | instid1(VALU_DEP_3)
	v_dual_fmac_f32 v6, v42, v28 :: v_dual_fmac_f32 v9, v45, v25
	v_fmac_f32_e32 v10, v44, v25
	s_delay_alu instid0(VALU_DEP_3) | instskip(NEXT) | instid1(VALU_DEP_3)
	v_fmac_f32_e32 v1, v45, v29
	v_fmac_f32_e32 v6, v44, v29
	s_cbranch_vccz .LBB960_2
.LBB960_3:
	s_clause 0x1
	s_load_b128 s[4:7], s[0:1], 0x50
	s_load_b32 s8, s[0:1], 0x0
	v_add_nc_u32_e32 v0, s13, v8
	s_clause 0x2
	s_load_b64 s[10:11], s[0:1], 0x60
	s_load_b32 s2, s[0:1], 0x10
	s_load_b32 s3, s[0:1], 0x48
	v_ashrrev_i32_e32 v2, 31, v0
	s_waitcnt lgkmcnt(0)
	s_delay_alu instid0(VALU_DEP_1)
	v_mul_lo_u32 v5, v2, s6
	v_mul_lo_u32 v8, v0, s7
	v_mad_u64_u32 v[3:4], null, v0, s6, 0
	s_mul_i32 s1, s15, s11
	s_mul_hi_u32 s9, s15, s10
	s_mul_i32 s10, s15, s10
	s_add_i32 s11, s9, s1
	v_add_nc_u32_e32 v2, s12, v7
	s_lshl_b64 s[10:11], s[10:11], 2
	s_delay_alu instid0(VALU_DEP_2)
	v_add3_u32 v4, v4, v8, v5
	s_add_u32 s4, s4, s10
	v_cmp_gt_i32_e32 vcc_lo, s8, v0
	v_cmp_le_i32_e64 s0, v2, v0
	s_addc_u32 s5, s5, s11
	v_lshlrev_b64 v[3:4], 2, v[3:4]
	s_delay_alu instid0(VALU_DEP_2) | instskip(NEXT) | instid1(VALU_DEP_1)
	s_and_b32 s0, vcc_lo, s0
	v_add_co_u32 v7, s1, s4, v3
	s_delay_alu instid0(VALU_DEP_1)
	v_add_co_ci_u32_e64 v8, s1, s5, v4, s1
	s_and_saveexec_b32 s1, s0
	s_cbranch_execz .LBB960_5
; %bb.4:
	v_ashrrev_i32_e32 v3, 31, v2
	s_delay_alu instid0(VALU_DEP_1) | instskip(NEXT) | instid1(VALU_DEP_1)
	v_lshlrev_b64 v[3:4], 2, v[2:3]
	v_add_co_u32 v3, s0, v7, v3
	s_delay_alu instid0(VALU_DEP_1) | instskip(SKIP_3) | instid1(VALU_DEP_1)
	v_add_co_ci_u32_e64 v4, s0, v8, v4, s0
	global_load_b32 v5, v[3:4], off
	s_waitcnt vmcnt(0)
	v_mul_f32_e32 v5, s3, v5
	v_fmac_f32_e32 v5, s2, v10
	global_store_b32 v[3:4], v5, off
.LBB960_5:
	s_or_b32 exec_lo, exec_lo, s1
	v_add_nc_u32_e32 v4, 16, v2
	s_delay_alu instid0(VALU_DEP_1) | instskip(NEXT) | instid1(VALU_DEP_1)
	v_cmp_le_i32_e64 s0, v4, v0
	s_and_b32 s1, vcc_lo, s0
	s_delay_alu instid0(SALU_CYCLE_1)
	s_and_saveexec_b32 s0, s1
	s_cbranch_execz .LBB960_7
; %bb.6:
	v_ashrrev_i32_e32 v5, 31, v4
	s_delay_alu instid0(VALU_DEP_1) | instskip(NEXT) | instid1(VALU_DEP_1)
	v_lshlrev_b64 v[10:11], 2, v[4:5]
	v_add_co_u32 v7, vcc_lo, v7, v10
	s_delay_alu instid0(VALU_DEP_2) | instskip(SKIP_3) | instid1(VALU_DEP_1)
	v_add_co_ci_u32_e32 v8, vcc_lo, v8, v11, vcc_lo
	global_load_b32 v3, v[7:8], off
	s_waitcnt vmcnt(0)
	v_mul_f32_e32 v3, s3, v3
	v_fmac_f32_e32 v3, s2, v9
	global_store_b32 v[7:8], v3, off
.LBB960_7:
	s_or_b32 exec_lo, exec_lo, s0
	v_add_nc_u32_e32 v0, 16, v0
	s_delay_alu instid0(VALU_DEP_1) | instskip(SKIP_3) | instid1(VALU_DEP_4)
	v_ashrrev_i32_e32 v3, 31, v0
	v_mul_lo_u32 v5, v0, s7
	v_mad_u64_u32 v[7:8], null, v0, s6, 0
	v_cmp_gt_i32_e32 vcc_lo, s8, v0
	v_mul_lo_u32 v3, v3, s6
	v_cmp_le_i32_e64 s0, v2, v0
	s_delay_alu instid0(VALU_DEP_1) | instskip(NEXT) | instid1(VALU_DEP_2)
	s_and_b32 s0, vcc_lo, s0
	v_add3_u32 v8, v8, v5, v3
	s_delay_alu instid0(VALU_DEP_1) | instskip(NEXT) | instid1(VALU_DEP_1)
	v_lshlrev_b64 v[7:8], 2, v[7:8]
	v_add_co_u32 v7, s1, s4, v7
	s_delay_alu instid0(VALU_DEP_1)
	v_add_co_ci_u32_e64 v8, s1, s5, v8, s1
	s_and_saveexec_b32 s1, s0
	s_cbranch_execz .LBB960_9
; %bb.8:
	v_ashrrev_i32_e32 v3, 31, v2
	s_delay_alu instid0(VALU_DEP_1) | instskip(NEXT) | instid1(VALU_DEP_1)
	v_lshlrev_b64 v[2:3], 2, v[2:3]
	v_add_co_u32 v2, s0, v7, v2
	s_delay_alu instid0(VALU_DEP_1) | instskip(SKIP_3) | instid1(VALU_DEP_1)
	v_add_co_ci_u32_e64 v3, s0, v8, v3, s0
	global_load_b32 v5, v[2:3], off
	s_waitcnt vmcnt(0)
	v_mul_f32_e32 v5, s3, v5
	v_fmac_f32_e32 v5, s2, v6
	global_store_b32 v[2:3], v5, off
.LBB960_9:
	s_or_b32 exec_lo, exec_lo, s1
	v_cmp_le_i32_e64 s0, v4, v0
	s_delay_alu instid0(VALU_DEP_1) | instskip(NEXT) | instid1(SALU_CYCLE_1)
	s_and_b32 s0, vcc_lo, s0
	s_and_saveexec_b32 s1, s0
	s_cbranch_execz .LBB960_11
; %bb.10:
	v_ashrrev_i32_e32 v5, 31, v4
	s_delay_alu instid0(VALU_DEP_1) | instskip(NEXT) | instid1(VALU_DEP_1)
	v_lshlrev_b64 v[2:3], 2, v[4:5]
	v_add_co_u32 v2, vcc_lo, v7, v2
	s_delay_alu instid0(VALU_DEP_2) | instskip(SKIP_3) | instid1(VALU_DEP_1)
	v_add_co_ci_u32_e32 v3, vcc_lo, v8, v3, vcc_lo
	global_load_b32 v0, v[2:3], off
	s_waitcnt vmcnt(0)
	v_mul_f32_e32 v0, s3, v0
	v_fmac_f32_e32 v0, s2, v1
	global_store_b32 v[2:3], v0, off
.LBB960_11:
	s_nop 0
	s_sendmsg sendmsg(MSG_DEALLOC_VGPRS)
	s_endpgm
	.section	.rodata,"a",@progbits
	.p2align	6, 0x0
	.amdhsa_kernel _ZL37rocblas_syrkx_herkx_restricted_kernelIlfLi16ELi32ELi8ELb0ELb0ELc67ELc85EKffEviT_T0_PT8_S1_lS4_S1_lS2_PT9_S1_li
		.amdhsa_group_segment_fixed_size 2048
		.amdhsa_private_segment_fixed_size 0
		.amdhsa_kernarg_size 108
		.amdhsa_user_sgpr_count 13
		.amdhsa_user_sgpr_dispatch_ptr 0
		.amdhsa_user_sgpr_queue_ptr 0
		.amdhsa_user_sgpr_kernarg_segment_ptr 1
		.amdhsa_user_sgpr_dispatch_id 0
		.amdhsa_user_sgpr_private_segment_size 0
		.amdhsa_wavefront_size32 1
		.amdhsa_uses_dynamic_stack 0
		.amdhsa_enable_private_segment 0
		.amdhsa_system_sgpr_workgroup_id_x 1
		.amdhsa_system_sgpr_workgroup_id_y 1
		.amdhsa_system_sgpr_workgroup_id_z 1
		.amdhsa_system_sgpr_workgroup_info 0
		.amdhsa_system_vgpr_workitem_id 1
		.amdhsa_next_free_vgpr 46
		.amdhsa_next_free_sgpr 20
		.amdhsa_reserve_vcc 1
		.amdhsa_float_round_mode_32 0
		.amdhsa_float_round_mode_16_64 0
		.amdhsa_float_denorm_mode_32 3
		.amdhsa_float_denorm_mode_16_64 3
		.amdhsa_dx10_clamp 1
		.amdhsa_ieee_mode 1
		.amdhsa_fp16_overflow 0
		.amdhsa_workgroup_processor_mode 1
		.amdhsa_memory_ordered 1
		.amdhsa_forward_progress 0
		.amdhsa_shared_vgpr_count 0
		.amdhsa_exception_fp_ieee_invalid_op 0
		.amdhsa_exception_fp_denorm_src 0
		.amdhsa_exception_fp_ieee_div_zero 0
		.amdhsa_exception_fp_ieee_overflow 0
		.amdhsa_exception_fp_ieee_underflow 0
		.amdhsa_exception_fp_ieee_inexact 0
		.amdhsa_exception_int_div_zero 0
	.end_amdhsa_kernel
	.section	.text._ZL37rocblas_syrkx_herkx_restricted_kernelIlfLi16ELi32ELi8ELb0ELb0ELc67ELc85EKffEviT_T0_PT8_S1_lS4_S1_lS2_PT9_S1_li,"axG",@progbits,_ZL37rocblas_syrkx_herkx_restricted_kernelIlfLi16ELi32ELi8ELb0ELb0ELc67ELc85EKffEviT_T0_PT8_S1_lS4_S1_lS2_PT9_S1_li,comdat
.Lfunc_end960:
	.size	_ZL37rocblas_syrkx_herkx_restricted_kernelIlfLi16ELi32ELi8ELb0ELb0ELc67ELc85EKffEviT_T0_PT8_S1_lS4_S1_lS2_PT9_S1_li, .Lfunc_end960-_ZL37rocblas_syrkx_herkx_restricted_kernelIlfLi16ELi32ELi8ELb0ELb0ELc67ELc85EKffEviT_T0_PT8_S1_lS4_S1_lS2_PT9_S1_li
                                        ; -- End function
	.section	.AMDGPU.csdata,"",@progbits
; Kernel info:
; codeLenInByte = 1388
; NumSgprs: 22
; NumVgprs: 46
; ScratchSize: 0
; MemoryBound: 0
; FloatMode: 240
; IeeeMode: 1
; LDSByteSize: 2048 bytes/workgroup (compile time only)
; SGPRBlocks: 2
; VGPRBlocks: 5
; NumSGPRsForWavesPerEU: 22
; NumVGPRsForWavesPerEU: 46
; Occupancy: 16
; WaveLimiterHint : 0
; COMPUTE_PGM_RSRC2:SCRATCH_EN: 0
; COMPUTE_PGM_RSRC2:USER_SGPR: 13
; COMPUTE_PGM_RSRC2:TRAP_HANDLER: 0
; COMPUTE_PGM_RSRC2:TGID_X_EN: 1
; COMPUTE_PGM_RSRC2:TGID_Y_EN: 1
; COMPUTE_PGM_RSRC2:TGID_Z_EN: 1
; COMPUTE_PGM_RSRC2:TIDIG_COMP_CNT: 1
	.section	.text._ZL37rocblas_syrkx_herkx_restricted_kernelIlfLi16ELi32ELi8ELb0ELb0ELc78ELc85EKffEviT_T0_PT8_S1_lS4_S1_lS2_PT9_S1_li,"axG",@progbits,_ZL37rocblas_syrkx_herkx_restricted_kernelIlfLi16ELi32ELi8ELb0ELb0ELc78ELc85EKffEviT_T0_PT8_S1_lS4_S1_lS2_PT9_S1_li,comdat
	.globl	_ZL37rocblas_syrkx_herkx_restricted_kernelIlfLi16ELi32ELi8ELb0ELb0ELc78ELc85EKffEviT_T0_PT8_S1_lS4_S1_lS2_PT9_S1_li ; -- Begin function _ZL37rocblas_syrkx_herkx_restricted_kernelIlfLi16ELi32ELi8ELb0ELb0ELc78ELc85EKffEviT_T0_PT8_S1_lS4_S1_lS2_PT9_S1_li
	.p2align	8
	.type	_ZL37rocblas_syrkx_herkx_restricted_kernelIlfLi16ELi32ELi8ELb0ELb0ELc78ELc85EKffEviT_T0_PT8_S1_lS4_S1_lS2_PT9_S1_li,@function
_ZL37rocblas_syrkx_herkx_restricted_kernelIlfLi16ELi32ELi8ELb0ELb0ELc78ELc85EKffEviT_T0_PT8_S1_lS4_S1_lS2_PT9_S1_li: ; @_ZL37rocblas_syrkx_herkx_restricted_kernelIlfLi16ELi32ELi8ELb0ELb0ELc78ELc85EKffEviT_T0_PT8_S1_lS4_S1_lS2_PT9_S1_li
; %bb.0:
	s_load_b64 s[2:3], s[0:1], 0x8
	v_dual_mov_b32 v9, 0 :: v_dual_mov_b32 v8, 0
	v_dual_mov_b32 v6, 0 :: v_dual_and_b32 v5, 0x3ff, v0
	v_bfe_u32 v7, v0, 10, 10
	v_mov_b32_e32 v4, 0
	s_lshl_b32 s12, s13, 5
	s_lshl_b32 s13, s14, 5
	s_waitcnt lgkmcnt(0)
	v_cmp_lt_i64_e64 s4, s[2:3], 1
	s_delay_alu instid0(VALU_DEP_1)
	s_and_b32 vcc_lo, exec_lo, s4
	s_cbranch_vccnz .LBB961_3
; %bb.1:
	s_load_b128 s[16:19], s[0:1], 0x38
	v_lshl_add_u32 v1, v7, 4, v5
	s_load_b256 s[4:11], s[0:1], 0x18
	v_and_b32_e32 v6, 7, v5
	v_lshlrev_b32_e32 v10, 2, v5
	v_lshl_add_u32 v11, v7, 5, 0x400
	v_lshrrev_b32_e32 v4, 3, v1
	v_and_b32_e32 v3, 31, v1
	v_lshrrev_b32_e32 v13, 5, v1
	v_lshlrev_b32_e32 v12, 2, v6
	s_delay_alu instid0(VALU_DEP_4) | instskip(NEXT) | instid1(VALU_DEP_4)
	v_add_nc_u32_e32 v0, s13, v4
	v_add_nc_u32_e32 v2, s12, v3
	v_lshlrev_b32_e32 v14, 2, v3
	s_delay_alu instid0(VALU_DEP_4) | instskip(NEXT) | instid1(VALU_DEP_4)
	v_lshl_or_b32 v16, v4, 5, v12
	v_ashrrev_i32_e32 v1, 31, v0
	s_delay_alu instid0(VALU_DEP_4) | instskip(NEXT) | instid1(VALU_DEP_4)
	v_ashrrev_i32_e32 v3, 31, v2
	v_lshl_or_b32 v12, v13, 7, v14
	s_waitcnt lgkmcnt(0)
	s_mul_i32 s14, s19, s15
	v_mad_u64_u32 v[8:9], null, v6, s16, v[0:1]
	v_mad_u64_u32 v[0:1], null, v13, s6, v[2:3]
	s_mul_hi_u32 s19, s18, s15
	s_mul_i32 s18, s18, s15
	s_add_i32 s19, s19, s14
	s_mul_i32 s9, s9, s15
	s_delay_alu instid0(VALU_DEP_2)
	v_mov_b32_e32 v2, v9
	s_lshl_b64 s[18:19], s[18:19], 2
	s_mul_hi_u32 s14, s8, s15
	s_add_u32 s18, s10, s18
	s_mul_i32 s8, s8, s15
	v_mad_u64_u32 v[3:4], null, v6, s17, v[2:3]
	v_mad_u64_u32 v[14:15], null, v13, s7, v[1:2]
	s_addc_u32 s19, s11, s19
	s_add_i32 s9, s14, s9
	v_dual_mov_b32 v4, 0 :: v_dual_add_nc_u32 v13, 0x400, v16
	s_delay_alu instid0(VALU_DEP_3) | instskip(SKIP_1) | instid1(VALU_DEP_3)
	v_mov_b32_e32 v9, v3
	s_lshl_b64 s[10:11], s[8:9], 2
	v_mov_b32_e32 v1, v14
	s_lshl_b64 s[8:9], s[16:17], 5
	s_add_u32 s4, s4, s10
	v_lshlrev_b64 v[2:3], 2, v[8:9]
	s_addc_u32 s5, s5, s11
	v_lshlrev_b64 v[8:9], 2, v[0:1]
	v_mov_b32_e32 v6, 0
	s_delay_alu instid0(VALU_DEP_3) | instskip(NEXT) | instid1(VALU_DEP_4)
	v_add_co_u32 v0, vcc_lo, s18, v2
	v_add_co_ci_u32_e32 v1, vcc_lo, s19, v3, vcc_lo
	s_delay_alu instid0(VALU_DEP_4)
	v_add_co_u32 v2, vcc_lo, s4, v8
	v_add_co_ci_u32_e32 v3, vcc_lo, s5, v9, vcc_lo
	v_dual_mov_b32 v8, 0 :: v_dual_mov_b32 v9, 0
	s_lshl_b64 s[4:5], s[6:7], 5
	s_mov_b64 s[6:7], 0
.LBB961_2:                              ; =>This Inner Loop Header: Depth=1
	global_load_b32 v14, v[2:3], off
	global_load_b32 v15, v[0:1], off
	s_add_u32 s6, s6, 8
	v_add_co_u32 v0, vcc_lo, v0, s8
	s_addc_u32 s7, s7, 0
	v_add_co_ci_u32_e32 v1, vcc_lo, s9, v1, vcc_lo
	v_cmp_ge_u64_e64 s10, s[6:7], s[2:3]
	v_add_co_u32 v2, vcc_lo, v2, s4
	v_add_co_ci_u32_e32 v3, vcc_lo, s5, v3, vcc_lo
	s_waitcnt vmcnt(1)
	ds_store_b32 v12, v14
	s_waitcnt vmcnt(0)
	ds_store_b32 v13, v15
	s_waitcnt lgkmcnt(0)
	s_barrier
	buffer_gl0_inv
	ds_load_2addr_b32 v[30:31], v10 offset1:16
	ds_load_b128 v[14:17], v11
	ds_load_b128 v[18:21], v11 offset:512
	ds_load_2addr_b32 v[32:33], v10 offset0:32 offset1:48
	ds_load_2addr_b32 v[34:35], v10 offset0:64 offset1:80
	ds_load_b128 v[22:25], v11 offset:16
	ds_load_2addr_b32 v[36:37], v10 offset0:96 offset1:112
	ds_load_2addr_b32 v[38:39], v10 offset0:128 offset1:144
	;; [unrolled: 3-line block ×3, first 2 shown]
	ds_load_2addr_b32 v[44:45], v10 offset0:224 offset1:240
	s_and_b32 vcc_lo, exec_lo, s10
	s_waitcnt lgkmcnt(0)
	s_barrier
	buffer_gl0_inv
	v_fmac_f32_e32 v8, v31, v14
	s_delay_alu instid0(VALU_DEP_1) | instskip(NEXT) | instid1(VALU_DEP_1)
	v_dual_fmac_f32 v9, v30, v14 :: v_dual_fmac_f32 v8, v33, v15
	v_dual_fmac_f32 v9, v32, v15 :: v_dual_fmac_f32 v4, v31, v18
	s_delay_alu instid0(VALU_DEP_1) | instskip(NEXT) | instid1(VALU_DEP_1)
	v_fmac_f32_e32 v9, v34, v16
	v_dual_fmac_f32 v6, v30, v18 :: v_dual_fmac_f32 v9, v36, v17
	s_delay_alu instid0(VALU_DEP_1) | instskip(NEXT) | instid1(VALU_DEP_1)
	v_dual_fmac_f32 v6, v32, v19 :: v_dual_fmac_f32 v9, v38, v22
	v_dual_fmac_f32 v8, v35, v16 :: v_dual_fmac_f32 v9, v40, v23
	v_fmac_f32_e32 v4, v33, v19
	s_delay_alu instid0(VALU_DEP_2) | instskip(NEXT) | instid1(VALU_DEP_4)
	v_dual_fmac_f32 v8, v37, v17 :: v_dual_fmac_f32 v9, v42, v24
	v_fmac_f32_e32 v6, v34, v20
	s_delay_alu instid0(VALU_DEP_3) | instskip(NEXT) | instid1(VALU_DEP_3)
	v_fmac_f32_e32 v4, v35, v20
	v_dual_fmac_f32 v8, v39, v22 :: v_dual_fmac_f32 v9, v44, v25
	s_delay_alu instid0(VALU_DEP_3) | instskip(NEXT) | instid1(VALU_DEP_3)
	v_fmac_f32_e32 v6, v36, v21
	v_fmac_f32_e32 v4, v37, v21
	s_delay_alu instid0(VALU_DEP_3) | instskip(NEXT) | instid1(VALU_DEP_3)
	v_fmac_f32_e32 v8, v41, v23
	v_fmac_f32_e32 v6, v38, v26
	;; [unrolled: 3-line block ×5, first 2 shown]
	s_delay_alu instid0(VALU_DEP_3) | instskip(NEXT) | instid1(VALU_DEP_2)
	v_fmac_f32_e32 v4, v43, v28
	v_fmac_f32_e32 v6, v44, v29
	s_delay_alu instid0(VALU_DEP_2)
	v_fmac_f32_e32 v4, v45, v29
	s_cbranch_vccz .LBB961_2
.LBB961_3:
	s_clause 0x1
	s_load_b128 s[4:7], s[0:1], 0x50
	s_load_b32 s8, s[0:1], 0x0
	v_add_nc_u32_e32 v7, s13, v7
	s_clause 0x2
	s_load_b64 s[10:11], s[0:1], 0x60
	s_load_b32 s2, s[0:1], 0x10
	s_load_b32 s3, s[0:1], 0x48
	v_ashrrev_i32_e32 v0, 31, v7
	s_waitcnt lgkmcnt(0)
	s_delay_alu instid0(VALU_DEP_1)
	v_mul_lo_u32 v3, v0, s6
	v_mul_lo_u32 v10, v7, s7
	v_mad_u64_u32 v[1:2], null, v7, s6, 0
	s_mul_i32 s1, s15, s11
	s_mul_hi_u32 s9, s15, s10
	s_mul_i32 s10, s15, s10
	s_add_i32 s11, s9, s1
	v_add_nc_u32_e32 v0, s12, v5
	s_lshl_b64 s[10:11], s[10:11], 2
	s_delay_alu instid0(VALU_DEP_2)
	v_add3_u32 v2, v2, v10, v3
	s_add_u32 s4, s4, s10
	v_cmp_gt_i32_e32 vcc_lo, s8, v7
	v_cmp_le_i32_e64 s0, v0, v7
	s_addc_u32 s5, s5, s11
	v_lshlrev_b64 v[1:2], 2, v[1:2]
	s_delay_alu instid0(VALU_DEP_2) | instskip(NEXT) | instid1(VALU_DEP_1)
	s_and_b32 s0, vcc_lo, s0
	v_add_co_u32 v5, s1, s4, v1
	s_delay_alu instid0(VALU_DEP_1)
	v_add_co_ci_u32_e64 v10, s1, s5, v2, s1
	s_and_saveexec_b32 s1, s0
	s_cbranch_execz .LBB961_5
; %bb.4:
	v_ashrrev_i32_e32 v1, 31, v0
	s_delay_alu instid0(VALU_DEP_1) | instskip(NEXT) | instid1(VALU_DEP_1)
	v_lshlrev_b64 v[1:2], 2, v[0:1]
	v_add_co_u32 v1, s0, v5, v1
	s_delay_alu instid0(VALU_DEP_1) | instskip(SKIP_3) | instid1(VALU_DEP_1)
	v_add_co_ci_u32_e64 v2, s0, v10, v2, s0
	global_load_b32 v3, v[1:2], off
	s_waitcnt vmcnt(0)
	v_mul_f32_e32 v3, s3, v3
	v_fmac_f32_e32 v3, s2, v9
	global_store_b32 v[1:2], v3, off
.LBB961_5:
	s_or_b32 exec_lo, exec_lo, s1
	v_add_nc_u32_e32 v2, 16, v0
	s_delay_alu instid0(VALU_DEP_1) | instskip(NEXT) | instid1(VALU_DEP_1)
	v_cmp_le_i32_e64 s0, v2, v7
	s_and_b32 s1, vcc_lo, s0
	s_delay_alu instid0(SALU_CYCLE_1)
	s_and_saveexec_b32 s0, s1
	s_cbranch_execz .LBB961_7
; %bb.6:
	v_ashrrev_i32_e32 v3, 31, v2
	s_delay_alu instid0(VALU_DEP_1) | instskip(NEXT) | instid1(VALU_DEP_1)
	v_lshlrev_b64 v[11:12], 2, v[2:3]
	v_add_co_u32 v9, vcc_lo, v5, v11
	s_delay_alu instid0(VALU_DEP_2) | instskip(SKIP_3) | instid1(VALU_DEP_1)
	v_add_co_ci_u32_e32 v10, vcc_lo, v10, v12, vcc_lo
	global_load_b32 v1, v[9:10], off
	s_waitcnt vmcnt(0)
	v_mul_f32_e32 v1, s3, v1
	v_fmac_f32_e32 v1, s2, v8
	global_store_b32 v[9:10], v1, off
.LBB961_7:
	s_or_b32 exec_lo, exec_lo, s0
	v_add_nc_u32_e32 v3, 16, v7
	s_delay_alu instid0(VALU_DEP_1) | instskip(SKIP_3) | instid1(VALU_DEP_4)
	v_ashrrev_i32_e32 v1, 31, v3
	v_mul_lo_u32 v5, v3, s7
	v_mad_u64_u32 v[7:8], null, v3, s6, 0
	v_cmp_gt_i32_e32 vcc_lo, s8, v3
	v_mul_lo_u32 v1, v1, s6
	v_cmp_le_i32_e64 s0, v0, v3
	s_delay_alu instid0(VALU_DEP_1) | instskip(NEXT) | instid1(VALU_DEP_2)
	s_and_b32 s0, vcc_lo, s0
	v_add3_u32 v8, v8, v5, v1
	s_delay_alu instid0(VALU_DEP_1) | instskip(NEXT) | instid1(VALU_DEP_1)
	v_lshlrev_b64 v[7:8], 2, v[7:8]
	v_add_co_u32 v5, s1, s4, v7
	s_delay_alu instid0(VALU_DEP_1)
	v_add_co_ci_u32_e64 v7, s1, s5, v8, s1
	s_and_saveexec_b32 s1, s0
	s_cbranch_execz .LBB961_9
; %bb.8:
	v_ashrrev_i32_e32 v1, 31, v0
	s_delay_alu instid0(VALU_DEP_1) | instskip(NEXT) | instid1(VALU_DEP_1)
	v_lshlrev_b64 v[0:1], 2, v[0:1]
	v_add_co_u32 v0, s0, v5, v0
	s_delay_alu instid0(VALU_DEP_1) | instskip(SKIP_3) | instid1(VALU_DEP_1)
	v_add_co_ci_u32_e64 v1, s0, v7, v1, s0
	global_load_b32 v8, v[0:1], off
	s_waitcnt vmcnt(0)
	v_mul_f32_e32 v8, s3, v8
	v_fmac_f32_e32 v8, s2, v6
	global_store_b32 v[0:1], v8, off
.LBB961_9:
	s_or_b32 exec_lo, exec_lo, s1
	v_cmp_le_i32_e64 s0, v2, v3
	s_delay_alu instid0(VALU_DEP_1) | instskip(NEXT) | instid1(SALU_CYCLE_1)
	s_and_b32 s0, vcc_lo, s0
	s_and_saveexec_b32 s1, s0
	s_cbranch_execz .LBB961_11
; %bb.10:
	v_ashrrev_i32_e32 v3, 31, v2
	s_delay_alu instid0(VALU_DEP_1) | instskip(NEXT) | instid1(VALU_DEP_1)
	v_lshlrev_b64 v[0:1], 2, v[2:3]
	v_add_co_u32 v0, vcc_lo, v5, v0
	s_delay_alu instid0(VALU_DEP_2) | instskip(SKIP_3) | instid1(VALU_DEP_1)
	v_add_co_ci_u32_e32 v1, vcc_lo, v7, v1, vcc_lo
	global_load_b32 v2, v[0:1], off
	s_waitcnt vmcnt(0)
	v_mul_f32_e32 v2, s3, v2
	v_fmac_f32_e32 v2, s2, v4
	global_store_b32 v[0:1], v2, off
.LBB961_11:
	s_nop 0
	s_sendmsg sendmsg(MSG_DEALLOC_VGPRS)
	s_endpgm
	.section	.rodata,"a",@progbits
	.p2align	6, 0x0
	.amdhsa_kernel _ZL37rocblas_syrkx_herkx_restricted_kernelIlfLi16ELi32ELi8ELb0ELb0ELc78ELc85EKffEviT_T0_PT8_S1_lS4_S1_lS2_PT9_S1_li
		.amdhsa_group_segment_fixed_size 2048
		.amdhsa_private_segment_fixed_size 0
		.amdhsa_kernarg_size 108
		.amdhsa_user_sgpr_count 13
		.amdhsa_user_sgpr_dispatch_ptr 0
		.amdhsa_user_sgpr_queue_ptr 0
		.amdhsa_user_sgpr_kernarg_segment_ptr 1
		.amdhsa_user_sgpr_dispatch_id 0
		.amdhsa_user_sgpr_private_segment_size 0
		.amdhsa_wavefront_size32 1
		.amdhsa_uses_dynamic_stack 0
		.amdhsa_enable_private_segment 0
		.amdhsa_system_sgpr_workgroup_id_x 1
		.amdhsa_system_sgpr_workgroup_id_y 1
		.amdhsa_system_sgpr_workgroup_id_z 1
		.amdhsa_system_sgpr_workgroup_info 0
		.amdhsa_system_vgpr_workitem_id 1
		.amdhsa_next_free_vgpr 46
		.amdhsa_next_free_sgpr 20
		.amdhsa_reserve_vcc 1
		.amdhsa_float_round_mode_32 0
		.amdhsa_float_round_mode_16_64 0
		.amdhsa_float_denorm_mode_32 3
		.amdhsa_float_denorm_mode_16_64 3
		.amdhsa_dx10_clamp 1
		.amdhsa_ieee_mode 1
		.amdhsa_fp16_overflow 0
		.amdhsa_workgroup_processor_mode 1
		.amdhsa_memory_ordered 1
		.amdhsa_forward_progress 0
		.amdhsa_shared_vgpr_count 0
		.amdhsa_exception_fp_ieee_invalid_op 0
		.amdhsa_exception_fp_denorm_src 0
		.amdhsa_exception_fp_ieee_div_zero 0
		.amdhsa_exception_fp_ieee_overflow 0
		.amdhsa_exception_fp_ieee_underflow 0
		.amdhsa_exception_fp_ieee_inexact 0
		.amdhsa_exception_int_div_zero 0
	.end_amdhsa_kernel
	.section	.text._ZL37rocblas_syrkx_herkx_restricted_kernelIlfLi16ELi32ELi8ELb0ELb0ELc78ELc85EKffEviT_T0_PT8_S1_lS4_S1_lS2_PT9_S1_li,"axG",@progbits,_ZL37rocblas_syrkx_herkx_restricted_kernelIlfLi16ELi32ELi8ELb0ELb0ELc78ELc85EKffEviT_T0_PT8_S1_lS4_S1_lS2_PT9_S1_li,comdat
.Lfunc_end961:
	.size	_ZL37rocblas_syrkx_herkx_restricted_kernelIlfLi16ELi32ELi8ELb0ELb0ELc78ELc85EKffEviT_T0_PT8_S1_lS4_S1_lS2_PT9_S1_li, .Lfunc_end961-_ZL37rocblas_syrkx_herkx_restricted_kernelIlfLi16ELi32ELi8ELb0ELb0ELc78ELc85EKffEviT_T0_PT8_S1_lS4_S1_lS2_PT9_S1_li
                                        ; -- End function
	.section	.AMDGPU.csdata,"",@progbits
; Kernel info:
; codeLenInByte = 1388
; NumSgprs: 22
; NumVgprs: 46
; ScratchSize: 0
; MemoryBound: 0
; FloatMode: 240
; IeeeMode: 1
; LDSByteSize: 2048 bytes/workgroup (compile time only)
; SGPRBlocks: 2
; VGPRBlocks: 5
; NumSGPRsForWavesPerEU: 22
; NumVGPRsForWavesPerEU: 46
; Occupancy: 16
; WaveLimiterHint : 0
; COMPUTE_PGM_RSRC2:SCRATCH_EN: 0
; COMPUTE_PGM_RSRC2:USER_SGPR: 13
; COMPUTE_PGM_RSRC2:TRAP_HANDLER: 0
; COMPUTE_PGM_RSRC2:TGID_X_EN: 1
; COMPUTE_PGM_RSRC2:TGID_Y_EN: 1
; COMPUTE_PGM_RSRC2:TGID_Z_EN: 1
; COMPUTE_PGM_RSRC2:TIDIG_COMP_CNT: 1
	.section	.text._ZL41rocblas_syrkx_herkx_small_restrict_kernelIlfLi16ELb1ELb0ELc84ELc76EKffEviT_T0_PT6_S1_lS4_S1_lS2_PT7_S1_li,"axG",@progbits,_ZL41rocblas_syrkx_herkx_small_restrict_kernelIlfLi16ELb1ELb0ELc84ELc76EKffEviT_T0_PT6_S1_lS4_S1_lS2_PT7_S1_li,comdat
	.globl	_ZL41rocblas_syrkx_herkx_small_restrict_kernelIlfLi16ELb1ELb0ELc84ELc76EKffEviT_T0_PT6_S1_lS4_S1_lS2_PT7_S1_li ; -- Begin function _ZL41rocblas_syrkx_herkx_small_restrict_kernelIlfLi16ELb1ELb0ELc84ELc76EKffEviT_T0_PT6_S1_lS4_S1_lS2_PT7_S1_li
	.p2align	8
	.type	_ZL41rocblas_syrkx_herkx_small_restrict_kernelIlfLi16ELb1ELb0ELc84ELc76EKffEviT_T0_PT6_S1_lS4_S1_lS2_PT7_S1_li,@function
_ZL41rocblas_syrkx_herkx_small_restrict_kernelIlfLi16ELb1ELb0ELc84ELc76EKffEviT_T0_PT6_S1_lS4_S1_lS2_PT7_S1_li: ; @_ZL41rocblas_syrkx_herkx_small_restrict_kernelIlfLi16ELb1ELb0ELc84ELc76EKffEviT_T0_PT6_S1_lS4_S1_lS2_PT7_S1_li
; %bb.0:
	s_load_b64 s[2:3], s[0:1], 0x8
	v_and_b32_e32 v3, 0x3ff, v0
	v_bfe_u32 v2, v0, 10, 10
	s_delay_alu instid0(VALU_DEP_2) | instskip(NEXT) | instid1(VALU_DEP_2)
	v_lshl_add_u32 v0, s13, 4, v3
	v_lshl_add_u32 v6, s14, 4, v2
	s_delay_alu instid0(VALU_DEP_2) | instskip(NEXT) | instid1(VALU_DEP_2)
	v_ashrrev_i32_e32 v1, 31, v0
	v_ashrrev_i32_e32 v7, 31, v6
	s_waitcnt lgkmcnt(0)
	v_cmp_lt_i64_e64 s4, s[2:3], 1
	s_delay_alu instid0(VALU_DEP_1)
	s_and_b32 vcc_lo, exec_lo, s4
	s_cbranch_vccnz .LBB962_6
; %bb.1:
	s_clause 0x1
	s_load_b128 s[16:19], s[0:1], 0x38
	s_load_b256 s[4:11], s[0:1], 0x18
	v_lshlrev_b32_e32 v4, 6, v2
	v_lshlrev_b32_e32 v8, 2, v3
	;; [unrolled: 1-line block ×3, first 2 shown]
	s_delay_alu instid0(VALU_DEP_3) | instskip(NEXT) | instid1(VALU_DEP_3)
	v_add_nc_u32_e32 v9, 0x400, v4
	v_add_nc_u32_e32 v11, v8, v4
	s_waitcnt lgkmcnt(0)
	v_mul_lo_u32 v13, s17, v6
	v_mul_lo_u32 v14, s16, v7
	v_mad_u64_u32 v[2:3], null, s16, v6, 0
	v_mul_lo_u32 v15, s7, v0
	v_mul_lo_u32 v16, s6, v1
	v_mad_u64_u32 v[4:5], null, s6, v0, 0
	s_mul_i32 s12, s19, s15
	s_mul_hi_u32 s7, s18, s15
	s_delay_alu instid0(VALU_DEP_4) | instskip(SKIP_3) | instid1(VALU_DEP_2)
	v_add3_u32 v3, v3, v14, v13
	s_mul_i32 s6, s18, s15
	s_add_i32 s7, s7, s12
	s_mul_i32 s9, s9, s15
	v_add3_u32 v5, v5, v16, v15
	v_lshlrev_b64 v[2:3], 2, v[2:3]
	s_mul_hi_u32 s13, s8, s15
	s_lshl_b64 s[6:7], s[6:7], 2
	s_mul_i32 s8, s8, s15
	v_lshlrev_b64 v[4:5], 2, v[4:5]
	s_add_i32 s9, s13, s9
	v_add_co_u32 v2, vcc_lo, v2, s6
	s_lshl_b64 s[8:9], s[8:9], 2
	v_add_co_ci_u32_e32 v3, vcc_lo, s7, v3, vcc_lo
	s_delay_alu instid0(VALU_DEP_3) | instskip(SKIP_2) | instid1(VALU_DEP_4)
	v_add_co_u32 v4, vcc_lo, v4, s8
	v_add_co_ci_u32_e32 v5, vcc_lo, s9, v5, vcc_lo
	v_add_co_u32 v2, vcc_lo, v2, v8
	v_add_co_ci_u32_e32 v3, vcc_lo, 0, v3, vcc_lo
	s_delay_alu instid0(VALU_DEP_4)
	v_add_co_u32 v4, vcc_lo, v4, v10
	v_mov_b32_e32 v10, 0
	v_add_co_ci_u32_e32 v5, vcc_lo, 0, v5, vcc_lo
	v_add_co_u32 v2, vcc_lo, s10, v2
	v_add_co_ci_u32_e32 v3, vcc_lo, s11, v3, vcc_lo
	v_add_co_u32 v4, vcc_lo, s4, v4
	v_add_nc_u32_e32 v12, v9, v8
	v_add_co_ci_u32_e32 v5, vcc_lo, s5, v5, vcc_lo
	s_mov_b64 s[4:5], 0
.LBB962_2:                              ; =>This Inner Loop Header: Depth=1
	global_load_b32 v13, v[4:5], off
	global_load_b32 v14, v[2:3], off
	s_add_u32 s4, s4, 16
	v_add_co_u32 v2, vcc_lo, v2, 64
	s_addc_u32 s5, s5, 0
	v_add_co_ci_u32_e32 v3, vcc_lo, 0, v3, vcc_lo
	v_cmp_lt_i64_e64 s6, s[4:5], s[2:3]
	v_add_co_u32 v4, vcc_lo, v4, 64
	v_add_co_ci_u32_e32 v5, vcc_lo, 0, v5, vcc_lo
	s_waitcnt vmcnt(1)
	ds_store_b32 v11, v13
	s_waitcnt vmcnt(0)
	ds_store_b32 v12, v14
	s_waitcnt lgkmcnt(0)
	s_barrier
	buffer_gl0_inv
	ds_load_2addr_b32 v[21:22], v8 offset1:16
	ds_load_b128 v[13:16], v9
	ds_load_2addr_b32 v[23:24], v8 offset0:32 offset1:48
	ds_load_b128 v[17:20], v9 offset:16
	ds_load_2addr_b32 v[25:26], v8 offset0:64 offset1:80
	s_and_b32 vcc_lo, exec_lo, s6
	s_waitcnt lgkmcnt(3)
	v_fmac_f32_e32 v10, v21, v13
	s_delay_alu instid0(VALU_DEP_1) | instskip(SKIP_3) | instid1(VALU_DEP_1)
	v_fmac_f32_e32 v10, v22, v14
	ds_load_2addr_b32 v[21:22], v8 offset0:96 offset1:112
	s_waitcnt lgkmcnt(3)
	v_fmac_f32_e32 v10, v23, v15
	v_fmac_f32_e32 v10, v24, v16
	ds_load_2addr_b32 v[23:24], v8 offset0:128 offset1:144
	ds_load_b128 v[13:16], v9 offset:32
	s_waitcnt lgkmcnt(3)
	v_fmac_f32_e32 v10, v25, v17
	s_delay_alu instid0(VALU_DEP_1) | instskip(SKIP_3) | instid1(VALU_DEP_1)
	v_fmac_f32_e32 v10, v26, v18
	ds_load_2addr_b32 v[25:26], v8 offset0:160 offset1:176
	s_waitcnt lgkmcnt(3)
	v_fmac_f32_e32 v10, v21, v19
	v_fmac_f32_e32 v10, v22, v20
	ds_load_b128 v[17:20], v9 offset:48
	ds_load_2addr_b32 v[21:22], v8 offset0:192 offset1:208
	s_waitcnt lgkmcnt(3)
	v_fmac_f32_e32 v10, v23, v13
	s_delay_alu instid0(VALU_DEP_1)
	v_fmac_f32_e32 v10, v24, v14
	ds_load_2addr_b32 v[13:14], v8 offset0:224 offset1:240
	s_waitcnt lgkmcnt(0)
	s_barrier
	buffer_gl0_inv
	v_fmac_f32_e32 v10, v25, v15
	s_delay_alu instid0(VALU_DEP_1) | instskip(NEXT) | instid1(VALU_DEP_1)
	v_fmac_f32_e32 v10, v26, v16
	v_fmac_f32_e32 v10, v21, v17
	s_delay_alu instid0(VALU_DEP_1) | instskip(NEXT) | instid1(VALU_DEP_1)
	v_fmac_f32_e32 v10, v22, v18
	v_fmac_f32_e32 v10, v13, v19
	s_delay_alu instid0(VALU_DEP_1)
	v_fmac_f32_e32 v10, v14, v20
	s_cbranch_vccnz .LBB962_2
; %bb.3:
	s_mov_b32 s2, exec_lo
	v_cmpx_le_i32_e64 v6, v0
	s_cbranch_execz .LBB962_5
.LBB962_4:
	s_clause 0x1
	s_load_b128 s[4:7], s[0:1], 0x50
	s_load_b64 s[2:3], s[0:1], 0x60
	v_lshlrev_b64 v[0:1], 2, v[0:1]
	s_waitcnt lgkmcnt(0)
	v_mul_lo_u32 v4, v6, s7
	v_mul_lo_u32 v5, v7, s6
	v_mad_u64_u32 v[2:3], null, v6, s6, 0
	s_load_b32 s6, s[0:1], 0x10
	s_mul_i32 s1, s15, s3
	s_mul_hi_u32 s3, s15, s2
	s_mul_i32 s0, s15, s2
	s_add_i32 s1, s3, s1
	s_delay_alu instid0(VALU_DEP_1) | instskip(SKIP_1) | instid1(SALU_CYCLE_1)
	v_add3_u32 v3, v3, v4, v5
	s_lshl_b64 s[0:1], s[0:1], 2
	s_add_u32 s0, s4, s0
	s_addc_u32 s1, s5, s1
	s_delay_alu instid0(VALU_DEP_1) | instskip(NEXT) | instid1(VALU_DEP_1)
	v_lshlrev_b64 v[2:3], 2, v[2:3]
	v_add_co_u32 v2, vcc_lo, s0, v2
	s_delay_alu instid0(VALU_DEP_2) | instskip(SKIP_2) | instid1(VALU_DEP_3)
	v_add_co_ci_u32_e32 v3, vcc_lo, s1, v3, vcc_lo
	s_waitcnt lgkmcnt(0)
	v_mul_f32_e32 v4, s6, v10
	v_add_co_u32 v0, vcc_lo, v2, v0
	s_delay_alu instid0(VALU_DEP_3)
	v_add_co_ci_u32_e32 v1, vcc_lo, v3, v1, vcc_lo
	global_store_b32 v[0:1], v4, off
.LBB962_5:
	s_nop 0
	s_sendmsg sendmsg(MSG_DEALLOC_VGPRS)
	s_endpgm
.LBB962_6:
	v_mov_b32_e32 v10, 0
	s_mov_b32 s2, exec_lo
	v_cmpx_le_i32_e64 v6, v0
	s_cbranch_execnz .LBB962_4
	s_branch .LBB962_5
	.section	.rodata,"a",@progbits
	.p2align	6, 0x0
	.amdhsa_kernel _ZL41rocblas_syrkx_herkx_small_restrict_kernelIlfLi16ELb1ELb0ELc84ELc76EKffEviT_T0_PT6_S1_lS4_S1_lS2_PT7_S1_li
		.amdhsa_group_segment_fixed_size 2048
		.amdhsa_private_segment_fixed_size 0
		.amdhsa_kernarg_size 108
		.amdhsa_user_sgpr_count 13
		.amdhsa_user_sgpr_dispatch_ptr 0
		.amdhsa_user_sgpr_queue_ptr 0
		.amdhsa_user_sgpr_kernarg_segment_ptr 1
		.amdhsa_user_sgpr_dispatch_id 0
		.amdhsa_user_sgpr_private_segment_size 0
		.amdhsa_wavefront_size32 1
		.amdhsa_uses_dynamic_stack 0
		.amdhsa_enable_private_segment 0
		.amdhsa_system_sgpr_workgroup_id_x 1
		.amdhsa_system_sgpr_workgroup_id_y 1
		.amdhsa_system_sgpr_workgroup_id_z 1
		.amdhsa_system_sgpr_workgroup_info 0
		.amdhsa_system_vgpr_workitem_id 1
		.amdhsa_next_free_vgpr 27
		.amdhsa_next_free_sgpr 20
		.amdhsa_reserve_vcc 1
		.amdhsa_float_round_mode_32 0
		.amdhsa_float_round_mode_16_64 0
		.amdhsa_float_denorm_mode_32 3
		.amdhsa_float_denorm_mode_16_64 3
		.amdhsa_dx10_clamp 1
		.amdhsa_ieee_mode 1
		.amdhsa_fp16_overflow 0
		.amdhsa_workgroup_processor_mode 1
		.amdhsa_memory_ordered 1
		.amdhsa_forward_progress 0
		.amdhsa_shared_vgpr_count 0
		.amdhsa_exception_fp_ieee_invalid_op 0
		.amdhsa_exception_fp_denorm_src 0
		.amdhsa_exception_fp_ieee_div_zero 0
		.amdhsa_exception_fp_ieee_overflow 0
		.amdhsa_exception_fp_ieee_underflow 0
		.amdhsa_exception_fp_ieee_inexact 0
		.amdhsa_exception_int_div_zero 0
	.end_amdhsa_kernel
	.section	.text._ZL41rocblas_syrkx_herkx_small_restrict_kernelIlfLi16ELb1ELb0ELc84ELc76EKffEviT_T0_PT6_S1_lS4_S1_lS2_PT7_S1_li,"axG",@progbits,_ZL41rocblas_syrkx_herkx_small_restrict_kernelIlfLi16ELb1ELb0ELc84ELc76EKffEviT_T0_PT6_S1_lS4_S1_lS2_PT7_S1_li,comdat
.Lfunc_end962:
	.size	_ZL41rocblas_syrkx_herkx_small_restrict_kernelIlfLi16ELb1ELb0ELc84ELc76EKffEviT_T0_PT6_S1_lS4_S1_lS2_PT7_S1_li, .Lfunc_end962-_ZL41rocblas_syrkx_herkx_small_restrict_kernelIlfLi16ELb1ELb0ELc84ELc76EKffEviT_T0_PT6_S1_lS4_S1_lS2_PT7_S1_li
                                        ; -- End function
	.section	.AMDGPU.csdata,"",@progbits
; Kernel info:
; codeLenInByte = 888
; NumSgprs: 22
; NumVgprs: 27
; ScratchSize: 0
; MemoryBound: 0
; FloatMode: 240
; IeeeMode: 1
; LDSByteSize: 2048 bytes/workgroup (compile time only)
; SGPRBlocks: 2
; VGPRBlocks: 3
; NumSGPRsForWavesPerEU: 22
; NumVGPRsForWavesPerEU: 27
; Occupancy: 16
; WaveLimiterHint : 0
; COMPUTE_PGM_RSRC2:SCRATCH_EN: 0
; COMPUTE_PGM_RSRC2:USER_SGPR: 13
; COMPUTE_PGM_RSRC2:TRAP_HANDLER: 0
; COMPUTE_PGM_RSRC2:TGID_X_EN: 1
; COMPUTE_PGM_RSRC2:TGID_Y_EN: 1
; COMPUTE_PGM_RSRC2:TGID_Z_EN: 1
; COMPUTE_PGM_RSRC2:TIDIG_COMP_CNT: 1
	.section	.text._ZL41rocblas_syrkx_herkx_small_restrict_kernelIlfLi16ELb1ELb0ELc67ELc76EKffEviT_T0_PT6_S1_lS4_S1_lS2_PT7_S1_li,"axG",@progbits,_ZL41rocblas_syrkx_herkx_small_restrict_kernelIlfLi16ELb1ELb0ELc67ELc76EKffEviT_T0_PT6_S1_lS4_S1_lS2_PT7_S1_li,comdat
	.globl	_ZL41rocblas_syrkx_herkx_small_restrict_kernelIlfLi16ELb1ELb0ELc67ELc76EKffEviT_T0_PT6_S1_lS4_S1_lS2_PT7_S1_li ; -- Begin function _ZL41rocblas_syrkx_herkx_small_restrict_kernelIlfLi16ELb1ELb0ELc67ELc76EKffEviT_T0_PT6_S1_lS4_S1_lS2_PT7_S1_li
	.p2align	8
	.type	_ZL41rocblas_syrkx_herkx_small_restrict_kernelIlfLi16ELb1ELb0ELc67ELc76EKffEviT_T0_PT6_S1_lS4_S1_lS2_PT7_S1_li,@function
_ZL41rocblas_syrkx_herkx_small_restrict_kernelIlfLi16ELb1ELb0ELc67ELc76EKffEviT_T0_PT6_S1_lS4_S1_lS2_PT7_S1_li: ; @_ZL41rocblas_syrkx_herkx_small_restrict_kernelIlfLi16ELb1ELb0ELc67ELc76EKffEviT_T0_PT6_S1_lS4_S1_lS2_PT7_S1_li
; %bb.0:
	s_load_b64 s[2:3], s[0:1], 0x8
	v_and_b32_e32 v3, 0x3ff, v0
	v_bfe_u32 v2, v0, 10, 10
	s_delay_alu instid0(VALU_DEP_2) | instskip(NEXT) | instid1(VALU_DEP_2)
	v_lshl_add_u32 v0, s13, 4, v3
	v_lshl_add_u32 v6, s14, 4, v2
	s_delay_alu instid0(VALU_DEP_2) | instskip(NEXT) | instid1(VALU_DEP_2)
	v_ashrrev_i32_e32 v1, 31, v0
	v_ashrrev_i32_e32 v7, 31, v6
	s_waitcnt lgkmcnt(0)
	v_cmp_lt_i64_e64 s4, s[2:3], 1
	s_delay_alu instid0(VALU_DEP_1)
	s_and_b32 vcc_lo, exec_lo, s4
	s_cbranch_vccnz .LBB963_6
; %bb.1:
	s_clause 0x1
	s_load_b128 s[16:19], s[0:1], 0x38
	s_load_b256 s[4:11], s[0:1], 0x18
	v_lshlrev_b32_e32 v4, 6, v2
	v_lshlrev_b32_e32 v8, 2, v3
	;; [unrolled: 1-line block ×3, first 2 shown]
	s_delay_alu instid0(VALU_DEP_3) | instskip(NEXT) | instid1(VALU_DEP_3)
	v_add_nc_u32_e32 v9, 0x400, v4
	v_add_nc_u32_e32 v11, v8, v4
	s_waitcnt lgkmcnt(0)
	v_mul_lo_u32 v13, s17, v6
	v_mul_lo_u32 v14, s16, v7
	v_mad_u64_u32 v[2:3], null, s16, v6, 0
	v_mul_lo_u32 v15, s7, v0
	v_mul_lo_u32 v16, s6, v1
	v_mad_u64_u32 v[4:5], null, s6, v0, 0
	s_mul_i32 s12, s19, s15
	s_mul_hi_u32 s7, s18, s15
	s_delay_alu instid0(VALU_DEP_4) | instskip(SKIP_3) | instid1(VALU_DEP_2)
	v_add3_u32 v3, v3, v14, v13
	s_mul_i32 s6, s18, s15
	s_add_i32 s7, s7, s12
	s_mul_i32 s9, s9, s15
	v_add3_u32 v5, v5, v16, v15
	v_lshlrev_b64 v[2:3], 2, v[2:3]
	s_mul_hi_u32 s13, s8, s15
	s_lshl_b64 s[6:7], s[6:7], 2
	s_mul_i32 s8, s8, s15
	v_lshlrev_b64 v[4:5], 2, v[4:5]
	s_add_i32 s9, s13, s9
	v_add_co_u32 v2, vcc_lo, v2, s6
	s_lshl_b64 s[8:9], s[8:9], 2
	v_add_co_ci_u32_e32 v3, vcc_lo, s7, v3, vcc_lo
	s_delay_alu instid0(VALU_DEP_3) | instskip(SKIP_2) | instid1(VALU_DEP_4)
	v_add_co_u32 v4, vcc_lo, v4, s8
	v_add_co_ci_u32_e32 v5, vcc_lo, s9, v5, vcc_lo
	v_add_co_u32 v2, vcc_lo, v2, v8
	v_add_co_ci_u32_e32 v3, vcc_lo, 0, v3, vcc_lo
	s_delay_alu instid0(VALU_DEP_4)
	v_add_co_u32 v4, vcc_lo, v4, v10
	v_mov_b32_e32 v10, 0
	v_add_co_ci_u32_e32 v5, vcc_lo, 0, v5, vcc_lo
	v_add_co_u32 v2, vcc_lo, s10, v2
	v_add_co_ci_u32_e32 v3, vcc_lo, s11, v3, vcc_lo
	v_add_co_u32 v4, vcc_lo, s4, v4
	v_add_nc_u32_e32 v12, v9, v8
	v_add_co_ci_u32_e32 v5, vcc_lo, s5, v5, vcc_lo
	s_mov_b64 s[4:5], 0
.LBB963_2:                              ; =>This Inner Loop Header: Depth=1
	global_load_b32 v13, v[4:5], off
	global_load_b32 v14, v[2:3], off
	s_add_u32 s4, s4, 16
	v_add_co_u32 v2, vcc_lo, v2, 64
	s_addc_u32 s5, s5, 0
	v_add_co_ci_u32_e32 v3, vcc_lo, 0, v3, vcc_lo
	v_cmp_lt_i64_e64 s6, s[4:5], s[2:3]
	v_add_co_u32 v4, vcc_lo, v4, 64
	v_add_co_ci_u32_e32 v5, vcc_lo, 0, v5, vcc_lo
	s_waitcnt vmcnt(1)
	ds_store_b32 v11, v13
	s_waitcnt vmcnt(0)
	ds_store_b32 v12, v14
	s_waitcnt lgkmcnt(0)
	s_barrier
	buffer_gl0_inv
	ds_load_2addr_b32 v[21:22], v8 offset1:16
	ds_load_b128 v[13:16], v9
	ds_load_2addr_b32 v[23:24], v8 offset0:32 offset1:48
	ds_load_b128 v[17:20], v9 offset:16
	ds_load_2addr_b32 v[25:26], v8 offset0:64 offset1:80
	s_and_b32 vcc_lo, exec_lo, s6
	s_waitcnt lgkmcnt(3)
	v_fmac_f32_e32 v10, v21, v13
	s_delay_alu instid0(VALU_DEP_1) | instskip(SKIP_3) | instid1(VALU_DEP_1)
	v_fmac_f32_e32 v10, v22, v14
	ds_load_2addr_b32 v[21:22], v8 offset0:96 offset1:112
	s_waitcnt lgkmcnt(3)
	v_fmac_f32_e32 v10, v23, v15
	v_fmac_f32_e32 v10, v24, v16
	ds_load_2addr_b32 v[23:24], v8 offset0:128 offset1:144
	ds_load_b128 v[13:16], v9 offset:32
	s_waitcnt lgkmcnt(3)
	v_fmac_f32_e32 v10, v25, v17
	s_delay_alu instid0(VALU_DEP_1) | instskip(SKIP_3) | instid1(VALU_DEP_1)
	v_fmac_f32_e32 v10, v26, v18
	ds_load_2addr_b32 v[25:26], v8 offset0:160 offset1:176
	s_waitcnt lgkmcnt(3)
	v_fmac_f32_e32 v10, v21, v19
	v_fmac_f32_e32 v10, v22, v20
	ds_load_b128 v[17:20], v9 offset:48
	ds_load_2addr_b32 v[21:22], v8 offset0:192 offset1:208
	s_waitcnt lgkmcnt(3)
	v_fmac_f32_e32 v10, v23, v13
	s_delay_alu instid0(VALU_DEP_1)
	v_fmac_f32_e32 v10, v24, v14
	ds_load_2addr_b32 v[13:14], v8 offset0:224 offset1:240
	s_waitcnt lgkmcnt(0)
	s_barrier
	buffer_gl0_inv
	v_fmac_f32_e32 v10, v25, v15
	s_delay_alu instid0(VALU_DEP_1) | instskip(NEXT) | instid1(VALU_DEP_1)
	v_fmac_f32_e32 v10, v26, v16
	v_fmac_f32_e32 v10, v21, v17
	s_delay_alu instid0(VALU_DEP_1) | instskip(NEXT) | instid1(VALU_DEP_1)
	v_fmac_f32_e32 v10, v22, v18
	v_fmac_f32_e32 v10, v13, v19
	s_delay_alu instid0(VALU_DEP_1)
	v_fmac_f32_e32 v10, v14, v20
	s_cbranch_vccnz .LBB963_2
; %bb.3:
	s_mov_b32 s2, exec_lo
	v_cmpx_le_i32_e64 v6, v0
	s_cbranch_execz .LBB963_5
.LBB963_4:
	s_clause 0x1
	s_load_b128 s[4:7], s[0:1], 0x50
	s_load_b64 s[2:3], s[0:1], 0x60
	v_lshlrev_b64 v[0:1], 2, v[0:1]
	s_waitcnt lgkmcnt(0)
	v_mul_lo_u32 v4, v6, s7
	v_mul_lo_u32 v5, v7, s6
	v_mad_u64_u32 v[2:3], null, v6, s6, 0
	s_load_b32 s6, s[0:1], 0x10
	s_mul_i32 s1, s15, s3
	s_mul_hi_u32 s3, s15, s2
	s_mul_i32 s0, s15, s2
	s_add_i32 s1, s3, s1
	s_delay_alu instid0(VALU_DEP_1) | instskip(SKIP_1) | instid1(SALU_CYCLE_1)
	v_add3_u32 v3, v3, v4, v5
	s_lshl_b64 s[0:1], s[0:1], 2
	s_add_u32 s0, s4, s0
	s_addc_u32 s1, s5, s1
	s_delay_alu instid0(VALU_DEP_1) | instskip(NEXT) | instid1(VALU_DEP_1)
	v_lshlrev_b64 v[2:3], 2, v[2:3]
	v_add_co_u32 v2, vcc_lo, s0, v2
	s_delay_alu instid0(VALU_DEP_2) | instskip(SKIP_2) | instid1(VALU_DEP_3)
	v_add_co_ci_u32_e32 v3, vcc_lo, s1, v3, vcc_lo
	s_waitcnt lgkmcnt(0)
	v_mul_f32_e32 v4, s6, v10
	v_add_co_u32 v0, vcc_lo, v2, v0
	s_delay_alu instid0(VALU_DEP_3)
	v_add_co_ci_u32_e32 v1, vcc_lo, v3, v1, vcc_lo
	global_store_b32 v[0:1], v4, off
.LBB963_5:
	s_nop 0
	s_sendmsg sendmsg(MSG_DEALLOC_VGPRS)
	s_endpgm
.LBB963_6:
	v_mov_b32_e32 v10, 0
	s_mov_b32 s2, exec_lo
	v_cmpx_le_i32_e64 v6, v0
	s_cbranch_execnz .LBB963_4
	s_branch .LBB963_5
	.section	.rodata,"a",@progbits
	.p2align	6, 0x0
	.amdhsa_kernel _ZL41rocblas_syrkx_herkx_small_restrict_kernelIlfLi16ELb1ELb0ELc67ELc76EKffEviT_T0_PT6_S1_lS4_S1_lS2_PT7_S1_li
		.amdhsa_group_segment_fixed_size 2048
		.amdhsa_private_segment_fixed_size 0
		.amdhsa_kernarg_size 108
		.amdhsa_user_sgpr_count 13
		.amdhsa_user_sgpr_dispatch_ptr 0
		.amdhsa_user_sgpr_queue_ptr 0
		.amdhsa_user_sgpr_kernarg_segment_ptr 1
		.amdhsa_user_sgpr_dispatch_id 0
		.amdhsa_user_sgpr_private_segment_size 0
		.amdhsa_wavefront_size32 1
		.amdhsa_uses_dynamic_stack 0
		.amdhsa_enable_private_segment 0
		.amdhsa_system_sgpr_workgroup_id_x 1
		.amdhsa_system_sgpr_workgroup_id_y 1
		.amdhsa_system_sgpr_workgroup_id_z 1
		.amdhsa_system_sgpr_workgroup_info 0
		.amdhsa_system_vgpr_workitem_id 1
		.amdhsa_next_free_vgpr 27
		.amdhsa_next_free_sgpr 20
		.amdhsa_reserve_vcc 1
		.amdhsa_float_round_mode_32 0
		.amdhsa_float_round_mode_16_64 0
		.amdhsa_float_denorm_mode_32 3
		.amdhsa_float_denorm_mode_16_64 3
		.amdhsa_dx10_clamp 1
		.amdhsa_ieee_mode 1
		.amdhsa_fp16_overflow 0
		.amdhsa_workgroup_processor_mode 1
		.amdhsa_memory_ordered 1
		.amdhsa_forward_progress 0
		.amdhsa_shared_vgpr_count 0
		.amdhsa_exception_fp_ieee_invalid_op 0
		.amdhsa_exception_fp_denorm_src 0
		.amdhsa_exception_fp_ieee_div_zero 0
		.amdhsa_exception_fp_ieee_overflow 0
		.amdhsa_exception_fp_ieee_underflow 0
		.amdhsa_exception_fp_ieee_inexact 0
		.amdhsa_exception_int_div_zero 0
	.end_amdhsa_kernel
	.section	.text._ZL41rocblas_syrkx_herkx_small_restrict_kernelIlfLi16ELb1ELb0ELc67ELc76EKffEviT_T0_PT6_S1_lS4_S1_lS2_PT7_S1_li,"axG",@progbits,_ZL41rocblas_syrkx_herkx_small_restrict_kernelIlfLi16ELb1ELb0ELc67ELc76EKffEviT_T0_PT6_S1_lS4_S1_lS2_PT7_S1_li,comdat
.Lfunc_end963:
	.size	_ZL41rocblas_syrkx_herkx_small_restrict_kernelIlfLi16ELb1ELb0ELc67ELc76EKffEviT_T0_PT6_S1_lS4_S1_lS2_PT7_S1_li, .Lfunc_end963-_ZL41rocblas_syrkx_herkx_small_restrict_kernelIlfLi16ELb1ELb0ELc67ELc76EKffEviT_T0_PT6_S1_lS4_S1_lS2_PT7_S1_li
                                        ; -- End function
	.section	.AMDGPU.csdata,"",@progbits
; Kernel info:
; codeLenInByte = 888
; NumSgprs: 22
; NumVgprs: 27
; ScratchSize: 0
; MemoryBound: 0
; FloatMode: 240
; IeeeMode: 1
; LDSByteSize: 2048 bytes/workgroup (compile time only)
; SGPRBlocks: 2
; VGPRBlocks: 3
; NumSGPRsForWavesPerEU: 22
; NumVGPRsForWavesPerEU: 27
; Occupancy: 16
; WaveLimiterHint : 0
; COMPUTE_PGM_RSRC2:SCRATCH_EN: 0
; COMPUTE_PGM_RSRC2:USER_SGPR: 13
; COMPUTE_PGM_RSRC2:TRAP_HANDLER: 0
; COMPUTE_PGM_RSRC2:TGID_X_EN: 1
; COMPUTE_PGM_RSRC2:TGID_Y_EN: 1
; COMPUTE_PGM_RSRC2:TGID_Z_EN: 1
; COMPUTE_PGM_RSRC2:TIDIG_COMP_CNT: 1
	.section	.text._ZL41rocblas_syrkx_herkx_small_restrict_kernelIlfLi16ELb1ELb0ELc78ELc76EKffEviT_T0_PT6_S1_lS4_S1_lS2_PT7_S1_li,"axG",@progbits,_ZL41rocblas_syrkx_herkx_small_restrict_kernelIlfLi16ELb1ELb0ELc78ELc76EKffEviT_T0_PT6_S1_lS4_S1_lS2_PT7_S1_li,comdat
	.globl	_ZL41rocblas_syrkx_herkx_small_restrict_kernelIlfLi16ELb1ELb0ELc78ELc76EKffEviT_T0_PT6_S1_lS4_S1_lS2_PT7_S1_li ; -- Begin function _ZL41rocblas_syrkx_herkx_small_restrict_kernelIlfLi16ELb1ELb0ELc78ELc76EKffEviT_T0_PT6_S1_lS4_S1_lS2_PT7_S1_li
	.p2align	8
	.type	_ZL41rocblas_syrkx_herkx_small_restrict_kernelIlfLi16ELb1ELb0ELc78ELc76EKffEviT_T0_PT6_S1_lS4_S1_lS2_PT7_S1_li,@function
_ZL41rocblas_syrkx_herkx_small_restrict_kernelIlfLi16ELb1ELb0ELc78ELc76EKffEviT_T0_PT6_S1_lS4_S1_lS2_PT7_S1_li: ; @_ZL41rocblas_syrkx_herkx_small_restrict_kernelIlfLi16ELb1ELb0ELc78ELc76EKffEviT_T0_PT6_S1_lS4_S1_lS2_PT7_S1_li
; %bb.0:
	s_load_b64 s[2:3], s[0:1], 0x8
	v_and_b32_e32 v5, 0x3ff, v0
	v_bfe_u32 v4, v0, 10, 10
	s_delay_alu instid0(VALU_DEP_2) | instskip(NEXT) | instid1(VALU_DEP_2)
	v_lshl_add_u32 v0, s13, 4, v5
	v_lshl_add_u32 v2, s14, 4, v4
	s_delay_alu instid0(VALU_DEP_2) | instskip(NEXT) | instid1(VALU_DEP_2)
	v_ashrrev_i32_e32 v1, 31, v0
	v_ashrrev_i32_e32 v3, 31, v2
	s_waitcnt lgkmcnt(0)
	v_cmp_lt_i64_e64 s4, s[2:3], 1
	s_delay_alu instid0(VALU_DEP_1)
	s_and_b32 vcc_lo, exec_lo, s4
	s_cbranch_vccnz .LBB964_6
; %bb.1:
	s_clause 0x1
	s_load_b128 s[16:19], s[0:1], 0x38
	s_load_b256 s[4:11], s[0:1], 0x18
	v_lshlrev_b32_e32 v8, 6, v4
	v_lshlrev_b64 v[15:16], 2, v[2:3]
	v_lshlrev_b64 v[17:18], 2, v[0:1]
	s_delay_alu instid0(VALU_DEP_3)
	v_add_nc_u32_e32 v10, 0x400, v8
	s_waitcnt lgkmcnt(0)
	v_mad_u64_u32 v[6:7], null, s16, v5, 0
	v_mad_u64_u32 v[13:14], null, s6, v4, 0
	v_lshlrev_b32_e32 v9, 2, v5
	s_mul_i32 s13, s19, s15
	s_mul_hi_u32 s14, s18, s15
	s_mul_i32 s12, s18, s15
	s_add_i32 s13, s14, s13
	s_delay_alu instid0(VALU_DEP_2)
	v_dual_mov_b32 v8, v14 :: v_dual_add_nc_u32 v11, v9, v8
	s_mul_i32 s9, s9, s15
	s_mul_hi_u32 s18, s8, s15
	s_lshl_b64 s[12:13], s[12:13], 2
	s_mul_i32 s8, s8, s15
	v_mad_u64_u32 v[19:20], null, s17, v5, v[7:8]
	v_mad_u64_u32 v[20:21], null, s7, v4, v[8:9]
	s_add_i32 s9, s18, s9
	v_add_nc_u32_e32 v12, v10, v9
	s_lshl_b64 s[8:9], s[8:9], 2
	s_delay_alu instid0(VALU_DEP_3) | instskip(SKIP_1) | instid1(VALU_DEP_3)
	v_dual_mov_b32 v8, 0 :: v_dual_mov_b32 v7, v19
	s_lshl_b64 s[6:7], s[6:7], 6
	v_mov_b32_e32 v14, v20
	s_delay_alu instid0(VALU_DEP_2) | instskip(NEXT) | instid1(VALU_DEP_2)
	v_lshlrev_b64 v[4:5], 2, v[6:7]
	v_lshlrev_b64 v[6:7], 2, v[13:14]
	s_delay_alu instid0(VALU_DEP_2) | instskip(NEXT) | instid1(VALU_DEP_3)
	v_add_co_u32 v4, vcc_lo, s12, v4
	v_add_co_ci_u32_e32 v5, vcc_lo, s13, v5, vcc_lo
	s_delay_alu instid0(VALU_DEP_3) | instskip(NEXT) | instid1(VALU_DEP_4)
	v_add_co_u32 v6, vcc_lo, s8, v6
	v_add_co_ci_u32_e32 v7, vcc_lo, s9, v7, vcc_lo
	s_delay_alu instid0(VALU_DEP_4) | instskip(NEXT) | instid1(VALU_DEP_4)
	v_add_co_u32 v4, vcc_lo, v4, v15
	v_add_co_ci_u32_e32 v5, vcc_lo, v5, v16, vcc_lo
	s_delay_alu instid0(VALU_DEP_4) | instskip(NEXT) | instid1(VALU_DEP_4)
	;; [unrolled: 3-line block ×4, first 2 shown]
	v_add_co_u32 v6, vcc_lo, s4, v6
	v_add_co_ci_u32_e32 v7, vcc_lo, s5, v7, vcc_lo
	s_lshl_b64 s[4:5], s[16:17], 6
	s_mov_b64 s[8:9], 0
.LBB964_2:                              ; =>This Inner Loop Header: Depth=1
	global_load_b32 v13, v[6:7], off
	global_load_b32 v14, v[4:5], off
	s_add_u32 s8, s8, 16
	v_add_co_u32 v4, vcc_lo, v4, s4
	s_addc_u32 s9, s9, 0
	v_add_co_ci_u32_e32 v5, vcc_lo, s5, v5, vcc_lo
	v_cmp_lt_i64_e64 s10, s[8:9], s[2:3]
	v_add_co_u32 v6, vcc_lo, v6, s6
	v_add_co_ci_u32_e32 v7, vcc_lo, s7, v7, vcc_lo
	s_waitcnt vmcnt(1)
	ds_store_b32 v11, v13
	s_waitcnt vmcnt(0)
	ds_store_b32 v12, v14
	s_waitcnt lgkmcnt(0)
	s_barrier
	buffer_gl0_inv
	ds_load_2addr_b32 v[21:22], v9 offset1:16
	ds_load_b128 v[13:16], v10
	ds_load_2addr_b32 v[23:24], v9 offset0:32 offset1:48
	ds_load_b128 v[17:20], v10 offset:16
	ds_load_2addr_b32 v[25:26], v9 offset0:64 offset1:80
	s_and_b32 vcc_lo, exec_lo, s10
	s_waitcnt lgkmcnt(3)
	v_fmac_f32_e32 v8, v21, v13
	s_delay_alu instid0(VALU_DEP_1) | instskip(SKIP_3) | instid1(VALU_DEP_1)
	v_fmac_f32_e32 v8, v22, v14
	ds_load_2addr_b32 v[21:22], v9 offset0:96 offset1:112
	s_waitcnt lgkmcnt(3)
	v_fmac_f32_e32 v8, v23, v15
	v_fmac_f32_e32 v8, v24, v16
	ds_load_2addr_b32 v[23:24], v9 offset0:128 offset1:144
	ds_load_b128 v[13:16], v10 offset:32
	s_waitcnt lgkmcnt(3)
	v_fmac_f32_e32 v8, v25, v17
	s_delay_alu instid0(VALU_DEP_1) | instskip(SKIP_3) | instid1(VALU_DEP_1)
	v_fmac_f32_e32 v8, v26, v18
	ds_load_2addr_b32 v[25:26], v9 offset0:160 offset1:176
	s_waitcnt lgkmcnt(3)
	v_fmac_f32_e32 v8, v21, v19
	v_fmac_f32_e32 v8, v22, v20
	ds_load_b128 v[17:20], v10 offset:48
	ds_load_2addr_b32 v[21:22], v9 offset0:192 offset1:208
	s_waitcnt lgkmcnt(3)
	v_fmac_f32_e32 v8, v23, v13
	s_delay_alu instid0(VALU_DEP_1)
	v_fmac_f32_e32 v8, v24, v14
	ds_load_2addr_b32 v[13:14], v9 offset0:224 offset1:240
	s_waitcnt lgkmcnt(0)
	s_barrier
	buffer_gl0_inv
	v_fmac_f32_e32 v8, v25, v15
	s_delay_alu instid0(VALU_DEP_1) | instskip(NEXT) | instid1(VALU_DEP_1)
	v_fmac_f32_e32 v8, v26, v16
	v_fmac_f32_e32 v8, v21, v17
	s_delay_alu instid0(VALU_DEP_1) | instskip(NEXT) | instid1(VALU_DEP_1)
	v_fmac_f32_e32 v8, v22, v18
	v_fmac_f32_e32 v8, v13, v19
	s_delay_alu instid0(VALU_DEP_1)
	v_fmac_f32_e32 v8, v14, v20
	s_cbranch_vccnz .LBB964_2
; %bb.3:
	s_mov_b32 s2, exec_lo
	v_cmpx_le_i32_e64 v2, v0
	s_cbranch_execz .LBB964_5
.LBB964_4:
	s_clause 0x1
	s_load_b128 s[4:7], s[0:1], 0x50
	s_load_b64 s[2:3], s[0:1], 0x60
	v_lshlrev_b64 v[0:1], 2, v[0:1]
	s_waitcnt lgkmcnt(0)
	v_mul_lo_u32 v5, v2, s7
	v_mul_lo_u32 v6, v3, s6
	v_mad_u64_u32 v[3:4], null, v2, s6, 0
	s_load_b32 s6, s[0:1], 0x10
	s_mul_i32 s1, s15, s3
	s_mul_hi_u32 s3, s15, s2
	s_mul_i32 s0, s15, s2
	s_add_i32 s1, s3, s1
	s_delay_alu instid0(VALU_DEP_1) | instskip(SKIP_1) | instid1(SALU_CYCLE_1)
	v_add3_u32 v4, v4, v5, v6
	s_lshl_b64 s[0:1], s[0:1], 2
	s_add_u32 s0, s4, s0
	s_addc_u32 s1, s5, s1
	s_delay_alu instid0(VALU_DEP_1) | instskip(NEXT) | instid1(VALU_DEP_1)
	v_lshlrev_b64 v[2:3], 2, v[3:4]
	v_add_co_u32 v2, vcc_lo, s0, v2
	s_delay_alu instid0(VALU_DEP_2) | instskip(SKIP_2) | instid1(VALU_DEP_3)
	v_add_co_ci_u32_e32 v3, vcc_lo, s1, v3, vcc_lo
	s_waitcnt lgkmcnt(0)
	v_mul_f32_e32 v4, s6, v8
	v_add_co_u32 v0, vcc_lo, v2, v0
	s_delay_alu instid0(VALU_DEP_3)
	v_add_co_ci_u32_e32 v1, vcc_lo, v3, v1, vcc_lo
	global_store_b32 v[0:1], v4, off
.LBB964_5:
	s_nop 0
	s_sendmsg sendmsg(MSG_DEALLOC_VGPRS)
	s_endpgm
.LBB964_6:
	v_mov_b32_e32 v8, 0
	s_mov_b32 s2, exec_lo
	v_cmpx_le_i32_e64 v2, v0
	s_cbranch_execnz .LBB964_4
	s_branch .LBB964_5
	.section	.rodata,"a",@progbits
	.p2align	6, 0x0
	.amdhsa_kernel _ZL41rocblas_syrkx_herkx_small_restrict_kernelIlfLi16ELb1ELb0ELc78ELc76EKffEviT_T0_PT6_S1_lS4_S1_lS2_PT7_S1_li
		.amdhsa_group_segment_fixed_size 2048
		.amdhsa_private_segment_fixed_size 0
		.amdhsa_kernarg_size 108
		.amdhsa_user_sgpr_count 13
		.amdhsa_user_sgpr_dispatch_ptr 0
		.amdhsa_user_sgpr_queue_ptr 0
		.amdhsa_user_sgpr_kernarg_segment_ptr 1
		.amdhsa_user_sgpr_dispatch_id 0
		.amdhsa_user_sgpr_private_segment_size 0
		.amdhsa_wavefront_size32 1
		.amdhsa_uses_dynamic_stack 0
		.amdhsa_enable_private_segment 0
		.amdhsa_system_sgpr_workgroup_id_x 1
		.amdhsa_system_sgpr_workgroup_id_y 1
		.amdhsa_system_sgpr_workgroup_id_z 1
		.amdhsa_system_sgpr_workgroup_info 0
		.amdhsa_system_vgpr_workitem_id 1
		.amdhsa_next_free_vgpr 27
		.amdhsa_next_free_sgpr 20
		.amdhsa_reserve_vcc 1
		.amdhsa_float_round_mode_32 0
		.amdhsa_float_round_mode_16_64 0
		.amdhsa_float_denorm_mode_32 3
		.amdhsa_float_denorm_mode_16_64 3
		.amdhsa_dx10_clamp 1
		.amdhsa_ieee_mode 1
		.amdhsa_fp16_overflow 0
		.amdhsa_workgroup_processor_mode 1
		.amdhsa_memory_ordered 1
		.amdhsa_forward_progress 0
		.amdhsa_shared_vgpr_count 0
		.amdhsa_exception_fp_ieee_invalid_op 0
		.amdhsa_exception_fp_denorm_src 0
		.amdhsa_exception_fp_ieee_div_zero 0
		.amdhsa_exception_fp_ieee_overflow 0
		.amdhsa_exception_fp_ieee_underflow 0
		.amdhsa_exception_fp_ieee_inexact 0
		.amdhsa_exception_int_div_zero 0
	.end_amdhsa_kernel
	.section	.text._ZL41rocblas_syrkx_herkx_small_restrict_kernelIlfLi16ELb1ELb0ELc78ELc76EKffEviT_T0_PT6_S1_lS4_S1_lS2_PT7_S1_li,"axG",@progbits,_ZL41rocblas_syrkx_herkx_small_restrict_kernelIlfLi16ELb1ELb0ELc78ELc76EKffEviT_T0_PT6_S1_lS4_S1_lS2_PT7_S1_li,comdat
.Lfunc_end964:
	.size	_ZL41rocblas_syrkx_herkx_small_restrict_kernelIlfLi16ELb1ELb0ELc78ELc76EKffEviT_T0_PT6_S1_lS4_S1_lS2_PT7_S1_li, .Lfunc_end964-_ZL41rocblas_syrkx_herkx_small_restrict_kernelIlfLi16ELb1ELb0ELc78ELc76EKffEviT_T0_PT6_S1_lS4_S1_lS2_PT7_S1_li
                                        ; -- End function
	.section	.AMDGPU.csdata,"",@progbits
; Kernel info:
; codeLenInByte = 912
; NumSgprs: 22
; NumVgprs: 27
; ScratchSize: 0
; MemoryBound: 0
; FloatMode: 240
; IeeeMode: 1
; LDSByteSize: 2048 bytes/workgroup (compile time only)
; SGPRBlocks: 2
; VGPRBlocks: 3
; NumSGPRsForWavesPerEU: 22
; NumVGPRsForWavesPerEU: 27
; Occupancy: 16
; WaveLimiterHint : 0
; COMPUTE_PGM_RSRC2:SCRATCH_EN: 0
; COMPUTE_PGM_RSRC2:USER_SGPR: 13
; COMPUTE_PGM_RSRC2:TRAP_HANDLER: 0
; COMPUTE_PGM_RSRC2:TGID_X_EN: 1
; COMPUTE_PGM_RSRC2:TGID_Y_EN: 1
; COMPUTE_PGM_RSRC2:TGID_Z_EN: 1
; COMPUTE_PGM_RSRC2:TIDIG_COMP_CNT: 1
	.section	.text._ZL41rocblas_syrkx_herkx_small_restrict_kernelIlfLi16ELb1ELb0ELc84ELc85EKffEviT_T0_PT6_S1_lS4_S1_lS2_PT7_S1_li,"axG",@progbits,_ZL41rocblas_syrkx_herkx_small_restrict_kernelIlfLi16ELb1ELb0ELc84ELc85EKffEviT_T0_PT6_S1_lS4_S1_lS2_PT7_S1_li,comdat
	.globl	_ZL41rocblas_syrkx_herkx_small_restrict_kernelIlfLi16ELb1ELb0ELc84ELc85EKffEviT_T0_PT6_S1_lS4_S1_lS2_PT7_S1_li ; -- Begin function _ZL41rocblas_syrkx_herkx_small_restrict_kernelIlfLi16ELb1ELb0ELc84ELc85EKffEviT_T0_PT6_S1_lS4_S1_lS2_PT7_S1_li
	.p2align	8
	.type	_ZL41rocblas_syrkx_herkx_small_restrict_kernelIlfLi16ELb1ELb0ELc84ELc85EKffEviT_T0_PT6_S1_lS4_S1_lS2_PT7_S1_li,@function
_ZL41rocblas_syrkx_herkx_small_restrict_kernelIlfLi16ELb1ELb0ELc84ELc85EKffEviT_T0_PT6_S1_lS4_S1_lS2_PT7_S1_li: ; @_ZL41rocblas_syrkx_herkx_small_restrict_kernelIlfLi16ELb1ELb0ELc84ELc85EKffEviT_T0_PT6_S1_lS4_S1_lS2_PT7_S1_li
; %bb.0:
	s_load_b64 s[2:3], s[0:1], 0x8
	v_and_b32_e32 v3, 0x3ff, v0
	v_bfe_u32 v2, v0, 10, 10
	s_delay_alu instid0(VALU_DEP_2) | instskip(NEXT) | instid1(VALU_DEP_2)
	v_lshl_add_u32 v0, s13, 4, v3
	v_lshl_add_u32 v6, s14, 4, v2
	s_delay_alu instid0(VALU_DEP_2) | instskip(NEXT) | instid1(VALU_DEP_2)
	v_ashrrev_i32_e32 v1, 31, v0
	v_ashrrev_i32_e32 v7, 31, v6
	s_waitcnt lgkmcnt(0)
	v_cmp_lt_i64_e64 s4, s[2:3], 1
	s_delay_alu instid0(VALU_DEP_1)
	s_and_b32 vcc_lo, exec_lo, s4
	s_cbranch_vccnz .LBB965_6
; %bb.1:
	s_clause 0x1
	s_load_b128 s[16:19], s[0:1], 0x38
	s_load_b256 s[4:11], s[0:1], 0x18
	v_lshlrev_b32_e32 v4, 6, v2
	v_lshlrev_b32_e32 v8, 2, v3
	;; [unrolled: 1-line block ×3, first 2 shown]
	s_delay_alu instid0(VALU_DEP_3) | instskip(NEXT) | instid1(VALU_DEP_3)
	v_add_nc_u32_e32 v9, 0x400, v4
	v_add_nc_u32_e32 v11, v8, v4
	s_waitcnt lgkmcnt(0)
	v_mul_lo_u32 v13, s17, v6
	v_mul_lo_u32 v14, s16, v7
	v_mad_u64_u32 v[2:3], null, s16, v6, 0
	v_mul_lo_u32 v15, s7, v0
	v_mul_lo_u32 v16, s6, v1
	v_mad_u64_u32 v[4:5], null, s6, v0, 0
	s_mul_i32 s12, s19, s15
	s_mul_hi_u32 s7, s18, s15
	s_delay_alu instid0(VALU_DEP_4) | instskip(SKIP_3) | instid1(VALU_DEP_2)
	v_add3_u32 v3, v3, v14, v13
	s_mul_i32 s6, s18, s15
	s_add_i32 s7, s7, s12
	s_mul_i32 s9, s9, s15
	v_add3_u32 v5, v5, v16, v15
	v_lshlrev_b64 v[2:3], 2, v[2:3]
	s_mul_hi_u32 s13, s8, s15
	s_lshl_b64 s[6:7], s[6:7], 2
	s_mul_i32 s8, s8, s15
	v_lshlrev_b64 v[4:5], 2, v[4:5]
	s_add_i32 s9, s13, s9
	v_add_co_u32 v2, vcc_lo, v2, s6
	s_lshl_b64 s[8:9], s[8:9], 2
	v_add_co_ci_u32_e32 v3, vcc_lo, s7, v3, vcc_lo
	s_delay_alu instid0(VALU_DEP_3) | instskip(SKIP_2) | instid1(VALU_DEP_4)
	v_add_co_u32 v4, vcc_lo, v4, s8
	v_add_co_ci_u32_e32 v5, vcc_lo, s9, v5, vcc_lo
	v_add_co_u32 v2, vcc_lo, v2, v8
	v_add_co_ci_u32_e32 v3, vcc_lo, 0, v3, vcc_lo
	s_delay_alu instid0(VALU_DEP_4)
	v_add_co_u32 v4, vcc_lo, v4, v10
	v_mov_b32_e32 v10, 0
	v_add_co_ci_u32_e32 v5, vcc_lo, 0, v5, vcc_lo
	v_add_co_u32 v2, vcc_lo, s10, v2
	v_add_co_ci_u32_e32 v3, vcc_lo, s11, v3, vcc_lo
	v_add_co_u32 v4, vcc_lo, s4, v4
	v_add_nc_u32_e32 v12, v9, v8
	v_add_co_ci_u32_e32 v5, vcc_lo, s5, v5, vcc_lo
	s_mov_b64 s[4:5], 0
.LBB965_2:                              ; =>This Inner Loop Header: Depth=1
	global_load_b32 v13, v[4:5], off
	global_load_b32 v14, v[2:3], off
	s_add_u32 s4, s4, 16
	v_add_co_u32 v2, vcc_lo, v2, 64
	s_addc_u32 s5, s5, 0
	v_add_co_ci_u32_e32 v3, vcc_lo, 0, v3, vcc_lo
	v_cmp_lt_i64_e64 s6, s[4:5], s[2:3]
	v_add_co_u32 v4, vcc_lo, v4, 64
	v_add_co_ci_u32_e32 v5, vcc_lo, 0, v5, vcc_lo
	s_waitcnt vmcnt(1)
	ds_store_b32 v11, v13
	s_waitcnt vmcnt(0)
	ds_store_b32 v12, v14
	s_waitcnt lgkmcnt(0)
	s_barrier
	buffer_gl0_inv
	ds_load_2addr_b32 v[21:22], v8 offset1:16
	ds_load_b128 v[13:16], v9
	ds_load_2addr_b32 v[23:24], v8 offset0:32 offset1:48
	ds_load_b128 v[17:20], v9 offset:16
	ds_load_2addr_b32 v[25:26], v8 offset0:64 offset1:80
	s_and_b32 vcc_lo, exec_lo, s6
	s_waitcnt lgkmcnt(3)
	v_fmac_f32_e32 v10, v21, v13
	s_delay_alu instid0(VALU_DEP_1) | instskip(SKIP_3) | instid1(VALU_DEP_1)
	v_fmac_f32_e32 v10, v22, v14
	ds_load_2addr_b32 v[21:22], v8 offset0:96 offset1:112
	s_waitcnt lgkmcnt(3)
	v_fmac_f32_e32 v10, v23, v15
	v_fmac_f32_e32 v10, v24, v16
	ds_load_2addr_b32 v[23:24], v8 offset0:128 offset1:144
	ds_load_b128 v[13:16], v9 offset:32
	s_waitcnt lgkmcnt(3)
	v_fmac_f32_e32 v10, v25, v17
	s_delay_alu instid0(VALU_DEP_1) | instskip(SKIP_3) | instid1(VALU_DEP_1)
	v_fmac_f32_e32 v10, v26, v18
	ds_load_2addr_b32 v[25:26], v8 offset0:160 offset1:176
	s_waitcnt lgkmcnt(3)
	v_fmac_f32_e32 v10, v21, v19
	v_fmac_f32_e32 v10, v22, v20
	ds_load_b128 v[17:20], v9 offset:48
	ds_load_2addr_b32 v[21:22], v8 offset0:192 offset1:208
	s_waitcnt lgkmcnt(3)
	v_fmac_f32_e32 v10, v23, v13
	s_delay_alu instid0(VALU_DEP_1)
	v_fmac_f32_e32 v10, v24, v14
	ds_load_2addr_b32 v[13:14], v8 offset0:224 offset1:240
	s_waitcnt lgkmcnt(0)
	s_barrier
	buffer_gl0_inv
	v_fmac_f32_e32 v10, v25, v15
	s_delay_alu instid0(VALU_DEP_1) | instskip(NEXT) | instid1(VALU_DEP_1)
	v_fmac_f32_e32 v10, v26, v16
	v_fmac_f32_e32 v10, v21, v17
	s_delay_alu instid0(VALU_DEP_1) | instskip(NEXT) | instid1(VALU_DEP_1)
	v_fmac_f32_e32 v10, v22, v18
	v_fmac_f32_e32 v10, v13, v19
	s_delay_alu instid0(VALU_DEP_1)
	v_fmac_f32_e32 v10, v14, v20
	s_cbranch_vccnz .LBB965_2
; %bb.3:
	s_mov_b32 s2, exec_lo
	v_cmpx_le_i32_e64 v0, v6
	s_cbranch_execz .LBB965_5
.LBB965_4:
	s_clause 0x1
	s_load_b128 s[4:7], s[0:1], 0x50
	s_load_b64 s[2:3], s[0:1], 0x60
	v_lshlrev_b64 v[0:1], 2, v[0:1]
	s_waitcnt lgkmcnt(0)
	v_mul_lo_u32 v4, v6, s7
	v_mul_lo_u32 v5, v7, s6
	v_mad_u64_u32 v[2:3], null, v6, s6, 0
	s_load_b32 s6, s[0:1], 0x10
	s_mul_i32 s1, s15, s3
	s_mul_hi_u32 s3, s15, s2
	s_mul_i32 s0, s15, s2
	s_add_i32 s1, s3, s1
	s_delay_alu instid0(VALU_DEP_1) | instskip(SKIP_1) | instid1(SALU_CYCLE_1)
	v_add3_u32 v3, v3, v4, v5
	s_lshl_b64 s[0:1], s[0:1], 2
	s_add_u32 s0, s4, s0
	s_addc_u32 s1, s5, s1
	s_delay_alu instid0(VALU_DEP_1) | instskip(NEXT) | instid1(VALU_DEP_1)
	v_lshlrev_b64 v[2:3], 2, v[2:3]
	v_add_co_u32 v2, vcc_lo, s0, v2
	s_delay_alu instid0(VALU_DEP_2) | instskip(SKIP_2) | instid1(VALU_DEP_3)
	v_add_co_ci_u32_e32 v3, vcc_lo, s1, v3, vcc_lo
	s_waitcnt lgkmcnt(0)
	v_mul_f32_e32 v4, s6, v10
	v_add_co_u32 v0, vcc_lo, v2, v0
	s_delay_alu instid0(VALU_DEP_3)
	v_add_co_ci_u32_e32 v1, vcc_lo, v3, v1, vcc_lo
	global_store_b32 v[0:1], v4, off
.LBB965_5:
	s_nop 0
	s_sendmsg sendmsg(MSG_DEALLOC_VGPRS)
	s_endpgm
.LBB965_6:
	v_mov_b32_e32 v10, 0
	s_mov_b32 s2, exec_lo
	v_cmpx_le_i32_e64 v0, v6
	s_cbranch_execnz .LBB965_4
	s_branch .LBB965_5
	.section	.rodata,"a",@progbits
	.p2align	6, 0x0
	.amdhsa_kernel _ZL41rocblas_syrkx_herkx_small_restrict_kernelIlfLi16ELb1ELb0ELc84ELc85EKffEviT_T0_PT6_S1_lS4_S1_lS2_PT7_S1_li
		.amdhsa_group_segment_fixed_size 2048
		.amdhsa_private_segment_fixed_size 0
		.amdhsa_kernarg_size 108
		.amdhsa_user_sgpr_count 13
		.amdhsa_user_sgpr_dispatch_ptr 0
		.amdhsa_user_sgpr_queue_ptr 0
		.amdhsa_user_sgpr_kernarg_segment_ptr 1
		.amdhsa_user_sgpr_dispatch_id 0
		.amdhsa_user_sgpr_private_segment_size 0
		.amdhsa_wavefront_size32 1
		.amdhsa_uses_dynamic_stack 0
		.amdhsa_enable_private_segment 0
		.amdhsa_system_sgpr_workgroup_id_x 1
		.amdhsa_system_sgpr_workgroup_id_y 1
		.amdhsa_system_sgpr_workgroup_id_z 1
		.amdhsa_system_sgpr_workgroup_info 0
		.amdhsa_system_vgpr_workitem_id 1
		.amdhsa_next_free_vgpr 27
		.amdhsa_next_free_sgpr 20
		.amdhsa_reserve_vcc 1
		.amdhsa_float_round_mode_32 0
		.amdhsa_float_round_mode_16_64 0
		.amdhsa_float_denorm_mode_32 3
		.amdhsa_float_denorm_mode_16_64 3
		.amdhsa_dx10_clamp 1
		.amdhsa_ieee_mode 1
		.amdhsa_fp16_overflow 0
		.amdhsa_workgroup_processor_mode 1
		.amdhsa_memory_ordered 1
		.amdhsa_forward_progress 0
		.amdhsa_shared_vgpr_count 0
		.amdhsa_exception_fp_ieee_invalid_op 0
		.amdhsa_exception_fp_denorm_src 0
		.amdhsa_exception_fp_ieee_div_zero 0
		.amdhsa_exception_fp_ieee_overflow 0
		.amdhsa_exception_fp_ieee_underflow 0
		.amdhsa_exception_fp_ieee_inexact 0
		.amdhsa_exception_int_div_zero 0
	.end_amdhsa_kernel
	.section	.text._ZL41rocblas_syrkx_herkx_small_restrict_kernelIlfLi16ELb1ELb0ELc84ELc85EKffEviT_T0_PT6_S1_lS4_S1_lS2_PT7_S1_li,"axG",@progbits,_ZL41rocblas_syrkx_herkx_small_restrict_kernelIlfLi16ELb1ELb0ELc84ELc85EKffEviT_T0_PT6_S1_lS4_S1_lS2_PT7_S1_li,comdat
.Lfunc_end965:
	.size	_ZL41rocblas_syrkx_herkx_small_restrict_kernelIlfLi16ELb1ELb0ELc84ELc85EKffEviT_T0_PT6_S1_lS4_S1_lS2_PT7_S1_li, .Lfunc_end965-_ZL41rocblas_syrkx_herkx_small_restrict_kernelIlfLi16ELb1ELb0ELc84ELc85EKffEviT_T0_PT6_S1_lS4_S1_lS2_PT7_S1_li
                                        ; -- End function
	.section	.AMDGPU.csdata,"",@progbits
; Kernel info:
; codeLenInByte = 888
; NumSgprs: 22
; NumVgprs: 27
; ScratchSize: 0
; MemoryBound: 0
; FloatMode: 240
; IeeeMode: 1
; LDSByteSize: 2048 bytes/workgroup (compile time only)
; SGPRBlocks: 2
; VGPRBlocks: 3
; NumSGPRsForWavesPerEU: 22
; NumVGPRsForWavesPerEU: 27
; Occupancy: 16
; WaveLimiterHint : 0
; COMPUTE_PGM_RSRC2:SCRATCH_EN: 0
; COMPUTE_PGM_RSRC2:USER_SGPR: 13
; COMPUTE_PGM_RSRC2:TRAP_HANDLER: 0
; COMPUTE_PGM_RSRC2:TGID_X_EN: 1
; COMPUTE_PGM_RSRC2:TGID_Y_EN: 1
; COMPUTE_PGM_RSRC2:TGID_Z_EN: 1
; COMPUTE_PGM_RSRC2:TIDIG_COMP_CNT: 1
	.section	.text._ZL41rocblas_syrkx_herkx_small_restrict_kernelIlfLi16ELb1ELb0ELc67ELc85EKffEviT_T0_PT6_S1_lS4_S1_lS2_PT7_S1_li,"axG",@progbits,_ZL41rocblas_syrkx_herkx_small_restrict_kernelIlfLi16ELb1ELb0ELc67ELc85EKffEviT_T0_PT6_S1_lS4_S1_lS2_PT7_S1_li,comdat
	.globl	_ZL41rocblas_syrkx_herkx_small_restrict_kernelIlfLi16ELb1ELb0ELc67ELc85EKffEviT_T0_PT6_S1_lS4_S1_lS2_PT7_S1_li ; -- Begin function _ZL41rocblas_syrkx_herkx_small_restrict_kernelIlfLi16ELb1ELb0ELc67ELc85EKffEviT_T0_PT6_S1_lS4_S1_lS2_PT7_S1_li
	.p2align	8
	.type	_ZL41rocblas_syrkx_herkx_small_restrict_kernelIlfLi16ELb1ELb0ELc67ELc85EKffEviT_T0_PT6_S1_lS4_S1_lS2_PT7_S1_li,@function
_ZL41rocblas_syrkx_herkx_small_restrict_kernelIlfLi16ELb1ELb0ELc67ELc85EKffEviT_T0_PT6_S1_lS4_S1_lS2_PT7_S1_li: ; @_ZL41rocblas_syrkx_herkx_small_restrict_kernelIlfLi16ELb1ELb0ELc67ELc85EKffEviT_T0_PT6_S1_lS4_S1_lS2_PT7_S1_li
; %bb.0:
	s_load_b64 s[2:3], s[0:1], 0x8
	v_and_b32_e32 v3, 0x3ff, v0
	v_bfe_u32 v2, v0, 10, 10
	s_delay_alu instid0(VALU_DEP_2) | instskip(NEXT) | instid1(VALU_DEP_2)
	v_lshl_add_u32 v0, s13, 4, v3
	v_lshl_add_u32 v6, s14, 4, v2
	s_delay_alu instid0(VALU_DEP_2) | instskip(NEXT) | instid1(VALU_DEP_2)
	v_ashrrev_i32_e32 v1, 31, v0
	v_ashrrev_i32_e32 v7, 31, v6
	s_waitcnt lgkmcnt(0)
	v_cmp_lt_i64_e64 s4, s[2:3], 1
	s_delay_alu instid0(VALU_DEP_1)
	s_and_b32 vcc_lo, exec_lo, s4
	s_cbranch_vccnz .LBB966_6
; %bb.1:
	s_clause 0x1
	s_load_b128 s[16:19], s[0:1], 0x38
	s_load_b256 s[4:11], s[0:1], 0x18
	v_lshlrev_b32_e32 v4, 6, v2
	v_lshlrev_b32_e32 v8, 2, v3
	;; [unrolled: 1-line block ×3, first 2 shown]
	s_delay_alu instid0(VALU_DEP_3) | instskip(NEXT) | instid1(VALU_DEP_3)
	v_add_nc_u32_e32 v9, 0x400, v4
	v_add_nc_u32_e32 v11, v8, v4
	s_waitcnt lgkmcnt(0)
	v_mul_lo_u32 v13, s17, v6
	v_mul_lo_u32 v14, s16, v7
	v_mad_u64_u32 v[2:3], null, s16, v6, 0
	v_mul_lo_u32 v15, s7, v0
	v_mul_lo_u32 v16, s6, v1
	v_mad_u64_u32 v[4:5], null, s6, v0, 0
	s_mul_i32 s12, s19, s15
	s_mul_hi_u32 s7, s18, s15
	s_delay_alu instid0(VALU_DEP_4) | instskip(SKIP_3) | instid1(VALU_DEP_2)
	v_add3_u32 v3, v3, v14, v13
	s_mul_i32 s6, s18, s15
	s_add_i32 s7, s7, s12
	s_mul_i32 s9, s9, s15
	v_add3_u32 v5, v5, v16, v15
	v_lshlrev_b64 v[2:3], 2, v[2:3]
	s_mul_hi_u32 s13, s8, s15
	s_lshl_b64 s[6:7], s[6:7], 2
	s_mul_i32 s8, s8, s15
	v_lshlrev_b64 v[4:5], 2, v[4:5]
	s_add_i32 s9, s13, s9
	v_add_co_u32 v2, vcc_lo, v2, s6
	s_lshl_b64 s[8:9], s[8:9], 2
	v_add_co_ci_u32_e32 v3, vcc_lo, s7, v3, vcc_lo
	s_delay_alu instid0(VALU_DEP_3) | instskip(SKIP_2) | instid1(VALU_DEP_4)
	v_add_co_u32 v4, vcc_lo, v4, s8
	v_add_co_ci_u32_e32 v5, vcc_lo, s9, v5, vcc_lo
	v_add_co_u32 v2, vcc_lo, v2, v8
	v_add_co_ci_u32_e32 v3, vcc_lo, 0, v3, vcc_lo
	s_delay_alu instid0(VALU_DEP_4)
	v_add_co_u32 v4, vcc_lo, v4, v10
	v_mov_b32_e32 v10, 0
	v_add_co_ci_u32_e32 v5, vcc_lo, 0, v5, vcc_lo
	v_add_co_u32 v2, vcc_lo, s10, v2
	v_add_co_ci_u32_e32 v3, vcc_lo, s11, v3, vcc_lo
	v_add_co_u32 v4, vcc_lo, s4, v4
	v_add_nc_u32_e32 v12, v9, v8
	v_add_co_ci_u32_e32 v5, vcc_lo, s5, v5, vcc_lo
	s_mov_b64 s[4:5], 0
.LBB966_2:                              ; =>This Inner Loop Header: Depth=1
	global_load_b32 v13, v[4:5], off
	global_load_b32 v14, v[2:3], off
	s_add_u32 s4, s4, 16
	v_add_co_u32 v2, vcc_lo, v2, 64
	s_addc_u32 s5, s5, 0
	v_add_co_ci_u32_e32 v3, vcc_lo, 0, v3, vcc_lo
	v_cmp_lt_i64_e64 s6, s[4:5], s[2:3]
	v_add_co_u32 v4, vcc_lo, v4, 64
	v_add_co_ci_u32_e32 v5, vcc_lo, 0, v5, vcc_lo
	s_waitcnt vmcnt(1)
	ds_store_b32 v11, v13
	s_waitcnt vmcnt(0)
	ds_store_b32 v12, v14
	s_waitcnt lgkmcnt(0)
	s_barrier
	buffer_gl0_inv
	ds_load_2addr_b32 v[21:22], v8 offset1:16
	ds_load_b128 v[13:16], v9
	ds_load_2addr_b32 v[23:24], v8 offset0:32 offset1:48
	ds_load_b128 v[17:20], v9 offset:16
	ds_load_2addr_b32 v[25:26], v8 offset0:64 offset1:80
	s_and_b32 vcc_lo, exec_lo, s6
	s_waitcnt lgkmcnt(3)
	v_fmac_f32_e32 v10, v21, v13
	s_delay_alu instid0(VALU_DEP_1) | instskip(SKIP_3) | instid1(VALU_DEP_1)
	v_fmac_f32_e32 v10, v22, v14
	ds_load_2addr_b32 v[21:22], v8 offset0:96 offset1:112
	s_waitcnt lgkmcnt(3)
	v_fmac_f32_e32 v10, v23, v15
	v_fmac_f32_e32 v10, v24, v16
	ds_load_2addr_b32 v[23:24], v8 offset0:128 offset1:144
	ds_load_b128 v[13:16], v9 offset:32
	s_waitcnt lgkmcnt(3)
	v_fmac_f32_e32 v10, v25, v17
	s_delay_alu instid0(VALU_DEP_1) | instskip(SKIP_3) | instid1(VALU_DEP_1)
	v_fmac_f32_e32 v10, v26, v18
	ds_load_2addr_b32 v[25:26], v8 offset0:160 offset1:176
	s_waitcnt lgkmcnt(3)
	v_fmac_f32_e32 v10, v21, v19
	v_fmac_f32_e32 v10, v22, v20
	ds_load_b128 v[17:20], v9 offset:48
	ds_load_2addr_b32 v[21:22], v8 offset0:192 offset1:208
	s_waitcnt lgkmcnt(3)
	v_fmac_f32_e32 v10, v23, v13
	s_delay_alu instid0(VALU_DEP_1)
	v_fmac_f32_e32 v10, v24, v14
	ds_load_2addr_b32 v[13:14], v8 offset0:224 offset1:240
	s_waitcnt lgkmcnt(0)
	s_barrier
	buffer_gl0_inv
	v_fmac_f32_e32 v10, v25, v15
	s_delay_alu instid0(VALU_DEP_1) | instskip(NEXT) | instid1(VALU_DEP_1)
	v_fmac_f32_e32 v10, v26, v16
	v_fmac_f32_e32 v10, v21, v17
	s_delay_alu instid0(VALU_DEP_1) | instskip(NEXT) | instid1(VALU_DEP_1)
	v_fmac_f32_e32 v10, v22, v18
	v_fmac_f32_e32 v10, v13, v19
	s_delay_alu instid0(VALU_DEP_1)
	v_fmac_f32_e32 v10, v14, v20
	s_cbranch_vccnz .LBB966_2
; %bb.3:
	s_mov_b32 s2, exec_lo
	v_cmpx_le_i32_e64 v0, v6
	s_cbranch_execz .LBB966_5
.LBB966_4:
	s_clause 0x1
	s_load_b128 s[4:7], s[0:1], 0x50
	s_load_b64 s[2:3], s[0:1], 0x60
	v_lshlrev_b64 v[0:1], 2, v[0:1]
	s_waitcnt lgkmcnt(0)
	v_mul_lo_u32 v4, v6, s7
	v_mul_lo_u32 v5, v7, s6
	v_mad_u64_u32 v[2:3], null, v6, s6, 0
	s_load_b32 s6, s[0:1], 0x10
	s_mul_i32 s1, s15, s3
	s_mul_hi_u32 s3, s15, s2
	s_mul_i32 s0, s15, s2
	s_add_i32 s1, s3, s1
	s_delay_alu instid0(VALU_DEP_1) | instskip(SKIP_1) | instid1(SALU_CYCLE_1)
	v_add3_u32 v3, v3, v4, v5
	s_lshl_b64 s[0:1], s[0:1], 2
	s_add_u32 s0, s4, s0
	s_addc_u32 s1, s5, s1
	s_delay_alu instid0(VALU_DEP_1) | instskip(NEXT) | instid1(VALU_DEP_1)
	v_lshlrev_b64 v[2:3], 2, v[2:3]
	v_add_co_u32 v2, vcc_lo, s0, v2
	s_delay_alu instid0(VALU_DEP_2) | instskip(SKIP_2) | instid1(VALU_DEP_3)
	v_add_co_ci_u32_e32 v3, vcc_lo, s1, v3, vcc_lo
	s_waitcnt lgkmcnt(0)
	v_mul_f32_e32 v4, s6, v10
	v_add_co_u32 v0, vcc_lo, v2, v0
	s_delay_alu instid0(VALU_DEP_3)
	v_add_co_ci_u32_e32 v1, vcc_lo, v3, v1, vcc_lo
	global_store_b32 v[0:1], v4, off
.LBB966_5:
	s_nop 0
	s_sendmsg sendmsg(MSG_DEALLOC_VGPRS)
	s_endpgm
.LBB966_6:
	v_mov_b32_e32 v10, 0
	s_mov_b32 s2, exec_lo
	v_cmpx_le_i32_e64 v0, v6
	s_cbranch_execnz .LBB966_4
	s_branch .LBB966_5
	.section	.rodata,"a",@progbits
	.p2align	6, 0x0
	.amdhsa_kernel _ZL41rocblas_syrkx_herkx_small_restrict_kernelIlfLi16ELb1ELb0ELc67ELc85EKffEviT_T0_PT6_S1_lS4_S1_lS2_PT7_S1_li
		.amdhsa_group_segment_fixed_size 2048
		.amdhsa_private_segment_fixed_size 0
		.amdhsa_kernarg_size 108
		.amdhsa_user_sgpr_count 13
		.amdhsa_user_sgpr_dispatch_ptr 0
		.amdhsa_user_sgpr_queue_ptr 0
		.amdhsa_user_sgpr_kernarg_segment_ptr 1
		.amdhsa_user_sgpr_dispatch_id 0
		.amdhsa_user_sgpr_private_segment_size 0
		.amdhsa_wavefront_size32 1
		.amdhsa_uses_dynamic_stack 0
		.amdhsa_enable_private_segment 0
		.amdhsa_system_sgpr_workgroup_id_x 1
		.amdhsa_system_sgpr_workgroup_id_y 1
		.amdhsa_system_sgpr_workgroup_id_z 1
		.amdhsa_system_sgpr_workgroup_info 0
		.amdhsa_system_vgpr_workitem_id 1
		.amdhsa_next_free_vgpr 27
		.amdhsa_next_free_sgpr 20
		.amdhsa_reserve_vcc 1
		.amdhsa_float_round_mode_32 0
		.amdhsa_float_round_mode_16_64 0
		.amdhsa_float_denorm_mode_32 3
		.amdhsa_float_denorm_mode_16_64 3
		.amdhsa_dx10_clamp 1
		.amdhsa_ieee_mode 1
		.amdhsa_fp16_overflow 0
		.amdhsa_workgroup_processor_mode 1
		.amdhsa_memory_ordered 1
		.amdhsa_forward_progress 0
		.amdhsa_shared_vgpr_count 0
		.amdhsa_exception_fp_ieee_invalid_op 0
		.amdhsa_exception_fp_denorm_src 0
		.amdhsa_exception_fp_ieee_div_zero 0
		.amdhsa_exception_fp_ieee_overflow 0
		.amdhsa_exception_fp_ieee_underflow 0
		.amdhsa_exception_fp_ieee_inexact 0
		.amdhsa_exception_int_div_zero 0
	.end_amdhsa_kernel
	.section	.text._ZL41rocblas_syrkx_herkx_small_restrict_kernelIlfLi16ELb1ELb0ELc67ELc85EKffEviT_T0_PT6_S1_lS4_S1_lS2_PT7_S1_li,"axG",@progbits,_ZL41rocblas_syrkx_herkx_small_restrict_kernelIlfLi16ELb1ELb0ELc67ELc85EKffEviT_T0_PT6_S1_lS4_S1_lS2_PT7_S1_li,comdat
.Lfunc_end966:
	.size	_ZL41rocblas_syrkx_herkx_small_restrict_kernelIlfLi16ELb1ELb0ELc67ELc85EKffEviT_T0_PT6_S1_lS4_S1_lS2_PT7_S1_li, .Lfunc_end966-_ZL41rocblas_syrkx_herkx_small_restrict_kernelIlfLi16ELb1ELb0ELc67ELc85EKffEviT_T0_PT6_S1_lS4_S1_lS2_PT7_S1_li
                                        ; -- End function
	.section	.AMDGPU.csdata,"",@progbits
; Kernel info:
; codeLenInByte = 888
; NumSgprs: 22
; NumVgprs: 27
; ScratchSize: 0
; MemoryBound: 0
; FloatMode: 240
; IeeeMode: 1
; LDSByteSize: 2048 bytes/workgroup (compile time only)
; SGPRBlocks: 2
; VGPRBlocks: 3
; NumSGPRsForWavesPerEU: 22
; NumVGPRsForWavesPerEU: 27
; Occupancy: 16
; WaveLimiterHint : 0
; COMPUTE_PGM_RSRC2:SCRATCH_EN: 0
; COMPUTE_PGM_RSRC2:USER_SGPR: 13
; COMPUTE_PGM_RSRC2:TRAP_HANDLER: 0
; COMPUTE_PGM_RSRC2:TGID_X_EN: 1
; COMPUTE_PGM_RSRC2:TGID_Y_EN: 1
; COMPUTE_PGM_RSRC2:TGID_Z_EN: 1
; COMPUTE_PGM_RSRC2:TIDIG_COMP_CNT: 1
	.section	.text._ZL41rocblas_syrkx_herkx_small_restrict_kernelIlfLi16ELb1ELb0ELc78ELc85EKffEviT_T0_PT6_S1_lS4_S1_lS2_PT7_S1_li,"axG",@progbits,_ZL41rocblas_syrkx_herkx_small_restrict_kernelIlfLi16ELb1ELb0ELc78ELc85EKffEviT_T0_PT6_S1_lS4_S1_lS2_PT7_S1_li,comdat
	.globl	_ZL41rocblas_syrkx_herkx_small_restrict_kernelIlfLi16ELb1ELb0ELc78ELc85EKffEviT_T0_PT6_S1_lS4_S1_lS2_PT7_S1_li ; -- Begin function _ZL41rocblas_syrkx_herkx_small_restrict_kernelIlfLi16ELb1ELb0ELc78ELc85EKffEviT_T0_PT6_S1_lS4_S1_lS2_PT7_S1_li
	.p2align	8
	.type	_ZL41rocblas_syrkx_herkx_small_restrict_kernelIlfLi16ELb1ELb0ELc78ELc85EKffEviT_T0_PT6_S1_lS4_S1_lS2_PT7_S1_li,@function
_ZL41rocblas_syrkx_herkx_small_restrict_kernelIlfLi16ELb1ELb0ELc78ELc85EKffEviT_T0_PT6_S1_lS4_S1_lS2_PT7_S1_li: ; @_ZL41rocblas_syrkx_herkx_small_restrict_kernelIlfLi16ELb1ELb0ELc78ELc85EKffEviT_T0_PT6_S1_lS4_S1_lS2_PT7_S1_li
; %bb.0:
	s_load_b64 s[2:3], s[0:1], 0x8
	v_and_b32_e32 v5, 0x3ff, v0
	v_bfe_u32 v4, v0, 10, 10
	s_delay_alu instid0(VALU_DEP_2) | instskip(NEXT) | instid1(VALU_DEP_2)
	v_lshl_add_u32 v0, s13, 4, v5
	v_lshl_add_u32 v2, s14, 4, v4
	s_delay_alu instid0(VALU_DEP_2) | instskip(NEXT) | instid1(VALU_DEP_2)
	v_ashrrev_i32_e32 v1, 31, v0
	v_ashrrev_i32_e32 v3, 31, v2
	s_waitcnt lgkmcnt(0)
	v_cmp_lt_i64_e64 s4, s[2:3], 1
	s_delay_alu instid0(VALU_DEP_1)
	s_and_b32 vcc_lo, exec_lo, s4
	s_cbranch_vccnz .LBB967_6
; %bb.1:
	s_clause 0x1
	s_load_b128 s[16:19], s[0:1], 0x38
	s_load_b256 s[4:11], s[0:1], 0x18
	v_lshlrev_b32_e32 v8, 6, v4
	v_lshlrev_b64 v[15:16], 2, v[2:3]
	v_lshlrev_b64 v[17:18], 2, v[0:1]
	s_delay_alu instid0(VALU_DEP_3)
	v_add_nc_u32_e32 v10, 0x400, v8
	s_waitcnt lgkmcnt(0)
	v_mad_u64_u32 v[6:7], null, s16, v5, 0
	v_mad_u64_u32 v[13:14], null, s6, v4, 0
	v_lshlrev_b32_e32 v9, 2, v5
	s_mul_i32 s13, s19, s15
	s_mul_hi_u32 s14, s18, s15
	s_mul_i32 s12, s18, s15
	s_add_i32 s13, s14, s13
	s_delay_alu instid0(VALU_DEP_2)
	v_dual_mov_b32 v8, v14 :: v_dual_add_nc_u32 v11, v9, v8
	s_mul_i32 s9, s9, s15
	s_mul_hi_u32 s18, s8, s15
	s_lshl_b64 s[12:13], s[12:13], 2
	s_mul_i32 s8, s8, s15
	v_mad_u64_u32 v[19:20], null, s17, v5, v[7:8]
	v_mad_u64_u32 v[20:21], null, s7, v4, v[8:9]
	s_add_i32 s9, s18, s9
	v_add_nc_u32_e32 v12, v10, v9
	s_lshl_b64 s[8:9], s[8:9], 2
	s_delay_alu instid0(VALU_DEP_3) | instskip(SKIP_1) | instid1(VALU_DEP_3)
	v_dual_mov_b32 v8, 0 :: v_dual_mov_b32 v7, v19
	s_lshl_b64 s[6:7], s[6:7], 6
	v_mov_b32_e32 v14, v20
	s_delay_alu instid0(VALU_DEP_2) | instskip(NEXT) | instid1(VALU_DEP_2)
	v_lshlrev_b64 v[4:5], 2, v[6:7]
	v_lshlrev_b64 v[6:7], 2, v[13:14]
	s_delay_alu instid0(VALU_DEP_2) | instskip(NEXT) | instid1(VALU_DEP_3)
	v_add_co_u32 v4, vcc_lo, s12, v4
	v_add_co_ci_u32_e32 v5, vcc_lo, s13, v5, vcc_lo
	s_delay_alu instid0(VALU_DEP_3) | instskip(NEXT) | instid1(VALU_DEP_4)
	v_add_co_u32 v6, vcc_lo, s8, v6
	v_add_co_ci_u32_e32 v7, vcc_lo, s9, v7, vcc_lo
	s_delay_alu instid0(VALU_DEP_4) | instskip(NEXT) | instid1(VALU_DEP_4)
	v_add_co_u32 v4, vcc_lo, v4, v15
	v_add_co_ci_u32_e32 v5, vcc_lo, v5, v16, vcc_lo
	s_delay_alu instid0(VALU_DEP_4) | instskip(NEXT) | instid1(VALU_DEP_4)
	;; [unrolled: 3-line block ×4, first 2 shown]
	v_add_co_u32 v6, vcc_lo, s4, v6
	v_add_co_ci_u32_e32 v7, vcc_lo, s5, v7, vcc_lo
	s_lshl_b64 s[4:5], s[16:17], 6
	s_mov_b64 s[8:9], 0
.LBB967_2:                              ; =>This Inner Loop Header: Depth=1
	global_load_b32 v13, v[6:7], off
	global_load_b32 v14, v[4:5], off
	s_add_u32 s8, s8, 16
	v_add_co_u32 v4, vcc_lo, v4, s4
	s_addc_u32 s9, s9, 0
	v_add_co_ci_u32_e32 v5, vcc_lo, s5, v5, vcc_lo
	v_cmp_lt_i64_e64 s10, s[8:9], s[2:3]
	v_add_co_u32 v6, vcc_lo, v6, s6
	v_add_co_ci_u32_e32 v7, vcc_lo, s7, v7, vcc_lo
	s_waitcnt vmcnt(1)
	ds_store_b32 v11, v13
	s_waitcnt vmcnt(0)
	ds_store_b32 v12, v14
	s_waitcnt lgkmcnt(0)
	s_barrier
	buffer_gl0_inv
	ds_load_2addr_b32 v[21:22], v9 offset1:16
	ds_load_b128 v[13:16], v10
	ds_load_2addr_b32 v[23:24], v9 offset0:32 offset1:48
	ds_load_b128 v[17:20], v10 offset:16
	ds_load_2addr_b32 v[25:26], v9 offset0:64 offset1:80
	s_and_b32 vcc_lo, exec_lo, s10
	s_waitcnt lgkmcnt(3)
	v_fmac_f32_e32 v8, v21, v13
	s_delay_alu instid0(VALU_DEP_1) | instskip(SKIP_3) | instid1(VALU_DEP_1)
	v_fmac_f32_e32 v8, v22, v14
	ds_load_2addr_b32 v[21:22], v9 offset0:96 offset1:112
	s_waitcnt lgkmcnt(3)
	v_fmac_f32_e32 v8, v23, v15
	v_fmac_f32_e32 v8, v24, v16
	ds_load_2addr_b32 v[23:24], v9 offset0:128 offset1:144
	ds_load_b128 v[13:16], v10 offset:32
	s_waitcnt lgkmcnt(3)
	v_fmac_f32_e32 v8, v25, v17
	s_delay_alu instid0(VALU_DEP_1) | instskip(SKIP_3) | instid1(VALU_DEP_1)
	v_fmac_f32_e32 v8, v26, v18
	ds_load_2addr_b32 v[25:26], v9 offset0:160 offset1:176
	s_waitcnt lgkmcnt(3)
	v_fmac_f32_e32 v8, v21, v19
	v_fmac_f32_e32 v8, v22, v20
	ds_load_b128 v[17:20], v10 offset:48
	ds_load_2addr_b32 v[21:22], v9 offset0:192 offset1:208
	s_waitcnt lgkmcnt(3)
	v_fmac_f32_e32 v8, v23, v13
	s_delay_alu instid0(VALU_DEP_1)
	v_fmac_f32_e32 v8, v24, v14
	ds_load_2addr_b32 v[13:14], v9 offset0:224 offset1:240
	s_waitcnt lgkmcnt(0)
	s_barrier
	buffer_gl0_inv
	v_fmac_f32_e32 v8, v25, v15
	s_delay_alu instid0(VALU_DEP_1) | instskip(NEXT) | instid1(VALU_DEP_1)
	v_fmac_f32_e32 v8, v26, v16
	v_fmac_f32_e32 v8, v21, v17
	s_delay_alu instid0(VALU_DEP_1) | instskip(NEXT) | instid1(VALU_DEP_1)
	v_fmac_f32_e32 v8, v22, v18
	v_fmac_f32_e32 v8, v13, v19
	s_delay_alu instid0(VALU_DEP_1)
	v_fmac_f32_e32 v8, v14, v20
	s_cbranch_vccnz .LBB967_2
; %bb.3:
	s_mov_b32 s2, exec_lo
	v_cmpx_le_i32_e64 v0, v2
	s_cbranch_execz .LBB967_5
.LBB967_4:
	s_clause 0x1
	s_load_b128 s[4:7], s[0:1], 0x50
	s_load_b64 s[2:3], s[0:1], 0x60
	v_lshlrev_b64 v[0:1], 2, v[0:1]
	s_waitcnt lgkmcnt(0)
	v_mul_lo_u32 v5, v2, s7
	v_mul_lo_u32 v6, v3, s6
	v_mad_u64_u32 v[3:4], null, v2, s6, 0
	s_load_b32 s6, s[0:1], 0x10
	s_mul_i32 s1, s15, s3
	s_mul_hi_u32 s3, s15, s2
	s_mul_i32 s0, s15, s2
	s_add_i32 s1, s3, s1
	s_delay_alu instid0(VALU_DEP_1) | instskip(SKIP_1) | instid1(SALU_CYCLE_1)
	v_add3_u32 v4, v4, v5, v6
	s_lshl_b64 s[0:1], s[0:1], 2
	s_add_u32 s0, s4, s0
	s_addc_u32 s1, s5, s1
	s_delay_alu instid0(VALU_DEP_1) | instskip(NEXT) | instid1(VALU_DEP_1)
	v_lshlrev_b64 v[2:3], 2, v[3:4]
	v_add_co_u32 v2, vcc_lo, s0, v2
	s_delay_alu instid0(VALU_DEP_2) | instskip(SKIP_2) | instid1(VALU_DEP_3)
	v_add_co_ci_u32_e32 v3, vcc_lo, s1, v3, vcc_lo
	s_waitcnt lgkmcnt(0)
	v_mul_f32_e32 v4, s6, v8
	v_add_co_u32 v0, vcc_lo, v2, v0
	s_delay_alu instid0(VALU_DEP_3)
	v_add_co_ci_u32_e32 v1, vcc_lo, v3, v1, vcc_lo
	global_store_b32 v[0:1], v4, off
.LBB967_5:
	s_nop 0
	s_sendmsg sendmsg(MSG_DEALLOC_VGPRS)
	s_endpgm
.LBB967_6:
	v_mov_b32_e32 v8, 0
	s_mov_b32 s2, exec_lo
	v_cmpx_le_i32_e64 v0, v2
	s_cbranch_execnz .LBB967_4
	s_branch .LBB967_5
	.section	.rodata,"a",@progbits
	.p2align	6, 0x0
	.amdhsa_kernel _ZL41rocblas_syrkx_herkx_small_restrict_kernelIlfLi16ELb1ELb0ELc78ELc85EKffEviT_T0_PT6_S1_lS4_S1_lS2_PT7_S1_li
		.amdhsa_group_segment_fixed_size 2048
		.amdhsa_private_segment_fixed_size 0
		.amdhsa_kernarg_size 108
		.amdhsa_user_sgpr_count 13
		.amdhsa_user_sgpr_dispatch_ptr 0
		.amdhsa_user_sgpr_queue_ptr 0
		.amdhsa_user_sgpr_kernarg_segment_ptr 1
		.amdhsa_user_sgpr_dispatch_id 0
		.amdhsa_user_sgpr_private_segment_size 0
		.amdhsa_wavefront_size32 1
		.amdhsa_uses_dynamic_stack 0
		.amdhsa_enable_private_segment 0
		.amdhsa_system_sgpr_workgroup_id_x 1
		.amdhsa_system_sgpr_workgroup_id_y 1
		.amdhsa_system_sgpr_workgroup_id_z 1
		.amdhsa_system_sgpr_workgroup_info 0
		.amdhsa_system_vgpr_workitem_id 1
		.amdhsa_next_free_vgpr 27
		.amdhsa_next_free_sgpr 20
		.amdhsa_reserve_vcc 1
		.amdhsa_float_round_mode_32 0
		.amdhsa_float_round_mode_16_64 0
		.amdhsa_float_denorm_mode_32 3
		.amdhsa_float_denorm_mode_16_64 3
		.amdhsa_dx10_clamp 1
		.amdhsa_ieee_mode 1
		.amdhsa_fp16_overflow 0
		.amdhsa_workgroup_processor_mode 1
		.amdhsa_memory_ordered 1
		.amdhsa_forward_progress 0
		.amdhsa_shared_vgpr_count 0
		.amdhsa_exception_fp_ieee_invalid_op 0
		.amdhsa_exception_fp_denorm_src 0
		.amdhsa_exception_fp_ieee_div_zero 0
		.amdhsa_exception_fp_ieee_overflow 0
		.amdhsa_exception_fp_ieee_underflow 0
		.amdhsa_exception_fp_ieee_inexact 0
		.amdhsa_exception_int_div_zero 0
	.end_amdhsa_kernel
	.section	.text._ZL41rocblas_syrkx_herkx_small_restrict_kernelIlfLi16ELb1ELb0ELc78ELc85EKffEviT_T0_PT6_S1_lS4_S1_lS2_PT7_S1_li,"axG",@progbits,_ZL41rocblas_syrkx_herkx_small_restrict_kernelIlfLi16ELb1ELb0ELc78ELc85EKffEviT_T0_PT6_S1_lS4_S1_lS2_PT7_S1_li,comdat
.Lfunc_end967:
	.size	_ZL41rocblas_syrkx_herkx_small_restrict_kernelIlfLi16ELb1ELb0ELc78ELc85EKffEviT_T0_PT6_S1_lS4_S1_lS2_PT7_S1_li, .Lfunc_end967-_ZL41rocblas_syrkx_herkx_small_restrict_kernelIlfLi16ELb1ELb0ELc78ELc85EKffEviT_T0_PT6_S1_lS4_S1_lS2_PT7_S1_li
                                        ; -- End function
	.section	.AMDGPU.csdata,"",@progbits
; Kernel info:
; codeLenInByte = 912
; NumSgprs: 22
; NumVgprs: 27
; ScratchSize: 0
; MemoryBound: 0
; FloatMode: 240
; IeeeMode: 1
; LDSByteSize: 2048 bytes/workgroup (compile time only)
; SGPRBlocks: 2
; VGPRBlocks: 3
; NumSGPRsForWavesPerEU: 22
; NumVGPRsForWavesPerEU: 27
; Occupancy: 16
; WaveLimiterHint : 0
; COMPUTE_PGM_RSRC2:SCRATCH_EN: 0
; COMPUTE_PGM_RSRC2:USER_SGPR: 13
; COMPUTE_PGM_RSRC2:TRAP_HANDLER: 0
; COMPUTE_PGM_RSRC2:TGID_X_EN: 1
; COMPUTE_PGM_RSRC2:TGID_Y_EN: 1
; COMPUTE_PGM_RSRC2:TGID_Z_EN: 1
; COMPUTE_PGM_RSRC2:TIDIG_COMP_CNT: 1
	.section	.text._ZL41rocblas_syrkx_herkx_small_restrict_kernelIlfLi16ELb0ELb0ELc84ELc76EKffEviT_T0_PT6_S1_lS4_S1_lS2_PT7_S1_li,"axG",@progbits,_ZL41rocblas_syrkx_herkx_small_restrict_kernelIlfLi16ELb0ELb0ELc84ELc76EKffEviT_T0_PT6_S1_lS4_S1_lS2_PT7_S1_li,comdat
	.globl	_ZL41rocblas_syrkx_herkx_small_restrict_kernelIlfLi16ELb0ELb0ELc84ELc76EKffEviT_T0_PT6_S1_lS4_S1_lS2_PT7_S1_li ; -- Begin function _ZL41rocblas_syrkx_herkx_small_restrict_kernelIlfLi16ELb0ELb0ELc84ELc76EKffEviT_T0_PT6_S1_lS4_S1_lS2_PT7_S1_li
	.p2align	8
	.type	_ZL41rocblas_syrkx_herkx_small_restrict_kernelIlfLi16ELb0ELb0ELc84ELc76EKffEviT_T0_PT6_S1_lS4_S1_lS2_PT7_S1_li,@function
_ZL41rocblas_syrkx_herkx_small_restrict_kernelIlfLi16ELb0ELb0ELc84ELc76EKffEviT_T0_PT6_S1_lS4_S1_lS2_PT7_S1_li: ; @_ZL41rocblas_syrkx_herkx_small_restrict_kernelIlfLi16ELb0ELb0ELc84ELc76EKffEviT_T0_PT6_S1_lS4_S1_lS2_PT7_S1_li
; %bb.0:
	s_load_b64 s[2:3], s[0:1], 0x8
	v_and_b32_e32 v3, 0x3ff, v0
	v_bfe_u32 v2, v0, 10, 10
	s_delay_alu instid0(VALU_DEP_2) | instskip(NEXT) | instid1(VALU_DEP_2)
	v_lshl_add_u32 v0, s13, 4, v3
	v_lshl_add_u32 v6, s14, 4, v2
	s_delay_alu instid0(VALU_DEP_2) | instskip(NEXT) | instid1(VALU_DEP_2)
	v_ashrrev_i32_e32 v1, 31, v0
	v_ashrrev_i32_e32 v7, 31, v6
	s_waitcnt lgkmcnt(0)
	v_cmp_lt_i64_e64 s4, s[2:3], 1
	s_delay_alu instid0(VALU_DEP_1)
	s_and_b32 vcc_lo, exec_lo, s4
	s_cbranch_vccnz .LBB968_6
; %bb.1:
	s_clause 0x1
	s_load_b128 s[16:19], s[0:1], 0x38
	s_load_b256 s[4:11], s[0:1], 0x18
	v_lshlrev_b32_e32 v4, 6, v2
	v_lshlrev_b32_e32 v8, 2, v3
	;; [unrolled: 1-line block ×3, first 2 shown]
	s_delay_alu instid0(VALU_DEP_3) | instskip(NEXT) | instid1(VALU_DEP_3)
	v_add_nc_u32_e32 v9, 0x400, v4
	v_add_nc_u32_e32 v11, v8, v4
	s_waitcnt lgkmcnt(0)
	v_mul_lo_u32 v13, s17, v6
	v_mul_lo_u32 v14, s16, v7
	v_mad_u64_u32 v[2:3], null, s16, v6, 0
	v_mul_lo_u32 v15, s7, v0
	v_mul_lo_u32 v16, s6, v1
	v_mad_u64_u32 v[4:5], null, s6, v0, 0
	s_mul_i32 s12, s19, s15
	s_mul_hi_u32 s7, s18, s15
	s_delay_alu instid0(VALU_DEP_4) | instskip(SKIP_3) | instid1(VALU_DEP_2)
	v_add3_u32 v3, v3, v14, v13
	s_mul_i32 s6, s18, s15
	s_add_i32 s7, s7, s12
	s_mul_i32 s9, s9, s15
	v_add3_u32 v5, v5, v16, v15
	v_lshlrev_b64 v[2:3], 2, v[2:3]
	s_mul_hi_u32 s13, s8, s15
	s_lshl_b64 s[6:7], s[6:7], 2
	s_mul_i32 s8, s8, s15
	v_lshlrev_b64 v[4:5], 2, v[4:5]
	s_add_i32 s9, s13, s9
	v_add_co_u32 v2, vcc_lo, v2, s6
	s_lshl_b64 s[8:9], s[8:9], 2
	v_add_co_ci_u32_e32 v3, vcc_lo, s7, v3, vcc_lo
	s_delay_alu instid0(VALU_DEP_3) | instskip(SKIP_2) | instid1(VALU_DEP_4)
	v_add_co_u32 v4, vcc_lo, v4, s8
	v_add_co_ci_u32_e32 v5, vcc_lo, s9, v5, vcc_lo
	v_add_co_u32 v2, vcc_lo, v2, v8
	v_add_co_ci_u32_e32 v3, vcc_lo, 0, v3, vcc_lo
	s_delay_alu instid0(VALU_DEP_4)
	v_add_co_u32 v4, vcc_lo, v4, v10
	v_mov_b32_e32 v10, 0
	v_add_co_ci_u32_e32 v5, vcc_lo, 0, v5, vcc_lo
	v_add_co_u32 v2, vcc_lo, s10, v2
	v_add_co_ci_u32_e32 v3, vcc_lo, s11, v3, vcc_lo
	v_add_co_u32 v4, vcc_lo, s4, v4
	v_add_nc_u32_e32 v12, v9, v8
	v_add_co_ci_u32_e32 v5, vcc_lo, s5, v5, vcc_lo
	s_mov_b64 s[4:5], 0
.LBB968_2:                              ; =>This Inner Loop Header: Depth=1
	global_load_b32 v13, v[4:5], off
	global_load_b32 v14, v[2:3], off
	s_add_u32 s4, s4, 16
	v_add_co_u32 v2, vcc_lo, v2, 64
	s_addc_u32 s5, s5, 0
	v_add_co_ci_u32_e32 v3, vcc_lo, 0, v3, vcc_lo
	v_cmp_lt_i64_e64 s6, s[4:5], s[2:3]
	v_add_co_u32 v4, vcc_lo, v4, 64
	v_add_co_ci_u32_e32 v5, vcc_lo, 0, v5, vcc_lo
	s_waitcnt vmcnt(1)
	ds_store_b32 v11, v13
	s_waitcnt vmcnt(0)
	ds_store_b32 v12, v14
	s_waitcnt lgkmcnt(0)
	s_barrier
	buffer_gl0_inv
	ds_load_2addr_b32 v[21:22], v8 offset1:16
	ds_load_b128 v[13:16], v9
	ds_load_2addr_b32 v[23:24], v8 offset0:32 offset1:48
	ds_load_b128 v[17:20], v9 offset:16
	ds_load_2addr_b32 v[25:26], v8 offset0:64 offset1:80
	s_and_b32 vcc_lo, exec_lo, s6
	s_waitcnt lgkmcnt(3)
	v_fmac_f32_e32 v10, v21, v13
	s_delay_alu instid0(VALU_DEP_1) | instskip(SKIP_3) | instid1(VALU_DEP_1)
	v_fmac_f32_e32 v10, v22, v14
	ds_load_2addr_b32 v[21:22], v8 offset0:96 offset1:112
	s_waitcnt lgkmcnt(3)
	v_fmac_f32_e32 v10, v23, v15
	v_fmac_f32_e32 v10, v24, v16
	ds_load_2addr_b32 v[23:24], v8 offset0:128 offset1:144
	ds_load_b128 v[13:16], v9 offset:32
	s_waitcnt lgkmcnt(3)
	v_fmac_f32_e32 v10, v25, v17
	s_delay_alu instid0(VALU_DEP_1) | instskip(SKIP_3) | instid1(VALU_DEP_1)
	v_fmac_f32_e32 v10, v26, v18
	ds_load_2addr_b32 v[25:26], v8 offset0:160 offset1:176
	s_waitcnt lgkmcnt(3)
	v_fmac_f32_e32 v10, v21, v19
	v_fmac_f32_e32 v10, v22, v20
	ds_load_b128 v[17:20], v9 offset:48
	ds_load_2addr_b32 v[21:22], v8 offset0:192 offset1:208
	s_waitcnt lgkmcnt(3)
	v_fmac_f32_e32 v10, v23, v13
	s_delay_alu instid0(VALU_DEP_1)
	v_fmac_f32_e32 v10, v24, v14
	ds_load_2addr_b32 v[13:14], v8 offset0:224 offset1:240
	s_waitcnt lgkmcnt(0)
	s_barrier
	buffer_gl0_inv
	v_fmac_f32_e32 v10, v25, v15
	s_delay_alu instid0(VALU_DEP_1) | instskip(NEXT) | instid1(VALU_DEP_1)
	v_fmac_f32_e32 v10, v26, v16
	v_fmac_f32_e32 v10, v21, v17
	s_delay_alu instid0(VALU_DEP_1) | instskip(NEXT) | instid1(VALU_DEP_1)
	v_fmac_f32_e32 v10, v22, v18
	v_fmac_f32_e32 v10, v13, v19
	s_delay_alu instid0(VALU_DEP_1)
	v_fmac_f32_e32 v10, v14, v20
	s_cbranch_vccnz .LBB968_2
; %bb.3:
	s_mov_b32 s2, exec_lo
	v_cmpx_le_i32_e64 v6, v0
	s_cbranch_execz .LBB968_5
.LBB968_4:
	s_clause 0x1
	s_load_b128 s[4:7], s[0:1], 0x50
	s_load_b64 s[2:3], s[0:1], 0x60
	v_lshlrev_b64 v[0:1], 2, v[0:1]
	s_waitcnt lgkmcnt(0)
	v_mul_lo_u32 v4, v6, s7
	v_mul_lo_u32 v5, v7, s6
	v_mad_u64_u32 v[2:3], null, v6, s6, 0
	s_mul_i32 s3, s15, s3
	s_mul_hi_u32 s6, s15, s2
	s_mul_i32 s2, s15, s2
	s_add_i32 s3, s6, s3
	s_delay_alu instid0(SALU_CYCLE_1) | instskip(NEXT) | instid1(VALU_DEP_1)
	s_lshl_b64 s[2:3], s[2:3], 2
	v_add3_u32 v3, v3, v4, v5
	s_add_u32 s2, s4, s2
	s_addc_u32 s3, s5, s3
	s_delay_alu instid0(VALU_DEP_1) | instskip(NEXT) | instid1(VALU_DEP_1)
	v_lshlrev_b64 v[2:3], 2, v[2:3]
	v_add_co_u32 v2, vcc_lo, s2, v2
	s_delay_alu instid0(VALU_DEP_2) | instskip(NEXT) | instid1(VALU_DEP_2)
	v_add_co_ci_u32_e32 v3, vcc_lo, s3, v3, vcc_lo
	v_add_co_u32 v0, vcc_lo, v2, v0
	s_delay_alu instid0(VALU_DEP_2)
	v_add_co_ci_u32_e32 v1, vcc_lo, v3, v1, vcc_lo
	global_load_b32 v2, v[0:1], off
	s_clause 0x1
	s_load_b32 s2, s[0:1], 0x48
	s_load_b32 s0, s[0:1], 0x10
	s_waitcnt vmcnt(0) lgkmcnt(0)
	v_mul_f32_e32 v2, s2, v2
	s_delay_alu instid0(VALU_DEP_1)
	v_fmac_f32_e32 v2, s0, v10
	global_store_b32 v[0:1], v2, off
.LBB968_5:
	s_nop 0
	s_sendmsg sendmsg(MSG_DEALLOC_VGPRS)
	s_endpgm
.LBB968_6:
	v_mov_b32_e32 v10, 0
	s_mov_b32 s2, exec_lo
	v_cmpx_le_i32_e64 v6, v0
	s_cbranch_execnz .LBB968_4
	s_branch .LBB968_5
	.section	.rodata,"a",@progbits
	.p2align	6, 0x0
	.amdhsa_kernel _ZL41rocblas_syrkx_herkx_small_restrict_kernelIlfLi16ELb0ELb0ELc84ELc76EKffEviT_T0_PT6_S1_lS4_S1_lS2_PT7_S1_li
		.amdhsa_group_segment_fixed_size 2048
		.amdhsa_private_segment_fixed_size 0
		.amdhsa_kernarg_size 108
		.amdhsa_user_sgpr_count 13
		.amdhsa_user_sgpr_dispatch_ptr 0
		.amdhsa_user_sgpr_queue_ptr 0
		.amdhsa_user_sgpr_kernarg_segment_ptr 1
		.amdhsa_user_sgpr_dispatch_id 0
		.amdhsa_user_sgpr_private_segment_size 0
		.amdhsa_wavefront_size32 1
		.amdhsa_uses_dynamic_stack 0
		.amdhsa_enable_private_segment 0
		.amdhsa_system_sgpr_workgroup_id_x 1
		.amdhsa_system_sgpr_workgroup_id_y 1
		.amdhsa_system_sgpr_workgroup_id_z 1
		.amdhsa_system_sgpr_workgroup_info 0
		.amdhsa_system_vgpr_workitem_id 1
		.amdhsa_next_free_vgpr 27
		.amdhsa_next_free_sgpr 20
		.amdhsa_reserve_vcc 1
		.amdhsa_float_round_mode_32 0
		.amdhsa_float_round_mode_16_64 0
		.amdhsa_float_denorm_mode_32 3
		.amdhsa_float_denorm_mode_16_64 3
		.amdhsa_dx10_clamp 1
		.amdhsa_ieee_mode 1
		.amdhsa_fp16_overflow 0
		.amdhsa_workgroup_processor_mode 1
		.amdhsa_memory_ordered 1
		.amdhsa_forward_progress 0
		.amdhsa_shared_vgpr_count 0
		.amdhsa_exception_fp_ieee_invalid_op 0
		.amdhsa_exception_fp_denorm_src 0
		.amdhsa_exception_fp_ieee_div_zero 0
		.amdhsa_exception_fp_ieee_overflow 0
		.amdhsa_exception_fp_ieee_underflow 0
		.amdhsa_exception_fp_ieee_inexact 0
		.amdhsa_exception_int_div_zero 0
	.end_amdhsa_kernel
	.section	.text._ZL41rocblas_syrkx_herkx_small_restrict_kernelIlfLi16ELb0ELb0ELc84ELc76EKffEviT_T0_PT6_S1_lS4_S1_lS2_PT7_S1_li,"axG",@progbits,_ZL41rocblas_syrkx_herkx_small_restrict_kernelIlfLi16ELb0ELb0ELc84ELc76EKffEviT_T0_PT6_S1_lS4_S1_lS2_PT7_S1_li,comdat
.Lfunc_end968:
	.size	_ZL41rocblas_syrkx_herkx_small_restrict_kernelIlfLi16ELb0ELb0ELc84ELc76EKffEviT_T0_PT6_S1_lS4_S1_lS2_PT7_S1_li, .Lfunc_end968-_ZL41rocblas_syrkx_herkx_small_restrict_kernelIlfLi16ELb0ELb0ELc84ELc76EKffEviT_T0_PT6_S1_lS4_S1_lS2_PT7_S1_li
                                        ; -- End function
	.section	.AMDGPU.csdata,"",@progbits
; Kernel info:
; codeLenInByte = 916
; NumSgprs: 22
; NumVgprs: 27
; ScratchSize: 0
; MemoryBound: 0
; FloatMode: 240
; IeeeMode: 1
; LDSByteSize: 2048 bytes/workgroup (compile time only)
; SGPRBlocks: 2
; VGPRBlocks: 3
; NumSGPRsForWavesPerEU: 22
; NumVGPRsForWavesPerEU: 27
; Occupancy: 16
; WaveLimiterHint : 0
; COMPUTE_PGM_RSRC2:SCRATCH_EN: 0
; COMPUTE_PGM_RSRC2:USER_SGPR: 13
; COMPUTE_PGM_RSRC2:TRAP_HANDLER: 0
; COMPUTE_PGM_RSRC2:TGID_X_EN: 1
; COMPUTE_PGM_RSRC2:TGID_Y_EN: 1
; COMPUTE_PGM_RSRC2:TGID_Z_EN: 1
; COMPUTE_PGM_RSRC2:TIDIG_COMP_CNT: 1
	.section	.text._ZL41rocblas_syrkx_herkx_small_restrict_kernelIlfLi16ELb0ELb0ELc67ELc76EKffEviT_T0_PT6_S1_lS4_S1_lS2_PT7_S1_li,"axG",@progbits,_ZL41rocblas_syrkx_herkx_small_restrict_kernelIlfLi16ELb0ELb0ELc67ELc76EKffEviT_T0_PT6_S1_lS4_S1_lS2_PT7_S1_li,comdat
	.globl	_ZL41rocblas_syrkx_herkx_small_restrict_kernelIlfLi16ELb0ELb0ELc67ELc76EKffEviT_T0_PT6_S1_lS4_S1_lS2_PT7_S1_li ; -- Begin function _ZL41rocblas_syrkx_herkx_small_restrict_kernelIlfLi16ELb0ELb0ELc67ELc76EKffEviT_T0_PT6_S1_lS4_S1_lS2_PT7_S1_li
	.p2align	8
	.type	_ZL41rocblas_syrkx_herkx_small_restrict_kernelIlfLi16ELb0ELb0ELc67ELc76EKffEviT_T0_PT6_S1_lS4_S1_lS2_PT7_S1_li,@function
_ZL41rocblas_syrkx_herkx_small_restrict_kernelIlfLi16ELb0ELb0ELc67ELc76EKffEviT_T0_PT6_S1_lS4_S1_lS2_PT7_S1_li: ; @_ZL41rocblas_syrkx_herkx_small_restrict_kernelIlfLi16ELb0ELb0ELc67ELc76EKffEviT_T0_PT6_S1_lS4_S1_lS2_PT7_S1_li
; %bb.0:
	s_load_b64 s[2:3], s[0:1], 0x8
	v_and_b32_e32 v3, 0x3ff, v0
	v_bfe_u32 v2, v0, 10, 10
	s_delay_alu instid0(VALU_DEP_2) | instskip(NEXT) | instid1(VALU_DEP_2)
	v_lshl_add_u32 v0, s13, 4, v3
	v_lshl_add_u32 v6, s14, 4, v2
	s_delay_alu instid0(VALU_DEP_2) | instskip(NEXT) | instid1(VALU_DEP_2)
	v_ashrrev_i32_e32 v1, 31, v0
	v_ashrrev_i32_e32 v7, 31, v6
	s_waitcnt lgkmcnt(0)
	v_cmp_lt_i64_e64 s4, s[2:3], 1
	s_delay_alu instid0(VALU_DEP_1)
	s_and_b32 vcc_lo, exec_lo, s4
	s_cbranch_vccnz .LBB969_6
; %bb.1:
	s_clause 0x1
	s_load_b128 s[16:19], s[0:1], 0x38
	s_load_b256 s[4:11], s[0:1], 0x18
	v_lshlrev_b32_e32 v4, 6, v2
	v_lshlrev_b32_e32 v8, 2, v3
	;; [unrolled: 1-line block ×3, first 2 shown]
	s_delay_alu instid0(VALU_DEP_3) | instskip(NEXT) | instid1(VALU_DEP_3)
	v_add_nc_u32_e32 v9, 0x400, v4
	v_add_nc_u32_e32 v11, v8, v4
	s_waitcnt lgkmcnt(0)
	v_mul_lo_u32 v13, s17, v6
	v_mul_lo_u32 v14, s16, v7
	v_mad_u64_u32 v[2:3], null, s16, v6, 0
	v_mul_lo_u32 v15, s7, v0
	v_mul_lo_u32 v16, s6, v1
	v_mad_u64_u32 v[4:5], null, s6, v0, 0
	s_mul_i32 s12, s19, s15
	s_mul_hi_u32 s7, s18, s15
	s_delay_alu instid0(VALU_DEP_4) | instskip(SKIP_3) | instid1(VALU_DEP_2)
	v_add3_u32 v3, v3, v14, v13
	s_mul_i32 s6, s18, s15
	s_add_i32 s7, s7, s12
	s_mul_i32 s9, s9, s15
	v_add3_u32 v5, v5, v16, v15
	v_lshlrev_b64 v[2:3], 2, v[2:3]
	s_mul_hi_u32 s13, s8, s15
	s_lshl_b64 s[6:7], s[6:7], 2
	s_mul_i32 s8, s8, s15
	v_lshlrev_b64 v[4:5], 2, v[4:5]
	s_add_i32 s9, s13, s9
	v_add_co_u32 v2, vcc_lo, v2, s6
	s_lshl_b64 s[8:9], s[8:9], 2
	v_add_co_ci_u32_e32 v3, vcc_lo, s7, v3, vcc_lo
	s_delay_alu instid0(VALU_DEP_3) | instskip(SKIP_2) | instid1(VALU_DEP_4)
	v_add_co_u32 v4, vcc_lo, v4, s8
	v_add_co_ci_u32_e32 v5, vcc_lo, s9, v5, vcc_lo
	v_add_co_u32 v2, vcc_lo, v2, v8
	v_add_co_ci_u32_e32 v3, vcc_lo, 0, v3, vcc_lo
	s_delay_alu instid0(VALU_DEP_4)
	v_add_co_u32 v4, vcc_lo, v4, v10
	v_mov_b32_e32 v10, 0
	v_add_co_ci_u32_e32 v5, vcc_lo, 0, v5, vcc_lo
	v_add_co_u32 v2, vcc_lo, s10, v2
	v_add_co_ci_u32_e32 v3, vcc_lo, s11, v3, vcc_lo
	v_add_co_u32 v4, vcc_lo, s4, v4
	v_add_nc_u32_e32 v12, v9, v8
	v_add_co_ci_u32_e32 v5, vcc_lo, s5, v5, vcc_lo
	s_mov_b64 s[4:5], 0
.LBB969_2:                              ; =>This Inner Loop Header: Depth=1
	global_load_b32 v13, v[4:5], off
	global_load_b32 v14, v[2:3], off
	s_add_u32 s4, s4, 16
	v_add_co_u32 v2, vcc_lo, v2, 64
	s_addc_u32 s5, s5, 0
	v_add_co_ci_u32_e32 v3, vcc_lo, 0, v3, vcc_lo
	v_cmp_lt_i64_e64 s6, s[4:5], s[2:3]
	v_add_co_u32 v4, vcc_lo, v4, 64
	v_add_co_ci_u32_e32 v5, vcc_lo, 0, v5, vcc_lo
	s_waitcnt vmcnt(1)
	ds_store_b32 v11, v13
	s_waitcnt vmcnt(0)
	ds_store_b32 v12, v14
	s_waitcnt lgkmcnt(0)
	s_barrier
	buffer_gl0_inv
	ds_load_2addr_b32 v[21:22], v8 offset1:16
	ds_load_b128 v[13:16], v9
	ds_load_2addr_b32 v[23:24], v8 offset0:32 offset1:48
	ds_load_b128 v[17:20], v9 offset:16
	ds_load_2addr_b32 v[25:26], v8 offset0:64 offset1:80
	s_and_b32 vcc_lo, exec_lo, s6
	s_waitcnt lgkmcnt(3)
	v_fmac_f32_e32 v10, v21, v13
	s_delay_alu instid0(VALU_DEP_1) | instskip(SKIP_3) | instid1(VALU_DEP_1)
	v_fmac_f32_e32 v10, v22, v14
	ds_load_2addr_b32 v[21:22], v8 offset0:96 offset1:112
	s_waitcnt lgkmcnt(3)
	v_fmac_f32_e32 v10, v23, v15
	v_fmac_f32_e32 v10, v24, v16
	ds_load_2addr_b32 v[23:24], v8 offset0:128 offset1:144
	ds_load_b128 v[13:16], v9 offset:32
	s_waitcnt lgkmcnt(3)
	v_fmac_f32_e32 v10, v25, v17
	s_delay_alu instid0(VALU_DEP_1) | instskip(SKIP_3) | instid1(VALU_DEP_1)
	v_fmac_f32_e32 v10, v26, v18
	ds_load_2addr_b32 v[25:26], v8 offset0:160 offset1:176
	s_waitcnt lgkmcnt(3)
	v_fmac_f32_e32 v10, v21, v19
	v_fmac_f32_e32 v10, v22, v20
	ds_load_b128 v[17:20], v9 offset:48
	ds_load_2addr_b32 v[21:22], v8 offset0:192 offset1:208
	s_waitcnt lgkmcnt(3)
	v_fmac_f32_e32 v10, v23, v13
	s_delay_alu instid0(VALU_DEP_1)
	v_fmac_f32_e32 v10, v24, v14
	ds_load_2addr_b32 v[13:14], v8 offset0:224 offset1:240
	s_waitcnt lgkmcnt(0)
	s_barrier
	buffer_gl0_inv
	v_fmac_f32_e32 v10, v25, v15
	s_delay_alu instid0(VALU_DEP_1) | instskip(NEXT) | instid1(VALU_DEP_1)
	v_fmac_f32_e32 v10, v26, v16
	v_fmac_f32_e32 v10, v21, v17
	s_delay_alu instid0(VALU_DEP_1) | instskip(NEXT) | instid1(VALU_DEP_1)
	v_fmac_f32_e32 v10, v22, v18
	v_fmac_f32_e32 v10, v13, v19
	s_delay_alu instid0(VALU_DEP_1)
	v_fmac_f32_e32 v10, v14, v20
	s_cbranch_vccnz .LBB969_2
; %bb.3:
	s_mov_b32 s2, exec_lo
	v_cmpx_le_i32_e64 v6, v0
	s_cbranch_execz .LBB969_5
.LBB969_4:
	s_clause 0x1
	s_load_b128 s[4:7], s[0:1], 0x50
	s_load_b64 s[2:3], s[0:1], 0x60
	v_lshlrev_b64 v[0:1], 2, v[0:1]
	s_waitcnt lgkmcnt(0)
	v_mul_lo_u32 v4, v6, s7
	v_mul_lo_u32 v5, v7, s6
	v_mad_u64_u32 v[2:3], null, v6, s6, 0
	s_mul_i32 s3, s15, s3
	s_mul_hi_u32 s6, s15, s2
	s_mul_i32 s2, s15, s2
	s_add_i32 s3, s6, s3
	s_delay_alu instid0(SALU_CYCLE_1) | instskip(NEXT) | instid1(VALU_DEP_1)
	s_lshl_b64 s[2:3], s[2:3], 2
	v_add3_u32 v3, v3, v4, v5
	s_add_u32 s2, s4, s2
	s_addc_u32 s3, s5, s3
	s_delay_alu instid0(VALU_DEP_1) | instskip(NEXT) | instid1(VALU_DEP_1)
	v_lshlrev_b64 v[2:3], 2, v[2:3]
	v_add_co_u32 v2, vcc_lo, s2, v2
	s_delay_alu instid0(VALU_DEP_2) | instskip(NEXT) | instid1(VALU_DEP_2)
	v_add_co_ci_u32_e32 v3, vcc_lo, s3, v3, vcc_lo
	v_add_co_u32 v0, vcc_lo, v2, v0
	s_delay_alu instid0(VALU_DEP_2)
	v_add_co_ci_u32_e32 v1, vcc_lo, v3, v1, vcc_lo
	global_load_b32 v2, v[0:1], off
	s_clause 0x1
	s_load_b32 s2, s[0:1], 0x48
	s_load_b32 s0, s[0:1], 0x10
	s_waitcnt vmcnt(0) lgkmcnt(0)
	v_mul_f32_e32 v2, s2, v2
	s_delay_alu instid0(VALU_DEP_1)
	v_fmac_f32_e32 v2, s0, v10
	global_store_b32 v[0:1], v2, off
.LBB969_5:
	s_nop 0
	s_sendmsg sendmsg(MSG_DEALLOC_VGPRS)
	s_endpgm
.LBB969_6:
	v_mov_b32_e32 v10, 0
	s_mov_b32 s2, exec_lo
	v_cmpx_le_i32_e64 v6, v0
	s_cbranch_execnz .LBB969_4
	s_branch .LBB969_5
	.section	.rodata,"a",@progbits
	.p2align	6, 0x0
	.amdhsa_kernel _ZL41rocblas_syrkx_herkx_small_restrict_kernelIlfLi16ELb0ELb0ELc67ELc76EKffEviT_T0_PT6_S1_lS4_S1_lS2_PT7_S1_li
		.amdhsa_group_segment_fixed_size 2048
		.amdhsa_private_segment_fixed_size 0
		.amdhsa_kernarg_size 108
		.amdhsa_user_sgpr_count 13
		.amdhsa_user_sgpr_dispatch_ptr 0
		.amdhsa_user_sgpr_queue_ptr 0
		.amdhsa_user_sgpr_kernarg_segment_ptr 1
		.amdhsa_user_sgpr_dispatch_id 0
		.amdhsa_user_sgpr_private_segment_size 0
		.amdhsa_wavefront_size32 1
		.amdhsa_uses_dynamic_stack 0
		.amdhsa_enable_private_segment 0
		.amdhsa_system_sgpr_workgroup_id_x 1
		.amdhsa_system_sgpr_workgroup_id_y 1
		.amdhsa_system_sgpr_workgroup_id_z 1
		.amdhsa_system_sgpr_workgroup_info 0
		.amdhsa_system_vgpr_workitem_id 1
		.amdhsa_next_free_vgpr 27
		.amdhsa_next_free_sgpr 20
		.amdhsa_reserve_vcc 1
		.amdhsa_float_round_mode_32 0
		.amdhsa_float_round_mode_16_64 0
		.amdhsa_float_denorm_mode_32 3
		.amdhsa_float_denorm_mode_16_64 3
		.amdhsa_dx10_clamp 1
		.amdhsa_ieee_mode 1
		.amdhsa_fp16_overflow 0
		.amdhsa_workgroup_processor_mode 1
		.amdhsa_memory_ordered 1
		.amdhsa_forward_progress 0
		.amdhsa_shared_vgpr_count 0
		.amdhsa_exception_fp_ieee_invalid_op 0
		.amdhsa_exception_fp_denorm_src 0
		.amdhsa_exception_fp_ieee_div_zero 0
		.amdhsa_exception_fp_ieee_overflow 0
		.amdhsa_exception_fp_ieee_underflow 0
		.amdhsa_exception_fp_ieee_inexact 0
		.amdhsa_exception_int_div_zero 0
	.end_amdhsa_kernel
	.section	.text._ZL41rocblas_syrkx_herkx_small_restrict_kernelIlfLi16ELb0ELb0ELc67ELc76EKffEviT_T0_PT6_S1_lS4_S1_lS2_PT7_S1_li,"axG",@progbits,_ZL41rocblas_syrkx_herkx_small_restrict_kernelIlfLi16ELb0ELb0ELc67ELc76EKffEviT_T0_PT6_S1_lS4_S1_lS2_PT7_S1_li,comdat
.Lfunc_end969:
	.size	_ZL41rocblas_syrkx_herkx_small_restrict_kernelIlfLi16ELb0ELb0ELc67ELc76EKffEviT_T0_PT6_S1_lS4_S1_lS2_PT7_S1_li, .Lfunc_end969-_ZL41rocblas_syrkx_herkx_small_restrict_kernelIlfLi16ELb0ELb0ELc67ELc76EKffEviT_T0_PT6_S1_lS4_S1_lS2_PT7_S1_li
                                        ; -- End function
	.section	.AMDGPU.csdata,"",@progbits
; Kernel info:
; codeLenInByte = 916
; NumSgprs: 22
; NumVgprs: 27
; ScratchSize: 0
; MemoryBound: 0
; FloatMode: 240
; IeeeMode: 1
; LDSByteSize: 2048 bytes/workgroup (compile time only)
; SGPRBlocks: 2
; VGPRBlocks: 3
; NumSGPRsForWavesPerEU: 22
; NumVGPRsForWavesPerEU: 27
; Occupancy: 16
; WaveLimiterHint : 0
; COMPUTE_PGM_RSRC2:SCRATCH_EN: 0
; COMPUTE_PGM_RSRC2:USER_SGPR: 13
; COMPUTE_PGM_RSRC2:TRAP_HANDLER: 0
; COMPUTE_PGM_RSRC2:TGID_X_EN: 1
; COMPUTE_PGM_RSRC2:TGID_Y_EN: 1
; COMPUTE_PGM_RSRC2:TGID_Z_EN: 1
; COMPUTE_PGM_RSRC2:TIDIG_COMP_CNT: 1
	.section	.text._ZL41rocblas_syrkx_herkx_small_restrict_kernelIlfLi16ELb0ELb0ELc78ELc76EKffEviT_T0_PT6_S1_lS4_S1_lS2_PT7_S1_li,"axG",@progbits,_ZL41rocblas_syrkx_herkx_small_restrict_kernelIlfLi16ELb0ELb0ELc78ELc76EKffEviT_T0_PT6_S1_lS4_S1_lS2_PT7_S1_li,comdat
	.globl	_ZL41rocblas_syrkx_herkx_small_restrict_kernelIlfLi16ELb0ELb0ELc78ELc76EKffEviT_T0_PT6_S1_lS4_S1_lS2_PT7_S1_li ; -- Begin function _ZL41rocblas_syrkx_herkx_small_restrict_kernelIlfLi16ELb0ELb0ELc78ELc76EKffEviT_T0_PT6_S1_lS4_S1_lS2_PT7_S1_li
	.p2align	8
	.type	_ZL41rocblas_syrkx_herkx_small_restrict_kernelIlfLi16ELb0ELb0ELc78ELc76EKffEviT_T0_PT6_S1_lS4_S1_lS2_PT7_S1_li,@function
_ZL41rocblas_syrkx_herkx_small_restrict_kernelIlfLi16ELb0ELb0ELc78ELc76EKffEviT_T0_PT6_S1_lS4_S1_lS2_PT7_S1_li: ; @_ZL41rocblas_syrkx_herkx_small_restrict_kernelIlfLi16ELb0ELb0ELc78ELc76EKffEviT_T0_PT6_S1_lS4_S1_lS2_PT7_S1_li
; %bb.0:
	s_load_b64 s[2:3], s[0:1], 0x8
	v_and_b32_e32 v5, 0x3ff, v0
	v_bfe_u32 v4, v0, 10, 10
	s_delay_alu instid0(VALU_DEP_2) | instskip(NEXT) | instid1(VALU_DEP_2)
	v_lshl_add_u32 v0, s13, 4, v5
	v_lshl_add_u32 v2, s14, 4, v4
	s_delay_alu instid0(VALU_DEP_2) | instskip(NEXT) | instid1(VALU_DEP_2)
	v_ashrrev_i32_e32 v1, 31, v0
	v_ashrrev_i32_e32 v3, 31, v2
	s_waitcnt lgkmcnt(0)
	v_cmp_lt_i64_e64 s4, s[2:3], 1
	s_delay_alu instid0(VALU_DEP_1)
	s_and_b32 vcc_lo, exec_lo, s4
	s_cbranch_vccnz .LBB970_6
; %bb.1:
	s_clause 0x1
	s_load_b128 s[16:19], s[0:1], 0x38
	s_load_b256 s[4:11], s[0:1], 0x18
	v_lshlrev_b32_e32 v8, 6, v4
	v_lshlrev_b64 v[15:16], 2, v[2:3]
	v_lshlrev_b64 v[17:18], 2, v[0:1]
	s_delay_alu instid0(VALU_DEP_3)
	v_add_nc_u32_e32 v10, 0x400, v8
	s_waitcnt lgkmcnt(0)
	v_mad_u64_u32 v[6:7], null, s16, v5, 0
	v_mad_u64_u32 v[13:14], null, s6, v4, 0
	v_lshlrev_b32_e32 v9, 2, v5
	s_mul_i32 s13, s19, s15
	s_mul_hi_u32 s14, s18, s15
	s_mul_i32 s12, s18, s15
	s_add_i32 s13, s14, s13
	s_delay_alu instid0(VALU_DEP_2)
	v_dual_mov_b32 v8, v14 :: v_dual_add_nc_u32 v11, v9, v8
	s_mul_i32 s9, s9, s15
	s_mul_hi_u32 s18, s8, s15
	s_lshl_b64 s[12:13], s[12:13], 2
	s_mul_i32 s8, s8, s15
	v_mad_u64_u32 v[19:20], null, s17, v5, v[7:8]
	v_mad_u64_u32 v[20:21], null, s7, v4, v[8:9]
	s_add_i32 s9, s18, s9
	v_add_nc_u32_e32 v12, v10, v9
	s_lshl_b64 s[8:9], s[8:9], 2
	s_delay_alu instid0(VALU_DEP_3) | instskip(SKIP_1) | instid1(VALU_DEP_3)
	v_dual_mov_b32 v8, 0 :: v_dual_mov_b32 v7, v19
	s_lshl_b64 s[6:7], s[6:7], 6
	v_mov_b32_e32 v14, v20
	s_delay_alu instid0(VALU_DEP_2) | instskip(NEXT) | instid1(VALU_DEP_2)
	v_lshlrev_b64 v[4:5], 2, v[6:7]
	v_lshlrev_b64 v[6:7], 2, v[13:14]
	s_delay_alu instid0(VALU_DEP_2) | instskip(NEXT) | instid1(VALU_DEP_3)
	v_add_co_u32 v4, vcc_lo, s12, v4
	v_add_co_ci_u32_e32 v5, vcc_lo, s13, v5, vcc_lo
	s_delay_alu instid0(VALU_DEP_3) | instskip(NEXT) | instid1(VALU_DEP_4)
	v_add_co_u32 v6, vcc_lo, s8, v6
	v_add_co_ci_u32_e32 v7, vcc_lo, s9, v7, vcc_lo
	s_delay_alu instid0(VALU_DEP_4) | instskip(NEXT) | instid1(VALU_DEP_4)
	v_add_co_u32 v4, vcc_lo, v4, v15
	v_add_co_ci_u32_e32 v5, vcc_lo, v5, v16, vcc_lo
	s_delay_alu instid0(VALU_DEP_4) | instskip(NEXT) | instid1(VALU_DEP_4)
	;; [unrolled: 3-line block ×4, first 2 shown]
	v_add_co_u32 v6, vcc_lo, s4, v6
	v_add_co_ci_u32_e32 v7, vcc_lo, s5, v7, vcc_lo
	s_lshl_b64 s[4:5], s[16:17], 6
	s_mov_b64 s[8:9], 0
.LBB970_2:                              ; =>This Inner Loop Header: Depth=1
	global_load_b32 v13, v[6:7], off
	global_load_b32 v14, v[4:5], off
	s_add_u32 s8, s8, 16
	v_add_co_u32 v4, vcc_lo, v4, s4
	s_addc_u32 s9, s9, 0
	v_add_co_ci_u32_e32 v5, vcc_lo, s5, v5, vcc_lo
	v_cmp_lt_i64_e64 s10, s[8:9], s[2:3]
	v_add_co_u32 v6, vcc_lo, v6, s6
	v_add_co_ci_u32_e32 v7, vcc_lo, s7, v7, vcc_lo
	s_waitcnt vmcnt(1)
	ds_store_b32 v11, v13
	s_waitcnt vmcnt(0)
	ds_store_b32 v12, v14
	s_waitcnt lgkmcnt(0)
	s_barrier
	buffer_gl0_inv
	ds_load_2addr_b32 v[21:22], v9 offset1:16
	ds_load_b128 v[13:16], v10
	ds_load_2addr_b32 v[23:24], v9 offset0:32 offset1:48
	ds_load_b128 v[17:20], v10 offset:16
	ds_load_2addr_b32 v[25:26], v9 offset0:64 offset1:80
	s_and_b32 vcc_lo, exec_lo, s10
	s_waitcnt lgkmcnt(3)
	v_fmac_f32_e32 v8, v21, v13
	s_delay_alu instid0(VALU_DEP_1) | instskip(SKIP_3) | instid1(VALU_DEP_1)
	v_fmac_f32_e32 v8, v22, v14
	ds_load_2addr_b32 v[21:22], v9 offset0:96 offset1:112
	s_waitcnt lgkmcnt(3)
	v_fmac_f32_e32 v8, v23, v15
	v_fmac_f32_e32 v8, v24, v16
	ds_load_2addr_b32 v[23:24], v9 offset0:128 offset1:144
	ds_load_b128 v[13:16], v10 offset:32
	s_waitcnt lgkmcnt(3)
	v_fmac_f32_e32 v8, v25, v17
	s_delay_alu instid0(VALU_DEP_1) | instskip(SKIP_3) | instid1(VALU_DEP_1)
	v_fmac_f32_e32 v8, v26, v18
	ds_load_2addr_b32 v[25:26], v9 offset0:160 offset1:176
	s_waitcnt lgkmcnt(3)
	v_fmac_f32_e32 v8, v21, v19
	v_fmac_f32_e32 v8, v22, v20
	ds_load_b128 v[17:20], v10 offset:48
	ds_load_2addr_b32 v[21:22], v9 offset0:192 offset1:208
	s_waitcnt lgkmcnt(3)
	v_fmac_f32_e32 v8, v23, v13
	s_delay_alu instid0(VALU_DEP_1)
	v_fmac_f32_e32 v8, v24, v14
	ds_load_2addr_b32 v[13:14], v9 offset0:224 offset1:240
	s_waitcnt lgkmcnt(0)
	s_barrier
	buffer_gl0_inv
	v_fmac_f32_e32 v8, v25, v15
	s_delay_alu instid0(VALU_DEP_1) | instskip(NEXT) | instid1(VALU_DEP_1)
	v_fmac_f32_e32 v8, v26, v16
	v_fmac_f32_e32 v8, v21, v17
	s_delay_alu instid0(VALU_DEP_1) | instskip(NEXT) | instid1(VALU_DEP_1)
	v_fmac_f32_e32 v8, v22, v18
	v_fmac_f32_e32 v8, v13, v19
	s_delay_alu instid0(VALU_DEP_1)
	v_fmac_f32_e32 v8, v14, v20
	s_cbranch_vccnz .LBB970_2
; %bb.3:
	s_mov_b32 s2, exec_lo
	v_cmpx_le_i32_e64 v2, v0
	s_cbranch_execz .LBB970_5
.LBB970_4:
	s_clause 0x1
	s_load_b128 s[4:7], s[0:1], 0x50
	s_load_b64 s[2:3], s[0:1], 0x60
	v_lshlrev_b64 v[0:1], 2, v[0:1]
	s_waitcnt lgkmcnt(0)
	v_mul_lo_u32 v5, v2, s7
	v_mul_lo_u32 v6, v3, s6
	v_mad_u64_u32 v[3:4], null, v2, s6, 0
	s_mul_i32 s3, s15, s3
	s_mul_hi_u32 s6, s15, s2
	s_mul_i32 s2, s15, s2
	s_add_i32 s3, s6, s3
	s_delay_alu instid0(SALU_CYCLE_1) | instskip(NEXT) | instid1(VALU_DEP_1)
	s_lshl_b64 s[2:3], s[2:3], 2
	v_add3_u32 v4, v4, v5, v6
	s_add_u32 s2, s4, s2
	s_addc_u32 s3, s5, s3
	s_delay_alu instid0(VALU_DEP_1) | instskip(NEXT) | instid1(VALU_DEP_1)
	v_lshlrev_b64 v[2:3], 2, v[3:4]
	v_add_co_u32 v2, vcc_lo, s2, v2
	s_delay_alu instid0(VALU_DEP_2) | instskip(NEXT) | instid1(VALU_DEP_2)
	v_add_co_ci_u32_e32 v3, vcc_lo, s3, v3, vcc_lo
	v_add_co_u32 v0, vcc_lo, v2, v0
	s_delay_alu instid0(VALU_DEP_2)
	v_add_co_ci_u32_e32 v1, vcc_lo, v3, v1, vcc_lo
	global_load_b32 v2, v[0:1], off
	s_clause 0x1
	s_load_b32 s2, s[0:1], 0x48
	s_load_b32 s0, s[0:1], 0x10
	s_waitcnt vmcnt(0) lgkmcnt(0)
	v_mul_f32_e32 v2, s2, v2
	s_delay_alu instid0(VALU_DEP_1)
	v_fmac_f32_e32 v2, s0, v8
	global_store_b32 v[0:1], v2, off
.LBB970_5:
	s_nop 0
	s_sendmsg sendmsg(MSG_DEALLOC_VGPRS)
	s_endpgm
.LBB970_6:
	v_mov_b32_e32 v8, 0
	s_mov_b32 s2, exec_lo
	v_cmpx_le_i32_e64 v2, v0
	s_cbranch_execnz .LBB970_4
	s_branch .LBB970_5
	.section	.rodata,"a",@progbits
	.p2align	6, 0x0
	.amdhsa_kernel _ZL41rocblas_syrkx_herkx_small_restrict_kernelIlfLi16ELb0ELb0ELc78ELc76EKffEviT_T0_PT6_S1_lS4_S1_lS2_PT7_S1_li
		.amdhsa_group_segment_fixed_size 2048
		.amdhsa_private_segment_fixed_size 0
		.amdhsa_kernarg_size 108
		.amdhsa_user_sgpr_count 13
		.amdhsa_user_sgpr_dispatch_ptr 0
		.amdhsa_user_sgpr_queue_ptr 0
		.amdhsa_user_sgpr_kernarg_segment_ptr 1
		.amdhsa_user_sgpr_dispatch_id 0
		.amdhsa_user_sgpr_private_segment_size 0
		.amdhsa_wavefront_size32 1
		.amdhsa_uses_dynamic_stack 0
		.amdhsa_enable_private_segment 0
		.amdhsa_system_sgpr_workgroup_id_x 1
		.amdhsa_system_sgpr_workgroup_id_y 1
		.amdhsa_system_sgpr_workgroup_id_z 1
		.amdhsa_system_sgpr_workgroup_info 0
		.amdhsa_system_vgpr_workitem_id 1
		.amdhsa_next_free_vgpr 27
		.amdhsa_next_free_sgpr 20
		.amdhsa_reserve_vcc 1
		.amdhsa_float_round_mode_32 0
		.amdhsa_float_round_mode_16_64 0
		.amdhsa_float_denorm_mode_32 3
		.amdhsa_float_denorm_mode_16_64 3
		.amdhsa_dx10_clamp 1
		.amdhsa_ieee_mode 1
		.amdhsa_fp16_overflow 0
		.amdhsa_workgroup_processor_mode 1
		.amdhsa_memory_ordered 1
		.amdhsa_forward_progress 0
		.amdhsa_shared_vgpr_count 0
		.amdhsa_exception_fp_ieee_invalid_op 0
		.amdhsa_exception_fp_denorm_src 0
		.amdhsa_exception_fp_ieee_div_zero 0
		.amdhsa_exception_fp_ieee_overflow 0
		.amdhsa_exception_fp_ieee_underflow 0
		.amdhsa_exception_fp_ieee_inexact 0
		.amdhsa_exception_int_div_zero 0
	.end_amdhsa_kernel
	.section	.text._ZL41rocblas_syrkx_herkx_small_restrict_kernelIlfLi16ELb0ELb0ELc78ELc76EKffEviT_T0_PT6_S1_lS4_S1_lS2_PT7_S1_li,"axG",@progbits,_ZL41rocblas_syrkx_herkx_small_restrict_kernelIlfLi16ELb0ELb0ELc78ELc76EKffEviT_T0_PT6_S1_lS4_S1_lS2_PT7_S1_li,comdat
.Lfunc_end970:
	.size	_ZL41rocblas_syrkx_herkx_small_restrict_kernelIlfLi16ELb0ELb0ELc78ELc76EKffEviT_T0_PT6_S1_lS4_S1_lS2_PT7_S1_li, .Lfunc_end970-_ZL41rocblas_syrkx_herkx_small_restrict_kernelIlfLi16ELb0ELb0ELc78ELc76EKffEviT_T0_PT6_S1_lS4_S1_lS2_PT7_S1_li
                                        ; -- End function
	.section	.AMDGPU.csdata,"",@progbits
; Kernel info:
; codeLenInByte = 940
; NumSgprs: 22
; NumVgprs: 27
; ScratchSize: 0
; MemoryBound: 0
; FloatMode: 240
; IeeeMode: 1
; LDSByteSize: 2048 bytes/workgroup (compile time only)
; SGPRBlocks: 2
; VGPRBlocks: 3
; NumSGPRsForWavesPerEU: 22
; NumVGPRsForWavesPerEU: 27
; Occupancy: 16
; WaveLimiterHint : 0
; COMPUTE_PGM_RSRC2:SCRATCH_EN: 0
; COMPUTE_PGM_RSRC2:USER_SGPR: 13
; COMPUTE_PGM_RSRC2:TRAP_HANDLER: 0
; COMPUTE_PGM_RSRC2:TGID_X_EN: 1
; COMPUTE_PGM_RSRC2:TGID_Y_EN: 1
; COMPUTE_PGM_RSRC2:TGID_Z_EN: 1
; COMPUTE_PGM_RSRC2:TIDIG_COMP_CNT: 1
	.section	.text._ZL41rocblas_syrkx_herkx_small_restrict_kernelIlfLi16ELb0ELb0ELc84ELc85EKffEviT_T0_PT6_S1_lS4_S1_lS2_PT7_S1_li,"axG",@progbits,_ZL41rocblas_syrkx_herkx_small_restrict_kernelIlfLi16ELb0ELb0ELc84ELc85EKffEviT_T0_PT6_S1_lS4_S1_lS2_PT7_S1_li,comdat
	.globl	_ZL41rocblas_syrkx_herkx_small_restrict_kernelIlfLi16ELb0ELb0ELc84ELc85EKffEviT_T0_PT6_S1_lS4_S1_lS2_PT7_S1_li ; -- Begin function _ZL41rocblas_syrkx_herkx_small_restrict_kernelIlfLi16ELb0ELb0ELc84ELc85EKffEviT_T0_PT6_S1_lS4_S1_lS2_PT7_S1_li
	.p2align	8
	.type	_ZL41rocblas_syrkx_herkx_small_restrict_kernelIlfLi16ELb0ELb0ELc84ELc85EKffEviT_T0_PT6_S1_lS4_S1_lS2_PT7_S1_li,@function
_ZL41rocblas_syrkx_herkx_small_restrict_kernelIlfLi16ELb0ELb0ELc84ELc85EKffEviT_T0_PT6_S1_lS4_S1_lS2_PT7_S1_li: ; @_ZL41rocblas_syrkx_herkx_small_restrict_kernelIlfLi16ELb0ELb0ELc84ELc85EKffEviT_T0_PT6_S1_lS4_S1_lS2_PT7_S1_li
; %bb.0:
	s_load_b64 s[2:3], s[0:1], 0x8
	v_and_b32_e32 v3, 0x3ff, v0
	v_bfe_u32 v2, v0, 10, 10
	s_delay_alu instid0(VALU_DEP_2) | instskip(NEXT) | instid1(VALU_DEP_2)
	v_lshl_add_u32 v0, s13, 4, v3
	v_lshl_add_u32 v6, s14, 4, v2
	s_delay_alu instid0(VALU_DEP_2) | instskip(NEXT) | instid1(VALU_DEP_2)
	v_ashrrev_i32_e32 v1, 31, v0
	v_ashrrev_i32_e32 v7, 31, v6
	s_waitcnt lgkmcnt(0)
	v_cmp_lt_i64_e64 s4, s[2:3], 1
	s_delay_alu instid0(VALU_DEP_1)
	s_and_b32 vcc_lo, exec_lo, s4
	s_cbranch_vccnz .LBB971_6
; %bb.1:
	s_clause 0x1
	s_load_b128 s[16:19], s[0:1], 0x38
	s_load_b256 s[4:11], s[0:1], 0x18
	v_lshlrev_b32_e32 v4, 6, v2
	v_lshlrev_b32_e32 v8, 2, v3
	;; [unrolled: 1-line block ×3, first 2 shown]
	s_delay_alu instid0(VALU_DEP_3) | instskip(NEXT) | instid1(VALU_DEP_3)
	v_add_nc_u32_e32 v9, 0x400, v4
	v_add_nc_u32_e32 v11, v8, v4
	s_waitcnt lgkmcnt(0)
	v_mul_lo_u32 v13, s17, v6
	v_mul_lo_u32 v14, s16, v7
	v_mad_u64_u32 v[2:3], null, s16, v6, 0
	v_mul_lo_u32 v15, s7, v0
	v_mul_lo_u32 v16, s6, v1
	v_mad_u64_u32 v[4:5], null, s6, v0, 0
	s_mul_i32 s12, s19, s15
	s_mul_hi_u32 s7, s18, s15
	s_delay_alu instid0(VALU_DEP_4) | instskip(SKIP_3) | instid1(VALU_DEP_2)
	v_add3_u32 v3, v3, v14, v13
	s_mul_i32 s6, s18, s15
	s_add_i32 s7, s7, s12
	s_mul_i32 s9, s9, s15
	v_add3_u32 v5, v5, v16, v15
	v_lshlrev_b64 v[2:3], 2, v[2:3]
	s_mul_hi_u32 s13, s8, s15
	s_lshl_b64 s[6:7], s[6:7], 2
	s_mul_i32 s8, s8, s15
	v_lshlrev_b64 v[4:5], 2, v[4:5]
	s_add_i32 s9, s13, s9
	v_add_co_u32 v2, vcc_lo, v2, s6
	s_lshl_b64 s[8:9], s[8:9], 2
	v_add_co_ci_u32_e32 v3, vcc_lo, s7, v3, vcc_lo
	s_delay_alu instid0(VALU_DEP_3) | instskip(SKIP_2) | instid1(VALU_DEP_4)
	v_add_co_u32 v4, vcc_lo, v4, s8
	v_add_co_ci_u32_e32 v5, vcc_lo, s9, v5, vcc_lo
	v_add_co_u32 v2, vcc_lo, v2, v8
	v_add_co_ci_u32_e32 v3, vcc_lo, 0, v3, vcc_lo
	s_delay_alu instid0(VALU_DEP_4)
	v_add_co_u32 v4, vcc_lo, v4, v10
	v_mov_b32_e32 v10, 0
	v_add_co_ci_u32_e32 v5, vcc_lo, 0, v5, vcc_lo
	v_add_co_u32 v2, vcc_lo, s10, v2
	v_add_co_ci_u32_e32 v3, vcc_lo, s11, v3, vcc_lo
	v_add_co_u32 v4, vcc_lo, s4, v4
	v_add_nc_u32_e32 v12, v9, v8
	v_add_co_ci_u32_e32 v5, vcc_lo, s5, v5, vcc_lo
	s_mov_b64 s[4:5], 0
.LBB971_2:                              ; =>This Inner Loop Header: Depth=1
	global_load_b32 v13, v[4:5], off
	global_load_b32 v14, v[2:3], off
	s_add_u32 s4, s4, 16
	v_add_co_u32 v2, vcc_lo, v2, 64
	s_addc_u32 s5, s5, 0
	v_add_co_ci_u32_e32 v3, vcc_lo, 0, v3, vcc_lo
	v_cmp_lt_i64_e64 s6, s[4:5], s[2:3]
	v_add_co_u32 v4, vcc_lo, v4, 64
	v_add_co_ci_u32_e32 v5, vcc_lo, 0, v5, vcc_lo
	s_waitcnt vmcnt(1)
	ds_store_b32 v11, v13
	s_waitcnt vmcnt(0)
	ds_store_b32 v12, v14
	s_waitcnt lgkmcnt(0)
	s_barrier
	buffer_gl0_inv
	ds_load_2addr_b32 v[21:22], v8 offset1:16
	ds_load_b128 v[13:16], v9
	ds_load_2addr_b32 v[23:24], v8 offset0:32 offset1:48
	ds_load_b128 v[17:20], v9 offset:16
	ds_load_2addr_b32 v[25:26], v8 offset0:64 offset1:80
	s_and_b32 vcc_lo, exec_lo, s6
	s_waitcnt lgkmcnt(3)
	v_fmac_f32_e32 v10, v21, v13
	s_delay_alu instid0(VALU_DEP_1) | instskip(SKIP_3) | instid1(VALU_DEP_1)
	v_fmac_f32_e32 v10, v22, v14
	ds_load_2addr_b32 v[21:22], v8 offset0:96 offset1:112
	s_waitcnt lgkmcnt(3)
	v_fmac_f32_e32 v10, v23, v15
	v_fmac_f32_e32 v10, v24, v16
	ds_load_2addr_b32 v[23:24], v8 offset0:128 offset1:144
	ds_load_b128 v[13:16], v9 offset:32
	s_waitcnt lgkmcnt(3)
	v_fmac_f32_e32 v10, v25, v17
	s_delay_alu instid0(VALU_DEP_1) | instskip(SKIP_3) | instid1(VALU_DEP_1)
	v_fmac_f32_e32 v10, v26, v18
	ds_load_2addr_b32 v[25:26], v8 offset0:160 offset1:176
	s_waitcnt lgkmcnt(3)
	v_fmac_f32_e32 v10, v21, v19
	v_fmac_f32_e32 v10, v22, v20
	ds_load_b128 v[17:20], v9 offset:48
	ds_load_2addr_b32 v[21:22], v8 offset0:192 offset1:208
	s_waitcnt lgkmcnt(3)
	v_fmac_f32_e32 v10, v23, v13
	s_delay_alu instid0(VALU_DEP_1)
	v_fmac_f32_e32 v10, v24, v14
	ds_load_2addr_b32 v[13:14], v8 offset0:224 offset1:240
	s_waitcnt lgkmcnt(0)
	s_barrier
	buffer_gl0_inv
	v_fmac_f32_e32 v10, v25, v15
	s_delay_alu instid0(VALU_DEP_1) | instskip(NEXT) | instid1(VALU_DEP_1)
	v_fmac_f32_e32 v10, v26, v16
	v_fmac_f32_e32 v10, v21, v17
	s_delay_alu instid0(VALU_DEP_1) | instskip(NEXT) | instid1(VALU_DEP_1)
	v_fmac_f32_e32 v10, v22, v18
	v_fmac_f32_e32 v10, v13, v19
	s_delay_alu instid0(VALU_DEP_1)
	v_fmac_f32_e32 v10, v14, v20
	s_cbranch_vccnz .LBB971_2
; %bb.3:
	s_mov_b32 s2, exec_lo
	v_cmpx_le_i32_e64 v0, v6
	s_cbranch_execz .LBB971_5
.LBB971_4:
	s_clause 0x1
	s_load_b128 s[4:7], s[0:1], 0x50
	s_load_b64 s[2:3], s[0:1], 0x60
	v_lshlrev_b64 v[0:1], 2, v[0:1]
	s_waitcnt lgkmcnt(0)
	v_mul_lo_u32 v4, v6, s7
	v_mul_lo_u32 v5, v7, s6
	v_mad_u64_u32 v[2:3], null, v6, s6, 0
	s_mul_i32 s3, s15, s3
	s_mul_hi_u32 s6, s15, s2
	s_mul_i32 s2, s15, s2
	s_add_i32 s3, s6, s3
	s_delay_alu instid0(SALU_CYCLE_1) | instskip(NEXT) | instid1(VALU_DEP_1)
	s_lshl_b64 s[2:3], s[2:3], 2
	v_add3_u32 v3, v3, v4, v5
	s_add_u32 s2, s4, s2
	s_addc_u32 s3, s5, s3
	s_delay_alu instid0(VALU_DEP_1) | instskip(NEXT) | instid1(VALU_DEP_1)
	v_lshlrev_b64 v[2:3], 2, v[2:3]
	v_add_co_u32 v2, vcc_lo, s2, v2
	s_delay_alu instid0(VALU_DEP_2) | instskip(NEXT) | instid1(VALU_DEP_2)
	v_add_co_ci_u32_e32 v3, vcc_lo, s3, v3, vcc_lo
	v_add_co_u32 v0, vcc_lo, v2, v0
	s_delay_alu instid0(VALU_DEP_2)
	v_add_co_ci_u32_e32 v1, vcc_lo, v3, v1, vcc_lo
	global_load_b32 v2, v[0:1], off
	s_clause 0x1
	s_load_b32 s2, s[0:1], 0x48
	s_load_b32 s0, s[0:1], 0x10
	s_waitcnt vmcnt(0) lgkmcnt(0)
	v_mul_f32_e32 v2, s2, v2
	s_delay_alu instid0(VALU_DEP_1)
	v_fmac_f32_e32 v2, s0, v10
	global_store_b32 v[0:1], v2, off
.LBB971_5:
	s_nop 0
	s_sendmsg sendmsg(MSG_DEALLOC_VGPRS)
	s_endpgm
.LBB971_6:
	v_mov_b32_e32 v10, 0
	s_mov_b32 s2, exec_lo
	v_cmpx_le_i32_e64 v0, v6
	s_cbranch_execnz .LBB971_4
	s_branch .LBB971_5
	.section	.rodata,"a",@progbits
	.p2align	6, 0x0
	.amdhsa_kernel _ZL41rocblas_syrkx_herkx_small_restrict_kernelIlfLi16ELb0ELb0ELc84ELc85EKffEviT_T0_PT6_S1_lS4_S1_lS2_PT7_S1_li
		.amdhsa_group_segment_fixed_size 2048
		.amdhsa_private_segment_fixed_size 0
		.amdhsa_kernarg_size 108
		.amdhsa_user_sgpr_count 13
		.amdhsa_user_sgpr_dispatch_ptr 0
		.amdhsa_user_sgpr_queue_ptr 0
		.amdhsa_user_sgpr_kernarg_segment_ptr 1
		.amdhsa_user_sgpr_dispatch_id 0
		.amdhsa_user_sgpr_private_segment_size 0
		.amdhsa_wavefront_size32 1
		.amdhsa_uses_dynamic_stack 0
		.amdhsa_enable_private_segment 0
		.amdhsa_system_sgpr_workgroup_id_x 1
		.amdhsa_system_sgpr_workgroup_id_y 1
		.amdhsa_system_sgpr_workgroup_id_z 1
		.amdhsa_system_sgpr_workgroup_info 0
		.amdhsa_system_vgpr_workitem_id 1
		.amdhsa_next_free_vgpr 27
		.amdhsa_next_free_sgpr 20
		.amdhsa_reserve_vcc 1
		.amdhsa_float_round_mode_32 0
		.amdhsa_float_round_mode_16_64 0
		.amdhsa_float_denorm_mode_32 3
		.amdhsa_float_denorm_mode_16_64 3
		.amdhsa_dx10_clamp 1
		.amdhsa_ieee_mode 1
		.amdhsa_fp16_overflow 0
		.amdhsa_workgroup_processor_mode 1
		.amdhsa_memory_ordered 1
		.amdhsa_forward_progress 0
		.amdhsa_shared_vgpr_count 0
		.amdhsa_exception_fp_ieee_invalid_op 0
		.amdhsa_exception_fp_denorm_src 0
		.amdhsa_exception_fp_ieee_div_zero 0
		.amdhsa_exception_fp_ieee_overflow 0
		.amdhsa_exception_fp_ieee_underflow 0
		.amdhsa_exception_fp_ieee_inexact 0
		.amdhsa_exception_int_div_zero 0
	.end_amdhsa_kernel
	.section	.text._ZL41rocblas_syrkx_herkx_small_restrict_kernelIlfLi16ELb0ELb0ELc84ELc85EKffEviT_T0_PT6_S1_lS4_S1_lS2_PT7_S1_li,"axG",@progbits,_ZL41rocblas_syrkx_herkx_small_restrict_kernelIlfLi16ELb0ELb0ELc84ELc85EKffEviT_T0_PT6_S1_lS4_S1_lS2_PT7_S1_li,comdat
.Lfunc_end971:
	.size	_ZL41rocblas_syrkx_herkx_small_restrict_kernelIlfLi16ELb0ELb0ELc84ELc85EKffEviT_T0_PT6_S1_lS4_S1_lS2_PT7_S1_li, .Lfunc_end971-_ZL41rocblas_syrkx_herkx_small_restrict_kernelIlfLi16ELb0ELb0ELc84ELc85EKffEviT_T0_PT6_S1_lS4_S1_lS2_PT7_S1_li
                                        ; -- End function
	.section	.AMDGPU.csdata,"",@progbits
; Kernel info:
; codeLenInByte = 916
; NumSgprs: 22
; NumVgprs: 27
; ScratchSize: 0
; MemoryBound: 0
; FloatMode: 240
; IeeeMode: 1
; LDSByteSize: 2048 bytes/workgroup (compile time only)
; SGPRBlocks: 2
; VGPRBlocks: 3
; NumSGPRsForWavesPerEU: 22
; NumVGPRsForWavesPerEU: 27
; Occupancy: 16
; WaveLimiterHint : 0
; COMPUTE_PGM_RSRC2:SCRATCH_EN: 0
; COMPUTE_PGM_RSRC2:USER_SGPR: 13
; COMPUTE_PGM_RSRC2:TRAP_HANDLER: 0
; COMPUTE_PGM_RSRC2:TGID_X_EN: 1
; COMPUTE_PGM_RSRC2:TGID_Y_EN: 1
; COMPUTE_PGM_RSRC2:TGID_Z_EN: 1
; COMPUTE_PGM_RSRC2:TIDIG_COMP_CNT: 1
	.section	.text._ZL41rocblas_syrkx_herkx_small_restrict_kernelIlfLi16ELb0ELb0ELc67ELc85EKffEviT_T0_PT6_S1_lS4_S1_lS2_PT7_S1_li,"axG",@progbits,_ZL41rocblas_syrkx_herkx_small_restrict_kernelIlfLi16ELb0ELb0ELc67ELc85EKffEviT_T0_PT6_S1_lS4_S1_lS2_PT7_S1_li,comdat
	.globl	_ZL41rocblas_syrkx_herkx_small_restrict_kernelIlfLi16ELb0ELb0ELc67ELc85EKffEviT_T0_PT6_S1_lS4_S1_lS2_PT7_S1_li ; -- Begin function _ZL41rocblas_syrkx_herkx_small_restrict_kernelIlfLi16ELb0ELb0ELc67ELc85EKffEviT_T0_PT6_S1_lS4_S1_lS2_PT7_S1_li
	.p2align	8
	.type	_ZL41rocblas_syrkx_herkx_small_restrict_kernelIlfLi16ELb0ELb0ELc67ELc85EKffEviT_T0_PT6_S1_lS4_S1_lS2_PT7_S1_li,@function
_ZL41rocblas_syrkx_herkx_small_restrict_kernelIlfLi16ELb0ELb0ELc67ELc85EKffEviT_T0_PT6_S1_lS4_S1_lS2_PT7_S1_li: ; @_ZL41rocblas_syrkx_herkx_small_restrict_kernelIlfLi16ELb0ELb0ELc67ELc85EKffEviT_T0_PT6_S1_lS4_S1_lS2_PT7_S1_li
; %bb.0:
	s_load_b64 s[2:3], s[0:1], 0x8
	v_and_b32_e32 v3, 0x3ff, v0
	v_bfe_u32 v2, v0, 10, 10
	s_delay_alu instid0(VALU_DEP_2) | instskip(NEXT) | instid1(VALU_DEP_2)
	v_lshl_add_u32 v0, s13, 4, v3
	v_lshl_add_u32 v6, s14, 4, v2
	s_delay_alu instid0(VALU_DEP_2) | instskip(NEXT) | instid1(VALU_DEP_2)
	v_ashrrev_i32_e32 v1, 31, v0
	v_ashrrev_i32_e32 v7, 31, v6
	s_waitcnt lgkmcnt(0)
	v_cmp_lt_i64_e64 s4, s[2:3], 1
	s_delay_alu instid0(VALU_DEP_1)
	s_and_b32 vcc_lo, exec_lo, s4
	s_cbranch_vccnz .LBB972_6
; %bb.1:
	s_clause 0x1
	s_load_b128 s[16:19], s[0:1], 0x38
	s_load_b256 s[4:11], s[0:1], 0x18
	v_lshlrev_b32_e32 v4, 6, v2
	v_lshlrev_b32_e32 v8, 2, v3
	;; [unrolled: 1-line block ×3, first 2 shown]
	s_delay_alu instid0(VALU_DEP_3) | instskip(NEXT) | instid1(VALU_DEP_3)
	v_add_nc_u32_e32 v9, 0x400, v4
	v_add_nc_u32_e32 v11, v8, v4
	s_waitcnt lgkmcnt(0)
	v_mul_lo_u32 v13, s17, v6
	v_mul_lo_u32 v14, s16, v7
	v_mad_u64_u32 v[2:3], null, s16, v6, 0
	v_mul_lo_u32 v15, s7, v0
	v_mul_lo_u32 v16, s6, v1
	v_mad_u64_u32 v[4:5], null, s6, v0, 0
	s_mul_i32 s12, s19, s15
	s_mul_hi_u32 s7, s18, s15
	s_delay_alu instid0(VALU_DEP_4) | instskip(SKIP_3) | instid1(VALU_DEP_2)
	v_add3_u32 v3, v3, v14, v13
	s_mul_i32 s6, s18, s15
	s_add_i32 s7, s7, s12
	s_mul_i32 s9, s9, s15
	v_add3_u32 v5, v5, v16, v15
	v_lshlrev_b64 v[2:3], 2, v[2:3]
	s_mul_hi_u32 s13, s8, s15
	s_lshl_b64 s[6:7], s[6:7], 2
	s_mul_i32 s8, s8, s15
	v_lshlrev_b64 v[4:5], 2, v[4:5]
	s_add_i32 s9, s13, s9
	v_add_co_u32 v2, vcc_lo, v2, s6
	s_lshl_b64 s[8:9], s[8:9], 2
	v_add_co_ci_u32_e32 v3, vcc_lo, s7, v3, vcc_lo
	s_delay_alu instid0(VALU_DEP_3) | instskip(SKIP_2) | instid1(VALU_DEP_4)
	v_add_co_u32 v4, vcc_lo, v4, s8
	v_add_co_ci_u32_e32 v5, vcc_lo, s9, v5, vcc_lo
	v_add_co_u32 v2, vcc_lo, v2, v8
	v_add_co_ci_u32_e32 v3, vcc_lo, 0, v3, vcc_lo
	s_delay_alu instid0(VALU_DEP_4)
	v_add_co_u32 v4, vcc_lo, v4, v10
	v_mov_b32_e32 v10, 0
	v_add_co_ci_u32_e32 v5, vcc_lo, 0, v5, vcc_lo
	v_add_co_u32 v2, vcc_lo, s10, v2
	v_add_co_ci_u32_e32 v3, vcc_lo, s11, v3, vcc_lo
	v_add_co_u32 v4, vcc_lo, s4, v4
	v_add_nc_u32_e32 v12, v9, v8
	v_add_co_ci_u32_e32 v5, vcc_lo, s5, v5, vcc_lo
	s_mov_b64 s[4:5], 0
.LBB972_2:                              ; =>This Inner Loop Header: Depth=1
	global_load_b32 v13, v[4:5], off
	global_load_b32 v14, v[2:3], off
	s_add_u32 s4, s4, 16
	v_add_co_u32 v2, vcc_lo, v2, 64
	s_addc_u32 s5, s5, 0
	v_add_co_ci_u32_e32 v3, vcc_lo, 0, v3, vcc_lo
	v_cmp_lt_i64_e64 s6, s[4:5], s[2:3]
	v_add_co_u32 v4, vcc_lo, v4, 64
	v_add_co_ci_u32_e32 v5, vcc_lo, 0, v5, vcc_lo
	s_waitcnt vmcnt(1)
	ds_store_b32 v11, v13
	s_waitcnt vmcnt(0)
	ds_store_b32 v12, v14
	s_waitcnt lgkmcnt(0)
	s_barrier
	buffer_gl0_inv
	ds_load_2addr_b32 v[21:22], v8 offset1:16
	ds_load_b128 v[13:16], v9
	ds_load_2addr_b32 v[23:24], v8 offset0:32 offset1:48
	ds_load_b128 v[17:20], v9 offset:16
	ds_load_2addr_b32 v[25:26], v8 offset0:64 offset1:80
	s_and_b32 vcc_lo, exec_lo, s6
	s_waitcnt lgkmcnt(3)
	v_fmac_f32_e32 v10, v21, v13
	s_delay_alu instid0(VALU_DEP_1) | instskip(SKIP_3) | instid1(VALU_DEP_1)
	v_fmac_f32_e32 v10, v22, v14
	ds_load_2addr_b32 v[21:22], v8 offset0:96 offset1:112
	s_waitcnt lgkmcnt(3)
	v_fmac_f32_e32 v10, v23, v15
	v_fmac_f32_e32 v10, v24, v16
	ds_load_2addr_b32 v[23:24], v8 offset0:128 offset1:144
	ds_load_b128 v[13:16], v9 offset:32
	s_waitcnt lgkmcnt(3)
	v_fmac_f32_e32 v10, v25, v17
	s_delay_alu instid0(VALU_DEP_1) | instskip(SKIP_3) | instid1(VALU_DEP_1)
	v_fmac_f32_e32 v10, v26, v18
	ds_load_2addr_b32 v[25:26], v8 offset0:160 offset1:176
	s_waitcnt lgkmcnt(3)
	v_fmac_f32_e32 v10, v21, v19
	v_fmac_f32_e32 v10, v22, v20
	ds_load_b128 v[17:20], v9 offset:48
	ds_load_2addr_b32 v[21:22], v8 offset0:192 offset1:208
	s_waitcnt lgkmcnt(3)
	v_fmac_f32_e32 v10, v23, v13
	s_delay_alu instid0(VALU_DEP_1)
	v_fmac_f32_e32 v10, v24, v14
	ds_load_2addr_b32 v[13:14], v8 offset0:224 offset1:240
	s_waitcnt lgkmcnt(0)
	s_barrier
	buffer_gl0_inv
	v_fmac_f32_e32 v10, v25, v15
	s_delay_alu instid0(VALU_DEP_1) | instskip(NEXT) | instid1(VALU_DEP_1)
	v_fmac_f32_e32 v10, v26, v16
	v_fmac_f32_e32 v10, v21, v17
	s_delay_alu instid0(VALU_DEP_1) | instskip(NEXT) | instid1(VALU_DEP_1)
	v_fmac_f32_e32 v10, v22, v18
	v_fmac_f32_e32 v10, v13, v19
	s_delay_alu instid0(VALU_DEP_1)
	v_fmac_f32_e32 v10, v14, v20
	s_cbranch_vccnz .LBB972_2
; %bb.3:
	s_mov_b32 s2, exec_lo
	v_cmpx_le_i32_e64 v0, v6
	s_cbranch_execz .LBB972_5
.LBB972_4:
	s_clause 0x1
	s_load_b128 s[4:7], s[0:1], 0x50
	s_load_b64 s[2:3], s[0:1], 0x60
	v_lshlrev_b64 v[0:1], 2, v[0:1]
	s_waitcnt lgkmcnt(0)
	v_mul_lo_u32 v4, v6, s7
	v_mul_lo_u32 v5, v7, s6
	v_mad_u64_u32 v[2:3], null, v6, s6, 0
	s_mul_i32 s3, s15, s3
	s_mul_hi_u32 s6, s15, s2
	s_mul_i32 s2, s15, s2
	s_add_i32 s3, s6, s3
	s_delay_alu instid0(SALU_CYCLE_1) | instskip(NEXT) | instid1(VALU_DEP_1)
	s_lshl_b64 s[2:3], s[2:3], 2
	v_add3_u32 v3, v3, v4, v5
	s_add_u32 s2, s4, s2
	s_addc_u32 s3, s5, s3
	s_delay_alu instid0(VALU_DEP_1) | instskip(NEXT) | instid1(VALU_DEP_1)
	v_lshlrev_b64 v[2:3], 2, v[2:3]
	v_add_co_u32 v2, vcc_lo, s2, v2
	s_delay_alu instid0(VALU_DEP_2) | instskip(NEXT) | instid1(VALU_DEP_2)
	v_add_co_ci_u32_e32 v3, vcc_lo, s3, v3, vcc_lo
	v_add_co_u32 v0, vcc_lo, v2, v0
	s_delay_alu instid0(VALU_DEP_2)
	v_add_co_ci_u32_e32 v1, vcc_lo, v3, v1, vcc_lo
	global_load_b32 v2, v[0:1], off
	s_clause 0x1
	s_load_b32 s2, s[0:1], 0x48
	s_load_b32 s0, s[0:1], 0x10
	s_waitcnt vmcnt(0) lgkmcnt(0)
	v_mul_f32_e32 v2, s2, v2
	s_delay_alu instid0(VALU_DEP_1)
	v_fmac_f32_e32 v2, s0, v10
	global_store_b32 v[0:1], v2, off
.LBB972_5:
	s_nop 0
	s_sendmsg sendmsg(MSG_DEALLOC_VGPRS)
	s_endpgm
.LBB972_6:
	v_mov_b32_e32 v10, 0
	s_mov_b32 s2, exec_lo
	v_cmpx_le_i32_e64 v0, v6
	s_cbranch_execnz .LBB972_4
	s_branch .LBB972_5
	.section	.rodata,"a",@progbits
	.p2align	6, 0x0
	.amdhsa_kernel _ZL41rocblas_syrkx_herkx_small_restrict_kernelIlfLi16ELb0ELb0ELc67ELc85EKffEviT_T0_PT6_S1_lS4_S1_lS2_PT7_S1_li
		.amdhsa_group_segment_fixed_size 2048
		.amdhsa_private_segment_fixed_size 0
		.amdhsa_kernarg_size 108
		.amdhsa_user_sgpr_count 13
		.amdhsa_user_sgpr_dispatch_ptr 0
		.amdhsa_user_sgpr_queue_ptr 0
		.amdhsa_user_sgpr_kernarg_segment_ptr 1
		.amdhsa_user_sgpr_dispatch_id 0
		.amdhsa_user_sgpr_private_segment_size 0
		.amdhsa_wavefront_size32 1
		.amdhsa_uses_dynamic_stack 0
		.amdhsa_enable_private_segment 0
		.amdhsa_system_sgpr_workgroup_id_x 1
		.amdhsa_system_sgpr_workgroup_id_y 1
		.amdhsa_system_sgpr_workgroup_id_z 1
		.amdhsa_system_sgpr_workgroup_info 0
		.amdhsa_system_vgpr_workitem_id 1
		.amdhsa_next_free_vgpr 27
		.amdhsa_next_free_sgpr 20
		.amdhsa_reserve_vcc 1
		.amdhsa_float_round_mode_32 0
		.amdhsa_float_round_mode_16_64 0
		.amdhsa_float_denorm_mode_32 3
		.amdhsa_float_denorm_mode_16_64 3
		.amdhsa_dx10_clamp 1
		.amdhsa_ieee_mode 1
		.amdhsa_fp16_overflow 0
		.amdhsa_workgroup_processor_mode 1
		.amdhsa_memory_ordered 1
		.amdhsa_forward_progress 0
		.amdhsa_shared_vgpr_count 0
		.amdhsa_exception_fp_ieee_invalid_op 0
		.amdhsa_exception_fp_denorm_src 0
		.amdhsa_exception_fp_ieee_div_zero 0
		.amdhsa_exception_fp_ieee_overflow 0
		.amdhsa_exception_fp_ieee_underflow 0
		.amdhsa_exception_fp_ieee_inexact 0
		.amdhsa_exception_int_div_zero 0
	.end_amdhsa_kernel
	.section	.text._ZL41rocblas_syrkx_herkx_small_restrict_kernelIlfLi16ELb0ELb0ELc67ELc85EKffEviT_T0_PT6_S1_lS4_S1_lS2_PT7_S1_li,"axG",@progbits,_ZL41rocblas_syrkx_herkx_small_restrict_kernelIlfLi16ELb0ELb0ELc67ELc85EKffEviT_T0_PT6_S1_lS4_S1_lS2_PT7_S1_li,comdat
.Lfunc_end972:
	.size	_ZL41rocblas_syrkx_herkx_small_restrict_kernelIlfLi16ELb0ELb0ELc67ELc85EKffEviT_T0_PT6_S1_lS4_S1_lS2_PT7_S1_li, .Lfunc_end972-_ZL41rocblas_syrkx_herkx_small_restrict_kernelIlfLi16ELb0ELb0ELc67ELc85EKffEviT_T0_PT6_S1_lS4_S1_lS2_PT7_S1_li
                                        ; -- End function
	.section	.AMDGPU.csdata,"",@progbits
; Kernel info:
; codeLenInByte = 916
; NumSgprs: 22
; NumVgprs: 27
; ScratchSize: 0
; MemoryBound: 0
; FloatMode: 240
; IeeeMode: 1
; LDSByteSize: 2048 bytes/workgroup (compile time only)
; SGPRBlocks: 2
; VGPRBlocks: 3
; NumSGPRsForWavesPerEU: 22
; NumVGPRsForWavesPerEU: 27
; Occupancy: 16
; WaveLimiterHint : 0
; COMPUTE_PGM_RSRC2:SCRATCH_EN: 0
; COMPUTE_PGM_RSRC2:USER_SGPR: 13
; COMPUTE_PGM_RSRC2:TRAP_HANDLER: 0
; COMPUTE_PGM_RSRC2:TGID_X_EN: 1
; COMPUTE_PGM_RSRC2:TGID_Y_EN: 1
; COMPUTE_PGM_RSRC2:TGID_Z_EN: 1
; COMPUTE_PGM_RSRC2:TIDIG_COMP_CNT: 1
	.section	.text._ZL41rocblas_syrkx_herkx_small_restrict_kernelIlfLi16ELb0ELb0ELc78ELc85EKffEviT_T0_PT6_S1_lS4_S1_lS2_PT7_S1_li,"axG",@progbits,_ZL41rocblas_syrkx_herkx_small_restrict_kernelIlfLi16ELb0ELb0ELc78ELc85EKffEviT_T0_PT6_S1_lS4_S1_lS2_PT7_S1_li,comdat
	.globl	_ZL41rocblas_syrkx_herkx_small_restrict_kernelIlfLi16ELb0ELb0ELc78ELc85EKffEviT_T0_PT6_S1_lS4_S1_lS2_PT7_S1_li ; -- Begin function _ZL41rocblas_syrkx_herkx_small_restrict_kernelIlfLi16ELb0ELb0ELc78ELc85EKffEviT_T0_PT6_S1_lS4_S1_lS2_PT7_S1_li
	.p2align	8
	.type	_ZL41rocblas_syrkx_herkx_small_restrict_kernelIlfLi16ELb0ELb0ELc78ELc85EKffEviT_T0_PT6_S1_lS4_S1_lS2_PT7_S1_li,@function
_ZL41rocblas_syrkx_herkx_small_restrict_kernelIlfLi16ELb0ELb0ELc78ELc85EKffEviT_T0_PT6_S1_lS4_S1_lS2_PT7_S1_li: ; @_ZL41rocblas_syrkx_herkx_small_restrict_kernelIlfLi16ELb0ELb0ELc78ELc85EKffEviT_T0_PT6_S1_lS4_S1_lS2_PT7_S1_li
; %bb.0:
	s_load_b64 s[2:3], s[0:1], 0x8
	v_and_b32_e32 v5, 0x3ff, v0
	v_bfe_u32 v4, v0, 10, 10
	s_delay_alu instid0(VALU_DEP_2) | instskip(NEXT) | instid1(VALU_DEP_2)
	v_lshl_add_u32 v0, s13, 4, v5
	v_lshl_add_u32 v2, s14, 4, v4
	s_delay_alu instid0(VALU_DEP_2) | instskip(NEXT) | instid1(VALU_DEP_2)
	v_ashrrev_i32_e32 v1, 31, v0
	v_ashrrev_i32_e32 v3, 31, v2
	s_waitcnt lgkmcnt(0)
	v_cmp_lt_i64_e64 s4, s[2:3], 1
	s_delay_alu instid0(VALU_DEP_1)
	s_and_b32 vcc_lo, exec_lo, s4
	s_cbranch_vccnz .LBB973_6
; %bb.1:
	s_clause 0x1
	s_load_b128 s[16:19], s[0:1], 0x38
	s_load_b256 s[4:11], s[0:1], 0x18
	v_lshlrev_b32_e32 v8, 6, v4
	v_lshlrev_b64 v[15:16], 2, v[2:3]
	v_lshlrev_b64 v[17:18], 2, v[0:1]
	s_delay_alu instid0(VALU_DEP_3)
	v_add_nc_u32_e32 v10, 0x400, v8
	s_waitcnt lgkmcnt(0)
	v_mad_u64_u32 v[6:7], null, s16, v5, 0
	v_mad_u64_u32 v[13:14], null, s6, v4, 0
	v_lshlrev_b32_e32 v9, 2, v5
	s_mul_i32 s13, s19, s15
	s_mul_hi_u32 s14, s18, s15
	s_mul_i32 s12, s18, s15
	s_add_i32 s13, s14, s13
	s_delay_alu instid0(VALU_DEP_2)
	v_dual_mov_b32 v8, v14 :: v_dual_add_nc_u32 v11, v9, v8
	s_mul_i32 s9, s9, s15
	s_mul_hi_u32 s18, s8, s15
	s_lshl_b64 s[12:13], s[12:13], 2
	s_mul_i32 s8, s8, s15
	v_mad_u64_u32 v[19:20], null, s17, v5, v[7:8]
	v_mad_u64_u32 v[20:21], null, s7, v4, v[8:9]
	s_add_i32 s9, s18, s9
	v_add_nc_u32_e32 v12, v10, v9
	s_lshl_b64 s[8:9], s[8:9], 2
	s_delay_alu instid0(VALU_DEP_3) | instskip(SKIP_1) | instid1(VALU_DEP_3)
	v_dual_mov_b32 v8, 0 :: v_dual_mov_b32 v7, v19
	s_lshl_b64 s[6:7], s[6:7], 6
	v_mov_b32_e32 v14, v20
	s_delay_alu instid0(VALU_DEP_2) | instskip(NEXT) | instid1(VALU_DEP_2)
	v_lshlrev_b64 v[4:5], 2, v[6:7]
	v_lshlrev_b64 v[6:7], 2, v[13:14]
	s_delay_alu instid0(VALU_DEP_2) | instskip(NEXT) | instid1(VALU_DEP_3)
	v_add_co_u32 v4, vcc_lo, s12, v4
	v_add_co_ci_u32_e32 v5, vcc_lo, s13, v5, vcc_lo
	s_delay_alu instid0(VALU_DEP_3) | instskip(NEXT) | instid1(VALU_DEP_4)
	v_add_co_u32 v6, vcc_lo, s8, v6
	v_add_co_ci_u32_e32 v7, vcc_lo, s9, v7, vcc_lo
	s_delay_alu instid0(VALU_DEP_4) | instskip(NEXT) | instid1(VALU_DEP_4)
	v_add_co_u32 v4, vcc_lo, v4, v15
	v_add_co_ci_u32_e32 v5, vcc_lo, v5, v16, vcc_lo
	s_delay_alu instid0(VALU_DEP_4) | instskip(NEXT) | instid1(VALU_DEP_4)
	;; [unrolled: 3-line block ×4, first 2 shown]
	v_add_co_u32 v6, vcc_lo, s4, v6
	v_add_co_ci_u32_e32 v7, vcc_lo, s5, v7, vcc_lo
	s_lshl_b64 s[4:5], s[16:17], 6
	s_mov_b64 s[8:9], 0
.LBB973_2:                              ; =>This Inner Loop Header: Depth=1
	global_load_b32 v13, v[6:7], off
	global_load_b32 v14, v[4:5], off
	s_add_u32 s8, s8, 16
	v_add_co_u32 v4, vcc_lo, v4, s4
	s_addc_u32 s9, s9, 0
	v_add_co_ci_u32_e32 v5, vcc_lo, s5, v5, vcc_lo
	v_cmp_lt_i64_e64 s10, s[8:9], s[2:3]
	v_add_co_u32 v6, vcc_lo, v6, s6
	v_add_co_ci_u32_e32 v7, vcc_lo, s7, v7, vcc_lo
	s_waitcnt vmcnt(1)
	ds_store_b32 v11, v13
	s_waitcnt vmcnt(0)
	ds_store_b32 v12, v14
	s_waitcnt lgkmcnt(0)
	s_barrier
	buffer_gl0_inv
	ds_load_2addr_b32 v[21:22], v9 offset1:16
	ds_load_b128 v[13:16], v10
	ds_load_2addr_b32 v[23:24], v9 offset0:32 offset1:48
	ds_load_b128 v[17:20], v10 offset:16
	ds_load_2addr_b32 v[25:26], v9 offset0:64 offset1:80
	s_and_b32 vcc_lo, exec_lo, s10
	s_waitcnt lgkmcnt(3)
	v_fmac_f32_e32 v8, v21, v13
	s_delay_alu instid0(VALU_DEP_1) | instskip(SKIP_3) | instid1(VALU_DEP_1)
	v_fmac_f32_e32 v8, v22, v14
	ds_load_2addr_b32 v[21:22], v9 offset0:96 offset1:112
	s_waitcnt lgkmcnt(3)
	v_fmac_f32_e32 v8, v23, v15
	v_fmac_f32_e32 v8, v24, v16
	ds_load_2addr_b32 v[23:24], v9 offset0:128 offset1:144
	ds_load_b128 v[13:16], v10 offset:32
	s_waitcnt lgkmcnt(3)
	v_fmac_f32_e32 v8, v25, v17
	s_delay_alu instid0(VALU_DEP_1) | instskip(SKIP_3) | instid1(VALU_DEP_1)
	v_fmac_f32_e32 v8, v26, v18
	ds_load_2addr_b32 v[25:26], v9 offset0:160 offset1:176
	s_waitcnt lgkmcnt(3)
	v_fmac_f32_e32 v8, v21, v19
	v_fmac_f32_e32 v8, v22, v20
	ds_load_b128 v[17:20], v10 offset:48
	ds_load_2addr_b32 v[21:22], v9 offset0:192 offset1:208
	s_waitcnt lgkmcnt(3)
	v_fmac_f32_e32 v8, v23, v13
	s_delay_alu instid0(VALU_DEP_1)
	v_fmac_f32_e32 v8, v24, v14
	ds_load_2addr_b32 v[13:14], v9 offset0:224 offset1:240
	s_waitcnt lgkmcnt(0)
	s_barrier
	buffer_gl0_inv
	v_fmac_f32_e32 v8, v25, v15
	s_delay_alu instid0(VALU_DEP_1) | instskip(NEXT) | instid1(VALU_DEP_1)
	v_fmac_f32_e32 v8, v26, v16
	v_fmac_f32_e32 v8, v21, v17
	s_delay_alu instid0(VALU_DEP_1) | instskip(NEXT) | instid1(VALU_DEP_1)
	v_fmac_f32_e32 v8, v22, v18
	v_fmac_f32_e32 v8, v13, v19
	s_delay_alu instid0(VALU_DEP_1)
	v_fmac_f32_e32 v8, v14, v20
	s_cbranch_vccnz .LBB973_2
; %bb.3:
	s_mov_b32 s2, exec_lo
	v_cmpx_le_i32_e64 v0, v2
	s_cbranch_execz .LBB973_5
.LBB973_4:
	s_clause 0x1
	s_load_b128 s[4:7], s[0:1], 0x50
	s_load_b64 s[2:3], s[0:1], 0x60
	v_lshlrev_b64 v[0:1], 2, v[0:1]
	s_waitcnt lgkmcnt(0)
	v_mul_lo_u32 v5, v2, s7
	v_mul_lo_u32 v6, v3, s6
	v_mad_u64_u32 v[3:4], null, v2, s6, 0
	s_mul_i32 s3, s15, s3
	s_mul_hi_u32 s6, s15, s2
	s_mul_i32 s2, s15, s2
	s_add_i32 s3, s6, s3
	s_delay_alu instid0(SALU_CYCLE_1) | instskip(NEXT) | instid1(VALU_DEP_1)
	s_lshl_b64 s[2:3], s[2:3], 2
	v_add3_u32 v4, v4, v5, v6
	s_add_u32 s2, s4, s2
	s_addc_u32 s3, s5, s3
	s_delay_alu instid0(VALU_DEP_1) | instskip(NEXT) | instid1(VALU_DEP_1)
	v_lshlrev_b64 v[2:3], 2, v[3:4]
	v_add_co_u32 v2, vcc_lo, s2, v2
	s_delay_alu instid0(VALU_DEP_2) | instskip(NEXT) | instid1(VALU_DEP_2)
	v_add_co_ci_u32_e32 v3, vcc_lo, s3, v3, vcc_lo
	v_add_co_u32 v0, vcc_lo, v2, v0
	s_delay_alu instid0(VALU_DEP_2)
	v_add_co_ci_u32_e32 v1, vcc_lo, v3, v1, vcc_lo
	global_load_b32 v2, v[0:1], off
	s_clause 0x1
	s_load_b32 s2, s[0:1], 0x48
	s_load_b32 s0, s[0:1], 0x10
	s_waitcnt vmcnt(0) lgkmcnt(0)
	v_mul_f32_e32 v2, s2, v2
	s_delay_alu instid0(VALU_DEP_1)
	v_fmac_f32_e32 v2, s0, v8
	global_store_b32 v[0:1], v2, off
.LBB973_5:
	s_nop 0
	s_sendmsg sendmsg(MSG_DEALLOC_VGPRS)
	s_endpgm
.LBB973_6:
	v_mov_b32_e32 v8, 0
	s_mov_b32 s2, exec_lo
	v_cmpx_le_i32_e64 v0, v2
	s_cbranch_execnz .LBB973_4
	s_branch .LBB973_5
	.section	.rodata,"a",@progbits
	.p2align	6, 0x0
	.amdhsa_kernel _ZL41rocblas_syrkx_herkx_small_restrict_kernelIlfLi16ELb0ELb0ELc78ELc85EKffEviT_T0_PT6_S1_lS4_S1_lS2_PT7_S1_li
		.amdhsa_group_segment_fixed_size 2048
		.amdhsa_private_segment_fixed_size 0
		.amdhsa_kernarg_size 108
		.amdhsa_user_sgpr_count 13
		.amdhsa_user_sgpr_dispatch_ptr 0
		.amdhsa_user_sgpr_queue_ptr 0
		.amdhsa_user_sgpr_kernarg_segment_ptr 1
		.amdhsa_user_sgpr_dispatch_id 0
		.amdhsa_user_sgpr_private_segment_size 0
		.amdhsa_wavefront_size32 1
		.amdhsa_uses_dynamic_stack 0
		.amdhsa_enable_private_segment 0
		.amdhsa_system_sgpr_workgroup_id_x 1
		.amdhsa_system_sgpr_workgroup_id_y 1
		.amdhsa_system_sgpr_workgroup_id_z 1
		.amdhsa_system_sgpr_workgroup_info 0
		.amdhsa_system_vgpr_workitem_id 1
		.amdhsa_next_free_vgpr 27
		.amdhsa_next_free_sgpr 20
		.amdhsa_reserve_vcc 1
		.amdhsa_float_round_mode_32 0
		.amdhsa_float_round_mode_16_64 0
		.amdhsa_float_denorm_mode_32 3
		.amdhsa_float_denorm_mode_16_64 3
		.amdhsa_dx10_clamp 1
		.amdhsa_ieee_mode 1
		.amdhsa_fp16_overflow 0
		.amdhsa_workgroup_processor_mode 1
		.amdhsa_memory_ordered 1
		.amdhsa_forward_progress 0
		.amdhsa_shared_vgpr_count 0
		.amdhsa_exception_fp_ieee_invalid_op 0
		.amdhsa_exception_fp_denorm_src 0
		.amdhsa_exception_fp_ieee_div_zero 0
		.amdhsa_exception_fp_ieee_overflow 0
		.amdhsa_exception_fp_ieee_underflow 0
		.amdhsa_exception_fp_ieee_inexact 0
		.amdhsa_exception_int_div_zero 0
	.end_amdhsa_kernel
	.section	.text._ZL41rocblas_syrkx_herkx_small_restrict_kernelIlfLi16ELb0ELb0ELc78ELc85EKffEviT_T0_PT6_S1_lS4_S1_lS2_PT7_S1_li,"axG",@progbits,_ZL41rocblas_syrkx_herkx_small_restrict_kernelIlfLi16ELb0ELb0ELc78ELc85EKffEviT_T0_PT6_S1_lS4_S1_lS2_PT7_S1_li,comdat
.Lfunc_end973:
	.size	_ZL41rocblas_syrkx_herkx_small_restrict_kernelIlfLi16ELb0ELb0ELc78ELc85EKffEviT_T0_PT6_S1_lS4_S1_lS2_PT7_S1_li, .Lfunc_end973-_ZL41rocblas_syrkx_herkx_small_restrict_kernelIlfLi16ELb0ELb0ELc78ELc85EKffEviT_T0_PT6_S1_lS4_S1_lS2_PT7_S1_li
                                        ; -- End function
	.section	.AMDGPU.csdata,"",@progbits
; Kernel info:
; codeLenInByte = 940
; NumSgprs: 22
; NumVgprs: 27
; ScratchSize: 0
; MemoryBound: 0
; FloatMode: 240
; IeeeMode: 1
; LDSByteSize: 2048 bytes/workgroup (compile time only)
; SGPRBlocks: 2
; VGPRBlocks: 3
; NumSGPRsForWavesPerEU: 22
; NumVGPRsForWavesPerEU: 27
; Occupancy: 16
; WaveLimiterHint : 0
; COMPUTE_PGM_RSRC2:SCRATCH_EN: 0
; COMPUTE_PGM_RSRC2:USER_SGPR: 13
; COMPUTE_PGM_RSRC2:TRAP_HANDLER: 0
; COMPUTE_PGM_RSRC2:TGID_X_EN: 1
; COMPUTE_PGM_RSRC2:TGID_Y_EN: 1
; COMPUTE_PGM_RSRC2:TGID_Z_EN: 1
; COMPUTE_PGM_RSRC2:TIDIG_COMP_CNT: 1
	.section	.text._ZL32rocblas_syrkx_herkx_small_kernelIlfLi16ELb1ELb0ELc84ELc76EKffEviT_T0_PT6_S1_lS4_S1_lS2_PT7_S1_li,"axG",@progbits,_ZL32rocblas_syrkx_herkx_small_kernelIlfLi16ELb1ELb0ELc84ELc76EKffEviT_T0_PT6_S1_lS4_S1_lS2_PT7_S1_li,comdat
	.globl	_ZL32rocblas_syrkx_herkx_small_kernelIlfLi16ELb1ELb0ELc84ELc76EKffEviT_T0_PT6_S1_lS4_S1_lS2_PT7_S1_li ; -- Begin function _ZL32rocblas_syrkx_herkx_small_kernelIlfLi16ELb1ELb0ELc84ELc76EKffEviT_T0_PT6_S1_lS4_S1_lS2_PT7_S1_li
	.p2align	8
	.type	_ZL32rocblas_syrkx_herkx_small_kernelIlfLi16ELb1ELb0ELc84ELc76EKffEviT_T0_PT6_S1_lS4_S1_lS2_PT7_S1_li,@function
_ZL32rocblas_syrkx_herkx_small_kernelIlfLi16ELb1ELb0ELc84ELc76EKffEviT_T0_PT6_S1_lS4_S1_lS2_PT7_S1_li: ; @_ZL32rocblas_syrkx_herkx_small_kernelIlfLi16ELb1ELb0ELc84ELc76EKffEviT_T0_PT6_S1_lS4_S1_lS2_PT7_S1_li
; %bb.0:
	s_clause 0x1
	s_load_b64 s[20:21], s[0:1], 0x8
	s_load_b32 s12, s[0:1], 0x0
	v_and_b32_e32 v9, 0x3ff, v0
	v_bfe_u32 v10, v0, 10, 10
	s_delay_alu instid0(VALU_DEP_2) | instskip(NEXT) | instid1(VALU_DEP_2)
	v_lshl_add_u32 v0, s13, 4, v9
	v_lshl_add_u32 v6, s14, 4, v10
	s_delay_alu instid0(VALU_DEP_2) | instskip(NEXT) | instid1(VALU_DEP_2)
	v_ashrrev_i32_e32 v1, 31, v0
	v_ashrrev_i32_e32 v8, 31, v6
	s_waitcnt lgkmcnt(0)
	v_cmp_lt_i64_e64 s3, s[20:21], 1
	v_cmp_gt_i32_e64 s2, s12, v0
	s_delay_alu instid0(VALU_DEP_2)
	s_and_b32 vcc_lo, exec_lo, s3
	s_cbranch_vccnz .LBB974_7
; %bb.1:
	s_clause 0x1
	s_load_b128 s[16:19], s[0:1], 0x38
	s_load_b256 s[4:11], s[0:1], 0x18
	v_dual_mov_b32 v7, 0 :: v_dual_lshlrev_b32 v2, 6, v10
	v_lshlrev_b32_e32 v11, 2, v9
	v_lshlrev_b32_e32 v15, 2, v10
	v_cmp_gt_i32_e64 s3, s12, v6
	s_delay_alu instid0(VALU_DEP_4) | instskip(NEXT) | instid1(VALU_DEP_4)
	v_add_nc_u32_e32 v12, 0x400, v2
	v_add_nc_u32_e32 v13, v11, v2
	s_delay_alu instid0(VALU_DEP_2)
	v_add_nc_u32_e32 v14, v12, v11
	s_waitcnt lgkmcnt(0)
	v_mul_lo_u32 v16, s17, v6
	v_mul_lo_u32 v17, s16, v8
	v_mad_u64_u32 v[2:3], null, s16, v6, 0
	v_mul_lo_u32 v18, s7, v0
	v_mul_lo_u32 v19, s6, v1
	v_mad_u64_u32 v[4:5], null, s6, v0, 0
	s_mul_i32 s13, s19, s15
	s_mul_hi_u32 s7, s18, s15
	s_delay_alu instid0(VALU_DEP_4) | instskip(SKIP_3) | instid1(VALU_DEP_2)
	v_add3_u32 v3, v3, v17, v16
	s_mul_i32 s6, s18, s15
	s_add_i32 s7, s7, s13
	s_mul_i32 s9, s9, s15
	v_add3_u32 v5, v5, v19, v18
	v_lshlrev_b64 v[2:3], 2, v[2:3]
	s_mul_hi_u32 s14, s8, s15
	s_lshl_b64 s[6:7], s[6:7], 2
	s_mul_i32 s8, s8, s15
	v_lshlrev_b64 v[4:5], 2, v[4:5]
	s_add_i32 s9, s14, s9
	v_add_co_u32 v2, vcc_lo, v2, s6
	s_lshl_b64 s[8:9], s[8:9], 2
	v_add_co_ci_u32_e32 v3, vcc_lo, s7, v3, vcc_lo
	s_delay_alu instid0(VALU_DEP_3) | instskip(SKIP_2) | instid1(VALU_DEP_4)
	v_add_co_u32 v4, vcc_lo, v4, s8
	v_add_co_ci_u32_e32 v5, vcc_lo, s9, v5, vcc_lo
	v_add_co_u32 v2, vcc_lo, v2, v11
	v_add_co_ci_u32_e32 v3, vcc_lo, 0, v3, vcc_lo
	s_delay_alu instid0(VALU_DEP_4) | instskip(NEXT) | instid1(VALU_DEP_4)
	v_add_co_u32 v4, vcc_lo, v4, v15
	v_add_co_ci_u32_e32 v5, vcc_lo, 0, v5, vcc_lo
	s_delay_alu instid0(VALU_DEP_4) | instskip(NEXT) | instid1(VALU_DEP_4)
	;; [unrolled: 3-line block ×3, first 2 shown]
	v_add_co_u32 v4, vcc_lo, s4, v4
	v_add_co_ci_u32_e32 v5, vcc_lo, s5, v5, vcc_lo
	s_mov_b64 s[4:5], 0
	s_branch .LBB974_3
.LBB974_2:                              ;   in Loop: Header=BB974_3 Depth=1
	s_or_b32 exec_lo, exec_lo, s6
	s_waitcnt vmcnt(0)
	ds_store_b32 v14, v16
	s_waitcnt lgkmcnt(0)
	s_barrier
	buffer_gl0_inv
	ds_load_2addr_b32 v[23:24], v11 offset1:16
	ds_load_b128 v[15:18], v12
	ds_load_2addr_b32 v[25:26], v11 offset0:32 offset1:48
	ds_load_b128 v[19:22], v12 offset:16
	ds_load_2addr_b32 v[27:28], v11 offset0:64 offset1:80
	s_add_u32 s4, s4, 16
	s_addc_u32 s5, s5, 0
	v_add_co_u32 v2, vcc_lo, v2, 64
	v_add_co_ci_u32_e32 v3, vcc_lo, 0, v3, vcc_lo
	v_cmp_ge_i64_e64 s6, s[4:5], s[20:21]
	v_add_co_u32 v4, vcc_lo, v4, 64
	v_add_co_ci_u32_e32 v5, vcc_lo, 0, v5, vcc_lo
	s_delay_alu instid0(VALU_DEP_3) | instskip(SKIP_2) | instid1(VALU_DEP_1)
	s_and_b32 vcc_lo, exec_lo, s6
	s_waitcnt lgkmcnt(3)
	v_fmac_f32_e32 v7, v23, v15
	v_fmac_f32_e32 v7, v24, v16
	ds_load_2addr_b32 v[23:24], v11 offset0:96 offset1:112
	s_waitcnt lgkmcnt(3)
	v_fmac_f32_e32 v7, v25, v17
	s_delay_alu instid0(VALU_DEP_1) | instskip(SKIP_4) | instid1(VALU_DEP_1)
	v_fmac_f32_e32 v7, v26, v18
	ds_load_2addr_b32 v[25:26], v11 offset0:128 offset1:144
	ds_load_b128 v[15:18], v12 offset:32
	s_waitcnt lgkmcnt(3)
	v_fmac_f32_e32 v7, v27, v19
	v_fmac_f32_e32 v7, v28, v20
	ds_load_2addr_b32 v[27:28], v11 offset0:160 offset1:176
	s_waitcnt lgkmcnt(3)
	v_fmac_f32_e32 v7, v23, v21
	s_delay_alu instid0(VALU_DEP_1) | instskip(SKIP_4) | instid1(VALU_DEP_1)
	v_fmac_f32_e32 v7, v24, v22
	ds_load_b128 v[19:22], v12 offset:48
	ds_load_2addr_b32 v[23:24], v11 offset0:192 offset1:208
	s_waitcnt lgkmcnt(3)
	v_fmac_f32_e32 v7, v25, v15
	v_fmac_f32_e32 v7, v26, v16
	ds_load_2addr_b32 v[15:16], v11 offset0:224 offset1:240
	s_waitcnt lgkmcnt(0)
	s_barrier
	buffer_gl0_inv
	v_fmac_f32_e32 v7, v27, v17
	s_delay_alu instid0(VALU_DEP_1) | instskip(NEXT) | instid1(VALU_DEP_1)
	v_fmac_f32_e32 v7, v28, v18
	v_fmac_f32_e32 v7, v23, v19
	s_delay_alu instid0(VALU_DEP_1) | instskip(NEXT) | instid1(VALU_DEP_1)
	v_fmac_f32_e32 v7, v24, v20
	v_fmac_f32_e32 v7, v15, v21
	s_delay_alu instid0(VALU_DEP_1)
	v_fmac_f32_e32 v7, v16, v22
	s_cbranch_vccnz .LBB974_8
.LBB974_3:                              ; =>This Inner Loop Header: Depth=1
	v_add_co_u32 v15, s6, v10, s4
	s_delay_alu instid0(VALU_DEP_1) | instskip(NEXT) | instid1(VALU_DEP_1)
	v_add_co_ci_u32_e64 v16, null, 0, s5, s6
	v_cmp_gt_i64_e32 vcc_lo, s[20:21], v[15:16]
	v_mov_b32_e32 v15, 0
	s_and_b32 s7, s2, vcc_lo
	s_delay_alu instid0(SALU_CYCLE_1)
	s_and_saveexec_b32 s6, s7
	s_cbranch_execz .LBB974_5
; %bb.4:                                ;   in Loop: Header=BB974_3 Depth=1
	global_load_b32 v15, v[4:5], off
.LBB974_5:                              ;   in Loop: Header=BB974_3 Depth=1
	s_or_b32 exec_lo, exec_lo, s6
	v_add_co_u32 v16, s6, v9, s4
	s_delay_alu instid0(VALU_DEP_1)
	v_add_co_ci_u32_e64 v17, null, 0, s5, s6
	s_waitcnt vmcnt(0)
	ds_store_b32 v13, v15
	v_cmp_gt_i64_e32 vcc_lo, s[20:21], v[16:17]
	v_mov_b32_e32 v16, 0
	s_and_b32 s7, s3, vcc_lo
	s_delay_alu instid0(SALU_CYCLE_1)
	s_and_saveexec_b32 s6, s7
	s_cbranch_execz .LBB974_2
; %bb.6:                                ;   in Loop: Header=BB974_3 Depth=1
	global_load_b32 v16, v[2:3], off
	s_branch .LBB974_2
.LBB974_7:
	v_mov_b32_e32 v7, 0
.LBB974_8:
	v_cmp_le_i32_e32 vcc_lo, v6, v0
	v_cmp_gt_i32_e64 s2, s12, v0
	s_delay_alu instid0(VALU_DEP_1) | instskip(NEXT) | instid1(SALU_CYCLE_1)
	s_and_b32 s2, vcc_lo, s2
	s_and_saveexec_b32 s3, s2
	s_cbranch_execz .LBB974_10
; %bb.9:
	s_clause 0x1
	s_load_b128 s[4:7], s[0:1], 0x50
	s_load_b64 s[2:3], s[0:1], 0x60
	v_lshlrev_b64 v[0:1], 2, v[0:1]
	s_waitcnt lgkmcnt(0)
	v_mul_lo_u32 v4, v6, s7
	v_mul_lo_u32 v5, v8, s6
	v_mad_u64_u32 v[2:3], null, v6, s6, 0
	s_load_b32 s6, s[0:1], 0x10
	s_mul_i32 s1, s15, s3
	s_mul_hi_u32 s3, s15, s2
	s_mul_i32 s0, s15, s2
	s_add_i32 s1, s3, s1
	s_delay_alu instid0(VALU_DEP_1) | instskip(SKIP_1) | instid1(SALU_CYCLE_1)
	v_add3_u32 v3, v3, v4, v5
	s_lshl_b64 s[0:1], s[0:1], 2
	s_add_u32 s0, s4, s0
	s_addc_u32 s1, s5, s1
	s_delay_alu instid0(VALU_DEP_1) | instskip(NEXT) | instid1(VALU_DEP_1)
	v_lshlrev_b64 v[2:3], 2, v[2:3]
	v_add_co_u32 v2, vcc_lo, s0, v2
	s_delay_alu instid0(VALU_DEP_2) | instskip(SKIP_2) | instid1(VALU_DEP_3)
	v_add_co_ci_u32_e32 v3, vcc_lo, s1, v3, vcc_lo
	s_waitcnt lgkmcnt(0)
	v_mul_f32_e32 v4, s6, v7
	v_add_co_u32 v0, vcc_lo, v2, v0
	s_delay_alu instid0(VALU_DEP_3)
	v_add_co_ci_u32_e32 v1, vcc_lo, v3, v1, vcc_lo
	global_store_b32 v[0:1], v4, off
.LBB974_10:
	s_nop 0
	s_sendmsg sendmsg(MSG_DEALLOC_VGPRS)
	s_endpgm
	.section	.rodata,"a",@progbits
	.p2align	6, 0x0
	.amdhsa_kernel _ZL32rocblas_syrkx_herkx_small_kernelIlfLi16ELb1ELb0ELc84ELc76EKffEviT_T0_PT6_S1_lS4_S1_lS2_PT7_S1_li
		.amdhsa_group_segment_fixed_size 2048
		.amdhsa_private_segment_fixed_size 0
		.amdhsa_kernarg_size 108
		.amdhsa_user_sgpr_count 13
		.amdhsa_user_sgpr_dispatch_ptr 0
		.amdhsa_user_sgpr_queue_ptr 0
		.amdhsa_user_sgpr_kernarg_segment_ptr 1
		.amdhsa_user_sgpr_dispatch_id 0
		.amdhsa_user_sgpr_private_segment_size 0
		.amdhsa_wavefront_size32 1
		.amdhsa_uses_dynamic_stack 0
		.amdhsa_enable_private_segment 0
		.amdhsa_system_sgpr_workgroup_id_x 1
		.amdhsa_system_sgpr_workgroup_id_y 1
		.amdhsa_system_sgpr_workgroup_id_z 1
		.amdhsa_system_sgpr_workgroup_info 0
		.amdhsa_system_vgpr_workitem_id 1
		.amdhsa_next_free_vgpr 29
		.amdhsa_next_free_sgpr 22
		.amdhsa_reserve_vcc 1
		.amdhsa_float_round_mode_32 0
		.amdhsa_float_round_mode_16_64 0
		.amdhsa_float_denorm_mode_32 3
		.amdhsa_float_denorm_mode_16_64 3
		.amdhsa_dx10_clamp 1
		.amdhsa_ieee_mode 1
		.amdhsa_fp16_overflow 0
		.amdhsa_workgroup_processor_mode 1
		.amdhsa_memory_ordered 1
		.amdhsa_forward_progress 0
		.amdhsa_shared_vgpr_count 0
		.amdhsa_exception_fp_ieee_invalid_op 0
		.amdhsa_exception_fp_denorm_src 0
		.amdhsa_exception_fp_ieee_div_zero 0
		.amdhsa_exception_fp_ieee_overflow 0
		.amdhsa_exception_fp_ieee_underflow 0
		.amdhsa_exception_fp_ieee_inexact 0
		.amdhsa_exception_int_div_zero 0
	.end_amdhsa_kernel
	.section	.text._ZL32rocblas_syrkx_herkx_small_kernelIlfLi16ELb1ELb0ELc84ELc76EKffEviT_T0_PT6_S1_lS4_S1_lS2_PT7_S1_li,"axG",@progbits,_ZL32rocblas_syrkx_herkx_small_kernelIlfLi16ELb1ELb0ELc84ELc76EKffEviT_T0_PT6_S1_lS4_S1_lS2_PT7_S1_li,comdat
.Lfunc_end974:
	.size	_ZL32rocblas_syrkx_herkx_small_kernelIlfLi16ELb1ELb0ELc84ELc76EKffEviT_T0_PT6_S1_lS4_S1_lS2_PT7_S1_li, .Lfunc_end974-_ZL32rocblas_syrkx_herkx_small_kernelIlfLi16ELb1ELb0ELc84ELc76EKffEviT_T0_PT6_S1_lS4_S1_lS2_PT7_S1_li
                                        ; -- End function
	.section	.AMDGPU.csdata,"",@progbits
; Kernel info:
; codeLenInByte = 1024
; NumSgprs: 24
; NumVgprs: 29
; ScratchSize: 0
; MemoryBound: 0
; FloatMode: 240
; IeeeMode: 1
; LDSByteSize: 2048 bytes/workgroup (compile time only)
; SGPRBlocks: 2
; VGPRBlocks: 3
; NumSGPRsForWavesPerEU: 24
; NumVGPRsForWavesPerEU: 29
; Occupancy: 16
; WaveLimiterHint : 0
; COMPUTE_PGM_RSRC2:SCRATCH_EN: 0
; COMPUTE_PGM_RSRC2:USER_SGPR: 13
; COMPUTE_PGM_RSRC2:TRAP_HANDLER: 0
; COMPUTE_PGM_RSRC2:TGID_X_EN: 1
; COMPUTE_PGM_RSRC2:TGID_Y_EN: 1
; COMPUTE_PGM_RSRC2:TGID_Z_EN: 1
; COMPUTE_PGM_RSRC2:TIDIG_COMP_CNT: 1
	.section	.text._ZL32rocblas_syrkx_herkx_small_kernelIlfLi16ELb1ELb0ELc67ELc76EKffEviT_T0_PT6_S1_lS4_S1_lS2_PT7_S1_li,"axG",@progbits,_ZL32rocblas_syrkx_herkx_small_kernelIlfLi16ELb1ELb0ELc67ELc76EKffEviT_T0_PT6_S1_lS4_S1_lS2_PT7_S1_li,comdat
	.globl	_ZL32rocblas_syrkx_herkx_small_kernelIlfLi16ELb1ELb0ELc67ELc76EKffEviT_T0_PT6_S1_lS4_S1_lS2_PT7_S1_li ; -- Begin function _ZL32rocblas_syrkx_herkx_small_kernelIlfLi16ELb1ELb0ELc67ELc76EKffEviT_T0_PT6_S1_lS4_S1_lS2_PT7_S1_li
	.p2align	8
	.type	_ZL32rocblas_syrkx_herkx_small_kernelIlfLi16ELb1ELb0ELc67ELc76EKffEviT_T0_PT6_S1_lS4_S1_lS2_PT7_S1_li,@function
_ZL32rocblas_syrkx_herkx_small_kernelIlfLi16ELb1ELb0ELc67ELc76EKffEviT_T0_PT6_S1_lS4_S1_lS2_PT7_S1_li: ; @_ZL32rocblas_syrkx_herkx_small_kernelIlfLi16ELb1ELb0ELc67ELc76EKffEviT_T0_PT6_S1_lS4_S1_lS2_PT7_S1_li
; %bb.0:
	s_clause 0x1
	s_load_b64 s[20:21], s[0:1], 0x8
	s_load_b32 s12, s[0:1], 0x0
	v_and_b32_e32 v9, 0x3ff, v0
	v_bfe_u32 v10, v0, 10, 10
	s_delay_alu instid0(VALU_DEP_2) | instskip(NEXT) | instid1(VALU_DEP_2)
	v_lshl_add_u32 v0, s13, 4, v9
	v_lshl_add_u32 v6, s14, 4, v10
	s_delay_alu instid0(VALU_DEP_2) | instskip(NEXT) | instid1(VALU_DEP_2)
	v_ashrrev_i32_e32 v1, 31, v0
	v_ashrrev_i32_e32 v8, 31, v6
	s_waitcnt lgkmcnt(0)
	v_cmp_lt_i64_e64 s3, s[20:21], 1
	v_cmp_gt_i32_e64 s2, s12, v0
	s_delay_alu instid0(VALU_DEP_2)
	s_and_b32 vcc_lo, exec_lo, s3
	s_cbranch_vccnz .LBB975_7
; %bb.1:
	s_clause 0x1
	s_load_b128 s[16:19], s[0:1], 0x38
	s_load_b256 s[4:11], s[0:1], 0x18
	v_dual_mov_b32 v7, 0 :: v_dual_lshlrev_b32 v2, 6, v10
	v_lshlrev_b32_e32 v11, 2, v9
	v_lshlrev_b32_e32 v15, 2, v10
	v_cmp_gt_i32_e64 s3, s12, v6
	s_delay_alu instid0(VALU_DEP_4) | instskip(NEXT) | instid1(VALU_DEP_4)
	v_add_nc_u32_e32 v12, 0x400, v2
	v_add_nc_u32_e32 v13, v11, v2
	s_delay_alu instid0(VALU_DEP_2)
	v_add_nc_u32_e32 v14, v12, v11
	s_waitcnt lgkmcnt(0)
	v_mul_lo_u32 v16, s17, v6
	v_mul_lo_u32 v17, s16, v8
	v_mad_u64_u32 v[2:3], null, s16, v6, 0
	v_mul_lo_u32 v18, s7, v0
	v_mul_lo_u32 v19, s6, v1
	v_mad_u64_u32 v[4:5], null, s6, v0, 0
	s_mul_i32 s13, s19, s15
	s_mul_hi_u32 s7, s18, s15
	s_delay_alu instid0(VALU_DEP_4) | instskip(SKIP_3) | instid1(VALU_DEP_2)
	v_add3_u32 v3, v3, v17, v16
	s_mul_i32 s6, s18, s15
	s_add_i32 s7, s7, s13
	s_mul_i32 s9, s9, s15
	v_add3_u32 v5, v5, v19, v18
	v_lshlrev_b64 v[2:3], 2, v[2:3]
	s_mul_hi_u32 s14, s8, s15
	s_lshl_b64 s[6:7], s[6:7], 2
	s_mul_i32 s8, s8, s15
	v_lshlrev_b64 v[4:5], 2, v[4:5]
	s_add_i32 s9, s14, s9
	v_add_co_u32 v2, vcc_lo, v2, s6
	s_lshl_b64 s[8:9], s[8:9], 2
	v_add_co_ci_u32_e32 v3, vcc_lo, s7, v3, vcc_lo
	s_delay_alu instid0(VALU_DEP_3) | instskip(SKIP_2) | instid1(VALU_DEP_4)
	v_add_co_u32 v4, vcc_lo, v4, s8
	v_add_co_ci_u32_e32 v5, vcc_lo, s9, v5, vcc_lo
	v_add_co_u32 v2, vcc_lo, v2, v11
	v_add_co_ci_u32_e32 v3, vcc_lo, 0, v3, vcc_lo
	s_delay_alu instid0(VALU_DEP_4) | instskip(NEXT) | instid1(VALU_DEP_4)
	v_add_co_u32 v4, vcc_lo, v4, v15
	v_add_co_ci_u32_e32 v5, vcc_lo, 0, v5, vcc_lo
	s_delay_alu instid0(VALU_DEP_4) | instskip(NEXT) | instid1(VALU_DEP_4)
	;; [unrolled: 3-line block ×3, first 2 shown]
	v_add_co_u32 v4, vcc_lo, s4, v4
	v_add_co_ci_u32_e32 v5, vcc_lo, s5, v5, vcc_lo
	s_mov_b64 s[4:5], 0
	s_branch .LBB975_3
.LBB975_2:                              ;   in Loop: Header=BB975_3 Depth=1
	s_or_b32 exec_lo, exec_lo, s6
	s_waitcnt vmcnt(0)
	ds_store_b32 v14, v16
	s_waitcnt lgkmcnt(0)
	s_barrier
	buffer_gl0_inv
	ds_load_2addr_b32 v[23:24], v11 offset1:16
	ds_load_b128 v[15:18], v12
	ds_load_2addr_b32 v[25:26], v11 offset0:32 offset1:48
	ds_load_b128 v[19:22], v12 offset:16
	ds_load_2addr_b32 v[27:28], v11 offset0:64 offset1:80
	s_add_u32 s4, s4, 16
	s_addc_u32 s5, s5, 0
	v_add_co_u32 v2, vcc_lo, v2, 64
	v_add_co_ci_u32_e32 v3, vcc_lo, 0, v3, vcc_lo
	v_cmp_ge_i64_e64 s6, s[4:5], s[20:21]
	v_add_co_u32 v4, vcc_lo, v4, 64
	v_add_co_ci_u32_e32 v5, vcc_lo, 0, v5, vcc_lo
	s_delay_alu instid0(VALU_DEP_3) | instskip(SKIP_2) | instid1(VALU_DEP_1)
	s_and_b32 vcc_lo, exec_lo, s6
	s_waitcnt lgkmcnt(3)
	v_fmac_f32_e32 v7, v23, v15
	v_fmac_f32_e32 v7, v24, v16
	ds_load_2addr_b32 v[23:24], v11 offset0:96 offset1:112
	s_waitcnt lgkmcnt(3)
	v_fmac_f32_e32 v7, v25, v17
	s_delay_alu instid0(VALU_DEP_1) | instskip(SKIP_4) | instid1(VALU_DEP_1)
	v_fmac_f32_e32 v7, v26, v18
	ds_load_2addr_b32 v[25:26], v11 offset0:128 offset1:144
	ds_load_b128 v[15:18], v12 offset:32
	s_waitcnt lgkmcnt(3)
	v_fmac_f32_e32 v7, v27, v19
	v_fmac_f32_e32 v7, v28, v20
	ds_load_2addr_b32 v[27:28], v11 offset0:160 offset1:176
	s_waitcnt lgkmcnt(3)
	v_fmac_f32_e32 v7, v23, v21
	s_delay_alu instid0(VALU_DEP_1) | instskip(SKIP_4) | instid1(VALU_DEP_1)
	v_fmac_f32_e32 v7, v24, v22
	ds_load_b128 v[19:22], v12 offset:48
	ds_load_2addr_b32 v[23:24], v11 offset0:192 offset1:208
	s_waitcnt lgkmcnt(3)
	v_fmac_f32_e32 v7, v25, v15
	v_fmac_f32_e32 v7, v26, v16
	ds_load_2addr_b32 v[15:16], v11 offset0:224 offset1:240
	s_waitcnt lgkmcnt(0)
	s_barrier
	buffer_gl0_inv
	v_fmac_f32_e32 v7, v27, v17
	s_delay_alu instid0(VALU_DEP_1) | instskip(NEXT) | instid1(VALU_DEP_1)
	v_fmac_f32_e32 v7, v28, v18
	v_fmac_f32_e32 v7, v23, v19
	s_delay_alu instid0(VALU_DEP_1) | instskip(NEXT) | instid1(VALU_DEP_1)
	v_fmac_f32_e32 v7, v24, v20
	v_fmac_f32_e32 v7, v15, v21
	s_delay_alu instid0(VALU_DEP_1)
	v_fmac_f32_e32 v7, v16, v22
	s_cbranch_vccnz .LBB975_8
.LBB975_3:                              ; =>This Inner Loop Header: Depth=1
	v_add_co_u32 v15, s6, v10, s4
	s_delay_alu instid0(VALU_DEP_1) | instskip(NEXT) | instid1(VALU_DEP_1)
	v_add_co_ci_u32_e64 v16, null, 0, s5, s6
	v_cmp_gt_i64_e32 vcc_lo, s[20:21], v[15:16]
	v_mov_b32_e32 v15, 0
	s_and_b32 s7, s2, vcc_lo
	s_delay_alu instid0(SALU_CYCLE_1)
	s_and_saveexec_b32 s6, s7
	s_cbranch_execz .LBB975_5
; %bb.4:                                ;   in Loop: Header=BB975_3 Depth=1
	global_load_b32 v15, v[4:5], off
.LBB975_5:                              ;   in Loop: Header=BB975_3 Depth=1
	s_or_b32 exec_lo, exec_lo, s6
	v_add_co_u32 v16, s6, v9, s4
	s_delay_alu instid0(VALU_DEP_1)
	v_add_co_ci_u32_e64 v17, null, 0, s5, s6
	s_waitcnt vmcnt(0)
	ds_store_b32 v13, v15
	v_cmp_gt_i64_e32 vcc_lo, s[20:21], v[16:17]
	v_mov_b32_e32 v16, 0
	s_and_b32 s7, s3, vcc_lo
	s_delay_alu instid0(SALU_CYCLE_1)
	s_and_saveexec_b32 s6, s7
	s_cbranch_execz .LBB975_2
; %bb.6:                                ;   in Loop: Header=BB975_3 Depth=1
	global_load_b32 v16, v[2:3], off
	s_branch .LBB975_2
.LBB975_7:
	v_mov_b32_e32 v7, 0
.LBB975_8:
	v_cmp_le_i32_e32 vcc_lo, v6, v0
	v_cmp_gt_i32_e64 s2, s12, v0
	s_delay_alu instid0(VALU_DEP_1) | instskip(NEXT) | instid1(SALU_CYCLE_1)
	s_and_b32 s2, vcc_lo, s2
	s_and_saveexec_b32 s3, s2
	s_cbranch_execz .LBB975_10
; %bb.9:
	s_clause 0x1
	s_load_b128 s[4:7], s[0:1], 0x50
	s_load_b64 s[2:3], s[0:1], 0x60
	v_lshlrev_b64 v[0:1], 2, v[0:1]
	s_waitcnt lgkmcnt(0)
	v_mul_lo_u32 v4, v6, s7
	v_mul_lo_u32 v5, v8, s6
	v_mad_u64_u32 v[2:3], null, v6, s6, 0
	s_load_b32 s6, s[0:1], 0x10
	s_mul_i32 s1, s15, s3
	s_mul_hi_u32 s3, s15, s2
	s_mul_i32 s0, s15, s2
	s_add_i32 s1, s3, s1
	s_delay_alu instid0(VALU_DEP_1) | instskip(SKIP_1) | instid1(SALU_CYCLE_1)
	v_add3_u32 v3, v3, v4, v5
	s_lshl_b64 s[0:1], s[0:1], 2
	s_add_u32 s0, s4, s0
	s_addc_u32 s1, s5, s1
	s_delay_alu instid0(VALU_DEP_1) | instskip(NEXT) | instid1(VALU_DEP_1)
	v_lshlrev_b64 v[2:3], 2, v[2:3]
	v_add_co_u32 v2, vcc_lo, s0, v2
	s_delay_alu instid0(VALU_DEP_2) | instskip(SKIP_2) | instid1(VALU_DEP_3)
	v_add_co_ci_u32_e32 v3, vcc_lo, s1, v3, vcc_lo
	s_waitcnt lgkmcnt(0)
	v_mul_f32_e32 v4, s6, v7
	v_add_co_u32 v0, vcc_lo, v2, v0
	s_delay_alu instid0(VALU_DEP_3)
	v_add_co_ci_u32_e32 v1, vcc_lo, v3, v1, vcc_lo
	global_store_b32 v[0:1], v4, off
.LBB975_10:
	s_nop 0
	s_sendmsg sendmsg(MSG_DEALLOC_VGPRS)
	s_endpgm
	.section	.rodata,"a",@progbits
	.p2align	6, 0x0
	.amdhsa_kernel _ZL32rocblas_syrkx_herkx_small_kernelIlfLi16ELb1ELb0ELc67ELc76EKffEviT_T0_PT6_S1_lS4_S1_lS2_PT7_S1_li
		.amdhsa_group_segment_fixed_size 2048
		.amdhsa_private_segment_fixed_size 0
		.amdhsa_kernarg_size 108
		.amdhsa_user_sgpr_count 13
		.amdhsa_user_sgpr_dispatch_ptr 0
		.amdhsa_user_sgpr_queue_ptr 0
		.amdhsa_user_sgpr_kernarg_segment_ptr 1
		.amdhsa_user_sgpr_dispatch_id 0
		.amdhsa_user_sgpr_private_segment_size 0
		.amdhsa_wavefront_size32 1
		.amdhsa_uses_dynamic_stack 0
		.amdhsa_enable_private_segment 0
		.amdhsa_system_sgpr_workgroup_id_x 1
		.amdhsa_system_sgpr_workgroup_id_y 1
		.amdhsa_system_sgpr_workgroup_id_z 1
		.amdhsa_system_sgpr_workgroup_info 0
		.amdhsa_system_vgpr_workitem_id 1
		.amdhsa_next_free_vgpr 29
		.amdhsa_next_free_sgpr 22
		.amdhsa_reserve_vcc 1
		.amdhsa_float_round_mode_32 0
		.amdhsa_float_round_mode_16_64 0
		.amdhsa_float_denorm_mode_32 3
		.amdhsa_float_denorm_mode_16_64 3
		.amdhsa_dx10_clamp 1
		.amdhsa_ieee_mode 1
		.amdhsa_fp16_overflow 0
		.amdhsa_workgroup_processor_mode 1
		.amdhsa_memory_ordered 1
		.amdhsa_forward_progress 0
		.amdhsa_shared_vgpr_count 0
		.amdhsa_exception_fp_ieee_invalid_op 0
		.amdhsa_exception_fp_denorm_src 0
		.amdhsa_exception_fp_ieee_div_zero 0
		.amdhsa_exception_fp_ieee_overflow 0
		.amdhsa_exception_fp_ieee_underflow 0
		.amdhsa_exception_fp_ieee_inexact 0
		.amdhsa_exception_int_div_zero 0
	.end_amdhsa_kernel
	.section	.text._ZL32rocblas_syrkx_herkx_small_kernelIlfLi16ELb1ELb0ELc67ELc76EKffEviT_T0_PT6_S1_lS4_S1_lS2_PT7_S1_li,"axG",@progbits,_ZL32rocblas_syrkx_herkx_small_kernelIlfLi16ELb1ELb0ELc67ELc76EKffEviT_T0_PT6_S1_lS4_S1_lS2_PT7_S1_li,comdat
.Lfunc_end975:
	.size	_ZL32rocblas_syrkx_herkx_small_kernelIlfLi16ELb1ELb0ELc67ELc76EKffEviT_T0_PT6_S1_lS4_S1_lS2_PT7_S1_li, .Lfunc_end975-_ZL32rocblas_syrkx_herkx_small_kernelIlfLi16ELb1ELb0ELc67ELc76EKffEviT_T0_PT6_S1_lS4_S1_lS2_PT7_S1_li
                                        ; -- End function
	.section	.AMDGPU.csdata,"",@progbits
; Kernel info:
; codeLenInByte = 1024
; NumSgprs: 24
; NumVgprs: 29
; ScratchSize: 0
; MemoryBound: 0
; FloatMode: 240
; IeeeMode: 1
; LDSByteSize: 2048 bytes/workgroup (compile time only)
; SGPRBlocks: 2
; VGPRBlocks: 3
; NumSGPRsForWavesPerEU: 24
; NumVGPRsForWavesPerEU: 29
; Occupancy: 16
; WaveLimiterHint : 0
; COMPUTE_PGM_RSRC2:SCRATCH_EN: 0
; COMPUTE_PGM_RSRC2:USER_SGPR: 13
; COMPUTE_PGM_RSRC2:TRAP_HANDLER: 0
; COMPUTE_PGM_RSRC2:TGID_X_EN: 1
; COMPUTE_PGM_RSRC2:TGID_Y_EN: 1
; COMPUTE_PGM_RSRC2:TGID_Z_EN: 1
; COMPUTE_PGM_RSRC2:TIDIG_COMP_CNT: 1
	.section	.text._ZL32rocblas_syrkx_herkx_small_kernelIlfLi16ELb1ELb0ELc78ELc76EKffEviT_T0_PT6_S1_lS4_S1_lS2_PT7_S1_li,"axG",@progbits,_ZL32rocblas_syrkx_herkx_small_kernelIlfLi16ELb1ELb0ELc78ELc76EKffEviT_T0_PT6_S1_lS4_S1_lS2_PT7_S1_li,comdat
	.globl	_ZL32rocblas_syrkx_herkx_small_kernelIlfLi16ELb1ELb0ELc78ELc76EKffEviT_T0_PT6_S1_lS4_S1_lS2_PT7_S1_li ; -- Begin function _ZL32rocblas_syrkx_herkx_small_kernelIlfLi16ELb1ELb0ELc78ELc76EKffEviT_T0_PT6_S1_lS4_S1_lS2_PT7_S1_li
	.p2align	8
	.type	_ZL32rocblas_syrkx_herkx_small_kernelIlfLi16ELb1ELb0ELc78ELc76EKffEviT_T0_PT6_S1_lS4_S1_lS2_PT7_S1_li,@function
_ZL32rocblas_syrkx_herkx_small_kernelIlfLi16ELb1ELb0ELc78ELc76EKffEviT_T0_PT6_S1_lS4_S1_lS2_PT7_S1_li: ; @_ZL32rocblas_syrkx_herkx_small_kernelIlfLi16ELb1ELb0ELc78ELc76EKffEviT_T0_PT6_S1_lS4_S1_lS2_PT7_S1_li
; %bb.0:
	s_clause 0x1
	s_load_b64 s[20:21], s[0:1], 0x8
	s_load_b32 s12, s[0:1], 0x0
	v_and_b32_e32 v9, 0x3ff, v0
	v_bfe_u32 v10, v0, 10, 10
	s_delay_alu instid0(VALU_DEP_2) | instskip(NEXT) | instid1(VALU_DEP_2)
	v_lshl_add_u32 v0, s13, 4, v9
	v_lshl_add_u32 v2, s14, 4, v10
	s_delay_alu instid0(VALU_DEP_2) | instskip(NEXT) | instid1(VALU_DEP_2)
	v_ashrrev_i32_e32 v1, 31, v0
	v_ashrrev_i32_e32 v3, 31, v2
	s_waitcnt lgkmcnt(0)
	v_cmp_lt_i64_e64 s3, s[20:21], 1
	v_cmp_gt_i32_e64 s2, s12, v0
	s_delay_alu instid0(VALU_DEP_2)
	s_and_b32 vcc_lo, exec_lo, s3
	s_cbranch_vccnz .LBB976_7
; %bb.1:
	s_clause 0x1
	s_load_b128 s[16:19], s[0:1], 0x38
	s_load_b256 s[4:11], s[0:1], 0x18
	v_dual_mov_b32 v8, 0 :: v_dual_lshlrev_b32 v13, 6, v10
	v_lshlrev_b64 v[15:16], 2, v[2:3]
	v_lshlrev_b64 v[17:18], 2, v[0:1]
	v_lshlrev_b32_e32 v11, 2, v9
	v_cmp_gt_i32_e64 s3, s12, v2
	s_waitcnt lgkmcnt(0)
	v_mad_u64_u32 v[4:5], null, s16, v9, 0
	v_mad_u64_u32 v[6:7], null, s6, v10, 0
	s_mul_i32 s13, s19, s15
	s_mul_hi_u32 s14, s18, s15
	s_mul_i32 s18, s18, s15
	s_add_i32 s19, s14, s13
	s_mul_i32 s9, s9, s15
	s_mul_hi_u32 s22, s8, s15
	s_delay_alu instid0(VALU_DEP_1)
	v_mad_u64_u32 v[19:20], null, s17, v9, v[5:6]
	v_mad_u64_u32 v[20:21], null, s7, v10, v[7:8]
	v_add_nc_u32_e32 v12, 0x400, v13
	s_lshl_b64 s[18:19], s[18:19], 2
	s_mul_i32 s8, s8, s15
	s_add_i32 s9, s22, s9
	s_delay_alu instid0(VALU_DEP_3) | instskip(SKIP_1) | instid1(VALU_DEP_3)
	v_mov_b32_e32 v5, v19
	s_lshl_b64 s[8:9], s[8:9], 2
	v_mov_b32_e32 v7, v20
	v_add_nc_u32_e32 v13, v11, v13
	v_add_nc_u32_e32 v14, v12, v11
	v_lshlrev_b64 v[4:5], 2, v[4:5]
	s_lshl_b64 s[6:7], s[6:7], 6
	v_lshlrev_b64 v[6:7], 2, v[6:7]
	s_delay_alu instid0(VALU_DEP_2) | instskip(NEXT) | instid1(VALU_DEP_3)
	v_add_co_u32 v4, vcc_lo, s18, v4
	v_add_co_ci_u32_e32 v5, vcc_lo, s19, v5, vcc_lo
	s_delay_alu instid0(VALU_DEP_3) | instskip(NEXT) | instid1(VALU_DEP_4)
	v_add_co_u32 v6, vcc_lo, s8, v6
	v_add_co_ci_u32_e32 v7, vcc_lo, s9, v7, vcc_lo
	s_delay_alu instid0(VALU_DEP_4) | instskip(NEXT) | instid1(VALU_DEP_4)
	v_add_co_u32 v4, vcc_lo, v4, v15
	v_add_co_ci_u32_e32 v5, vcc_lo, v5, v16, vcc_lo
	s_delay_alu instid0(VALU_DEP_4) | instskip(NEXT) | instid1(VALU_DEP_4)
	;; [unrolled: 3-line block ×4, first 2 shown]
	v_add_co_u32 v6, vcc_lo, s4, v6
	v_add_co_ci_u32_e32 v7, vcc_lo, s5, v7, vcc_lo
	s_lshl_b64 s[4:5], s[16:17], 6
	s_mov_b64 s[8:9], 0
	s_branch .LBB976_3
.LBB976_2:                              ;   in Loop: Header=BB976_3 Depth=1
	s_or_b32 exec_lo, exec_lo, s10
	s_waitcnt vmcnt(0)
	ds_store_b32 v14, v16
	s_waitcnt lgkmcnt(0)
	s_barrier
	buffer_gl0_inv
	ds_load_2addr_b32 v[23:24], v11 offset1:16
	ds_load_b128 v[15:18], v12
	ds_load_2addr_b32 v[25:26], v11 offset0:32 offset1:48
	ds_load_b128 v[19:22], v12 offset:16
	ds_load_2addr_b32 v[27:28], v11 offset0:64 offset1:80
	s_add_u32 s8, s8, 16
	s_addc_u32 s9, s9, 0
	v_add_co_u32 v4, vcc_lo, v4, s4
	v_add_co_ci_u32_e32 v5, vcc_lo, s5, v5, vcc_lo
	v_cmp_ge_i64_e64 s10, s[8:9], s[20:21]
	v_add_co_u32 v6, vcc_lo, v6, s6
	v_add_co_ci_u32_e32 v7, vcc_lo, s7, v7, vcc_lo
	s_delay_alu instid0(VALU_DEP_3) | instskip(SKIP_2) | instid1(VALU_DEP_1)
	s_and_b32 vcc_lo, exec_lo, s10
	s_waitcnt lgkmcnt(3)
	v_fmac_f32_e32 v8, v23, v15
	v_fmac_f32_e32 v8, v24, v16
	ds_load_2addr_b32 v[23:24], v11 offset0:96 offset1:112
	s_waitcnt lgkmcnt(3)
	v_fmac_f32_e32 v8, v25, v17
	s_delay_alu instid0(VALU_DEP_1) | instskip(SKIP_4) | instid1(VALU_DEP_1)
	v_fmac_f32_e32 v8, v26, v18
	ds_load_2addr_b32 v[25:26], v11 offset0:128 offset1:144
	ds_load_b128 v[15:18], v12 offset:32
	s_waitcnt lgkmcnt(3)
	v_fmac_f32_e32 v8, v27, v19
	v_fmac_f32_e32 v8, v28, v20
	ds_load_2addr_b32 v[27:28], v11 offset0:160 offset1:176
	s_waitcnt lgkmcnt(3)
	v_fmac_f32_e32 v8, v23, v21
	s_delay_alu instid0(VALU_DEP_1) | instskip(SKIP_4) | instid1(VALU_DEP_1)
	v_fmac_f32_e32 v8, v24, v22
	ds_load_b128 v[19:22], v12 offset:48
	ds_load_2addr_b32 v[23:24], v11 offset0:192 offset1:208
	s_waitcnt lgkmcnt(3)
	v_fmac_f32_e32 v8, v25, v15
	v_fmac_f32_e32 v8, v26, v16
	ds_load_2addr_b32 v[15:16], v11 offset0:224 offset1:240
	s_waitcnt lgkmcnt(0)
	s_barrier
	buffer_gl0_inv
	v_fmac_f32_e32 v8, v27, v17
	s_delay_alu instid0(VALU_DEP_1) | instskip(NEXT) | instid1(VALU_DEP_1)
	v_fmac_f32_e32 v8, v28, v18
	v_fmac_f32_e32 v8, v23, v19
	s_delay_alu instid0(VALU_DEP_1) | instskip(NEXT) | instid1(VALU_DEP_1)
	v_fmac_f32_e32 v8, v24, v20
	v_fmac_f32_e32 v8, v15, v21
	s_delay_alu instid0(VALU_DEP_1)
	v_fmac_f32_e32 v8, v16, v22
	s_cbranch_vccnz .LBB976_8
.LBB976_3:                              ; =>This Inner Loop Header: Depth=1
	v_add_co_u32 v15, s10, v10, s8
	s_delay_alu instid0(VALU_DEP_1) | instskip(NEXT) | instid1(VALU_DEP_1)
	v_add_co_ci_u32_e64 v16, null, 0, s9, s10
	v_cmp_gt_i64_e32 vcc_lo, s[20:21], v[15:16]
	v_mov_b32_e32 v15, 0
	s_and_b32 s11, s2, vcc_lo
	s_delay_alu instid0(SALU_CYCLE_1)
	s_and_saveexec_b32 s10, s11
	s_cbranch_execz .LBB976_5
; %bb.4:                                ;   in Loop: Header=BB976_3 Depth=1
	global_load_b32 v15, v[6:7], off
.LBB976_5:                              ;   in Loop: Header=BB976_3 Depth=1
	s_or_b32 exec_lo, exec_lo, s10
	v_add_co_u32 v16, s10, v9, s8
	s_delay_alu instid0(VALU_DEP_1)
	v_add_co_ci_u32_e64 v17, null, 0, s9, s10
	s_waitcnt vmcnt(0)
	ds_store_b32 v13, v15
	v_cmp_gt_i64_e32 vcc_lo, s[20:21], v[16:17]
	v_mov_b32_e32 v16, 0
	s_and_b32 s11, s3, vcc_lo
	s_delay_alu instid0(SALU_CYCLE_1)
	s_and_saveexec_b32 s10, s11
	s_cbranch_execz .LBB976_2
; %bb.6:                                ;   in Loop: Header=BB976_3 Depth=1
	global_load_b32 v16, v[4:5], off
	s_branch .LBB976_2
.LBB976_7:
	v_mov_b32_e32 v8, 0
.LBB976_8:
	v_cmp_le_i32_e32 vcc_lo, v2, v0
	v_cmp_gt_i32_e64 s2, s12, v0
	s_delay_alu instid0(VALU_DEP_1) | instskip(NEXT) | instid1(SALU_CYCLE_1)
	s_and_b32 s2, vcc_lo, s2
	s_and_saveexec_b32 s3, s2
	s_cbranch_execz .LBB976_10
; %bb.9:
	s_clause 0x1
	s_load_b128 s[4:7], s[0:1], 0x50
	s_load_b64 s[2:3], s[0:1], 0x60
	v_lshlrev_b64 v[0:1], 2, v[0:1]
	s_waitcnt lgkmcnt(0)
	v_mul_lo_u32 v5, v2, s7
	v_mul_lo_u32 v6, v3, s6
	v_mad_u64_u32 v[3:4], null, v2, s6, 0
	s_load_b32 s6, s[0:1], 0x10
	s_mul_i32 s1, s15, s3
	s_mul_hi_u32 s3, s15, s2
	s_mul_i32 s0, s15, s2
	s_add_i32 s1, s3, s1
	s_delay_alu instid0(VALU_DEP_1) | instskip(SKIP_1) | instid1(SALU_CYCLE_1)
	v_add3_u32 v4, v4, v5, v6
	s_lshl_b64 s[0:1], s[0:1], 2
	s_add_u32 s0, s4, s0
	s_addc_u32 s1, s5, s1
	s_delay_alu instid0(VALU_DEP_1) | instskip(NEXT) | instid1(VALU_DEP_1)
	v_lshlrev_b64 v[2:3], 2, v[3:4]
	v_add_co_u32 v2, vcc_lo, s0, v2
	s_delay_alu instid0(VALU_DEP_2) | instskip(SKIP_2) | instid1(VALU_DEP_3)
	v_add_co_ci_u32_e32 v3, vcc_lo, s1, v3, vcc_lo
	s_waitcnt lgkmcnt(0)
	v_mul_f32_e32 v4, s6, v8
	v_add_co_u32 v0, vcc_lo, v2, v0
	s_delay_alu instid0(VALU_DEP_3)
	v_add_co_ci_u32_e32 v1, vcc_lo, v3, v1, vcc_lo
	global_store_b32 v[0:1], v4, off
.LBB976_10:
	s_nop 0
	s_sendmsg sendmsg(MSG_DEALLOC_VGPRS)
	s_endpgm
	.section	.rodata,"a",@progbits
	.p2align	6, 0x0
	.amdhsa_kernel _ZL32rocblas_syrkx_herkx_small_kernelIlfLi16ELb1ELb0ELc78ELc76EKffEviT_T0_PT6_S1_lS4_S1_lS2_PT7_S1_li
		.amdhsa_group_segment_fixed_size 2048
		.amdhsa_private_segment_fixed_size 0
		.amdhsa_kernarg_size 108
		.amdhsa_user_sgpr_count 13
		.amdhsa_user_sgpr_dispatch_ptr 0
		.amdhsa_user_sgpr_queue_ptr 0
		.amdhsa_user_sgpr_kernarg_segment_ptr 1
		.amdhsa_user_sgpr_dispatch_id 0
		.amdhsa_user_sgpr_private_segment_size 0
		.amdhsa_wavefront_size32 1
		.amdhsa_uses_dynamic_stack 0
		.amdhsa_enable_private_segment 0
		.amdhsa_system_sgpr_workgroup_id_x 1
		.amdhsa_system_sgpr_workgroup_id_y 1
		.amdhsa_system_sgpr_workgroup_id_z 1
		.amdhsa_system_sgpr_workgroup_info 0
		.amdhsa_system_vgpr_workitem_id 1
		.amdhsa_next_free_vgpr 29
		.amdhsa_next_free_sgpr 23
		.amdhsa_reserve_vcc 1
		.amdhsa_float_round_mode_32 0
		.amdhsa_float_round_mode_16_64 0
		.amdhsa_float_denorm_mode_32 3
		.amdhsa_float_denorm_mode_16_64 3
		.amdhsa_dx10_clamp 1
		.amdhsa_ieee_mode 1
		.amdhsa_fp16_overflow 0
		.amdhsa_workgroup_processor_mode 1
		.amdhsa_memory_ordered 1
		.amdhsa_forward_progress 0
		.amdhsa_shared_vgpr_count 0
		.amdhsa_exception_fp_ieee_invalid_op 0
		.amdhsa_exception_fp_denorm_src 0
		.amdhsa_exception_fp_ieee_div_zero 0
		.amdhsa_exception_fp_ieee_overflow 0
		.amdhsa_exception_fp_ieee_underflow 0
		.amdhsa_exception_fp_ieee_inexact 0
		.amdhsa_exception_int_div_zero 0
	.end_amdhsa_kernel
	.section	.text._ZL32rocblas_syrkx_herkx_small_kernelIlfLi16ELb1ELb0ELc78ELc76EKffEviT_T0_PT6_S1_lS4_S1_lS2_PT7_S1_li,"axG",@progbits,_ZL32rocblas_syrkx_herkx_small_kernelIlfLi16ELb1ELb0ELc78ELc76EKffEviT_T0_PT6_S1_lS4_S1_lS2_PT7_S1_li,comdat
.Lfunc_end976:
	.size	_ZL32rocblas_syrkx_herkx_small_kernelIlfLi16ELb1ELb0ELc78ELc76EKffEviT_T0_PT6_S1_lS4_S1_lS2_PT7_S1_li, .Lfunc_end976-_ZL32rocblas_syrkx_herkx_small_kernelIlfLi16ELb1ELb0ELc78ELc76EKffEviT_T0_PT6_S1_lS4_S1_lS2_PT7_S1_li
                                        ; -- End function
	.section	.AMDGPU.csdata,"",@progbits
; Kernel info:
; codeLenInByte = 1024
; NumSgprs: 25
; NumVgprs: 29
; ScratchSize: 0
; MemoryBound: 0
; FloatMode: 240
; IeeeMode: 1
; LDSByteSize: 2048 bytes/workgroup (compile time only)
; SGPRBlocks: 3
; VGPRBlocks: 3
; NumSGPRsForWavesPerEU: 25
; NumVGPRsForWavesPerEU: 29
; Occupancy: 16
; WaveLimiterHint : 0
; COMPUTE_PGM_RSRC2:SCRATCH_EN: 0
; COMPUTE_PGM_RSRC2:USER_SGPR: 13
; COMPUTE_PGM_RSRC2:TRAP_HANDLER: 0
; COMPUTE_PGM_RSRC2:TGID_X_EN: 1
; COMPUTE_PGM_RSRC2:TGID_Y_EN: 1
; COMPUTE_PGM_RSRC2:TGID_Z_EN: 1
; COMPUTE_PGM_RSRC2:TIDIG_COMP_CNT: 1
	.section	.text._ZL32rocblas_syrkx_herkx_small_kernelIlfLi16ELb1ELb0ELc84ELc85EKffEviT_T0_PT6_S1_lS4_S1_lS2_PT7_S1_li,"axG",@progbits,_ZL32rocblas_syrkx_herkx_small_kernelIlfLi16ELb1ELb0ELc84ELc85EKffEviT_T0_PT6_S1_lS4_S1_lS2_PT7_S1_li,comdat
	.globl	_ZL32rocblas_syrkx_herkx_small_kernelIlfLi16ELb1ELb0ELc84ELc85EKffEviT_T0_PT6_S1_lS4_S1_lS2_PT7_S1_li ; -- Begin function _ZL32rocblas_syrkx_herkx_small_kernelIlfLi16ELb1ELb0ELc84ELc85EKffEviT_T0_PT6_S1_lS4_S1_lS2_PT7_S1_li
	.p2align	8
	.type	_ZL32rocblas_syrkx_herkx_small_kernelIlfLi16ELb1ELb0ELc84ELc85EKffEviT_T0_PT6_S1_lS4_S1_lS2_PT7_S1_li,@function
_ZL32rocblas_syrkx_herkx_small_kernelIlfLi16ELb1ELb0ELc84ELc85EKffEviT_T0_PT6_S1_lS4_S1_lS2_PT7_S1_li: ; @_ZL32rocblas_syrkx_herkx_small_kernelIlfLi16ELb1ELb0ELc84ELc85EKffEviT_T0_PT6_S1_lS4_S1_lS2_PT7_S1_li
; %bb.0:
	s_clause 0x1
	s_load_b64 s[20:21], s[0:1], 0x8
	s_load_b32 s12, s[0:1], 0x0
	v_and_b32_e32 v9, 0x3ff, v0
	v_bfe_u32 v10, v0, 10, 10
	s_delay_alu instid0(VALU_DEP_2) | instskip(NEXT) | instid1(VALU_DEP_2)
	v_lshl_add_u32 v0, s13, 4, v9
	v_lshl_add_u32 v6, s14, 4, v10
	s_delay_alu instid0(VALU_DEP_2) | instskip(NEXT) | instid1(VALU_DEP_2)
	v_ashrrev_i32_e32 v1, 31, v0
	v_ashrrev_i32_e32 v8, 31, v6
	s_waitcnt lgkmcnt(0)
	v_cmp_lt_i64_e64 s3, s[20:21], 1
	v_cmp_gt_i32_e64 s2, s12, v6
	s_delay_alu instid0(VALU_DEP_2)
	s_and_b32 vcc_lo, exec_lo, s3
	s_cbranch_vccnz .LBB977_7
; %bb.1:
	s_clause 0x1
	s_load_b128 s[16:19], s[0:1], 0x38
	s_load_b256 s[4:11], s[0:1], 0x18
	v_dual_mov_b32 v7, 0 :: v_dual_lshlrev_b32 v2, 6, v10
	v_lshlrev_b32_e32 v11, 2, v9
	v_lshlrev_b32_e32 v15, 2, v10
	v_cmp_gt_i32_e64 s3, s12, v0
	s_delay_alu instid0(VALU_DEP_4) | instskip(NEXT) | instid1(VALU_DEP_4)
	v_add_nc_u32_e32 v12, 0x400, v2
	v_add_nc_u32_e32 v13, v11, v2
	s_delay_alu instid0(VALU_DEP_2)
	v_add_nc_u32_e32 v14, v12, v11
	s_waitcnt lgkmcnt(0)
	v_mul_lo_u32 v16, s17, v6
	v_mul_lo_u32 v17, s16, v8
	v_mad_u64_u32 v[2:3], null, s16, v6, 0
	v_mul_lo_u32 v18, s7, v0
	v_mul_lo_u32 v19, s6, v1
	v_mad_u64_u32 v[4:5], null, s6, v0, 0
	s_mul_i32 s13, s19, s15
	s_mul_hi_u32 s7, s18, s15
	s_delay_alu instid0(VALU_DEP_4) | instskip(SKIP_3) | instid1(VALU_DEP_2)
	v_add3_u32 v3, v3, v17, v16
	s_mul_i32 s6, s18, s15
	s_add_i32 s7, s7, s13
	s_mul_i32 s9, s9, s15
	v_add3_u32 v5, v5, v19, v18
	v_lshlrev_b64 v[2:3], 2, v[2:3]
	s_mul_hi_u32 s14, s8, s15
	s_lshl_b64 s[6:7], s[6:7], 2
	s_mul_i32 s8, s8, s15
	v_lshlrev_b64 v[4:5], 2, v[4:5]
	s_add_i32 s9, s14, s9
	v_add_co_u32 v2, vcc_lo, v2, s6
	s_lshl_b64 s[8:9], s[8:9], 2
	v_add_co_ci_u32_e32 v3, vcc_lo, s7, v3, vcc_lo
	s_delay_alu instid0(VALU_DEP_3) | instskip(SKIP_2) | instid1(VALU_DEP_4)
	v_add_co_u32 v4, vcc_lo, v4, s8
	v_add_co_ci_u32_e32 v5, vcc_lo, s9, v5, vcc_lo
	v_add_co_u32 v2, vcc_lo, v2, v11
	v_add_co_ci_u32_e32 v3, vcc_lo, 0, v3, vcc_lo
	s_delay_alu instid0(VALU_DEP_4) | instskip(NEXT) | instid1(VALU_DEP_4)
	v_add_co_u32 v4, vcc_lo, v4, v15
	v_add_co_ci_u32_e32 v5, vcc_lo, 0, v5, vcc_lo
	s_delay_alu instid0(VALU_DEP_4) | instskip(NEXT) | instid1(VALU_DEP_4)
	;; [unrolled: 3-line block ×3, first 2 shown]
	v_add_co_u32 v4, vcc_lo, s4, v4
	v_add_co_ci_u32_e32 v5, vcc_lo, s5, v5, vcc_lo
	s_mov_b64 s[4:5], 0
	s_branch .LBB977_3
.LBB977_2:                              ;   in Loop: Header=BB977_3 Depth=1
	s_or_b32 exec_lo, exec_lo, s6
	s_waitcnt vmcnt(0)
	ds_store_b32 v14, v16
	s_waitcnt lgkmcnt(0)
	s_barrier
	buffer_gl0_inv
	ds_load_2addr_b32 v[23:24], v11 offset1:16
	ds_load_b128 v[15:18], v12
	ds_load_2addr_b32 v[25:26], v11 offset0:32 offset1:48
	ds_load_b128 v[19:22], v12 offset:16
	ds_load_2addr_b32 v[27:28], v11 offset0:64 offset1:80
	s_add_u32 s4, s4, 16
	s_addc_u32 s5, s5, 0
	v_add_co_u32 v2, vcc_lo, v2, 64
	v_add_co_ci_u32_e32 v3, vcc_lo, 0, v3, vcc_lo
	v_cmp_ge_i64_e64 s6, s[4:5], s[20:21]
	v_add_co_u32 v4, vcc_lo, v4, 64
	v_add_co_ci_u32_e32 v5, vcc_lo, 0, v5, vcc_lo
	s_delay_alu instid0(VALU_DEP_3) | instskip(SKIP_2) | instid1(VALU_DEP_1)
	s_and_b32 vcc_lo, exec_lo, s6
	s_waitcnt lgkmcnt(3)
	v_fmac_f32_e32 v7, v23, v15
	v_fmac_f32_e32 v7, v24, v16
	ds_load_2addr_b32 v[23:24], v11 offset0:96 offset1:112
	s_waitcnt lgkmcnt(3)
	v_fmac_f32_e32 v7, v25, v17
	s_delay_alu instid0(VALU_DEP_1) | instskip(SKIP_4) | instid1(VALU_DEP_1)
	v_fmac_f32_e32 v7, v26, v18
	ds_load_2addr_b32 v[25:26], v11 offset0:128 offset1:144
	ds_load_b128 v[15:18], v12 offset:32
	s_waitcnt lgkmcnt(3)
	v_fmac_f32_e32 v7, v27, v19
	v_fmac_f32_e32 v7, v28, v20
	ds_load_2addr_b32 v[27:28], v11 offset0:160 offset1:176
	s_waitcnt lgkmcnt(3)
	v_fmac_f32_e32 v7, v23, v21
	s_delay_alu instid0(VALU_DEP_1) | instskip(SKIP_4) | instid1(VALU_DEP_1)
	v_fmac_f32_e32 v7, v24, v22
	ds_load_b128 v[19:22], v12 offset:48
	ds_load_2addr_b32 v[23:24], v11 offset0:192 offset1:208
	s_waitcnt lgkmcnt(3)
	v_fmac_f32_e32 v7, v25, v15
	v_fmac_f32_e32 v7, v26, v16
	ds_load_2addr_b32 v[15:16], v11 offset0:224 offset1:240
	s_waitcnt lgkmcnt(0)
	s_barrier
	buffer_gl0_inv
	v_fmac_f32_e32 v7, v27, v17
	s_delay_alu instid0(VALU_DEP_1) | instskip(NEXT) | instid1(VALU_DEP_1)
	v_fmac_f32_e32 v7, v28, v18
	v_fmac_f32_e32 v7, v23, v19
	s_delay_alu instid0(VALU_DEP_1) | instskip(NEXT) | instid1(VALU_DEP_1)
	v_fmac_f32_e32 v7, v24, v20
	v_fmac_f32_e32 v7, v15, v21
	s_delay_alu instid0(VALU_DEP_1)
	v_fmac_f32_e32 v7, v16, v22
	s_cbranch_vccnz .LBB977_8
.LBB977_3:                              ; =>This Inner Loop Header: Depth=1
	v_add_co_u32 v15, s6, v10, s4
	s_delay_alu instid0(VALU_DEP_1) | instskip(NEXT) | instid1(VALU_DEP_1)
	v_add_co_ci_u32_e64 v16, null, 0, s5, s6
	v_cmp_gt_i64_e32 vcc_lo, s[20:21], v[15:16]
	v_mov_b32_e32 v15, 0
	s_and_b32 s7, s3, vcc_lo
	s_delay_alu instid0(SALU_CYCLE_1)
	s_and_saveexec_b32 s6, s7
	s_cbranch_execz .LBB977_5
; %bb.4:                                ;   in Loop: Header=BB977_3 Depth=1
	global_load_b32 v15, v[4:5], off
.LBB977_5:                              ;   in Loop: Header=BB977_3 Depth=1
	s_or_b32 exec_lo, exec_lo, s6
	v_add_co_u32 v16, s6, v9, s4
	s_delay_alu instid0(VALU_DEP_1)
	v_add_co_ci_u32_e64 v17, null, 0, s5, s6
	s_waitcnt vmcnt(0)
	ds_store_b32 v13, v15
	v_cmp_gt_i64_e32 vcc_lo, s[20:21], v[16:17]
	v_mov_b32_e32 v16, 0
	s_and_b32 s7, s2, vcc_lo
	s_delay_alu instid0(SALU_CYCLE_1)
	s_and_saveexec_b32 s6, s7
	s_cbranch_execz .LBB977_2
; %bb.6:                                ;   in Loop: Header=BB977_3 Depth=1
	global_load_b32 v16, v[2:3], off
	s_branch .LBB977_2
.LBB977_7:
	v_mov_b32_e32 v7, 0
.LBB977_8:
	v_cmp_le_i32_e32 vcc_lo, v0, v6
	v_cmp_gt_i32_e64 s2, s12, v6
	s_delay_alu instid0(VALU_DEP_1) | instskip(NEXT) | instid1(SALU_CYCLE_1)
	s_and_b32 s2, vcc_lo, s2
	s_and_saveexec_b32 s3, s2
	s_cbranch_execz .LBB977_10
; %bb.9:
	s_clause 0x1
	s_load_b128 s[4:7], s[0:1], 0x50
	s_load_b64 s[2:3], s[0:1], 0x60
	v_lshlrev_b64 v[0:1], 2, v[0:1]
	s_waitcnt lgkmcnt(0)
	v_mul_lo_u32 v4, v6, s7
	v_mul_lo_u32 v5, v8, s6
	v_mad_u64_u32 v[2:3], null, v6, s6, 0
	s_load_b32 s6, s[0:1], 0x10
	s_mul_i32 s1, s15, s3
	s_mul_hi_u32 s3, s15, s2
	s_mul_i32 s0, s15, s2
	s_add_i32 s1, s3, s1
	s_delay_alu instid0(VALU_DEP_1) | instskip(SKIP_1) | instid1(SALU_CYCLE_1)
	v_add3_u32 v3, v3, v4, v5
	s_lshl_b64 s[0:1], s[0:1], 2
	s_add_u32 s0, s4, s0
	s_addc_u32 s1, s5, s1
	s_delay_alu instid0(VALU_DEP_1) | instskip(NEXT) | instid1(VALU_DEP_1)
	v_lshlrev_b64 v[2:3], 2, v[2:3]
	v_add_co_u32 v2, vcc_lo, s0, v2
	s_delay_alu instid0(VALU_DEP_2) | instskip(SKIP_2) | instid1(VALU_DEP_3)
	v_add_co_ci_u32_e32 v3, vcc_lo, s1, v3, vcc_lo
	s_waitcnt lgkmcnt(0)
	v_mul_f32_e32 v4, s6, v7
	v_add_co_u32 v0, vcc_lo, v2, v0
	s_delay_alu instid0(VALU_DEP_3)
	v_add_co_ci_u32_e32 v1, vcc_lo, v3, v1, vcc_lo
	global_store_b32 v[0:1], v4, off
.LBB977_10:
	s_nop 0
	s_sendmsg sendmsg(MSG_DEALLOC_VGPRS)
	s_endpgm
	.section	.rodata,"a",@progbits
	.p2align	6, 0x0
	.amdhsa_kernel _ZL32rocblas_syrkx_herkx_small_kernelIlfLi16ELb1ELb0ELc84ELc85EKffEviT_T0_PT6_S1_lS4_S1_lS2_PT7_S1_li
		.amdhsa_group_segment_fixed_size 2048
		.amdhsa_private_segment_fixed_size 0
		.amdhsa_kernarg_size 108
		.amdhsa_user_sgpr_count 13
		.amdhsa_user_sgpr_dispatch_ptr 0
		.amdhsa_user_sgpr_queue_ptr 0
		.amdhsa_user_sgpr_kernarg_segment_ptr 1
		.amdhsa_user_sgpr_dispatch_id 0
		.amdhsa_user_sgpr_private_segment_size 0
		.amdhsa_wavefront_size32 1
		.amdhsa_uses_dynamic_stack 0
		.amdhsa_enable_private_segment 0
		.amdhsa_system_sgpr_workgroup_id_x 1
		.amdhsa_system_sgpr_workgroup_id_y 1
		.amdhsa_system_sgpr_workgroup_id_z 1
		.amdhsa_system_sgpr_workgroup_info 0
		.amdhsa_system_vgpr_workitem_id 1
		.amdhsa_next_free_vgpr 29
		.amdhsa_next_free_sgpr 22
		.amdhsa_reserve_vcc 1
		.amdhsa_float_round_mode_32 0
		.amdhsa_float_round_mode_16_64 0
		.amdhsa_float_denorm_mode_32 3
		.amdhsa_float_denorm_mode_16_64 3
		.amdhsa_dx10_clamp 1
		.amdhsa_ieee_mode 1
		.amdhsa_fp16_overflow 0
		.amdhsa_workgroup_processor_mode 1
		.amdhsa_memory_ordered 1
		.amdhsa_forward_progress 0
		.amdhsa_shared_vgpr_count 0
		.amdhsa_exception_fp_ieee_invalid_op 0
		.amdhsa_exception_fp_denorm_src 0
		.amdhsa_exception_fp_ieee_div_zero 0
		.amdhsa_exception_fp_ieee_overflow 0
		.amdhsa_exception_fp_ieee_underflow 0
		.amdhsa_exception_fp_ieee_inexact 0
		.amdhsa_exception_int_div_zero 0
	.end_amdhsa_kernel
	.section	.text._ZL32rocblas_syrkx_herkx_small_kernelIlfLi16ELb1ELb0ELc84ELc85EKffEviT_T0_PT6_S1_lS4_S1_lS2_PT7_S1_li,"axG",@progbits,_ZL32rocblas_syrkx_herkx_small_kernelIlfLi16ELb1ELb0ELc84ELc85EKffEviT_T0_PT6_S1_lS4_S1_lS2_PT7_S1_li,comdat
.Lfunc_end977:
	.size	_ZL32rocblas_syrkx_herkx_small_kernelIlfLi16ELb1ELb0ELc84ELc85EKffEviT_T0_PT6_S1_lS4_S1_lS2_PT7_S1_li, .Lfunc_end977-_ZL32rocblas_syrkx_herkx_small_kernelIlfLi16ELb1ELb0ELc84ELc85EKffEviT_T0_PT6_S1_lS4_S1_lS2_PT7_S1_li
                                        ; -- End function
	.section	.AMDGPU.csdata,"",@progbits
; Kernel info:
; codeLenInByte = 1024
; NumSgprs: 24
; NumVgprs: 29
; ScratchSize: 0
; MemoryBound: 0
; FloatMode: 240
; IeeeMode: 1
; LDSByteSize: 2048 bytes/workgroup (compile time only)
; SGPRBlocks: 2
; VGPRBlocks: 3
; NumSGPRsForWavesPerEU: 24
; NumVGPRsForWavesPerEU: 29
; Occupancy: 16
; WaveLimiterHint : 0
; COMPUTE_PGM_RSRC2:SCRATCH_EN: 0
; COMPUTE_PGM_RSRC2:USER_SGPR: 13
; COMPUTE_PGM_RSRC2:TRAP_HANDLER: 0
; COMPUTE_PGM_RSRC2:TGID_X_EN: 1
; COMPUTE_PGM_RSRC2:TGID_Y_EN: 1
; COMPUTE_PGM_RSRC2:TGID_Z_EN: 1
; COMPUTE_PGM_RSRC2:TIDIG_COMP_CNT: 1
	.section	.text._ZL32rocblas_syrkx_herkx_small_kernelIlfLi16ELb1ELb0ELc67ELc85EKffEviT_T0_PT6_S1_lS4_S1_lS2_PT7_S1_li,"axG",@progbits,_ZL32rocblas_syrkx_herkx_small_kernelIlfLi16ELb1ELb0ELc67ELc85EKffEviT_T0_PT6_S1_lS4_S1_lS2_PT7_S1_li,comdat
	.globl	_ZL32rocblas_syrkx_herkx_small_kernelIlfLi16ELb1ELb0ELc67ELc85EKffEviT_T0_PT6_S1_lS4_S1_lS2_PT7_S1_li ; -- Begin function _ZL32rocblas_syrkx_herkx_small_kernelIlfLi16ELb1ELb0ELc67ELc85EKffEviT_T0_PT6_S1_lS4_S1_lS2_PT7_S1_li
	.p2align	8
	.type	_ZL32rocblas_syrkx_herkx_small_kernelIlfLi16ELb1ELb0ELc67ELc85EKffEviT_T0_PT6_S1_lS4_S1_lS2_PT7_S1_li,@function
_ZL32rocblas_syrkx_herkx_small_kernelIlfLi16ELb1ELb0ELc67ELc85EKffEviT_T0_PT6_S1_lS4_S1_lS2_PT7_S1_li: ; @_ZL32rocblas_syrkx_herkx_small_kernelIlfLi16ELb1ELb0ELc67ELc85EKffEviT_T0_PT6_S1_lS4_S1_lS2_PT7_S1_li
; %bb.0:
	s_clause 0x1
	s_load_b64 s[20:21], s[0:1], 0x8
	s_load_b32 s12, s[0:1], 0x0
	v_and_b32_e32 v9, 0x3ff, v0
	v_bfe_u32 v10, v0, 10, 10
	s_delay_alu instid0(VALU_DEP_2) | instskip(NEXT) | instid1(VALU_DEP_2)
	v_lshl_add_u32 v0, s13, 4, v9
	v_lshl_add_u32 v6, s14, 4, v10
	s_delay_alu instid0(VALU_DEP_2) | instskip(NEXT) | instid1(VALU_DEP_2)
	v_ashrrev_i32_e32 v1, 31, v0
	v_ashrrev_i32_e32 v8, 31, v6
	s_waitcnt lgkmcnt(0)
	v_cmp_lt_i64_e64 s3, s[20:21], 1
	v_cmp_gt_i32_e64 s2, s12, v6
	s_delay_alu instid0(VALU_DEP_2)
	s_and_b32 vcc_lo, exec_lo, s3
	s_cbranch_vccnz .LBB978_7
; %bb.1:
	s_clause 0x1
	s_load_b128 s[16:19], s[0:1], 0x38
	s_load_b256 s[4:11], s[0:1], 0x18
	v_dual_mov_b32 v7, 0 :: v_dual_lshlrev_b32 v2, 6, v10
	v_lshlrev_b32_e32 v11, 2, v9
	v_lshlrev_b32_e32 v15, 2, v10
	v_cmp_gt_i32_e64 s3, s12, v0
	s_delay_alu instid0(VALU_DEP_4) | instskip(NEXT) | instid1(VALU_DEP_4)
	v_add_nc_u32_e32 v12, 0x400, v2
	v_add_nc_u32_e32 v13, v11, v2
	s_delay_alu instid0(VALU_DEP_2)
	v_add_nc_u32_e32 v14, v12, v11
	s_waitcnt lgkmcnt(0)
	v_mul_lo_u32 v16, s17, v6
	v_mul_lo_u32 v17, s16, v8
	v_mad_u64_u32 v[2:3], null, s16, v6, 0
	v_mul_lo_u32 v18, s7, v0
	v_mul_lo_u32 v19, s6, v1
	v_mad_u64_u32 v[4:5], null, s6, v0, 0
	s_mul_i32 s13, s19, s15
	s_mul_hi_u32 s7, s18, s15
	s_delay_alu instid0(VALU_DEP_4) | instskip(SKIP_3) | instid1(VALU_DEP_2)
	v_add3_u32 v3, v3, v17, v16
	s_mul_i32 s6, s18, s15
	s_add_i32 s7, s7, s13
	s_mul_i32 s9, s9, s15
	v_add3_u32 v5, v5, v19, v18
	v_lshlrev_b64 v[2:3], 2, v[2:3]
	s_mul_hi_u32 s14, s8, s15
	s_lshl_b64 s[6:7], s[6:7], 2
	s_mul_i32 s8, s8, s15
	v_lshlrev_b64 v[4:5], 2, v[4:5]
	s_add_i32 s9, s14, s9
	v_add_co_u32 v2, vcc_lo, v2, s6
	s_lshl_b64 s[8:9], s[8:9], 2
	v_add_co_ci_u32_e32 v3, vcc_lo, s7, v3, vcc_lo
	s_delay_alu instid0(VALU_DEP_3) | instskip(SKIP_2) | instid1(VALU_DEP_4)
	v_add_co_u32 v4, vcc_lo, v4, s8
	v_add_co_ci_u32_e32 v5, vcc_lo, s9, v5, vcc_lo
	v_add_co_u32 v2, vcc_lo, v2, v11
	v_add_co_ci_u32_e32 v3, vcc_lo, 0, v3, vcc_lo
	s_delay_alu instid0(VALU_DEP_4) | instskip(NEXT) | instid1(VALU_DEP_4)
	v_add_co_u32 v4, vcc_lo, v4, v15
	v_add_co_ci_u32_e32 v5, vcc_lo, 0, v5, vcc_lo
	s_delay_alu instid0(VALU_DEP_4) | instskip(NEXT) | instid1(VALU_DEP_4)
	v_add_co_u32 v2, vcc_lo, s10, v2
	v_add_co_ci_u32_e32 v3, vcc_lo, s11, v3, vcc_lo
	s_delay_alu instid0(VALU_DEP_4) | instskip(NEXT) | instid1(VALU_DEP_4)
	v_add_co_u32 v4, vcc_lo, s4, v4
	v_add_co_ci_u32_e32 v5, vcc_lo, s5, v5, vcc_lo
	s_mov_b64 s[4:5], 0
	s_branch .LBB978_3
.LBB978_2:                              ;   in Loop: Header=BB978_3 Depth=1
	s_or_b32 exec_lo, exec_lo, s6
	s_waitcnt vmcnt(0)
	ds_store_b32 v14, v16
	s_waitcnt lgkmcnt(0)
	s_barrier
	buffer_gl0_inv
	ds_load_2addr_b32 v[23:24], v11 offset1:16
	ds_load_b128 v[15:18], v12
	ds_load_2addr_b32 v[25:26], v11 offset0:32 offset1:48
	ds_load_b128 v[19:22], v12 offset:16
	ds_load_2addr_b32 v[27:28], v11 offset0:64 offset1:80
	s_add_u32 s4, s4, 16
	s_addc_u32 s5, s5, 0
	v_add_co_u32 v2, vcc_lo, v2, 64
	v_add_co_ci_u32_e32 v3, vcc_lo, 0, v3, vcc_lo
	v_cmp_ge_i64_e64 s6, s[4:5], s[20:21]
	v_add_co_u32 v4, vcc_lo, v4, 64
	v_add_co_ci_u32_e32 v5, vcc_lo, 0, v5, vcc_lo
	s_delay_alu instid0(VALU_DEP_3) | instskip(SKIP_2) | instid1(VALU_DEP_1)
	s_and_b32 vcc_lo, exec_lo, s6
	s_waitcnt lgkmcnt(3)
	v_fmac_f32_e32 v7, v23, v15
	v_fmac_f32_e32 v7, v24, v16
	ds_load_2addr_b32 v[23:24], v11 offset0:96 offset1:112
	s_waitcnt lgkmcnt(3)
	v_fmac_f32_e32 v7, v25, v17
	s_delay_alu instid0(VALU_DEP_1) | instskip(SKIP_4) | instid1(VALU_DEP_1)
	v_fmac_f32_e32 v7, v26, v18
	ds_load_2addr_b32 v[25:26], v11 offset0:128 offset1:144
	ds_load_b128 v[15:18], v12 offset:32
	s_waitcnt lgkmcnt(3)
	v_fmac_f32_e32 v7, v27, v19
	v_fmac_f32_e32 v7, v28, v20
	ds_load_2addr_b32 v[27:28], v11 offset0:160 offset1:176
	s_waitcnt lgkmcnt(3)
	v_fmac_f32_e32 v7, v23, v21
	s_delay_alu instid0(VALU_DEP_1) | instskip(SKIP_4) | instid1(VALU_DEP_1)
	v_fmac_f32_e32 v7, v24, v22
	ds_load_b128 v[19:22], v12 offset:48
	ds_load_2addr_b32 v[23:24], v11 offset0:192 offset1:208
	s_waitcnt lgkmcnt(3)
	v_fmac_f32_e32 v7, v25, v15
	v_fmac_f32_e32 v7, v26, v16
	ds_load_2addr_b32 v[15:16], v11 offset0:224 offset1:240
	s_waitcnt lgkmcnt(0)
	s_barrier
	buffer_gl0_inv
	v_fmac_f32_e32 v7, v27, v17
	s_delay_alu instid0(VALU_DEP_1) | instskip(NEXT) | instid1(VALU_DEP_1)
	v_fmac_f32_e32 v7, v28, v18
	v_fmac_f32_e32 v7, v23, v19
	s_delay_alu instid0(VALU_DEP_1) | instskip(NEXT) | instid1(VALU_DEP_1)
	v_fmac_f32_e32 v7, v24, v20
	v_fmac_f32_e32 v7, v15, v21
	s_delay_alu instid0(VALU_DEP_1)
	v_fmac_f32_e32 v7, v16, v22
	s_cbranch_vccnz .LBB978_8
.LBB978_3:                              ; =>This Inner Loop Header: Depth=1
	v_add_co_u32 v15, s6, v10, s4
	s_delay_alu instid0(VALU_DEP_1) | instskip(NEXT) | instid1(VALU_DEP_1)
	v_add_co_ci_u32_e64 v16, null, 0, s5, s6
	v_cmp_gt_i64_e32 vcc_lo, s[20:21], v[15:16]
	v_mov_b32_e32 v15, 0
	s_and_b32 s7, s3, vcc_lo
	s_delay_alu instid0(SALU_CYCLE_1)
	s_and_saveexec_b32 s6, s7
	s_cbranch_execz .LBB978_5
; %bb.4:                                ;   in Loop: Header=BB978_3 Depth=1
	global_load_b32 v15, v[4:5], off
.LBB978_5:                              ;   in Loop: Header=BB978_3 Depth=1
	s_or_b32 exec_lo, exec_lo, s6
	v_add_co_u32 v16, s6, v9, s4
	s_delay_alu instid0(VALU_DEP_1)
	v_add_co_ci_u32_e64 v17, null, 0, s5, s6
	s_waitcnt vmcnt(0)
	ds_store_b32 v13, v15
	v_cmp_gt_i64_e32 vcc_lo, s[20:21], v[16:17]
	v_mov_b32_e32 v16, 0
	s_and_b32 s7, s2, vcc_lo
	s_delay_alu instid0(SALU_CYCLE_1)
	s_and_saveexec_b32 s6, s7
	s_cbranch_execz .LBB978_2
; %bb.6:                                ;   in Loop: Header=BB978_3 Depth=1
	global_load_b32 v16, v[2:3], off
	s_branch .LBB978_2
.LBB978_7:
	v_mov_b32_e32 v7, 0
.LBB978_8:
	v_cmp_le_i32_e32 vcc_lo, v0, v6
	v_cmp_gt_i32_e64 s2, s12, v6
	s_delay_alu instid0(VALU_DEP_1) | instskip(NEXT) | instid1(SALU_CYCLE_1)
	s_and_b32 s2, vcc_lo, s2
	s_and_saveexec_b32 s3, s2
	s_cbranch_execz .LBB978_10
; %bb.9:
	s_clause 0x1
	s_load_b128 s[4:7], s[0:1], 0x50
	s_load_b64 s[2:3], s[0:1], 0x60
	v_lshlrev_b64 v[0:1], 2, v[0:1]
	s_waitcnt lgkmcnt(0)
	v_mul_lo_u32 v4, v6, s7
	v_mul_lo_u32 v5, v8, s6
	v_mad_u64_u32 v[2:3], null, v6, s6, 0
	s_load_b32 s6, s[0:1], 0x10
	s_mul_i32 s1, s15, s3
	s_mul_hi_u32 s3, s15, s2
	s_mul_i32 s0, s15, s2
	s_add_i32 s1, s3, s1
	s_delay_alu instid0(VALU_DEP_1) | instskip(SKIP_1) | instid1(SALU_CYCLE_1)
	v_add3_u32 v3, v3, v4, v5
	s_lshl_b64 s[0:1], s[0:1], 2
	s_add_u32 s0, s4, s0
	s_addc_u32 s1, s5, s1
	s_delay_alu instid0(VALU_DEP_1) | instskip(NEXT) | instid1(VALU_DEP_1)
	v_lshlrev_b64 v[2:3], 2, v[2:3]
	v_add_co_u32 v2, vcc_lo, s0, v2
	s_delay_alu instid0(VALU_DEP_2) | instskip(SKIP_2) | instid1(VALU_DEP_3)
	v_add_co_ci_u32_e32 v3, vcc_lo, s1, v3, vcc_lo
	s_waitcnt lgkmcnt(0)
	v_mul_f32_e32 v4, s6, v7
	v_add_co_u32 v0, vcc_lo, v2, v0
	s_delay_alu instid0(VALU_DEP_3)
	v_add_co_ci_u32_e32 v1, vcc_lo, v3, v1, vcc_lo
	global_store_b32 v[0:1], v4, off
.LBB978_10:
	s_nop 0
	s_sendmsg sendmsg(MSG_DEALLOC_VGPRS)
	s_endpgm
	.section	.rodata,"a",@progbits
	.p2align	6, 0x0
	.amdhsa_kernel _ZL32rocblas_syrkx_herkx_small_kernelIlfLi16ELb1ELb0ELc67ELc85EKffEviT_T0_PT6_S1_lS4_S1_lS2_PT7_S1_li
		.amdhsa_group_segment_fixed_size 2048
		.amdhsa_private_segment_fixed_size 0
		.amdhsa_kernarg_size 108
		.amdhsa_user_sgpr_count 13
		.amdhsa_user_sgpr_dispatch_ptr 0
		.amdhsa_user_sgpr_queue_ptr 0
		.amdhsa_user_sgpr_kernarg_segment_ptr 1
		.amdhsa_user_sgpr_dispatch_id 0
		.amdhsa_user_sgpr_private_segment_size 0
		.amdhsa_wavefront_size32 1
		.amdhsa_uses_dynamic_stack 0
		.amdhsa_enable_private_segment 0
		.amdhsa_system_sgpr_workgroup_id_x 1
		.amdhsa_system_sgpr_workgroup_id_y 1
		.amdhsa_system_sgpr_workgroup_id_z 1
		.amdhsa_system_sgpr_workgroup_info 0
		.amdhsa_system_vgpr_workitem_id 1
		.amdhsa_next_free_vgpr 29
		.amdhsa_next_free_sgpr 22
		.amdhsa_reserve_vcc 1
		.amdhsa_float_round_mode_32 0
		.amdhsa_float_round_mode_16_64 0
		.amdhsa_float_denorm_mode_32 3
		.amdhsa_float_denorm_mode_16_64 3
		.amdhsa_dx10_clamp 1
		.amdhsa_ieee_mode 1
		.amdhsa_fp16_overflow 0
		.amdhsa_workgroup_processor_mode 1
		.amdhsa_memory_ordered 1
		.amdhsa_forward_progress 0
		.amdhsa_shared_vgpr_count 0
		.amdhsa_exception_fp_ieee_invalid_op 0
		.amdhsa_exception_fp_denorm_src 0
		.amdhsa_exception_fp_ieee_div_zero 0
		.amdhsa_exception_fp_ieee_overflow 0
		.amdhsa_exception_fp_ieee_underflow 0
		.amdhsa_exception_fp_ieee_inexact 0
		.amdhsa_exception_int_div_zero 0
	.end_amdhsa_kernel
	.section	.text._ZL32rocblas_syrkx_herkx_small_kernelIlfLi16ELb1ELb0ELc67ELc85EKffEviT_T0_PT6_S1_lS4_S1_lS2_PT7_S1_li,"axG",@progbits,_ZL32rocblas_syrkx_herkx_small_kernelIlfLi16ELb1ELb0ELc67ELc85EKffEviT_T0_PT6_S1_lS4_S1_lS2_PT7_S1_li,comdat
.Lfunc_end978:
	.size	_ZL32rocblas_syrkx_herkx_small_kernelIlfLi16ELb1ELb0ELc67ELc85EKffEviT_T0_PT6_S1_lS4_S1_lS2_PT7_S1_li, .Lfunc_end978-_ZL32rocblas_syrkx_herkx_small_kernelIlfLi16ELb1ELb0ELc67ELc85EKffEviT_T0_PT6_S1_lS4_S1_lS2_PT7_S1_li
                                        ; -- End function
	.section	.AMDGPU.csdata,"",@progbits
; Kernel info:
; codeLenInByte = 1024
; NumSgprs: 24
; NumVgprs: 29
; ScratchSize: 0
; MemoryBound: 0
; FloatMode: 240
; IeeeMode: 1
; LDSByteSize: 2048 bytes/workgroup (compile time only)
; SGPRBlocks: 2
; VGPRBlocks: 3
; NumSGPRsForWavesPerEU: 24
; NumVGPRsForWavesPerEU: 29
; Occupancy: 16
; WaveLimiterHint : 0
; COMPUTE_PGM_RSRC2:SCRATCH_EN: 0
; COMPUTE_PGM_RSRC2:USER_SGPR: 13
; COMPUTE_PGM_RSRC2:TRAP_HANDLER: 0
; COMPUTE_PGM_RSRC2:TGID_X_EN: 1
; COMPUTE_PGM_RSRC2:TGID_Y_EN: 1
; COMPUTE_PGM_RSRC2:TGID_Z_EN: 1
; COMPUTE_PGM_RSRC2:TIDIG_COMP_CNT: 1
	.section	.text._ZL32rocblas_syrkx_herkx_small_kernelIlfLi16ELb1ELb0ELc78ELc85EKffEviT_T0_PT6_S1_lS4_S1_lS2_PT7_S1_li,"axG",@progbits,_ZL32rocblas_syrkx_herkx_small_kernelIlfLi16ELb1ELb0ELc78ELc85EKffEviT_T0_PT6_S1_lS4_S1_lS2_PT7_S1_li,comdat
	.globl	_ZL32rocblas_syrkx_herkx_small_kernelIlfLi16ELb1ELb0ELc78ELc85EKffEviT_T0_PT6_S1_lS4_S1_lS2_PT7_S1_li ; -- Begin function _ZL32rocblas_syrkx_herkx_small_kernelIlfLi16ELb1ELb0ELc78ELc85EKffEviT_T0_PT6_S1_lS4_S1_lS2_PT7_S1_li
	.p2align	8
	.type	_ZL32rocblas_syrkx_herkx_small_kernelIlfLi16ELb1ELb0ELc78ELc85EKffEviT_T0_PT6_S1_lS4_S1_lS2_PT7_S1_li,@function
_ZL32rocblas_syrkx_herkx_small_kernelIlfLi16ELb1ELb0ELc78ELc85EKffEviT_T0_PT6_S1_lS4_S1_lS2_PT7_S1_li: ; @_ZL32rocblas_syrkx_herkx_small_kernelIlfLi16ELb1ELb0ELc78ELc85EKffEviT_T0_PT6_S1_lS4_S1_lS2_PT7_S1_li
; %bb.0:
	s_clause 0x1
	s_load_b64 s[20:21], s[0:1], 0x8
	s_load_b32 s12, s[0:1], 0x0
	v_and_b32_e32 v9, 0x3ff, v0
	v_bfe_u32 v10, v0, 10, 10
	s_delay_alu instid0(VALU_DEP_2) | instskip(NEXT) | instid1(VALU_DEP_2)
	v_lshl_add_u32 v0, s13, 4, v9
	v_lshl_add_u32 v2, s14, 4, v10
	s_delay_alu instid0(VALU_DEP_2) | instskip(NEXT) | instid1(VALU_DEP_2)
	v_ashrrev_i32_e32 v1, 31, v0
	v_ashrrev_i32_e32 v3, 31, v2
	s_waitcnt lgkmcnt(0)
	v_cmp_lt_i64_e64 s3, s[20:21], 1
	v_cmp_gt_i32_e64 s2, s12, v2
	s_delay_alu instid0(VALU_DEP_2)
	s_and_b32 vcc_lo, exec_lo, s3
	s_cbranch_vccnz .LBB979_7
; %bb.1:
	s_clause 0x1
	s_load_b128 s[16:19], s[0:1], 0x38
	s_load_b256 s[4:11], s[0:1], 0x18
	v_dual_mov_b32 v8, 0 :: v_dual_lshlrev_b32 v13, 6, v10
	v_lshlrev_b64 v[15:16], 2, v[2:3]
	v_lshlrev_b64 v[17:18], 2, v[0:1]
	v_lshlrev_b32_e32 v11, 2, v9
	v_cmp_gt_i32_e64 s3, s12, v0
	s_waitcnt lgkmcnt(0)
	v_mad_u64_u32 v[4:5], null, s16, v9, 0
	v_mad_u64_u32 v[6:7], null, s6, v10, 0
	s_mul_i32 s13, s19, s15
	s_mul_hi_u32 s14, s18, s15
	s_mul_i32 s18, s18, s15
	s_add_i32 s19, s14, s13
	s_mul_i32 s9, s9, s15
	s_mul_hi_u32 s22, s8, s15
	s_delay_alu instid0(VALU_DEP_1)
	v_mad_u64_u32 v[19:20], null, s17, v9, v[5:6]
	v_mad_u64_u32 v[20:21], null, s7, v10, v[7:8]
	v_add_nc_u32_e32 v12, 0x400, v13
	s_lshl_b64 s[18:19], s[18:19], 2
	s_mul_i32 s8, s8, s15
	s_add_i32 s9, s22, s9
	s_delay_alu instid0(VALU_DEP_3) | instskip(SKIP_1) | instid1(VALU_DEP_3)
	v_mov_b32_e32 v5, v19
	s_lshl_b64 s[8:9], s[8:9], 2
	v_mov_b32_e32 v7, v20
	v_add_nc_u32_e32 v13, v11, v13
	v_add_nc_u32_e32 v14, v12, v11
	v_lshlrev_b64 v[4:5], 2, v[4:5]
	s_lshl_b64 s[6:7], s[6:7], 6
	v_lshlrev_b64 v[6:7], 2, v[6:7]
	s_delay_alu instid0(VALU_DEP_2) | instskip(NEXT) | instid1(VALU_DEP_3)
	v_add_co_u32 v4, vcc_lo, s18, v4
	v_add_co_ci_u32_e32 v5, vcc_lo, s19, v5, vcc_lo
	s_delay_alu instid0(VALU_DEP_3) | instskip(NEXT) | instid1(VALU_DEP_4)
	v_add_co_u32 v6, vcc_lo, s8, v6
	v_add_co_ci_u32_e32 v7, vcc_lo, s9, v7, vcc_lo
	s_delay_alu instid0(VALU_DEP_4) | instskip(NEXT) | instid1(VALU_DEP_4)
	v_add_co_u32 v4, vcc_lo, v4, v15
	v_add_co_ci_u32_e32 v5, vcc_lo, v5, v16, vcc_lo
	s_delay_alu instid0(VALU_DEP_4) | instskip(NEXT) | instid1(VALU_DEP_4)
	;; [unrolled: 3-line block ×4, first 2 shown]
	v_add_co_u32 v6, vcc_lo, s4, v6
	v_add_co_ci_u32_e32 v7, vcc_lo, s5, v7, vcc_lo
	s_lshl_b64 s[4:5], s[16:17], 6
	s_mov_b64 s[8:9], 0
	s_branch .LBB979_3
.LBB979_2:                              ;   in Loop: Header=BB979_3 Depth=1
	s_or_b32 exec_lo, exec_lo, s10
	s_waitcnt vmcnt(0)
	ds_store_b32 v14, v16
	s_waitcnt lgkmcnt(0)
	s_barrier
	buffer_gl0_inv
	ds_load_2addr_b32 v[23:24], v11 offset1:16
	ds_load_b128 v[15:18], v12
	ds_load_2addr_b32 v[25:26], v11 offset0:32 offset1:48
	ds_load_b128 v[19:22], v12 offset:16
	ds_load_2addr_b32 v[27:28], v11 offset0:64 offset1:80
	s_add_u32 s8, s8, 16
	s_addc_u32 s9, s9, 0
	v_add_co_u32 v4, vcc_lo, v4, s4
	v_add_co_ci_u32_e32 v5, vcc_lo, s5, v5, vcc_lo
	v_cmp_ge_i64_e64 s10, s[8:9], s[20:21]
	v_add_co_u32 v6, vcc_lo, v6, s6
	v_add_co_ci_u32_e32 v7, vcc_lo, s7, v7, vcc_lo
	s_delay_alu instid0(VALU_DEP_3) | instskip(SKIP_2) | instid1(VALU_DEP_1)
	s_and_b32 vcc_lo, exec_lo, s10
	s_waitcnt lgkmcnt(3)
	v_fmac_f32_e32 v8, v23, v15
	v_fmac_f32_e32 v8, v24, v16
	ds_load_2addr_b32 v[23:24], v11 offset0:96 offset1:112
	s_waitcnt lgkmcnt(3)
	v_fmac_f32_e32 v8, v25, v17
	s_delay_alu instid0(VALU_DEP_1) | instskip(SKIP_4) | instid1(VALU_DEP_1)
	v_fmac_f32_e32 v8, v26, v18
	ds_load_2addr_b32 v[25:26], v11 offset0:128 offset1:144
	ds_load_b128 v[15:18], v12 offset:32
	s_waitcnt lgkmcnt(3)
	v_fmac_f32_e32 v8, v27, v19
	v_fmac_f32_e32 v8, v28, v20
	ds_load_2addr_b32 v[27:28], v11 offset0:160 offset1:176
	s_waitcnt lgkmcnt(3)
	v_fmac_f32_e32 v8, v23, v21
	s_delay_alu instid0(VALU_DEP_1) | instskip(SKIP_4) | instid1(VALU_DEP_1)
	v_fmac_f32_e32 v8, v24, v22
	ds_load_b128 v[19:22], v12 offset:48
	ds_load_2addr_b32 v[23:24], v11 offset0:192 offset1:208
	s_waitcnt lgkmcnt(3)
	v_fmac_f32_e32 v8, v25, v15
	v_fmac_f32_e32 v8, v26, v16
	ds_load_2addr_b32 v[15:16], v11 offset0:224 offset1:240
	s_waitcnt lgkmcnt(0)
	s_barrier
	buffer_gl0_inv
	v_fmac_f32_e32 v8, v27, v17
	s_delay_alu instid0(VALU_DEP_1) | instskip(NEXT) | instid1(VALU_DEP_1)
	v_fmac_f32_e32 v8, v28, v18
	v_fmac_f32_e32 v8, v23, v19
	s_delay_alu instid0(VALU_DEP_1) | instskip(NEXT) | instid1(VALU_DEP_1)
	v_fmac_f32_e32 v8, v24, v20
	v_fmac_f32_e32 v8, v15, v21
	s_delay_alu instid0(VALU_DEP_1)
	v_fmac_f32_e32 v8, v16, v22
	s_cbranch_vccnz .LBB979_8
.LBB979_3:                              ; =>This Inner Loop Header: Depth=1
	v_add_co_u32 v15, s10, v10, s8
	s_delay_alu instid0(VALU_DEP_1) | instskip(NEXT) | instid1(VALU_DEP_1)
	v_add_co_ci_u32_e64 v16, null, 0, s9, s10
	v_cmp_gt_i64_e32 vcc_lo, s[20:21], v[15:16]
	v_mov_b32_e32 v15, 0
	s_and_b32 s11, s3, vcc_lo
	s_delay_alu instid0(SALU_CYCLE_1)
	s_and_saveexec_b32 s10, s11
	s_cbranch_execz .LBB979_5
; %bb.4:                                ;   in Loop: Header=BB979_3 Depth=1
	global_load_b32 v15, v[6:7], off
.LBB979_5:                              ;   in Loop: Header=BB979_3 Depth=1
	s_or_b32 exec_lo, exec_lo, s10
	v_add_co_u32 v16, s10, v9, s8
	s_delay_alu instid0(VALU_DEP_1)
	v_add_co_ci_u32_e64 v17, null, 0, s9, s10
	s_waitcnt vmcnt(0)
	ds_store_b32 v13, v15
	v_cmp_gt_i64_e32 vcc_lo, s[20:21], v[16:17]
	v_mov_b32_e32 v16, 0
	s_and_b32 s11, s2, vcc_lo
	s_delay_alu instid0(SALU_CYCLE_1)
	s_and_saveexec_b32 s10, s11
	s_cbranch_execz .LBB979_2
; %bb.6:                                ;   in Loop: Header=BB979_3 Depth=1
	global_load_b32 v16, v[4:5], off
	s_branch .LBB979_2
.LBB979_7:
	v_mov_b32_e32 v8, 0
.LBB979_8:
	v_cmp_le_i32_e32 vcc_lo, v0, v2
	v_cmp_gt_i32_e64 s2, s12, v2
	s_delay_alu instid0(VALU_DEP_1) | instskip(NEXT) | instid1(SALU_CYCLE_1)
	s_and_b32 s2, vcc_lo, s2
	s_and_saveexec_b32 s3, s2
	s_cbranch_execz .LBB979_10
; %bb.9:
	s_clause 0x1
	s_load_b128 s[4:7], s[0:1], 0x50
	s_load_b64 s[2:3], s[0:1], 0x60
	v_lshlrev_b64 v[0:1], 2, v[0:1]
	s_waitcnt lgkmcnt(0)
	v_mul_lo_u32 v5, v2, s7
	v_mul_lo_u32 v6, v3, s6
	v_mad_u64_u32 v[3:4], null, v2, s6, 0
	s_load_b32 s6, s[0:1], 0x10
	s_mul_i32 s1, s15, s3
	s_mul_hi_u32 s3, s15, s2
	s_mul_i32 s0, s15, s2
	s_add_i32 s1, s3, s1
	s_delay_alu instid0(VALU_DEP_1) | instskip(SKIP_1) | instid1(SALU_CYCLE_1)
	v_add3_u32 v4, v4, v5, v6
	s_lshl_b64 s[0:1], s[0:1], 2
	s_add_u32 s0, s4, s0
	s_addc_u32 s1, s5, s1
	s_delay_alu instid0(VALU_DEP_1) | instskip(NEXT) | instid1(VALU_DEP_1)
	v_lshlrev_b64 v[2:3], 2, v[3:4]
	v_add_co_u32 v2, vcc_lo, s0, v2
	s_delay_alu instid0(VALU_DEP_2) | instskip(SKIP_2) | instid1(VALU_DEP_3)
	v_add_co_ci_u32_e32 v3, vcc_lo, s1, v3, vcc_lo
	s_waitcnt lgkmcnt(0)
	v_mul_f32_e32 v4, s6, v8
	v_add_co_u32 v0, vcc_lo, v2, v0
	s_delay_alu instid0(VALU_DEP_3)
	v_add_co_ci_u32_e32 v1, vcc_lo, v3, v1, vcc_lo
	global_store_b32 v[0:1], v4, off
.LBB979_10:
	s_nop 0
	s_sendmsg sendmsg(MSG_DEALLOC_VGPRS)
	s_endpgm
	.section	.rodata,"a",@progbits
	.p2align	6, 0x0
	.amdhsa_kernel _ZL32rocblas_syrkx_herkx_small_kernelIlfLi16ELb1ELb0ELc78ELc85EKffEviT_T0_PT6_S1_lS4_S1_lS2_PT7_S1_li
		.amdhsa_group_segment_fixed_size 2048
		.amdhsa_private_segment_fixed_size 0
		.amdhsa_kernarg_size 108
		.amdhsa_user_sgpr_count 13
		.amdhsa_user_sgpr_dispatch_ptr 0
		.amdhsa_user_sgpr_queue_ptr 0
		.amdhsa_user_sgpr_kernarg_segment_ptr 1
		.amdhsa_user_sgpr_dispatch_id 0
		.amdhsa_user_sgpr_private_segment_size 0
		.amdhsa_wavefront_size32 1
		.amdhsa_uses_dynamic_stack 0
		.amdhsa_enable_private_segment 0
		.amdhsa_system_sgpr_workgroup_id_x 1
		.amdhsa_system_sgpr_workgroup_id_y 1
		.amdhsa_system_sgpr_workgroup_id_z 1
		.amdhsa_system_sgpr_workgroup_info 0
		.amdhsa_system_vgpr_workitem_id 1
		.amdhsa_next_free_vgpr 29
		.amdhsa_next_free_sgpr 23
		.amdhsa_reserve_vcc 1
		.amdhsa_float_round_mode_32 0
		.amdhsa_float_round_mode_16_64 0
		.amdhsa_float_denorm_mode_32 3
		.amdhsa_float_denorm_mode_16_64 3
		.amdhsa_dx10_clamp 1
		.amdhsa_ieee_mode 1
		.amdhsa_fp16_overflow 0
		.amdhsa_workgroup_processor_mode 1
		.amdhsa_memory_ordered 1
		.amdhsa_forward_progress 0
		.amdhsa_shared_vgpr_count 0
		.amdhsa_exception_fp_ieee_invalid_op 0
		.amdhsa_exception_fp_denorm_src 0
		.amdhsa_exception_fp_ieee_div_zero 0
		.amdhsa_exception_fp_ieee_overflow 0
		.amdhsa_exception_fp_ieee_underflow 0
		.amdhsa_exception_fp_ieee_inexact 0
		.amdhsa_exception_int_div_zero 0
	.end_amdhsa_kernel
	.section	.text._ZL32rocblas_syrkx_herkx_small_kernelIlfLi16ELb1ELb0ELc78ELc85EKffEviT_T0_PT6_S1_lS4_S1_lS2_PT7_S1_li,"axG",@progbits,_ZL32rocblas_syrkx_herkx_small_kernelIlfLi16ELb1ELb0ELc78ELc85EKffEviT_T0_PT6_S1_lS4_S1_lS2_PT7_S1_li,comdat
.Lfunc_end979:
	.size	_ZL32rocblas_syrkx_herkx_small_kernelIlfLi16ELb1ELb0ELc78ELc85EKffEviT_T0_PT6_S1_lS4_S1_lS2_PT7_S1_li, .Lfunc_end979-_ZL32rocblas_syrkx_herkx_small_kernelIlfLi16ELb1ELb0ELc78ELc85EKffEviT_T0_PT6_S1_lS4_S1_lS2_PT7_S1_li
                                        ; -- End function
	.section	.AMDGPU.csdata,"",@progbits
; Kernel info:
; codeLenInByte = 1024
; NumSgprs: 25
; NumVgprs: 29
; ScratchSize: 0
; MemoryBound: 0
; FloatMode: 240
; IeeeMode: 1
; LDSByteSize: 2048 bytes/workgroup (compile time only)
; SGPRBlocks: 3
; VGPRBlocks: 3
; NumSGPRsForWavesPerEU: 25
; NumVGPRsForWavesPerEU: 29
; Occupancy: 16
; WaveLimiterHint : 0
; COMPUTE_PGM_RSRC2:SCRATCH_EN: 0
; COMPUTE_PGM_RSRC2:USER_SGPR: 13
; COMPUTE_PGM_RSRC2:TRAP_HANDLER: 0
; COMPUTE_PGM_RSRC2:TGID_X_EN: 1
; COMPUTE_PGM_RSRC2:TGID_Y_EN: 1
; COMPUTE_PGM_RSRC2:TGID_Z_EN: 1
; COMPUTE_PGM_RSRC2:TIDIG_COMP_CNT: 1
	.section	.text._ZL32rocblas_syrkx_herkx_small_kernelIlfLi16ELb0ELb0ELc84ELc76EKffEviT_T0_PT6_S1_lS4_S1_lS2_PT7_S1_li,"axG",@progbits,_ZL32rocblas_syrkx_herkx_small_kernelIlfLi16ELb0ELb0ELc84ELc76EKffEviT_T0_PT6_S1_lS4_S1_lS2_PT7_S1_li,comdat
	.globl	_ZL32rocblas_syrkx_herkx_small_kernelIlfLi16ELb0ELb0ELc84ELc76EKffEviT_T0_PT6_S1_lS4_S1_lS2_PT7_S1_li ; -- Begin function _ZL32rocblas_syrkx_herkx_small_kernelIlfLi16ELb0ELb0ELc84ELc76EKffEviT_T0_PT6_S1_lS4_S1_lS2_PT7_S1_li
	.p2align	8
	.type	_ZL32rocblas_syrkx_herkx_small_kernelIlfLi16ELb0ELb0ELc84ELc76EKffEviT_T0_PT6_S1_lS4_S1_lS2_PT7_S1_li,@function
_ZL32rocblas_syrkx_herkx_small_kernelIlfLi16ELb0ELb0ELc84ELc76EKffEviT_T0_PT6_S1_lS4_S1_lS2_PT7_S1_li: ; @_ZL32rocblas_syrkx_herkx_small_kernelIlfLi16ELb0ELb0ELc84ELc76EKffEviT_T0_PT6_S1_lS4_S1_lS2_PT7_S1_li
; %bb.0:
	s_clause 0x1
	s_load_b64 s[20:21], s[0:1], 0x8
	s_load_b32 s12, s[0:1], 0x0
	v_and_b32_e32 v9, 0x3ff, v0
	v_bfe_u32 v10, v0, 10, 10
	s_delay_alu instid0(VALU_DEP_2) | instskip(NEXT) | instid1(VALU_DEP_2)
	v_lshl_add_u32 v0, s13, 4, v9
	v_lshl_add_u32 v7, s14, 4, v10
	s_delay_alu instid0(VALU_DEP_2) | instskip(NEXT) | instid1(VALU_DEP_2)
	v_ashrrev_i32_e32 v1, 31, v0
	v_ashrrev_i32_e32 v8, 31, v7
	s_waitcnt lgkmcnt(0)
	v_cmp_lt_i64_e64 s3, s[20:21], 1
	v_cmp_gt_i32_e64 s2, s12, v0
	s_delay_alu instid0(VALU_DEP_2)
	s_and_b32 vcc_lo, exec_lo, s3
	s_cbranch_vccnz .LBB980_7
; %bb.1:
	s_clause 0x1
	s_load_b128 s[16:19], s[0:1], 0x38
	s_load_b256 s[4:11], s[0:1], 0x18
	v_lshlrev_b32_e32 v2, 6, v10
	v_dual_mov_b32 v6, 0 :: v_dual_lshlrev_b32 v11, 2, v9
	v_lshlrev_b32_e32 v15, 2, v10
	v_cmp_gt_i32_e64 s3, s12, v7
	s_delay_alu instid0(VALU_DEP_4) | instskip(NEXT) | instid1(VALU_DEP_4)
	v_add_nc_u32_e32 v12, 0x400, v2
	v_add_nc_u32_e32 v13, v11, v2
	s_delay_alu instid0(VALU_DEP_2)
	v_add_nc_u32_e32 v14, v12, v11
	s_waitcnt lgkmcnt(0)
	v_mul_lo_u32 v16, s17, v7
	v_mul_lo_u32 v17, s16, v8
	v_mad_u64_u32 v[2:3], null, s16, v7, 0
	v_mul_lo_u32 v18, s7, v0
	v_mul_lo_u32 v19, s6, v1
	v_mad_u64_u32 v[4:5], null, s6, v0, 0
	s_mul_i32 s13, s19, s15
	s_mul_hi_u32 s7, s18, s15
	s_delay_alu instid0(VALU_DEP_4) | instskip(SKIP_3) | instid1(VALU_DEP_2)
	v_add3_u32 v3, v3, v17, v16
	s_mul_i32 s6, s18, s15
	s_add_i32 s7, s7, s13
	s_mul_i32 s9, s9, s15
	v_add3_u32 v5, v5, v19, v18
	v_lshlrev_b64 v[2:3], 2, v[2:3]
	s_mul_hi_u32 s14, s8, s15
	s_lshl_b64 s[6:7], s[6:7], 2
	s_mul_i32 s8, s8, s15
	v_lshlrev_b64 v[4:5], 2, v[4:5]
	s_add_i32 s9, s14, s9
	v_add_co_u32 v2, vcc_lo, v2, s6
	s_lshl_b64 s[8:9], s[8:9], 2
	v_add_co_ci_u32_e32 v3, vcc_lo, s7, v3, vcc_lo
	s_delay_alu instid0(VALU_DEP_3) | instskip(SKIP_2) | instid1(VALU_DEP_4)
	v_add_co_u32 v4, vcc_lo, v4, s8
	v_add_co_ci_u32_e32 v5, vcc_lo, s9, v5, vcc_lo
	v_add_co_u32 v2, vcc_lo, v2, v11
	v_add_co_ci_u32_e32 v3, vcc_lo, 0, v3, vcc_lo
	s_delay_alu instid0(VALU_DEP_4) | instskip(NEXT) | instid1(VALU_DEP_4)
	v_add_co_u32 v4, vcc_lo, v4, v15
	v_add_co_ci_u32_e32 v5, vcc_lo, 0, v5, vcc_lo
	s_delay_alu instid0(VALU_DEP_4) | instskip(NEXT) | instid1(VALU_DEP_4)
	;; [unrolled: 3-line block ×3, first 2 shown]
	v_add_co_u32 v4, vcc_lo, s4, v4
	v_add_co_ci_u32_e32 v5, vcc_lo, s5, v5, vcc_lo
	s_mov_b64 s[4:5], 0
	s_branch .LBB980_3
.LBB980_2:                              ;   in Loop: Header=BB980_3 Depth=1
	s_or_b32 exec_lo, exec_lo, s6
	s_waitcnt vmcnt(0)
	ds_store_b32 v14, v16
	s_waitcnt lgkmcnt(0)
	s_barrier
	buffer_gl0_inv
	ds_load_2addr_b32 v[23:24], v11 offset1:16
	ds_load_b128 v[15:18], v12
	ds_load_2addr_b32 v[25:26], v11 offset0:32 offset1:48
	ds_load_b128 v[19:22], v12 offset:16
	ds_load_2addr_b32 v[27:28], v11 offset0:64 offset1:80
	s_add_u32 s4, s4, 16
	s_addc_u32 s5, s5, 0
	v_add_co_u32 v2, vcc_lo, v2, 64
	v_add_co_ci_u32_e32 v3, vcc_lo, 0, v3, vcc_lo
	v_cmp_ge_i64_e64 s6, s[4:5], s[20:21]
	v_add_co_u32 v4, vcc_lo, v4, 64
	v_add_co_ci_u32_e32 v5, vcc_lo, 0, v5, vcc_lo
	s_delay_alu instid0(VALU_DEP_3) | instskip(SKIP_2) | instid1(VALU_DEP_1)
	s_and_b32 vcc_lo, exec_lo, s6
	s_waitcnt lgkmcnt(3)
	v_fmac_f32_e32 v6, v23, v15
	v_fmac_f32_e32 v6, v24, v16
	ds_load_2addr_b32 v[23:24], v11 offset0:96 offset1:112
	s_waitcnt lgkmcnt(3)
	v_fmac_f32_e32 v6, v25, v17
	s_delay_alu instid0(VALU_DEP_1) | instskip(SKIP_4) | instid1(VALU_DEP_1)
	v_fmac_f32_e32 v6, v26, v18
	ds_load_2addr_b32 v[25:26], v11 offset0:128 offset1:144
	ds_load_b128 v[15:18], v12 offset:32
	s_waitcnt lgkmcnt(3)
	v_fmac_f32_e32 v6, v27, v19
	v_fmac_f32_e32 v6, v28, v20
	ds_load_2addr_b32 v[27:28], v11 offset0:160 offset1:176
	s_waitcnt lgkmcnt(3)
	v_fmac_f32_e32 v6, v23, v21
	s_delay_alu instid0(VALU_DEP_1) | instskip(SKIP_4) | instid1(VALU_DEP_1)
	v_fmac_f32_e32 v6, v24, v22
	ds_load_b128 v[19:22], v12 offset:48
	ds_load_2addr_b32 v[23:24], v11 offset0:192 offset1:208
	s_waitcnt lgkmcnt(3)
	v_fmac_f32_e32 v6, v25, v15
	v_fmac_f32_e32 v6, v26, v16
	ds_load_2addr_b32 v[15:16], v11 offset0:224 offset1:240
	s_waitcnt lgkmcnt(0)
	s_barrier
	buffer_gl0_inv
	v_fmac_f32_e32 v6, v27, v17
	s_delay_alu instid0(VALU_DEP_1) | instskip(NEXT) | instid1(VALU_DEP_1)
	v_fmac_f32_e32 v6, v28, v18
	v_fmac_f32_e32 v6, v23, v19
	s_delay_alu instid0(VALU_DEP_1) | instskip(NEXT) | instid1(VALU_DEP_1)
	v_fmac_f32_e32 v6, v24, v20
	v_fmac_f32_e32 v6, v15, v21
	s_delay_alu instid0(VALU_DEP_1)
	v_fmac_f32_e32 v6, v16, v22
	s_cbranch_vccnz .LBB980_8
.LBB980_3:                              ; =>This Inner Loop Header: Depth=1
	v_add_co_u32 v15, s6, v10, s4
	s_delay_alu instid0(VALU_DEP_1) | instskip(NEXT) | instid1(VALU_DEP_1)
	v_add_co_ci_u32_e64 v16, null, 0, s5, s6
	v_cmp_gt_i64_e32 vcc_lo, s[20:21], v[15:16]
	v_mov_b32_e32 v15, 0
	s_and_b32 s7, s2, vcc_lo
	s_delay_alu instid0(SALU_CYCLE_1)
	s_and_saveexec_b32 s6, s7
	s_cbranch_execz .LBB980_5
; %bb.4:                                ;   in Loop: Header=BB980_3 Depth=1
	global_load_b32 v15, v[4:5], off
.LBB980_5:                              ;   in Loop: Header=BB980_3 Depth=1
	s_or_b32 exec_lo, exec_lo, s6
	v_add_co_u32 v16, s6, v9, s4
	s_delay_alu instid0(VALU_DEP_1)
	v_add_co_ci_u32_e64 v17, null, 0, s5, s6
	s_waitcnt vmcnt(0)
	ds_store_b32 v13, v15
	v_cmp_gt_i64_e32 vcc_lo, s[20:21], v[16:17]
	v_mov_b32_e32 v16, 0
	s_and_b32 s7, s3, vcc_lo
	s_delay_alu instid0(SALU_CYCLE_1)
	s_and_saveexec_b32 s6, s7
	s_cbranch_execz .LBB980_2
; %bb.6:                                ;   in Loop: Header=BB980_3 Depth=1
	global_load_b32 v16, v[2:3], off
	s_branch .LBB980_2
.LBB980_7:
	v_mov_b32_e32 v6, 0
.LBB980_8:
	v_cmp_le_i32_e32 vcc_lo, v7, v0
	v_cmp_gt_i32_e64 s2, s12, v0
	s_delay_alu instid0(VALU_DEP_1) | instskip(NEXT) | instid1(SALU_CYCLE_1)
	s_and_b32 s2, vcc_lo, s2
	s_and_saveexec_b32 s3, s2
	s_cbranch_execz .LBB980_10
; %bb.9:
	s_clause 0x1
	s_load_b128 s[4:7], s[0:1], 0x50
	s_load_b64 s[2:3], s[0:1], 0x60
	v_lshlrev_b64 v[0:1], 2, v[0:1]
	s_waitcnt lgkmcnt(0)
	v_mul_lo_u32 v4, v7, s7
	v_mul_lo_u32 v5, v8, s6
	v_mad_u64_u32 v[2:3], null, v7, s6, 0
	s_mul_i32 s3, s15, s3
	s_mul_hi_u32 s6, s15, s2
	s_mul_i32 s2, s15, s2
	s_add_i32 s3, s6, s3
	s_delay_alu instid0(SALU_CYCLE_1) | instskip(NEXT) | instid1(VALU_DEP_1)
	s_lshl_b64 s[2:3], s[2:3], 2
	v_add3_u32 v3, v3, v4, v5
	s_add_u32 s2, s4, s2
	s_addc_u32 s3, s5, s3
	s_delay_alu instid0(VALU_DEP_1) | instskip(NEXT) | instid1(VALU_DEP_1)
	v_lshlrev_b64 v[2:3], 2, v[2:3]
	v_add_co_u32 v2, vcc_lo, s2, v2
	s_delay_alu instid0(VALU_DEP_2) | instskip(NEXT) | instid1(VALU_DEP_2)
	v_add_co_ci_u32_e32 v3, vcc_lo, s3, v3, vcc_lo
	v_add_co_u32 v0, vcc_lo, v2, v0
	s_delay_alu instid0(VALU_DEP_2)
	v_add_co_ci_u32_e32 v1, vcc_lo, v3, v1, vcc_lo
	global_load_b32 v2, v[0:1], off
	s_clause 0x1
	s_load_b32 s2, s[0:1], 0x48
	s_load_b32 s0, s[0:1], 0x10
	s_waitcnt vmcnt(0) lgkmcnt(0)
	v_mul_f32_e32 v2, s2, v2
	s_delay_alu instid0(VALU_DEP_1)
	v_fmac_f32_e32 v2, s0, v6
	global_store_b32 v[0:1], v2, off
.LBB980_10:
	s_nop 0
	s_sendmsg sendmsg(MSG_DEALLOC_VGPRS)
	s_endpgm
	.section	.rodata,"a",@progbits
	.p2align	6, 0x0
	.amdhsa_kernel _ZL32rocblas_syrkx_herkx_small_kernelIlfLi16ELb0ELb0ELc84ELc76EKffEviT_T0_PT6_S1_lS4_S1_lS2_PT7_S1_li
		.amdhsa_group_segment_fixed_size 2048
		.amdhsa_private_segment_fixed_size 0
		.amdhsa_kernarg_size 108
		.amdhsa_user_sgpr_count 13
		.amdhsa_user_sgpr_dispatch_ptr 0
		.amdhsa_user_sgpr_queue_ptr 0
		.amdhsa_user_sgpr_kernarg_segment_ptr 1
		.amdhsa_user_sgpr_dispatch_id 0
		.amdhsa_user_sgpr_private_segment_size 0
		.amdhsa_wavefront_size32 1
		.amdhsa_uses_dynamic_stack 0
		.amdhsa_enable_private_segment 0
		.amdhsa_system_sgpr_workgroup_id_x 1
		.amdhsa_system_sgpr_workgroup_id_y 1
		.amdhsa_system_sgpr_workgroup_id_z 1
		.amdhsa_system_sgpr_workgroup_info 0
		.amdhsa_system_vgpr_workitem_id 1
		.amdhsa_next_free_vgpr 29
		.amdhsa_next_free_sgpr 22
		.amdhsa_reserve_vcc 1
		.amdhsa_float_round_mode_32 0
		.amdhsa_float_round_mode_16_64 0
		.amdhsa_float_denorm_mode_32 3
		.amdhsa_float_denorm_mode_16_64 3
		.amdhsa_dx10_clamp 1
		.amdhsa_ieee_mode 1
		.amdhsa_fp16_overflow 0
		.amdhsa_workgroup_processor_mode 1
		.amdhsa_memory_ordered 1
		.amdhsa_forward_progress 0
		.amdhsa_shared_vgpr_count 0
		.amdhsa_exception_fp_ieee_invalid_op 0
		.amdhsa_exception_fp_denorm_src 0
		.amdhsa_exception_fp_ieee_div_zero 0
		.amdhsa_exception_fp_ieee_overflow 0
		.amdhsa_exception_fp_ieee_underflow 0
		.amdhsa_exception_fp_ieee_inexact 0
		.amdhsa_exception_int_div_zero 0
	.end_amdhsa_kernel
	.section	.text._ZL32rocblas_syrkx_herkx_small_kernelIlfLi16ELb0ELb0ELc84ELc76EKffEviT_T0_PT6_S1_lS4_S1_lS2_PT7_S1_li,"axG",@progbits,_ZL32rocblas_syrkx_herkx_small_kernelIlfLi16ELb0ELb0ELc84ELc76EKffEviT_T0_PT6_S1_lS4_S1_lS2_PT7_S1_li,comdat
.Lfunc_end980:
	.size	_ZL32rocblas_syrkx_herkx_small_kernelIlfLi16ELb0ELb0ELc84ELc76EKffEviT_T0_PT6_S1_lS4_S1_lS2_PT7_S1_li, .Lfunc_end980-_ZL32rocblas_syrkx_herkx_small_kernelIlfLi16ELb0ELb0ELc84ELc76EKffEviT_T0_PT6_S1_lS4_S1_lS2_PT7_S1_li
                                        ; -- End function
	.section	.AMDGPU.csdata,"",@progbits
; Kernel info:
; codeLenInByte = 1052
; NumSgprs: 24
; NumVgprs: 29
; ScratchSize: 0
; MemoryBound: 0
; FloatMode: 240
; IeeeMode: 1
; LDSByteSize: 2048 bytes/workgroup (compile time only)
; SGPRBlocks: 2
; VGPRBlocks: 3
; NumSGPRsForWavesPerEU: 24
; NumVGPRsForWavesPerEU: 29
; Occupancy: 16
; WaveLimiterHint : 0
; COMPUTE_PGM_RSRC2:SCRATCH_EN: 0
; COMPUTE_PGM_RSRC2:USER_SGPR: 13
; COMPUTE_PGM_RSRC2:TRAP_HANDLER: 0
; COMPUTE_PGM_RSRC2:TGID_X_EN: 1
; COMPUTE_PGM_RSRC2:TGID_Y_EN: 1
; COMPUTE_PGM_RSRC2:TGID_Z_EN: 1
; COMPUTE_PGM_RSRC2:TIDIG_COMP_CNT: 1
	.section	.text._ZL32rocblas_syrkx_herkx_small_kernelIlfLi16ELb0ELb0ELc67ELc76EKffEviT_T0_PT6_S1_lS4_S1_lS2_PT7_S1_li,"axG",@progbits,_ZL32rocblas_syrkx_herkx_small_kernelIlfLi16ELb0ELb0ELc67ELc76EKffEviT_T0_PT6_S1_lS4_S1_lS2_PT7_S1_li,comdat
	.globl	_ZL32rocblas_syrkx_herkx_small_kernelIlfLi16ELb0ELb0ELc67ELc76EKffEviT_T0_PT6_S1_lS4_S1_lS2_PT7_S1_li ; -- Begin function _ZL32rocblas_syrkx_herkx_small_kernelIlfLi16ELb0ELb0ELc67ELc76EKffEviT_T0_PT6_S1_lS4_S1_lS2_PT7_S1_li
	.p2align	8
	.type	_ZL32rocblas_syrkx_herkx_small_kernelIlfLi16ELb0ELb0ELc67ELc76EKffEviT_T0_PT6_S1_lS4_S1_lS2_PT7_S1_li,@function
_ZL32rocblas_syrkx_herkx_small_kernelIlfLi16ELb0ELb0ELc67ELc76EKffEviT_T0_PT6_S1_lS4_S1_lS2_PT7_S1_li: ; @_ZL32rocblas_syrkx_herkx_small_kernelIlfLi16ELb0ELb0ELc67ELc76EKffEviT_T0_PT6_S1_lS4_S1_lS2_PT7_S1_li
; %bb.0:
	s_clause 0x1
	s_load_b64 s[20:21], s[0:1], 0x8
	s_load_b32 s12, s[0:1], 0x0
	v_and_b32_e32 v9, 0x3ff, v0
	v_bfe_u32 v10, v0, 10, 10
	s_delay_alu instid0(VALU_DEP_2) | instskip(NEXT) | instid1(VALU_DEP_2)
	v_lshl_add_u32 v0, s13, 4, v9
	v_lshl_add_u32 v7, s14, 4, v10
	s_delay_alu instid0(VALU_DEP_2) | instskip(NEXT) | instid1(VALU_DEP_2)
	v_ashrrev_i32_e32 v1, 31, v0
	v_ashrrev_i32_e32 v8, 31, v7
	s_waitcnt lgkmcnt(0)
	v_cmp_lt_i64_e64 s3, s[20:21], 1
	v_cmp_gt_i32_e64 s2, s12, v0
	s_delay_alu instid0(VALU_DEP_2)
	s_and_b32 vcc_lo, exec_lo, s3
	s_cbranch_vccnz .LBB981_7
; %bb.1:
	s_clause 0x1
	s_load_b128 s[16:19], s[0:1], 0x38
	s_load_b256 s[4:11], s[0:1], 0x18
	v_lshlrev_b32_e32 v2, 6, v10
	v_dual_mov_b32 v6, 0 :: v_dual_lshlrev_b32 v11, 2, v9
	v_lshlrev_b32_e32 v15, 2, v10
	v_cmp_gt_i32_e64 s3, s12, v7
	s_delay_alu instid0(VALU_DEP_4) | instskip(NEXT) | instid1(VALU_DEP_4)
	v_add_nc_u32_e32 v12, 0x400, v2
	v_add_nc_u32_e32 v13, v11, v2
	s_delay_alu instid0(VALU_DEP_2)
	v_add_nc_u32_e32 v14, v12, v11
	s_waitcnt lgkmcnt(0)
	v_mul_lo_u32 v16, s17, v7
	v_mul_lo_u32 v17, s16, v8
	v_mad_u64_u32 v[2:3], null, s16, v7, 0
	v_mul_lo_u32 v18, s7, v0
	v_mul_lo_u32 v19, s6, v1
	v_mad_u64_u32 v[4:5], null, s6, v0, 0
	s_mul_i32 s13, s19, s15
	s_mul_hi_u32 s7, s18, s15
	s_delay_alu instid0(VALU_DEP_4) | instskip(SKIP_3) | instid1(VALU_DEP_2)
	v_add3_u32 v3, v3, v17, v16
	s_mul_i32 s6, s18, s15
	s_add_i32 s7, s7, s13
	s_mul_i32 s9, s9, s15
	v_add3_u32 v5, v5, v19, v18
	v_lshlrev_b64 v[2:3], 2, v[2:3]
	s_mul_hi_u32 s14, s8, s15
	s_lshl_b64 s[6:7], s[6:7], 2
	s_mul_i32 s8, s8, s15
	v_lshlrev_b64 v[4:5], 2, v[4:5]
	s_add_i32 s9, s14, s9
	v_add_co_u32 v2, vcc_lo, v2, s6
	s_lshl_b64 s[8:9], s[8:9], 2
	v_add_co_ci_u32_e32 v3, vcc_lo, s7, v3, vcc_lo
	s_delay_alu instid0(VALU_DEP_3) | instskip(SKIP_2) | instid1(VALU_DEP_4)
	v_add_co_u32 v4, vcc_lo, v4, s8
	v_add_co_ci_u32_e32 v5, vcc_lo, s9, v5, vcc_lo
	v_add_co_u32 v2, vcc_lo, v2, v11
	v_add_co_ci_u32_e32 v3, vcc_lo, 0, v3, vcc_lo
	s_delay_alu instid0(VALU_DEP_4) | instskip(NEXT) | instid1(VALU_DEP_4)
	v_add_co_u32 v4, vcc_lo, v4, v15
	v_add_co_ci_u32_e32 v5, vcc_lo, 0, v5, vcc_lo
	s_delay_alu instid0(VALU_DEP_4) | instskip(NEXT) | instid1(VALU_DEP_4)
	;; [unrolled: 3-line block ×3, first 2 shown]
	v_add_co_u32 v4, vcc_lo, s4, v4
	v_add_co_ci_u32_e32 v5, vcc_lo, s5, v5, vcc_lo
	s_mov_b64 s[4:5], 0
	s_branch .LBB981_3
.LBB981_2:                              ;   in Loop: Header=BB981_3 Depth=1
	s_or_b32 exec_lo, exec_lo, s6
	s_waitcnt vmcnt(0)
	ds_store_b32 v14, v16
	s_waitcnt lgkmcnt(0)
	s_barrier
	buffer_gl0_inv
	ds_load_2addr_b32 v[23:24], v11 offset1:16
	ds_load_b128 v[15:18], v12
	ds_load_2addr_b32 v[25:26], v11 offset0:32 offset1:48
	ds_load_b128 v[19:22], v12 offset:16
	ds_load_2addr_b32 v[27:28], v11 offset0:64 offset1:80
	s_add_u32 s4, s4, 16
	s_addc_u32 s5, s5, 0
	v_add_co_u32 v2, vcc_lo, v2, 64
	v_add_co_ci_u32_e32 v3, vcc_lo, 0, v3, vcc_lo
	v_cmp_ge_i64_e64 s6, s[4:5], s[20:21]
	v_add_co_u32 v4, vcc_lo, v4, 64
	v_add_co_ci_u32_e32 v5, vcc_lo, 0, v5, vcc_lo
	s_delay_alu instid0(VALU_DEP_3) | instskip(SKIP_2) | instid1(VALU_DEP_1)
	s_and_b32 vcc_lo, exec_lo, s6
	s_waitcnt lgkmcnt(3)
	v_fmac_f32_e32 v6, v23, v15
	v_fmac_f32_e32 v6, v24, v16
	ds_load_2addr_b32 v[23:24], v11 offset0:96 offset1:112
	s_waitcnt lgkmcnt(3)
	v_fmac_f32_e32 v6, v25, v17
	s_delay_alu instid0(VALU_DEP_1) | instskip(SKIP_4) | instid1(VALU_DEP_1)
	v_fmac_f32_e32 v6, v26, v18
	ds_load_2addr_b32 v[25:26], v11 offset0:128 offset1:144
	ds_load_b128 v[15:18], v12 offset:32
	s_waitcnt lgkmcnt(3)
	v_fmac_f32_e32 v6, v27, v19
	v_fmac_f32_e32 v6, v28, v20
	ds_load_2addr_b32 v[27:28], v11 offset0:160 offset1:176
	s_waitcnt lgkmcnt(3)
	v_fmac_f32_e32 v6, v23, v21
	s_delay_alu instid0(VALU_DEP_1) | instskip(SKIP_4) | instid1(VALU_DEP_1)
	v_fmac_f32_e32 v6, v24, v22
	ds_load_b128 v[19:22], v12 offset:48
	ds_load_2addr_b32 v[23:24], v11 offset0:192 offset1:208
	s_waitcnt lgkmcnt(3)
	v_fmac_f32_e32 v6, v25, v15
	v_fmac_f32_e32 v6, v26, v16
	ds_load_2addr_b32 v[15:16], v11 offset0:224 offset1:240
	s_waitcnt lgkmcnt(0)
	s_barrier
	buffer_gl0_inv
	v_fmac_f32_e32 v6, v27, v17
	s_delay_alu instid0(VALU_DEP_1) | instskip(NEXT) | instid1(VALU_DEP_1)
	v_fmac_f32_e32 v6, v28, v18
	v_fmac_f32_e32 v6, v23, v19
	s_delay_alu instid0(VALU_DEP_1) | instskip(NEXT) | instid1(VALU_DEP_1)
	v_fmac_f32_e32 v6, v24, v20
	v_fmac_f32_e32 v6, v15, v21
	s_delay_alu instid0(VALU_DEP_1)
	v_fmac_f32_e32 v6, v16, v22
	s_cbranch_vccnz .LBB981_8
.LBB981_3:                              ; =>This Inner Loop Header: Depth=1
	v_add_co_u32 v15, s6, v10, s4
	s_delay_alu instid0(VALU_DEP_1) | instskip(NEXT) | instid1(VALU_DEP_1)
	v_add_co_ci_u32_e64 v16, null, 0, s5, s6
	v_cmp_gt_i64_e32 vcc_lo, s[20:21], v[15:16]
	v_mov_b32_e32 v15, 0
	s_and_b32 s7, s2, vcc_lo
	s_delay_alu instid0(SALU_CYCLE_1)
	s_and_saveexec_b32 s6, s7
	s_cbranch_execz .LBB981_5
; %bb.4:                                ;   in Loop: Header=BB981_3 Depth=1
	global_load_b32 v15, v[4:5], off
.LBB981_5:                              ;   in Loop: Header=BB981_3 Depth=1
	s_or_b32 exec_lo, exec_lo, s6
	v_add_co_u32 v16, s6, v9, s4
	s_delay_alu instid0(VALU_DEP_1)
	v_add_co_ci_u32_e64 v17, null, 0, s5, s6
	s_waitcnt vmcnt(0)
	ds_store_b32 v13, v15
	v_cmp_gt_i64_e32 vcc_lo, s[20:21], v[16:17]
	v_mov_b32_e32 v16, 0
	s_and_b32 s7, s3, vcc_lo
	s_delay_alu instid0(SALU_CYCLE_1)
	s_and_saveexec_b32 s6, s7
	s_cbranch_execz .LBB981_2
; %bb.6:                                ;   in Loop: Header=BB981_3 Depth=1
	global_load_b32 v16, v[2:3], off
	s_branch .LBB981_2
.LBB981_7:
	v_mov_b32_e32 v6, 0
.LBB981_8:
	v_cmp_le_i32_e32 vcc_lo, v7, v0
	v_cmp_gt_i32_e64 s2, s12, v0
	s_delay_alu instid0(VALU_DEP_1) | instskip(NEXT) | instid1(SALU_CYCLE_1)
	s_and_b32 s2, vcc_lo, s2
	s_and_saveexec_b32 s3, s2
	s_cbranch_execz .LBB981_10
; %bb.9:
	s_clause 0x1
	s_load_b128 s[4:7], s[0:1], 0x50
	s_load_b64 s[2:3], s[0:1], 0x60
	v_lshlrev_b64 v[0:1], 2, v[0:1]
	s_waitcnt lgkmcnt(0)
	v_mul_lo_u32 v4, v7, s7
	v_mul_lo_u32 v5, v8, s6
	v_mad_u64_u32 v[2:3], null, v7, s6, 0
	s_mul_i32 s3, s15, s3
	s_mul_hi_u32 s6, s15, s2
	s_mul_i32 s2, s15, s2
	s_add_i32 s3, s6, s3
	s_delay_alu instid0(SALU_CYCLE_1) | instskip(NEXT) | instid1(VALU_DEP_1)
	s_lshl_b64 s[2:3], s[2:3], 2
	v_add3_u32 v3, v3, v4, v5
	s_add_u32 s2, s4, s2
	s_addc_u32 s3, s5, s3
	s_delay_alu instid0(VALU_DEP_1) | instskip(NEXT) | instid1(VALU_DEP_1)
	v_lshlrev_b64 v[2:3], 2, v[2:3]
	v_add_co_u32 v2, vcc_lo, s2, v2
	s_delay_alu instid0(VALU_DEP_2) | instskip(NEXT) | instid1(VALU_DEP_2)
	v_add_co_ci_u32_e32 v3, vcc_lo, s3, v3, vcc_lo
	v_add_co_u32 v0, vcc_lo, v2, v0
	s_delay_alu instid0(VALU_DEP_2)
	v_add_co_ci_u32_e32 v1, vcc_lo, v3, v1, vcc_lo
	global_load_b32 v2, v[0:1], off
	s_clause 0x1
	s_load_b32 s2, s[0:1], 0x48
	s_load_b32 s0, s[0:1], 0x10
	s_waitcnt vmcnt(0) lgkmcnt(0)
	v_mul_f32_e32 v2, s2, v2
	s_delay_alu instid0(VALU_DEP_1)
	v_fmac_f32_e32 v2, s0, v6
	global_store_b32 v[0:1], v2, off
.LBB981_10:
	s_nop 0
	s_sendmsg sendmsg(MSG_DEALLOC_VGPRS)
	s_endpgm
	.section	.rodata,"a",@progbits
	.p2align	6, 0x0
	.amdhsa_kernel _ZL32rocblas_syrkx_herkx_small_kernelIlfLi16ELb0ELb0ELc67ELc76EKffEviT_T0_PT6_S1_lS4_S1_lS2_PT7_S1_li
		.amdhsa_group_segment_fixed_size 2048
		.amdhsa_private_segment_fixed_size 0
		.amdhsa_kernarg_size 108
		.amdhsa_user_sgpr_count 13
		.amdhsa_user_sgpr_dispatch_ptr 0
		.amdhsa_user_sgpr_queue_ptr 0
		.amdhsa_user_sgpr_kernarg_segment_ptr 1
		.amdhsa_user_sgpr_dispatch_id 0
		.amdhsa_user_sgpr_private_segment_size 0
		.amdhsa_wavefront_size32 1
		.amdhsa_uses_dynamic_stack 0
		.amdhsa_enable_private_segment 0
		.amdhsa_system_sgpr_workgroup_id_x 1
		.amdhsa_system_sgpr_workgroup_id_y 1
		.amdhsa_system_sgpr_workgroup_id_z 1
		.amdhsa_system_sgpr_workgroup_info 0
		.amdhsa_system_vgpr_workitem_id 1
		.amdhsa_next_free_vgpr 29
		.amdhsa_next_free_sgpr 22
		.amdhsa_reserve_vcc 1
		.amdhsa_float_round_mode_32 0
		.amdhsa_float_round_mode_16_64 0
		.amdhsa_float_denorm_mode_32 3
		.amdhsa_float_denorm_mode_16_64 3
		.amdhsa_dx10_clamp 1
		.amdhsa_ieee_mode 1
		.amdhsa_fp16_overflow 0
		.amdhsa_workgroup_processor_mode 1
		.amdhsa_memory_ordered 1
		.amdhsa_forward_progress 0
		.amdhsa_shared_vgpr_count 0
		.amdhsa_exception_fp_ieee_invalid_op 0
		.amdhsa_exception_fp_denorm_src 0
		.amdhsa_exception_fp_ieee_div_zero 0
		.amdhsa_exception_fp_ieee_overflow 0
		.amdhsa_exception_fp_ieee_underflow 0
		.amdhsa_exception_fp_ieee_inexact 0
		.amdhsa_exception_int_div_zero 0
	.end_amdhsa_kernel
	.section	.text._ZL32rocblas_syrkx_herkx_small_kernelIlfLi16ELb0ELb0ELc67ELc76EKffEviT_T0_PT6_S1_lS4_S1_lS2_PT7_S1_li,"axG",@progbits,_ZL32rocblas_syrkx_herkx_small_kernelIlfLi16ELb0ELb0ELc67ELc76EKffEviT_T0_PT6_S1_lS4_S1_lS2_PT7_S1_li,comdat
.Lfunc_end981:
	.size	_ZL32rocblas_syrkx_herkx_small_kernelIlfLi16ELb0ELb0ELc67ELc76EKffEviT_T0_PT6_S1_lS4_S1_lS2_PT7_S1_li, .Lfunc_end981-_ZL32rocblas_syrkx_herkx_small_kernelIlfLi16ELb0ELb0ELc67ELc76EKffEviT_T0_PT6_S1_lS4_S1_lS2_PT7_S1_li
                                        ; -- End function
	.section	.AMDGPU.csdata,"",@progbits
; Kernel info:
; codeLenInByte = 1052
; NumSgprs: 24
; NumVgprs: 29
; ScratchSize: 0
; MemoryBound: 0
; FloatMode: 240
; IeeeMode: 1
; LDSByteSize: 2048 bytes/workgroup (compile time only)
; SGPRBlocks: 2
; VGPRBlocks: 3
; NumSGPRsForWavesPerEU: 24
; NumVGPRsForWavesPerEU: 29
; Occupancy: 16
; WaveLimiterHint : 0
; COMPUTE_PGM_RSRC2:SCRATCH_EN: 0
; COMPUTE_PGM_RSRC2:USER_SGPR: 13
; COMPUTE_PGM_RSRC2:TRAP_HANDLER: 0
; COMPUTE_PGM_RSRC2:TGID_X_EN: 1
; COMPUTE_PGM_RSRC2:TGID_Y_EN: 1
; COMPUTE_PGM_RSRC2:TGID_Z_EN: 1
; COMPUTE_PGM_RSRC2:TIDIG_COMP_CNT: 1
	.section	.text._ZL32rocblas_syrkx_herkx_small_kernelIlfLi16ELb0ELb0ELc78ELc76EKffEviT_T0_PT6_S1_lS4_S1_lS2_PT7_S1_li,"axG",@progbits,_ZL32rocblas_syrkx_herkx_small_kernelIlfLi16ELb0ELb0ELc78ELc76EKffEviT_T0_PT6_S1_lS4_S1_lS2_PT7_S1_li,comdat
	.globl	_ZL32rocblas_syrkx_herkx_small_kernelIlfLi16ELb0ELb0ELc78ELc76EKffEviT_T0_PT6_S1_lS4_S1_lS2_PT7_S1_li ; -- Begin function _ZL32rocblas_syrkx_herkx_small_kernelIlfLi16ELb0ELb0ELc78ELc76EKffEviT_T0_PT6_S1_lS4_S1_lS2_PT7_S1_li
	.p2align	8
	.type	_ZL32rocblas_syrkx_herkx_small_kernelIlfLi16ELb0ELb0ELc78ELc76EKffEviT_T0_PT6_S1_lS4_S1_lS2_PT7_S1_li,@function
_ZL32rocblas_syrkx_herkx_small_kernelIlfLi16ELb0ELb0ELc78ELc76EKffEviT_T0_PT6_S1_lS4_S1_lS2_PT7_S1_li: ; @_ZL32rocblas_syrkx_herkx_small_kernelIlfLi16ELb0ELb0ELc78ELc76EKffEviT_T0_PT6_S1_lS4_S1_lS2_PT7_S1_li
; %bb.0:
	s_clause 0x1
	s_load_b64 s[20:21], s[0:1], 0x8
	s_load_b32 s12, s[0:1], 0x0
	v_and_b32_e32 v9, 0x3ff, v0
	v_bfe_u32 v10, v0, 10, 10
	s_delay_alu instid0(VALU_DEP_2) | instskip(NEXT) | instid1(VALU_DEP_2)
	v_lshl_add_u32 v0, s13, 4, v9
	v_lshl_add_u32 v2, s14, 4, v10
	s_delay_alu instid0(VALU_DEP_2) | instskip(NEXT) | instid1(VALU_DEP_2)
	v_ashrrev_i32_e32 v1, 31, v0
	v_ashrrev_i32_e32 v3, 31, v2
	s_waitcnt lgkmcnt(0)
	v_cmp_lt_i64_e64 s3, s[20:21], 1
	v_cmp_gt_i32_e64 s2, s12, v0
	s_delay_alu instid0(VALU_DEP_2)
	s_and_b32 vcc_lo, exec_lo, s3
	s_cbranch_vccnz .LBB982_7
; %bb.1:
	s_clause 0x1
	s_load_b128 s[16:19], s[0:1], 0x38
	s_load_b256 s[4:11], s[0:1], 0x18
	v_dual_mov_b32 v8, 0 :: v_dual_lshlrev_b32 v13, 6, v10
	v_lshlrev_b64 v[15:16], 2, v[2:3]
	v_lshlrev_b64 v[17:18], 2, v[0:1]
	v_lshlrev_b32_e32 v11, 2, v9
	v_cmp_gt_i32_e64 s3, s12, v2
	s_waitcnt lgkmcnt(0)
	v_mad_u64_u32 v[4:5], null, s16, v9, 0
	v_mad_u64_u32 v[6:7], null, s6, v10, 0
	s_mul_i32 s13, s19, s15
	s_mul_hi_u32 s14, s18, s15
	s_mul_i32 s18, s18, s15
	s_add_i32 s19, s14, s13
	s_mul_i32 s9, s9, s15
	s_mul_hi_u32 s22, s8, s15
	s_delay_alu instid0(VALU_DEP_1)
	v_mad_u64_u32 v[19:20], null, s17, v9, v[5:6]
	v_mad_u64_u32 v[20:21], null, s7, v10, v[7:8]
	v_add_nc_u32_e32 v12, 0x400, v13
	s_lshl_b64 s[18:19], s[18:19], 2
	s_mul_i32 s8, s8, s15
	s_add_i32 s9, s22, s9
	s_delay_alu instid0(VALU_DEP_3) | instskip(SKIP_1) | instid1(VALU_DEP_3)
	v_mov_b32_e32 v5, v19
	s_lshl_b64 s[8:9], s[8:9], 2
	v_mov_b32_e32 v7, v20
	v_add_nc_u32_e32 v13, v11, v13
	v_add_nc_u32_e32 v14, v12, v11
	v_lshlrev_b64 v[4:5], 2, v[4:5]
	s_lshl_b64 s[6:7], s[6:7], 6
	v_lshlrev_b64 v[6:7], 2, v[6:7]
	s_delay_alu instid0(VALU_DEP_2) | instskip(NEXT) | instid1(VALU_DEP_3)
	v_add_co_u32 v4, vcc_lo, s18, v4
	v_add_co_ci_u32_e32 v5, vcc_lo, s19, v5, vcc_lo
	s_delay_alu instid0(VALU_DEP_3) | instskip(NEXT) | instid1(VALU_DEP_4)
	v_add_co_u32 v6, vcc_lo, s8, v6
	v_add_co_ci_u32_e32 v7, vcc_lo, s9, v7, vcc_lo
	s_delay_alu instid0(VALU_DEP_4) | instskip(NEXT) | instid1(VALU_DEP_4)
	v_add_co_u32 v4, vcc_lo, v4, v15
	v_add_co_ci_u32_e32 v5, vcc_lo, v5, v16, vcc_lo
	s_delay_alu instid0(VALU_DEP_4) | instskip(NEXT) | instid1(VALU_DEP_4)
	;; [unrolled: 3-line block ×4, first 2 shown]
	v_add_co_u32 v6, vcc_lo, s4, v6
	v_add_co_ci_u32_e32 v7, vcc_lo, s5, v7, vcc_lo
	s_lshl_b64 s[4:5], s[16:17], 6
	s_mov_b64 s[8:9], 0
	s_branch .LBB982_3
.LBB982_2:                              ;   in Loop: Header=BB982_3 Depth=1
	s_or_b32 exec_lo, exec_lo, s10
	s_waitcnt vmcnt(0)
	ds_store_b32 v14, v16
	s_waitcnt lgkmcnt(0)
	s_barrier
	buffer_gl0_inv
	ds_load_2addr_b32 v[23:24], v11 offset1:16
	ds_load_b128 v[15:18], v12
	ds_load_2addr_b32 v[25:26], v11 offset0:32 offset1:48
	ds_load_b128 v[19:22], v12 offset:16
	ds_load_2addr_b32 v[27:28], v11 offset0:64 offset1:80
	s_add_u32 s8, s8, 16
	s_addc_u32 s9, s9, 0
	v_add_co_u32 v4, vcc_lo, v4, s4
	v_add_co_ci_u32_e32 v5, vcc_lo, s5, v5, vcc_lo
	v_cmp_ge_i64_e64 s10, s[8:9], s[20:21]
	v_add_co_u32 v6, vcc_lo, v6, s6
	v_add_co_ci_u32_e32 v7, vcc_lo, s7, v7, vcc_lo
	s_delay_alu instid0(VALU_DEP_3) | instskip(SKIP_2) | instid1(VALU_DEP_1)
	s_and_b32 vcc_lo, exec_lo, s10
	s_waitcnt lgkmcnt(3)
	v_fmac_f32_e32 v8, v23, v15
	v_fmac_f32_e32 v8, v24, v16
	ds_load_2addr_b32 v[23:24], v11 offset0:96 offset1:112
	s_waitcnt lgkmcnt(3)
	v_fmac_f32_e32 v8, v25, v17
	s_delay_alu instid0(VALU_DEP_1) | instskip(SKIP_4) | instid1(VALU_DEP_1)
	v_fmac_f32_e32 v8, v26, v18
	ds_load_2addr_b32 v[25:26], v11 offset0:128 offset1:144
	ds_load_b128 v[15:18], v12 offset:32
	s_waitcnt lgkmcnt(3)
	v_fmac_f32_e32 v8, v27, v19
	v_fmac_f32_e32 v8, v28, v20
	ds_load_2addr_b32 v[27:28], v11 offset0:160 offset1:176
	s_waitcnt lgkmcnt(3)
	v_fmac_f32_e32 v8, v23, v21
	s_delay_alu instid0(VALU_DEP_1) | instskip(SKIP_4) | instid1(VALU_DEP_1)
	v_fmac_f32_e32 v8, v24, v22
	ds_load_b128 v[19:22], v12 offset:48
	ds_load_2addr_b32 v[23:24], v11 offset0:192 offset1:208
	s_waitcnt lgkmcnt(3)
	v_fmac_f32_e32 v8, v25, v15
	v_fmac_f32_e32 v8, v26, v16
	ds_load_2addr_b32 v[15:16], v11 offset0:224 offset1:240
	s_waitcnt lgkmcnt(0)
	s_barrier
	buffer_gl0_inv
	v_fmac_f32_e32 v8, v27, v17
	s_delay_alu instid0(VALU_DEP_1) | instskip(NEXT) | instid1(VALU_DEP_1)
	v_fmac_f32_e32 v8, v28, v18
	v_fmac_f32_e32 v8, v23, v19
	s_delay_alu instid0(VALU_DEP_1) | instskip(NEXT) | instid1(VALU_DEP_1)
	v_fmac_f32_e32 v8, v24, v20
	v_fmac_f32_e32 v8, v15, v21
	s_delay_alu instid0(VALU_DEP_1)
	v_fmac_f32_e32 v8, v16, v22
	s_cbranch_vccnz .LBB982_8
.LBB982_3:                              ; =>This Inner Loop Header: Depth=1
	v_add_co_u32 v15, s10, v10, s8
	s_delay_alu instid0(VALU_DEP_1) | instskip(NEXT) | instid1(VALU_DEP_1)
	v_add_co_ci_u32_e64 v16, null, 0, s9, s10
	v_cmp_gt_i64_e32 vcc_lo, s[20:21], v[15:16]
	v_mov_b32_e32 v15, 0
	s_and_b32 s11, s2, vcc_lo
	s_delay_alu instid0(SALU_CYCLE_1)
	s_and_saveexec_b32 s10, s11
	s_cbranch_execz .LBB982_5
; %bb.4:                                ;   in Loop: Header=BB982_3 Depth=1
	global_load_b32 v15, v[6:7], off
.LBB982_5:                              ;   in Loop: Header=BB982_3 Depth=1
	s_or_b32 exec_lo, exec_lo, s10
	v_add_co_u32 v16, s10, v9, s8
	s_delay_alu instid0(VALU_DEP_1)
	v_add_co_ci_u32_e64 v17, null, 0, s9, s10
	s_waitcnt vmcnt(0)
	ds_store_b32 v13, v15
	v_cmp_gt_i64_e32 vcc_lo, s[20:21], v[16:17]
	v_mov_b32_e32 v16, 0
	s_and_b32 s11, s3, vcc_lo
	s_delay_alu instid0(SALU_CYCLE_1)
	s_and_saveexec_b32 s10, s11
	s_cbranch_execz .LBB982_2
; %bb.6:                                ;   in Loop: Header=BB982_3 Depth=1
	global_load_b32 v16, v[4:5], off
	s_branch .LBB982_2
.LBB982_7:
	v_mov_b32_e32 v8, 0
.LBB982_8:
	v_cmp_le_i32_e32 vcc_lo, v2, v0
	v_cmp_gt_i32_e64 s2, s12, v0
	s_delay_alu instid0(VALU_DEP_1) | instskip(NEXT) | instid1(SALU_CYCLE_1)
	s_and_b32 s2, vcc_lo, s2
	s_and_saveexec_b32 s3, s2
	s_cbranch_execz .LBB982_10
; %bb.9:
	s_clause 0x1
	s_load_b128 s[4:7], s[0:1], 0x50
	s_load_b64 s[2:3], s[0:1], 0x60
	v_lshlrev_b64 v[0:1], 2, v[0:1]
	s_waitcnt lgkmcnt(0)
	v_mul_lo_u32 v5, v2, s7
	v_mul_lo_u32 v6, v3, s6
	v_mad_u64_u32 v[3:4], null, v2, s6, 0
	s_mul_i32 s3, s15, s3
	s_mul_hi_u32 s6, s15, s2
	s_mul_i32 s2, s15, s2
	s_add_i32 s3, s6, s3
	s_delay_alu instid0(SALU_CYCLE_1) | instskip(NEXT) | instid1(VALU_DEP_1)
	s_lshl_b64 s[2:3], s[2:3], 2
	v_add3_u32 v4, v4, v5, v6
	s_add_u32 s2, s4, s2
	s_addc_u32 s3, s5, s3
	s_delay_alu instid0(VALU_DEP_1) | instskip(NEXT) | instid1(VALU_DEP_1)
	v_lshlrev_b64 v[2:3], 2, v[3:4]
	v_add_co_u32 v2, vcc_lo, s2, v2
	s_delay_alu instid0(VALU_DEP_2) | instskip(NEXT) | instid1(VALU_DEP_2)
	v_add_co_ci_u32_e32 v3, vcc_lo, s3, v3, vcc_lo
	v_add_co_u32 v0, vcc_lo, v2, v0
	s_delay_alu instid0(VALU_DEP_2)
	v_add_co_ci_u32_e32 v1, vcc_lo, v3, v1, vcc_lo
	global_load_b32 v2, v[0:1], off
	s_clause 0x1
	s_load_b32 s2, s[0:1], 0x48
	s_load_b32 s0, s[0:1], 0x10
	s_waitcnt vmcnt(0) lgkmcnt(0)
	v_mul_f32_e32 v2, s2, v2
	s_delay_alu instid0(VALU_DEP_1)
	v_fmac_f32_e32 v2, s0, v8
	global_store_b32 v[0:1], v2, off
.LBB982_10:
	s_nop 0
	s_sendmsg sendmsg(MSG_DEALLOC_VGPRS)
	s_endpgm
	.section	.rodata,"a",@progbits
	.p2align	6, 0x0
	.amdhsa_kernel _ZL32rocblas_syrkx_herkx_small_kernelIlfLi16ELb0ELb0ELc78ELc76EKffEviT_T0_PT6_S1_lS4_S1_lS2_PT7_S1_li
		.amdhsa_group_segment_fixed_size 2048
		.amdhsa_private_segment_fixed_size 0
		.amdhsa_kernarg_size 108
		.amdhsa_user_sgpr_count 13
		.amdhsa_user_sgpr_dispatch_ptr 0
		.amdhsa_user_sgpr_queue_ptr 0
		.amdhsa_user_sgpr_kernarg_segment_ptr 1
		.amdhsa_user_sgpr_dispatch_id 0
		.amdhsa_user_sgpr_private_segment_size 0
		.amdhsa_wavefront_size32 1
		.amdhsa_uses_dynamic_stack 0
		.amdhsa_enable_private_segment 0
		.amdhsa_system_sgpr_workgroup_id_x 1
		.amdhsa_system_sgpr_workgroup_id_y 1
		.amdhsa_system_sgpr_workgroup_id_z 1
		.amdhsa_system_sgpr_workgroup_info 0
		.amdhsa_system_vgpr_workitem_id 1
		.amdhsa_next_free_vgpr 29
		.amdhsa_next_free_sgpr 23
		.amdhsa_reserve_vcc 1
		.amdhsa_float_round_mode_32 0
		.amdhsa_float_round_mode_16_64 0
		.amdhsa_float_denorm_mode_32 3
		.amdhsa_float_denorm_mode_16_64 3
		.amdhsa_dx10_clamp 1
		.amdhsa_ieee_mode 1
		.amdhsa_fp16_overflow 0
		.amdhsa_workgroup_processor_mode 1
		.amdhsa_memory_ordered 1
		.amdhsa_forward_progress 0
		.amdhsa_shared_vgpr_count 0
		.amdhsa_exception_fp_ieee_invalid_op 0
		.amdhsa_exception_fp_denorm_src 0
		.amdhsa_exception_fp_ieee_div_zero 0
		.amdhsa_exception_fp_ieee_overflow 0
		.amdhsa_exception_fp_ieee_underflow 0
		.amdhsa_exception_fp_ieee_inexact 0
		.amdhsa_exception_int_div_zero 0
	.end_amdhsa_kernel
	.section	.text._ZL32rocblas_syrkx_herkx_small_kernelIlfLi16ELb0ELb0ELc78ELc76EKffEviT_T0_PT6_S1_lS4_S1_lS2_PT7_S1_li,"axG",@progbits,_ZL32rocblas_syrkx_herkx_small_kernelIlfLi16ELb0ELb0ELc78ELc76EKffEviT_T0_PT6_S1_lS4_S1_lS2_PT7_S1_li,comdat
.Lfunc_end982:
	.size	_ZL32rocblas_syrkx_herkx_small_kernelIlfLi16ELb0ELb0ELc78ELc76EKffEviT_T0_PT6_S1_lS4_S1_lS2_PT7_S1_li, .Lfunc_end982-_ZL32rocblas_syrkx_herkx_small_kernelIlfLi16ELb0ELb0ELc78ELc76EKffEviT_T0_PT6_S1_lS4_S1_lS2_PT7_S1_li
                                        ; -- End function
	.section	.AMDGPU.csdata,"",@progbits
; Kernel info:
; codeLenInByte = 1052
; NumSgprs: 25
; NumVgprs: 29
; ScratchSize: 0
; MemoryBound: 0
; FloatMode: 240
; IeeeMode: 1
; LDSByteSize: 2048 bytes/workgroup (compile time only)
; SGPRBlocks: 3
; VGPRBlocks: 3
; NumSGPRsForWavesPerEU: 25
; NumVGPRsForWavesPerEU: 29
; Occupancy: 16
; WaveLimiterHint : 0
; COMPUTE_PGM_RSRC2:SCRATCH_EN: 0
; COMPUTE_PGM_RSRC2:USER_SGPR: 13
; COMPUTE_PGM_RSRC2:TRAP_HANDLER: 0
; COMPUTE_PGM_RSRC2:TGID_X_EN: 1
; COMPUTE_PGM_RSRC2:TGID_Y_EN: 1
; COMPUTE_PGM_RSRC2:TGID_Z_EN: 1
; COMPUTE_PGM_RSRC2:TIDIG_COMP_CNT: 1
	.section	.text._ZL32rocblas_syrkx_herkx_small_kernelIlfLi16ELb0ELb0ELc84ELc85EKffEviT_T0_PT6_S1_lS4_S1_lS2_PT7_S1_li,"axG",@progbits,_ZL32rocblas_syrkx_herkx_small_kernelIlfLi16ELb0ELb0ELc84ELc85EKffEviT_T0_PT6_S1_lS4_S1_lS2_PT7_S1_li,comdat
	.globl	_ZL32rocblas_syrkx_herkx_small_kernelIlfLi16ELb0ELb0ELc84ELc85EKffEviT_T0_PT6_S1_lS4_S1_lS2_PT7_S1_li ; -- Begin function _ZL32rocblas_syrkx_herkx_small_kernelIlfLi16ELb0ELb0ELc84ELc85EKffEviT_T0_PT6_S1_lS4_S1_lS2_PT7_S1_li
	.p2align	8
	.type	_ZL32rocblas_syrkx_herkx_small_kernelIlfLi16ELb0ELb0ELc84ELc85EKffEviT_T0_PT6_S1_lS4_S1_lS2_PT7_S1_li,@function
_ZL32rocblas_syrkx_herkx_small_kernelIlfLi16ELb0ELb0ELc84ELc85EKffEviT_T0_PT6_S1_lS4_S1_lS2_PT7_S1_li: ; @_ZL32rocblas_syrkx_herkx_small_kernelIlfLi16ELb0ELb0ELc84ELc85EKffEviT_T0_PT6_S1_lS4_S1_lS2_PT7_S1_li
; %bb.0:
	s_clause 0x1
	s_load_b64 s[20:21], s[0:1], 0x8
	s_load_b32 s12, s[0:1], 0x0
	v_and_b32_e32 v9, 0x3ff, v0
	v_bfe_u32 v10, v0, 10, 10
	s_delay_alu instid0(VALU_DEP_2) | instskip(NEXT) | instid1(VALU_DEP_2)
	v_lshl_add_u32 v0, s13, 4, v9
	v_lshl_add_u32 v7, s14, 4, v10
	s_delay_alu instid0(VALU_DEP_2) | instskip(NEXT) | instid1(VALU_DEP_2)
	v_ashrrev_i32_e32 v1, 31, v0
	v_ashrrev_i32_e32 v8, 31, v7
	s_waitcnt lgkmcnt(0)
	v_cmp_lt_i64_e64 s3, s[20:21], 1
	v_cmp_gt_i32_e64 s2, s12, v7
	s_delay_alu instid0(VALU_DEP_2)
	s_and_b32 vcc_lo, exec_lo, s3
	s_cbranch_vccnz .LBB983_7
; %bb.1:
	s_clause 0x1
	s_load_b128 s[16:19], s[0:1], 0x38
	s_load_b256 s[4:11], s[0:1], 0x18
	v_lshlrev_b32_e32 v2, 6, v10
	v_dual_mov_b32 v6, 0 :: v_dual_lshlrev_b32 v11, 2, v9
	v_lshlrev_b32_e32 v15, 2, v10
	v_cmp_gt_i32_e64 s3, s12, v0
	s_delay_alu instid0(VALU_DEP_4) | instskip(NEXT) | instid1(VALU_DEP_4)
	v_add_nc_u32_e32 v12, 0x400, v2
	v_add_nc_u32_e32 v13, v11, v2
	s_delay_alu instid0(VALU_DEP_2)
	v_add_nc_u32_e32 v14, v12, v11
	s_waitcnt lgkmcnt(0)
	v_mul_lo_u32 v16, s17, v7
	v_mul_lo_u32 v17, s16, v8
	v_mad_u64_u32 v[2:3], null, s16, v7, 0
	v_mul_lo_u32 v18, s7, v0
	v_mul_lo_u32 v19, s6, v1
	v_mad_u64_u32 v[4:5], null, s6, v0, 0
	s_mul_i32 s13, s19, s15
	s_mul_hi_u32 s7, s18, s15
	s_delay_alu instid0(VALU_DEP_4) | instskip(SKIP_3) | instid1(VALU_DEP_2)
	v_add3_u32 v3, v3, v17, v16
	s_mul_i32 s6, s18, s15
	s_add_i32 s7, s7, s13
	s_mul_i32 s9, s9, s15
	v_add3_u32 v5, v5, v19, v18
	v_lshlrev_b64 v[2:3], 2, v[2:3]
	s_mul_hi_u32 s14, s8, s15
	s_lshl_b64 s[6:7], s[6:7], 2
	s_mul_i32 s8, s8, s15
	v_lshlrev_b64 v[4:5], 2, v[4:5]
	s_add_i32 s9, s14, s9
	v_add_co_u32 v2, vcc_lo, v2, s6
	s_lshl_b64 s[8:9], s[8:9], 2
	v_add_co_ci_u32_e32 v3, vcc_lo, s7, v3, vcc_lo
	s_delay_alu instid0(VALU_DEP_3) | instskip(SKIP_2) | instid1(VALU_DEP_4)
	v_add_co_u32 v4, vcc_lo, v4, s8
	v_add_co_ci_u32_e32 v5, vcc_lo, s9, v5, vcc_lo
	v_add_co_u32 v2, vcc_lo, v2, v11
	v_add_co_ci_u32_e32 v3, vcc_lo, 0, v3, vcc_lo
	s_delay_alu instid0(VALU_DEP_4) | instskip(NEXT) | instid1(VALU_DEP_4)
	v_add_co_u32 v4, vcc_lo, v4, v15
	v_add_co_ci_u32_e32 v5, vcc_lo, 0, v5, vcc_lo
	s_delay_alu instid0(VALU_DEP_4) | instskip(NEXT) | instid1(VALU_DEP_4)
	;; [unrolled: 3-line block ×3, first 2 shown]
	v_add_co_u32 v4, vcc_lo, s4, v4
	v_add_co_ci_u32_e32 v5, vcc_lo, s5, v5, vcc_lo
	s_mov_b64 s[4:5], 0
	s_branch .LBB983_3
.LBB983_2:                              ;   in Loop: Header=BB983_3 Depth=1
	s_or_b32 exec_lo, exec_lo, s6
	s_waitcnt vmcnt(0)
	ds_store_b32 v14, v16
	s_waitcnt lgkmcnt(0)
	s_barrier
	buffer_gl0_inv
	ds_load_2addr_b32 v[23:24], v11 offset1:16
	ds_load_b128 v[15:18], v12
	ds_load_2addr_b32 v[25:26], v11 offset0:32 offset1:48
	ds_load_b128 v[19:22], v12 offset:16
	ds_load_2addr_b32 v[27:28], v11 offset0:64 offset1:80
	s_add_u32 s4, s4, 16
	s_addc_u32 s5, s5, 0
	v_add_co_u32 v2, vcc_lo, v2, 64
	v_add_co_ci_u32_e32 v3, vcc_lo, 0, v3, vcc_lo
	v_cmp_ge_i64_e64 s6, s[4:5], s[20:21]
	v_add_co_u32 v4, vcc_lo, v4, 64
	v_add_co_ci_u32_e32 v5, vcc_lo, 0, v5, vcc_lo
	s_delay_alu instid0(VALU_DEP_3) | instskip(SKIP_2) | instid1(VALU_DEP_1)
	s_and_b32 vcc_lo, exec_lo, s6
	s_waitcnt lgkmcnt(3)
	v_fmac_f32_e32 v6, v23, v15
	v_fmac_f32_e32 v6, v24, v16
	ds_load_2addr_b32 v[23:24], v11 offset0:96 offset1:112
	s_waitcnt lgkmcnt(3)
	v_fmac_f32_e32 v6, v25, v17
	s_delay_alu instid0(VALU_DEP_1) | instskip(SKIP_4) | instid1(VALU_DEP_1)
	v_fmac_f32_e32 v6, v26, v18
	ds_load_2addr_b32 v[25:26], v11 offset0:128 offset1:144
	ds_load_b128 v[15:18], v12 offset:32
	s_waitcnt lgkmcnt(3)
	v_fmac_f32_e32 v6, v27, v19
	v_fmac_f32_e32 v6, v28, v20
	ds_load_2addr_b32 v[27:28], v11 offset0:160 offset1:176
	s_waitcnt lgkmcnt(3)
	v_fmac_f32_e32 v6, v23, v21
	s_delay_alu instid0(VALU_DEP_1) | instskip(SKIP_4) | instid1(VALU_DEP_1)
	v_fmac_f32_e32 v6, v24, v22
	ds_load_b128 v[19:22], v12 offset:48
	ds_load_2addr_b32 v[23:24], v11 offset0:192 offset1:208
	s_waitcnt lgkmcnt(3)
	v_fmac_f32_e32 v6, v25, v15
	v_fmac_f32_e32 v6, v26, v16
	ds_load_2addr_b32 v[15:16], v11 offset0:224 offset1:240
	s_waitcnt lgkmcnt(0)
	s_barrier
	buffer_gl0_inv
	v_fmac_f32_e32 v6, v27, v17
	s_delay_alu instid0(VALU_DEP_1) | instskip(NEXT) | instid1(VALU_DEP_1)
	v_fmac_f32_e32 v6, v28, v18
	v_fmac_f32_e32 v6, v23, v19
	s_delay_alu instid0(VALU_DEP_1) | instskip(NEXT) | instid1(VALU_DEP_1)
	v_fmac_f32_e32 v6, v24, v20
	v_fmac_f32_e32 v6, v15, v21
	s_delay_alu instid0(VALU_DEP_1)
	v_fmac_f32_e32 v6, v16, v22
	s_cbranch_vccnz .LBB983_8
.LBB983_3:                              ; =>This Inner Loop Header: Depth=1
	v_add_co_u32 v15, s6, v10, s4
	s_delay_alu instid0(VALU_DEP_1) | instskip(NEXT) | instid1(VALU_DEP_1)
	v_add_co_ci_u32_e64 v16, null, 0, s5, s6
	v_cmp_gt_i64_e32 vcc_lo, s[20:21], v[15:16]
	v_mov_b32_e32 v15, 0
	s_and_b32 s7, s3, vcc_lo
	s_delay_alu instid0(SALU_CYCLE_1)
	s_and_saveexec_b32 s6, s7
	s_cbranch_execz .LBB983_5
; %bb.4:                                ;   in Loop: Header=BB983_3 Depth=1
	global_load_b32 v15, v[4:5], off
.LBB983_5:                              ;   in Loop: Header=BB983_3 Depth=1
	s_or_b32 exec_lo, exec_lo, s6
	v_add_co_u32 v16, s6, v9, s4
	s_delay_alu instid0(VALU_DEP_1)
	v_add_co_ci_u32_e64 v17, null, 0, s5, s6
	s_waitcnt vmcnt(0)
	ds_store_b32 v13, v15
	v_cmp_gt_i64_e32 vcc_lo, s[20:21], v[16:17]
	v_mov_b32_e32 v16, 0
	s_and_b32 s7, s2, vcc_lo
	s_delay_alu instid0(SALU_CYCLE_1)
	s_and_saveexec_b32 s6, s7
	s_cbranch_execz .LBB983_2
; %bb.6:                                ;   in Loop: Header=BB983_3 Depth=1
	global_load_b32 v16, v[2:3], off
	s_branch .LBB983_2
.LBB983_7:
	v_mov_b32_e32 v6, 0
.LBB983_8:
	v_cmp_le_i32_e32 vcc_lo, v0, v7
	v_cmp_gt_i32_e64 s2, s12, v7
	s_delay_alu instid0(VALU_DEP_1) | instskip(NEXT) | instid1(SALU_CYCLE_1)
	s_and_b32 s2, vcc_lo, s2
	s_and_saveexec_b32 s3, s2
	s_cbranch_execz .LBB983_10
; %bb.9:
	s_clause 0x1
	s_load_b128 s[4:7], s[0:1], 0x50
	s_load_b64 s[2:3], s[0:1], 0x60
	v_lshlrev_b64 v[0:1], 2, v[0:1]
	s_waitcnt lgkmcnt(0)
	v_mul_lo_u32 v4, v7, s7
	v_mul_lo_u32 v5, v8, s6
	v_mad_u64_u32 v[2:3], null, v7, s6, 0
	s_mul_i32 s3, s15, s3
	s_mul_hi_u32 s6, s15, s2
	s_mul_i32 s2, s15, s2
	s_add_i32 s3, s6, s3
	s_delay_alu instid0(SALU_CYCLE_1) | instskip(NEXT) | instid1(VALU_DEP_1)
	s_lshl_b64 s[2:3], s[2:3], 2
	v_add3_u32 v3, v3, v4, v5
	s_add_u32 s2, s4, s2
	s_addc_u32 s3, s5, s3
	s_delay_alu instid0(VALU_DEP_1) | instskip(NEXT) | instid1(VALU_DEP_1)
	v_lshlrev_b64 v[2:3], 2, v[2:3]
	v_add_co_u32 v2, vcc_lo, s2, v2
	s_delay_alu instid0(VALU_DEP_2) | instskip(NEXT) | instid1(VALU_DEP_2)
	v_add_co_ci_u32_e32 v3, vcc_lo, s3, v3, vcc_lo
	v_add_co_u32 v0, vcc_lo, v2, v0
	s_delay_alu instid0(VALU_DEP_2)
	v_add_co_ci_u32_e32 v1, vcc_lo, v3, v1, vcc_lo
	global_load_b32 v2, v[0:1], off
	s_clause 0x1
	s_load_b32 s2, s[0:1], 0x48
	s_load_b32 s0, s[0:1], 0x10
	s_waitcnt vmcnt(0) lgkmcnt(0)
	v_mul_f32_e32 v2, s2, v2
	s_delay_alu instid0(VALU_DEP_1)
	v_fmac_f32_e32 v2, s0, v6
	global_store_b32 v[0:1], v2, off
.LBB983_10:
	s_nop 0
	s_sendmsg sendmsg(MSG_DEALLOC_VGPRS)
	s_endpgm
	.section	.rodata,"a",@progbits
	.p2align	6, 0x0
	.amdhsa_kernel _ZL32rocblas_syrkx_herkx_small_kernelIlfLi16ELb0ELb0ELc84ELc85EKffEviT_T0_PT6_S1_lS4_S1_lS2_PT7_S1_li
		.amdhsa_group_segment_fixed_size 2048
		.amdhsa_private_segment_fixed_size 0
		.amdhsa_kernarg_size 108
		.amdhsa_user_sgpr_count 13
		.amdhsa_user_sgpr_dispatch_ptr 0
		.amdhsa_user_sgpr_queue_ptr 0
		.amdhsa_user_sgpr_kernarg_segment_ptr 1
		.amdhsa_user_sgpr_dispatch_id 0
		.amdhsa_user_sgpr_private_segment_size 0
		.amdhsa_wavefront_size32 1
		.amdhsa_uses_dynamic_stack 0
		.amdhsa_enable_private_segment 0
		.amdhsa_system_sgpr_workgroup_id_x 1
		.amdhsa_system_sgpr_workgroup_id_y 1
		.amdhsa_system_sgpr_workgroup_id_z 1
		.amdhsa_system_sgpr_workgroup_info 0
		.amdhsa_system_vgpr_workitem_id 1
		.amdhsa_next_free_vgpr 29
		.amdhsa_next_free_sgpr 22
		.amdhsa_reserve_vcc 1
		.amdhsa_float_round_mode_32 0
		.amdhsa_float_round_mode_16_64 0
		.amdhsa_float_denorm_mode_32 3
		.amdhsa_float_denorm_mode_16_64 3
		.amdhsa_dx10_clamp 1
		.amdhsa_ieee_mode 1
		.amdhsa_fp16_overflow 0
		.amdhsa_workgroup_processor_mode 1
		.amdhsa_memory_ordered 1
		.amdhsa_forward_progress 0
		.amdhsa_shared_vgpr_count 0
		.amdhsa_exception_fp_ieee_invalid_op 0
		.amdhsa_exception_fp_denorm_src 0
		.amdhsa_exception_fp_ieee_div_zero 0
		.amdhsa_exception_fp_ieee_overflow 0
		.amdhsa_exception_fp_ieee_underflow 0
		.amdhsa_exception_fp_ieee_inexact 0
		.amdhsa_exception_int_div_zero 0
	.end_amdhsa_kernel
	.section	.text._ZL32rocblas_syrkx_herkx_small_kernelIlfLi16ELb0ELb0ELc84ELc85EKffEviT_T0_PT6_S1_lS4_S1_lS2_PT7_S1_li,"axG",@progbits,_ZL32rocblas_syrkx_herkx_small_kernelIlfLi16ELb0ELb0ELc84ELc85EKffEviT_T0_PT6_S1_lS4_S1_lS2_PT7_S1_li,comdat
.Lfunc_end983:
	.size	_ZL32rocblas_syrkx_herkx_small_kernelIlfLi16ELb0ELb0ELc84ELc85EKffEviT_T0_PT6_S1_lS4_S1_lS2_PT7_S1_li, .Lfunc_end983-_ZL32rocblas_syrkx_herkx_small_kernelIlfLi16ELb0ELb0ELc84ELc85EKffEviT_T0_PT6_S1_lS4_S1_lS2_PT7_S1_li
                                        ; -- End function
	.section	.AMDGPU.csdata,"",@progbits
; Kernel info:
; codeLenInByte = 1052
; NumSgprs: 24
; NumVgprs: 29
; ScratchSize: 0
; MemoryBound: 0
; FloatMode: 240
; IeeeMode: 1
; LDSByteSize: 2048 bytes/workgroup (compile time only)
; SGPRBlocks: 2
; VGPRBlocks: 3
; NumSGPRsForWavesPerEU: 24
; NumVGPRsForWavesPerEU: 29
; Occupancy: 16
; WaveLimiterHint : 0
; COMPUTE_PGM_RSRC2:SCRATCH_EN: 0
; COMPUTE_PGM_RSRC2:USER_SGPR: 13
; COMPUTE_PGM_RSRC2:TRAP_HANDLER: 0
; COMPUTE_PGM_RSRC2:TGID_X_EN: 1
; COMPUTE_PGM_RSRC2:TGID_Y_EN: 1
; COMPUTE_PGM_RSRC2:TGID_Z_EN: 1
; COMPUTE_PGM_RSRC2:TIDIG_COMP_CNT: 1
	.section	.text._ZL32rocblas_syrkx_herkx_small_kernelIlfLi16ELb0ELb0ELc67ELc85EKffEviT_T0_PT6_S1_lS4_S1_lS2_PT7_S1_li,"axG",@progbits,_ZL32rocblas_syrkx_herkx_small_kernelIlfLi16ELb0ELb0ELc67ELc85EKffEviT_T0_PT6_S1_lS4_S1_lS2_PT7_S1_li,comdat
	.globl	_ZL32rocblas_syrkx_herkx_small_kernelIlfLi16ELb0ELb0ELc67ELc85EKffEviT_T0_PT6_S1_lS4_S1_lS2_PT7_S1_li ; -- Begin function _ZL32rocblas_syrkx_herkx_small_kernelIlfLi16ELb0ELb0ELc67ELc85EKffEviT_T0_PT6_S1_lS4_S1_lS2_PT7_S1_li
	.p2align	8
	.type	_ZL32rocblas_syrkx_herkx_small_kernelIlfLi16ELb0ELb0ELc67ELc85EKffEviT_T0_PT6_S1_lS4_S1_lS2_PT7_S1_li,@function
_ZL32rocblas_syrkx_herkx_small_kernelIlfLi16ELb0ELb0ELc67ELc85EKffEviT_T0_PT6_S1_lS4_S1_lS2_PT7_S1_li: ; @_ZL32rocblas_syrkx_herkx_small_kernelIlfLi16ELb0ELb0ELc67ELc85EKffEviT_T0_PT6_S1_lS4_S1_lS2_PT7_S1_li
; %bb.0:
	s_clause 0x1
	s_load_b64 s[20:21], s[0:1], 0x8
	s_load_b32 s12, s[0:1], 0x0
	v_and_b32_e32 v9, 0x3ff, v0
	v_bfe_u32 v10, v0, 10, 10
	s_delay_alu instid0(VALU_DEP_2) | instskip(NEXT) | instid1(VALU_DEP_2)
	v_lshl_add_u32 v0, s13, 4, v9
	v_lshl_add_u32 v7, s14, 4, v10
	s_delay_alu instid0(VALU_DEP_2) | instskip(NEXT) | instid1(VALU_DEP_2)
	v_ashrrev_i32_e32 v1, 31, v0
	v_ashrrev_i32_e32 v8, 31, v7
	s_waitcnt lgkmcnt(0)
	v_cmp_lt_i64_e64 s3, s[20:21], 1
	v_cmp_gt_i32_e64 s2, s12, v7
	s_delay_alu instid0(VALU_DEP_2)
	s_and_b32 vcc_lo, exec_lo, s3
	s_cbranch_vccnz .LBB984_7
; %bb.1:
	s_clause 0x1
	s_load_b128 s[16:19], s[0:1], 0x38
	s_load_b256 s[4:11], s[0:1], 0x18
	v_lshlrev_b32_e32 v2, 6, v10
	v_dual_mov_b32 v6, 0 :: v_dual_lshlrev_b32 v11, 2, v9
	v_lshlrev_b32_e32 v15, 2, v10
	v_cmp_gt_i32_e64 s3, s12, v0
	s_delay_alu instid0(VALU_DEP_4) | instskip(NEXT) | instid1(VALU_DEP_4)
	v_add_nc_u32_e32 v12, 0x400, v2
	v_add_nc_u32_e32 v13, v11, v2
	s_delay_alu instid0(VALU_DEP_2)
	v_add_nc_u32_e32 v14, v12, v11
	s_waitcnt lgkmcnt(0)
	v_mul_lo_u32 v16, s17, v7
	v_mul_lo_u32 v17, s16, v8
	v_mad_u64_u32 v[2:3], null, s16, v7, 0
	v_mul_lo_u32 v18, s7, v0
	v_mul_lo_u32 v19, s6, v1
	v_mad_u64_u32 v[4:5], null, s6, v0, 0
	s_mul_i32 s13, s19, s15
	s_mul_hi_u32 s7, s18, s15
	s_delay_alu instid0(VALU_DEP_4) | instskip(SKIP_3) | instid1(VALU_DEP_2)
	v_add3_u32 v3, v3, v17, v16
	s_mul_i32 s6, s18, s15
	s_add_i32 s7, s7, s13
	s_mul_i32 s9, s9, s15
	v_add3_u32 v5, v5, v19, v18
	v_lshlrev_b64 v[2:3], 2, v[2:3]
	s_mul_hi_u32 s14, s8, s15
	s_lshl_b64 s[6:7], s[6:7], 2
	s_mul_i32 s8, s8, s15
	v_lshlrev_b64 v[4:5], 2, v[4:5]
	s_add_i32 s9, s14, s9
	v_add_co_u32 v2, vcc_lo, v2, s6
	s_lshl_b64 s[8:9], s[8:9], 2
	v_add_co_ci_u32_e32 v3, vcc_lo, s7, v3, vcc_lo
	s_delay_alu instid0(VALU_DEP_3) | instskip(SKIP_2) | instid1(VALU_DEP_4)
	v_add_co_u32 v4, vcc_lo, v4, s8
	v_add_co_ci_u32_e32 v5, vcc_lo, s9, v5, vcc_lo
	v_add_co_u32 v2, vcc_lo, v2, v11
	v_add_co_ci_u32_e32 v3, vcc_lo, 0, v3, vcc_lo
	s_delay_alu instid0(VALU_DEP_4) | instskip(NEXT) | instid1(VALU_DEP_4)
	v_add_co_u32 v4, vcc_lo, v4, v15
	v_add_co_ci_u32_e32 v5, vcc_lo, 0, v5, vcc_lo
	s_delay_alu instid0(VALU_DEP_4) | instskip(NEXT) | instid1(VALU_DEP_4)
	;; [unrolled: 3-line block ×3, first 2 shown]
	v_add_co_u32 v4, vcc_lo, s4, v4
	v_add_co_ci_u32_e32 v5, vcc_lo, s5, v5, vcc_lo
	s_mov_b64 s[4:5], 0
	s_branch .LBB984_3
.LBB984_2:                              ;   in Loop: Header=BB984_3 Depth=1
	s_or_b32 exec_lo, exec_lo, s6
	s_waitcnt vmcnt(0)
	ds_store_b32 v14, v16
	s_waitcnt lgkmcnt(0)
	s_barrier
	buffer_gl0_inv
	ds_load_2addr_b32 v[23:24], v11 offset1:16
	ds_load_b128 v[15:18], v12
	ds_load_2addr_b32 v[25:26], v11 offset0:32 offset1:48
	ds_load_b128 v[19:22], v12 offset:16
	ds_load_2addr_b32 v[27:28], v11 offset0:64 offset1:80
	s_add_u32 s4, s4, 16
	s_addc_u32 s5, s5, 0
	v_add_co_u32 v2, vcc_lo, v2, 64
	v_add_co_ci_u32_e32 v3, vcc_lo, 0, v3, vcc_lo
	v_cmp_ge_i64_e64 s6, s[4:5], s[20:21]
	v_add_co_u32 v4, vcc_lo, v4, 64
	v_add_co_ci_u32_e32 v5, vcc_lo, 0, v5, vcc_lo
	s_delay_alu instid0(VALU_DEP_3) | instskip(SKIP_2) | instid1(VALU_DEP_1)
	s_and_b32 vcc_lo, exec_lo, s6
	s_waitcnt lgkmcnt(3)
	v_fmac_f32_e32 v6, v23, v15
	v_fmac_f32_e32 v6, v24, v16
	ds_load_2addr_b32 v[23:24], v11 offset0:96 offset1:112
	s_waitcnt lgkmcnt(3)
	v_fmac_f32_e32 v6, v25, v17
	s_delay_alu instid0(VALU_DEP_1) | instskip(SKIP_4) | instid1(VALU_DEP_1)
	v_fmac_f32_e32 v6, v26, v18
	ds_load_2addr_b32 v[25:26], v11 offset0:128 offset1:144
	ds_load_b128 v[15:18], v12 offset:32
	s_waitcnt lgkmcnt(3)
	v_fmac_f32_e32 v6, v27, v19
	v_fmac_f32_e32 v6, v28, v20
	ds_load_2addr_b32 v[27:28], v11 offset0:160 offset1:176
	s_waitcnt lgkmcnt(3)
	v_fmac_f32_e32 v6, v23, v21
	s_delay_alu instid0(VALU_DEP_1) | instskip(SKIP_4) | instid1(VALU_DEP_1)
	v_fmac_f32_e32 v6, v24, v22
	ds_load_b128 v[19:22], v12 offset:48
	ds_load_2addr_b32 v[23:24], v11 offset0:192 offset1:208
	s_waitcnt lgkmcnt(3)
	v_fmac_f32_e32 v6, v25, v15
	v_fmac_f32_e32 v6, v26, v16
	ds_load_2addr_b32 v[15:16], v11 offset0:224 offset1:240
	s_waitcnt lgkmcnt(0)
	s_barrier
	buffer_gl0_inv
	v_fmac_f32_e32 v6, v27, v17
	s_delay_alu instid0(VALU_DEP_1) | instskip(NEXT) | instid1(VALU_DEP_1)
	v_fmac_f32_e32 v6, v28, v18
	v_fmac_f32_e32 v6, v23, v19
	s_delay_alu instid0(VALU_DEP_1) | instskip(NEXT) | instid1(VALU_DEP_1)
	v_fmac_f32_e32 v6, v24, v20
	v_fmac_f32_e32 v6, v15, v21
	s_delay_alu instid0(VALU_DEP_1)
	v_fmac_f32_e32 v6, v16, v22
	s_cbranch_vccnz .LBB984_8
.LBB984_3:                              ; =>This Inner Loop Header: Depth=1
	v_add_co_u32 v15, s6, v10, s4
	s_delay_alu instid0(VALU_DEP_1) | instskip(NEXT) | instid1(VALU_DEP_1)
	v_add_co_ci_u32_e64 v16, null, 0, s5, s6
	v_cmp_gt_i64_e32 vcc_lo, s[20:21], v[15:16]
	v_mov_b32_e32 v15, 0
	s_and_b32 s7, s3, vcc_lo
	s_delay_alu instid0(SALU_CYCLE_1)
	s_and_saveexec_b32 s6, s7
	s_cbranch_execz .LBB984_5
; %bb.4:                                ;   in Loop: Header=BB984_3 Depth=1
	global_load_b32 v15, v[4:5], off
.LBB984_5:                              ;   in Loop: Header=BB984_3 Depth=1
	s_or_b32 exec_lo, exec_lo, s6
	v_add_co_u32 v16, s6, v9, s4
	s_delay_alu instid0(VALU_DEP_1)
	v_add_co_ci_u32_e64 v17, null, 0, s5, s6
	s_waitcnt vmcnt(0)
	ds_store_b32 v13, v15
	v_cmp_gt_i64_e32 vcc_lo, s[20:21], v[16:17]
	v_mov_b32_e32 v16, 0
	s_and_b32 s7, s2, vcc_lo
	s_delay_alu instid0(SALU_CYCLE_1)
	s_and_saveexec_b32 s6, s7
	s_cbranch_execz .LBB984_2
; %bb.6:                                ;   in Loop: Header=BB984_3 Depth=1
	global_load_b32 v16, v[2:3], off
	s_branch .LBB984_2
.LBB984_7:
	v_mov_b32_e32 v6, 0
.LBB984_8:
	v_cmp_le_i32_e32 vcc_lo, v0, v7
	v_cmp_gt_i32_e64 s2, s12, v7
	s_delay_alu instid0(VALU_DEP_1) | instskip(NEXT) | instid1(SALU_CYCLE_1)
	s_and_b32 s2, vcc_lo, s2
	s_and_saveexec_b32 s3, s2
	s_cbranch_execz .LBB984_10
; %bb.9:
	s_clause 0x1
	s_load_b128 s[4:7], s[0:1], 0x50
	s_load_b64 s[2:3], s[0:1], 0x60
	v_lshlrev_b64 v[0:1], 2, v[0:1]
	s_waitcnt lgkmcnt(0)
	v_mul_lo_u32 v4, v7, s7
	v_mul_lo_u32 v5, v8, s6
	v_mad_u64_u32 v[2:3], null, v7, s6, 0
	s_mul_i32 s3, s15, s3
	s_mul_hi_u32 s6, s15, s2
	s_mul_i32 s2, s15, s2
	s_add_i32 s3, s6, s3
	s_delay_alu instid0(SALU_CYCLE_1) | instskip(NEXT) | instid1(VALU_DEP_1)
	s_lshl_b64 s[2:3], s[2:3], 2
	v_add3_u32 v3, v3, v4, v5
	s_add_u32 s2, s4, s2
	s_addc_u32 s3, s5, s3
	s_delay_alu instid0(VALU_DEP_1) | instskip(NEXT) | instid1(VALU_DEP_1)
	v_lshlrev_b64 v[2:3], 2, v[2:3]
	v_add_co_u32 v2, vcc_lo, s2, v2
	s_delay_alu instid0(VALU_DEP_2) | instskip(NEXT) | instid1(VALU_DEP_2)
	v_add_co_ci_u32_e32 v3, vcc_lo, s3, v3, vcc_lo
	v_add_co_u32 v0, vcc_lo, v2, v0
	s_delay_alu instid0(VALU_DEP_2)
	v_add_co_ci_u32_e32 v1, vcc_lo, v3, v1, vcc_lo
	global_load_b32 v2, v[0:1], off
	s_clause 0x1
	s_load_b32 s2, s[0:1], 0x48
	s_load_b32 s0, s[0:1], 0x10
	s_waitcnt vmcnt(0) lgkmcnt(0)
	v_mul_f32_e32 v2, s2, v2
	s_delay_alu instid0(VALU_DEP_1)
	v_fmac_f32_e32 v2, s0, v6
	global_store_b32 v[0:1], v2, off
.LBB984_10:
	s_nop 0
	s_sendmsg sendmsg(MSG_DEALLOC_VGPRS)
	s_endpgm
	.section	.rodata,"a",@progbits
	.p2align	6, 0x0
	.amdhsa_kernel _ZL32rocblas_syrkx_herkx_small_kernelIlfLi16ELb0ELb0ELc67ELc85EKffEviT_T0_PT6_S1_lS4_S1_lS2_PT7_S1_li
		.amdhsa_group_segment_fixed_size 2048
		.amdhsa_private_segment_fixed_size 0
		.amdhsa_kernarg_size 108
		.amdhsa_user_sgpr_count 13
		.amdhsa_user_sgpr_dispatch_ptr 0
		.amdhsa_user_sgpr_queue_ptr 0
		.amdhsa_user_sgpr_kernarg_segment_ptr 1
		.amdhsa_user_sgpr_dispatch_id 0
		.amdhsa_user_sgpr_private_segment_size 0
		.amdhsa_wavefront_size32 1
		.amdhsa_uses_dynamic_stack 0
		.amdhsa_enable_private_segment 0
		.amdhsa_system_sgpr_workgroup_id_x 1
		.amdhsa_system_sgpr_workgroup_id_y 1
		.amdhsa_system_sgpr_workgroup_id_z 1
		.amdhsa_system_sgpr_workgroup_info 0
		.amdhsa_system_vgpr_workitem_id 1
		.amdhsa_next_free_vgpr 29
		.amdhsa_next_free_sgpr 22
		.amdhsa_reserve_vcc 1
		.amdhsa_float_round_mode_32 0
		.amdhsa_float_round_mode_16_64 0
		.amdhsa_float_denorm_mode_32 3
		.amdhsa_float_denorm_mode_16_64 3
		.amdhsa_dx10_clamp 1
		.amdhsa_ieee_mode 1
		.amdhsa_fp16_overflow 0
		.amdhsa_workgroup_processor_mode 1
		.amdhsa_memory_ordered 1
		.amdhsa_forward_progress 0
		.amdhsa_shared_vgpr_count 0
		.amdhsa_exception_fp_ieee_invalid_op 0
		.amdhsa_exception_fp_denorm_src 0
		.amdhsa_exception_fp_ieee_div_zero 0
		.amdhsa_exception_fp_ieee_overflow 0
		.amdhsa_exception_fp_ieee_underflow 0
		.amdhsa_exception_fp_ieee_inexact 0
		.amdhsa_exception_int_div_zero 0
	.end_amdhsa_kernel
	.section	.text._ZL32rocblas_syrkx_herkx_small_kernelIlfLi16ELb0ELb0ELc67ELc85EKffEviT_T0_PT6_S1_lS4_S1_lS2_PT7_S1_li,"axG",@progbits,_ZL32rocblas_syrkx_herkx_small_kernelIlfLi16ELb0ELb0ELc67ELc85EKffEviT_T0_PT6_S1_lS4_S1_lS2_PT7_S1_li,comdat
.Lfunc_end984:
	.size	_ZL32rocblas_syrkx_herkx_small_kernelIlfLi16ELb0ELb0ELc67ELc85EKffEviT_T0_PT6_S1_lS4_S1_lS2_PT7_S1_li, .Lfunc_end984-_ZL32rocblas_syrkx_herkx_small_kernelIlfLi16ELb0ELb0ELc67ELc85EKffEviT_T0_PT6_S1_lS4_S1_lS2_PT7_S1_li
                                        ; -- End function
	.section	.AMDGPU.csdata,"",@progbits
; Kernel info:
; codeLenInByte = 1052
; NumSgprs: 24
; NumVgprs: 29
; ScratchSize: 0
; MemoryBound: 0
; FloatMode: 240
; IeeeMode: 1
; LDSByteSize: 2048 bytes/workgroup (compile time only)
; SGPRBlocks: 2
; VGPRBlocks: 3
; NumSGPRsForWavesPerEU: 24
; NumVGPRsForWavesPerEU: 29
; Occupancy: 16
; WaveLimiterHint : 0
; COMPUTE_PGM_RSRC2:SCRATCH_EN: 0
; COMPUTE_PGM_RSRC2:USER_SGPR: 13
; COMPUTE_PGM_RSRC2:TRAP_HANDLER: 0
; COMPUTE_PGM_RSRC2:TGID_X_EN: 1
; COMPUTE_PGM_RSRC2:TGID_Y_EN: 1
; COMPUTE_PGM_RSRC2:TGID_Z_EN: 1
; COMPUTE_PGM_RSRC2:TIDIG_COMP_CNT: 1
	.section	.text._ZL32rocblas_syrkx_herkx_small_kernelIlfLi16ELb0ELb0ELc78ELc85EKffEviT_T0_PT6_S1_lS4_S1_lS2_PT7_S1_li,"axG",@progbits,_ZL32rocblas_syrkx_herkx_small_kernelIlfLi16ELb0ELb0ELc78ELc85EKffEviT_T0_PT6_S1_lS4_S1_lS2_PT7_S1_li,comdat
	.globl	_ZL32rocblas_syrkx_herkx_small_kernelIlfLi16ELb0ELb0ELc78ELc85EKffEviT_T0_PT6_S1_lS4_S1_lS2_PT7_S1_li ; -- Begin function _ZL32rocblas_syrkx_herkx_small_kernelIlfLi16ELb0ELb0ELc78ELc85EKffEviT_T0_PT6_S1_lS4_S1_lS2_PT7_S1_li
	.p2align	8
	.type	_ZL32rocblas_syrkx_herkx_small_kernelIlfLi16ELb0ELb0ELc78ELc85EKffEviT_T0_PT6_S1_lS4_S1_lS2_PT7_S1_li,@function
_ZL32rocblas_syrkx_herkx_small_kernelIlfLi16ELb0ELb0ELc78ELc85EKffEviT_T0_PT6_S1_lS4_S1_lS2_PT7_S1_li: ; @_ZL32rocblas_syrkx_herkx_small_kernelIlfLi16ELb0ELb0ELc78ELc85EKffEviT_T0_PT6_S1_lS4_S1_lS2_PT7_S1_li
; %bb.0:
	s_clause 0x1
	s_load_b64 s[20:21], s[0:1], 0x8
	s_load_b32 s12, s[0:1], 0x0
	v_and_b32_e32 v9, 0x3ff, v0
	v_bfe_u32 v10, v0, 10, 10
	s_delay_alu instid0(VALU_DEP_2) | instskip(NEXT) | instid1(VALU_DEP_2)
	v_lshl_add_u32 v0, s13, 4, v9
	v_lshl_add_u32 v2, s14, 4, v10
	s_delay_alu instid0(VALU_DEP_2) | instskip(NEXT) | instid1(VALU_DEP_2)
	v_ashrrev_i32_e32 v1, 31, v0
	v_ashrrev_i32_e32 v3, 31, v2
	s_waitcnt lgkmcnt(0)
	v_cmp_lt_i64_e64 s3, s[20:21], 1
	v_cmp_gt_i32_e64 s2, s12, v2
	s_delay_alu instid0(VALU_DEP_2)
	s_and_b32 vcc_lo, exec_lo, s3
	s_cbranch_vccnz .LBB985_7
; %bb.1:
	s_clause 0x1
	s_load_b128 s[16:19], s[0:1], 0x38
	s_load_b256 s[4:11], s[0:1], 0x18
	v_dual_mov_b32 v8, 0 :: v_dual_lshlrev_b32 v13, 6, v10
	v_lshlrev_b64 v[15:16], 2, v[2:3]
	v_lshlrev_b64 v[17:18], 2, v[0:1]
	v_lshlrev_b32_e32 v11, 2, v9
	v_cmp_gt_i32_e64 s3, s12, v0
	s_waitcnt lgkmcnt(0)
	v_mad_u64_u32 v[4:5], null, s16, v9, 0
	v_mad_u64_u32 v[6:7], null, s6, v10, 0
	s_mul_i32 s13, s19, s15
	s_mul_hi_u32 s14, s18, s15
	s_mul_i32 s18, s18, s15
	s_add_i32 s19, s14, s13
	s_mul_i32 s9, s9, s15
	s_mul_hi_u32 s22, s8, s15
	s_delay_alu instid0(VALU_DEP_1)
	v_mad_u64_u32 v[19:20], null, s17, v9, v[5:6]
	v_mad_u64_u32 v[20:21], null, s7, v10, v[7:8]
	v_add_nc_u32_e32 v12, 0x400, v13
	s_lshl_b64 s[18:19], s[18:19], 2
	s_mul_i32 s8, s8, s15
	s_add_i32 s9, s22, s9
	s_delay_alu instid0(VALU_DEP_3) | instskip(SKIP_1) | instid1(VALU_DEP_3)
	v_mov_b32_e32 v5, v19
	s_lshl_b64 s[8:9], s[8:9], 2
	v_mov_b32_e32 v7, v20
	v_add_nc_u32_e32 v13, v11, v13
	v_add_nc_u32_e32 v14, v12, v11
	v_lshlrev_b64 v[4:5], 2, v[4:5]
	s_lshl_b64 s[6:7], s[6:7], 6
	v_lshlrev_b64 v[6:7], 2, v[6:7]
	s_delay_alu instid0(VALU_DEP_2) | instskip(NEXT) | instid1(VALU_DEP_3)
	v_add_co_u32 v4, vcc_lo, s18, v4
	v_add_co_ci_u32_e32 v5, vcc_lo, s19, v5, vcc_lo
	s_delay_alu instid0(VALU_DEP_3) | instskip(NEXT) | instid1(VALU_DEP_4)
	v_add_co_u32 v6, vcc_lo, s8, v6
	v_add_co_ci_u32_e32 v7, vcc_lo, s9, v7, vcc_lo
	s_delay_alu instid0(VALU_DEP_4) | instskip(NEXT) | instid1(VALU_DEP_4)
	v_add_co_u32 v4, vcc_lo, v4, v15
	v_add_co_ci_u32_e32 v5, vcc_lo, v5, v16, vcc_lo
	s_delay_alu instid0(VALU_DEP_4) | instskip(NEXT) | instid1(VALU_DEP_4)
	;; [unrolled: 3-line block ×4, first 2 shown]
	v_add_co_u32 v6, vcc_lo, s4, v6
	v_add_co_ci_u32_e32 v7, vcc_lo, s5, v7, vcc_lo
	s_lshl_b64 s[4:5], s[16:17], 6
	s_mov_b64 s[8:9], 0
	s_branch .LBB985_3
.LBB985_2:                              ;   in Loop: Header=BB985_3 Depth=1
	s_or_b32 exec_lo, exec_lo, s10
	s_waitcnt vmcnt(0)
	ds_store_b32 v14, v16
	s_waitcnt lgkmcnt(0)
	s_barrier
	buffer_gl0_inv
	ds_load_2addr_b32 v[23:24], v11 offset1:16
	ds_load_b128 v[15:18], v12
	ds_load_2addr_b32 v[25:26], v11 offset0:32 offset1:48
	ds_load_b128 v[19:22], v12 offset:16
	ds_load_2addr_b32 v[27:28], v11 offset0:64 offset1:80
	s_add_u32 s8, s8, 16
	s_addc_u32 s9, s9, 0
	v_add_co_u32 v4, vcc_lo, v4, s4
	v_add_co_ci_u32_e32 v5, vcc_lo, s5, v5, vcc_lo
	v_cmp_ge_i64_e64 s10, s[8:9], s[20:21]
	v_add_co_u32 v6, vcc_lo, v6, s6
	v_add_co_ci_u32_e32 v7, vcc_lo, s7, v7, vcc_lo
	s_delay_alu instid0(VALU_DEP_3) | instskip(SKIP_2) | instid1(VALU_DEP_1)
	s_and_b32 vcc_lo, exec_lo, s10
	s_waitcnt lgkmcnt(3)
	v_fmac_f32_e32 v8, v23, v15
	v_fmac_f32_e32 v8, v24, v16
	ds_load_2addr_b32 v[23:24], v11 offset0:96 offset1:112
	s_waitcnt lgkmcnt(3)
	v_fmac_f32_e32 v8, v25, v17
	s_delay_alu instid0(VALU_DEP_1) | instskip(SKIP_4) | instid1(VALU_DEP_1)
	v_fmac_f32_e32 v8, v26, v18
	ds_load_2addr_b32 v[25:26], v11 offset0:128 offset1:144
	ds_load_b128 v[15:18], v12 offset:32
	s_waitcnt lgkmcnt(3)
	v_fmac_f32_e32 v8, v27, v19
	v_fmac_f32_e32 v8, v28, v20
	ds_load_2addr_b32 v[27:28], v11 offset0:160 offset1:176
	s_waitcnt lgkmcnt(3)
	v_fmac_f32_e32 v8, v23, v21
	s_delay_alu instid0(VALU_DEP_1) | instskip(SKIP_4) | instid1(VALU_DEP_1)
	v_fmac_f32_e32 v8, v24, v22
	ds_load_b128 v[19:22], v12 offset:48
	ds_load_2addr_b32 v[23:24], v11 offset0:192 offset1:208
	s_waitcnt lgkmcnt(3)
	v_fmac_f32_e32 v8, v25, v15
	v_fmac_f32_e32 v8, v26, v16
	ds_load_2addr_b32 v[15:16], v11 offset0:224 offset1:240
	s_waitcnt lgkmcnt(0)
	s_barrier
	buffer_gl0_inv
	v_fmac_f32_e32 v8, v27, v17
	s_delay_alu instid0(VALU_DEP_1) | instskip(NEXT) | instid1(VALU_DEP_1)
	v_fmac_f32_e32 v8, v28, v18
	v_fmac_f32_e32 v8, v23, v19
	s_delay_alu instid0(VALU_DEP_1) | instskip(NEXT) | instid1(VALU_DEP_1)
	v_fmac_f32_e32 v8, v24, v20
	v_fmac_f32_e32 v8, v15, v21
	s_delay_alu instid0(VALU_DEP_1)
	v_fmac_f32_e32 v8, v16, v22
	s_cbranch_vccnz .LBB985_8
.LBB985_3:                              ; =>This Inner Loop Header: Depth=1
	v_add_co_u32 v15, s10, v10, s8
	s_delay_alu instid0(VALU_DEP_1) | instskip(NEXT) | instid1(VALU_DEP_1)
	v_add_co_ci_u32_e64 v16, null, 0, s9, s10
	v_cmp_gt_i64_e32 vcc_lo, s[20:21], v[15:16]
	v_mov_b32_e32 v15, 0
	s_and_b32 s11, s3, vcc_lo
	s_delay_alu instid0(SALU_CYCLE_1)
	s_and_saveexec_b32 s10, s11
	s_cbranch_execz .LBB985_5
; %bb.4:                                ;   in Loop: Header=BB985_3 Depth=1
	global_load_b32 v15, v[6:7], off
.LBB985_5:                              ;   in Loop: Header=BB985_3 Depth=1
	s_or_b32 exec_lo, exec_lo, s10
	v_add_co_u32 v16, s10, v9, s8
	s_delay_alu instid0(VALU_DEP_1)
	v_add_co_ci_u32_e64 v17, null, 0, s9, s10
	s_waitcnt vmcnt(0)
	ds_store_b32 v13, v15
	v_cmp_gt_i64_e32 vcc_lo, s[20:21], v[16:17]
	v_mov_b32_e32 v16, 0
	s_and_b32 s11, s2, vcc_lo
	s_delay_alu instid0(SALU_CYCLE_1)
	s_and_saveexec_b32 s10, s11
	s_cbranch_execz .LBB985_2
; %bb.6:                                ;   in Loop: Header=BB985_3 Depth=1
	global_load_b32 v16, v[4:5], off
	s_branch .LBB985_2
.LBB985_7:
	v_mov_b32_e32 v8, 0
.LBB985_8:
	v_cmp_le_i32_e32 vcc_lo, v0, v2
	v_cmp_gt_i32_e64 s2, s12, v2
	s_delay_alu instid0(VALU_DEP_1) | instskip(NEXT) | instid1(SALU_CYCLE_1)
	s_and_b32 s2, vcc_lo, s2
	s_and_saveexec_b32 s3, s2
	s_cbranch_execz .LBB985_10
; %bb.9:
	s_clause 0x1
	s_load_b128 s[4:7], s[0:1], 0x50
	s_load_b64 s[2:3], s[0:1], 0x60
	v_lshlrev_b64 v[0:1], 2, v[0:1]
	s_waitcnt lgkmcnt(0)
	v_mul_lo_u32 v5, v2, s7
	v_mul_lo_u32 v6, v3, s6
	v_mad_u64_u32 v[3:4], null, v2, s6, 0
	s_mul_i32 s3, s15, s3
	s_mul_hi_u32 s6, s15, s2
	s_mul_i32 s2, s15, s2
	s_add_i32 s3, s6, s3
	s_delay_alu instid0(SALU_CYCLE_1) | instskip(NEXT) | instid1(VALU_DEP_1)
	s_lshl_b64 s[2:3], s[2:3], 2
	v_add3_u32 v4, v4, v5, v6
	s_add_u32 s2, s4, s2
	s_addc_u32 s3, s5, s3
	s_delay_alu instid0(VALU_DEP_1) | instskip(NEXT) | instid1(VALU_DEP_1)
	v_lshlrev_b64 v[2:3], 2, v[3:4]
	v_add_co_u32 v2, vcc_lo, s2, v2
	s_delay_alu instid0(VALU_DEP_2) | instskip(NEXT) | instid1(VALU_DEP_2)
	v_add_co_ci_u32_e32 v3, vcc_lo, s3, v3, vcc_lo
	v_add_co_u32 v0, vcc_lo, v2, v0
	s_delay_alu instid0(VALU_DEP_2)
	v_add_co_ci_u32_e32 v1, vcc_lo, v3, v1, vcc_lo
	global_load_b32 v2, v[0:1], off
	s_clause 0x1
	s_load_b32 s2, s[0:1], 0x48
	s_load_b32 s0, s[0:1], 0x10
	s_waitcnt vmcnt(0) lgkmcnt(0)
	v_mul_f32_e32 v2, s2, v2
	s_delay_alu instid0(VALU_DEP_1)
	v_fmac_f32_e32 v2, s0, v8
	global_store_b32 v[0:1], v2, off
.LBB985_10:
	s_nop 0
	s_sendmsg sendmsg(MSG_DEALLOC_VGPRS)
	s_endpgm
	.section	.rodata,"a",@progbits
	.p2align	6, 0x0
	.amdhsa_kernel _ZL32rocblas_syrkx_herkx_small_kernelIlfLi16ELb0ELb0ELc78ELc85EKffEviT_T0_PT6_S1_lS4_S1_lS2_PT7_S1_li
		.amdhsa_group_segment_fixed_size 2048
		.amdhsa_private_segment_fixed_size 0
		.amdhsa_kernarg_size 108
		.amdhsa_user_sgpr_count 13
		.amdhsa_user_sgpr_dispatch_ptr 0
		.amdhsa_user_sgpr_queue_ptr 0
		.amdhsa_user_sgpr_kernarg_segment_ptr 1
		.amdhsa_user_sgpr_dispatch_id 0
		.amdhsa_user_sgpr_private_segment_size 0
		.amdhsa_wavefront_size32 1
		.amdhsa_uses_dynamic_stack 0
		.amdhsa_enable_private_segment 0
		.amdhsa_system_sgpr_workgroup_id_x 1
		.amdhsa_system_sgpr_workgroup_id_y 1
		.amdhsa_system_sgpr_workgroup_id_z 1
		.amdhsa_system_sgpr_workgroup_info 0
		.amdhsa_system_vgpr_workitem_id 1
		.amdhsa_next_free_vgpr 29
		.amdhsa_next_free_sgpr 23
		.amdhsa_reserve_vcc 1
		.amdhsa_float_round_mode_32 0
		.amdhsa_float_round_mode_16_64 0
		.amdhsa_float_denorm_mode_32 3
		.amdhsa_float_denorm_mode_16_64 3
		.amdhsa_dx10_clamp 1
		.amdhsa_ieee_mode 1
		.amdhsa_fp16_overflow 0
		.amdhsa_workgroup_processor_mode 1
		.amdhsa_memory_ordered 1
		.amdhsa_forward_progress 0
		.amdhsa_shared_vgpr_count 0
		.amdhsa_exception_fp_ieee_invalid_op 0
		.amdhsa_exception_fp_denorm_src 0
		.amdhsa_exception_fp_ieee_div_zero 0
		.amdhsa_exception_fp_ieee_overflow 0
		.amdhsa_exception_fp_ieee_underflow 0
		.amdhsa_exception_fp_ieee_inexact 0
		.amdhsa_exception_int_div_zero 0
	.end_amdhsa_kernel
	.section	.text._ZL32rocblas_syrkx_herkx_small_kernelIlfLi16ELb0ELb0ELc78ELc85EKffEviT_T0_PT6_S1_lS4_S1_lS2_PT7_S1_li,"axG",@progbits,_ZL32rocblas_syrkx_herkx_small_kernelIlfLi16ELb0ELb0ELc78ELc85EKffEviT_T0_PT6_S1_lS4_S1_lS2_PT7_S1_li,comdat
.Lfunc_end985:
	.size	_ZL32rocblas_syrkx_herkx_small_kernelIlfLi16ELb0ELb0ELc78ELc85EKffEviT_T0_PT6_S1_lS4_S1_lS2_PT7_S1_li, .Lfunc_end985-_ZL32rocblas_syrkx_herkx_small_kernelIlfLi16ELb0ELb0ELc78ELc85EKffEviT_T0_PT6_S1_lS4_S1_lS2_PT7_S1_li
                                        ; -- End function
	.section	.AMDGPU.csdata,"",@progbits
; Kernel info:
; codeLenInByte = 1052
; NumSgprs: 25
; NumVgprs: 29
; ScratchSize: 0
; MemoryBound: 0
; FloatMode: 240
; IeeeMode: 1
; LDSByteSize: 2048 bytes/workgroup (compile time only)
; SGPRBlocks: 3
; VGPRBlocks: 3
; NumSGPRsForWavesPerEU: 25
; NumVGPRsForWavesPerEU: 29
; Occupancy: 16
; WaveLimiterHint : 0
; COMPUTE_PGM_RSRC2:SCRATCH_EN: 0
; COMPUTE_PGM_RSRC2:USER_SGPR: 13
; COMPUTE_PGM_RSRC2:TRAP_HANDLER: 0
; COMPUTE_PGM_RSRC2:TGID_X_EN: 1
; COMPUTE_PGM_RSRC2:TGID_Y_EN: 1
; COMPUTE_PGM_RSRC2:TGID_Z_EN: 1
; COMPUTE_PGM_RSRC2:TIDIG_COMP_CNT: 1
	.section	.text._ZL34rocblas_syrkx_herkx_general_kernelIlfLi16ELi32ELi8ELb1ELb0ELc84ELc76EKffEviT_T0_PT8_S1_lS4_S1_lS2_PT9_S1_li,"axG",@progbits,_ZL34rocblas_syrkx_herkx_general_kernelIlfLi16ELi32ELi8ELb1ELb0ELc84ELc76EKffEviT_T0_PT8_S1_lS4_S1_lS2_PT9_S1_li,comdat
	.globl	_ZL34rocblas_syrkx_herkx_general_kernelIlfLi16ELi32ELi8ELb1ELb0ELc84ELc76EKffEviT_T0_PT8_S1_lS4_S1_lS2_PT9_S1_li ; -- Begin function _ZL34rocblas_syrkx_herkx_general_kernelIlfLi16ELi32ELi8ELb1ELb0ELc84ELc76EKffEviT_T0_PT8_S1_lS4_S1_lS2_PT9_S1_li
	.p2align	8
	.type	_ZL34rocblas_syrkx_herkx_general_kernelIlfLi16ELi32ELi8ELb1ELb0ELc84ELc76EKffEviT_T0_PT8_S1_lS4_S1_lS2_PT9_S1_li,@function
_ZL34rocblas_syrkx_herkx_general_kernelIlfLi16ELi32ELi8ELb1ELb0ELc84ELc76EKffEviT_T0_PT8_S1_lS4_S1_lS2_PT9_S1_li: ; @_ZL34rocblas_syrkx_herkx_general_kernelIlfLi16ELi32ELi8ELb1ELb0ELc84ELc76EKffEviT_T0_PT8_S1_lS4_S1_lS2_PT9_S1_li
; %bb.0:
	s_clause 0x1
	s_load_b64 s[20:21], s[0:1], 0x8
	s_load_b32 s12, s[0:1], 0x0
	v_dual_mov_b32 v12, 0 :: v_dual_mov_b32 v7, 0
	v_dual_mov_b32 v8, 0 :: v_dual_and_b32 v5, 0x3ff, v0
	v_bfe_u32 v6, v0, 10, 10
	v_mov_b32_e32 v4, 0
	s_lshl_b32 s13, s13, 5
	s_lshl_b32 s14, s14, 5
	s_waitcnt lgkmcnt(0)
	v_cmp_lt_i64_e64 s2, s[20:21], 1
	s_delay_alu instid0(VALU_DEP_1)
	s_and_b32 vcc_lo, exec_lo, s2
	s_cbranch_vccnz .LBB986_7
; %bb.1:
	s_load_b256 s[4:11], s[0:1], 0x18
	v_lshl_add_u32 v0, v6, 4, v5
	s_load_b128 s[16:19], s[0:1], 0x38
	v_and_b32_e32 v9, 7, v5
	v_lshlrev_b32_e32 v10, 2, v5
	s_delay_alu instid0(VALU_DEP_3)
	v_dual_mov_b32 v4, 0 :: v_dual_and_b32 v1, 31, v0
	v_lshrrev_b32_e32 v3, 3, v0
	v_lshrrev_b32_e32 v13, 5, v0
	v_lshlrev_b32_e32 v7, 2, v9
	v_lshl_add_u32 v11, v6, 5, 0x400
	v_add_nc_u32_e32 v2, s13, v1
	v_add_nc_u32_e32 v8, s14, v3
	v_or_b32_e32 v12, s13, v1
	v_lshlrev_b32_e32 v14, 2, v1
	v_lshl_or_b32 v17, v3, 5, v7
	v_ashrrev_i32_e32 v0, 31, v2
	v_cmp_gt_i32_e64 s3, s12, v8
	v_cmp_gt_i32_e64 s2, s12, v12
	v_lshl_or_b32 v14, v13, 7, v14
	s_waitcnt lgkmcnt(0)
	v_mul_lo_u32 v16, s7, v2
	v_mul_lo_u32 v15, s6, v0
	v_mad_u64_u32 v[0:1], null, s6, v2, 0
	v_ashrrev_i32_e32 v2, 31, v8
	v_mul_lo_u32 v18, s17, v8
	s_mul_i32 s7, s9, s15
	s_mul_hi_u32 s9, s8, s15
	s_mul_i32 s6, s8, s15
	v_mul_lo_u32 v12, s16, v2
	s_delay_alu instid0(VALU_DEP_4) | instskip(SKIP_3) | instid1(VALU_DEP_3)
	v_add3_u32 v1, v1, v15, v16
	v_mad_u64_u32 v[2:3], null, s16, v8, 0
	s_add_i32 s7, s9, s7
	v_add_nc_u32_e32 v15, 0x400, v17
	v_lshlrev_b64 v[0:1], 2, v[0:1]
	s_lshl_b64 s[6:7], s[6:7], 2
	s_delay_alu instid0(VALU_DEP_3) | instskip(NEXT) | instid1(VALU_DEP_2)
	v_add3_u32 v3, v3, v12, v18
	v_add_co_u32 v8, vcc_lo, v0, s6
	s_delay_alu instid0(VALU_DEP_3)
	v_add_co_ci_u32_e32 v12, vcc_lo, s7, v1, vcc_lo
	s_mul_i32 s6, s19, s15
	s_mul_hi_u32 s7, s18, s15
	v_lshlrev_b64 v[0:1], 2, v[2:3]
	s_add_i32 s7, s7, s6
	s_mul_i32 s6, s18, s15
	v_lshlrev_b32_e32 v2, 2, v13
	s_lshl_b64 s[6:7], s[6:7], 2
	s_delay_alu instid0(VALU_DEP_2) | instid1(SALU_CYCLE_1)
	v_add_co_u32 v0, vcc_lo, v0, s6
	v_add_co_ci_u32_e32 v1, vcc_lo, s7, v1, vcc_lo
	s_delay_alu instid0(VALU_DEP_3)
	v_add_co_u32 v2, vcc_lo, v8, v2
	v_add_co_ci_u32_e32 v3, vcc_lo, 0, v12, vcc_lo
	v_mov_b32_e32 v12, 0
	v_add_co_u32 v7, vcc_lo, v0, v7
	v_add_co_ci_u32_e32 v8, vcc_lo, 0, v1, vcc_lo
	v_add_co_u32 v0, vcc_lo, s4, v2
	v_add_co_ci_u32_e32 v1, vcc_lo, s5, v3, vcc_lo
	s_delay_alu instid0(VALU_DEP_4)
	v_add_co_u32 v2, vcc_lo, s10, v7
	v_mov_b32_e32 v7, 0
	v_add_co_ci_u32_e32 v3, vcc_lo, s11, v8, vcc_lo
	v_mov_b32_e32 v8, 0
	s_mov_b64 s[4:5], 0
	s_branch .LBB986_3
.LBB986_2:                              ;   in Loop: Header=BB986_3 Depth=1
	s_or_b32 exec_lo, exec_lo, s6
	s_waitcnt vmcnt(0)
	ds_store_b32 v15, v17
	s_waitcnt lgkmcnt(0)
	s_barrier
	buffer_gl0_inv
	ds_load_2addr_b32 v[32:33], v10 offset1:16
	ds_load_b128 v[16:19], v11
	ds_load_b128 v[20:23], v11 offset:512
	ds_load_2addr_b32 v[34:35], v10 offset0:32 offset1:48
	ds_load_2addr_b32 v[36:37], v10 offset0:64 offset1:80
	;; [unrolled: 1-line block ×3, first 2 shown]
	ds_load_b128 v[24:27], v11 offset:16
	ds_load_2addr_b32 v[40:41], v10 offset0:128 offset1:144
	ds_load_b128 v[28:31], v11 offset:528
	ds_load_2addr_b32 v[42:43], v10 offset0:160 offset1:176
	s_add_u32 s4, s4, 8
	s_addc_u32 s5, s5, 0
	v_add_co_u32 v0, vcc_lo, v0, 32
	v_cmp_ge_i64_e64 s6, s[4:5], s[20:21]
	v_add_co_ci_u32_e32 v1, vcc_lo, 0, v1, vcc_lo
	v_add_co_u32 v2, vcc_lo, v2, 32
	v_add_co_ci_u32_e32 v3, vcc_lo, 0, v3, vcc_lo
	s_delay_alu instid0(VALU_DEP_4) | instskip(SKIP_3) | instid1(VALU_DEP_1)
	s_and_b32 vcc_lo, exec_lo, s6
	s_waitcnt lgkmcnt(7)
	v_fmac_f32_e32 v7, v32, v20
	s_waitcnt lgkmcnt(6)
	v_dual_fmac_f32 v12, v32, v16 :: v_dual_fmac_f32 v7, v34, v21
	v_fmac_f32_e32 v8, v33, v16
	s_waitcnt lgkmcnt(5)
	s_delay_alu instid0(VALU_DEP_2)
	v_dual_fmac_f32 v12, v34, v17 :: v_dual_fmac_f32 v7, v36, v22
	v_fmac_f32_e32 v4, v33, v20
	ds_load_2addr_b32 v[32:33], v10 offset0:192 offset1:208
	s_waitcnt lgkmcnt(5)
	v_dual_fmac_f32 v7, v38, v23 :: v_dual_fmac_f32 v8, v35, v17
	ds_load_2addr_b32 v[16:17], v10 offset0:224 offset1:240
	s_waitcnt lgkmcnt(0)
	s_barrier
	v_fmac_f32_e32 v7, v40, v28
	v_fmac_f32_e32 v12, v36, v18
	buffer_gl0_inv
	v_fmac_f32_e32 v7, v42, v29
	v_fmac_f32_e32 v4, v35, v21
	s_delay_alu instid0(VALU_DEP_2) | instskip(SKIP_1) | instid1(VALU_DEP_3)
	v_dual_fmac_f32 v12, v38, v19 :: v_dual_fmac_f32 v7, v32, v30
	v_fmac_f32_e32 v8, v37, v18
	v_fmac_f32_e32 v4, v37, v22
	s_delay_alu instid0(VALU_DEP_3) | instskip(NEXT) | instid1(VALU_DEP_4)
	v_fmac_f32_e32 v12, v40, v24
	v_fmac_f32_e32 v7, v16, v31
	s_delay_alu instid0(VALU_DEP_4) | instskip(NEXT) | instid1(VALU_DEP_4)
	v_fmac_f32_e32 v8, v39, v19
	v_fmac_f32_e32 v4, v39, v23
	s_delay_alu instid0(VALU_DEP_4) | instskip(NEXT) | instid1(VALU_DEP_3)
	v_fmac_f32_e32 v12, v42, v25
	v_fmac_f32_e32 v8, v41, v24
	s_delay_alu instid0(VALU_DEP_3) | instskip(NEXT) | instid1(VALU_DEP_3)
	v_fmac_f32_e32 v4, v41, v28
	v_fmac_f32_e32 v12, v32, v26
	s_delay_alu instid0(VALU_DEP_3) | instskip(NEXT) | instid1(VALU_DEP_3)
	;; [unrolled: 3-line block ×3, first 2 shown]
	v_fmac_f32_e32 v12, v16, v27
	v_fmac_f32_e32 v8, v33, v26
	s_delay_alu instid0(VALU_DEP_3) | instskip(NEXT) | instid1(VALU_DEP_2)
	v_fmac_f32_e32 v4, v33, v30
	v_fmac_f32_e32 v8, v17, v27
	s_delay_alu instid0(VALU_DEP_2)
	v_fmac_f32_e32 v4, v17, v31
	s_cbranch_vccnz .LBB986_7
.LBB986_3:                              ; =>This Inner Loop Header: Depth=1
	v_add_co_u32 v16, s6, v13, s4
	s_delay_alu instid0(VALU_DEP_1) | instskip(NEXT) | instid1(VALU_DEP_1)
	v_add_co_ci_u32_e64 v17, null, 0, s5, s6
	v_cmp_gt_i64_e32 vcc_lo, s[20:21], v[16:17]
	v_mov_b32_e32 v16, 0
	s_and_b32 s7, s2, vcc_lo
	s_delay_alu instid0(SALU_CYCLE_1)
	s_and_saveexec_b32 s6, s7
	s_cbranch_execz .LBB986_5
; %bb.4:                                ;   in Loop: Header=BB986_3 Depth=1
	global_load_b32 v16, v[0:1], off
.LBB986_5:                              ;   in Loop: Header=BB986_3 Depth=1
	s_or_b32 exec_lo, exec_lo, s6
	v_add_co_u32 v17, s6, v9, s4
	s_delay_alu instid0(VALU_DEP_1)
	v_add_co_ci_u32_e64 v18, null, 0, s5, s6
	s_waitcnt vmcnt(0)
	ds_store_b32 v14, v16
	v_cmp_gt_i64_e32 vcc_lo, s[20:21], v[17:18]
	v_mov_b32_e32 v17, 0
	s_and_b32 s7, vcc_lo, s3
	s_delay_alu instid0(SALU_CYCLE_1)
	s_and_saveexec_b32 s6, s7
	s_cbranch_execz .LBB986_2
; %bb.6:                                ;   in Loop: Header=BB986_3 Depth=1
	global_load_b32 v17, v[2:3], off
	s_branch .LBB986_2
.LBB986_7:
	s_clause 0x1
	s_load_b128 s[4:7], s[0:1], 0x50
	s_load_b32 s3, s[0:1], 0x10
	v_add_nc_u32_e32 v6, s14, v6
	s_load_b64 s[8:9], s[0:1], 0x60
	s_delay_alu instid0(VALU_DEP_1) | instskip(SKIP_1) | instid1(VALU_DEP_1)
	v_ashrrev_i32_e32 v0, 31, v6
	s_waitcnt lgkmcnt(0)
	v_mul_lo_u32 v3, v0, s6
	v_mul_lo_u32 v9, v6, s7
	v_mad_u64_u32 v[1:2], null, v6, s6, 0
	s_mul_i32 s1, s15, s9
	s_mul_hi_u32 s2, s15, s8
	s_mul_i32 s8, s15, s8
	s_add_i32 s9, s2, s1
	v_add_nc_u32_e32 v0, s13, v5
	s_lshl_b64 s[8:9], s[8:9], 2
	s_delay_alu instid0(VALU_DEP_2)
	v_add3_u32 v2, v2, v9, v3
	s_add_u32 s2, s4, s8
	s_addc_u32 s4, s5, s9
	v_cmp_le_i32_e64 s0, v6, v0
	v_cmp_gt_i32_e32 vcc_lo, s12, v0
	v_lshlrev_b64 v[1:2], 2, v[1:2]
	s_delay_alu instid0(VALU_DEP_3) | instskip(NEXT) | instid1(VALU_DEP_1)
	s_and_b32 s0, s0, vcc_lo
	v_add_co_u32 v5, s1, s2, v1
	s_delay_alu instid0(VALU_DEP_1)
	v_add_co_ci_u32_e64 v9, s1, s4, v2, s1
	s_and_saveexec_b32 s1, s0
	s_cbranch_execz .LBB986_9
; %bb.8:
	v_ashrrev_i32_e32 v1, 31, v0
	v_mul_f32_e32 v3, s3, v12
	s_delay_alu instid0(VALU_DEP_2) | instskip(NEXT) | instid1(VALU_DEP_1)
	v_lshlrev_b64 v[1:2], 2, v[0:1]
	v_add_co_u32 v1, s0, v5, v1
	s_delay_alu instid0(VALU_DEP_1)
	v_add_co_ci_u32_e64 v2, s0, v9, v2, s0
	global_store_b32 v[1:2], v3, off
.LBB986_9:
	s_or_b32 exec_lo, exec_lo, s1
	v_add_nc_u32_e32 v2, 16, v0
	s_delay_alu instid0(VALU_DEP_1) | instskip(SKIP_1) | instid1(VALU_DEP_1)
	v_cmp_le_i32_e64 s1, v6, v2
	v_cmp_gt_i32_e64 s0, s12, v2
	s_and_b32 s1, s1, s0
	s_delay_alu instid0(SALU_CYCLE_1)
	s_and_saveexec_b32 s5, s1
	s_cbranch_execz .LBB986_11
; %bb.10:
	v_ashrrev_i32_e32 v3, 31, v2
	v_mul_f32_e32 v1, s3, v8
	s_delay_alu instid0(VALU_DEP_2) | instskip(NEXT) | instid1(VALU_DEP_1)
	v_lshlrev_b64 v[10:11], 2, v[2:3]
	v_add_co_u32 v8, s1, v5, v10
	s_delay_alu instid0(VALU_DEP_1)
	v_add_co_ci_u32_e64 v9, s1, v9, v11, s1
	global_store_b32 v[8:9], v1, off
.LBB986_11:
	s_or_b32 exec_lo, exec_lo, s5
	v_add_nc_u32_e32 v3, 16, v6
	s_delay_alu instid0(VALU_DEP_1) | instskip(SKIP_3) | instid1(VALU_DEP_4)
	v_ashrrev_i32_e32 v1, 31, v3
	v_mul_lo_u32 v8, v3, s7
	v_mad_u64_u32 v[5:6], null, v3, s6, 0
	v_cmp_le_i32_e64 s1, v3, v0
	v_mul_lo_u32 v1, v1, s6
	s_delay_alu instid0(VALU_DEP_1) | instskip(NEXT) | instid1(VALU_DEP_1)
	v_add3_u32 v6, v6, v8, v1
	v_lshlrev_b64 v[5:6], 2, v[5:6]
	s_delay_alu instid0(VALU_DEP_1) | instskip(NEXT) | instid1(VALU_DEP_1)
	v_add_co_u32 v5, s2, s2, v5
	v_add_co_ci_u32_e64 v6, s2, s4, v6, s2
	s_and_b32 s2, s1, vcc_lo
	s_delay_alu instid0(SALU_CYCLE_1)
	s_and_saveexec_b32 s1, s2
	s_cbranch_execz .LBB986_13
; %bb.12:
	v_ashrrev_i32_e32 v1, 31, v0
	v_mul_f32_e32 v7, s3, v7
	s_delay_alu instid0(VALU_DEP_2) | instskip(NEXT) | instid1(VALU_DEP_1)
	v_lshlrev_b64 v[0:1], 2, v[0:1]
	v_add_co_u32 v0, vcc_lo, v5, v0
	s_delay_alu instid0(VALU_DEP_2)
	v_add_co_ci_u32_e32 v1, vcc_lo, v6, v1, vcc_lo
	global_store_b32 v[0:1], v7, off
.LBB986_13:
	s_or_b32 exec_lo, exec_lo, s1
	v_cmp_le_i32_e32 vcc_lo, v3, v2
	s_and_b32 s0, vcc_lo, s0
	s_delay_alu instid0(SALU_CYCLE_1)
	s_and_saveexec_b32 s1, s0
	s_cbranch_execz .LBB986_15
; %bb.14:
	v_ashrrev_i32_e32 v3, 31, v2
	s_delay_alu instid0(VALU_DEP_1) | instskip(SKIP_1) | instid1(VALU_DEP_2)
	v_lshlrev_b64 v[0:1], 2, v[2:3]
	v_mul_f32_e32 v2, s3, v4
	v_add_co_u32 v0, vcc_lo, v5, v0
	s_delay_alu instid0(VALU_DEP_3)
	v_add_co_ci_u32_e32 v1, vcc_lo, v6, v1, vcc_lo
	global_store_b32 v[0:1], v2, off
.LBB986_15:
	s_nop 0
	s_sendmsg sendmsg(MSG_DEALLOC_VGPRS)
	s_endpgm
	.section	.rodata,"a",@progbits
	.p2align	6, 0x0
	.amdhsa_kernel _ZL34rocblas_syrkx_herkx_general_kernelIlfLi16ELi32ELi8ELb1ELb0ELc84ELc76EKffEviT_T0_PT8_S1_lS4_S1_lS2_PT9_S1_li
		.amdhsa_group_segment_fixed_size 2048
		.amdhsa_private_segment_fixed_size 0
		.amdhsa_kernarg_size 108
		.amdhsa_user_sgpr_count 13
		.amdhsa_user_sgpr_dispatch_ptr 0
		.amdhsa_user_sgpr_queue_ptr 0
		.amdhsa_user_sgpr_kernarg_segment_ptr 1
		.amdhsa_user_sgpr_dispatch_id 0
		.amdhsa_user_sgpr_private_segment_size 0
		.amdhsa_wavefront_size32 1
		.amdhsa_uses_dynamic_stack 0
		.amdhsa_enable_private_segment 0
		.amdhsa_system_sgpr_workgroup_id_x 1
		.amdhsa_system_sgpr_workgroup_id_y 1
		.amdhsa_system_sgpr_workgroup_id_z 1
		.amdhsa_system_sgpr_workgroup_info 0
		.amdhsa_system_vgpr_workitem_id 1
		.amdhsa_next_free_vgpr 44
		.amdhsa_next_free_sgpr 22
		.amdhsa_reserve_vcc 1
		.amdhsa_float_round_mode_32 0
		.amdhsa_float_round_mode_16_64 0
		.amdhsa_float_denorm_mode_32 3
		.amdhsa_float_denorm_mode_16_64 3
		.amdhsa_dx10_clamp 1
		.amdhsa_ieee_mode 1
		.amdhsa_fp16_overflow 0
		.amdhsa_workgroup_processor_mode 1
		.amdhsa_memory_ordered 1
		.amdhsa_forward_progress 0
		.amdhsa_shared_vgpr_count 0
		.amdhsa_exception_fp_ieee_invalid_op 0
		.amdhsa_exception_fp_denorm_src 0
		.amdhsa_exception_fp_ieee_div_zero 0
		.amdhsa_exception_fp_ieee_overflow 0
		.amdhsa_exception_fp_ieee_underflow 0
		.amdhsa_exception_fp_ieee_inexact 0
		.amdhsa_exception_int_div_zero 0
	.end_amdhsa_kernel
	.section	.text._ZL34rocblas_syrkx_herkx_general_kernelIlfLi16ELi32ELi8ELb1ELb0ELc84ELc76EKffEviT_T0_PT8_S1_lS4_S1_lS2_PT9_S1_li,"axG",@progbits,_ZL34rocblas_syrkx_herkx_general_kernelIlfLi16ELi32ELi8ELb1ELb0ELc84ELc76EKffEviT_T0_PT8_S1_lS4_S1_lS2_PT9_S1_li,comdat
.Lfunc_end986:
	.size	_ZL34rocblas_syrkx_herkx_general_kernelIlfLi16ELi32ELi8ELb1ELb0ELc84ELc76EKffEviT_T0_PT8_S1_lS4_S1_lS2_PT9_S1_li, .Lfunc_end986-_ZL34rocblas_syrkx_herkx_general_kernelIlfLi16ELi32ELi8ELb1ELb0ELc84ELc76EKffEviT_T0_PT8_S1_lS4_S1_lS2_PT9_S1_li
                                        ; -- End function
	.section	.AMDGPU.csdata,"",@progbits
; Kernel info:
; codeLenInByte = 1500
; NumSgprs: 24
; NumVgprs: 44
; ScratchSize: 0
; MemoryBound: 0
; FloatMode: 240
; IeeeMode: 1
; LDSByteSize: 2048 bytes/workgroup (compile time only)
; SGPRBlocks: 2
; VGPRBlocks: 5
; NumSGPRsForWavesPerEU: 24
; NumVGPRsForWavesPerEU: 44
; Occupancy: 16
; WaveLimiterHint : 0
; COMPUTE_PGM_RSRC2:SCRATCH_EN: 0
; COMPUTE_PGM_RSRC2:USER_SGPR: 13
; COMPUTE_PGM_RSRC2:TRAP_HANDLER: 0
; COMPUTE_PGM_RSRC2:TGID_X_EN: 1
; COMPUTE_PGM_RSRC2:TGID_Y_EN: 1
; COMPUTE_PGM_RSRC2:TGID_Z_EN: 1
; COMPUTE_PGM_RSRC2:TIDIG_COMP_CNT: 1
	.section	.text._ZL34rocblas_syrkx_herkx_general_kernelIlfLi16ELi32ELi8ELb1ELb0ELc67ELc76EKffEviT_T0_PT8_S1_lS4_S1_lS2_PT9_S1_li,"axG",@progbits,_ZL34rocblas_syrkx_herkx_general_kernelIlfLi16ELi32ELi8ELb1ELb0ELc67ELc76EKffEviT_T0_PT8_S1_lS4_S1_lS2_PT9_S1_li,comdat
	.globl	_ZL34rocblas_syrkx_herkx_general_kernelIlfLi16ELi32ELi8ELb1ELb0ELc67ELc76EKffEviT_T0_PT8_S1_lS4_S1_lS2_PT9_S1_li ; -- Begin function _ZL34rocblas_syrkx_herkx_general_kernelIlfLi16ELi32ELi8ELb1ELb0ELc67ELc76EKffEviT_T0_PT8_S1_lS4_S1_lS2_PT9_S1_li
	.p2align	8
	.type	_ZL34rocblas_syrkx_herkx_general_kernelIlfLi16ELi32ELi8ELb1ELb0ELc67ELc76EKffEviT_T0_PT8_S1_lS4_S1_lS2_PT9_S1_li,@function
_ZL34rocblas_syrkx_herkx_general_kernelIlfLi16ELi32ELi8ELb1ELb0ELc67ELc76EKffEviT_T0_PT8_S1_lS4_S1_lS2_PT9_S1_li: ; @_ZL34rocblas_syrkx_herkx_general_kernelIlfLi16ELi32ELi8ELb1ELb0ELc67ELc76EKffEviT_T0_PT8_S1_lS4_S1_lS2_PT9_S1_li
; %bb.0:
	s_clause 0x1
	s_load_b64 s[20:21], s[0:1], 0x8
	s_load_b32 s12, s[0:1], 0x0
	v_dual_mov_b32 v12, 0 :: v_dual_mov_b32 v7, 0
	v_dual_mov_b32 v8, 0 :: v_dual_and_b32 v5, 0x3ff, v0
	v_bfe_u32 v6, v0, 10, 10
	v_mov_b32_e32 v4, 0
	s_lshl_b32 s13, s13, 5
	s_lshl_b32 s14, s14, 5
	s_waitcnt lgkmcnt(0)
	v_cmp_lt_i64_e64 s2, s[20:21], 1
	s_delay_alu instid0(VALU_DEP_1)
	s_and_b32 vcc_lo, exec_lo, s2
	s_cbranch_vccnz .LBB987_7
; %bb.1:
	s_load_b256 s[4:11], s[0:1], 0x18
	v_lshl_add_u32 v0, v6, 4, v5
	s_load_b128 s[16:19], s[0:1], 0x38
	v_and_b32_e32 v9, 7, v5
	v_lshlrev_b32_e32 v10, 2, v5
	s_delay_alu instid0(VALU_DEP_3)
	v_dual_mov_b32 v4, 0 :: v_dual_and_b32 v1, 31, v0
	v_lshrrev_b32_e32 v3, 3, v0
	v_lshrrev_b32_e32 v13, 5, v0
	v_lshlrev_b32_e32 v7, 2, v9
	v_lshl_add_u32 v11, v6, 5, 0x400
	v_add_nc_u32_e32 v2, s13, v1
	v_add_nc_u32_e32 v8, s14, v3
	v_or_b32_e32 v12, s13, v1
	v_lshlrev_b32_e32 v14, 2, v1
	v_lshl_or_b32 v17, v3, 5, v7
	v_ashrrev_i32_e32 v0, 31, v2
	v_cmp_gt_i32_e64 s3, s12, v8
	v_cmp_gt_i32_e64 s2, s12, v12
	v_lshl_or_b32 v14, v13, 7, v14
	s_waitcnt lgkmcnt(0)
	v_mul_lo_u32 v16, s7, v2
	v_mul_lo_u32 v15, s6, v0
	v_mad_u64_u32 v[0:1], null, s6, v2, 0
	v_ashrrev_i32_e32 v2, 31, v8
	v_mul_lo_u32 v18, s17, v8
	s_mul_i32 s7, s9, s15
	s_mul_hi_u32 s9, s8, s15
	s_mul_i32 s6, s8, s15
	v_mul_lo_u32 v12, s16, v2
	s_delay_alu instid0(VALU_DEP_4) | instskip(SKIP_3) | instid1(VALU_DEP_3)
	v_add3_u32 v1, v1, v15, v16
	v_mad_u64_u32 v[2:3], null, s16, v8, 0
	s_add_i32 s7, s9, s7
	v_add_nc_u32_e32 v15, 0x400, v17
	v_lshlrev_b64 v[0:1], 2, v[0:1]
	s_lshl_b64 s[6:7], s[6:7], 2
	s_delay_alu instid0(VALU_DEP_3) | instskip(NEXT) | instid1(VALU_DEP_2)
	v_add3_u32 v3, v3, v12, v18
	v_add_co_u32 v8, vcc_lo, v0, s6
	s_delay_alu instid0(VALU_DEP_3)
	v_add_co_ci_u32_e32 v12, vcc_lo, s7, v1, vcc_lo
	s_mul_i32 s6, s19, s15
	s_mul_hi_u32 s7, s18, s15
	v_lshlrev_b64 v[0:1], 2, v[2:3]
	s_add_i32 s7, s7, s6
	s_mul_i32 s6, s18, s15
	v_lshlrev_b32_e32 v2, 2, v13
	s_lshl_b64 s[6:7], s[6:7], 2
	s_delay_alu instid0(VALU_DEP_2) | instid1(SALU_CYCLE_1)
	v_add_co_u32 v0, vcc_lo, v0, s6
	v_add_co_ci_u32_e32 v1, vcc_lo, s7, v1, vcc_lo
	s_delay_alu instid0(VALU_DEP_3)
	v_add_co_u32 v2, vcc_lo, v8, v2
	v_add_co_ci_u32_e32 v3, vcc_lo, 0, v12, vcc_lo
	v_mov_b32_e32 v12, 0
	v_add_co_u32 v7, vcc_lo, v0, v7
	v_add_co_ci_u32_e32 v8, vcc_lo, 0, v1, vcc_lo
	v_add_co_u32 v0, vcc_lo, s4, v2
	v_add_co_ci_u32_e32 v1, vcc_lo, s5, v3, vcc_lo
	s_delay_alu instid0(VALU_DEP_4)
	v_add_co_u32 v2, vcc_lo, s10, v7
	v_mov_b32_e32 v7, 0
	v_add_co_ci_u32_e32 v3, vcc_lo, s11, v8, vcc_lo
	v_mov_b32_e32 v8, 0
	s_mov_b64 s[4:5], 0
	s_branch .LBB987_3
.LBB987_2:                              ;   in Loop: Header=BB987_3 Depth=1
	s_or_b32 exec_lo, exec_lo, s6
	s_waitcnt vmcnt(0)
	ds_store_b32 v15, v17
	s_waitcnt lgkmcnt(0)
	s_barrier
	buffer_gl0_inv
	ds_load_2addr_b32 v[32:33], v10 offset1:16
	ds_load_b128 v[16:19], v11
	ds_load_b128 v[20:23], v11 offset:512
	ds_load_2addr_b32 v[34:35], v10 offset0:32 offset1:48
	ds_load_2addr_b32 v[36:37], v10 offset0:64 offset1:80
	;; [unrolled: 1-line block ×3, first 2 shown]
	ds_load_b128 v[24:27], v11 offset:16
	ds_load_2addr_b32 v[40:41], v10 offset0:128 offset1:144
	ds_load_b128 v[28:31], v11 offset:528
	ds_load_2addr_b32 v[42:43], v10 offset0:160 offset1:176
	s_add_u32 s4, s4, 8
	s_addc_u32 s5, s5, 0
	v_add_co_u32 v0, vcc_lo, v0, 32
	v_cmp_ge_i64_e64 s6, s[4:5], s[20:21]
	v_add_co_ci_u32_e32 v1, vcc_lo, 0, v1, vcc_lo
	v_add_co_u32 v2, vcc_lo, v2, 32
	v_add_co_ci_u32_e32 v3, vcc_lo, 0, v3, vcc_lo
	s_delay_alu instid0(VALU_DEP_4) | instskip(SKIP_3) | instid1(VALU_DEP_1)
	s_and_b32 vcc_lo, exec_lo, s6
	s_waitcnt lgkmcnt(7)
	v_fmac_f32_e32 v7, v32, v20
	s_waitcnt lgkmcnt(6)
	v_dual_fmac_f32 v12, v32, v16 :: v_dual_fmac_f32 v7, v34, v21
	v_fmac_f32_e32 v8, v33, v16
	s_waitcnt lgkmcnt(5)
	s_delay_alu instid0(VALU_DEP_2)
	v_dual_fmac_f32 v12, v34, v17 :: v_dual_fmac_f32 v7, v36, v22
	v_fmac_f32_e32 v4, v33, v20
	ds_load_2addr_b32 v[32:33], v10 offset0:192 offset1:208
	s_waitcnt lgkmcnt(5)
	v_dual_fmac_f32 v7, v38, v23 :: v_dual_fmac_f32 v8, v35, v17
	ds_load_2addr_b32 v[16:17], v10 offset0:224 offset1:240
	s_waitcnt lgkmcnt(0)
	s_barrier
	v_fmac_f32_e32 v7, v40, v28
	v_fmac_f32_e32 v12, v36, v18
	buffer_gl0_inv
	v_fmac_f32_e32 v7, v42, v29
	v_fmac_f32_e32 v4, v35, v21
	s_delay_alu instid0(VALU_DEP_2) | instskip(SKIP_1) | instid1(VALU_DEP_3)
	v_dual_fmac_f32 v12, v38, v19 :: v_dual_fmac_f32 v7, v32, v30
	v_fmac_f32_e32 v8, v37, v18
	v_fmac_f32_e32 v4, v37, v22
	s_delay_alu instid0(VALU_DEP_3) | instskip(NEXT) | instid1(VALU_DEP_4)
	v_fmac_f32_e32 v12, v40, v24
	v_fmac_f32_e32 v7, v16, v31
	s_delay_alu instid0(VALU_DEP_4) | instskip(NEXT) | instid1(VALU_DEP_4)
	v_fmac_f32_e32 v8, v39, v19
	v_fmac_f32_e32 v4, v39, v23
	s_delay_alu instid0(VALU_DEP_4) | instskip(NEXT) | instid1(VALU_DEP_3)
	v_fmac_f32_e32 v12, v42, v25
	v_fmac_f32_e32 v8, v41, v24
	s_delay_alu instid0(VALU_DEP_3) | instskip(NEXT) | instid1(VALU_DEP_3)
	v_fmac_f32_e32 v4, v41, v28
	v_fmac_f32_e32 v12, v32, v26
	s_delay_alu instid0(VALU_DEP_3) | instskip(NEXT) | instid1(VALU_DEP_3)
	;; [unrolled: 3-line block ×3, first 2 shown]
	v_fmac_f32_e32 v12, v16, v27
	v_fmac_f32_e32 v8, v33, v26
	s_delay_alu instid0(VALU_DEP_3) | instskip(NEXT) | instid1(VALU_DEP_2)
	v_fmac_f32_e32 v4, v33, v30
	v_fmac_f32_e32 v8, v17, v27
	s_delay_alu instid0(VALU_DEP_2)
	v_fmac_f32_e32 v4, v17, v31
	s_cbranch_vccnz .LBB987_7
.LBB987_3:                              ; =>This Inner Loop Header: Depth=1
	v_add_co_u32 v16, s6, v13, s4
	s_delay_alu instid0(VALU_DEP_1) | instskip(NEXT) | instid1(VALU_DEP_1)
	v_add_co_ci_u32_e64 v17, null, 0, s5, s6
	v_cmp_gt_i64_e32 vcc_lo, s[20:21], v[16:17]
	v_mov_b32_e32 v16, 0
	s_and_b32 s7, s2, vcc_lo
	s_delay_alu instid0(SALU_CYCLE_1)
	s_and_saveexec_b32 s6, s7
	s_cbranch_execz .LBB987_5
; %bb.4:                                ;   in Loop: Header=BB987_3 Depth=1
	global_load_b32 v16, v[0:1], off
.LBB987_5:                              ;   in Loop: Header=BB987_3 Depth=1
	s_or_b32 exec_lo, exec_lo, s6
	v_add_co_u32 v17, s6, v9, s4
	s_delay_alu instid0(VALU_DEP_1)
	v_add_co_ci_u32_e64 v18, null, 0, s5, s6
	s_waitcnt vmcnt(0)
	ds_store_b32 v14, v16
	v_cmp_gt_i64_e32 vcc_lo, s[20:21], v[17:18]
	v_mov_b32_e32 v17, 0
	s_and_b32 s7, vcc_lo, s3
	s_delay_alu instid0(SALU_CYCLE_1)
	s_and_saveexec_b32 s6, s7
	s_cbranch_execz .LBB987_2
; %bb.6:                                ;   in Loop: Header=BB987_3 Depth=1
	global_load_b32 v17, v[2:3], off
	s_branch .LBB987_2
.LBB987_7:
	s_clause 0x1
	s_load_b128 s[4:7], s[0:1], 0x50
	s_load_b32 s3, s[0:1], 0x10
	v_add_nc_u32_e32 v6, s14, v6
	s_load_b64 s[8:9], s[0:1], 0x60
	s_delay_alu instid0(VALU_DEP_1) | instskip(SKIP_1) | instid1(VALU_DEP_1)
	v_ashrrev_i32_e32 v0, 31, v6
	s_waitcnt lgkmcnt(0)
	v_mul_lo_u32 v3, v0, s6
	v_mul_lo_u32 v9, v6, s7
	v_mad_u64_u32 v[1:2], null, v6, s6, 0
	s_mul_i32 s1, s15, s9
	s_mul_hi_u32 s2, s15, s8
	s_mul_i32 s8, s15, s8
	s_add_i32 s9, s2, s1
	v_add_nc_u32_e32 v0, s13, v5
	s_lshl_b64 s[8:9], s[8:9], 2
	s_delay_alu instid0(VALU_DEP_2)
	v_add3_u32 v2, v2, v9, v3
	s_add_u32 s2, s4, s8
	s_addc_u32 s4, s5, s9
	v_cmp_le_i32_e64 s0, v6, v0
	v_cmp_gt_i32_e32 vcc_lo, s12, v0
	v_lshlrev_b64 v[1:2], 2, v[1:2]
	s_delay_alu instid0(VALU_DEP_3) | instskip(NEXT) | instid1(VALU_DEP_1)
	s_and_b32 s0, s0, vcc_lo
	v_add_co_u32 v5, s1, s2, v1
	s_delay_alu instid0(VALU_DEP_1)
	v_add_co_ci_u32_e64 v9, s1, s4, v2, s1
	s_and_saveexec_b32 s1, s0
	s_cbranch_execz .LBB987_9
; %bb.8:
	v_ashrrev_i32_e32 v1, 31, v0
	v_mul_f32_e32 v3, s3, v12
	s_delay_alu instid0(VALU_DEP_2) | instskip(NEXT) | instid1(VALU_DEP_1)
	v_lshlrev_b64 v[1:2], 2, v[0:1]
	v_add_co_u32 v1, s0, v5, v1
	s_delay_alu instid0(VALU_DEP_1)
	v_add_co_ci_u32_e64 v2, s0, v9, v2, s0
	global_store_b32 v[1:2], v3, off
.LBB987_9:
	s_or_b32 exec_lo, exec_lo, s1
	v_add_nc_u32_e32 v2, 16, v0
	s_delay_alu instid0(VALU_DEP_1) | instskip(SKIP_1) | instid1(VALU_DEP_1)
	v_cmp_le_i32_e64 s1, v6, v2
	v_cmp_gt_i32_e64 s0, s12, v2
	s_and_b32 s1, s1, s0
	s_delay_alu instid0(SALU_CYCLE_1)
	s_and_saveexec_b32 s5, s1
	s_cbranch_execz .LBB987_11
; %bb.10:
	v_ashrrev_i32_e32 v3, 31, v2
	v_mul_f32_e32 v1, s3, v8
	s_delay_alu instid0(VALU_DEP_2) | instskip(NEXT) | instid1(VALU_DEP_1)
	v_lshlrev_b64 v[10:11], 2, v[2:3]
	v_add_co_u32 v8, s1, v5, v10
	s_delay_alu instid0(VALU_DEP_1)
	v_add_co_ci_u32_e64 v9, s1, v9, v11, s1
	global_store_b32 v[8:9], v1, off
.LBB987_11:
	s_or_b32 exec_lo, exec_lo, s5
	v_add_nc_u32_e32 v3, 16, v6
	s_delay_alu instid0(VALU_DEP_1) | instskip(SKIP_3) | instid1(VALU_DEP_4)
	v_ashrrev_i32_e32 v1, 31, v3
	v_mul_lo_u32 v8, v3, s7
	v_mad_u64_u32 v[5:6], null, v3, s6, 0
	v_cmp_le_i32_e64 s1, v3, v0
	v_mul_lo_u32 v1, v1, s6
	s_delay_alu instid0(VALU_DEP_1) | instskip(NEXT) | instid1(VALU_DEP_1)
	v_add3_u32 v6, v6, v8, v1
	v_lshlrev_b64 v[5:6], 2, v[5:6]
	s_delay_alu instid0(VALU_DEP_1) | instskip(NEXT) | instid1(VALU_DEP_1)
	v_add_co_u32 v5, s2, s2, v5
	v_add_co_ci_u32_e64 v6, s2, s4, v6, s2
	s_and_b32 s2, s1, vcc_lo
	s_delay_alu instid0(SALU_CYCLE_1)
	s_and_saveexec_b32 s1, s2
	s_cbranch_execz .LBB987_13
; %bb.12:
	v_ashrrev_i32_e32 v1, 31, v0
	v_mul_f32_e32 v7, s3, v7
	s_delay_alu instid0(VALU_DEP_2) | instskip(NEXT) | instid1(VALU_DEP_1)
	v_lshlrev_b64 v[0:1], 2, v[0:1]
	v_add_co_u32 v0, vcc_lo, v5, v0
	s_delay_alu instid0(VALU_DEP_2)
	v_add_co_ci_u32_e32 v1, vcc_lo, v6, v1, vcc_lo
	global_store_b32 v[0:1], v7, off
.LBB987_13:
	s_or_b32 exec_lo, exec_lo, s1
	v_cmp_le_i32_e32 vcc_lo, v3, v2
	s_and_b32 s0, vcc_lo, s0
	s_delay_alu instid0(SALU_CYCLE_1)
	s_and_saveexec_b32 s1, s0
	s_cbranch_execz .LBB987_15
; %bb.14:
	v_ashrrev_i32_e32 v3, 31, v2
	s_delay_alu instid0(VALU_DEP_1) | instskip(SKIP_1) | instid1(VALU_DEP_2)
	v_lshlrev_b64 v[0:1], 2, v[2:3]
	v_mul_f32_e32 v2, s3, v4
	v_add_co_u32 v0, vcc_lo, v5, v0
	s_delay_alu instid0(VALU_DEP_3)
	v_add_co_ci_u32_e32 v1, vcc_lo, v6, v1, vcc_lo
	global_store_b32 v[0:1], v2, off
.LBB987_15:
	s_nop 0
	s_sendmsg sendmsg(MSG_DEALLOC_VGPRS)
	s_endpgm
	.section	.rodata,"a",@progbits
	.p2align	6, 0x0
	.amdhsa_kernel _ZL34rocblas_syrkx_herkx_general_kernelIlfLi16ELi32ELi8ELb1ELb0ELc67ELc76EKffEviT_T0_PT8_S1_lS4_S1_lS2_PT9_S1_li
		.amdhsa_group_segment_fixed_size 2048
		.amdhsa_private_segment_fixed_size 0
		.amdhsa_kernarg_size 108
		.amdhsa_user_sgpr_count 13
		.amdhsa_user_sgpr_dispatch_ptr 0
		.amdhsa_user_sgpr_queue_ptr 0
		.amdhsa_user_sgpr_kernarg_segment_ptr 1
		.amdhsa_user_sgpr_dispatch_id 0
		.amdhsa_user_sgpr_private_segment_size 0
		.amdhsa_wavefront_size32 1
		.amdhsa_uses_dynamic_stack 0
		.amdhsa_enable_private_segment 0
		.amdhsa_system_sgpr_workgroup_id_x 1
		.amdhsa_system_sgpr_workgroup_id_y 1
		.amdhsa_system_sgpr_workgroup_id_z 1
		.amdhsa_system_sgpr_workgroup_info 0
		.amdhsa_system_vgpr_workitem_id 1
		.amdhsa_next_free_vgpr 44
		.amdhsa_next_free_sgpr 22
		.amdhsa_reserve_vcc 1
		.amdhsa_float_round_mode_32 0
		.amdhsa_float_round_mode_16_64 0
		.amdhsa_float_denorm_mode_32 3
		.amdhsa_float_denorm_mode_16_64 3
		.amdhsa_dx10_clamp 1
		.amdhsa_ieee_mode 1
		.amdhsa_fp16_overflow 0
		.amdhsa_workgroup_processor_mode 1
		.amdhsa_memory_ordered 1
		.amdhsa_forward_progress 0
		.amdhsa_shared_vgpr_count 0
		.amdhsa_exception_fp_ieee_invalid_op 0
		.amdhsa_exception_fp_denorm_src 0
		.amdhsa_exception_fp_ieee_div_zero 0
		.amdhsa_exception_fp_ieee_overflow 0
		.amdhsa_exception_fp_ieee_underflow 0
		.amdhsa_exception_fp_ieee_inexact 0
		.amdhsa_exception_int_div_zero 0
	.end_amdhsa_kernel
	.section	.text._ZL34rocblas_syrkx_herkx_general_kernelIlfLi16ELi32ELi8ELb1ELb0ELc67ELc76EKffEviT_T0_PT8_S1_lS4_S1_lS2_PT9_S1_li,"axG",@progbits,_ZL34rocblas_syrkx_herkx_general_kernelIlfLi16ELi32ELi8ELb1ELb0ELc67ELc76EKffEviT_T0_PT8_S1_lS4_S1_lS2_PT9_S1_li,comdat
.Lfunc_end987:
	.size	_ZL34rocblas_syrkx_herkx_general_kernelIlfLi16ELi32ELi8ELb1ELb0ELc67ELc76EKffEviT_T0_PT8_S1_lS4_S1_lS2_PT9_S1_li, .Lfunc_end987-_ZL34rocblas_syrkx_herkx_general_kernelIlfLi16ELi32ELi8ELb1ELb0ELc67ELc76EKffEviT_T0_PT8_S1_lS4_S1_lS2_PT9_S1_li
                                        ; -- End function
	.section	.AMDGPU.csdata,"",@progbits
; Kernel info:
; codeLenInByte = 1500
; NumSgprs: 24
; NumVgprs: 44
; ScratchSize: 0
; MemoryBound: 0
; FloatMode: 240
; IeeeMode: 1
; LDSByteSize: 2048 bytes/workgroup (compile time only)
; SGPRBlocks: 2
; VGPRBlocks: 5
; NumSGPRsForWavesPerEU: 24
; NumVGPRsForWavesPerEU: 44
; Occupancy: 16
; WaveLimiterHint : 0
; COMPUTE_PGM_RSRC2:SCRATCH_EN: 0
; COMPUTE_PGM_RSRC2:USER_SGPR: 13
; COMPUTE_PGM_RSRC2:TRAP_HANDLER: 0
; COMPUTE_PGM_RSRC2:TGID_X_EN: 1
; COMPUTE_PGM_RSRC2:TGID_Y_EN: 1
; COMPUTE_PGM_RSRC2:TGID_Z_EN: 1
; COMPUTE_PGM_RSRC2:TIDIG_COMP_CNT: 1
	.section	.text._ZL34rocblas_syrkx_herkx_general_kernelIlfLi16ELi32ELi8ELb1ELb0ELc78ELc76EKffEviT_T0_PT8_S1_lS4_S1_lS2_PT9_S1_li,"axG",@progbits,_ZL34rocblas_syrkx_herkx_general_kernelIlfLi16ELi32ELi8ELb1ELb0ELc78ELc76EKffEviT_T0_PT8_S1_lS4_S1_lS2_PT9_S1_li,comdat
	.globl	_ZL34rocblas_syrkx_herkx_general_kernelIlfLi16ELi32ELi8ELb1ELb0ELc78ELc76EKffEviT_T0_PT8_S1_lS4_S1_lS2_PT9_S1_li ; -- Begin function _ZL34rocblas_syrkx_herkx_general_kernelIlfLi16ELi32ELi8ELb1ELb0ELc78ELc76EKffEviT_T0_PT8_S1_lS4_S1_lS2_PT9_S1_li
	.p2align	8
	.type	_ZL34rocblas_syrkx_herkx_general_kernelIlfLi16ELi32ELi8ELb1ELb0ELc78ELc76EKffEviT_T0_PT8_S1_lS4_S1_lS2_PT9_S1_li,@function
_ZL34rocblas_syrkx_herkx_general_kernelIlfLi16ELi32ELi8ELb1ELb0ELc78ELc76EKffEviT_T0_PT8_S1_lS4_S1_lS2_PT9_S1_li: ; @_ZL34rocblas_syrkx_herkx_general_kernelIlfLi16ELi32ELi8ELb1ELb0ELc78ELc76EKffEviT_T0_PT8_S1_lS4_S1_lS2_PT9_S1_li
; %bb.0:
	s_clause 0x1
	s_load_b64 s[20:21], s[0:1], 0x8
	s_load_b32 s12, s[0:1], 0x0
	v_dual_mov_b32 v13, 0 :: v_dual_mov_b32 v4, 0
	v_mov_b32_e32 v9, 0
	v_mov_b32_e32 v7, 0
	v_and_b32_e32 v5, 0x3ff, v0
	v_bfe_u32 v6, v0, 10, 10
	s_lshl_b32 s13, s13, 5
	s_lshl_b32 s14, s14, 5
	s_waitcnt lgkmcnt(0)
	v_cmp_lt_i64_e64 s2, s[20:21], 1
	s_delay_alu instid0(VALU_DEP_1)
	s_and_b32 vcc_lo, exec_lo, s2
	s_cbranch_vccnz .LBB988_7
; %bb.1:
	s_clause 0x1
	s_load_b256 s[4:11], s[0:1], 0x18
	s_load_b128 s[16:19], s[0:1], 0x38
	v_lshl_add_u32 v0, v6, 4, v5
	v_lshl_add_u32 v11, v6, 5, 0x400
	s_delay_alu instid0(VALU_DEP_2) | instskip(SKIP_2) | instid1(VALU_DEP_2)
	v_lshrrev_b32_e32 v12, 5, v0
	v_and_b32_e32 v2, 31, v0
	v_lshrrev_b32_e32 v1, 3, v0
	v_or_b32_e32 v7, s13, v2
	v_lshlrev_b32_e32 v9, 2, v2
	s_delay_alu instid0(VALU_DEP_2) | instskip(NEXT) | instid1(VALU_DEP_2)
	v_cmp_gt_i32_e64 s2, s12, v7
	v_lshl_or_b32 v14, v12, 7, v9
	s_waitcnt lgkmcnt(0)
	v_mad_u64_u32 v[16:17], null, s6, v12, 0
	v_and_b32_e32 v8, 7, v5
	s_mul_i32 s9, s9, s15
	s_mul_hi_u32 s22, s8, s15
	s_mul_i32 s8, s8, s15
	s_add_i32 s9, s22, s9
	s_mul_i32 s19, s19, s15
	s_delay_alu instid0(VALU_DEP_2)
	v_mov_b32_e32 v7, v17
	v_mad_u64_u32 v[18:19], null, s16, v8, 0
	v_lshlrev_b32_e32 v10, 2, v5
	v_dual_mov_b32 v4, 0 :: v_dual_lshlrev_b32 v3, 2, v8
	s_mul_hi_u32 s23, s18, s15
	s_lshl_b64 s[8:9], s[8:9], 2
	s_mul_i32 s18, s18, s15
	s_delay_alu instid0(VALU_DEP_3) | instskip(SKIP_2) | instid1(VALU_DEP_2)
	v_mov_b32_e32 v9, v19
	v_mad_u64_u32 v[19:20], null, s7, v12, v[7:8]
	s_add_i32 s19, s23, s19
	v_mad_u64_u32 v[20:21], null, s17, v8, v[9:10]
	v_add_nc_u32_e32 v0, s14, v1
	v_lshl_or_b32 v1, v1, 5, v3
	s_delay_alu instid0(VALU_DEP_4) | instskip(SKIP_1) | instid1(VALU_DEP_4)
	v_dual_mov_b32 v17, v19 :: v_dual_add_nc_u32 v2, s13, v2
	s_lshl_b64 s[18:19], s[18:19], 2
	v_mov_b32_e32 v19, v20
	s_delay_alu instid0(VALU_DEP_2) | instskip(NEXT) | instid1(VALU_DEP_3)
	v_lshlrev_b64 v[16:17], 2, v[16:17]
	v_ashrrev_i32_e32 v3, 31, v2
	v_add_nc_u32_e32 v15, 0x400, v1
	v_ashrrev_i32_e32 v1, 31, v0
	v_lshlrev_b64 v[18:19], 2, v[18:19]
	v_cmp_gt_i32_e64 s3, s12, v0
	v_lshlrev_b64 v[2:3], 2, v[2:3]
	v_add_co_u32 v7, vcc_lo, v16, s8
	v_add_co_ci_u32_e32 v9, vcc_lo, s9, v17, vcc_lo
	v_lshlrev_b64 v[0:1], 2, v[0:1]
	v_add_co_u32 v13, vcc_lo, s18, v18
	v_add_co_ci_u32_e32 v16, vcc_lo, s19, v19, vcc_lo
	v_add_co_u32 v2, vcc_lo, v7, v2
	v_add_co_ci_u32_e32 v3, vcc_lo, v9, v3, vcc_lo
	s_delay_alu instid0(VALU_DEP_4) | instskip(NEXT) | instid1(VALU_DEP_4)
	v_add_co_u32 v7, vcc_lo, v13, v0
	v_add_co_ci_u32_e32 v9, vcc_lo, v16, v1, vcc_lo
	s_delay_alu instid0(VALU_DEP_4) | instskip(NEXT) | instid1(VALU_DEP_4)
	v_add_co_u32 v0, vcc_lo, s4, v2
	v_add_co_ci_u32_e32 v1, vcc_lo, s5, v3, vcc_lo
	s_delay_alu instid0(VALU_DEP_4)
	v_add_co_u32 v2, vcc_lo, s10, v7
	v_mov_b32_e32 v7, 0
	v_add_co_ci_u32_e32 v3, vcc_lo, s11, v9, vcc_lo
	v_mov_b32_e32 v9, 0
	v_mov_b32_e32 v13, 0
	s_lshl_b64 s[4:5], s[6:7], 5
	s_lshl_b64 s[6:7], s[16:17], 5
	s_mov_b64 s[8:9], 0
	s_branch .LBB988_3
.LBB988_2:                              ;   in Loop: Header=BB988_3 Depth=1
	s_or_b32 exec_lo, exec_lo, s10
	s_waitcnt vmcnt(0)
	ds_store_b32 v15, v17
	s_waitcnt lgkmcnt(0)
	s_barrier
	buffer_gl0_inv
	ds_load_2addr_b32 v[32:33], v10 offset1:16
	ds_load_b128 v[16:19], v11
	ds_load_b128 v[20:23], v11 offset:512
	ds_load_2addr_b32 v[34:35], v10 offset0:32 offset1:48
	ds_load_2addr_b32 v[36:37], v10 offset0:64 offset1:80
	ds_load_2addr_b32 v[38:39], v10 offset0:96 offset1:112
	ds_load_b128 v[24:27], v11 offset:16
	ds_load_2addr_b32 v[40:41], v10 offset0:128 offset1:144
	ds_load_b128 v[28:31], v11 offset:528
	ds_load_2addr_b32 v[42:43], v10 offset0:160 offset1:176
	s_add_u32 s8, s8, 8
	s_addc_u32 s9, s9, 0
	v_add_co_u32 v0, vcc_lo, v0, s4
	v_cmp_ge_i64_e64 s10, s[8:9], s[20:21]
	v_add_co_ci_u32_e32 v1, vcc_lo, s5, v1, vcc_lo
	v_add_co_u32 v2, vcc_lo, v2, s6
	v_add_co_ci_u32_e32 v3, vcc_lo, s7, v3, vcc_lo
	s_delay_alu instid0(VALU_DEP_4) | instskip(SKIP_3) | instid1(VALU_DEP_1)
	s_and_b32 vcc_lo, exec_lo, s10
	s_waitcnt lgkmcnt(7)
	v_fmac_f32_e32 v4, v33, v20
	s_waitcnt lgkmcnt(6)
	v_dual_fmac_f32 v13, v32, v16 :: v_dual_fmac_f32 v4, v35, v21
	v_fmac_f32_e32 v7, v32, v20
	s_waitcnt lgkmcnt(5)
	s_delay_alu instid0(VALU_DEP_2)
	v_dual_fmac_f32 v13, v34, v17 :: v_dual_fmac_f32 v4, v37, v22
	v_fmac_f32_e32 v9, v33, v16
	ds_load_2addr_b32 v[32:33], v10 offset0:192 offset1:208
	s_waitcnt lgkmcnt(5)
	v_fmac_f32_e32 v4, v39, v23
	v_fmac_f32_e32 v9, v35, v17
	ds_load_2addr_b32 v[16:17], v10 offset0:224 offset1:240
	s_waitcnt lgkmcnt(0)
	s_barrier
	v_dual_fmac_f32 v4, v41, v28 :: v_dual_fmac_f32 v13, v36, v18
	v_fmac_f32_e32 v9, v37, v18
	buffer_gl0_inv
	v_fmac_f32_e32 v4, v43, v29
	v_fmac_f32_e32 v7, v34, v21
	;; [unrolled: 1-line block ×3, first 2 shown]
	s_delay_alu instid0(VALU_DEP_3) | instskip(NEXT) | instid1(VALU_DEP_3)
	v_dual_fmac_f32 v9, v39, v19 :: v_dual_fmac_f32 v4, v33, v30
	v_fmac_f32_e32 v7, v36, v22
	s_delay_alu instid0(VALU_DEP_3) | instskip(NEXT) | instid1(VALU_DEP_3)
	v_fmac_f32_e32 v13, v40, v24
	v_fmac_f32_e32 v9, v41, v24
	s_delay_alu instid0(VALU_DEP_4) | instskip(NEXT) | instid1(VALU_DEP_4)
	v_fmac_f32_e32 v4, v17, v31
	v_fmac_f32_e32 v7, v38, v23
	s_delay_alu instid0(VALU_DEP_4) | instskip(NEXT) | instid1(VALU_DEP_4)
	v_fmac_f32_e32 v13, v42, v25
	v_fmac_f32_e32 v9, v43, v25
	s_delay_alu instid0(VALU_DEP_3) | instskip(NEXT) | instid1(VALU_DEP_3)
	v_fmac_f32_e32 v7, v40, v28
	v_fmac_f32_e32 v13, v32, v26
	s_delay_alu instid0(VALU_DEP_3) | instskip(NEXT) | instid1(VALU_DEP_3)
	;; [unrolled: 3-line block ×3, first 2 shown]
	v_fmac_f32_e32 v13, v16, v27
	v_fmac_f32_e32 v9, v17, v27
	s_delay_alu instid0(VALU_DEP_3) | instskip(NEXT) | instid1(VALU_DEP_1)
	v_fmac_f32_e32 v7, v32, v30
	v_fmac_f32_e32 v7, v16, v31
	s_cbranch_vccnz .LBB988_7
.LBB988_3:                              ; =>This Inner Loop Header: Depth=1
	v_add_co_u32 v16, s10, v12, s8
	s_delay_alu instid0(VALU_DEP_1) | instskip(NEXT) | instid1(VALU_DEP_1)
	v_add_co_ci_u32_e64 v17, null, 0, s9, s10
	v_cmp_gt_i64_e32 vcc_lo, s[20:21], v[16:17]
	v_mov_b32_e32 v16, 0
	s_and_b32 s11, s2, vcc_lo
	s_delay_alu instid0(SALU_CYCLE_1)
	s_and_saveexec_b32 s10, s11
	s_cbranch_execz .LBB988_5
; %bb.4:                                ;   in Loop: Header=BB988_3 Depth=1
	global_load_b32 v16, v[0:1], off
.LBB988_5:                              ;   in Loop: Header=BB988_3 Depth=1
	s_or_b32 exec_lo, exec_lo, s10
	v_add_co_u32 v17, s10, v8, s8
	s_delay_alu instid0(VALU_DEP_1)
	v_add_co_ci_u32_e64 v18, null, 0, s9, s10
	s_waitcnt vmcnt(0)
	ds_store_b32 v14, v16
	v_cmp_gt_i64_e32 vcc_lo, s[20:21], v[17:18]
	v_mov_b32_e32 v17, 0
	s_and_b32 s11, vcc_lo, s3
	s_delay_alu instid0(SALU_CYCLE_1)
	s_and_saveexec_b32 s10, s11
	s_cbranch_execz .LBB988_2
; %bb.6:                                ;   in Loop: Header=BB988_3 Depth=1
	global_load_b32 v17, v[2:3], off
	s_branch .LBB988_2
.LBB988_7:
	s_clause 0x1
	s_load_b128 s[4:7], s[0:1], 0x50
	s_load_b32 s3, s[0:1], 0x10
	v_add_nc_u32_e32 v6, s14, v6
	s_load_b64 s[8:9], s[0:1], 0x60
	s_delay_alu instid0(VALU_DEP_1) | instskip(SKIP_1) | instid1(VALU_DEP_1)
	v_ashrrev_i32_e32 v0, 31, v6
	s_waitcnt lgkmcnt(0)
	v_mul_lo_u32 v3, v0, s6
	v_mul_lo_u32 v8, v6, s7
	v_mad_u64_u32 v[1:2], null, v6, s6, 0
	s_mul_i32 s1, s15, s9
	s_mul_hi_u32 s2, s15, s8
	s_mul_i32 s8, s15, s8
	s_add_i32 s9, s2, s1
	v_add_nc_u32_e32 v0, s13, v5
	s_lshl_b64 s[8:9], s[8:9], 2
	s_delay_alu instid0(VALU_DEP_2)
	v_add3_u32 v2, v2, v8, v3
	s_add_u32 s2, s4, s8
	s_addc_u32 s4, s5, s9
	v_cmp_le_i32_e64 s0, v6, v0
	v_cmp_gt_i32_e32 vcc_lo, s12, v0
	v_lshlrev_b64 v[1:2], 2, v[1:2]
	s_delay_alu instid0(VALU_DEP_3) | instskip(NEXT) | instid1(VALU_DEP_1)
	s_and_b32 s0, s0, vcc_lo
	v_add_co_u32 v5, s1, s2, v1
	s_delay_alu instid0(VALU_DEP_1)
	v_add_co_ci_u32_e64 v8, s1, s4, v2, s1
	s_and_saveexec_b32 s1, s0
	s_cbranch_execz .LBB988_9
; %bb.8:
	v_ashrrev_i32_e32 v1, 31, v0
	v_mul_f32_e32 v3, s3, v13
	s_delay_alu instid0(VALU_DEP_2) | instskip(NEXT) | instid1(VALU_DEP_1)
	v_lshlrev_b64 v[1:2], 2, v[0:1]
	v_add_co_u32 v1, s0, v5, v1
	s_delay_alu instid0(VALU_DEP_1)
	v_add_co_ci_u32_e64 v2, s0, v8, v2, s0
	global_store_b32 v[1:2], v3, off
.LBB988_9:
	s_or_b32 exec_lo, exec_lo, s1
	v_add_nc_u32_e32 v2, 16, v0
	s_delay_alu instid0(VALU_DEP_1) | instskip(SKIP_1) | instid1(VALU_DEP_1)
	v_cmp_le_i32_e64 s1, v6, v2
	v_cmp_gt_i32_e64 s0, s12, v2
	s_and_b32 s1, s1, s0
	s_delay_alu instid0(SALU_CYCLE_1)
	s_and_saveexec_b32 s5, s1
	s_cbranch_execz .LBB988_11
; %bb.10:
	v_ashrrev_i32_e32 v3, 31, v2
	v_mul_f32_e32 v1, s3, v9
	s_delay_alu instid0(VALU_DEP_2) | instskip(NEXT) | instid1(VALU_DEP_1)
	v_lshlrev_b64 v[10:11], 2, v[2:3]
	v_add_co_u32 v9, s1, v5, v10
	s_delay_alu instid0(VALU_DEP_1)
	v_add_co_ci_u32_e64 v10, s1, v8, v11, s1
	global_store_b32 v[9:10], v1, off
.LBB988_11:
	s_or_b32 exec_lo, exec_lo, s5
	v_add_nc_u32_e32 v3, 16, v6
	s_delay_alu instid0(VALU_DEP_1) | instskip(SKIP_3) | instid1(VALU_DEP_4)
	v_ashrrev_i32_e32 v1, 31, v3
	v_mul_lo_u32 v8, v3, s7
	v_mad_u64_u32 v[5:6], null, v3, s6, 0
	v_cmp_le_i32_e64 s1, v3, v0
	v_mul_lo_u32 v1, v1, s6
	s_delay_alu instid0(VALU_DEP_1) | instskip(NEXT) | instid1(VALU_DEP_1)
	v_add3_u32 v6, v6, v8, v1
	v_lshlrev_b64 v[5:6], 2, v[5:6]
	s_delay_alu instid0(VALU_DEP_1) | instskip(NEXT) | instid1(VALU_DEP_1)
	v_add_co_u32 v5, s2, s2, v5
	v_add_co_ci_u32_e64 v6, s2, s4, v6, s2
	s_and_b32 s2, s1, vcc_lo
	s_delay_alu instid0(SALU_CYCLE_1)
	s_and_saveexec_b32 s1, s2
	s_cbranch_execz .LBB988_13
; %bb.12:
	v_ashrrev_i32_e32 v1, 31, v0
	v_mul_f32_e32 v7, s3, v7
	s_delay_alu instid0(VALU_DEP_2) | instskip(NEXT) | instid1(VALU_DEP_1)
	v_lshlrev_b64 v[0:1], 2, v[0:1]
	v_add_co_u32 v0, vcc_lo, v5, v0
	s_delay_alu instid0(VALU_DEP_2)
	v_add_co_ci_u32_e32 v1, vcc_lo, v6, v1, vcc_lo
	global_store_b32 v[0:1], v7, off
.LBB988_13:
	s_or_b32 exec_lo, exec_lo, s1
	v_cmp_le_i32_e32 vcc_lo, v3, v2
	s_and_b32 s0, vcc_lo, s0
	s_delay_alu instid0(SALU_CYCLE_1)
	s_and_saveexec_b32 s1, s0
	s_cbranch_execz .LBB988_15
; %bb.14:
	v_ashrrev_i32_e32 v3, 31, v2
	s_delay_alu instid0(VALU_DEP_1) | instskip(SKIP_1) | instid1(VALU_DEP_2)
	v_lshlrev_b64 v[0:1], 2, v[2:3]
	v_mul_f32_e32 v2, s3, v4
	v_add_co_u32 v0, vcc_lo, v5, v0
	s_delay_alu instid0(VALU_DEP_3)
	v_add_co_ci_u32_e32 v1, vcc_lo, v6, v1, vcc_lo
	global_store_b32 v[0:1], v2, off
.LBB988_15:
	s_nop 0
	s_sendmsg sendmsg(MSG_DEALLOC_VGPRS)
	s_endpgm
	.section	.rodata,"a",@progbits
	.p2align	6, 0x0
	.amdhsa_kernel _ZL34rocblas_syrkx_herkx_general_kernelIlfLi16ELi32ELi8ELb1ELb0ELc78ELc76EKffEviT_T0_PT8_S1_lS4_S1_lS2_PT9_S1_li
		.amdhsa_group_segment_fixed_size 2048
		.amdhsa_private_segment_fixed_size 0
		.amdhsa_kernarg_size 108
		.amdhsa_user_sgpr_count 13
		.amdhsa_user_sgpr_dispatch_ptr 0
		.amdhsa_user_sgpr_queue_ptr 0
		.amdhsa_user_sgpr_kernarg_segment_ptr 1
		.amdhsa_user_sgpr_dispatch_id 0
		.amdhsa_user_sgpr_private_segment_size 0
		.amdhsa_wavefront_size32 1
		.amdhsa_uses_dynamic_stack 0
		.amdhsa_enable_private_segment 0
		.amdhsa_system_sgpr_workgroup_id_x 1
		.amdhsa_system_sgpr_workgroup_id_y 1
		.amdhsa_system_sgpr_workgroup_id_z 1
		.amdhsa_system_sgpr_workgroup_info 0
		.amdhsa_system_vgpr_workitem_id 1
		.amdhsa_next_free_vgpr 44
		.amdhsa_next_free_sgpr 24
		.amdhsa_reserve_vcc 1
		.amdhsa_float_round_mode_32 0
		.amdhsa_float_round_mode_16_64 0
		.amdhsa_float_denorm_mode_32 3
		.amdhsa_float_denorm_mode_16_64 3
		.amdhsa_dx10_clamp 1
		.amdhsa_ieee_mode 1
		.amdhsa_fp16_overflow 0
		.amdhsa_workgroup_processor_mode 1
		.amdhsa_memory_ordered 1
		.amdhsa_forward_progress 0
		.amdhsa_shared_vgpr_count 0
		.amdhsa_exception_fp_ieee_invalid_op 0
		.amdhsa_exception_fp_denorm_src 0
		.amdhsa_exception_fp_ieee_div_zero 0
		.amdhsa_exception_fp_ieee_overflow 0
		.amdhsa_exception_fp_ieee_underflow 0
		.amdhsa_exception_fp_ieee_inexact 0
		.amdhsa_exception_int_div_zero 0
	.end_amdhsa_kernel
	.section	.text._ZL34rocblas_syrkx_herkx_general_kernelIlfLi16ELi32ELi8ELb1ELb0ELc78ELc76EKffEviT_T0_PT8_S1_lS4_S1_lS2_PT9_S1_li,"axG",@progbits,_ZL34rocblas_syrkx_herkx_general_kernelIlfLi16ELi32ELi8ELb1ELb0ELc78ELc76EKffEviT_T0_PT8_S1_lS4_S1_lS2_PT9_S1_li,comdat
.Lfunc_end988:
	.size	_ZL34rocblas_syrkx_herkx_general_kernelIlfLi16ELi32ELi8ELb1ELb0ELc78ELc76EKffEviT_T0_PT8_S1_lS4_S1_lS2_PT9_S1_li, .Lfunc_end988-_ZL34rocblas_syrkx_herkx_general_kernelIlfLi16ELi32ELi8ELb1ELb0ELc78ELc76EKffEviT_T0_PT8_S1_lS4_S1_lS2_PT9_S1_li
                                        ; -- End function
	.section	.AMDGPU.csdata,"",@progbits
; Kernel info:
; codeLenInByte = 1512
; NumSgprs: 26
; NumVgprs: 44
; ScratchSize: 0
; MemoryBound: 0
; FloatMode: 240
; IeeeMode: 1
; LDSByteSize: 2048 bytes/workgroup (compile time only)
; SGPRBlocks: 3
; VGPRBlocks: 5
; NumSGPRsForWavesPerEU: 26
; NumVGPRsForWavesPerEU: 44
; Occupancy: 16
; WaveLimiterHint : 0
; COMPUTE_PGM_RSRC2:SCRATCH_EN: 0
; COMPUTE_PGM_RSRC2:USER_SGPR: 13
; COMPUTE_PGM_RSRC2:TRAP_HANDLER: 0
; COMPUTE_PGM_RSRC2:TGID_X_EN: 1
; COMPUTE_PGM_RSRC2:TGID_Y_EN: 1
; COMPUTE_PGM_RSRC2:TGID_Z_EN: 1
; COMPUTE_PGM_RSRC2:TIDIG_COMP_CNT: 1
	.section	.text._ZL34rocblas_syrkx_herkx_general_kernelIlfLi16ELi32ELi8ELb1ELb0ELc84ELc85EKffEviT_T0_PT8_S1_lS4_S1_lS2_PT9_S1_li,"axG",@progbits,_ZL34rocblas_syrkx_herkx_general_kernelIlfLi16ELi32ELi8ELb1ELb0ELc84ELc85EKffEviT_T0_PT8_S1_lS4_S1_lS2_PT9_S1_li,comdat
	.globl	_ZL34rocblas_syrkx_herkx_general_kernelIlfLi16ELi32ELi8ELb1ELb0ELc84ELc85EKffEviT_T0_PT8_S1_lS4_S1_lS2_PT9_S1_li ; -- Begin function _ZL34rocblas_syrkx_herkx_general_kernelIlfLi16ELi32ELi8ELb1ELb0ELc84ELc85EKffEviT_T0_PT8_S1_lS4_S1_lS2_PT9_S1_li
	.p2align	8
	.type	_ZL34rocblas_syrkx_herkx_general_kernelIlfLi16ELi32ELi8ELb1ELb0ELc84ELc85EKffEviT_T0_PT8_S1_lS4_S1_lS2_PT9_S1_li,@function
_ZL34rocblas_syrkx_herkx_general_kernelIlfLi16ELi32ELi8ELb1ELb0ELc84ELc85EKffEviT_T0_PT8_S1_lS4_S1_lS2_PT9_S1_li: ; @_ZL34rocblas_syrkx_herkx_general_kernelIlfLi16ELi32ELi8ELb1ELb0ELc84ELc85EKffEviT_T0_PT8_S1_lS4_S1_lS2_PT9_S1_li
; %bb.0:
	s_clause 0x1
	s_load_b64 s[20:21], s[0:1], 0x8
	s_load_b32 s12, s[0:1], 0x0
	v_dual_mov_b32 v12, 0 :: v_dual_mov_b32 v7, 0
	v_dual_mov_b32 v8, 0 :: v_dual_and_b32 v5, 0x3ff, v0
	v_bfe_u32 v6, v0, 10, 10
	v_mov_b32_e32 v4, 0
	s_lshl_b32 s13, s13, 5
	s_lshl_b32 s14, s14, 5
	s_waitcnt lgkmcnt(0)
	v_cmp_lt_i64_e64 s2, s[20:21], 1
	s_delay_alu instid0(VALU_DEP_1)
	s_and_b32 vcc_lo, exec_lo, s2
	s_cbranch_vccnz .LBB989_7
; %bb.1:
	s_load_b256 s[4:11], s[0:1], 0x18
	v_lshl_add_u32 v0, v6, 4, v5
	s_load_b128 s[16:19], s[0:1], 0x38
	v_and_b32_e32 v9, 7, v5
	v_lshlrev_b32_e32 v10, 2, v5
	s_delay_alu instid0(VALU_DEP_3)
	v_dual_mov_b32 v4, 0 :: v_dual_and_b32 v1, 31, v0
	v_lshrrev_b32_e32 v3, 3, v0
	v_lshrrev_b32_e32 v13, 5, v0
	v_lshlrev_b32_e32 v7, 2, v9
	v_lshl_add_u32 v11, v6, 5, 0x400
	v_add_nc_u32_e32 v2, s13, v1
	v_add_nc_u32_e32 v8, s14, v3
	v_or_b32_e32 v12, s13, v1
	v_lshlrev_b32_e32 v14, 2, v1
	v_lshl_or_b32 v17, v3, 5, v7
	v_ashrrev_i32_e32 v0, 31, v2
	v_cmp_gt_i32_e64 s3, s12, v8
	v_cmp_gt_i32_e64 s2, s12, v12
	v_lshl_or_b32 v14, v13, 7, v14
	s_waitcnt lgkmcnt(0)
	v_mul_lo_u32 v16, s7, v2
	v_mul_lo_u32 v15, s6, v0
	v_mad_u64_u32 v[0:1], null, s6, v2, 0
	v_ashrrev_i32_e32 v2, 31, v8
	v_mul_lo_u32 v18, s17, v8
	s_mul_i32 s7, s9, s15
	s_mul_hi_u32 s9, s8, s15
	s_mul_i32 s6, s8, s15
	v_mul_lo_u32 v12, s16, v2
	s_delay_alu instid0(VALU_DEP_4) | instskip(SKIP_3) | instid1(VALU_DEP_3)
	v_add3_u32 v1, v1, v15, v16
	v_mad_u64_u32 v[2:3], null, s16, v8, 0
	s_add_i32 s7, s9, s7
	v_add_nc_u32_e32 v15, 0x400, v17
	v_lshlrev_b64 v[0:1], 2, v[0:1]
	s_lshl_b64 s[6:7], s[6:7], 2
	s_delay_alu instid0(VALU_DEP_3) | instskip(NEXT) | instid1(VALU_DEP_2)
	v_add3_u32 v3, v3, v12, v18
	v_add_co_u32 v8, vcc_lo, v0, s6
	s_delay_alu instid0(VALU_DEP_3)
	v_add_co_ci_u32_e32 v12, vcc_lo, s7, v1, vcc_lo
	s_mul_i32 s6, s19, s15
	s_mul_hi_u32 s7, s18, s15
	v_lshlrev_b64 v[0:1], 2, v[2:3]
	s_add_i32 s7, s7, s6
	s_mul_i32 s6, s18, s15
	v_lshlrev_b32_e32 v2, 2, v13
	s_lshl_b64 s[6:7], s[6:7], 2
	s_delay_alu instid0(VALU_DEP_2) | instid1(SALU_CYCLE_1)
	v_add_co_u32 v0, vcc_lo, v0, s6
	v_add_co_ci_u32_e32 v1, vcc_lo, s7, v1, vcc_lo
	s_delay_alu instid0(VALU_DEP_3)
	v_add_co_u32 v2, vcc_lo, v8, v2
	v_add_co_ci_u32_e32 v3, vcc_lo, 0, v12, vcc_lo
	v_mov_b32_e32 v12, 0
	v_add_co_u32 v7, vcc_lo, v0, v7
	v_add_co_ci_u32_e32 v8, vcc_lo, 0, v1, vcc_lo
	v_add_co_u32 v0, vcc_lo, s4, v2
	v_add_co_ci_u32_e32 v1, vcc_lo, s5, v3, vcc_lo
	s_delay_alu instid0(VALU_DEP_4)
	v_add_co_u32 v2, vcc_lo, s10, v7
	v_mov_b32_e32 v7, 0
	v_add_co_ci_u32_e32 v3, vcc_lo, s11, v8, vcc_lo
	v_mov_b32_e32 v8, 0
	s_mov_b64 s[4:5], 0
	s_branch .LBB989_3
.LBB989_2:                              ;   in Loop: Header=BB989_3 Depth=1
	s_or_b32 exec_lo, exec_lo, s6
	s_waitcnt vmcnt(0)
	ds_store_b32 v15, v17
	s_waitcnt lgkmcnt(0)
	s_barrier
	buffer_gl0_inv
	ds_load_2addr_b32 v[32:33], v10 offset1:16
	ds_load_b128 v[16:19], v11
	ds_load_b128 v[20:23], v11 offset:512
	ds_load_2addr_b32 v[34:35], v10 offset0:32 offset1:48
	ds_load_2addr_b32 v[36:37], v10 offset0:64 offset1:80
	ds_load_2addr_b32 v[38:39], v10 offset0:96 offset1:112
	ds_load_b128 v[24:27], v11 offset:16
	ds_load_2addr_b32 v[40:41], v10 offset0:128 offset1:144
	ds_load_b128 v[28:31], v11 offset:528
	ds_load_2addr_b32 v[42:43], v10 offset0:160 offset1:176
	s_add_u32 s4, s4, 8
	s_addc_u32 s5, s5, 0
	v_add_co_u32 v0, vcc_lo, v0, 32
	v_cmp_ge_i64_e64 s6, s[4:5], s[20:21]
	v_add_co_ci_u32_e32 v1, vcc_lo, 0, v1, vcc_lo
	v_add_co_u32 v2, vcc_lo, v2, 32
	v_add_co_ci_u32_e32 v3, vcc_lo, 0, v3, vcc_lo
	s_delay_alu instid0(VALU_DEP_4) | instskip(SKIP_3) | instid1(VALU_DEP_1)
	s_and_b32 vcc_lo, exec_lo, s6
	s_waitcnt lgkmcnt(7)
	v_fmac_f32_e32 v7, v32, v20
	s_waitcnt lgkmcnt(6)
	v_dual_fmac_f32 v12, v32, v16 :: v_dual_fmac_f32 v7, v34, v21
	v_fmac_f32_e32 v8, v33, v16
	s_waitcnt lgkmcnt(5)
	s_delay_alu instid0(VALU_DEP_2)
	v_dual_fmac_f32 v12, v34, v17 :: v_dual_fmac_f32 v7, v36, v22
	v_fmac_f32_e32 v4, v33, v20
	ds_load_2addr_b32 v[32:33], v10 offset0:192 offset1:208
	s_waitcnt lgkmcnt(5)
	v_dual_fmac_f32 v7, v38, v23 :: v_dual_fmac_f32 v8, v35, v17
	ds_load_2addr_b32 v[16:17], v10 offset0:224 offset1:240
	s_waitcnt lgkmcnt(0)
	s_barrier
	v_fmac_f32_e32 v7, v40, v28
	v_fmac_f32_e32 v12, v36, v18
	buffer_gl0_inv
	v_fmac_f32_e32 v7, v42, v29
	v_fmac_f32_e32 v4, v35, v21
	s_delay_alu instid0(VALU_DEP_2) | instskip(SKIP_1) | instid1(VALU_DEP_3)
	v_dual_fmac_f32 v12, v38, v19 :: v_dual_fmac_f32 v7, v32, v30
	v_fmac_f32_e32 v8, v37, v18
	v_fmac_f32_e32 v4, v37, v22
	s_delay_alu instid0(VALU_DEP_3) | instskip(NEXT) | instid1(VALU_DEP_4)
	v_fmac_f32_e32 v12, v40, v24
	v_fmac_f32_e32 v7, v16, v31
	s_delay_alu instid0(VALU_DEP_4) | instskip(NEXT) | instid1(VALU_DEP_4)
	v_fmac_f32_e32 v8, v39, v19
	v_fmac_f32_e32 v4, v39, v23
	s_delay_alu instid0(VALU_DEP_4) | instskip(NEXT) | instid1(VALU_DEP_3)
	v_fmac_f32_e32 v12, v42, v25
	v_fmac_f32_e32 v8, v41, v24
	s_delay_alu instid0(VALU_DEP_3) | instskip(NEXT) | instid1(VALU_DEP_3)
	v_fmac_f32_e32 v4, v41, v28
	v_fmac_f32_e32 v12, v32, v26
	s_delay_alu instid0(VALU_DEP_3) | instskip(NEXT) | instid1(VALU_DEP_3)
	;; [unrolled: 3-line block ×3, first 2 shown]
	v_fmac_f32_e32 v12, v16, v27
	v_fmac_f32_e32 v8, v33, v26
	s_delay_alu instid0(VALU_DEP_3) | instskip(NEXT) | instid1(VALU_DEP_2)
	v_fmac_f32_e32 v4, v33, v30
	v_fmac_f32_e32 v8, v17, v27
	s_delay_alu instid0(VALU_DEP_2)
	v_fmac_f32_e32 v4, v17, v31
	s_cbranch_vccnz .LBB989_7
.LBB989_3:                              ; =>This Inner Loop Header: Depth=1
	v_add_co_u32 v16, s6, v13, s4
	s_delay_alu instid0(VALU_DEP_1) | instskip(NEXT) | instid1(VALU_DEP_1)
	v_add_co_ci_u32_e64 v17, null, 0, s5, s6
	v_cmp_gt_i64_e32 vcc_lo, s[20:21], v[16:17]
	v_mov_b32_e32 v16, 0
	s_and_b32 s7, s2, vcc_lo
	s_delay_alu instid0(SALU_CYCLE_1)
	s_and_saveexec_b32 s6, s7
	s_cbranch_execz .LBB989_5
; %bb.4:                                ;   in Loop: Header=BB989_3 Depth=1
	global_load_b32 v16, v[0:1], off
.LBB989_5:                              ;   in Loop: Header=BB989_3 Depth=1
	s_or_b32 exec_lo, exec_lo, s6
	v_add_co_u32 v17, s6, v9, s4
	s_delay_alu instid0(VALU_DEP_1)
	v_add_co_ci_u32_e64 v18, null, 0, s5, s6
	s_waitcnt vmcnt(0)
	ds_store_b32 v14, v16
	v_cmp_gt_i64_e32 vcc_lo, s[20:21], v[17:18]
	v_mov_b32_e32 v17, 0
	s_and_b32 s7, vcc_lo, s3
	s_delay_alu instid0(SALU_CYCLE_1)
	s_and_saveexec_b32 s6, s7
	s_cbranch_execz .LBB989_2
; %bb.6:                                ;   in Loop: Header=BB989_3 Depth=1
	global_load_b32 v17, v[2:3], off
	s_branch .LBB989_2
.LBB989_7:
	s_clause 0x1
	s_load_b128 s[4:7], s[0:1], 0x50
	s_load_b32 s2, s[0:1], 0x10
	v_add_nc_u32_e32 v6, s14, v6
	s_load_b64 s[8:9], s[0:1], 0x60
	s_delay_alu instid0(VALU_DEP_1) | instskip(SKIP_2) | instid1(VALU_DEP_2)
	v_ashrrev_i32_e32 v0, 31, v6
	v_cmp_gt_i32_e32 vcc_lo, s12, v6
	s_waitcnt lgkmcnt(0)
	v_mul_lo_u32 v3, v0, s6
	v_mul_lo_u32 v9, v6, s7
	v_mad_u64_u32 v[1:2], null, v6, s6, 0
	s_mul_i32 s1, s15, s9
	s_mul_hi_u32 s3, s15, s8
	s_mul_i32 s0, s15, s8
	s_add_i32 s1, s3, s1
	v_add_nc_u32_e32 v0, s13, v5
	s_lshl_b64 s[8:9], s[0:1], 2
	s_delay_alu instid0(VALU_DEP_2) | instskip(SKIP_3) | instid1(VALU_DEP_2)
	v_add3_u32 v2, v2, v9, v3
	s_add_u32 s3, s4, s8
	s_addc_u32 s4, s5, s9
	v_cmp_le_i32_e64 s0, v0, v6
	v_lshlrev_b64 v[1:2], 2, v[1:2]
	s_delay_alu instid0(VALU_DEP_2) | instskip(NEXT) | instid1(VALU_DEP_1)
	s_and_b32 s0, vcc_lo, s0
	v_add_co_u32 v5, s1, s3, v1
	s_delay_alu instid0(VALU_DEP_1)
	v_add_co_ci_u32_e64 v9, s1, s4, v2, s1
	s_and_saveexec_b32 s1, s0
	s_cbranch_execz .LBB989_9
; %bb.8:
	v_ashrrev_i32_e32 v1, 31, v0
	v_mul_f32_e32 v3, s2, v12
	s_delay_alu instid0(VALU_DEP_2) | instskip(NEXT) | instid1(VALU_DEP_1)
	v_lshlrev_b64 v[1:2], 2, v[0:1]
	v_add_co_u32 v1, s0, v5, v1
	s_delay_alu instid0(VALU_DEP_1)
	v_add_co_ci_u32_e64 v2, s0, v9, v2, s0
	global_store_b32 v[1:2], v3, off
.LBB989_9:
	s_or_b32 exec_lo, exec_lo, s1
	v_add_nc_u32_e32 v2, 16, v0
	s_delay_alu instid0(VALU_DEP_1) | instskip(NEXT) | instid1(VALU_DEP_1)
	v_cmp_le_i32_e64 s0, v2, v6
	s_and_b32 s1, vcc_lo, s0
	s_delay_alu instid0(SALU_CYCLE_1)
	s_and_saveexec_b32 s0, s1
	s_cbranch_execz .LBB989_11
; %bb.10:
	v_ashrrev_i32_e32 v3, 31, v2
	v_mul_f32_e32 v1, s2, v8
	s_delay_alu instid0(VALU_DEP_2) | instskip(NEXT) | instid1(VALU_DEP_1)
	v_lshlrev_b64 v[10:11], 2, v[2:3]
	v_add_co_u32 v8, vcc_lo, v5, v10
	s_delay_alu instid0(VALU_DEP_2)
	v_add_co_ci_u32_e32 v9, vcc_lo, v9, v11, vcc_lo
	global_store_b32 v[8:9], v1, off
.LBB989_11:
	s_or_b32 exec_lo, exec_lo, s0
	v_add_nc_u32_e32 v3, 16, v6
	s_delay_alu instid0(VALU_DEP_1) | instskip(SKIP_3) | instid1(VALU_DEP_4)
	v_ashrrev_i32_e32 v1, 31, v3
	v_mul_lo_u32 v8, v3, s7
	v_mad_u64_u32 v[5:6], null, v3, s6, 0
	v_cmp_gt_i32_e32 vcc_lo, s12, v3
	v_mul_lo_u32 v1, v1, s6
	v_cmp_le_i32_e64 s0, v0, v3
	s_delay_alu instid0(VALU_DEP_1) | instskip(NEXT) | instid1(VALU_DEP_2)
	s_and_b32 s0, vcc_lo, s0
	v_add3_u32 v6, v6, v8, v1
	s_delay_alu instid0(VALU_DEP_1) | instskip(NEXT) | instid1(VALU_DEP_1)
	v_lshlrev_b64 v[5:6], 2, v[5:6]
	v_add_co_u32 v5, s1, s3, v5
	s_delay_alu instid0(VALU_DEP_1)
	v_add_co_ci_u32_e64 v6, s1, s4, v6, s1
	s_and_saveexec_b32 s1, s0
	s_cbranch_execz .LBB989_13
; %bb.12:
	v_ashrrev_i32_e32 v1, 31, v0
	v_mul_f32_e32 v7, s2, v7
	s_delay_alu instid0(VALU_DEP_2) | instskip(NEXT) | instid1(VALU_DEP_1)
	v_lshlrev_b64 v[0:1], 2, v[0:1]
	v_add_co_u32 v0, s0, v5, v0
	s_delay_alu instid0(VALU_DEP_1)
	v_add_co_ci_u32_e64 v1, s0, v6, v1, s0
	global_store_b32 v[0:1], v7, off
.LBB989_13:
	s_or_b32 exec_lo, exec_lo, s1
	v_cmp_le_i32_e64 s0, v2, v3
	s_delay_alu instid0(VALU_DEP_1) | instskip(NEXT) | instid1(SALU_CYCLE_1)
	s_and_b32 s0, vcc_lo, s0
	s_and_saveexec_b32 s1, s0
	s_cbranch_execz .LBB989_15
; %bb.14:
	v_ashrrev_i32_e32 v3, 31, v2
	s_delay_alu instid0(VALU_DEP_1) | instskip(SKIP_1) | instid1(VALU_DEP_2)
	v_lshlrev_b64 v[0:1], 2, v[2:3]
	v_mul_f32_e32 v2, s2, v4
	v_add_co_u32 v0, vcc_lo, v5, v0
	s_delay_alu instid0(VALU_DEP_3)
	v_add_co_ci_u32_e32 v1, vcc_lo, v6, v1, vcc_lo
	global_store_b32 v[0:1], v2, off
.LBB989_15:
	s_nop 0
	s_sendmsg sendmsg(MSG_DEALLOC_VGPRS)
	s_endpgm
	.section	.rodata,"a",@progbits
	.p2align	6, 0x0
	.amdhsa_kernel _ZL34rocblas_syrkx_herkx_general_kernelIlfLi16ELi32ELi8ELb1ELb0ELc84ELc85EKffEviT_T0_PT8_S1_lS4_S1_lS2_PT9_S1_li
		.amdhsa_group_segment_fixed_size 2048
		.amdhsa_private_segment_fixed_size 0
		.amdhsa_kernarg_size 108
		.amdhsa_user_sgpr_count 13
		.amdhsa_user_sgpr_dispatch_ptr 0
		.amdhsa_user_sgpr_queue_ptr 0
		.amdhsa_user_sgpr_kernarg_segment_ptr 1
		.amdhsa_user_sgpr_dispatch_id 0
		.amdhsa_user_sgpr_private_segment_size 0
		.amdhsa_wavefront_size32 1
		.amdhsa_uses_dynamic_stack 0
		.amdhsa_enable_private_segment 0
		.amdhsa_system_sgpr_workgroup_id_x 1
		.amdhsa_system_sgpr_workgroup_id_y 1
		.amdhsa_system_sgpr_workgroup_id_z 1
		.amdhsa_system_sgpr_workgroup_info 0
		.amdhsa_system_vgpr_workitem_id 1
		.amdhsa_next_free_vgpr 44
		.amdhsa_next_free_sgpr 22
		.amdhsa_reserve_vcc 1
		.amdhsa_float_round_mode_32 0
		.amdhsa_float_round_mode_16_64 0
		.amdhsa_float_denorm_mode_32 3
		.amdhsa_float_denorm_mode_16_64 3
		.amdhsa_dx10_clamp 1
		.amdhsa_ieee_mode 1
		.amdhsa_fp16_overflow 0
		.amdhsa_workgroup_processor_mode 1
		.amdhsa_memory_ordered 1
		.amdhsa_forward_progress 0
		.amdhsa_shared_vgpr_count 0
		.amdhsa_exception_fp_ieee_invalid_op 0
		.amdhsa_exception_fp_denorm_src 0
		.amdhsa_exception_fp_ieee_div_zero 0
		.amdhsa_exception_fp_ieee_overflow 0
		.amdhsa_exception_fp_ieee_underflow 0
		.amdhsa_exception_fp_ieee_inexact 0
		.amdhsa_exception_int_div_zero 0
	.end_amdhsa_kernel
	.section	.text._ZL34rocblas_syrkx_herkx_general_kernelIlfLi16ELi32ELi8ELb1ELb0ELc84ELc85EKffEviT_T0_PT8_S1_lS4_S1_lS2_PT9_S1_li,"axG",@progbits,_ZL34rocblas_syrkx_herkx_general_kernelIlfLi16ELi32ELi8ELb1ELb0ELc84ELc85EKffEviT_T0_PT8_S1_lS4_S1_lS2_PT9_S1_li,comdat
.Lfunc_end989:
	.size	_ZL34rocblas_syrkx_herkx_general_kernelIlfLi16ELi32ELi8ELb1ELb0ELc84ELc85EKffEviT_T0_PT8_S1_lS4_S1_lS2_PT9_S1_li, .Lfunc_end989-_ZL34rocblas_syrkx_herkx_general_kernelIlfLi16ELi32ELi8ELb1ELb0ELc84ELc85EKffEviT_T0_PT8_S1_lS4_S1_lS2_PT9_S1_li
                                        ; -- End function
	.section	.AMDGPU.csdata,"",@progbits
; Kernel info:
; codeLenInByte = 1500
; NumSgprs: 24
; NumVgprs: 44
; ScratchSize: 0
; MemoryBound: 0
; FloatMode: 240
; IeeeMode: 1
; LDSByteSize: 2048 bytes/workgroup (compile time only)
; SGPRBlocks: 2
; VGPRBlocks: 5
; NumSGPRsForWavesPerEU: 24
; NumVGPRsForWavesPerEU: 44
; Occupancy: 16
; WaveLimiterHint : 0
; COMPUTE_PGM_RSRC2:SCRATCH_EN: 0
; COMPUTE_PGM_RSRC2:USER_SGPR: 13
; COMPUTE_PGM_RSRC2:TRAP_HANDLER: 0
; COMPUTE_PGM_RSRC2:TGID_X_EN: 1
; COMPUTE_PGM_RSRC2:TGID_Y_EN: 1
; COMPUTE_PGM_RSRC2:TGID_Z_EN: 1
; COMPUTE_PGM_RSRC2:TIDIG_COMP_CNT: 1
	.section	.text._ZL34rocblas_syrkx_herkx_general_kernelIlfLi16ELi32ELi8ELb1ELb0ELc67ELc85EKffEviT_T0_PT8_S1_lS4_S1_lS2_PT9_S1_li,"axG",@progbits,_ZL34rocblas_syrkx_herkx_general_kernelIlfLi16ELi32ELi8ELb1ELb0ELc67ELc85EKffEviT_T0_PT8_S1_lS4_S1_lS2_PT9_S1_li,comdat
	.globl	_ZL34rocblas_syrkx_herkx_general_kernelIlfLi16ELi32ELi8ELb1ELb0ELc67ELc85EKffEviT_T0_PT8_S1_lS4_S1_lS2_PT9_S1_li ; -- Begin function _ZL34rocblas_syrkx_herkx_general_kernelIlfLi16ELi32ELi8ELb1ELb0ELc67ELc85EKffEviT_T0_PT8_S1_lS4_S1_lS2_PT9_S1_li
	.p2align	8
	.type	_ZL34rocblas_syrkx_herkx_general_kernelIlfLi16ELi32ELi8ELb1ELb0ELc67ELc85EKffEviT_T0_PT8_S1_lS4_S1_lS2_PT9_S1_li,@function
_ZL34rocblas_syrkx_herkx_general_kernelIlfLi16ELi32ELi8ELb1ELb0ELc67ELc85EKffEviT_T0_PT8_S1_lS4_S1_lS2_PT9_S1_li: ; @_ZL34rocblas_syrkx_herkx_general_kernelIlfLi16ELi32ELi8ELb1ELb0ELc67ELc85EKffEviT_T0_PT8_S1_lS4_S1_lS2_PT9_S1_li
; %bb.0:
	s_clause 0x1
	s_load_b64 s[20:21], s[0:1], 0x8
	s_load_b32 s12, s[0:1], 0x0
	v_dual_mov_b32 v12, 0 :: v_dual_mov_b32 v7, 0
	v_dual_mov_b32 v8, 0 :: v_dual_and_b32 v5, 0x3ff, v0
	v_bfe_u32 v6, v0, 10, 10
	v_mov_b32_e32 v4, 0
	s_lshl_b32 s13, s13, 5
	s_lshl_b32 s14, s14, 5
	s_waitcnt lgkmcnt(0)
	v_cmp_lt_i64_e64 s2, s[20:21], 1
	s_delay_alu instid0(VALU_DEP_1)
	s_and_b32 vcc_lo, exec_lo, s2
	s_cbranch_vccnz .LBB990_7
; %bb.1:
	s_load_b256 s[4:11], s[0:1], 0x18
	v_lshl_add_u32 v0, v6, 4, v5
	s_load_b128 s[16:19], s[0:1], 0x38
	v_and_b32_e32 v9, 7, v5
	v_lshlrev_b32_e32 v10, 2, v5
	s_delay_alu instid0(VALU_DEP_3)
	v_dual_mov_b32 v4, 0 :: v_dual_and_b32 v1, 31, v0
	v_lshrrev_b32_e32 v3, 3, v0
	v_lshrrev_b32_e32 v13, 5, v0
	v_lshlrev_b32_e32 v7, 2, v9
	v_lshl_add_u32 v11, v6, 5, 0x400
	v_add_nc_u32_e32 v2, s13, v1
	v_add_nc_u32_e32 v8, s14, v3
	v_or_b32_e32 v12, s13, v1
	v_lshlrev_b32_e32 v14, 2, v1
	v_lshl_or_b32 v17, v3, 5, v7
	v_ashrrev_i32_e32 v0, 31, v2
	v_cmp_gt_i32_e64 s3, s12, v8
	v_cmp_gt_i32_e64 s2, s12, v12
	v_lshl_or_b32 v14, v13, 7, v14
	s_waitcnt lgkmcnt(0)
	v_mul_lo_u32 v16, s7, v2
	v_mul_lo_u32 v15, s6, v0
	v_mad_u64_u32 v[0:1], null, s6, v2, 0
	v_ashrrev_i32_e32 v2, 31, v8
	v_mul_lo_u32 v18, s17, v8
	s_mul_i32 s7, s9, s15
	s_mul_hi_u32 s9, s8, s15
	s_mul_i32 s6, s8, s15
	v_mul_lo_u32 v12, s16, v2
	s_delay_alu instid0(VALU_DEP_4) | instskip(SKIP_3) | instid1(VALU_DEP_3)
	v_add3_u32 v1, v1, v15, v16
	v_mad_u64_u32 v[2:3], null, s16, v8, 0
	s_add_i32 s7, s9, s7
	v_add_nc_u32_e32 v15, 0x400, v17
	v_lshlrev_b64 v[0:1], 2, v[0:1]
	s_lshl_b64 s[6:7], s[6:7], 2
	s_delay_alu instid0(VALU_DEP_3) | instskip(NEXT) | instid1(VALU_DEP_2)
	v_add3_u32 v3, v3, v12, v18
	v_add_co_u32 v8, vcc_lo, v0, s6
	s_delay_alu instid0(VALU_DEP_3)
	v_add_co_ci_u32_e32 v12, vcc_lo, s7, v1, vcc_lo
	s_mul_i32 s6, s19, s15
	s_mul_hi_u32 s7, s18, s15
	v_lshlrev_b64 v[0:1], 2, v[2:3]
	s_add_i32 s7, s7, s6
	s_mul_i32 s6, s18, s15
	v_lshlrev_b32_e32 v2, 2, v13
	s_lshl_b64 s[6:7], s[6:7], 2
	s_delay_alu instid0(VALU_DEP_2) | instid1(SALU_CYCLE_1)
	v_add_co_u32 v0, vcc_lo, v0, s6
	v_add_co_ci_u32_e32 v1, vcc_lo, s7, v1, vcc_lo
	s_delay_alu instid0(VALU_DEP_3)
	v_add_co_u32 v2, vcc_lo, v8, v2
	v_add_co_ci_u32_e32 v3, vcc_lo, 0, v12, vcc_lo
	v_mov_b32_e32 v12, 0
	v_add_co_u32 v7, vcc_lo, v0, v7
	v_add_co_ci_u32_e32 v8, vcc_lo, 0, v1, vcc_lo
	v_add_co_u32 v0, vcc_lo, s4, v2
	v_add_co_ci_u32_e32 v1, vcc_lo, s5, v3, vcc_lo
	s_delay_alu instid0(VALU_DEP_4)
	v_add_co_u32 v2, vcc_lo, s10, v7
	v_mov_b32_e32 v7, 0
	v_add_co_ci_u32_e32 v3, vcc_lo, s11, v8, vcc_lo
	v_mov_b32_e32 v8, 0
	s_mov_b64 s[4:5], 0
	s_branch .LBB990_3
.LBB990_2:                              ;   in Loop: Header=BB990_3 Depth=1
	s_or_b32 exec_lo, exec_lo, s6
	s_waitcnt vmcnt(0)
	ds_store_b32 v15, v17
	s_waitcnt lgkmcnt(0)
	s_barrier
	buffer_gl0_inv
	ds_load_2addr_b32 v[32:33], v10 offset1:16
	ds_load_b128 v[16:19], v11
	ds_load_b128 v[20:23], v11 offset:512
	ds_load_2addr_b32 v[34:35], v10 offset0:32 offset1:48
	ds_load_2addr_b32 v[36:37], v10 offset0:64 offset1:80
	;; [unrolled: 1-line block ×3, first 2 shown]
	ds_load_b128 v[24:27], v11 offset:16
	ds_load_2addr_b32 v[40:41], v10 offset0:128 offset1:144
	ds_load_b128 v[28:31], v11 offset:528
	ds_load_2addr_b32 v[42:43], v10 offset0:160 offset1:176
	s_add_u32 s4, s4, 8
	s_addc_u32 s5, s5, 0
	v_add_co_u32 v0, vcc_lo, v0, 32
	v_cmp_ge_i64_e64 s6, s[4:5], s[20:21]
	v_add_co_ci_u32_e32 v1, vcc_lo, 0, v1, vcc_lo
	v_add_co_u32 v2, vcc_lo, v2, 32
	v_add_co_ci_u32_e32 v3, vcc_lo, 0, v3, vcc_lo
	s_delay_alu instid0(VALU_DEP_4) | instskip(SKIP_3) | instid1(VALU_DEP_1)
	s_and_b32 vcc_lo, exec_lo, s6
	s_waitcnt lgkmcnt(7)
	v_fmac_f32_e32 v7, v32, v20
	s_waitcnt lgkmcnt(6)
	v_dual_fmac_f32 v12, v32, v16 :: v_dual_fmac_f32 v7, v34, v21
	v_fmac_f32_e32 v8, v33, v16
	s_waitcnt lgkmcnt(5)
	s_delay_alu instid0(VALU_DEP_2)
	v_dual_fmac_f32 v12, v34, v17 :: v_dual_fmac_f32 v7, v36, v22
	v_fmac_f32_e32 v4, v33, v20
	ds_load_2addr_b32 v[32:33], v10 offset0:192 offset1:208
	s_waitcnt lgkmcnt(5)
	v_dual_fmac_f32 v7, v38, v23 :: v_dual_fmac_f32 v8, v35, v17
	ds_load_2addr_b32 v[16:17], v10 offset0:224 offset1:240
	s_waitcnt lgkmcnt(0)
	s_barrier
	v_fmac_f32_e32 v7, v40, v28
	v_fmac_f32_e32 v12, v36, v18
	buffer_gl0_inv
	v_fmac_f32_e32 v7, v42, v29
	v_fmac_f32_e32 v4, v35, v21
	s_delay_alu instid0(VALU_DEP_2) | instskip(SKIP_1) | instid1(VALU_DEP_3)
	v_dual_fmac_f32 v12, v38, v19 :: v_dual_fmac_f32 v7, v32, v30
	v_fmac_f32_e32 v8, v37, v18
	v_fmac_f32_e32 v4, v37, v22
	s_delay_alu instid0(VALU_DEP_3) | instskip(NEXT) | instid1(VALU_DEP_4)
	v_fmac_f32_e32 v12, v40, v24
	v_fmac_f32_e32 v7, v16, v31
	s_delay_alu instid0(VALU_DEP_4) | instskip(NEXT) | instid1(VALU_DEP_4)
	v_fmac_f32_e32 v8, v39, v19
	v_fmac_f32_e32 v4, v39, v23
	s_delay_alu instid0(VALU_DEP_4) | instskip(NEXT) | instid1(VALU_DEP_3)
	v_fmac_f32_e32 v12, v42, v25
	v_fmac_f32_e32 v8, v41, v24
	s_delay_alu instid0(VALU_DEP_3) | instskip(NEXT) | instid1(VALU_DEP_3)
	v_fmac_f32_e32 v4, v41, v28
	v_fmac_f32_e32 v12, v32, v26
	s_delay_alu instid0(VALU_DEP_3) | instskip(NEXT) | instid1(VALU_DEP_3)
	;; [unrolled: 3-line block ×3, first 2 shown]
	v_fmac_f32_e32 v12, v16, v27
	v_fmac_f32_e32 v8, v33, v26
	s_delay_alu instid0(VALU_DEP_3) | instskip(NEXT) | instid1(VALU_DEP_2)
	v_fmac_f32_e32 v4, v33, v30
	v_fmac_f32_e32 v8, v17, v27
	s_delay_alu instid0(VALU_DEP_2)
	v_fmac_f32_e32 v4, v17, v31
	s_cbranch_vccnz .LBB990_7
.LBB990_3:                              ; =>This Inner Loop Header: Depth=1
	v_add_co_u32 v16, s6, v13, s4
	s_delay_alu instid0(VALU_DEP_1) | instskip(NEXT) | instid1(VALU_DEP_1)
	v_add_co_ci_u32_e64 v17, null, 0, s5, s6
	v_cmp_gt_i64_e32 vcc_lo, s[20:21], v[16:17]
	v_mov_b32_e32 v16, 0
	s_and_b32 s7, s2, vcc_lo
	s_delay_alu instid0(SALU_CYCLE_1)
	s_and_saveexec_b32 s6, s7
	s_cbranch_execz .LBB990_5
; %bb.4:                                ;   in Loop: Header=BB990_3 Depth=1
	global_load_b32 v16, v[0:1], off
.LBB990_5:                              ;   in Loop: Header=BB990_3 Depth=1
	s_or_b32 exec_lo, exec_lo, s6
	v_add_co_u32 v17, s6, v9, s4
	s_delay_alu instid0(VALU_DEP_1)
	v_add_co_ci_u32_e64 v18, null, 0, s5, s6
	s_waitcnt vmcnt(0)
	ds_store_b32 v14, v16
	v_cmp_gt_i64_e32 vcc_lo, s[20:21], v[17:18]
	v_mov_b32_e32 v17, 0
	s_and_b32 s7, vcc_lo, s3
	s_delay_alu instid0(SALU_CYCLE_1)
	s_and_saveexec_b32 s6, s7
	s_cbranch_execz .LBB990_2
; %bb.6:                                ;   in Loop: Header=BB990_3 Depth=1
	global_load_b32 v17, v[2:3], off
	s_branch .LBB990_2
.LBB990_7:
	s_clause 0x1
	s_load_b128 s[4:7], s[0:1], 0x50
	s_load_b32 s2, s[0:1], 0x10
	v_add_nc_u32_e32 v6, s14, v6
	s_load_b64 s[8:9], s[0:1], 0x60
	s_delay_alu instid0(VALU_DEP_1) | instskip(SKIP_2) | instid1(VALU_DEP_2)
	v_ashrrev_i32_e32 v0, 31, v6
	v_cmp_gt_i32_e32 vcc_lo, s12, v6
	s_waitcnt lgkmcnt(0)
	v_mul_lo_u32 v3, v0, s6
	v_mul_lo_u32 v9, v6, s7
	v_mad_u64_u32 v[1:2], null, v6, s6, 0
	s_mul_i32 s1, s15, s9
	s_mul_hi_u32 s3, s15, s8
	s_mul_i32 s0, s15, s8
	s_add_i32 s1, s3, s1
	v_add_nc_u32_e32 v0, s13, v5
	s_lshl_b64 s[8:9], s[0:1], 2
	s_delay_alu instid0(VALU_DEP_2) | instskip(SKIP_3) | instid1(VALU_DEP_2)
	v_add3_u32 v2, v2, v9, v3
	s_add_u32 s3, s4, s8
	s_addc_u32 s4, s5, s9
	v_cmp_le_i32_e64 s0, v0, v6
	v_lshlrev_b64 v[1:2], 2, v[1:2]
	s_delay_alu instid0(VALU_DEP_2) | instskip(NEXT) | instid1(VALU_DEP_1)
	s_and_b32 s0, vcc_lo, s0
	v_add_co_u32 v5, s1, s3, v1
	s_delay_alu instid0(VALU_DEP_1)
	v_add_co_ci_u32_e64 v9, s1, s4, v2, s1
	s_and_saveexec_b32 s1, s0
	s_cbranch_execz .LBB990_9
; %bb.8:
	v_ashrrev_i32_e32 v1, 31, v0
	v_mul_f32_e32 v3, s2, v12
	s_delay_alu instid0(VALU_DEP_2) | instskip(NEXT) | instid1(VALU_DEP_1)
	v_lshlrev_b64 v[1:2], 2, v[0:1]
	v_add_co_u32 v1, s0, v5, v1
	s_delay_alu instid0(VALU_DEP_1)
	v_add_co_ci_u32_e64 v2, s0, v9, v2, s0
	global_store_b32 v[1:2], v3, off
.LBB990_9:
	s_or_b32 exec_lo, exec_lo, s1
	v_add_nc_u32_e32 v2, 16, v0
	s_delay_alu instid0(VALU_DEP_1) | instskip(NEXT) | instid1(VALU_DEP_1)
	v_cmp_le_i32_e64 s0, v2, v6
	s_and_b32 s1, vcc_lo, s0
	s_delay_alu instid0(SALU_CYCLE_1)
	s_and_saveexec_b32 s0, s1
	s_cbranch_execz .LBB990_11
; %bb.10:
	v_ashrrev_i32_e32 v3, 31, v2
	v_mul_f32_e32 v1, s2, v8
	s_delay_alu instid0(VALU_DEP_2) | instskip(NEXT) | instid1(VALU_DEP_1)
	v_lshlrev_b64 v[10:11], 2, v[2:3]
	v_add_co_u32 v8, vcc_lo, v5, v10
	s_delay_alu instid0(VALU_DEP_2)
	v_add_co_ci_u32_e32 v9, vcc_lo, v9, v11, vcc_lo
	global_store_b32 v[8:9], v1, off
.LBB990_11:
	s_or_b32 exec_lo, exec_lo, s0
	v_add_nc_u32_e32 v3, 16, v6
	s_delay_alu instid0(VALU_DEP_1) | instskip(SKIP_3) | instid1(VALU_DEP_4)
	v_ashrrev_i32_e32 v1, 31, v3
	v_mul_lo_u32 v8, v3, s7
	v_mad_u64_u32 v[5:6], null, v3, s6, 0
	v_cmp_gt_i32_e32 vcc_lo, s12, v3
	v_mul_lo_u32 v1, v1, s6
	v_cmp_le_i32_e64 s0, v0, v3
	s_delay_alu instid0(VALU_DEP_1) | instskip(NEXT) | instid1(VALU_DEP_2)
	s_and_b32 s0, vcc_lo, s0
	v_add3_u32 v6, v6, v8, v1
	s_delay_alu instid0(VALU_DEP_1) | instskip(NEXT) | instid1(VALU_DEP_1)
	v_lshlrev_b64 v[5:6], 2, v[5:6]
	v_add_co_u32 v5, s1, s3, v5
	s_delay_alu instid0(VALU_DEP_1)
	v_add_co_ci_u32_e64 v6, s1, s4, v6, s1
	s_and_saveexec_b32 s1, s0
	s_cbranch_execz .LBB990_13
; %bb.12:
	v_ashrrev_i32_e32 v1, 31, v0
	v_mul_f32_e32 v7, s2, v7
	s_delay_alu instid0(VALU_DEP_2) | instskip(NEXT) | instid1(VALU_DEP_1)
	v_lshlrev_b64 v[0:1], 2, v[0:1]
	v_add_co_u32 v0, s0, v5, v0
	s_delay_alu instid0(VALU_DEP_1)
	v_add_co_ci_u32_e64 v1, s0, v6, v1, s0
	global_store_b32 v[0:1], v7, off
.LBB990_13:
	s_or_b32 exec_lo, exec_lo, s1
	v_cmp_le_i32_e64 s0, v2, v3
	s_delay_alu instid0(VALU_DEP_1) | instskip(NEXT) | instid1(SALU_CYCLE_1)
	s_and_b32 s0, vcc_lo, s0
	s_and_saveexec_b32 s1, s0
	s_cbranch_execz .LBB990_15
; %bb.14:
	v_ashrrev_i32_e32 v3, 31, v2
	s_delay_alu instid0(VALU_DEP_1) | instskip(SKIP_1) | instid1(VALU_DEP_2)
	v_lshlrev_b64 v[0:1], 2, v[2:3]
	v_mul_f32_e32 v2, s2, v4
	v_add_co_u32 v0, vcc_lo, v5, v0
	s_delay_alu instid0(VALU_DEP_3)
	v_add_co_ci_u32_e32 v1, vcc_lo, v6, v1, vcc_lo
	global_store_b32 v[0:1], v2, off
.LBB990_15:
	s_nop 0
	s_sendmsg sendmsg(MSG_DEALLOC_VGPRS)
	s_endpgm
	.section	.rodata,"a",@progbits
	.p2align	6, 0x0
	.amdhsa_kernel _ZL34rocblas_syrkx_herkx_general_kernelIlfLi16ELi32ELi8ELb1ELb0ELc67ELc85EKffEviT_T0_PT8_S1_lS4_S1_lS2_PT9_S1_li
		.amdhsa_group_segment_fixed_size 2048
		.amdhsa_private_segment_fixed_size 0
		.amdhsa_kernarg_size 108
		.amdhsa_user_sgpr_count 13
		.amdhsa_user_sgpr_dispatch_ptr 0
		.amdhsa_user_sgpr_queue_ptr 0
		.amdhsa_user_sgpr_kernarg_segment_ptr 1
		.amdhsa_user_sgpr_dispatch_id 0
		.amdhsa_user_sgpr_private_segment_size 0
		.amdhsa_wavefront_size32 1
		.amdhsa_uses_dynamic_stack 0
		.amdhsa_enable_private_segment 0
		.amdhsa_system_sgpr_workgroup_id_x 1
		.amdhsa_system_sgpr_workgroup_id_y 1
		.amdhsa_system_sgpr_workgroup_id_z 1
		.amdhsa_system_sgpr_workgroup_info 0
		.amdhsa_system_vgpr_workitem_id 1
		.amdhsa_next_free_vgpr 44
		.amdhsa_next_free_sgpr 22
		.amdhsa_reserve_vcc 1
		.amdhsa_float_round_mode_32 0
		.amdhsa_float_round_mode_16_64 0
		.amdhsa_float_denorm_mode_32 3
		.amdhsa_float_denorm_mode_16_64 3
		.amdhsa_dx10_clamp 1
		.amdhsa_ieee_mode 1
		.amdhsa_fp16_overflow 0
		.amdhsa_workgroup_processor_mode 1
		.amdhsa_memory_ordered 1
		.amdhsa_forward_progress 0
		.amdhsa_shared_vgpr_count 0
		.amdhsa_exception_fp_ieee_invalid_op 0
		.amdhsa_exception_fp_denorm_src 0
		.amdhsa_exception_fp_ieee_div_zero 0
		.amdhsa_exception_fp_ieee_overflow 0
		.amdhsa_exception_fp_ieee_underflow 0
		.amdhsa_exception_fp_ieee_inexact 0
		.amdhsa_exception_int_div_zero 0
	.end_amdhsa_kernel
	.section	.text._ZL34rocblas_syrkx_herkx_general_kernelIlfLi16ELi32ELi8ELb1ELb0ELc67ELc85EKffEviT_T0_PT8_S1_lS4_S1_lS2_PT9_S1_li,"axG",@progbits,_ZL34rocblas_syrkx_herkx_general_kernelIlfLi16ELi32ELi8ELb1ELb0ELc67ELc85EKffEviT_T0_PT8_S1_lS4_S1_lS2_PT9_S1_li,comdat
.Lfunc_end990:
	.size	_ZL34rocblas_syrkx_herkx_general_kernelIlfLi16ELi32ELi8ELb1ELb0ELc67ELc85EKffEviT_T0_PT8_S1_lS4_S1_lS2_PT9_S1_li, .Lfunc_end990-_ZL34rocblas_syrkx_herkx_general_kernelIlfLi16ELi32ELi8ELb1ELb0ELc67ELc85EKffEviT_T0_PT8_S1_lS4_S1_lS2_PT9_S1_li
                                        ; -- End function
	.section	.AMDGPU.csdata,"",@progbits
; Kernel info:
; codeLenInByte = 1500
; NumSgprs: 24
; NumVgprs: 44
; ScratchSize: 0
; MemoryBound: 0
; FloatMode: 240
; IeeeMode: 1
; LDSByteSize: 2048 bytes/workgroup (compile time only)
; SGPRBlocks: 2
; VGPRBlocks: 5
; NumSGPRsForWavesPerEU: 24
; NumVGPRsForWavesPerEU: 44
; Occupancy: 16
; WaveLimiterHint : 0
; COMPUTE_PGM_RSRC2:SCRATCH_EN: 0
; COMPUTE_PGM_RSRC2:USER_SGPR: 13
; COMPUTE_PGM_RSRC2:TRAP_HANDLER: 0
; COMPUTE_PGM_RSRC2:TGID_X_EN: 1
; COMPUTE_PGM_RSRC2:TGID_Y_EN: 1
; COMPUTE_PGM_RSRC2:TGID_Z_EN: 1
; COMPUTE_PGM_RSRC2:TIDIG_COMP_CNT: 1
	.section	.text._ZL34rocblas_syrkx_herkx_general_kernelIlfLi16ELi32ELi8ELb1ELb0ELc78ELc85EKffEviT_T0_PT8_S1_lS4_S1_lS2_PT9_S1_li,"axG",@progbits,_ZL34rocblas_syrkx_herkx_general_kernelIlfLi16ELi32ELi8ELb1ELb0ELc78ELc85EKffEviT_T0_PT8_S1_lS4_S1_lS2_PT9_S1_li,comdat
	.globl	_ZL34rocblas_syrkx_herkx_general_kernelIlfLi16ELi32ELi8ELb1ELb0ELc78ELc85EKffEviT_T0_PT8_S1_lS4_S1_lS2_PT9_S1_li ; -- Begin function _ZL34rocblas_syrkx_herkx_general_kernelIlfLi16ELi32ELi8ELb1ELb0ELc78ELc85EKffEviT_T0_PT8_S1_lS4_S1_lS2_PT9_S1_li
	.p2align	8
	.type	_ZL34rocblas_syrkx_herkx_general_kernelIlfLi16ELi32ELi8ELb1ELb0ELc78ELc85EKffEviT_T0_PT8_S1_lS4_S1_lS2_PT9_S1_li,@function
_ZL34rocblas_syrkx_herkx_general_kernelIlfLi16ELi32ELi8ELb1ELb0ELc78ELc85EKffEviT_T0_PT8_S1_lS4_S1_lS2_PT9_S1_li: ; @_ZL34rocblas_syrkx_herkx_general_kernelIlfLi16ELi32ELi8ELb1ELb0ELc78ELc85EKffEviT_T0_PT8_S1_lS4_S1_lS2_PT9_S1_li
; %bb.0:
	s_clause 0x1
	s_load_b64 s[20:21], s[0:1], 0x8
	s_load_b32 s12, s[0:1], 0x0
	v_dual_mov_b32 v13, 0 :: v_dual_mov_b32 v10, 0
	v_dual_mov_b32 v7, 0 :: v_dual_mov_b32 v4, 0
	v_and_b32_e32 v5, 0x3ff, v0
	v_bfe_u32 v6, v0, 10, 10
	s_lshl_b32 s13, s13, 5
	s_lshl_b32 s14, s14, 5
	s_waitcnt lgkmcnt(0)
	v_cmp_lt_i64_e64 s2, s[20:21], 1
	s_delay_alu instid0(VALU_DEP_1)
	s_and_b32 vcc_lo, exec_lo, s2
	s_cbranch_vccnz .LBB991_7
; %bb.1:
	s_clause 0x1
	s_load_b256 s[4:11], s[0:1], 0x18
	s_load_b128 s[16:19], s[0:1], 0x38
	v_lshl_add_u32 v0, v6, 4, v5
	v_lshl_add_u32 v11, v6, 5, 0x400
	v_dual_mov_b32 v4, 0 :: v_dual_lshlrev_b32 v9, 2, v5
	s_delay_alu instid0(VALU_DEP_3) | instskip(SKIP_2) | instid1(VALU_DEP_2)
	v_lshrrev_b32_e32 v12, 5, v0
	v_and_b32_e32 v2, 31, v0
	v_lshrrev_b32_e32 v1, 3, v0
	v_or_b32_e32 v7, s13, v2
	v_lshlrev_b32_e32 v10, 2, v2
	s_delay_alu instid0(VALU_DEP_2) | instskip(NEXT) | instid1(VALU_DEP_2)
	v_cmp_gt_i32_e64 s2, s12, v7
	v_lshl_or_b32 v14, v12, 7, v10
	s_waitcnt lgkmcnt(0)
	v_mad_u64_u32 v[16:17], null, s6, v12, 0
	v_and_b32_e32 v8, 7, v5
	s_mul_i32 s9, s9, s15
	s_mul_hi_u32 s22, s8, s15
	s_mul_i32 s8, s8, s15
	s_add_i32 s9, s22, s9
	s_mul_i32 s19, s19, s15
	s_delay_alu instid0(VALU_DEP_2)
	v_mov_b32_e32 v7, v17
	v_mad_u64_u32 v[18:19], null, s16, v8, 0
	v_lshlrev_b32_e32 v3, 2, v8
	s_mul_hi_u32 s23, s18, s15
	s_lshl_b64 s[8:9], s[8:9], 2
	s_mul_i32 s18, s18, s15
	s_add_i32 s19, s23, s19
	s_delay_alu instid0(VALU_DEP_2) | instskip(SKIP_2) | instid1(VALU_DEP_2)
	v_mov_b32_e32 v10, v19
	v_mad_u64_u32 v[19:20], null, s7, v12, v[7:8]
	s_lshl_b64 s[18:19], s[18:19], 2
	v_mad_u64_u32 v[20:21], null, s17, v8, v[10:11]
	v_add_nc_u32_e32 v0, s14, v1
	v_lshl_or_b32 v1, v1, 5, v3
	s_delay_alu instid0(VALU_DEP_4) | instskip(NEXT) | instid1(VALU_DEP_2)
	v_dual_mov_b32 v17, v19 :: v_dual_add_nc_u32 v2, s13, v2
	v_add_nc_u32_e32 v15, 0x400, v1
	v_mov_b32_e32 v19, v20
	s_delay_alu instid0(VALU_DEP_3) | instskip(NEXT) | instid1(VALU_DEP_4)
	v_lshlrev_b64 v[16:17], 2, v[16:17]
	v_ashrrev_i32_e32 v3, 31, v2
	v_ashrrev_i32_e32 v1, 31, v0
	v_cmp_gt_i32_e64 s3, s12, v0
	v_lshlrev_b64 v[18:19], 2, v[18:19]
	s_delay_alu instid0(VALU_DEP_4)
	v_lshlrev_b64 v[2:3], 2, v[2:3]
	v_add_co_u32 v7, vcc_lo, v16, s8
	v_add_co_ci_u32_e32 v10, vcc_lo, s9, v17, vcc_lo
	v_lshlrev_b64 v[0:1], 2, v[0:1]
	v_add_co_u32 v13, vcc_lo, s18, v18
	v_add_co_ci_u32_e32 v16, vcc_lo, s19, v19, vcc_lo
	v_add_co_u32 v2, vcc_lo, v7, v2
	v_add_co_ci_u32_e32 v3, vcc_lo, v10, v3, vcc_lo
	s_delay_alu instid0(VALU_DEP_4) | instskip(NEXT) | instid1(VALU_DEP_4)
	v_add_co_u32 v7, vcc_lo, v13, v0
	v_add_co_ci_u32_e32 v10, vcc_lo, v16, v1, vcc_lo
	s_delay_alu instid0(VALU_DEP_4) | instskip(NEXT) | instid1(VALU_DEP_4)
	v_add_co_u32 v0, vcc_lo, s4, v2
	v_add_co_ci_u32_e32 v1, vcc_lo, s5, v3, vcc_lo
	s_delay_alu instid0(VALU_DEP_4) | instskip(NEXT) | instid1(VALU_DEP_4)
	v_add_co_u32 v2, vcc_lo, s10, v7
	v_add_co_ci_u32_e32 v3, vcc_lo, s11, v10, vcc_lo
	v_dual_mov_b32 v10, 0 :: v_dual_mov_b32 v7, 0
	v_mov_b32_e32 v13, 0
	s_lshl_b64 s[4:5], s[6:7], 5
	s_lshl_b64 s[6:7], s[16:17], 5
	s_mov_b64 s[8:9], 0
	s_branch .LBB991_3
.LBB991_2:                              ;   in Loop: Header=BB991_3 Depth=1
	s_or_b32 exec_lo, exec_lo, s10
	s_waitcnt vmcnt(0)
	ds_store_b32 v15, v17
	s_waitcnt lgkmcnt(0)
	s_barrier
	buffer_gl0_inv
	ds_load_2addr_b32 v[32:33], v9 offset1:16
	ds_load_b128 v[16:19], v11
	ds_load_b128 v[20:23], v11 offset:512
	ds_load_2addr_b32 v[34:35], v9 offset0:32 offset1:48
	ds_load_2addr_b32 v[36:37], v9 offset0:64 offset1:80
	;; [unrolled: 1-line block ×3, first 2 shown]
	ds_load_b128 v[24:27], v11 offset:16
	ds_load_2addr_b32 v[40:41], v9 offset0:128 offset1:144
	ds_load_b128 v[28:31], v11 offset:528
	ds_load_2addr_b32 v[42:43], v9 offset0:160 offset1:176
	s_add_u32 s8, s8, 8
	s_addc_u32 s9, s9, 0
	v_add_co_u32 v0, vcc_lo, v0, s4
	v_cmp_ge_i64_e64 s10, s[8:9], s[20:21]
	v_add_co_ci_u32_e32 v1, vcc_lo, s5, v1, vcc_lo
	v_add_co_u32 v2, vcc_lo, v2, s6
	v_add_co_ci_u32_e32 v3, vcc_lo, s7, v3, vcc_lo
	s_waitcnt lgkmcnt(8)
	v_fmac_f32_e32 v10, v33, v16
	v_fmac_f32_e32 v13, v32, v16
	s_waitcnt lgkmcnt(7)
	v_fmac_f32_e32 v4, v33, v20
	v_fmac_f32_e32 v7, v32, v20
	ds_load_2addr_b32 v[32:33], v9 offset0:192 offset1:208
	s_waitcnt lgkmcnt(7)
	v_fmac_f32_e32 v10, v35, v17
	v_fmac_f32_e32 v13, v34, v17
	;; [unrolled: 1-line block ×4, first 2 shown]
	ds_load_2addr_b32 v[16:17], v9 offset0:224 offset1:240
	s_waitcnt lgkmcnt(7)
	v_fmac_f32_e32 v10, v37, v18
	v_fmac_f32_e32 v13, v36, v18
	;; [unrolled: 1-line block ×4, first 2 shown]
	s_and_b32 vcc_lo, exec_lo, s10
	s_waitcnt lgkmcnt(6)
	v_fmac_f32_e32 v10, v39, v19
	v_fmac_f32_e32 v13, v38, v19
	;; [unrolled: 1-line block ×4, first 2 shown]
	s_waitcnt lgkmcnt(0)
	v_fmac_f32_e32 v10, v41, v24
	v_fmac_f32_e32 v13, v40, v24
	;; [unrolled: 1-line block ×4, first 2 shown]
	s_barrier
	v_fmac_f32_e32 v10, v43, v25
	v_fmac_f32_e32 v13, v42, v25
	;; [unrolled: 1-line block ×4, first 2 shown]
	buffer_gl0_inv
	v_fmac_f32_e32 v10, v33, v26
	v_fmac_f32_e32 v13, v32, v26
	;; [unrolled: 1-line block ×3, first 2 shown]
	s_delay_alu instid0(VALU_DEP_3) | instskip(NEXT) | instid1(VALU_DEP_3)
	v_dual_fmac_f32 v7, v32, v30 :: v_dual_fmac_f32 v10, v17, v27
	v_fmac_f32_e32 v13, v16, v27
	s_delay_alu instid0(VALU_DEP_3) | instskip(NEXT) | instid1(VALU_DEP_3)
	v_fmac_f32_e32 v4, v17, v31
	v_fmac_f32_e32 v7, v16, v31
	s_cbranch_vccnz .LBB991_7
.LBB991_3:                              ; =>This Inner Loop Header: Depth=1
	v_add_co_u32 v16, s10, v12, s8
	s_delay_alu instid0(VALU_DEP_1) | instskip(NEXT) | instid1(VALU_DEP_1)
	v_add_co_ci_u32_e64 v17, null, 0, s9, s10
	v_cmp_gt_i64_e32 vcc_lo, s[20:21], v[16:17]
	v_mov_b32_e32 v16, 0
	s_and_b32 s11, s2, vcc_lo
	s_delay_alu instid0(SALU_CYCLE_1)
	s_and_saveexec_b32 s10, s11
	s_cbranch_execz .LBB991_5
; %bb.4:                                ;   in Loop: Header=BB991_3 Depth=1
	global_load_b32 v16, v[0:1], off
.LBB991_5:                              ;   in Loop: Header=BB991_3 Depth=1
	s_or_b32 exec_lo, exec_lo, s10
	v_add_co_u32 v17, s10, v8, s8
	s_delay_alu instid0(VALU_DEP_1)
	v_add_co_ci_u32_e64 v18, null, 0, s9, s10
	s_waitcnt vmcnt(0)
	ds_store_b32 v14, v16
	v_cmp_gt_i64_e32 vcc_lo, s[20:21], v[17:18]
	v_mov_b32_e32 v17, 0
	s_and_b32 s11, vcc_lo, s3
	s_delay_alu instid0(SALU_CYCLE_1)
	s_and_saveexec_b32 s10, s11
	s_cbranch_execz .LBB991_2
; %bb.6:                                ;   in Loop: Header=BB991_3 Depth=1
	global_load_b32 v17, v[2:3], off
	s_branch .LBB991_2
.LBB991_7:
	s_clause 0x1
	s_load_b128 s[4:7], s[0:1], 0x50
	s_load_b32 s2, s[0:1], 0x10
	v_add_nc_u32_e32 v6, s14, v6
	s_load_b64 s[8:9], s[0:1], 0x60
	s_delay_alu instid0(VALU_DEP_1) | instskip(SKIP_2) | instid1(VALU_DEP_2)
	v_ashrrev_i32_e32 v0, 31, v6
	v_cmp_gt_i32_e32 vcc_lo, s12, v6
	s_waitcnt lgkmcnt(0)
	v_mul_lo_u32 v3, v0, s6
	v_mul_lo_u32 v8, v6, s7
	v_mad_u64_u32 v[1:2], null, v6, s6, 0
	s_mul_i32 s1, s15, s9
	s_mul_hi_u32 s3, s15, s8
	s_mul_i32 s0, s15, s8
	s_add_i32 s1, s3, s1
	v_add_nc_u32_e32 v0, s13, v5
	s_lshl_b64 s[8:9], s[0:1], 2
	s_delay_alu instid0(VALU_DEP_2) | instskip(SKIP_3) | instid1(VALU_DEP_2)
	v_add3_u32 v2, v2, v8, v3
	s_add_u32 s3, s4, s8
	s_addc_u32 s4, s5, s9
	v_cmp_le_i32_e64 s0, v0, v6
	v_lshlrev_b64 v[1:2], 2, v[1:2]
	s_delay_alu instid0(VALU_DEP_2) | instskip(NEXT) | instid1(VALU_DEP_1)
	s_and_b32 s0, vcc_lo, s0
	v_add_co_u32 v5, s1, s3, v1
	s_delay_alu instid0(VALU_DEP_1)
	v_add_co_ci_u32_e64 v8, s1, s4, v2, s1
	s_and_saveexec_b32 s1, s0
	s_cbranch_execz .LBB991_9
; %bb.8:
	v_ashrrev_i32_e32 v1, 31, v0
	v_mul_f32_e32 v3, s2, v13
	s_delay_alu instid0(VALU_DEP_2) | instskip(NEXT) | instid1(VALU_DEP_1)
	v_lshlrev_b64 v[1:2], 2, v[0:1]
	v_add_co_u32 v1, s0, v5, v1
	s_delay_alu instid0(VALU_DEP_1)
	v_add_co_ci_u32_e64 v2, s0, v8, v2, s0
	global_store_b32 v[1:2], v3, off
.LBB991_9:
	s_or_b32 exec_lo, exec_lo, s1
	v_add_nc_u32_e32 v2, 16, v0
	s_delay_alu instid0(VALU_DEP_1) | instskip(NEXT) | instid1(VALU_DEP_1)
	v_cmp_le_i32_e64 s0, v2, v6
	s_and_b32 s1, vcc_lo, s0
	s_delay_alu instid0(SALU_CYCLE_1)
	s_and_saveexec_b32 s0, s1
	s_cbranch_execz .LBB991_11
; %bb.10:
	v_ashrrev_i32_e32 v3, 31, v2
	v_mul_f32_e32 v1, s2, v10
	s_delay_alu instid0(VALU_DEP_2) | instskip(NEXT) | instid1(VALU_DEP_1)
	v_lshlrev_b64 v[11:12], 2, v[2:3]
	v_add_co_u32 v9, vcc_lo, v5, v11
	s_delay_alu instid0(VALU_DEP_2)
	v_add_co_ci_u32_e32 v10, vcc_lo, v8, v12, vcc_lo
	global_store_b32 v[9:10], v1, off
.LBB991_11:
	s_or_b32 exec_lo, exec_lo, s0
	v_add_nc_u32_e32 v3, 16, v6
	s_delay_alu instid0(VALU_DEP_1) | instskip(SKIP_3) | instid1(VALU_DEP_4)
	v_ashrrev_i32_e32 v1, 31, v3
	v_mul_lo_u32 v8, v3, s7
	v_mad_u64_u32 v[5:6], null, v3, s6, 0
	v_cmp_gt_i32_e32 vcc_lo, s12, v3
	v_mul_lo_u32 v1, v1, s6
	v_cmp_le_i32_e64 s0, v0, v3
	s_delay_alu instid0(VALU_DEP_1) | instskip(NEXT) | instid1(VALU_DEP_2)
	s_and_b32 s0, vcc_lo, s0
	v_add3_u32 v6, v6, v8, v1
	s_delay_alu instid0(VALU_DEP_1) | instskip(NEXT) | instid1(VALU_DEP_1)
	v_lshlrev_b64 v[5:6], 2, v[5:6]
	v_add_co_u32 v5, s1, s3, v5
	s_delay_alu instid0(VALU_DEP_1)
	v_add_co_ci_u32_e64 v6, s1, s4, v6, s1
	s_and_saveexec_b32 s1, s0
	s_cbranch_execz .LBB991_13
; %bb.12:
	v_ashrrev_i32_e32 v1, 31, v0
	v_mul_f32_e32 v7, s2, v7
	s_delay_alu instid0(VALU_DEP_2) | instskip(NEXT) | instid1(VALU_DEP_1)
	v_lshlrev_b64 v[0:1], 2, v[0:1]
	v_add_co_u32 v0, s0, v5, v0
	s_delay_alu instid0(VALU_DEP_1)
	v_add_co_ci_u32_e64 v1, s0, v6, v1, s0
	global_store_b32 v[0:1], v7, off
.LBB991_13:
	s_or_b32 exec_lo, exec_lo, s1
	v_cmp_le_i32_e64 s0, v2, v3
	s_delay_alu instid0(VALU_DEP_1) | instskip(NEXT) | instid1(SALU_CYCLE_1)
	s_and_b32 s0, vcc_lo, s0
	s_and_saveexec_b32 s1, s0
	s_cbranch_execz .LBB991_15
; %bb.14:
	v_ashrrev_i32_e32 v3, 31, v2
	s_delay_alu instid0(VALU_DEP_1) | instskip(SKIP_1) | instid1(VALU_DEP_2)
	v_lshlrev_b64 v[0:1], 2, v[2:3]
	v_mul_f32_e32 v2, s2, v4
	v_add_co_u32 v0, vcc_lo, v5, v0
	s_delay_alu instid0(VALU_DEP_3)
	v_add_co_ci_u32_e32 v1, vcc_lo, v6, v1, vcc_lo
	global_store_b32 v[0:1], v2, off
.LBB991_15:
	s_nop 0
	s_sendmsg sendmsg(MSG_DEALLOC_VGPRS)
	s_endpgm
	.section	.rodata,"a",@progbits
	.p2align	6, 0x0
	.amdhsa_kernel _ZL34rocblas_syrkx_herkx_general_kernelIlfLi16ELi32ELi8ELb1ELb0ELc78ELc85EKffEviT_T0_PT8_S1_lS4_S1_lS2_PT9_S1_li
		.amdhsa_group_segment_fixed_size 2048
		.amdhsa_private_segment_fixed_size 0
		.amdhsa_kernarg_size 108
		.amdhsa_user_sgpr_count 13
		.amdhsa_user_sgpr_dispatch_ptr 0
		.amdhsa_user_sgpr_queue_ptr 0
		.amdhsa_user_sgpr_kernarg_segment_ptr 1
		.amdhsa_user_sgpr_dispatch_id 0
		.amdhsa_user_sgpr_private_segment_size 0
		.amdhsa_wavefront_size32 1
		.amdhsa_uses_dynamic_stack 0
		.amdhsa_enable_private_segment 0
		.amdhsa_system_sgpr_workgroup_id_x 1
		.amdhsa_system_sgpr_workgroup_id_y 1
		.amdhsa_system_sgpr_workgroup_id_z 1
		.amdhsa_system_sgpr_workgroup_info 0
		.amdhsa_system_vgpr_workitem_id 1
		.amdhsa_next_free_vgpr 44
		.amdhsa_next_free_sgpr 24
		.amdhsa_reserve_vcc 1
		.amdhsa_float_round_mode_32 0
		.amdhsa_float_round_mode_16_64 0
		.amdhsa_float_denorm_mode_32 3
		.amdhsa_float_denorm_mode_16_64 3
		.amdhsa_dx10_clamp 1
		.amdhsa_ieee_mode 1
		.amdhsa_fp16_overflow 0
		.amdhsa_workgroup_processor_mode 1
		.amdhsa_memory_ordered 1
		.amdhsa_forward_progress 0
		.amdhsa_shared_vgpr_count 0
		.amdhsa_exception_fp_ieee_invalid_op 0
		.amdhsa_exception_fp_denorm_src 0
		.amdhsa_exception_fp_ieee_div_zero 0
		.amdhsa_exception_fp_ieee_overflow 0
		.amdhsa_exception_fp_ieee_underflow 0
		.amdhsa_exception_fp_ieee_inexact 0
		.amdhsa_exception_int_div_zero 0
	.end_amdhsa_kernel
	.section	.text._ZL34rocblas_syrkx_herkx_general_kernelIlfLi16ELi32ELi8ELb1ELb0ELc78ELc85EKffEviT_T0_PT8_S1_lS4_S1_lS2_PT9_S1_li,"axG",@progbits,_ZL34rocblas_syrkx_herkx_general_kernelIlfLi16ELi32ELi8ELb1ELb0ELc78ELc85EKffEviT_T0_PT8_S1_lS4_S1_lS2_PT9_S1_li,comdat
.Lfunc_end991:
	.size	_ZL34rocblas_syrkx_herkx_general_kernelIlfLi16ELi32ELi8ELb1ELb0ELc78ELc85EKffEviT_T0_PT8_S1_lS4_S1_lS2_PT9_S1_li, .Lfunc_end991-_ZL34rocblas_syrkx_herkx_general_kernelIlfLi16ELi32ELi8ELb1ELb0ELc78ELc85EKffEviT_T0_PT8_S1_lS4_S1_lS2_PT9_S1_li
                                        ; -- End function
	.section	.AMDGPU.csdata,"",@progbits
; Kernel info:
; codeLenInByte = 1488
; NumSgprs: 26
; NumVgprs: 44
; ScratchSize: 0
; MemoryBound: 0
; FloatMode: 240
; IeeeMode: 1
; LDSByteSize: 2048 bytes/workgroup (compile time only)
; SGPRBlocks: 3
; VGPRBlocks: 5
; NumSGPRsForWavesPerEU: 26
; NumVGPRsForWavesPerEU: 44
; Occupancy: 16
; WaveLimiterHint : 0
; COMPUTE_PGM_RSRC2:SCRATCH_EN: 0
; COMPUTE_PGM_RSRC2:USER_SGPR: 13
; COMPUTE_PGM_RSRC2:TRAP_HANDLER: 0
; COMPUTE_PGM_RSRC2:TGID_X_EN: 1
; COMPUTE_PGM_RSRC2:TGID_Y_EN: 1
; COMPUTE_PGM_RSRC2:TGID_Z_EN: 1
; COMPUTE_PGM_RSRC2:TIDIG_COMP_CNT: 1
	.section	.text._ZL34rocblas_syrkx_herkx_general_kernelIlfLi16ELi32ELi8ELb0ELb0ELc84ELc76EKffEviT_T0_PT8_S1_lS4_S1_lS2_PT9_S1_li,"axG",@progbits,_ZL34rocblas_syrkx_herkx_general_kernelIlfLi16ELi32ELi8ELb0ELb0ELc84ELc76EKffEviT_T0_PT8_S1_lS4_S1_lS2_PT9_S1_li,comdat
	.globl	_ZL34rocblas_syrkx_herkx_general_kernelIlfLi16ELi32ELi8ELb0ELb0ELc84ELc76EKffEviT_T0_PT8_S1_lS4_S1_lS2_PT9_S1_li ; -- Begin function _ZL34rocblas_syrkx_herkx_general_kernelIlfLi16ELi32ELi8ELb0ELb0ELc84ELc76EKffEviT_T0_PT8_S1_lS4_S1_lS2_PT9_S1_li
	.p2align	8
	.type	_ZL34rocblas_syrkx_herkx_general_kernelIlfLi16ELi32ELi8ELb0ELb0ELc84ELc76EKffEviT_T0_PT8_S1_lS4_S1_lS2_PT9_S1_li,@function
_ZL34rocblas_syrkx_herkx_general_kernelIlfLi16ELi32ELi8ELb0ELb0ELc84ELc76EKffEviT_T0_PT8_S1_lS4_S1_lS2_PT9_S1_li: ; @_ZL34rocblas_syrkx_herkx_general_kernelIlfLi16ELi32ELi8ELb0ELb0ELc84ELc76EKffEviT_T0_PT8_S1_lS4_S1_lS2_PT9_S1_li
; %bb.0:
	s_clause 0x1
	s_load_b64 s[20:21], s[0:1], 0x8
	s_load_b32 s12, s[0:1], 0x0
	v_dual_mov_b32 v10, 0 :: v_dual_and_b32 v5, 0x3ff, v0
	v_mov_b32_e32 v8, 0
	v_mov_b32_e32 v6, 0
	v_bfe_u32 v7, v0, 10, 10
	v_mov_b32_e32 v4, 0
	s_lshl_b32 s13, s13, 5
	s_lshl_b32 s14, s14, 5
	s_waitcnt lgkmcnt(0)
	v_cmp_lt_i64_e64 s2, s[20:21], 1
	s_delay_alu instid0(VALU_DEP_1)
	s_and_b32 vcc_lo, exec_lo, s2
	s_cbranch_vccnz .LBB992_7
; %bb.1:
	s_load_b256 s[4:11], s[0:1], 0x18
	v_lshl_add_u32 v0, v7, 4, v5
	s_load_b128 s[16:19], s[0:1], 0x38
	v_and_b32_e32 v9, 7, v5
	v_dual_mov_b32 v4, 0 :: v_dual_lshlrev_b32 v11, 2, v5
	s_delay_alu instid0(VALU_DEP_3)
	v_and_b32_e32 v1, 31, v0
	v_lshrrev_b32_e32 v3, 3, v0
	v_lshrrev_b32_e32 v13, 5, v0
	v_lshlrev_b32_e32 v6, 2, v9
	v_lshl_add_u32 v12, v7, 5, 0x400
	v_add_nc_u32_e32 v2, s13, v1
	v_add_nc_u32_e32 v8, s14, v3
	v_or_b32_e32 v10, s13, v1
	v_lshlrev_b32_e32 v14, 2, v1
	v_lshl_or_b32 v17, v3, 5, v6
	v_ashrrev_i32_e32 v0, 31, v2
	v_cmp_gt_i32_e64 s3, s12, v8
	v_cmp_gt_i32_e64 s2, s12, v10
	v_lshl_or_b32 v14, v13, 7, v14
	s_waitcnt lgkmcnt(0)
	v_mul_lo_u32 v16, s7, v2
	v_mul_lo_u32 v15, s6, v0
	v_mad_u64_u32 v[0:1], null, s6, v2, 0
	v_ashrrev_i32_e32 v2, 31, v8
	v_mul_lo_u32 v18, s17, v8
	s_mul_i32 s7, s9, s15
	s_mul_hi_u32 s9, s8, s15
	s_mul_i32 s6, s8, s15
	v_mul_lo_u32 v10, s16, v2
	s_delay_alu instid0(VALU_DEP_4) | instskip(SKIP_3) | instid1(VALU_DEP_3)
	v_add3_u32 v1, v1, v15, v16
	v_mad_u64_u32 v[2:3], null, s16, v8, 0
	s_add_i32 s7, s9, s7
	v_add_nc_u32_e32 v15, 0x400, v17
	v_lshlrev_b64 v[0:1], 2, v[0:1]
	s_lshl_b64 s[6:7], s[6:7], 2
	s_delay_alu instid0(VALU_DEP_3) | instskip(NEXT) | instid1(VALU_DEP_2)
	v_add3_u32 v3, v3, v10, v18
	v_add_co_u32 v8, vcc_lo, v0, s6
	s_delay_alu instid0(VALU_DEP_3)
	v_add_co_ci_u32_e32 v10, vcc_lo, s7, v1, vcc_lo
	s_mul_i32 s6, s19, s15
	s_mul_hi_u32 s7, s18, s15
	v_lshlrev_b64 v[0:1], 2, v[2:3]
	s_add_i32 s7, s7, s6
	s_mul_i32 s6, s18, s15
	v_lshlrev_b32_e32 v2, 2, v13
	s_lshl_b64 s[6:7], s[6:7], 2
	s_delay_alu instid0(VALU_DEP_2) | instid1(SALU_CYCLE_1)
	v_add_co_u32 v0, vcc_lo, v0, s6
	v_add_co_ci_u32_e32 v1, vcc_lo, s7, v1, vcc_lo
	s_delay_alu instid0(VALU_DEP_3)
	v_add_co_u32 v2, vcc_lo, v8, v2
	v_add_co_ci_u32_e32 v3, vcc_lo, 0, v10, vcc_lo
	v_mov_b32_e32 v10, 0
	v_add_co_u32 v6, vcc_lo, v0, v6
	v_add_co_ci_u32_e32 v8, vcc_lo, 0, v1, vcc_lo
	v_add_co_u32 v0, vcc_lo, s4, v2
	v_add_co_ci_u32_e32 v1, vcc_lo, s5, v3, vcc_lo
	s_delay_alu instid0(VALU_DEP_4) | instskip(NEXT) | instid1(VALU_DEP_4)
	v_add_co_u32 v2, vcc_lo, s10, v6
	v_add_co_ci_u32_e32 v3, vcc_lo, s11, v8, vcc_lo
	v_mov_b32_e32 v6, 0
	v_mov_b32_e32 v8, 0
	s_mov_b64 s[4:5], 0
	s_branch .LBB992_3
.LBB992_2:                              ;   in Loop: Header=BB992_3 Depth=1
	s_or_b32 exec_lo, exec_lo, s6
	s_waitcnt vmcnt(0)
	ds_store_b32 v15, v17
	s_waitcnt lgkmcnt(0)
	s_barrier
	buffer_gl0_inv
	ds_load_2addr_b32 v[32:33], v11 offset1:16
	ds_load_b128 v[16:19], v12
	ds_load_b128 v[20:23], v12 offset:512
	ds_load_2addr_b32 v[34:35], v11 offset0:32 offset1:48
	ds_load_2addr_b32 v[36:37], v11 offset0:64 offset1:80
	;; [unrolled: 1-line block ×3, first 2 shown]
	ds_load_b128 v[24:27], v12 offset:16
	ds_load_2addr_b32 v[40:41], v11 offset0:128 offset1:144
	ds_load_b128 v[28:31], v12 offset:528
	ds_load_2addr_b32 v[42:43], v11 offset0:160 offset1:176
	s_add_u32 s4, s4, 8
	s_addc_u32 s5, s5, 0
	v_add_co_u32 v0, vcc_lo, v0, 32
	v_cmp_ge_i64_e64 s6, s[4:5], s[20:21]
	v_add_co_ci_u32_e32 v1, vcc_lo, 0, v1, vcc_lo
	v_add_co_u32 v2, vcc_lo, v2, 32
	v_add_co_ci_u32_e32 v3, vcc_lo, 0, v3, vcc_lo
	s_waitcnt lgkmcnt(8)
	v_fmac_f32_e32 v10, v32, v16
	v_fmac_f32_e32 v8, v33, v16
	s_waitcnt lgkmcnt(7)
	v_fmac_f32_e32 v6, v32, v20
	v_fmac_f32_e32 v4, v33, v20
	ds_load_2addr_b32 v[32:33], v11 offset0:192 offset1:208
	s_waitcnt lgkmcnt(7)
	v_fmac_f32_e32 v10, v34, v17
	v_fmac_f32_e32 v8, v35, v17
	;; [unrolled: 1-line block ×4, first 2 shown]
	ds_load_2addr_b32 v[16:17], v11 offset0:224 offset1:240
	s_waitcnt lgkmcnt(7)
	v_fmac_f32_e32 v10, v36, v18
	v_fmac_f32_e32 v8, v37, v18
	;; [unrolled: 1-line block ×4, first 2 shown]
	s_and_b32 vcc_lo, exec_lo, s6
	s_waitcnt lgkmcnt(6)
	v_fmac_f32_e32 v10, v38, v19
	v_fmac_f32_e32 v8, v39, v19
	;; [unrolled: 1-line block ×4, first 2 shown]
	s_waitcnt lgkmcnt(0)
	v_fmac_f32_e32 v10, v40, v24
	v_fmac_f32_e32 v8, v41, v24
	;; [unrolled: 1-line block ×4, first 2 shown]
	s_barrier
	v_fmac_f32_e32 v10, v42, v25
	v_fmac_f32_e32 v8, v43, v25
	;; [unrolled: 1-line block ×4, first 2 shown]
	buffer_gl0_inv
	v_fmac_f32_e32 v10, v32, v26
	v_fmac_f32_e32 v8, v33, v26
	;; [unrolled: 1-line block ×4, first 2 shown]
	s_delay_alu instid0(VALU_DEP_4) | instskip(NEXT) | instid1(VALU_DEP_4)
	v_fmac_f32_e32 v10, v16, v27
	v_fmac_f32_e32 v8, v17, v27
	s_delay_alu instid0(VALU_DEP_4) | instskip(NEXT) | instid1(VALU_DEP_4)
	v_fmac_f32_e32 v6, v16, v31
	v_fmac_f32_e32 v4, v17, v31
	s_cbranch_vccnz .LBB992_7
.LBB992_3:                              ; =>This Inner Loop Header: Depth=1
	v_add_co_u32 v16, s6, v13, s4
	s_delay_alu instid0(VALU_DEP_1) | instskip(NEXT) | instid1(VALU_DEP_1)
	v_add_co_ci_u32_e64 v17, null, 0, s5, s6
	v_cmp_gt_i64_e32 vcc_lo, s[20:21], v[16:17]
	v_mov_b32_e32 v16, 0
	s_and_b32 s7, s2, vcc_lo
	s_delay_alu instid0(SALU_CYCLE_1)
	s_and_saveexec_b32 s6, s7
	s_cbranch_execz .LBB992_5
; %bb.4:                                ;   in Loop: Header=BB992_3 Depth=1
	global_load_b32 v16, v[0:1], off
.LBB992_5:                              ;   in Loop: Header=BB992_3 Depth=1
	s_or_b32 exec_lo, exec_lo, s6
	v_add_co_u32 v17, s6, v9, s4
	s_delay_alu instid0(VALU_DEP_1)
	v_add_co_ci_u32_e64 v18, null, 0, s5, s6
	s_waitcnt vmcnt(0)
	ds_store_b32 v14, v16
	v_cmp_gt_i64_e32 vcc_lo, s[20:21], v[17:18]
	v_mov_b32_e32 v17, 0
	s_and_b32 s7, vcc_lo, s3
	s_delay_alu instid0(SALU_CYCLE_1)
	s_and_saveexec_b32 s6, s7
	s_cbranch_execz .LBB992_2
; %bb.6:                                ;   in Loop: Header=BB992_3 Depth=1
	global_load_b32 v17, v[2:3], off
	s_branch .LBB992_2
.LBB992_7:
	s_clause 0x1
	s_load_b128 s[4:7], s[0:1], 0x50
	s_load_b64 s[10:11], s[0:1], 0x60
	v_add_nc_u32_e32 v7, s14, v7
	s_clause 0x1
	s_load_b32 s3, s[0:1], 0x10
	s_load_b32 s8, s[0:1], 0x48
	s_delay_alu instid0(VALU_DEP_1) | instskip(SKIP_1) | instid1(VALU_DEP_1)
	v_ashrrev_i32_e32 v0, 31, v7
	s_waitcnt lgkmcnt(0)
	v_mul_lo_u32 v3, v0, s6
	v_mul_lo_u32 v9, v7, s7
	v_mad_u64_u32 v[1:2], null, v7, s6, 0
	s_mul_i32 s1, s15, s11
	s_mul_hi_u32 s2, s15, s10
	s_mul_i32 s10, s15, s10
	s_add_i32 s11, s2, s1
	v_add_nc_u32_e32 v0, s13, v5
	s_lshl_b64 s[10:11], s[10:11], 2
	s_delay_alu instid0(VALU_DEP_2)
	v_add3_u32 v2, v2, v9, v3
	s_add_u32 s2, s4, s10
	s_addc_u32 s4, s5, s11
	v_cmp_le_i32_e64 s0, v7, v0
	v_cmp_gt_i32_e32 vcc_lo, s12, v0
	v_lshlrev_b64 v[1:2], 2, v[1:2]
	s_delay_alu instid0(VALU_DEP_3) | instskip(NEXT) | instid1(VALU_DEP_1)
	s_and_b32 s0, s0, vcc_lo
	v_add_co_u32 v5, s1, s2, v1
	s_delay_alu instid0(VALU_DEP_1)
	v_add_co_ci_u32_e64 v9, s1, s4, v2, s1
	s_and_saveexec_b32 s1, s0
	s_cbranch_execz .LBB992_9
; %bb.8:
	v_ashrrev_i32_e32 v1, 31, v0
	s_delay_alu instid0(VALU_DEP_1) | instskip(NEXT) | instid1(VALU_DEP_1)
	v_lshlrev_b64 v[1:2], 2, v[0:1]
	v_add_co_u32 v1, s0, v5, v1
	s_delay_alu instid0(VALU_DEP_1) | instskip(SKIP_3) | instid1(VALU_DEP_1)
	v_add_co_ci_u32_e64 v2, s0, v9, v2, s0
	global_load_b32 v3, v[1:2], off
	s_waitcnt vmcnt(0)
	v_mul_f32_e32 v3, s8, v3
	v_fmac_f32_e32 v3, s3, v10
	global_store_b32 v[1:2], v3, off
.LBB992_9:
	s_or_b32 exec_lo, exec_lo, s1
	v_add_nc_u32_e32 v2, 16, v0
	s_delay_alu instid0(VALU_DEP_1) | instskip(SKIP_1) | instid1(VALU_DEP_1)
	v_cmp_le_i32_e64 s1, v7, v2
	v_cmp_gt_i32_e64 s0, s12, v2
	s_and_b32 s1, s1, s0
	s_delay_alu instid0(SALU_CYCLE_1)
	s_and_saveexec_b32 s5, s1
	s_cbranch_execz .LBB992_11
; %bb.10:
	v_ashrrev_i32_e32 v3, 31, v2
	s_delay_alu instid0(VALU_DEP_1) | instskip(NEXT) | instid1(VALU_DEP_1)
	v_lshlrev_b64 v[10:11], 2, v[2:3]
	v_add_co_u32 v10, s1, v5, v10
	s_delay_alu instid0(VALU_DEP_1) | instskip(SKIP_3) | instid1(VALU_DEP_1)
	v_add_co_ci_u32_e64 v11, s1, v9, v11, s1
	global_load_b32 v1, v[10:11], off
	s_waitcnt vmcnt(0)
	v_mul_f32_e32 v1, s8, v1
	v_fmac_f32_e32 v1, s3, v8
	global_store_b32 v[10:11], v1, off
.LBB992_11:
	s_or_b32 exec_lo, exec_lo, s5
	v_add_nc_u32_e32 v3, 16, v7
	s_delay_alu instid0(VALU_DEP_1) | instskip(SKIP_3) | instid1(VALU_DEP_4)
	v_ashrrev_i32_e32 v1, 31, v3
	v_mul_lo_u32 v5, v3, s7
	v_mad_u64_u32 v[7:8], null, v3, s6, 0
	v_cmp_le_i32_e64 s1, v3, v0
	v_mul_lo_u32 v1, v1, s6
	s_delay_alu instid0(VALU_DEP_1) | instskip(NEXT) | instid1(VALU_DEP_1)
	v_add3_u32 v8, v8, v5, v1
	v_lshlrev_b64 v[7:8], 2, v[7:8]
	s_delay_alu instid0(VALU_DEP_1) | instskip(NEXT) | instid1(VALU_DEP_1)
	v_add_co_u32 v5, s2, s2, v7
	v_add_co_ci_u32_e64 v7, s2, s4, v8, s2
	s_and_b32 s2, s1, vcc_lo
	s_delay_alu instid0(SALU_CYCLE_1)
	s_and_saveexec_b32 s1, s2
	s_cbranch_execz .LBB992_13
; %bb.12:
	v_ashrrev_i32_e32 v1, 31, v0
	s_delay_alu instid0(VALU_DEP_1) | instskip(NEXT) | instid1(VALU_DEP_1)
	v_lshlrev_b64 v[0:1], 2, v[0:1]
	v_add_co_u32 v0, vcc_lo, v5, v0
	s_delay_alu instid0(VALU_DEP_2) | instskip(SKIP_3) | instid1(VALU_DEP_1)
	v_add_co_ci_u32_e32 v1, vcc_lo, v7, v1, vcc_lo
	global_load_b32 v8, v[0:1], off
	s_waitcnt vmcnt(0)
	v_mul_f32_e32 v8, s8, v8
	v_fmac_f32_e32 v8, s3, v6
	global_store_b32 v[0:1], v8, off
.LBB992_13:
	s_or_b32 exec_lo, exec_lo, s1
	v_cmp_le_i32_e32 vcc_lo, v3, v2
	s_and_b32 s0, vcc_lo, s0
	s_delay_alu instid0(SALU_CYCLE_1)
	s_and_saveexec_b32 s1, s0
	s_cbranch_execz .LBB992_15
; %bb.14:
	v_ashrrev_i32_e32 v3, 31, v2
	s_delay_alu instid0(VALU_DEP_1) | instskip(NEXT) | instid1(VALU_DEP_1)
	v_lshlrev_b64 v[0:1], 2, v[2:3]
	v_add_co_u32 v0, vcc_lo, v5, v0
	s_delay_alu instid0(VALU_DEP_2) | instskip(SKIP_3) | instid1(VALU_DEP_1)
	v_add_co_ci_u32_e32 v1, vcc_lo, v7, v1, vcc_lo
	global_load_b32 v2, v[0:1], off
	s_waitcnt vmcnt(0)
	v_mul_f32_e32 v2, s8, v2
	v_fmac_f32_e32 v2, s3, v4
	global_store_b32 v[0:1], v2, off
.LBB992_15:
	s_nop 0
	s_sendmsg sendmsg(MSG_DEALLOC_VGPRS)
	s_endpgm
	.section	.rodata,"a",@progbits
	.p2align	6, 0x0
	.amdhsa_kernel _ZL34rocblas_syrkx_herkx_general_kernelIlfLi16ELi32ELi8ELb0ELb0ELc84ELc76EKffEviT_T0_PT8_S1_lS4_S1_lS2_PT9_S1_li
		.amdhsa_group_segment_fixed_size 2048
		.amdhsa_private_segment_fixed_size 0
		.amdhsa_kernarg_size 108
		.amdhsa_user_sgpr_count 13
		.amdhsa_user_sgpr_dispatch_ptr 0
		.amdhsa_user_sgpr_queue_ptr 0
		.amdhsa_user_sgpr_kernarg_segment_ptr 1
		.amdhsa_user_sgpr_dispatch_id 0
		.amdhsa_user_sgpr_private_segment_size 0
		.amdhsa_wavefront_size32 1
		.amdhsa_uses_dynamic_stack 0
		.amdhsa_enable_private_segment 0
		.amdhsa_system_sgpr_workgroup_id_x 1
		.amdhsa_system_sgpr_workgroup_id_y 1
		.amdhsa_system_sgpr_workgroup_id_z 1
		.amdhsa_system_sgpr_workgroup_info 0
		.amdhsa_system_vgpr_workitem_id 1
		.amdhsa_next_free_vgpr 44
		.amdhsa_next_free_sgpr 22
		.amdhsa_reserve_vcc 1
		.amdhsa_float_round_mode_32 0
		.amdhsa_float_round_mode_16_64 0
		.amdhsa_float_denorm_mode_32 3
		.amdhsa_float_denorm_mode_16_64 3
		.amdhsa_dx10_clamp 1
		.amdhsa_ieee_mode 1
		.amdhsa_fp16_overflow 0
		.amdhsa_workgroup_processor_mode 1
		.amdhsa_memory_ordered 1
		.amdhsa_forward_progress 0
		.amdhsa_shared_vgpr_count 0
		.amdhsa_exception_fp_ieee_invalid_op 0
		.amdhsa_exception_fp_denorm_src 0
		.amdhsa_exception_fp_ieee_div_zero 0
		.amdhsa_exception_fp_ieee_overflow 0
		.amdhsa_exception_fp_ieee_underflow 0
		.amdhsa_exception_fp_ieee_inexact 0
		.amdhsa_exception_int_div_zero 0
	.end_amdhsa_kernel
	.section	.text._ZL34rocblas_syrkx_herkx_general_kernelIlfLi16ELi32ELi8ELb0ELb0ELc84ELc76EKffEviT_T0_PT8_S1_lS4_S1_lS2_PT9_S1_li,"axG",@progbits,_ZL34rocblas_syrkx_herkx_general_kernelIlfLi16ELi32ELi8ELb0ELb0ELc84ELc76EKffEviT_T0_PT8_S1_lS4_S1_lS2_PT9_S1_li,comdat
.Lfunc_end992:
	.size	_ZL34rocblas_syrkx_herkx_general_kernelIlfLi16ELi32ELi8ELb0ELb0ELc84ELc76EKffEviT_T0_PT8_S1_lS4_S1_lS2_PT9_S1_li, .Lfunc_end992-_ZL34rocblas_syrkx_herkx_general_kernelIlfLi16ELi32ELi8ELb0ELb0ELc84ELc76EKffEviT_T0_PT8_S1_lS4_S1_lS2_PT9_S1_li
                                        ; -- End function
	.section	.AMDGPU.csdata,"",@progbits
; Kernel info:
; codeLenInByte = 1544
; NumSgprs: 24
; NumVgprs: 44
; ScratchSize: 0
; MemoryBound: 0
; FloatMode: 240
; IeeeMode: 1
; LDSByteSize: 2048 bytes/workgroup (compile time only)
; SGPRBlocks: 2
; VGPRBlocks: 5
; NumSGPRsForWavesPerEU: 24
; NumVGPRsForWavesPerEU: 44
; Occupancy: 16
; WaveLimiterHint : 0
; COMPUTE_PGM_RSRC2:SCRATCH_EN: 0
; COMPUTE_PGM_RSRC2:USER_SGPR: 13
; COMPUTE_PGM_RSRC2:TRAP_HANDLER: 0
; COMPUTE_PGM_RSRC2:TGID_X_EN: 1
; COMPUTE_PGM_RSRC2:TGID_Y_EN: 1
; COMPUTE_PGM_RSRC2:TGID_Z_EN: 1
; COMPUTE_PGM_RSRC2:TIDIG_COMP_CNT: 1
	.section	.text._ZL34rocblas_syrkx_herkx_general_kernelIlfLi16ELi32ELi8ELb0ELb0ELc67ELc76EKffEviT_T0_PT8_S1_lS4_S1_lS2_PT9_S1_li,"axG",@progbits,_ZL34rocblas_syrkx_herkx_general_kernelIlfLi16ELi32ELi8ELb0ELb0ELc67ELc76EKffEviT_T0_PT8_S1_lS4_S1_lS2_PT9_S1_li,comdat
	.globl	_ZL34rocblas_syrkx_herkx_general_kernelIlfLi16ELi32ELi8ELb0ELb0ELc67ELc76EKffEviT_T0_PT8_S1_lS4_S1_lS2_PT9_S1_li ; -- Begin function _ZL34rocblas_syrkx_herkx_general_kernelIlfLi16ELi32ELi8ELb0ELb0ELc67ELc76EKffEviT_T0_PT8_S1_lS4_S1_lS2_PT9_S1_li
	.p2align	8
	.type	_ZL34rocblas_syrkx_herkx_general_kernelIlfLi16ELi32ELi8ELb0ELb0ELc67ELc76EKffEviT_T0_PT8_S1_lS4_S1_lS2_PT9_S1_li,@function
_ZL34rocblas_syrkx_herkx_general_kernelIlfLi16ELi32ELi8ELb0ELb0ELc67ELc76EKffEviT_T0_PT8_S1_lS4_S1_lS2_PT9_S1_li: ; @_ZL34rocblas_syrkx_herkx_general_kernelIlfLi16ELi32ELi8ELb0ELb0ELc67ELc76EKffEviT_T0_PT8_S1_lS4_S1_lS2_PT9_S1_li
; %bb.0:
	s_clause 0x1
	s_load_b64 s[20:21], s[0:1], 0x8
	s_load_b32 s12, s[0:1], 0x0
	v_dual_mov_b32 v10, 0 :: v_dual_and_b32 v5, 0x3ff, v0
	v_mov_b32_e32 v8, 0
	v_mov_b32_e32 v6, 0
	v_bfe_u32 v7, v0, 10, 10
	v_mov_b32_e32 v4, 0
	s_lshl_b32 s13, s13, 5
	s_lshl_b32 s14, s14, 5
	s_waitcnt lgkmcnt(0)
	v_cmp_lt_i64_e64 s2, s[20:21], 1
	s_delay_alu instid0(VALU_DEP_1)
	s_and_b32 vcc_lo, exec_lo, s2
	s_cbranch_vccnz .LBB993_7
; %bb.1:
	s_load_b256 s[4:11], s[0:1], 0x18
	v_lshl_add_u32 v0, v7, 4, v5
	s_load_b128 s[16:19], s[0:1], 0x38
	v_and_b32_e32 v9, 7, v5
	v_dual_mov_b32 v4, 0 :: v_dual_lshlrev_b32 v11, 2, v5
	s_delay_alu instid0(VALU_DEP_3)
	v_and_b32_e32 v1, 31, v0
	v_lshrrev_b32_e32 v3, 3, v0
	v_lshrrev_b32_e32 v13, 5, v0
	v_lshlrev_b32_e32 v6, 2, v9
	v_lshl_add_u32 v12, v7, 5, 0x400
	v_add_nc_u32_e32 v2, s13, v1
	v_add_nc_u32_e32 v8, s14, v3
	v_or_b32_e32 v10, s13, v1
	v_lshlrev_b32_e32 v14, 2, v1
	v_lshl_or_b32 v17, v3, 5, v6
	v_ashrrev_i32_e32 v0, 31, v2
	v_cmp_gt_i32_e64 s3, s12, v8
	v_cmp_gt_i32_e64 s2, s12, v10
	v_lshl_or_b32 v14, v13, 7, v14
	s_waitcnt lgkmcnt(0)
	v_mul_lo_u32 v16, s7, v2
	v_mul_lo_u32 v15, s6, v0
	v_mad_u64_u32 v[0:1], null, s6, v2, 0
	v_ashrrev_i32_e32 v2, 31, v8
	v_mul_lo_u32 v18, s17, v8
	s_mul_i32 s7, s9, s15
	s_mul_hi_u32 s9, s8, s15
	s_mul_i32 s6, s8, s15
	v_mul_lo_u32 v10, s16, v2
	s_delay_alu instid0(VALU_DEP_4) | instskip(SKIP_3) | instid1(VALU_DEP_3)
	v_add3_u32 v1, v1, v15, v16
	v_mad_u64_u32 v[2:3], null, s16, v8, 0
	s_add_i32 s7, s9, s7
	v_add_nc_u32_e32 v15, 0x400, v17
	v_lshlrev_b64 v[0:1], 2, v[0:1]
	s_lshl_b64 s[6:7], s[6:7], 2
	s_delay_alu instid0(VALU_DEP_3) | instskip(NEXT) | instid1(VALU_DEP_2)
	v_add3_u32 v3, v3, v10, v18
	v_add_co_u32 v8, vcc_lo, v0, s6
	s_delay_alu instid0(VALU_DEP_3)
	v_add_co_ci_u32_e32 v10, vcc_lo, s7, v1, vcc_lo
	s_mul_i32 s6, s19, s15
	s_mul_hi_u32 s7, s18, s15
	v_lshlrev_b64 v[0:1], 2, v[2:3]
	s_add_i32 s7, s7, s6
	s_mul_i32 s6, s18, s15
	v_lshlrev_b32_e32 v2, 2, v13
	s_lshl_b64 s[6:7], s[6:7], 2
	s_delay_alu instid0(VALU_DEP_2) | instid1(SALU_CYCLE_1)
	v_add_co_u32 v0, vcc_lo, v0, s6
	v_add_co_ci_u32_e32 v1, vcc_lo, s7, v1, vcc_lo
	s_delay_alu instid0(VALU_DEP_3)
	v_add_co_u32 v2, vcc_lo, v8, v2
	v_add_co_ci_u32_e32 v3, vcc_lo, 0, v10, vcc_lo
	v_mov_b32_e32 v10, 0
	v_add_co_u32 v6, vcc_lo, v0, v6
	v_add_co_ci_u32_e32 v8, vcc_lo, 0, v1, vcc_lo
	v_add_co_u32 v0, vcc_lo, s4, v2
	v_add_co_ci_u32_e32 v1, vcc_lo, s5, v3, vcc_lo
	s_delay_alu instid0(VALU_DEP_4) | instskip(NEXT) | instid1(VALU_DEP_4)
	v_add_co_u32 v2, vcc_lo, s10, v6
	v_add_co_ci_u32_e32 v3, vcc_lo, s11, v8, vcc_lo
	v_mov_b32_e32 v6, 0
	v_mov_b32_e32 v8, 0
	s_mov_b64 s[4:5], 0
	s_branch .LBB993_3
.LBB993_2:                              ;   in Loop: Header=BB993_3 Depth=1
	s_or_b32 exec_lo, exec_lo, s6
	s_waitcnt vmcnt(0)
	ds_store_b32 v15, v17
	s_waitcnt lgkmcnt(0)
	s_barrier
	buffer_gl0_inv
	ds_load_2addr_b32 v[32:33], v11 offset1:16
	ds_load_b128 v[16:19], v12
	ds_load_b128 v[20:23], v12 offset:512
	ds_load_2addr_b32 v[34:35], v11 offset0:32 offset1:48
	ds_load_2addr_b32 v[36:37], v11 offset0:64 offset1:80
	ds_load_2addr_b32 v[38:39], v11 offset0:96 offset1:112
	ds_load_b128 v[24:27], v12 offset:16
	ds_load_2addr_b32 v[40:41], v11 offset0:128 offset1:144
	ds_load_b128 v[28:31], v12 offset:528
	ds_load_2addr_b32 v[42:43], v11 offset0:160 offset1:176
	s_add_u32 s4, s4, 8
	s_addc_u32 s5, s5, 0
	v_add_co_u32 v0, vcc_lo, v0, 32
	v_cmp_ge_i64_e64 s6, s[4:5], s[20:21]
	v_add_co_ci_u32_e32 v1, vcc_lo, 0, v1, vcc_lo
	v_add_co_u32 v2, vcc_lo, v2, 32
	v_add_co_ci_u32_e32 v3, vcc_lo, 0, v3, vcc_lo
	s_waitcnt lgkmcnt(8)
	v_fmac_f32_e32 v10, v32, v16
	v_fmac_f32_e32 v8, v33, v16
	s_waitcnt lgkmcnt(7)
	v_fmac_f32_e32 v6, v32, v20
	v_fmac_f32_e32 v4, v33, v20
	ds_load_2addr_b32 v[32:33], v11 offset0:192 offset1:208
	s_waitcnt lgkmcnt(7)
	v_fmac_f32_e32 v10, v34, v17
	v_fmac_f32_e32 v8, v35, v17
	v_fmac_f32_e32 v6, v34, v21
	v_fmac_f32_e32 v4, v35, v21
	ds_load_2addr_b32 v[16:17], v11 offset0:224 offset1:240
	s_waitcnt lgkmcnt(7)
	v_fmac_f32_e32 v10, v36, v18
	v_fmac_f32_e32 v8, v37, v18
	;; [unrolled: 1-line block ×4, first 2 shown]
	s_and_b32 vcc_lo, exec_lo, s6
	s_waitcnt lgkmcnt(6)
	v_fmac_f32_e32 v10, v38, v19
	v_fmac_f32_e32 v8, v39, v19
	;; [unrolled: 1-line block ×4, first 2 shown]
	s_waitcnt lgkmcnt(0)
	v_fmac_f32_e32 v10, v40, v24
	v_fmac_f32_e32 v8, v41, v24
	;; [unrolled: 1-line block ×4, first 2 shown]
	s_barrier
	v_fmac_f32_e32 v10, v42, v25
	v_fmac_f32_e32 v8, v43, v25
	;; [unrolled: 1-line block ×4, first 2 shown]
	buffer_gl0_inv
	v_fmac_f32_e32 v10, v32, v26
	v_fmac_f32_e32 v8, v33, v26
	;; [unrolled: 1-line block ×4, first 2 shown]
	s_delay_alu instid0(VALU_DEP_4) | instskip(NEXT) | instid1(VALU_DEP_4)
	v_fmac_f32_e32 v10, v16, v27
	v_fmac_f32_e32 v8, v17, v27
	s_delay_alu instid0(VALU_DEP_4) | instskip(NEXT) | instid1(VALU_DEP_4)
	v_fmac_f32_e32 v6, v16, v31
	v_fmac_f32_e32 v4, v17, v31
	s_cbranch_vccnz .LBB993_7
.LBB993_3:                              ; =>This Inner Loop Header: Depth=1
	v_add_co_u32 v16, s6, v13, s4
	s_delay_alu instid0(VALU_DEP_1) | instskip(NEXT) | instid1(VALU_DEP_1)
	v_add_co_ci_u32_e64 v17, null, 0, s5, s6
	v_cmp_gt_i64_e32 vcc_lo, s[20:21], v[16:17]
	v_mov_b32_e32 v16, 0
	s_and_b32 s7, s2, vcc_lo
	s_delay_alu instid0(SALU_CYCLE_1)
	s_and_saveexec_b32 s6, s7
	s_cbranch_execz .LBB993_5
; %bb.4:                                ;   in Loop: Header=BB993_3 Depth=1
	global_load_b32 v16, v[0:1], off
.LBB993_5:                              ;   in Loop: Header=BB993_3 Depth=1
	s_or_b32 exec_lo, exec_lo, s6
	v_add_co_u32 v17, s6, v9, s4
	s_delay_alu instid0(VALU_DEP_1)
	v_add_co_ci_u32_e64 v18, null, 0, s5, s6
	s_waitcnt vmcnt(0)
	ds_store_b32 v14, v16
	v_cmp_gt_i64_e32 vcc_lo, s[20:21], v[17:18]
	v_mov_b32_e32 v17, 0
	s_and_b32 s7, vcc_lo, s3
	s_delay_alu instid0(SALU_CYCLE_1)
	s_and_saveexec_b32 s6, s7
	s_cbranch_execz .LBB993_2
; %bb.6:                                ;   in Loop: Header=BB993_3 Depth=1
	global_load_b32 v17, v[2:3], off
	s_branch .LBB993_2
.LBB993_7:
	s_clause 0x1
	s_load_b128 s[4:7], s[0:1], 0x50
	s_load_b64 s[10:11], s[0:1], 0x60
	v_add_nc_u32_e32 v7, s14, v7
	s_clause 0x1
	s_load_b32 s3, s[0:1], 0x10
	s_load_b32 s8, s[0:1], 0x48
	s_delay_alu instid0(VALU_DEP_1) | instskip(SKIP_1) | instid1(VALU_DEP_1)
	v_ashrrev_i32_e32 v0, 31, v7
	s_waitcnt lgkmcnt(0)
	v_mul_lo_u32 v3, v0, s6
	v_mul_lo_u32 v9, v7, s7
	v_mad_u64_u32 v[1:2], null, v7, s6, 0
	s_mul_i32 s1, s15, s11
	s_mul_hi_u32 s2, s15, s10
	s_mul_i32 s10, s15, s10
	s_add_i32 s11, s2, s1
	v_add_nc_u32_e32 v0, s13, v5
	s_lshl_b64 s[10:11], s[10:11], 2
	s_delay_alu instid0(VALU_DEP_2)
	v_add3_u32 v2, v2, v9, v3
	s_add_u32 s2, s4, s10
	s_addc_u32 s4, s5, s11
	v_cmp_le_i32_e64 s0, v7, v0
	v_cmp_gt_i32_e32 vcc_lo, s12, v0
	v_lshlrev_b64 v[1:2], 2, v[1:2]
	s_delay_alu instid0(VALU_DEP_3) | instskip(NEXT) | instid1(VALU_DEP_1)
	s_and_b32 s0, s0, vcc_lo
	v_add_co_u32 v5, s1, s2, v1
	s_delay_alu instid0(VALU_DEP_1)
	v_add_co_ci_u32_e64 v9, s1, s4, v2, s1
	s_and_saveexec_b32 s1, s0
	s_cbranch_execz .LBB993_9
; %bb.8:
	v_ashrrev_i32_e32 v1, 31, v0
	s_delay_alu instid0(VALU_DEP_1) | instskip(NEXT) | instid1(VALU_DEP_1)
	v_lshlrev_b64 v[1:2], 2, v[0:1]
	v_add_co_u32 v1, s0, v5, v1
	s_delay_alu instid0(VALU_DEP_1) | instskip(SKIP_3) | instid1(VALU_DEP_1)
	v_add_co_ci_u32_e64 v2, s0, v9, v2, s0
	global_load_b32 v3, v[1:2], off
	s_waitcnt vmcnt(0)
	v_mul_f32_e32 v3, s8, v3
	v_fmac_f32_e32 v3, s3, v10
	global_store_b32 v[1:2], v3, off
.LBB993_9:
	s_or_b32 exec_lo, exec_lo, s1
	v_add_nc_u32_e32 v2, 16, v0
	s_delay_alu instid0(VALU_DEP_1) | instskip(SKIP_1) | instid1(VALU_DEP_1)
	v_cmp_le_i32_e64 s1, v7, v2
	v_cmp_gt_i32_e64 s0, s12, v2
	s_and_b32 s1, s1, s0
	s_delay_alu instid0(SALU_CYCLE_1)
	s_and_saveexec_b32 s5, s1
	s_cbranch_execz .LBB993_11
; %bb.10:
	v_ashrrev_i32_e32 v3, 31, v2
	s_delay_alu instid0(VALU_DEP_1) | instskip(NEXT) | instid1(VALU_DEP_1)
	v_lshlrev_b64 v[10:11], 2, v[2:3]
	v_add_co_u32 v10, s1, v5, v10
	s_delay_alu instid0(VALU_DEP_1) | instskip(SKIP_3) | instid1(VALU_DEP_1)
	v_add_co_ci_u32_e64 v11, s1, v9, v11, s1
	global_load_b32 v1, v[10:11], off
	s_waitcnt vmcnt(0)
	v_mul_f32_e32 v1, s8, v1
	v_fmac_f32_e32 v1, s3, v8
	global_store_b32 v[10:11], v1, off
.LBB993_11:
	s_or_b32 exec_lo, exec_lo, s5
	v_add_nc_u32_e32 v3, 16, v7
	s_delay_alu instid0(VALU_DEP_1) | instskip(SKIP_3) | instid1(VALU_DEP_4)
	v_ashrrev_i32_e32 v1, 31, v3
	v_mul_lo_u32 v5, v3, s7
	v_mad_u64_u32 v[7:8], null, v3, s6, 0
	v_cmp_le_i32_e64 s1, v3, v0
	v_mul_lo_u32 v1, v1, s6
	s_delay_alu instid0(VALU_DEP_1) | instskip(NEXT) | instid1(VALU_DEP_1)
	v_add3_u32 v8, v8, v5, v1
	v_lshlrev_b64 v[7:8], 2, v[7:8]
	s_delay_alu instid0(VALU_DEP_1) | instskip(NEXT) | instid1(VALU_DEP_1)
	v_add_co_u32 v5, s2, s2, v7
	v_add_co_ci_u32_e64 v7, s2, s4, v8, s2
	s_and_b32 s2, s1, vcc_lo
	s_delay_alu instid0(SALU_CYCLE_1)
	s_and_saveexec_b32 s1, s2
	s_cbranch_execz .LBB993_13
; %bb.12:
	v_ashrrev_i32_e32 v1, 31, v0
	s_delay_alu instid0(VALU_DEP_1) | instskip(NEXT) | instid1(VALU_DEP_1)
	v_lshlrev_b64 v[0:1], 2, v[0:1]
	v_add_co_u32 v0, vcc_lo, v5, v0
	s_delay_alu instid0(VALU_DEP_2) | instskip(SKIP_3) | instid1(VALU_DEP_1)
	v_add_co_ci_u32_e32 v1, vcc_lo, v7, v1, vcc_lo
	global_load_b32 v8, v[0:1], off
	s_waitcnt vmcnt(0)
	v_mul_f32_e32 v8, s8, v8
	v_fmac_f32_e32 v8, s3, v6
	global_store_b32 v[0:1], v8, off
.LBB993_13:
	s_or_b32 exec_lo, exec_lo, s1
	v_cmp_le_i32_e32 vcc_lo, v3, v2
	s_and_b32 s0, vcc_lo, s0
	s_delay_alu instid0(SALU_CYCLE_1)
	s_and_saveexec_b32 s1, s0
	s_cbranch_execz .LBB993_15
; %bb.14:
	v_ashrrev_i32_e32 v3, 31, v2
	s_delay_alu instid0(VALU_DEP_1) | instskip(NEXT) | instid1(VALU_DEP_1)
	v_lshlrev_b64 v[0:1], 2, v[2:3]
	v_add_co_u32 v0, vcc_lo, v5, v0
	s_delay_alu instid0(VALU_DEP_2) | instskip(SKIP_3) | instid1(VALU_DEP_1)
	v_add_co_ci_u32_e32 v1, vcc_lo, v7, v1, vcc_lo
	global_load_b32 v2, v[0:1], off
	s_waitcnt vmcnt(0)
	v_mul_f32_e32 v2, s8, v2
	v_fmac_f32_e32 v2, s3, v4
	global_store_b32 v[0:1], v2, off
.LBB993_15:
	s_nop 0
	s_sendmsg sendmsg(MSG_DEALLOC_VGPRS)
	s_endpgm
	.section	.rodata,"a",@progbits
	.p2align	6, 0x0
	.amdhsa_kernel _ZL34rocblas_syrkx_herkx_general_kernelIlfLi16ELi32ELi8ELb0ELb0ELc67ELc76EKffEviT_T0_PT8_S1_lS4_S1_lS2_PT9_S1_li
		.amdhsa_group_segment_fixed_size 2048
		.amdhsa_private_segment_fixed_size 0
		.amdhsa_kernarg_size 108
		.amdhsa_user_sgpr_count 13
		.amdhsa_user_sgpr_dispatch_ptr 0
		.amdhsa_user_sgpr_queue_ptr 0
		.amdhsa_user_sgpr_kernarg_segment_ptr 1
		.amdhsa_user_sgpr_dispatch_id 0
		.amdhsa_user_sgpr_private_segment_size 0
		.amdhsa_wavefront_size32 1
		.amdhsa_uses_dynamic_stack 0
		.amdhsa_enable_private_segment 0
		.amdhsa_system_sgpr_workgroup_id_x 1
		.amdhsa_system_sgpr_workgroup_id_y 1
		.amdhsa_system_sgpr_workgroup_id_z 1
		.amdhsa_system_sgpr_workgroup_info 0
		.amdhsa_system_vgpr_workitem_id 1
		.amdhsa_next_free_vgpr 44
		.amdhsa_next_free_sgpr 22
		.amdhsa_reserve_vcc 1
		.amdhsa_float_round_mode_32 0
		.amdhsa_float_round_mode_16_64 0
		.amdhsa_float_denorm_mode_32 3
		.amdhsa_float_denorm_mode_16_64 3
		.amdhsa_dx10_clamp 1
		.amdhsa_ieee_mode 1
		.amdhsa_fp16_overflow 0
		.amdhsa_workgroup_processor_mode 1
		.amdhsa_memory_ordered 1
		.amdhsa_forward_progress 0
		.amdhsa_shared_vgpr_count 0
		.amdhsa_exception_fp_ieee_invalid_op 0
		.amdhsa_exception_fp_denorm_src 0
		.amdhsa_exception_fp_ieee_div_zero 0
		.amdhsa_exception_fp_ieee_overflow 0
		.amdhsa_exception_fp_ieee_underflow 0
		.amdhsa_exception_fp_ieee_inexact 0
		.amdhsa_exception_int_div_zero 0
	.end_amdhsa_kernel
	.section	.text._ZL34rocblas_syrkx_herkx_general_kernelIlfLi16ELi32ELi8ELb0ELb0ELc67ELc76EKffEviT_T0_PT8_S1_lS4_S1_lS2_PT9_S1_li,"axG",@progbits,_ZL34rocblas_syrkx_herkx_general_kernelIlfLi16ELi32ELi8ELb0ELb0ELc67ELc76EKffEviT_T0_PT8_S1_lS4_S1_lS2_PT9_S1_li,comdat
.Lfunc_end993:
	.size	_ZL34rocblas_syrkx_herkx_general_kernelIlfLi16ELi32ELi8ELb0ELb0ELc67ELc76EKffEviT_T0_PT8_S1_lS4_S1_lS2_PT9_S1_li, .Lfunc_end993-_ZL34rocblas_syrkx_herkx_general_kernelIlfLi16ELi32ELi8ELb0ELb0ELc67ELc76EKffEviT_T0_PT8_S1_lS4_S1_lS2_PT9_S1_li
                                        ; -- End function
	.section	.AMDGPU.csdata,"",@progbits
; Kernel info:
; codeLenInByte = 1544
; NumSgprs: 24
; NumVgprs: 44
; ScratchSize: 0
; MemoryBound: 0
; FloatMode: 240
; IeeeMode: 1
; LDSByteSize: 2048 bytes/workgroup (compile time only)
; SGPRBlocks: 2
; VGPRBlocks: 5
; NumSGPRsForWavesPerEU: 24
; NumVGPRsForWavesPerEU: 44
; Occupancy: 16
; WaveLimiterHint : 0
; COMPUTE_PGM_RSRC2:SCRATCH_EN: 0
; COMPUTE_PGM_RSRC2:USER_SGPR: 13
; COMPUTE_PGM_RSRC2:TRAP_HANDLER: 0
; COMPUTE_PGM_RSRC2:TGID_X_EN: 1
; COMPUTE_PGM_RSRC2:TGID_Y_EN: 1
; COMPUTE_PGM_RSRC2:TGID_Z_EN: 1
; COMPUTE_PGM_RSRC2:TIDIG_COMP_CNT: 1
	.section	.text._ZL34rocblas_syrkx_herkx_general_kernelIlfLi16ELi32ELi8ELb0ELb0ELc78ELc76EKffEviT_T0_PT8_S1_lS4_S1_lS2_PT9_S1_li,"axG",@progbits,_ZL34rocblas_syrkx_herkx_general_kernelIlfLi16ELi32ELi8ELb0ELb0ELc78ELc76EKffEviT_T0_PT8_S1_lS4_S1_lS2_PT9_S1_li,comdat
	.globl	_ZL34rocblas_syrkx_herkx_general_kernelIlfLi16ELi32ELi8ELb0ELb0ELc78ELc76EKffEviT_T0_PT8_S1_lS4_S1_lS2_PT9_S1_li ; -- Begin function _ZL34rocblas_syrkx_herkx_general_kernelIlfLi16ELi32ELi8ELb0ELb0ELc78ELc76EKffEviT_T0_PT8_S1_lS4_S1_lS2_PT9_S1_li
	.p2align	8
	.type	_ZL34rocblas_syrkx_herkx_general_kernelIlfLi16ELi32ELi8ELb0ELb0ELc78ELc76EKffEviT_T0_PT8_S1_lS4_S1_lS2_PT9_S1_li,@function
_ZL34rocblas_syrkx_herkx_general_kernelIlfLi16ELi32ELi8ELb0ELb0ELc78ELc76EKffEviT_T0_PT8_S1_lS4_S1_lS2_PT9_S1_li: ; @_ZL34rocblas_syrkx_herkx_general_kernelIlfLi16ELi32ELi8ELb0ELb0ELc78ELc76EKffEviT_T0_PT8_S1_lS4_S1_lS2_PT9_S1_li
; %bb.0:
	s_clause 0x1
	s_load_b64 s[20:21], s[0:1], 0x8
	s_load_b32 s12, s[0:1], 0x0
	v_dual_mov_b32 v13, 0 :: v_dual_mov_b32 v4, 0
	v_mov_b32_e32 v9, 0
	v_mov_b32_e32 v7, 0
	v_and_b32_e32 v5, 0x3ff, v0
	v_bfe_u32 v6, v0, 10, 10
	s_lshl_b32 s13, s13, 5
	s_lshl_b32 s14, s14, 5
	s_waitcnt lgkmcnt(0)
	v_cmp_lt_i64_e64 s2, s[20:21], 1
	s_delay_alu instid0(VALU_DEP_1)
	s_and_b32 vcc_lo, exec_lo, s2
	s_cbranch_vccnz .LBB994_7
; %bb.1:
	s_clause 0x1
	s_load_b256 s[4:11], s[0:1], 0x18
	s_load_b128 s[16:19], s[0:1], 0x38
	v_lshl_add_u32 v0, v6, 4, v5
	v_lshl_add_u32 v11, v6, 5, 0x400
	s_delay_alu instid0(VALU_DEP_2) | instskip(SKIP_2) | instid1(VALU_DEP_2)
	v_lshrrev_b32_e32 v12, 5, v0
	v_and_b32_e32 v2, 31, v0
	v_lshrrev_b32_e32 v1, 3, v0
	v_or_b32_e32 v7, s13, v2
	v_lshlrev_b32_e32 v9, 2, v2
	s_delay_alu instid0(VALU_DEP_2) | instskip(NEXT) | instid1(VALU_DEP_2)
	v_cmp_gt_i32_e64 s2, s12, v7
	v_lshl_or_b32 v14, v12, 7, v9
	s_waitcnt lgkmcnt(0)
	v_mad_u64_u32 v[16:17], null, s6, v12, 0
	v_and_b32_e32 v8, 7, v5
	s_mul_i32 s9, s9, s15
	s_mul_hi_u32 s22, s8, s15
	s_mul_i32 s8, s8, s15
	s_add_i32 s9, s22, s9
	s_mul_i32 s19, s19, s15
	s_delay_alu instid0(VALU_DEP_2)
	v_mov_b32_e32 v7, v17
	v_mad_u64_u32 v[18:19], null, s16, v8, 0
	v_lshlrev_b32_e32 v10, 2, v5
	v_dual_mov_b32 v4, 0 :: v_dual_lshlrev_b32 v3, 2, v8
	s_mul_hi_u32 s23, s18, s15
	s_lshl_b64 s[8:9], s[8:9], 2
	s_mul_i32 s18, s18, s15
	s_delay_alu instid0(VALU_DEP_3) | instskip(SKIP_2) | instid1(VALU_DEP_2)
	v_mov_b32_e32 v9, v19
	v_mad_u64_u32 v[19:20], null, s7, v12, v[7:8]
	s_add_i32 s19, s23, s19
	v_mad_u64_u32 v[20:21], null, s17, v8, v[9:10]
	v_add_nc_u32_e32 v0, s14, v1
	v_lshl_or_b32 v1, v1, 5, v3
	s_delay_alu instid0(VALU_DEP_4) | instskip(SKIP_1) | instid1(VALU_DEP_4)
	v_dual_mov_b32 v17, v19 :: v_dual_add_nc_u32 v2, s13, v2
	s_lshl_b64 s[18:19], s[18:19], 2
	v_mov_b32_e32 v19, v20
	s_delay_alu instid0(VALU_DEP_2) | instskip(NEXT) | instid1(VALU_DEP_3)
	v_lshlrev_b64 v[16:17], 2, v[16:17]
	v_ashrrev_i32_e32 v3, 31, v2
	v_add_nc_u32_e32 v15, 0x400, v1
	v_ashrrev_i32_e32 v1, 31, v0
	v_lshlrev_b64 v[18:19], 2, v[18:19]
	v_cmp_gt_i32_e64 s3, s12, v0
	v_lshlrev_b64 v[2:3], 2, v[2:3]
	v_add_co_u32 v7, vcc_lo, v16, s8
	v_add_co_ci_u32_e32 v9, vcc_lo, s9, v17, vcc_lo
	v_lshlrev_b64 v[0:1], 2, v[0:1]
	v_add_co_u32 v13, vcc_lo, s18, v18
	v_add_co_ci_u32_e32 v16, vcc_lo, s19, v19, vcc_lo
	v_add_co_u32 v2, vcc_lo, v7, v2
	v_add_co_ci_u32_e32 v3, vcc_lo, v9, v3, vcc_lo
	s_delay_alu instid0(VALU_DEP_4) | instskip(NEXT) | instid1(VALU_DEP_4)
	v_add_co_u32 v7, vcc_lo, v13, v0
	v_add_co_ci_u32_e32 v9, vcc_lo, v16, v1, vcc_lo
	s_delay_alu instid0(VALU_DEP_4) | instskip(NEXT) | instid1(VALU_DEP_4)
	v_add_co_u32 v0, vcc_lo, s4, v2
	v_add_co_ci_u32_e32 v1, vcc_lo, s5, v3, vcc_lo
	s_delay_alu instid0(VALU_DEP_4)
	v_add_co_u32 v2, vcc_lo, s10, v7
	v_mov_b32_e32 v7, 0
	v_add_co_ci_u32_e32 v3, vcc_lo, s11, v9, vcc_lo
	v_mov_b32_e32 v9, 0
	v_mov_b32_e32 v13, 0
	s_lshl_b64 s[4:5], s[6:7], 5
	s_lshl_b64 s[6:7], s[16:17], 5
	s_mov_b64 s[8:9], 0
	s_branch .LBB994_3
.LBB994_2:                              ;   in Loop: Header=BB994_3 Depth=1
	s_or_b32 exec_lo, exec_lo, s10
	s_waitcnt vmcnt(0)
	ds_store_b32 v15, v17
	s_waitcnt lgkmcnt(0)
	s_barrier
	buffer_gl0_inv
	ds_load_2addr_b32 v[32:33], v10 offset1:16
	ds_load_b128 v[16:19], v11
	ds_load_b128 v[20:23], v11 offset:512
	ds_load_2addr_b32 v[34:35], v10 offset0:32 offset1:48
	ds_load_2addr_b32 v[36:37], v10 offset0:64 offset1:80
	;; [unrolled: 1-line block ×3, first 2 shown]
	ds_load_b128 v[24:27], v11 offset:16
	ds_load_2addr_b32 v[40:41], v10 offset0:128 offset1:144
	ds_load_b128 v[28:31], v11 offset:528
	ds_load_2addr_b32 v[42:43], v10 offset0:160 offset1:176
	s_add_u32 s8, s8, 8
	s_addc_u32 s9, s9, 0
	v_add_co_u32 v0, vcc_lo, v0, s4
	v_cmp_ge_i64_e64 s10, s[8:9], s[20:21]
	v_add_co_ci_u32_e32 v1, vcc_lo, s5, v1, vcc_lo
	v_add_co_u32 v2, vcc_lo, v2, s6
	v_add_co_ci_u32_e32 v3, vcc_lo, s7, v3, vcc_lo
	s_delay_alu instid0(VALU_DEP_4) | instskip(SKIP_3) | instid1(VALU_DEP_1)
	s_and_b32 vcc_lo, exec_lo, s10
	s_waitcnt lgkmcnt(7)
	v_fmac_f32_e32 v4, v33, v20
	s_waitcnt lgkmcnt(6)
	v_dual_fmac_f32 v13, v32, v16 :: v_dual_fmac_f32 v4, v35, v21
	v_fmac_f32_e32 v7, v32, v20
	s_waitcnt lgkmcnt(5)
	s_delay_alu instid0(VALU_DEP_2)
	v_dual_fmac_f32 v13, v34, v17 :: v_dual_fmac_f32 v4, v37, v22
	v_fmac_f32_e32 v9, v33, v16
	ds_load_2addr_b32 v[32:33], v10 offset0:192 offset1:208
	s_waitcnt lgkmcnt(5)
	v_fmac_f32_e32 v4, v39, v23
	v_fmac_f32_e32 v9, v35, v17
	ds_load_2addr_b32 v[16:17], v10 offset0:224 offset1:240
	s_waitcnt lgkmcnt(0)
	s_barrier
	v_dual_fmac_f32 v4, v41, v28 :: v_dual_fmac_f32 v13, v36, v18
	v_fmac_f32_e32 v9, v37, v18
	buffer_gl0_inv
	v_fmac_f32_e32 v4, v43, v29
	v_fmac_f32_e32 v7, v34, v21
	;; [unrolled: 1-line block ×3, first 2 shown]
	s_delay_alu instid0(VALU_DEP_3) | instskip(NEXT) | instid1(VALU_DEP_3)
	v_dual_fmac_f32 v9, v39, v19 :: v_dual_fmac_f32 v4, v33, v30
	v_fmac_f32_e32 v7, v36, v22
	s_delay_alu instid0(VALU_DEP_3) | instskip(NEXT) | instid1(VALU_DEP_3)
	v_fmac_f32_e32 v13, v40, v24
	v_fmac_f32_e32 v9, v41, v24
	s_delay_alu instid0(VALU_DEP_4) | instskip(NEXT) | instid1(VALU_DEP_4)
	v_fmac_f32_e32 v4, v17, v31
	v_fmac_f32_e32 v7, v38, v23
	s_delay_alu instid0(VALU_DEP_4) | instskip(NEXT) | instid1(VALU_DEP_4)
	v_fmac_f32_e32 v13, v42, v25
	v_fmac_f32_e32 v9, v43, v25
	s_delay_alu instid0(VALU_DEP_3) | instskip(NEXT) | instid1(VALU_DEP_3)
	v_fmac_f32_e32 v7, v40, v28
	v_fmac_f32_e32 v13, v32, v26
	s_delay_alu instid0(VALU_DEP_3) | instskip(NEXT) | instid1(VALU_DEP_3)
	;; [unrolled: 3-line block ×3, first 2 shown]
	v_fmac_f32_e32 v13, v16, v27
	v_fmac_f32_e32 v9, v17, v27
	s_delay_alu instid0(VALU_DEP_3) | instskip(NEXT) | instid1(VALU_DEP_1)
	v_fmac_f32_e32 v7, v32, v30
	v_fmac_f32_e32 v7, v16, v31
	s_cbranch_vccnz .LBB994_7
.LBB994_3:                              ; =>This Inner Loop Header: Depth=1
	v_add_co_u32 v16, s10, v12, s8
	s_delay_alu instid0(VALU_DEP_1) | instskip(NEXT) | instid1(VALU_DEP_1)
	v_add_co_ci_u32_e64 v17, null, 0, s9, s10
	v_cmp_gt_i64_e32 vcc_lo, s[20:21], v[16:17]
	v_mov_b32_e32 v16, 0
	s_and_b32 s11, s2, vcc_lo
	s_delay_alu instid0(SALU_CYCLE_1)
	s_and_saveexec_b32 s10, s11
	s_cbranch_execz .LBB994_5
; %bb.4:                                ;   in Loop: Header=BB994_3 Depth=1
	global_load_b32 v16, v[0:1], off
.LBB994_5:                              ;   in Loop: Header=BB994_3 Depth=1
	s_or_b32 exec_lo, exec_lo, s10
	v_add_co_u32 v17, s10, v8, s8
	s_delay_alu instid0(VALU_DEP_1)
	v_add_co_ci_u32_e64 v18, null, 0, s9, s10
	s_waitcnt vmcnt(0)
	ds_store_b32 v14, v16
	v_cmp_gt_i64_e32 vcc_lo, s[20:21], v[17:18]
	v_mov_b32_e32 v17, 0
	s_and_b32 s11, vcc_lo, s3
	s_delay_alu instid0(SALU_CYCLE_1)
	s_and_saveexec_b32 s10, s11
	s_cbranch_execz .LBB994_2
; %bb.6:                                ;   in Loop: Header=BB994_3 Depth=1
	global_load_b32 v17, v[2:3], off
	s_branch .LBB994_2
.LBB994_7:
	s_clause 0x1
	s_load_b128 s[4:7], s[0:1], 0x50
	s_load_b64 s[10:11], s[0:1], 0x60
	v_add_nc_u32_e32 v6, s14, v6
	s_clause 0x1
	s_load_b32 s3, s[0:1], 0x10
	s_load_b32 s8, s[0:1], 0x48
	s_delay_alu instid0(VALU_DEP_1) | instskip(SKIP_1) | instid1(VALU_DEP_1)
	v_ashrrev_i32_e32 v0, 31, v6
	s_waitcnt lgkmcnt(0)
	v_mul_lo_u32 v3, v0, s6
	v_mul_lo_u32 v8, v6, s7
	v_mad_u64_u32 v[1:2], null, v6, s6, 0
	s_mul_i32 s1, s15, s11
	s_mul_hi_u32 s2, s15, s10
	s_mul_i32 s10, s15, s10
	s_add_i32 s11, s2, s1
	v_add_nc_u32_e32 v0, s13, v5
	s_lshl_b64 s[10:11], s[10:11], 2
	s_delay_alu instid0(VALU_DEP_2)
	v_add3_u32 v2, v2, v8, v3
	s_add_u32 s2, s4, s10
	s_addc_u32 s4, s5, s11
	v_cmp_le_i32_e64 s0, v6, v0
	v_cmp_gt_i32_e32 vcc_lo, s12, v0
	v_lshlrev_b64 v[1:2], 2, v[1:2]
	s_delay_alu instid0(VALU_DEP_3) | instskip(NEXT) | instid1(VALU_DEP_1)
	s_and_b32 s0, s0, vcc_lo
	v_add_co_u32 v5, s1, s2, v1
	s_delay_alu instid0(VALU_DEP_1)
	v_add_co_ci_u32_e64 v8, s1, s4, v2, s1
	s_and_saveexec_b32 s1, s0
	s_cbranch_execz .LBB994_9
; %bb.8:
	v_ashrrev_i32_e32 v1, 31, v0
	s_delay_alu instid0(VALU_DEP_1) | instskip(NEXT) | instid1(VALU_DEP_1)
	v_lshlrev_b64 v[1:2], 2, v[0:1]
	v_add_co_u32 v1, s0, v5, v1
	s_delay_alu instid0(VALU_DEP_1) | instskip(SKIP_3) | instid1(VALU_DEP_1)
	v_add_co_ci_u32_e64 v2, s0, v8, v2, s0
	global_load_b32 v3, v[1:2], off
	s_waitcnt vmcnt(0)
	v_mul_f32_e32 v3, s8, v3
	v_fmac_f32_e32 v3, s3, v13
	global_store_b32 v[1:2], v3, off
.LBB994_9:
	s_or_b32 exec_lo, exec_lo, s1
	v_add_nc_u32_e32 v2, 16, v0
	s_delay_alu instid0(VALU_DEP_1) | instskip(SKIP_1) | instid1(VALU_DEP_1)
	v_cmp_le_i32_e64 s1, v6, v2
	v_cmp_gt_i32_e64 s0, s12, v2
	s_and_b32 s1, s1, s0
	s_delay_alu instid0(SALU_CYCLE_1)
	s_and_saveexec_b32 s5, s1
	s_cbranch_execz .LBB994_11
; %bb.10:
	v_ashrrev_i32_e32 v3, 31, v2
	s_delay_alu instid0(VALU_DEP_1) | instskip(NEXT) | instid1(VALU_DEP_1)
	v_lshlrev_b64 v[10:11], 2, v[2:3]
	v_add_co_u32 v10, s1, v5, v10
	s_delay_alu instid0(VALU_DEP_1) | instskip(SKIP_3) | instid1(VALU_DEP_1)
	v_add_co_ci_u32_e64 v11, s1, v8, v11, s1
	global_load_b32 v1, v[10:11], off
	s_waitcnt vmcnt(0)
	v_mul_f32_e32 v1, s8, v1
	v_fmac_f32_e32 v1, s3, v9
	global_store_b32 v[10:11], v1, off
.LBB994_11:
	s_or_b32 exec_lo, exec_lo, s5
	v_add_nc_u32_e32 v3, 16, v6
	s_delay_alu instid0(VALU_DEP_1) | instskip(SKIP_3) | instid1(VALU_DEP_4)
	v_ashrrev_i32_e32 v1, 31, v3
	v_mul_lo_u32 v8, v3, s7
	v_mad_u64_u32 v[5:6], null, v3, s6, 0
	v_cmp_le_i32_e64 s1, v3, v0
	v_mul_lo_u32 v1, v1, s6
	s_delay_alu instid0(VALU_DEP_1) | instskip(NEXT) | instid1(VALU_DEP_1)
	v_add3_u32 v6, v6, v8, v1
	v_lshlrev_b64 v[5:6], 2, v[5:6]
	s_delay_alu instid0(VALU_DEP_1) | instskip(NEXT) | instid1(VALU_DEP_1)
	v_add_co_u32 v5, s2, s2, v5
	v_add_co_ci_u32_e64 v6, s2, s4, v6, s2
	s_and_b32 s2, s1, vcc_lo
	s_delay_alu instid0(SALU_CYCLE_1)
	s_and_saveexec_b32 s1, s2
	s_cbranch_execz .LBB994_13
; %bb.12:
	v_ashrrev_i32_e32 v1, 31, v0
	s_delay_alu instid0(VALU_DEP_1) | instskip(NEXT) | instid1(VALU_DEP_1)
	v_lshlrev_b64 v[0:1], 2, v[0:1]
	v_add_co_u32 v0, vcc_lo, v5, v0
	s_delay_alu instid0(VALU_DEP_2) | instskip(SKIP_3) | instid1(VALU_DEP_1)
	v_add_co_ci_u32_e32 v1, vcc_lo, v6, v1, vcc_lo
	global_load_b32 v8, v[0:1], off
	s_waitcnt vmcnt(0)
	v_mul_f32_e32 v8, s8, v8
	v_fmac_f32_e32 v8, s3, v7
	global_store_b32 v[0:1], v8, off
.LBB994_13:
	s_or_b32 exec_lo, exec_lo, s1
	v_cmp_le_i32_e32 vcc_lo, v3, v2
	s_and_b32 s0, vcc_lo, s0
	s_delay_alu instid0(SALU_CYCLE_1)
	s_and_saveexec_b32 s1, s0
	s_cbranch_execz .LBB994_15
; %bb.14:
	v_ashrrev_i32_e32 v3, 31, v2
	s_delay_alu instid0(VALU_DEP_1) | instskip(NEXT) | instid1(VALU_DEP_1)
	v_lshlrev_b64 v[0:1], 2, v[2:3]
	v_add_co_u32 v0, vcc_lo, v5, v0
	s_delay_alu instid0(VALU_DEP_2) | instskip(SKIP_3) | instid1(VALU_DEP_1)
	v_add_co_ci_u32_e32 v1, vcc_lo, v6, v1, vcc_lo
	global_load_b32 v2, v[0:1], off
	s_waitcnt vmcnt(0)
	v_mul_f32_e32 v2, s8, v2
	v_fmac_f32_e32 v2, s3, v4
	global_store_b32 v[0:1], v2, off
.LBB994_15:
	s_nop 0
	s_sendmsg sendmsg(MSG_DEALLOC_VGPRS)
	s_endpgm
	.section	.rodata,"a",@progbits
	.p2align	6, 0x0
	.amdhsa_kernel _ZL34rocblas_syrkx_herkx_general_kernelIlfLi16ELi32ELi8ELb0ELb0ELc78ELc76EKffEviT_T0_PT8_S1_lS4_S1_lS2_PT9_S1_li
		.amdhsa_group_segment_fixed_size 2048
		.amdhsa_private_segment_fixed_size 0
		.amdhsa_kernarg_size 108
		.amdhsa_user_sgpr_count 13
		.amdhsa_user_sgpr_dispatch_ptr 0
		.amdhsa_user_sgpr_queue_ptr 0
		.amdhsa_user_sgpr_kernarg_segment_ptr 1
		.amdhsa_user_sgpr_dispatch_id 0
		.amdhsa_user_sgpr_private_segment_size 0
		.amdhsa_wavefront_size32 1
		.amdhsa_uses_dynamic_stack 0
		.amdhsa_enable_private_segment 0
		.amdhsa_system_sgpr_workgroup_id_x 1
		.amdhsa_system_sgpr_workgroup_id_y 1
		.amdhsa_system_sgpr_workgroup_id_z 1
		.amdhsa_system_sgpr_workgroup_info 0
		.amdhsa_system_vgpr_workitem_id 1
		.amdhsa_next_free_vgpr 44
		.amdhsa_next_free_sgpr 24
		.amdhsa_reserve_vcc 1
		.amdhsa_float_round_mode_32 0
		.amdhsa_float_round_mode_16_64 0
		.amdhsa_float_denorm_mode_32 3
		.amdhsa_float_denorm_mode_16_64 3
		.amdhsa_dx10_clamp 1
		.amdhsa_ieee_mode 1
		.amdhsa_fp16_overflow 0
		.amdhsa_workgroup_processor_mode 1
		.amdhsa_memory_ordered 1
		.amdhsa_forward_progress 0
		.amdhsa_shared_vgpr_count 0
		.amdhsa_exception_fp_ieee_invalid_op 0
		.amdhsa_exception_fp_denorm_src 0
		.amdhsa_exception_fp_ieee_div_zero 0
		.amdhsa_exception_fp_ieee_overflow 0
		.amdhsa_exception_fp_ieee_underflow 0
		.amdhsa_exception_fp_ieee_inexact 0
		.amdhsa_exception_int_div_zero 0
	.end_amdhsa_kernel
	.section	.text._ZL34rocblas_syrkx_herkx_general_kernelIlfLi16ELi32ELi8ELb0ELb0ELc78ELc76EKffEviT_T0_PT8_S1_lS4_S1_lS2_PT9_S1_li,"axG",@progbits,_ZL34rocblas_syrkx_herkx_general_kernelIlfLi16ELi32ELi8ELb0ELb0ELc78ELc76EKffEviT_T0_PT8_S1_lS4_S1_lS2_PT9_S1_li,comdat
.Lfunc_end994:
	.size	_ZL34rocblas_syrkx_herkx_general_kernelIlfLi16ELi32ELi8ELb0ELb0ELc78ELc76EKffEviT_T0_PT8_S1_lS4_S1_lS2_PT9_S1_li, .Lfunc_end994-_ZL34rocblas_syrkx_herkx_general_kernelIlfLi16ELi32ELi8ELb0ELb0ELc78ELc76EKffEviT_T0_PT8_S1_lS4_S1_lS2_PT9_S1_li
                                        ; -- End function
	.section	.AMDGPU.csdata,"",@progbits
; Kernel info:
; codeLenInByte = 1588
; NumSgprs: 26
; NumVgprs: 44
; ScratchSize: 0
; MemoryBound: 0
; FloatMode: 240
; IeeeMode: 1
; LDSByteSize: 2048 bytes/workgroup (compile time only)
; SGPRBlocks: 3
; VGPRBlocks: 5
; NumSGPRsForWavesPerEU: 26
; NumVGPRsForWavesPerEU: 44
; Occupancy: 16
; WaveLimiterHint : 0
; COMPUTE_PGM_RSRC2:SCRATCH_EN: 0
; COMPUTE_PGM_RSRC2:USER_SGPR: 13
; COMPUTE_PGM_RSRC2:TRAP_HANDLER: 0
; COMPUTE_PGM_RSRC2:TGID_X_EN: 1
; COMPUTE_PGM_RSRC2:TGID_Y_EN: 1
; COMPUTE_PGM_RSRC2:TGID_Z_EN: 1
; COMPUTE_PGM_RSRC2:TIDIG_COMP_CNT: 1
	.section	.text._ZL34rocblas_syrkx_herkx_general_kernelIlfLi16ELi32ELi8ELb0ELb0ELc84ELc85EKffEviT_T0_PT8_S1_lS4_S1_lS2_PT9_S1_li,"axG",@progbits,_ZL34rocblas_syrkx_herkx_general_kernelIlfLi16ELi32ELi8ELb0ELb0ELc84ELc85EKffEviT_T0_PT8_S1_lS4_S1_lS2_PT9_S1_li,comdat
	.globl	_ZL34rocblas_syrkx_herkx_general_kernelIlfLi16ELi32ELi8ELb0ELb0ELc84ELc85EKffEviT_T0_PT8_S1_lS4_S1_lS2_PT9_S1_li ; -- Begin function _ZL34rocblas_syrkx_herkx_general_kernelIlfLi16ELi32ELi8ELb0ELb0ELc84ELc85EKffEviT_T0_PT8_S1_lS4_S1_lS2_PT9_S1_li
	.p2align	8
	.type	_ZL34rocblas_syrkx_herkx_general_kernelIlfLi16ELi32ELi8ELb0ELb0ELc84ELc85EKffEviT_T0_PT8_S1_lS4_S1_lS2_PT9_S1_li,@function
_ZL34rocblas_syrkx_herkx_general_kernelIlfLi16ELi32ELi8ELb0ELb0ELc84ELc85EKffEviT_T0_PT8_S1_lS4_S1_lS2_PT9_S1_li: ; @_ZL34rocblas_syrkx_herkx_general_kernelIlfLi16ELi32ELi8ELb0ELb0ELc84ELc85EKffEviT_T0_PT8_S1_lS4_S1_lS2_PT9_S1_li
; %bb.0:
	s_clause 0x1
	s_load_b64 s[20:21], s[0:1], 0x8
	s_load_b32 s12, s[0:1], 0x0
	v_dual_mov_b32 v10, 0 :: v_dual_and_b32 v5, 0x3ff, v0
	v_mov_b32_e32 v8, 0
	v_mov_b32_e32 v6, 0
	v_bfe_u32 v7, v0, 10, 10
	v_mov_b32_e32 v4, 0
	s_lshl_b32 s13, s13, 5
	s_lshl_b32 s14, s14, 5
	s_waitcnt lgkmcnt(0)
	v_cmp_lt_i64_e64 s2, s[20:21], 1
	s_delay_alu instid0(VALU_DEP_1)
	s_and_b32 vcc_lo, exec_lo, s2
	s_cbranch_vccnz .LBB995_7
; %bb.1:
	s_load_b256 s[4:11], s[0:1], 0x18
	v_lshl_add_u32 v0, v7, 4, v5
	s_load_b128 s[16:19], s[0:1], 0x38
	v_and_b32_e32 v9, 7, v5
	v_dual_mov_b32 v4, 0 :: v_dual_lshlrev_b32 v11, 2, v5
	s_delay_alu instid0(VALU_DEP_3)
	v_and_b32_e32 v1, 31, v0
	v_lshrrev_b32_e32 v3, 3, v0
	v_lshrrev_b32_e32 v13, 5, v0
	v_lshlrev_b32_e32 v6, 2, v9
	v_lshl_add_u32 v12, v7, 5, 0x400
	v_add_nc_u32_e32 v2, s13, v1
	v_add_nc_u32_e32 v8, s14, v3
	v_or_b32_e32 v10, s13, v1
	v_lshlrev_b32_e32 v14, 2, v1
	v_lshl_or_b32 v17, v3, 5, v6
	v_ashrrev_i32_e32 v0, 31, v2
	v_cmp_gt_i32_e64 s3, s12, v8
	v_cmp_gt_i32_e64 s2, s12, v10
	v_lshl_or_b32 v14, v13, 7, v14
	s_waitcnt lgkmcnt(0)
	v_mul_lo_u32 v16, s7, v2
	v_mul_lo_u32 v15, s6, v0
	v_mad_u64_u32 v[0:1], null, s6, v2, 0
	v_ashrrev_i32_e32 v2, 31, v8
	v_mul_lo_u32 v18, s17, v8
	s_mul_i32 s7, s9, s15
	s_mul_hi_u32 s9, s8, s15
	s_mul_i32 s6, s8, s15
	v_mul_lo_u32 v10, s16, v2
	s_delay_alu instid0(VALU_DEP_4) | instskip(SKIP_3) | instid1(VALU_DEP_3)
	v_add3_u32 v1, v1, v15, v16
	v_mad_u64_u32 v[2:3], null, s16, v8, 0
	s_add_i32 s7, s9, s7
	v_add_nc_u32_e32 v15, 0x400, v17
	v_lshlrev_b64 v[0:1], 2, v[0:1]
	s_lshl_b64 s[6:7], s[6:7], 2
	s_delay_alu instid0(VALU_DEP_3) | instskip(NEXT) | instid1(VALU_DEP_2)
	v_add3_u32 v3, v3, v10, v18
	v_add_co_u32 v8, vcc_lo, v0, s6
	s_delay_alu instid0(VALU_DEP_3)
	v_add_co_ci_u32_e32 v10, vcc_lo, s7, v1, vcc_lo
	s_mul_i32 s6, s19, s15
	s_mul_hi_u32 s7, s18, s15
	v_lshlrev_b64 v[0:1], 2, v[2:3]
	s_add_i32 s7, s7, s6
	s_mul_i32 s6, s18, s15
	v_lshlrev_b32_e32 v2, 2, v13
	s_lshl_b64 s[6:7], s[6:7], 2
	s_delay_alu instid0(VALU_DEP_2) | instid1(SALU_CYCLE_1)
	v_add_co_u32 v0, vcc_lo, v0, s6
	v_add_co_ci_u32_e32 v1, vcc_lo, s7, v1, vcc_lo
	s_delay_alu instid0(VALU_DEP_3)
	v_add_co_u32 v2, vcc_lo, v8, v2
	v_add_co_ci_u32_e32 v3, vcc_lo, 0, v10, vcc_lo
	v_mov_b32_e32 v10, 0
	v_add_co_u32 v6, vcc_lo, v0, v6
	v_add_co_ci_u32_e32 v8, vcc_lo, 0, v1, vcc_lo
	v_add_co_u32 v0, vcc_lo, s4, v2
	v_add_co_ci_u32_e32 v1, vcc_lo, s5, v3, vcc_lo
	s_delay_alu instid0(VALU_DEP_4) | instskip(NEXT) | instid1(VALU_DEP_4)
	v_add_co_u32 v2, vcc_lo, s10, v6
	v_add_co_ci_u32_e32 v3, vcc_lo, s11, v8, vcc_lo
	v_mov_b32_e32 v6, 0
	v_mov_b32_e32 v8, 0
	s_mov_b64 s[4:5], 0
	s_branch .LBB995_3
.LBB995_2:                              ;   in Loop: Header=BB995_3 Depth=1
	s_or_b32 exec_lo, exec_lo, s6
	s_waitcnt vmcnt(0)
	ds_store_b32 v15, v17
	s_waitcnt lgkmcnt(0)
	s_barrier
	buffer_gl0_inv
	ds_load_2addr_b32 v[32:33], v11 offset1:16
	ds_load_b128 v[16:19], v12
	ds_load_b128 v[20:23], v12 offset:512
	ds_load_2addr_b32 v[34:35], v11 offset0:32 offset1:48
	ds_load_2addr_b32 v[36:37], v11 offset0:64 offset1:80
	;; [unrolled: 1-line block ×3, first 2 shown]
	ds_load_b128 v[24:27], v12 offset:16
	ds_load_2addr_b32 v[40:41], v11 offset0:128 offset1:144
	ds_load_b128 v[28:31], v12 offset:528
	ds_load_2addr_b32 v[42:43], v11 offset0:160 offset1:176
	s_add_u32 s4, s4, 8
	s_addc_u32 s5, s5, 0
	v_add_co_u32 v0, vcc_lo, v0, 32
	v_cmp_ge_i64_e64 s6, s[4:5], s[20:21]
	v_add_co_ci_u32_e32 v1, vcc_lo, 0, v1, vcc_lo
	v_add_co_u32 v2, vcc_lo, v2, 32
	v_add_co_ci_u32_e32 v3, vcc_lo, 0, v3, vcc_lo
	s_waitcnt lgkmcnt(8)
	v_fmac_f32_e32 v10, v32, v16
	v_fmac_f32_e32 v8, v33, v16
	s_waitcnt lgkmcnt(7)
	v_fmac_f32_e32 v6, v32, v20
	v_fmac_f32_e32 v4, v33, v20
	ds_load_2addr_b32 v[32:33], v11 offset0:192 offset1:208
	s_waitcnt lgkmcnt(7)
	v_fmac_f32_e32 v10, v34, v17
	v_fmac_f32_e32 v8, v35, v17
	;; [unrolled: 1-line block ×4, first 2 shown]
	ds_load_2addr_b32 v[16:17], v11 offset0:224 offset1:240
	s_waitcnt lgkmcnt(7)
	v_fmac_f32_e32 v10, v36, v18
	v_fmac_f32_e32 v8, v37, v18
	;; [unrolled: 1-line block ×4, first 2 shown]
	s_and_b32 vcc_lo, exec_lo, s6
	s_waitcnt lgkmcnt(6)
	v_fmac_f32_e32 v10, v38, v19
	v_fmac_f32_e32 v8, v39, v19
	v_fmac_f32_e32 v6, v38, v23
	v_fmac_f32_e32 v4, v39, v23
	s_waitcnt lgkmcnt(0)
	v_fmac_f32_e32 v10, v40, v24
	v_fmac_f32_e32 v8, v41, v24
	;; [unrolled: 1-line block ×4, first 2 shown]
	s_barrier
	v_fmac_f32_e32 v10, v42, v25
	v_fmac_f32_e32 v8, v43, v25
	;; [unrolled: 1-line block ×4, first 2 shown]
	buffer_gl0_inv
	v_fmac_f32_e32 v10, v32, v26
	v_fmac_f32_e32 v8, v33, v26
	;; [unrolled: 1-line block ×4, first 2 shown]
	s_delay_alu instid0(VALU_DEP_4) | instskip(NEXT) | instid1(VALU_DEP_4)
	v_fmac_f32_e32 v10, v16, v27
	v_fmac_f32_e32 v8, v17, v27
	s_delay_alu instid0(VALU_DEP_4) | instskip(NEXT) | instid1(VALU_DEP_4)
	v_fmac_f32_e32 v6, v16, v31
	v_fmac_f32_e32 v4, v17, v31
	s_cbranch_vccnz .LBB995_7
.LBB995_3:                              ; =>This Inner Loop Header: Depth=1
	v_add_co_u32 v16, s6, v13, s4
	s_delay_alu instid0(VALU_DEP_1) | instskip(NEXT) | instid1(VALU_DEP_1)
	v_add_co_ci_u32_e64 v17, null, 0, s5, s6
	v_cmp_gt_i64_e32 vcc_lo, s[20:21], v[16:17]
	v_mov_b32_e32 v16, 0
	s_and_b32 s7, s2, vcc_lo
	s_delay_alu instid0(SALU_CYCLE_1)
	s_and_saveexec_b32 s6, s7
	s_cbranch_execz .LBB995_5
; %bb.4:                                ;   in Loop: Header=BB995_3 Depth=1
	global_load_b32 v16, v[0:1], off
.LBB995_5:                              ;   in Loop: Header=BB995_3 Depth=1
	s_or_b32 exec_lo, exec_lo, s6
	v_add_co_u32 v17, s6, v9, s4
	s_delay_alu instid0(VALU_DEP_1)
	v_add_co_ci_u32_e64 v18, null, 0, s5, s6
	s_waitcnt vmcnt(0)
	ds_store_b32 v14, v16
	v_cmp_gt_i64_e32 vcc_lo, s[20:21], v[17:18]
	v_mov_b32_e32 v17, 0
	s_and_b32 s7, vcc_lo, s3
	s_delay_alu instid0(SALU_CYCLE_1)
	s_and_saveexec_b32 s6, s7
	s_cbranch_execz .LBB995_2
; %bb.6:                                ;   in Loop: Header=BB995_3 Depth=1
	global_load_b32 v17, v[2:3], off
	s_branch .LBB995_2
.LBB995_7:
	s_clause 0x1
	s_load_b128 s[4:7], s[0:1], 0x50
	s_load_b64 s[8:9], s[0:1], 0x60
	v_add_nc_u32_e32 v7, s14, v7
	s_clause 0x1
	s_load_b32 s2, s[0:1], 0x10
	s_load_b32 s3, s[0:1], 0x48
	s_delay_alu instid0(VALU_DEP_1) | instskip(SKIP_2) | instid1(VALU_DEP_2)
	v_ashrrev_i32_e32 v0, 31, v7
	v_cmp_gt_i32_e32 vcc_lo, s12, v7
	s_waitcnt lgkmcnt(0)
	v_mul_lo_u32 v3, v0, s6
	v_mul_lo_u32 v9, v7, s7
	v_mad_u64_u32 v[1:2], null, v7, s6, 0
	s_mul_i32 s1, s15, s9
	s_mul_hi_u32 s9, s15, s8
	s_mul_i32 s0, s15, s8
	s_add_i32 s1, s9, s1
	v_add_nc_u32_e32 v0, s13, v5
	s_lshl_b64 s[8:9], s[0:1], 2
	s_delay_alu instid0(VALU_DEP_2) | instskip(SKIP_3) | instid1(VALU_DEP_2)
	v_add3_u32 v2, v2, v9, v3
	s_add_u32 s4, s4, s8
	s_addc_u32 s5, s5, s9
	v_cmp_le_i32_e64 s0, v0, v7
	v_lshlrev_b64 v[1:2], 2, v[1:2]
	s_delay_alu instid0(VALU_DEP_2) | instskip(NEXT) | instid1(VALU_DEP_1)
	s_and_b32 s0, vcc_lo, s0
	v_add_co_u32 v5, s1, s4, v1
	s_delay_alu instid0(VALU_DEP_1)
	v_add_co_ci_u32_e64 v9, s1, s5, v2, s1
	s_and_saveexec_b32 s1, s0
	s_cbranch_execz .LBB995_9
; %bb.8:
	v_ashrrev_i32_e32 v1, 31, v0
	s_delay_alu instid0(VALU_DEP_1) | instskip(NEXT) | instid1(VALU_DEP_1)
	v_lshlrev_b64 v[1:2], 2, v[0:1]
	v_add_co_u32 v1, s0, v5, v1
	s_delay_alu instid0(VALU_DEP_1) | instskip(SKIP_3) | instid1(VALU_DEP_1)
	v_add_co_ci_u32_e64 v2, s0, v9, v2, s0
	global_load_b32 v3, v[1:2], off
	s_waitcnt vmcnt(0)
	v_mul_f32_e32 v3, s3, v3
	v_fmac_f32_e32 v3, s2, v10
	global_store_b32 v[1:2], v3, off
.LBB995_9:
	s_or_b32 exec_lo, exec_lo, s1
	v_add_nc_u32_e32 v2, 16, v0
	s_delay_alu instid0(VALU_DEP_1) | instskip(NEXT) | instid1(VALU_DEP_1)
	v_cmp_le_i32_e64 s0, v2, v7
	s_and_b32 s1, vcc_lo, s0
	s_delay_alu instid0(SALU_CYCLE_1)
	s_and_saveexec_b32 s0, s1
	s_cbranch_execz .LBB995_11
; %bb.10:
	v_ashrrev_i32_e32 v3, 31, v2
	s_delay_alu instid0(VALU_DEP_1) | instskip(NEXT) | instid1(VALU_DEP_1)
	v_lshlrev_b64 v[10:11], 2, v[2:3]
	v_add_co_u32 v10, vcc_lo, v5, v10
	s_delay_alu instid0(VALU_DEP_2) | instskip(SKIP_3) | instid1(VALU_DEP_1)
	v_add_co_ci_u32_e32 v11, vcc_lo, v9, v11, vcc_lo
	global_load_b32 v1, v[10:11], off
	s_waitcnt vmcnt(0)
	v_mul_f32_e32 v1, s3, v1
	v_fmac_f32_e32 v1, s2, v8
	global_store_b32 v[10:11], v1, off
.LBB995_11:
	s_or_b32 exec_lo, exec_lo, s0
	v_add_nc_u32_e32 v3, 16, v7
	s_delay_alu instid0(VALU_DEP_1) | instskip(SKIP_3) | instid1(VALU_DEP_4)
	v_ashrrev_i32_e32 v1, 31, v3
	v_mul_lo_u32 v5, v3, s7
	v_mad_u64_u32 v[7:8], null, v3, s6, 0
	v_cmp_gt_i32_e32 vcc_lo, s12, v3
	v_mul_lo_u32 v1, v1, s6
	v_cmp_le_i32_e64 s0, v0, v3
	s_delay_alu instid0(VALU_DEP_1) | instskip(NEXT) | instid1(VALU_DEP_2)
	s_and_b32 s0, vcc_lo, s0
	v_add3_u32 v8, v8, v5, v1
	s_delay_alu instid0(VALU_DEP_1) | instskip(NEXT) | instid1(VALU_DEP_1)
	v_lshlrev_b64 v[7:8], 2, v[7:8]
	v_add_co_u32 v5, s1, s4, v7
	s_delay_alu instid0(VALU_DEP_1)
	v_add_co_ci_u32_e64 v7, s1, s5, v8, s1
	s_and_saveexec_b32 s1, s0
	s_cbranch_execz .LBB995_13
; %bb.12:
	v_ashrrev_i32_e32 v1, 31, v0
	s_delay_alu instid0(VALU_DEP_1) | instskip(NEXT) | instid1(VALU_DEP_1)
	v_lshlrev_b64 v[0:1], 2, v[0:1]
	v_add_co_u32 v0, s0, v5, v0
	s_delay_alu instid0(VALU_DEP_1) | instskip(SKIP_3) | instid1(VALU_DEP_1)
	v_add_co_ci_u32_e64 v1, s0, v7, v1, s0
	global_load_b32 v8, v[0:1], off
	s_waitcnt vmcnt(0)
	v_mul_f32_e32 v8, s3, v8
	v_fmac_f32_e32 v8, s2, v6
	global_store_b32 v[0:1], v8, off
.LBB995_13:
	s_or_b32 exec_lo, exec_lo, s1
	v_cmp_le_i32_e64 s0, v2, v3
	s_delay_alu instid0(VALU_DEP_1) | instskip(NEXT) | instid1(SALU_CYCLE_1)
	s_and_b32 s0, vcc_lo, s0
	s_and_saveexec_b32 s1, s0
	s_cbranch_execz .LBB995_15
; %bb.14:
	v_ashrrev_i32_e32 v3, 31, v2
	s_delay_alu instid0(VALU_DEP_1) | instskip(NEXT) | instid1(VALU_DEP_1)
	v_lshlrev_b64 v[0:1], 2, v[2:3]
	v_add_co_u32 v0, vcc_lo, v5, v0
	s_delay_alu instid0(VALU_DEP_2) | instskip(SKIP_3) | instid1(VALU_DEP_1)
	v_add_co_ci_u32_e32 v1, vcc_lo, v7, v1, vcc_lo
	global_load_b32 v2, v[0:1], off
	s_waitcnt vmcnt(0)
	v_mul_f32_e32 v2, s3, v2
	v_fmac_f32_e32 v2, s2, v4
	global_store_b32 v[0:1], v2, off
.LBB995_15:
	s_nop 0
	s_sendmsg sendmsg(MSG_DEALLOC_VGPRS)
	s_endpgm
	.section	.rodata,"a",@progbits
	.p2align	6, 0x0
	.amdhsa_kernel _ZL34rocblas_syrkx_herkx_general_kernelIlfLi16ELi32ELi8ELb0ELb0ELc84ELc85EKffEviT_T0_PT8_S1_lS4_S1_lS2_PT9_S1_li
		.amdhsa_group_segment_fixed_size 2048
		.amdhsa_private_segment_fixed_size 0
		.amdhsa_kernarg_size 108
		.amdhsa_user_sgpr_count 13
		.amdhsa_user_sgpr_dispatch_ptr 0
		.amdhsa_user_sgpr_queue_ptr 0
		.amdhsa_user_sgpr_kernarg_segment_ptr 1
		.amdhsa_user_sgpr_dispatch_id 0
		.amdhsa_user_sgpr_private_segment_size 0
		.amdhsa_wavefront_size32 1
		.amdhsa_uses_dynamic_stack 0
		.amdhsa_enable_private_segment 0
		.amdhsa_system_sgpr_workgroup_id_x 1
		.amdhsa_system_sgpr_workgroup_id_y 1
		.amdhsa_system_sgpr_workgroup_id_z 1
		.amdhsa_system_sgpr_workgroup_info 0
		.amdhsa_system_vgpr_workitem_id 1
		.amdhsa_next_free_vgpr 44
		.amdhsa_next_free_sgpr 22
		.amdhsa_reserve_vcc 1
		.amdhsa_float_round_mode_32 0
		.amdhsa_float_round_mode_16_64 0
		.amdhsa_float_denorm_mode_32 3
		.amdhsa_float_denorm_mode_16_64 3
		.amdhsa_dx10_clamp 1
		.amdhsa_ieee_mode 1
		.amdhsa_fp16_overflow 0
		.amdhsa_workgroup_processor_mode 1
		.amdhsa_memory_ordered 1
		.amdhsa_forward_progress 0
		.amdhsa_shared_vgpr_count 0
		.amdhsa_exception_fp_ieee_invalid_op 0
		.amdhsa_exception_fp_denorm_src 0
		.amdhsa_exception_fp_ieee_div_zero 0
		.amdhsa_exception_fp_ieee_overflow 0
		.amdhsa_exception_fp_ieee_underflow 0
		.amdhsa_exception_fp_ieee_inexact 0
		.amdhsa_exception_int_div_zero 0
	.end_amdhsa_kernel
	.section	.text._ZL34rocblas_syrkx_herkx_general_kernelIlfLi16ELi32ELi8ELb0ELb0ELc84ELc85EKffEviT_T0_PT8_S1_lS4_S1_lS2_PT9_S1_li,"axG",@progbits,_ZL34rocblas_syrkx_herkx_general_kernelIlfLi16ELi32ELi8ELb0ELb0ELc84ELc85EKffEviT_T0_PT8_S1_lS4_S1_lS2_PT9_S1_li,comdat
.Lfunc_end995:
	.size	_ZL34rocblas_syrkx_herkx_general_kernelIlfLi16ELi32ELi8ELb0ELb0ELc84ELc85EKffEviT_T0_PT8_S1_lS4_S1_lS2_PT9_S1_li, .Lfunc_end995-_ZL34rocblas_syrkx_herkx_general_kernelIlfLi16ELi32ELi8ELb0ELb0ELc84ELc85EKffEviT_T0_PT8_S1_lS4_S1_lS2_PT9_S1_li
                                        ; -- End function
	.section	.AMDGPU.csdata,"",@progbits
; Kernel info:
; codeLenInByte = 1544
; NumSgprs: 24
; NumVgprs: 44
; ScratchSize: 0
; MemoryBound: 0
; FloatMode: 240
; IeeeMode: 1
; LDSByteSize: 2048 bytes/workgroup (compile time only)
; SGPRBlocks: 2
; VGPRBlocks: 5
; NumSGPRsForWavesPerEU: 24
; NumVGPRsForWavesPerEU: 44
; Occupancy: 16
; WaveLimiterHint : 0
; COMPUTE_PGM_RSRC2:SCRATCH_EN: 0
; COMPUTE_PGM_RSRC2:USER_SGPR: 13
; COMPUTE_PGM_RSRC2:TRAP_HANDLER: 0
; COMPUTE_PGM_RSRC2:TGID_X_EN: 1
; COMPUTE_PGM_RSRC2:TGID_Y_EN: 1
; COMPUTE_PGM_RSRC2:TGID_Z_EN: 1
; COMPUTE_PGM_RSRC2:TIDIG_COMP_CNT: 1
	.section	.text._ZL34rocblas_syrkx_herkx_general_kernelIlfLi16ELi32ELi8ELb0ELb0ELc67ELc85EKffEviT_T0_PT8_S1_lS4_S1_lS2_PT9_S1_li,"axG",@progbits,_ZL34rocblas_syrkx_herkx_general_kernelIlfLi16ELi32ELi8ELb0ELb0ELc67ELc85EKffEviT_T0_PT8_S1_lS4_S1_lS2_PT9_S1_li,comdat
	.globl	_ZL34rocblas_syrkx_herkx_general_kernelIlfLi16ELi32ELi8ELb0ELb0ELc67ELc85EKffEviT_T0_PT8_S1_lS4_S1_lS2_PT9_S1_li ; -- Begin function _ZL34rocblas_syrkx_herkx_general_kernelIlfLi16ELi32ELi8ELb0ELb0ELc67ELc85EKffEviT_T0_PT8_S1_lS4_S1_lS2_PT9_S1_li
	.p2align	8
	.type	_ZL34rocblas_syrkx_herkx_general_kernelIlfLi16ELi32ELi8ELb0ELb0ELc67ELc85EKffEviT_T0_PT8_S1_lS4_S1_lS2_PT9_S1_li,@function
_ZL34rocblas_syrkx_herkx_general_kernelIlfLi16ELi32ELi8ELb0ELb0ELc67ELc85EKffEviT_T0_PT8_S1_lS4_S1_lS2_PT9_S1_li: ; @_ZL34rocblas_syrkx_herkx_general_kernelIlfLi16ELi32ELi8ELb0ELb0ELc67ELc85EKffEviT_T0_PT8_S1_lS4_S1_lS2_PT9_S1_li
; %bb.0:
	s_clause 0x1
	s_load_b64 s[20:21], s[0:1], 0x8
	s_load_b32 s12, s[0:1], 0x0
	v_dual_mov_b32 v10, 0 :: v_dual_and_b32 v5, 0x3ff, v0
	v_mov_b32_e32 v8, 0
	v_mov_b32_e32 v6, 0
	v_bfe_u32 v7, v0, 10, 10
	v_mov_b32_e32 v4, 0
	s_lshl_b32 s13, s13, 5
	s_lshl_b32 s14, s14, 5
	s_waitcnt lgkmcnt(0)
	v_cmp_lt_i64_e64 s2, s[20:21], 1
	s_delay_alu instid0(VALU_DEP_1)
	s_and_b32 vcc_lo, exec_lo, s2
	s_cbranch_vccnz .LBB996_7
; %bb.1:
	s_load_b256 s[4:11], s[0:1], 0x18
	v_lshl_add_u32 v0, v7, 4, v5
	s_load_b128 s[16:19], s[0:1], 0x38
	v_and_b32_e32 v9, 7, v5
	v_dual_mov_b32 v4, 0 :: v_dual_lshlrev_b32 v11, 2, v5
	s_delay_alu instid0(VALU_DEP_3)
	v_and_b32_e32 v1, 31, v0
	v_lshrrev_b32_e32 v3, 3, v0
	v_lshrrev_b32_e32 v13, 5, v0
	v_lshlrev_b32_e32 v6, 2, v9
	v_lshl_add_u32 v12, v7, 5, 0x400
	v_add_nc_u32_e32 v2, s13, v1
	v_add_nc_u32_e32 v8, s14, v3
	v_or_b32_e32 v10, s13, v1
	v_lshlrev_b32_e32 v14, 2, v1
	v_lshl_or_b32 v17, v3, 5, v6
	v_ashrrev_i32_e32 v0, 31, v2
	v_cmp_gt_i32_e64 s3, s12, v8
	v_cmp_gt_i32_e64 s2, s12, v10
	v_lshl_or_b32 v14, v13, 7, v14
	s_waitcnt lgkmcnt(0)
	v_mul_lo_u32 v16, s7, v2
	v_mul_lo_u32 v15, s6, v0
	v_mad_u64_u32 v[0:1], null, s6, v2, 0
	v_ashrrev_i32_e32 v2, 31, v8
	v_mul_lo_u32 v18, s17, v8
	s_mul_i32 s7, s9, s15
	s_mul_hi_u32 s9, s8, s15
	s_mul_i32 s6, s8, s15
	v_mul_lo_u32 v10, s16, v2
	s_delay_alu instid0(VALU_DEP_4) | instskip(SKIP_3) | instid1(VALU_DEP_3)
	v_add3_u32 v1, v1, v15, v16
	v_mad_u64_u32 v[2:3], null, s16, v8, 0
	s_add_i32 s7, s9, s7
	v_add_nc_u32_e32 v15, 0x400, v17
	v_lshlrev_b64 v[0:1], 2, v[0:1]
	s_lshl_b64 s[6:7], s[6:7], 2
	s_delay_alu instid0(VALU_DEP_3) | instskip(NEXT) | instid1(VALU_DEP_2)
	v_add3_u32 v3, v3, v10, v18
	v_add_co_u32 v8, vcc_lo, v0, s6
	s_delay_alu instid0(VALU_DEP_3)
	v_add_co_ci_u32_e32 v10, vcc_lo, s7, v1, vcc_lo
	s_mul_i32 s6, s19, s15
	s_mul_hi_u32 s7, s18, s15
	v_lshlrev_b64 v[0:1], 2, v[2:3]
	s_add_i32 s7, s7, s6
	s_mul_i32 s6, s18, s15
	v_lshlrev_b32_e32 v2, 2, v13
	s_lshl_b64 s[6:7], s[6:7], 2
	s_delay_alu instid0(VALU_DEP_2) | instid1(SALU_CYCLE_1)
	v_add_co_u32 v0, vcc_lo, v0, s6
	v_add_co_ci_u32_e32 v1, vcc_lo, s7, v1, vcc_lo
	s_delay_alu instid0(VALU_DEP_3)
	v_add_co_u32 v2, vcc_lo, v8, v2
	v_add_co_ci_u32_e32 v3, vcc_lo, 0, v10, vcc_lo
	v_mov_b32_e32 v10, 0
	v_add_co_u32 v6, vcc_lo, v0, v6
	v_add_co_ci_u32_e32 v8, vcc_lo, 0, v1, vcc_lo
	v_add_co_u32 v0, vcc_lo, s4, v2
	v_add_co_ci_u32_e32 v1, vcc_lo, s5, v3, vcc_lo
	s_delay_alu instid0(VALU_DEP_4) | instskip(NEXT) | instid1(VALU_DEP_4)
	v_add_co_u32 v2, vcc_lo, s10, v6
	v_add_co_ci_u32_e32 v3, vcc_lo, s11, v8, vcc_lo
	v_mov_b32_e32 v6, 0
	v_mov_b32_e32 v8, 0
	s_mov_b64 s[4:5], 0
	s_branch .LBB996_3
.LBB996_2:                              ;   in Loop: Header=BB996_3 Depth=1
	s_or_b32 exec_lo, exec_lo, s6
	s_waitcnt vmcnt(0)
	ds_store_b32 v15, v17
	s_waitcnt lgkmcnt(0)
	s_barrier
	buffer_gl0_inv
	ds_load_2addr_b32 v[32:33], v11 offset1:16
	ds_load_b128 v[16:19], v12
	ds_load_b128 v[20:23], v12 offset:512
	ds_load_2addr_b32 v[34:35], v11 offset0:32 offset1:48
	ds_load_2addr_b32 v[36:37], v11 offset0:64 offset1:80
	;; [unrolled: 1-line block ×3, first 2 shown]
	ds_load_b128 v[24:27], v12 offset:16
	ds_load_2addr_b32 v[40:41], v11 offset0:128 offset1:144
	ds_load_b128 v[28:31], v12 offset:528
	ds_load_2addr_b32 v[42:43], v11 offset0:160 offset1:176
	s_add_u32 s4, s4, 8
	s_addc_u32 s5, s5, 0
	v_add_co_u32 v0, vcc_lo, v0, 32
	v_cmp_ge_i64_e64 s6, s[4:5], s[20:21]
	v_add_co_ci_u32_e32 v1, vcc_lo, 0, v1, vcc_lo
	v_add_co_u32 v2, vcc_lo, v2, 32
	v_add_co_ci_u32_e32 v3, vcc_lo, 0, v3, vcc_lo
	s_waitcnt lgkmcnt(8)
	v_fmac_f32_e32 v10, v32, v16
	v_fmac_f32_e32 v8, v33, v16
	s_waitcnt lgkmcnt(7)
	v_fmac_f32_e32 v6, v32, v20
	v_fmac_f32_e32 v4, v33, v20
	ds_load_2addr_b32 v[32:33], v11 offset0:192 offset1:208
	s_waitcnt lgkmcnt(7)
	v_fmac_f32_e32 v10, v34, v17
	v_fmac_f32_e32 v8, v35, v17
	;; [unrolled: 1-line block ×4, first 2 shown]
	ds_load_2addr_b32 v[16:17], v11 offset0:224 offset1:240
	s_waitcnt lgkmcnt(7)
	v_fmac_f32_e32 v10, v36, v18
	v_fmac_f32_e32 v8, v37, v18
	;; [unrolled: 1-line block ×4, first 2 shown]
	s_and_b32 vcc_lo, exec_lo, s6
	s_waitcnt lgkmcnt(6)
	v_fmac_f32_e32 v10, v38, v19
	v_fmac_f32_e32 v8, v39, v19
	;; [unrolled: 1-line block ×4, first 2 shown]
	s_waitcnt lgkmcnt(0)
	v_fmac_f32_e32 v10, v40, v24
	v_fmac_f32_e32 v8, v41, v24
	;; [unrolled: 1-line block ×4, first 2 shown]
	s_barrier
	v_fmac_f32_e32 v10, v42, v25
	v_fmac_f32_e32 v8, v43, v25
	;; [unrolled: 1-line block ×4, first 2 shown]
	buffer_gl0_inv
	v_fmac_f32_e32 v10, v32, v26
	v_fmac_f32_e32 v8, v33, v26
	;; [unrolled: 1-line block ×4, first 2 shown]
	s_delay_alu instid0(VALU_DEP_4) | instskip(NEXT) | instid1(VALU_DEP_4)
	v_fmac_f32_e32 v10, v16, v27
	v_fmac_f32_e32 v8, v17, v27
	s_delay_alu instid0(VALU_DEP_4) | instskip(NEXT) | instid1(VALU_DEP_4)
	v_fmac_f32_e32 v6, v16, v31
	v_fmac_f32_e32 v4, v17, v31
	s_cbranch_vccnz .LBB996_7
.LBB996_3:                              ; =>This Inner Loop Header: Depth=1
	v_add_co_u32 v16, s6, v13, s4
	s_delay_alu instid0(VALU_DEP_1) | instskip(NEXT) | instid1(VALU_DEP_1)
	v_add_co_ci_u32_e64 v17, null, 0, s5, s6
	v_cmp_gt_i64_e32 vcc_lo, s[20:21], v[16:17]
	v_mov_b32_e32 v16, 0
	s_and_b32 s7, s2, vcc_lo
	s_delay_alu instid0(SALU_CYCLE_1)
	s_and_saveexec_b32 s6, s7
	s_cbranch_execz .LBB996_5
; %bb.4:                                ;   in Loop: Header=BB996_3 Depth=1
	global_load_b32 v16, v[0:1], off
.LBB996_5:                              ;   in Loop: Header=BB996_3 Depth=1
	s_or_b32 exec_lo, exec_lo, s6
	v_add_co_u32 v17, s6, v9, s4
	s_delay_alu instid0(VALU_DEP_1)
	v_add_co_ci_u32_e64 v18, null, 0, s5, s6
	s_waitcnt vmcnt(0)
	ds_store_b32 v14, v16
	v_cmp_gt_i64_e32 vcc_lo, s[20:21], v[17:18]
	v_mov_b32_e32 v17, 0
	s_and_b32 s7, vcc_lo, s3
	s_delay_alu instid0(SALU_CYCLE_1)
	s_and_saveexec_b32 s6, s7
	s_cbranch_execz .LBB996_2
; %bb.6:                                ;   in Loop: Header=BB996_3 Depth=1
	global_load_b32 v17, v[2:3], off
	s_branch .LBB996_2
.LBB996_7:
	s_clause 0x1
	s_load_b128 s[4:7], s[0:1], 0x50
	s_load_b64 s[8:9], s[0:1], 0x60
	v_add_nc_u32_e32 v7, s14, v7
	s_clause 0x1
	s_load_b32 s2, s[0:1], 0x10
	s_load_b32 s3, s[0:1], 0x48
	s_delay_alu instid0(VALU_DEP_1) | instskip(SKIP_2) | instid1(VALU_DEP_2)
	v_ashrrev_i32_e32 v0, 31, v7
	v_cmp_gt_i32_e32 vcc_lo, s12, v7
	s_waitcnt lgkmcnt(0)
	v_mul_lo_u32 v3, v0, s6
	v_mul_lo_u32 v9, v7, s7
	v_mad_u64_u32 v[1:2], null, v7, s6, 0
	s_mul_i32 s1, s15, s9
	s_mul_hi_u32 s9, s15, s8
	s_mul_i32 s0, s15, s8
	s_add_i32 s1, s9, s1
	v_add_nc_u32_e32 v0, s13, v5
	s_lshl_b64 s[8:9], s[0:1], 2
	s_delay_alu instid0(VALU_DEP_2) | instskip(SKIP_3) | instid1(VALU_DEP_2)
	v_add3_u32 v2, v2, v9, v3
	s_add_u32 s4, s4, s8
	s_addc_u32 s5, s5, s9
	v_cmp_le_i32_e64 s0, v0, v7
	v_lshlrev_b64 v[1:2], 2, v[1:2]
	s_delay_alu instid0(VALU_DEP_2) | instskip(NEXT) | instid1(VALU_DEP_1)
	s_and_b32 s0, vcc_lo, s0
	v_add_co_u32 v5, s1, s4, v1
	s_delay_alu instid0(VALU_DEP_1)
	v_add_co_ci_u32_e64 v9, s1, s5, v2, s1
	s_and_saveexec_b32 s1, s0
	s_cbranch_execz .LBB996_9
; %bb.8:
	v_ashrrev_i32_e32 v1, 31, v0
	s_delay_alu instid0(VALU_DEP_1) | instskip(NEXT) | instid1(VALU_DEP_1)
	v_lshlrev_b64 v[1:2], 2, v[0:1]
	v_add_co_u32 v1, s0, v5, v1
	s_delay_alu instid0(VALU_DEP_1) | instskip(SKIP_3) | instid1(VALU_DEP_1)
	v_add_co_ci_u32_e64 v2, s0, v9, v2, s0
	global_load_b32 v3, v[1:2], off
	s_waitcnt vmcnt(0)
	v_mul_f32_e32 v3, s3, v3
	v_fmac_f32_e32 v3, s2, v10
	global_store_b32 v[1:2], v3, off
.LBB996_9:
	s_or_b32 exec_lo, exec_lo, s1
	v_add_nc_u32_e32 v2, 16, v0
	s_delay_alu instid0(VALU_DEP_1) | instskip(NEXT) | instid1(VALU_DEP_1)
	v_cmp_le_i32_e64 s0, v2, v7
	s_and_b32 s1, vcc_lo, s0
	s_delay_alu instid0(SALU_CYCLE_1)
	s_and_saveexec_b32 s0, s1
	s_cbranch_execz .LBB996_11
; %bb.10:
	v_ashrrev_i32_e32 v3, 31, v2
	s_delay_alu instid0(VALU_DEP_1) | instskip(NEXT) | instid1(VALU_DEP_1)
	v_lshlrev_b64 v[10:11], 2, v[2:3]
	v_add_co_u32 v10, vcc_lo, v5, v10
	s_delay_alu instid0(VALU_DEP_2) | instskip(SKIP_3) | instid1(VALU_DEP_1)
	v_add_co_ci_u32_e32 v11, vcc_lo, v9, v11, vcc_lo
	global_load_b32 v1, v[10:11], off
	s_waitcnt vmcnt(0)
	v_mul_f32_e32 v1, s3, v1
	v_fmac_f32_e32 v1, s2, v8
	global_store_b32 v[10:11], v1, off
.LBB996_11:
	s_or_b32 exec_lo, exec_lo, s0
	v_add_nc_u32_e32 v3, 16, v7
	s_delay_alu instid0(VALU_DEP_1) | instskip(SKIP_3) | instid1(VALU_DEP_4)
	v_ashrrev_i32_e32 v1, 31, v3
	v_mul_lo_u32 v5, v3, s7
	v_mad_u64_u32 v[7:8], null, v3, s6, 0
	v_cmp_gt_i32_e32 vcc_lo, s12, v3
	v_mul_lo_u32 v1, v1, s6
	v_cmp_le_i32_e64 s0, v0, v3
	s_delay_alu instid0(VALU_DEP_1) | instskip(NEXT) | instid1(VALU_DEP_2)
	s_and_b32 s0, vcc_lo, s0
	v_add3_u32 v8, v8, v5, v1
	s_delay_alu instid0(VALU_DEP_1) | instskip(NEXT) | instid1(VALU_DEP_1)
	v_lshlrev_b64 v[7:8], 2, v[7:8]
	v_add_co_u32 v5, s1, s4, v7
	s_delay_alu instid0(VALU_DEP_1)
	v_add_co_ci_u32_e64 v7, s1, s5, v8, s1
	s_and_saveexec_b32 s1, s0
	s_cbranch_execz .LBB996_13
; %bb.12:
	v_ashrrev_i32_e32 v1, 31, v0
	s_delay_alu instid0(VALU_DEP_1) | instskip(NEXT) | instid1(VALU_DEP_1)
	v_lshlrev_b64 v[0:1], 2, v[0:1]
	v_add_co_u32 v0, s0, v5, v0
	s_delay_alu instid0(VALU_DEP_1) | instskip(SKIP_3) | instid1(VALU_DEP_1)
	v_add_co_ci_u32_e64 v1, s0, v7, v1, s0
	global_load_b32 v8, v[0:1], off
	s_waitcnt vmcnt(0)
	v_mul_f32_e32 v8, s3, v8
	v_fmac_f32_e32 v8, s2, v6
	global_store_b32 v[0:1], v8, off
.LBB996_13:
	s_or_b32 exec_lo, exec_lo, s1
	v_cmp_le_i32_e64 s0, v2, v3
	s_delay_alu instid0(VALU_DEP_1) | instskip(NEXT) | instid1(SALU_CYCLE_1)
	s_and_b32 s0, vcc_lo, s0
	s_and_saveexec_b32 s1, s0
	s_cbranch_execz .LBB996_15
; %bb.14:
	v_ashrrev_i32_e32 v3, 31, v2
	s_delay_alu instid0(VALU_DEP_1) | instskip(NEXT) | instid1(VALU_DEP_1)
	v_lshlrev_b64 v[0:1], 2, v[2:3]
	v_add_co_u32 v0, vcc_lo, v5, v0
	s_delay_alu instid0(VALU_DEP_2) | instskip(SKIP_3) | instid1(VALU_DEP_1)
	v_add_co_ci_u32_e32 v1, vcc_lo, v7, v1, vcc_lo
	global_load_b32 v2, v[0:1], off
	s_waitcnt vmcnt(0)
	v_mul_f32_e32 v2, s3, v2
	v_fmac_f32_e32 v2, s2, v4
	global_store_b32 v[0:1], v2, off
.LBB996_15:
	s_nop 0
	s_sendmsg sendmsg(MSG_DEALLOC_VGPRS)
	s_endpgm
	.section	.rodata,"a",@progbits
	.p2align	6, 0x0
	.amdhsa_kernel _ZL34rocblas_syrkx_herkx_general_kernelIlfLi16ELi32ELi8ELb0ELb0ELc67ELc85EKffEviT_T0_PT8_S1_lS4_S1_lS2_PT9_S1_li
		.amdhsa_group_segment_fixed_size 2048
		.amdhsa_private_segment_fixed_size 0
		.amdhsa_kernarg_size 108
		.amdhsa_user_sgpr_count 13
		.amdhsa_user_sgpr_dispatch_ptr 0
		.amdhsa_user_sgpr_queue_ptr 0
		.amdhsa_user_sgpr_kernarg_segment_ptr 1
		.amdhsa_user_sgpr_dispatch_id 0
		.amdhsa_user_sgpr_private_segment_size 0
		.amdhsa_wavefront_size32 1
		.amdhsa_uses_dynamic_stack 0
		.amdhsa_enable_private_segment 0
		.amdhsa_system_sgpr_workgroup_id_x 1
		.amdhsa_system_sgpr_workgroup_id_y 1
		.amdhsa_system_sgpr_workgroup_id_z 1
		.amdhsa_system_sgpr_workgroup_info 0
		.amdhsa_system_vgpr_workitem_id 1
		.amdhsa_next_free_vgpr 44
		.amdhsa_next_free_sgpr 22
		.amdhsa_reserve_vcc 1
		.amdhsa_float_round_mode_32 0
		.amdhsa_float_round_mode_16_64 0
		.amdhsa_float_denorm_mode_32 3
		.amdhsa_float_denorm_mode_16_64 3
		.amdhsa_dx10_clamp 1
		.amdhsa_ieee_mode 1
		.amdhsa_fp16_overflow 0
		.amdhsa_workgroup_processor_mode 1
		.amdhsa_memory_ordered 1
		.amdhsa_forward_progress 0
		.amdhsa_shared_vgpr_count 0
		.amdhsa_exception_fp_ieee_invalid_op 0
		.amdhsa_exception_fp_denorm_src 0
		.amdhsa_exception_fp_ieee_div_zero 0
		.amdhsa_exception_fp_ieee_overflow 0
		.amdhsa_exception_fp_ieee_underflow 0
		.amdhsa_exception_fp_ieee_inexact 0
		.amdhsa_exception_int_div_zero 0
	.end_amdhsa_kernel
	.section	.text._ZL34rocblas_syrkx_herkx_general_kernelIlfLi16ELi32ELi8ELb0ELb0ELc67ELc85EKffEviT_T0_PT8_S1_lS4_S1_lS2_PT9_S1_li,"axG",@progbits,_ZL34rocblas_syrkx_herkx_general_kernelIlfLi16ELi32ELi8ELb0ELb0ELc67ELc85EKffEviT_T0_PT8_S1_lS4_S1_lS2_PT9_S1_li,comdat
.Lfunc_end996:
	.size	_ZL34rocblas_syrkx_herkx_general_kernelIlfLi16ELi32ELi8ELb0ELb0ELc67ELc85EKffEviT_T0_PT8_S1_lS4_S1_lS2_PT9_S1_li, .Lfunc_end996-_ZL34rocblas_syrkx_herkx_general_kernelIlfLi16ELi32ELi8ELb0ELb0ELc67ELc85EKffEviT_T0_PT8_S1_lS4_S1_lS2_PT9_S1_li
                                        ; -- End function
	.section	.AMDGPU.csdata,"",@progbits
; Kernel info:
; codeLenInByte = 1544
; NumSgprs: 24
; NumVgprs: 44
; ScratchSize: 0
; MemoryBound: 0
; FloatMode: 240
; IeeeMode: 1
; LDSByteSize: 2048 bytes/workgroup (compile time only)
; SGPRBlocks: 2
; VGPRBlocks: 5
; NumSGPRsForWavesPerEU: 24
; NumVGPRsForWavesPerEU: 44
; Occupancy: 16
; WaveLimiterHint : 0
; COMPUTE_PGM_RSRC2:SCRATCH_EN: 0
; COMPUTE_PGM_RSRC2:USER_SGPR: 13
; COMPUTE_PGM_RSRC2:TRAP_HANDLER: 0
; COMPUTE_PGM_RSRC2:TGID_X_EN: 1
; COMPUTE_PGM_RSRC2:TGID_Y_EN: 1
; COMPUTE_PGM_RSRC2:TGID_Z_EN: 1
; COMPUTE_PGM_RSRC2:TIDIG_COMP_CNT: 1
	.section	.text._ZL34rocblas_syrkx_herkx_general_kernelIlfLi16ELi32ELi8ELb0ELb0ELc78ELc85EKffEviT_T0_PT8_S1_lS4_S1_lS2_PT9_S1_li,"axG",@progbits,_ZL34rocblas_syrkx_herkx_general_kernelIlfLi16ELi32ELi8ELb0ELb0ELc78ELc85EKffEviT_T0_PT8_S1_lS4_S1_lS2_PT9_S1_li,comdat
	.globl	_ZL34rocblas_syrkx_herkx_general_kernelIlfLi16ELi32ELi8ELb0ELb0ELc78ELc85EKffEviT_T0_PT8_S1_lS4_S1_lS2_PT9_S1_li ; -- Begin function _ZL34rocblas_syrkx_herkx_general_kernelIlfLi16ELi32ELi8ELb0ELb0ELc78ELc85EKffEviT_T0_PT8_S1_lS4_S1_lS2_PT9_S1_li
	.p2align	8
	.type	_ZL34rocblas_syrkx_herkx_general_kernelIlfLi16ELi32ELi8ELb0ELb0ELc78ELc85EKffEviT_T0_PT8_S1_lS4_S1_lS2_PT9_S1_li,@function
_ZL34rocblas_syrkx_herkx_general_kernelIlfLi16ELi32ELi8ELb0ELb0ELc78ELc85EKffEviT_T0_PT8_S1_lS4_S1_lS2_PT9_S1_li: ; @_ZL34rocblas_syrkx_herkx_general_kernelIlfLi16ELi32ELi8ELb0ELb0ELc78ELc85EKffEviT_T0_PT8_S1_lS4_S1_lS2_PT9_S1_li
; %bb.0:
	s_clause 0x1
	s_load_b64 s[20:21], s[0:1], 0x8
	s_load_b32 s12, s[0:1], 0x0
	v_dual_mov_b32 v13, 0 :: v_dual_mov_b32 v4, 0
	v_mov_b32_e32 v9, 0
	v_mov_b32_e32 v7, 0
	v_and_b32_e32 v5, 0x3ff, v0
	v_bfe_u32 v6, v0, 10, 10
	s_lshl_b32 s13, s13, 5
	s_lshl_b32 s14, s14, 5
	s_waitcnt lgkmcnt(0)
	v_cmp_lt_i64_e64 s2, s[20:21], 1
	s_delay_alu instid0(VALU_DEP_1)
	s_and_b32 vcc_lo, exec_lo, s2
	s_cbranch_vccnz .LBB997_7
; %bb.1:
	s_clause 0x1
	s_load_b256 s[4:11], s[0:1], 0x18
	s_load_b128 s[16:19], s[0:1], 0x38
	v_lshl_add_u32 v0, v6, 4, v5
	v_lshl_add_u32 v11, v6, 5, 0x400
	s_delay_alu instid0(VALU_DEP_2) | instskip(SKIP_2) | instid1(VALU_DEP_2)
	v_lshrrev_b32_e32 v12, 5, v0
	v_and_b32_e32 v2, 31, v0
	v_lshrrev_b32_e32 v1, 3, v0
	v_or_b32_e32 v7, s13, v2
	v_lshlrev_b32_e32 v9, 2, v2
	s_delay_alu instid0(VALU_DEP_2) | instskip(NEXT) | instid1(VALU_DEP_2)
	v_cmp_gt_i32_e64 s2, s12, v7
	v_lshl_or_b32 v14, v12, 7, v9
	s_waitcnt lgkmcnt(0)
	v_mad_u64_u32 v[16:17], null, s6, v12, 0
	v_and_b32_e32 v8, 7, v5
	s_mul_i32 s9, s9, s15
	s_mul_hi_u32 s22, s8, s15
	s_mul_i32 s8, s8, s15
	s_add_i32 s9, s22, s9
	s_mul_i32 s19, s19, s15
	s_delay_alu instid0(VALU_DEP_2)
	v_mov_b32_e32 v7, v17
	v_mad_u64_u32 v[18:19], null, s16, v8, 0
	v_lshlrev_b32_e32 v10, 2, v5
	v_dual_mov_b32 v4, 0 :: v_dual_lshlrev_b32 v3, 2, v8
	s_mul_hi_u32 s23, s18, s15
	s_lshl_b64 s[8:9], s[8:9], 2
	s_mul_i32 s18, s18, s15
	s_delay_alu instid0(VALU_DEP_3) | instskip(SKIP_2) | instid1(VALU_DEP_2)
	v_mov_b32_e32 v9, v19
	v_mad_u64_u32 v[19:20], null, s7, v12, v[7:8]
	s_add_i32 s19, s23, s19
	v_mad_u64_u32 v[20:21], null, s17, v8, v[9:10]
	v_add_nc_u32_e32 v0, s14, v1
	v_lshl_or_b32 v1, v1, 5, v3
	s_delay_alu instid0(VALU_DEP_4) | instskip(SKIP_1) | instid1(VALU_DEP_4)
	v_dual_mov_b32 v17, v19 :: v_dual_add_nc_u32 v2, s13, v2
	s_lshl_b64 s[18:19], s[18:19], 2
	v_mov_b32_e32 v19, v20
	s_delay_alu instid0(VALU_DEP_2) | instskip(NEXT) | instid1(VALU_DEP_3)
	v_lshlrev_b64 v[16:17], 2, v[16:17]
	v_ashrrev_i32_e32 v3, 31, v2
	v_add_nc_u32_e32 v15, 0x400, v1
	v_ashrrev_i32_e32 v1, 31, v0
	v_lshlrev_b64 v[18:19], 2, v[18:19]
	v_cmp_gt_i32_e64 s3, s12, v0
	v_lshlrev_b64 v[2:3], 2, v[2:3]
	v_add_co_u32 v7, vcc_lo, v16, s8
	v_add_co_ci_u32_e32 v9, vcc_lo, s9, v17, vcc_lo
	v_lshlrev_b64 v[0:1], 2, v[0:1]
	v_add_co_u32 v13, vcc_lo, s18, v18
	v_add_co_ci_u32_e32 v16, vcc_lo, s19, v19, vcc_lo
	v_add_co_u32 v2, vcc_lo, v7, v2
	v_add_co_ci_u32_e32 v3, vcc_lo, v9, v3, vcc_lo
	s_delay_alu instid0(VALU_DEP_4) | instskip(NEXT) | instid1(VALU_DEP_4)
	v_add_co_u32 v7, vcc_lo, v13, v0
	v_add_co_ci_u32_e32 v9, vcc_lo, v16, v1, vcc_lo
	s_delay_alu instid0(VALU_DEP_4) | instskip(NEXT) | instid1(VALU_DEP_4)
	v_add_co_u32 v0, vcc_lo, s4, v2
	v_add_co_ci_u32_e32 v1, vcc_lo, s5, v3, vcc_lo
	s_delay_alu instid0(VALU_DEP_4)
	v_add_co_u32 v2, vcc_lo, s10, v7
	v_mov_b32_e32 v7, 0
	v_add_co_ci_u32_e32 v3, vcc_lo, s11, v9, vcc_lo
	v_mov_b32_e32 v9, 0
	v_mov_b32_e32 v13, 0
	s_lshl_b64 s[4:5], s[6:7], 5
	s_lshl_b64 s[6:7], s[16:17], 5
	s_mov_b64 s[8:9], 0
	s_branch .LBB997_3
.LBB997_2:                              ;   in Loop: Header=BB997_3 Depth=1
	s_or_b32 exec_lo, exec_lo, s10
	s_waitcnt vmcnt(0)
	ds_store_b32 v15, v17
	s_waitcnt lgkmcnt(0)
	s_barrier
	buffer_gl0_inv
	ds_load_2addr_b32 v[32:33], v10 offset1:16
	ds_load_b128 v[16:19], v11
	ds_load_b128 v[20:23], v11 offset:512
	ds_load_2addr_b32 v[34:35], v10 offset0:32 offset1:48
	ds_load_2addr_b32 v[36:37], v10 offset0:64 offset1:80
	;; [unrolled: 1-line block ×3, first 2 shown]
	ds_load_b128 v[24:27], v11 offset:16
	ds_load_2addr_b32 v[40:41], v10 offset0:128 offset1:144
	ds_load_b128 v[28:31], v11 offset:528
	ds_load_2addr_b32 v[42:43], v10 offset0:160 offset1:176
	s_add_u32 s8, s8, 8
	s_addc_u32 s9, s9, 0
	v_add_co_u32 v0, vcc_lo, v0, s4
	v_cmp_ge_i64_e64 s10, s[8:9], s[20:21]
	v_add_co_ci_u32_e32 v1, vcc_lo, s5, v1, vcc_lo
	v_add_co_u32 v2, vcc_lo, v2, s6
	v_add_co_ci_u32_e32 v3, vcc_lo, s7, v3, vcc_lo
	s_delay_alu instid0(VALU_DEP_4) | instskip(SKIP_3) | instid1(VALU_DEP_1)
	s_and_b32 vcc_lo, exec_lo, s10
	s_waitcnt lgkmcnt(7)
	v_fmac_f32_e32 v4, v33, v20
	s_waitcnt lgkmcnt(6)
	v_dual_fmac_f32 v13, v32, v16 :: v_dual_fmac_f32 v4, v35, v21
	v_fmac_f32_e32 v7, v32, v20
	s_waitcnt lgkmcnt(5)
	s_delay_alu instid0(VALU_DEP_2)
	v_dual_fmac_f32 v13, v34, v17 :: v_dual_fmac_f32 v4, v37, v22
	v_fmac_f32_e32 v9, v33, v16
	ds_load_2addr_b32 v[32:33], v10 offset0:192 offset1:208
	s_waitcnt lgkmcnt(5)
	v_fmac_f32_e32 v4, v39, v23
	v_fmac_f32_e32 v9, v35, v17
	ds_load_2addr_b32 v[16:17], v10 offset0:224 offset1:240
	s_waitcnt lgkmcnt(0)
	s_barrier
	v_dual_fmac_f32 v4, v41, v28 :: v_dual_fmac_f32 v13, v36, v18
	v_fmac_f32_e32 v9, v37, v18
	buffer_gl0_inv
	v_fmac_f32_e32 v4, v43, v29
	v_fmac_f32_e32 v7, v34, v21
	;; [unrolled: 1-line block ×3, first 2 shown]
	s_delay_alu instid0(VALU_DEP_3) | instskip(NEXT) | instid1(VALU_DEP_3)
	v_dual_fmac_f32 v9, v39, v19 :: v_dual_fmac_f32 v4, v33, v30
	v_fmac_f32_e32 v7, v36, v22
	s_delay_alu instid0(VALU_DEP_3) | instskip(NEXT) | instid1(VALU_DEP_3)
	v_fmac_f32_e32 v13, v40, v24
	v_fmac_f32_e32 v9, v41, v24
	s_delay_alu instid0(VALU_DEP_4) | instskip(NEXT) | instid1(VALU_DEP_4)
	v_fmac_f32_e32 v4, v17, v31
	v_fmac_f32_e32 v7, v38, v23
	s_delay_alu instid0(VALU_DEP_4) | instskip(NEXT) | instid1(VALU_DEP_4)
	v_fmac_f32_e32 v13, v42, v25
	v_fmac_f32_e32 v9, v43, v25
	s_delay_alu instid0(VALU_DEP_3) | instskip(NEXT) | instid1(VALU_DEP_3)
	v_fmac_f32_e32 v7, v40, v28
	v_fmac_f32_e32 v13, v32, v26
	s_delay_alu instid0(VALU_DEP_3) | instskip(NEXT) | instid1(VALU_DEP_3)
	;; [unrolled: 3-line block ×3, first 2 shown]
	v_fmac_f32_e32 v13, v16, v27
	v_fmac_f32_e32 v9, v17, v27
	s_delay_alu instid0(VALU_DEP_3) | instskip(NEXT) | instid1(VALU_DEP_1)
	v_fmac_f32_e32 v7, v32, v30
	v_fmac_f32_e32 v7, v16, v31
	s_cbranch_vccnz .LBB997_7
.LBB997_3:                              ; =>This Inner Loop Header: Depth=1
	v_add_co_u32 v16, s10, v12, s8
	s_delay_alu instid0(VALU_DEP_1) | instskip(NEXT) | instid1(VALU_DEP_1)
	v_add_co_ci_u32_e64 v17, null, 0, s9, s10
	v_cmp_gt_i64_e32 vcc_lo, s[20:21], v[16:17]
	v_mov_b32_e32 v16, 0
	s_and_b32 s11, s2, vcc_lo
	s_delay_alu instid0(SALU_CYCLE_1)
	s_and_saveexec_b32 s10, s11
	s_cbranch_execz .LBB997_5
; %bb.4:                                ;   in Loop: Header=BB997_3 Depth=1
	global_load_b32 v16, v[0:1], off
.LBB997_5:                              ;   in Loop: Header=BB997_3 Depth=1
	s_or_b32 exec_lo, exec_lo, s10
	v_add_co_u32 v17, s10, v8, s8
	s_delay_alu instid0(VALU_DEP_1)
	v_add_co_ci_u32_e64 v18, null, 0, s9, s10
	s_waitcnt vmcnt(0)
	ds_store_b32 v14, v16
	v_cmp_gt_i64_e32 vcc_lo, s[20:21], v[17:18]
	v_mov_b32_e32 v17, 0
	s_and_b32 s11, vcc_lo, s3
	s_delay_alu instid0(SALU_CYCLE_1)
	s_and_saveexec_b32 s10, s11
	s_cbranch_execz .LBB997_2
; %bb.6:                                ;   in Loop: Header=BB997_3 Depth=1
	global_load_b32 v17, v[2:3], off
	s_branch .LBB997_2
.LBB997_7:
	s_clause 0x1
	s_load_b128 s[4:7], s[0:1], 0x50
	s_load_b64 s[8:9], s[0:1], 0x60
	v_add_nc_u32_e32 v6, s14, v6
	s_clause 0x1
	s_load_b32 s2, s[0:1], 0x10
	s_load_b32 s3, s[0:1], 0x48
	s_delay_alu instid0(VALU_DEP_1) | instskip(SKIP_2) | instid1(VALU_DEP_2)
	v_ashrrev_i32_e32 v0, 31, v6
	v_cmp_gt_i32_e32 vcc_lo, s12, v6
	s_waitcnt lgkmcnt(0)
	v_mul_lo_u32 v3, v0, s6
	v_mul_lo_u32 v8, v6, s7
	v_mad_u64_u32 v[1:2], null, v6, s6, 0
	s_mul_i32 s1, s15, s9
	s_mul_hi_u32 s9, s15, s8
	s_mul_i32 s0, s15, s8
	s_add_i32 s1, s9, s1
	v_add_nc_u32_e32 v0, s13, v5
	s_lshl_b64 s[8:9], s[0:1], 2
	s_delay_alu instid0(VALU_DEP_2) | instskip(SKIP_3) | instid1(VALU_DEP_2)
	v_add3_u32 v2, v2, v8, v3
	s_add_u32 s4, s4, s8
	s_addc_u32 s5, s5, s9
	v_cmp_le_i32_e64 s0, v0, v6
	v_lshlrev_b64 v[1:2], 2, v[1:2]
	s_delay_alu instid0(VALU_DEP_2) | instskip(NEXT) | instid1(VALU_DEP_1)
	s_and_b32 s0, vcc_lo, s0
	v_add_co_u32 v5, s1, s4, v1
	s_delay_alu instid0(VALU_DEP_1)
	v_add_co_ci_u32_e64 v8, s1, s5, v2, s1
	s_and_saveexec_b32 s1, s0
	s_cbranch_execz .LBB997_9
; %bb.8:
	v_ashrrev_i32_e32 v1, 31, v0
	s_delay_alu instid0(VALU_DEP_1) | instskip(NEXT) | instid1(VALU_DEP_1)
	v_lshlrev_b64 v[1:2], 2, v[0:1]
	v_add_co_u32 v1, s0, v5, v1
	s_delay_alu instid0(VALU_DEP_1) | instskip(SKIP_3) | instid1(VALU_DEP_1)
	v_add_co_ci_u32_e64 v2, s0, v8, v2, s0
	global_load_b32 v3, v[1:2], off
	s_waitcnt vmcnt(0)
	v_mul_f32_e32 v3, s3, v3
	v_fmac_f32_e32 v3, s2, v13
	global_store_b32 v[1:2], v3, off
.LBB997_9:
	s_or_b32 exec_lo, exec_lo, s1
	v_add_nc_u32_e32 v2, 16, v0
	s_delay_alu instid0(VALU_DEP_1) | instskip(NEXT) | instid1(VALU_DEP_1)
	v_cmp_le_i32_e64 s0, v2, v6
	s_and_b32 s1, vcc_lo, s0
	s_delay_alu instid0(SALU_CYCLE_1)
	s_and_saveexec_b32 s0, s1
	s_cbranch_execz .LBB997_11
; %bb.10:
	v_ashrrev_i32_e32 v3, 31, v2
	s_delay_alu instid0(VALU_DEP_1) | instskip(NEXT) | instid1(VALU_DEP_1)
	v_lshlrev_b64 v[10:11], 2, v[2:3]
	v_add_co_u32 v10, vcc_lo, v5, v10
	s_delay_alu instid0(VALU_DEP_2) | instskip(SKIP_3) | instid1(VALU_DEP_1)
	v_add_co_ci_u32_e32 v11, vcc_lo, v8, v11, vcc_lo
	global_load_b32 v1, v[10:11], off
	s_waitcnt vmcnt(0)
	v_mul_f32_e32 v1, s3, v1
	v_fmac_f32_e32 v1, s2, v9
	global_store_b32 v[10:11], v1, off
.LBB997_11:
	s_or_b32 exec_lo, exec_lo, s0
	v_add_nc_u32_e32 v3, 16, v6
	s_delay_alu instid0(VALU_DEP_1) | instskip(SKIP_3) | instid1(VALU_DEP_4)
	v_ashrrev_i32_e32 v1, 31, v3
	v_mul_lo_u32 v8, v3, s7
	v_mad_u64_u32 v[5:6], null, v3, s6, 0
	v_cmp_gt_i32_e32 vcc_lo, s12, v3
	v_mul_lo_u32 v1, v1, s6
	v_cmp_le_i32_e64 s0, v0, v3
	s_delay_alu instid0(VALU_DEP_1) | instskip(NEXT) | instid1(VALU_DEP_2)
	s_and_b32 s0, vcc_lo, s0
	v_add3_u32 v6, v6, v8, v1
	s_delay_alu instid0(VALU_DEP_1) | instskip(NEXT) | instid1(VALU_DEP_1)
	v_lshlrev_b64 v[5:6], 2, v[5:6]
	v_add_co_u32 v5, s1, s4, v5
	s_delay_alu instid0(VALU_DEP_1)
	v_add_co_ci_u32_e64 v6, s1, s5, v6, s1
	s_and_saveexec_b32 s1, s0
	s_cbranch_execz .LBB997_13
; %bb.12:
	v_ashrrev_i32_e32 v1, 31, v0
	s_delay_alu instid0(VALU_DEP_1) | instskip(NEXT) | instid1(VALU_DEP_1)
	v_lshlrev_b64 v[0:1], 2, v[0:1]
	v_add_co_u32 v0, s0, v5, v0
	s_delay_alu instid0(VALU_DEP_1) | instskip(SKIP_3) | instid1(VALU_DEP_1)
	v_add_co_ci_u32_e64 v1, s0, v6, v1, s0
	global_load_b32 v8, v[0:1], off
	s_waitcnt vmcnt(0)
	v_mul_f32_e32 v8, s3, v8
	v_fmac_f32_e32 v8, s2, v7
	global_store_b32 v[0:1], v8, off
.LBB997_13:
	s_or_b32 exec_lo, exec_lo, s1
	v_cmp_le_i32_e64 s0, v2, v3
	s_delay_alu instid0(VALU_DEP_1) | instskip(NEXT) | instid1(SALU_CYCLE_1)
	s_and_b32 s0, vcc_lo, s0
	s_and_saveexec_b32 s1, s0
	s_cbranch_execz .LBB997_15
; %bb.14:
	v_ashrrev_i32_e32 v3, 31, v2
	s_delay_alu instid0(VALU_DEP_1) | instskip(NEXT) | instid1(VALU_DEP_1)
	v_lshlrev_b64 v[0:1], 2, v[2:3]
	v_add_co_u32 v0, vcc_lo, v5, v0
	s_delay_alu instid0(VALU_DEP_2) | instskip(SKIP_3) | instid1(VALU_DEP_1)
	v_add_co_ci_u32_e32 v1, vcc_lo, v6, v1, vcc_lo
	global_load_b32 v2, v[0:1], off
	s_waitcnt vmcnt(0)
	v_mul_f32_e32 v2, s3, v2
	v_fmac_f32_e32 v2, s2, v4
	global_store_b32 v[0:1], v2, off
.LBB997_15:
	s_nop 0
	s_sendmsg sendmsg(MSG_DEALLOC_VGPRS)
	s_endpgm
	.section	.rodata,"a",@progbits
	.p2align	6, 0x0
	.amdhsa_kernel _ZL34rocblas_syrkx_herkx_general_kernelIlfLi16ELi32ELi8ELb0ELb0ELc78ELc85EKffEviT_T0_PT8_S1_lS4_S1_lS2_PT9_S1_li
		.amdhsa_group_segment_fixed_size 2048
		.amdhsa_private_segment_fixed_size 0
		.amdhsa_kernarg_size 108
		.amdhsa_user_sgpr_count 13
		.amdhsa_user_sgpr_dispatch_ptr 0
		.amdhsa_user_sgpr_queue_ptr 0
		.amdhsa_user_sgpr_kernarg_segment_ptr 1
		.amdhsa_user_sgpr_dispatch_id 0
		.amdhsa_user_sgpr_private_segment_size 0
		.amdhsa_wavefront_size32 1
		.amdhsa_uses_dynamic_stack 0
		.amdhsa_enable_private_segment 0
		.amdhsa_system_sgpr_workgroup_id_x 1
		.amdhsa_system_sgpr_workgroup_id_y 1
		.amdhsa_system_sgpr_workgroup_id_z 1
		.amdhsa_system_sgpr_workgroup_info 0
		.amdhsa_system_vgpr_workitem_id 1
		.amdhsa_next_free_vgpr 44
		.amdhsa_next_free_sgpr 24
		.amdhsa_reserve_vcc 1
		.amdhsa_float_round_mode_32 0
		.amdhsa_float_round_mode_16_64 0
		.amdhsa_float_denorm_mode_32 3
		.amdhsa_float_denorm_mode_16_64 3
		.amdhsa_dx10_clamp 1
		.amdhsa_ieee_mode 1
		.amdhsa_fp16_overflow 0
		.amdhsa_workgroup_processor_mode 1
		.amdhsa_memory_ordered 1
		.amdhsa_forward_progress 0
		.amdhsa_shared_vgpr_count 0
		.amdhsa_exception_fp_ieee_invalid_op 0
		.amdhsa_exception_fp_denorm_src 0
		.amdhsa_exception_fp_ieee_div_zero 0
		.amdhsa_exception_fp_ieee_overflow 0
		.amdhsa_exception_fp_ieee_underflow 0
		.amdhsa_exception_fp_ieee_inexact 0
		.amdhsa_exception_int_div_zero 0
	.end_amdhsa_kernel
	.section	.text._ZL34rocblas_syrkx_herkx_general_kernelIlfLi16ELi32ELi8ELb0ELb0ELc78ELc85EKffEviT_T0_PT8_S1_lS4_S1_lS2_PT9_S1_li,"axG",@progbits,_ZL34rocblas_syrkx_herkx_general_kernelIlfLi16ELi32ELi8ELb0ELb0ELc78ELc85EKffEviT_T0_PT8_S1_lS4_S1_lS2_PT9_S1_li,comdat
.Lfunc_end997:
	.size	_ZL34rocblas_syrkx_herkx_general_kernelIlfLi16ELi32ELi8ELb0ELb0ELc78ELc85EKffEviT_T0_PT8_S1_lS4_S1_lS2_PT9_S1_li, .Lfunc_end997-_ZL34rocblas_syrkx_herkx_general_kernelIlfLi16ELi32ELi8ELb0ELb0ELc78ELc85EKffEviT_T0_PT8_S1_lS4_S1_lS2_PT9_S1_li
                                        ; -- End function
	.section	.AMDGPU.csdata,"",@progbits
; Kernel info:
; codeLenInByte = 1588
; NumSgprs: 26
; NumVgprs: 44
; ScratchSize: 0
; MemoryBound: 0
; FloatMode: 240
; IeeeMode: 1
; LDSByteSize: 2048 bytes/workgroup (compile time only)
; SGPRBlocks: 3
; VGPRBlocks: 5
; NumSGPRsForWavesPerEU: 26
; NumVGPRsForWavesPerEU: 44
; Occupancy: 16
; WaveLimiterHint : 0
; COMPUTE_PGM_RSRC2:SCRATCH_EN: 0
; COMPUTE_PGM_RSRC2:USER_SGPR: 13
; COMPUTE_PGM_RSRC2:TRAP_HANDLER: 0
; COMPUTE_PGM_RSRC2:TGID_X_EN: 1
; COMPUTE_PGM_RSRC2:TGID_Y_EN: 1
; COMPUTE_PGM_RSRC2:TGID_Z_EN: 1
; COMPUTE_PGM_RSRC2:TIDIG_COMP_CNT: 1
	.section	.text._ZL26rocblas_syr2k_scale_kernelIlLi128ELi8ELb0EffPfEvbiT_T3_T4_T5_S1_li,"axG",@progbits,_ZL26rocblas_syr2k_scale_kernelIlLi128ELi8ELb0EffPfEvbiT_T3_T4_T5_S1_li,comdat
	.globl	_ZL26rocblas_syr2k_scale_kernelIlLi128ELi8ELb0EffPfEvbiT_T3_T4_T5_S1_li ; -- Begin function _ZL26rocblas_syr2k_scale_kernelIlLi128ELi8ELb0EffPfEvbiT_T3_T4_T5_S1_li
	.p2align	8
	.type	_ZL26rocblas_syr2k_scale_kernelIlLi128ELi8ELb0EffPfEvbiT_T3_T4_T5_S1_li,@function
_ZL26rocblas_syr2k_scale_kernelIlLi128ELi8ELb0EffPfEvbiT_T3_T4_T5_S1_li: ; @_ZL26rocblas_syr2k_scale_kernelIlLi128ELi8ELb0EffPfEvbiT_T3_T4_T5_S1_li
; %bb.0:
	s_load_b32 s3, s[0:1], 0x14
	s_waitcnt lgkmcnt(0)
	v_cmp_eq_f32_e64 s2, s3, 1.0
	s_delay_alu instid0(VALU_DEP_1)
	s_and_b32 vcc_lo, exec_lo, s2
	s_cbranch_vccnz .LBB998_5
; %bb.1:
	s_clause 0x1
	s_load_b64 s[4:5], s[0:1], 0x0
	s_load_b32 s2, s[0:1], 0x44
	v_and_b32_e32 v2, 0x3ff, v0
	v_bfe_u32 v3, v0, 10, 10
	s_waitcnt lgkmcnt(0)
	s_bitcmp1_b32 s4, 0
	s_cselect_b32 vcc_lo, -1, 0
	s_lshr_b32 s4, s2, 16
	s_and_b32 s2, s2, 0xffff
	s_delay_alu instid0(SALU_CYCLE_1) | instskip(SKIP_1) | instid1(VALU_DEP_1)
	v_mad_u64_u32 v[0:1], null, s13, s2, v[2:3]
	v_mad_u64_u32 v[1:2], null, s14, s4, v[3:4]
	v_cndmask_b32_e32 v2, v1, v0, vcc_lo
	v_max_u32_e32 v3, v0, v1
	v_cndmask_b32_e32 v4, v0, v1, vcc_lo
	s_delay_alu instid0(VALU_DEP_2) | instskip(NEXT) | instid1(VALU_DEP_2)
	v_cmp_gt_u32_e32 vcc_lo, s5, v3
	v_cmp_le_i32_e64 s2, v2, v4
	s_delay_alu instid0(VALU_DEP_1) | instskip(NEXT) | instid1(SALU_CYCLE_1)
	s_and_b32 s2, vcc_lo, s2
	s_and_saveexec_b32 s4, s2
	s_cbranch_execz .LBB998_5
; %bb.2:
	s_clause 0x1
	s_load_b128 s[4:7], s[0:1], 0x18
	s_load_b64 s[0:1], s[0:1], 0x28
	s_waitcnt lgkmcnt(0)
	v_mad_u64_u32 v[2:3], null, v1, s6, 0
	s_mul_i32 s1, s15, s1
	s_mul_hi_u32 s2, s15, s0
	s_mul_i32 s0, s15, s0
	s_add_i32 s1, s2, s1
	s_delay_alu instid0(SALU_CYCLE_1) | instskip(NEXT) | instid1(VALU_DEP_1)
	s_lshl_b64 s[0:1], s[0:1], 2
	v_mad_u64_u32 v[4:5], null, v1, s7, v[3:4]
	v_mov_b32_e32 v1, 0
	s_add_u32 s0, s4, s0
	s_addc_u32 s1, s5, s1
	s_delay_alu instid0(VALU_DEP_2) | instskip(NEXT) | instid1(VALU_DEP_2)
	v_mov_b32_e32 v3, v4
	v_lshlrev_b64 v[4:5], 2, v[0:1]
	s_delay_alu instid0(VALU_DEP_2) | instskip(NEXT) | instid1(VALU_DEP_1)
	v_lshlrev_b64 v[2:3], 2, v[2:3]
	v_add_co_u32 v0, vcc_lo, s0, v2
	s_delay_alu instid0(VALU_DEP_2) | instskip(SKIP_1) | instid1(VALU_DEP_3)
	v_add_co_ci_u32_e32 v3, vcc_lo, s1, v3, vcc_lo
	v_cmp_eq_f32_e64 s0, s3, 0
	v_add_co_u32 v2, vcc_lo, v0, v4
	s_delay_alu instid0(VALU_DEP_3) | instskip(NEXT) | instid1(VALU_DEP_3)
	v_add_co_ci_u32_e32 v3, vcc_lo, v3, v5, vcc_lo
	s_and_b32 vcc_lo, exec_lo, s0
	s_cbranch_vccnz .LBB998_4
; %bb.3:
	global_load_b32 v0, v[2:3], off
	s_waitcnt vmcnt(0)
	v_mul_f32_e32 v1, s3, v0
.LBB998_4:
	global_store_b32 v[2:3], v1, off
.LBB998_5:
	s_nop 0
	s_sendmsg sendmsg(MSG_DEALLOC_VGPRS)
	s_endpgm
	.section	.rodata,"a",@progbits
	.p2align	6, 0x0
	.amdhsa_kernel _ZL26rocblas_syr2k_scale_kernelIlLi128ELi8ELb0EffPfEvbiT_T3_T4_T5_S1_li
		.amdhsa_group_segment_fixed_size 0
		.amdhsa_private_segment_fixed_size 0
		.amdhsa_kernarg_size 312
		.amdhsa_user_sgpr_count 13
		.amdhsa_user_sgpr_dispatch_ptr 0
		.amdhsa_user_sgpr_queue_ptr 0
		.amdhsa_user_sgpr_kernarg_segment_ptr 1
		.amdhsa_user_sgpr_dispatch_id 0
		.amdhsa_user_sgpr_private_segment_size 0
		.amdhsa_wavefront_size32 1
		.amdhsa_uses_dynamic_stack 0
		.amdhsa_enable_private_segment 0
		.amdhsa_system_sgpr_workgroup_id_x 1
		.amdhsa_system_sgpr_workgroup_id_y 1
		.amdhsa_system_sgpr_workgroup_id_z 1
		.amdhsa_system_sgpr_workgroup_info 0
		.amdhsa_system_vgpr_workitem_id 1
		.amdhsa_next_free_vgpr 6
		.amdhsa_next_free_sgpr 16
		.amdhsa_reserve_vcc 1
		.amdhsa_float_round_mode_32 0
		.amdhsa_float_round_mode_16_64 0
		.amdhsa_float_denorm_mode_32 3
		.amdhsa_float_denorm_mode_16_64 3
		.amdhsa_dx10_clamp 1
		.amdhsa_ieee_mode 1
		.amdhsa_fp16_overflow 0
		.amdhsa_workgroup_processor_mode 1
		.amdhsa_memory_ordered 1
		.amdhsa_forward_progress 0
		.amdhsa_shared_vgpr_count 0
		.amdhsa_exception_fp_ieee_invalid_op 0
		.amdhsa_exception_fp_denorm_src 0
		.amdhsa_exception_fp_ieee_div_zero 0
		.amdhsa_exception_fp_ieee_overflow 0
		.amdhsa_exception_fp_ieee_underflow 0
		.amdhsa_exception_fp_ieee_inexact 0
		.amdhsa_exception_int_div_zero 0
	.end_amdhsa_kernel
	.section	.text._ZL26rocblas_syr2k_scale_kernelIlLi128ELi8ELb0EffPfEvbiT_T3_T4_T5_S1_li,"axG",@progbits,_ZL26rocblas_syr2k_scale_kernelIlLi128ELi8ELb0EffPfEvbiT_T3_T4_T5_S1_li,comdat
.Lfunc_end998:
	.size	_ZL26rocblas_syr2k_scale_kernelIlLi128ELi8ELb0EffPfEvbiT_T3_T4_T5_S1_li, .Lfunc_end998-_ZL26rocblas_syr2k_scale_kernelIlLi128ELi8ELb0EffPfEvbiT_T3_T4_T5_S1_li
                                        ; -- End function
	.section	.AMDGPU.csdata,"",@progbits
; Kernel info:
; codeLenInByte = 344
; NumSgprs: 18
; NumVgprs: 6
; ScratchSize: 0
; MemoryBound: 0
; FloatMode: 240
; IeeeMode: 1
; LDSByteSize: 0 bytes/workgroup (compile time only)
; SGPRBlocks: 2
; VGPRBlocks: 0
; NumSGPRsForWavesPerEU: 18
; NumVGPRsForWavesPerEU: 6
; Occupancy: 16
; WaveLimiterHint : 0
; COMPUTE_PGM_RSRC2:SCRATCH_EN: 0
; COMPUTE_PGM_RSRC2:USER_SGPR: 13
; COMPUTE_PGM_RSRC2:TRAP_HANDLER: 0
; COMPUTE_PGM_RSRC2:TGID_X_EN: 1
; COMPUTE_PGM_RSRC2:TGID_Y_EN: 1
; COMPUTE_PGM_RSRC2:TGID_Z_EN: 1
; COMPUTE_PGM_RSRC2:TIDIG_COMP_CNT: 1
	.section	.text._ZL26rocblas_syr2k_her2k_kernelIlLb0ELb0ELb0ELi32EPKfS1_PfEvbiT_T4_T5_S3_lS5_S3_lT6_S3_li,"axG",@progbits,_ZL26rocblas_syr2k_her2k_kernelIlLb0ELb0ELb0ELi32EPKfS1_PfEvbiT_T4_T5_S3_lS5_S3_lT6_S3_li,comdat
	.globl	_ZL26rocblas_syr2k_her2k_kernelIlLb0ELb0ELb0ELi32EPKfS1_PfEvbiT_T4_T5_S3_lS5_S3_lT6_S3_li ; -- Begin function _ZL26rocblas_syr2k_her2k_kernelIlLb0ELb0ELb0ELi32EPKfS1_PfEvbiT_T4_T5_S3_lS5_S3_lT6_S3_li
	.p2align	8
	.type	_ZL26rocblas_syr2k_her2k_kernelIlLb0ELb0ELb0ELi32EPKfS1_PfEvbiT_T4_T5_S3_lS5_S3_lT6_S3_li,@function
_ZL26rocblas_syr2k_her2k_kernelIlLb0ELb0ELb0ELi32EPKfS1_PfEvbiT_T4_T5_S3_lS5_S3_lT6_S3_li: ; @_ZL26rocblas_syr2k_her2k_kernelIlLb0ELb0ELb0ELi32EPKfS1_PfEvbiT_T4_T5_S3_lS5_S3_lT6_S3_li
; %bb.0:
	s_load_b512 s[16:31], s[0:1], 0x8
	s_waitcnt lgkmcnt(0)
	s_load_b32 s8, s[18:19], 0x0
	s_waitcnt lgkmcnt(0)
	v_cmp_eq_f32_e64 s2, s8, 0
	s_delay_alu instid0(VALU_DEP_1)
	s_and_b32 vcc_lo, exec_lo, s2
	s_cbranch_vccnz .LBB999_11
; %bb.1:
	s_load_b64 s[2:3], s[0:1], 0x0
	s_lshl_b32 s9, s14, 5
	s_lshl_b32 s10, s13, 5
	s_waitcnt lgkmcnt(0)
	s_and_b32 s2, 1, s2
	s_delay_alu instid0(SALU_CYCLE_1) | instskip(SKIP_1) | instid1(SALU_CYCLE_1)
	s_cmp_eq_u32 s2, 1
	s_cselect_b32 s2, -1, 0
	s_and_b32 s4, s2, exec_lo
	s_cselect_b32 s4, s10, s9
	s_cselect_b32 s5, s9, s10
	s_delay_alu instid0(SALU_CYCLE_1)
	s_cmp_gt_i32 s4, s5
	s_cbranch_scc1 .LBB999_11
; %bb.2:
	v_cmp_lt_i64_e64 s4, s[16:17], 1
	s_delay_alu instid0(VALU_DEP_1)
	s_and_b32 vcc_lo, exec_lo, s4
	s_cbranch_vccnz .LBB999_11
; %bb.3:
	s_clause 0x1
	s_load_b64 s[12:13], s[0:1], 0x58
	s_load_b128 s[4:7], s[0:1], 0x48
	v_bfe_u32 v6, v0, 10, 10
	v_and_b32_e32 v7, 0x3ff, v0
	s_delay_alu instid0(VALU_DEP_2) | instskip(NEXT) | instid1(VALU_DEP_1)
	v_dual_mov_b32 v3, 0 :: v_dual_add_nc_u32 v4, s9, v6
	v_dual_mov_b32 v5, v3 :: v_dual_add_nc_u32 v2, s10, v7
	v_mad_u64_u32 v[16:17], null, s22, v6, 0
	s_delay_alu instid0(VALU_DEP_3) | instskip(NEXT) | instid1(VALU_DEP_3)
	v_ashrrev_i32_e32 v1, 31, v4
	v_max_i32_e32 v0, v2, v4
	v_cndmask_b32_e64 v11, v2, v4, s2
	v_cndmask_b32_e64 v12, v4, v2, s2
	s_mov_b32 s10, s3
	s_delay_alu instid0(VALU_DEP_3)
	v_cmp_gt_i32_e32 vcc_lo, s3, v0
	s_waitcnt lgkmcnt(0)
	s_mul_i32 s1, s15, s13
	v_mul_lo_u32 v14, v1, s6
	v_mul_lo_u32 v15, v4, s7
	v_mad_u64_u32 v[0:1], null, v4, s6, 0
	s_mul_hi_u32 s2, s15, s12
	s_mul_i32 s0, s15, s12
	s_add_i32 s1, s2, s1
	v_cmp_le_i32_e64 s2, v12, v11
	s_lshl_b64 s[0:1], s[0:1], 2
	s_mov_b64 s[6:7], 0
	s_delay_alu instid0(VALU_DEP_2) | instskip(SKIP_3) | instid1(VALU_DEP_4)
	v_add3_u32 v1, v1, v15, v14
	v_mov_b32_e32 v14, v2
	v_mad_u64_u32 v[12:13], null, s28, v7, 0
	v_ashrrev_i32_e32 v15, 31, v2
	v_lshlrev_b64 v[0:1], 2, v[0:1]
	s_add_u32 s4, s4, s0
	s_addc_u32 s5, s5, s1
	s_and_b32 s9, s2, vcc_lo
	s_ashr_i32 s11, s3, 31
	s_delay_alu instid0(VALU_DEP_3)
	v_mad_u64_u32 v[18:19], null, s29, v7, v[13:14]
	v_lshlrev_b32_e32 v10, 2, v6
	v_add_co_u32 v19, vcc_lo, s4, v0
	v_add_co_ci_u32_e32 v20, vcc_lo, s5, v1, vcc_lo
	v_lshlrev_b64 v[0:1], 2, v[14:15]
	v_mov_b32_e32 v13, v18
	v_or_b32_e32 v9, 0x1000, v10
	v_mov_b32_e32 v14, v17
	s_mul_i32 s2, s31, s15
	s_mul_hi_u32 s3, s30, s15
	v_lshlrev_b64 v[12:13], 2, v[12:13]
	s_add_i32 s3, s3, s2
	v_mad_u64_u32 v[17:18], null, s23, v6, v[14:15]
	s_mul_i32 s2, s30, s15
	v_add_co_u32 v0, vcc_lo, v19, v0
	s_lshl_b64 s[2:3], s[2:3], 2
	v_add_co_ci_u32_e32 v1, vcc_lo, v20, v1, vcc_lo
	v_add_co_u32 v14, vcc_lo, s2, v12
	v_add_co_ci_u32_e32 v15, vcc_lo, s3, v13, vcc_lo
	s_mul_i32 s2, s25, s15
	s_mul_hi_u32 s3, s24, s15
	v_lshlrev_b64 v[12:13], 2, v[16:17]
	s_add_i32 s3, s3, s2
	s_mul_i32 s2, s24, s15
	v_cmp_gt_i64_e64 s1, s[10:11], v[4:5]
	v_lshlrev_b64 v[4:5], 2, v[4:5]
	s_lshl_b64 s[2:3], s[2:3], 2
	v_cmp_gt_i64_e64 s0, s[10:11], v[2:3]
	v_add_co_u32 v12, vcc_lo, s2, v12
	v_lshlrev_b64 v[2:3], 2, v[2:3]
	v_add_co_ci_u32_e32 v13, vcc_lo, s3, v13, vcc_lo
	v_add_co_u32 v4, vcc_lo, v14, v4
	v_add_co_ci_u32_e32 v5, vcc_lo, v15, v5, vcc_lo
	s_delay_alu instid0(VALU_DEP_4) | instskip(NEXT) | instid1(VALU_DEP_4)
	v_add_co_u32 v12, vcc_lo, v12, v2
	v_add_co_ci_u32_e32 v13, vcc_lo, v13, v3, vcc_lo
	v_lshlrev_b32_e32 v8, 7, v7
	v_add_co_u32 v2, vcc_lo, s26, v4
	v_add_co_ci_u32_e32 v3, vcc_lo, s27, v5, vcc_lo
	v_add_co_u32 v4, vcc_lo, s20, v12
	s_delay_alu instid0(VALU_DEP_4)
	v_add_nc_u32_e32 v10, v8, v10
	v_add_nc_u32_e32 v11, v9, v8
	v_add_co_ci_u32_e32 v5, vcc_lo, s21, v13, vcc_lo
	v_add_nc_u32_e32 v13, 0x800, v9
	v_add_nc_u32_e32 v12, 0x400, v9
	;; [unrolled: 1-line block ×3, first 2 shown]
	s_lshl_b64 s[2:3], s[28:29], 7
	s_lshl_b64 s[4:5], s[22:23], 7
	s_branch .LBB999_5
.LBB999_4:                              ;   in Loop: Header=BB999_5 Depth=1
	s_or_b32 exec_lo, exec_lo, s10
	s_add_u32 s6, s6, 32
	s_addc_u32 s7, s7, 0
	v_add_co_u32 v2, vcc_lo, v2, s2
	v_cmp_lt_i64_e64 s10, s[6:7], s[16:17]
	v_add_co_ci_u32_e32 v3, vcc_lo, s3, v3, vcc_lo
	v_add_co_u32 v4, vcc_lo, v4, s4
	v_add_co_ci_u32_e32 v5, vcc_lo, s5, v5, vcc_lo
	s_delay_alu instid0(VALU_DEP_4)
	s_and_b32 vcc_lo, exec_lo, s10
	s_waitcnt_vscnt null, 0x0
	s_barrier
	buffer_gl0_inv
	s_cbranch_vccz .LBB999_11
.LBB999_5:                              ; =>This Inner Loop Header: Depth=1
	v_add_co_u32 v15, s10, v6, s6
	s_delay_alu instid0(VALU_DEP_1) | instskip(NEXT) | instid1(VALU_DEP_1)
	v_add_co_ci_u32_e64 v16, null, 0, s7, s10
	v_cmp_gt_i64_e32 vcc_lo, s[16:17], v[15:16]
	v_mov_b32_e32 v15, 0
	s_and_b32 s11, s0, vcc_lo
	s_delay_alu instid0(SALU_CYCLE_1)
	s_and_saveexec_b32 s10, s11
	s_cbranch_execz .LBB999_7
; %bb.6:                                ;   in Loop: Header=BB999_5 Depth=1
	global_load_b32 v15, v[4:5], off
.LBB999_7:                              ;   in Loop: Header=BB999_5 Depth=1
	s_or_b32 exec_lo, exec_lo, s10
	v_add_co_u32 v16, s10, v7, s6
	s_delay_alu instid0(VALU_DEP_1)
	v_add_co_ci_u32_e64 v17, null, 0, s7, s10
	s_waitcnt vmcnt(0)
	ds_store_b32 v10, v15
	v_cmp_gt_i64_e32 vcc_lo, s[16:17], v[16:17]
	v_mov_b32_e32 v16, 0
	s_and_b32 s11, s1, vcc_lo
	s_delay_alu instid0(SALU_CYCLE_1)
	s_and_saveexec_b32 s10, s11
	s_cbranch_execz .LBB999_9
; %bb.8:                                ;   in Loop: Header=BB999_5 Depth=1
	global_load_b32 v16, v[2:3], off
.LBB999_9:                              ;   in Loop: Header=BB999_5 Depth=1
	s_or_b32 exec_lo, exec_lo, s10
	s_waitcnt vmcnt(0)
	ds_store_b32 v11, v16
	s_waitcnt lgkmcnt(0)
	s_barrier
	buffer_gl0_inv
	s_and_saveexec_b32 s10, s9
	s_cbranch_execz .LBB999_4
; %bb.10:                               ;   in Loop: Header=BB999_5 Depth=1
	global_load_b32 v29, v[0:1], off
	ds_load_2addr_b32 v[23:24], v9 offset1:32
	ds_load_b128 v[15:18], v8
	ds_load_2addr_b32 v[25:26], v9 offset0:64 offset1:96
	ds_load_b128 v[19:22], v8 offset:16
	ds_load_2addr_b32 v[27:28], v9 offset0:128 offset1:160
	s_waitcnt lgkmcnt(3)
	v_fma_f32 v30, v15, v23, 0
	s_delay_alu instid0(VALU_DEP_1) | instskip(SKIP_3) | instid1(VALU_DEP_1)
	v_fmac_f32_e32 v30, v16, v24
	ds_load_2addr_b32 v[23:24], v9 offset0:192 offset1:224
	s_waitcnt lgkmcnt(3)
	v_fmac_f32_e32 v30, v17, v25
	v_fmac_f32_e32 v30, v18, v26
	ds_load_2addr_b32 v[25:26], v12 offset1:32
	ds_load_b128 v[15:18], v8 offset:32
	s_waitcnt lgkmcnt(3)
	v_fmac_f32_e32 v30, v19, v27
	s_delay_alu instid0(VALU_DEP_1) | instskip(SKIP_3) | instid1(VALU_DEP_1)
	v_fmac_f32_e32 v30, v20, v28
	ds_load_2addr_b32 v[27:28], v12 offset0:64 offset1:96
	s_waitcnt lgkmcnt(3)
	v_fmac_f32_e32 v30, v21, v23
	v_fmac_f32_e32 v30, v22, v24
	ds_load_b128 v[19:22], v8 offset:48
	ds_load_2addr_b32 v[23:24], v12 offset0:128 offset1:160
	s_waitcnt lgkmcnt(3)
	v_fmac_f32_e32 v30, v15, v25
	s_delay_alu instid0(VALU_DEP_1) | instskip(SKIP_3) | instid1(VALU_DEP_1)
	v_fmac_f32_e32 v30, v16, v26
	ds_load_2addr_b32 v[25:26], v12 offset0:192 offset1:224
	s_waitcnt lgkmcnt(3)
	v_fmac_f32_e32 v30, v17, v27
	v_fmac_f32_e32 v30, v18, v28
	ds_load_2addr_b32 v[27:28], v13 offset1:32
	ds_load_b128 v[15:18], v8 offset:64
	s_waitcnt lgkmcnt(3)
	v_fmac_f32_e32 v30, v19, v23
	s_delay_alu instid0(VALU_DEP_1) | instskip(SKIP_3) | instid1(VALU_DEP_1)
	v_fmac_f32_e32 v30, v20, v24
	ds_load_2addr_b32 v[23:24], v13 offset0:64 offset1:96
	s_waitcnt lgkmcnt(3)
	v_fmac_f32_e32 v30, v21, v25
	v_fmac_f32_e32 v30, v22, v26
	ds_load_b128 v[19:22], v8 offset:80
	ds_load_2addr_b32 v[25:26], v13 offset0:128 offset1:160
	s_waitcnt lgkmcnt(3)
	v_fmac_f32_e32 v30, v15, v27
	;; [unrolled: 20-line block ×3, first 2 shown]
	s_delay_alu instid0(VALU_DEP_1) | instskip(SKIP_3) | instid1(VALU_DEP_1)
	v_fmac_f32_e32 v30, v16, v24
	ds_load_2addr_b32 v[15:16], v14 offset0:192 offset1:224
	s_waitcnt lgkmcnt(3)
	v_fmac_f32_e32 v30, v17, v25
	v_fmac_f32_e32 v30, v18, v26
	s_waitcnt lgkmcnt(1)
	s_delay_alu instid0(VALU_DEP_1) | instskip(NEXT) | instid1(VALU_DEP_1)
	v_fmac_f32_e32 v30, v19, v27
	v_fmac_f32_e32 v30, v20, v28
	s_waitcnt lgkmcnt(0)
	s_delay_alu instid0(VALU_DEP_1) | instskip(NEXT) | instid1(VALU_DEP_1)
	v_fmac_f32_e32 v30, v21, v15
	v_fmac_f32_e32 v30, v22, v16
	s_waitcnt vmcnt(0)
	s_delay_alu instid0(VALU_DEP_1)
	v_fmac_f32_e32 v29, s8, v30
	global_store_b32 v[0:1], v29, off
	s_branch .LBB999_4
.LBB999_11:
	s_endpgm
	.section	.rodata,"a",@progbits
	.p2align	6, 0x0
	.amdhsa_kernel _ZL26rocblas_syr2k_her2k_kernelIlLb0ELb0ELb0ELi32EPKfS1_PfEvbiT_T4_T5_S3_lS5_S3_lT6_S3_li
		.amdhsa_group_segment_fixed_size 8192
		.amdhsa_private_segment_fixed_size 0
		.amdhsa_kernarg_size 100
		.amdhsa_user_sgpr_count 13
		.amdhsa_user_sgpr_dispatch_ptr 0
		.amdhsa_user_sgpr_queue_ptr 0
		.amdhsa_user_sgpr_kernarg_segment_ptr 1
		.amdhsa_user_sgpr_dispatch_id 0
		.amdhsa_user_sgpr_private_segment_size 0
		.amdhsa_wavefront_size32 1
		.amdhsa_uses_dynamic_stack 0
		.amdhsa_enable_private_segment 0
		.amdhsa_system_sgpr_workgroup_id_x 1
		.amdhsa_system_sgpr_workgroup_id_y 1
		.amdhsa_system_sgpr_workgroup_id_z 1
		.amdhsa_system_sgpr_workgroup_info 0
		.amdhsa_system_vgpr_workitem_id 1
		.amdhsa_next_free_vgpr 31
		.amdhsa_next_free_sgpr 32
		.amdhsa_reserve_vcc 1
		.amdhsa_float_round_mode_32 0
		.amdhsa_float_round_mode_16_64 0
		.amdhsa_float_denorm_mode_32 3
		.amdhsa_float_denorm_mode_16_64 3
		.amdhsa_dx10_clamp 1
		.amdhsa_ieee_mode 1
		.amdhsa_fp16_overflow 0
		.amdhsa_workgroup_processor_mode 1
		.amdhsa_memory_ordered 1
		.amdhsa_forward_progress 0
		.amdhsa_shared_vgpr_count 0
		.amdhsa_exception_fp_ieee_invalid_op 0
		.amdhsa_exception_fp_denorm_src 0
		.amdhsa_exception_fp_ieee_div_zero 0
		.amdhsa_exception_fp_ieee_overflow 0
		.amdhsa_exception_fp_ieee_underflow 0
		.amdhsa_exception_fp_ieee_inexact 0
		.amdhsa_exception_int_div_zero 0
	.end_amdhsa_kernel
	.section	.text._ZL26rocblas_syr2k_her2k_kernelIlLb0ELb0ELb0ELi32EPKfS1_PfEvbiT_T4_T5_S3_lS5_S3_lT6_S3_li,"axG",@progbits,_ZL26rocblas_syr2k_her2k_kernelIlLb0ELb0ELb0ELi32EPKfS1_PfEvbiT_T4_T5_S3_lS5_S3_lT6_S3_li,comdat
.Lfunc_end999:
	.size	_ZL26rocblas_syr2k_her2k_kernelIlLb0ELb0ELb0ELi32EPKfS1_PfEvbiT_T4_T5_S3_lS5_S3_lT6_S3_li, .Lfunc_end999-_ZL26rocblas_syr2k_her2k_kernelIlLb0ELb0ELb0ELi32EPKfS1_PfEvbiT_T4_T5_S3_lS5_S3_lT6_S3_li
                                        ; -- End function
	.section	.AMDGPU.csdata,"",@progbits
; Kernel info:
; codeLenInByte = 1320
; NumSgprs: 34
; NumVgprs: 31
; ScratchSize: 0
; MemoryBound: 0
; FloatMode: 240
; IeeeMode: 1
; LDSByteSize: 8192 bytes/workgroup (compile time only)
; SGPRBlocks: 4
; VGPRBlocks: 3
; NumSGPRsForWavesPerEU: 34
; NumVGPRsForWavesPerEU: 31
; Occupancy: 16
; WaveLimiterHint : 0
; COMPUTE_PGM_RSRC2:SCRATCH_EN: 0
; COMPUTE_PGM_RSRC2:USER_SGPR: 13
; COMPUTE_PGM_RSRC2:TRAP_HANDLER: 0
; COMPUTE_PGM_RSRC2:TGID_X_EN: 1
; COMPUTE_PGM_RSRC2:TGID_Y_EN: 1
; COMPUTE_PGM_RSRC2:TGID_Z_EN: 1
; COMPUTE_PGM_RSRC2:TIDIG_COMP_CNT: 1
	.section	.text._ZL26rocblas_syr2k_her2k_kernelIlLb0ELb0ELb1ELi32EPKfS1_PfEvbiT_T4_T5_S3_lS5_S3_lT6_S3_li,"axG",@progbits,_ZL26rocblas_syr2k_her2k_kernelIlLb0ELb0ELb1ELi32EPKfS1_PfEvbiT_T4_T5_S3_lS5_S3_lT6_S3_li,comdat
	.globl	_ZL26rocblas_syr2k_her2k_kernelIlLb0ELb0ELb1ELi32EPKfS1_PfEvbiT_T4_T5_S3_lS5_S3_lT6_S3_li ; -- Begin function _ZL26rocblas_syr2k_her2k_kernelIlLb0ELb0ELb1ELi32EPKfS1_PfEvbiT_T4_T5_S3_lS5_S3_lT6_S3_li
	.p2align	8
	.type	_ZL26rocblas_syr2k_her2k_kernelIlLb0ELb0ELb1ELi32EPKfS1_PfEvbiT_T4_T5_S3_lS5_S3_lT6_S3_li,@function
_ZL26rocblas_syr2k_her2k_kernelIlLb0ELb0ELb1ELi32EPKfS1_PfEvbiT_T4_T5_S3_lS5_S3_lT6_S3_li: ; @_ZL26rocblas_syr2k_her2k_kernelIlLb0ELb0ELb1ELi32EPKfS1_PfEvbiT_T4_T5_S3_lS5_S3_lT6_S3_li
; %bb.0:
	s_load_b512 s[16:31], s[0:1], 0x8
	s_waitcnt lgkmcnt(0)
	s_load_b32 s8, s[18:19], 0x0
	s_waitcnt lgkmcnt(0)
	v_cmp_eq_f32_e64 s2, s8, 0
	s_delay_alu instid0(VALU_DEP_1)
	s_and_b32 vcc_lo, exec_lo, s2
	s_cbranch_vccnz .LBB1000_11
; %bb.1:
	s_load_b64 s[2:3], s[0:1], 0x0
	s_lshl_b32 s9, s14, 5
	s_lshl_b32 s10, s13, 5
	s_waitcnt lgkmcnt(0)
	s_and_b32 s2, 1, s2
	s_delay_alu instid0(SALU_CYCLE_1) | instskip(SKIP_1) | instid1(SALU_CYCLE_1)
	s_cmp_eq_u32 s2, 1
	s_cselect_b32 s2, -1, 0
	s_and_b32 s4, s2, exec_lo
	s_cselect_b32 s4, s10, s9
	s_cselect_b32 s5, s9, s10
	s_delay_alu instid0(SALU_CYCLE_1)
	s_cmp_gt_i32 s4, s5
	s_cbranch_scc1 .LBB1000_11
; %bb.2:
	v_cmp_lt_i64_e64 s4, s[16:17], 1
	s_delay_alu instid0(VALU_DEP_1)
	s_and_b32 vcc_lo, exec_lo, s4
	s_cbranch_vccnz .LBB1000_11
; %bb.3:
	s_clause 0x1
	s_load_b64 s[12:13], s[0:1], 0x58
	s_load_b128 s[4:7], s[0:1], 0x48
	v_bfe_u32 v6, v0, 10, 10
	v_mov_b32_e32 v1, 0
	v_and_b32_e32 v7, 0x3ff, v0
	s_delay_alu instid0(VALU_DEP_2) | instskip(NEXT) | instid1(VALU_DEP_2)
	v_dual_mov_b32 v3, v1 :: v_dual_add_nc_u32 v2, s9, v6
	v_add_nc_u32_e32 v0, s10, v7
	s_mov_b32 s10, s3
	s_delay_alu instid0(VALU_DEP_2) | instskip(SKIP_1) | instid1(VALU_DEP_3)
	v_ashrrev_i32_e32 v4, 31, v2
	v_mad_u64_u32 v[12:13], null, s28, v2, 0
	v_cndmask_b32_e64 v14, v0, v2, s2
	v_cndmask_b32_e64 v15, v2, v0, s2
	v_lshlrev_b32_e32 v18, 2, v6
	v_max_i32_e32 v19, v0, v2
	s_waitcnt lgkmcnt(0)
	s_mul_i32 s1, s15, s13
	v_mul_lo_u32 v16, v4, s6
	v_mul_lo_u32 v17, v2, s7
	v_mad_u64_u32 v[4:5], null, v2, s6, 0
	s_mul_hi_u32 s2, s15, s12
	s_mul_i32 s0, s15, s12
	s_add_i32 s1, s2, s1
	v_cmp_le_i32_e64 s2, v15, v14
	s_lshl_b64 s[0:1], s[0:1], 2
	v_mad_u64_u32 v[14:15], null, s22, v0, 0
	s_delay_alu instid0(VALU_DEP_3)
	v_add3_u32 v5, v5, v17, v16
	s_add_u32 s4, s4, s0
	s_addc_u32 s5, s5, s1
	s_ashr_i32 s11, s3, 31
	v_lshlrev_b32_e32 v8, 7, v7
	v_lshlrev_b64 v[4:5], 2, v[4:5]
	v_cmp_gt_i64_e64 s1, s[10:11], v[2:3]
	v_mov_b32_e32 v3, v13
	v_cmp_gt_i64_e64 s0, s[10:11], v[0:1]
	v_ashrrev_i32_e32 v1, 31, v0
	v_cmp_gt_i32_e32 vcc_lo, s3, v19
	v_or_b32_e32 v9, 0x1000, v18
	v_mad_u64_u32 v[16:17], null, s29, v2, v[3:4]
	v_mov_b32_e32 v3, v15
	v_add_co_u32 v17, s3, s4, v4
	s_delay_alu instid0(VALU_DEP_1) | instskip(NEXT) | instid1(VALU_DEP_3)
	v_add_co_ci_u32_e64 v19, s3, s5, v5, s3
	v_mad_u64_u32 v[4:5], null, s23, v0, v[3:4]
	v_mov_b32_e32 v13, v16
	v_lshlrev_b64 v[1:2], 2, v[0:1]
	s_mul_i32 s3, s31, s15
	s_mul_hi_u32 s4, s30, s15
	v_add_nc_u32_e32 v10, v8, v18
	v_lshlrev_b64 v[12:13], 2, v[12:13]
	s_add_i32 s5, s4, s3
	s_mul_i32 s4, s30, s15
	v_add_co_u32 v0, s3, v17, v1
	s_lshl_b64 s[4:5], s[4:5], 2
	v_mov_b32_e32 v15, v4
	v_add_co_ci_u32_e64 v1, s3, v19, v2, s3
	v_add_co_u32 v4, s3, s4, v12
	s_delay_alu instid0(VALU_DEP_1)
	v_add_co_ci_u32_e64 v5, s3, s5, v13, s3
	s_mul_i32 s3, s25, s15
	s_mul_hi_u32 s4, s24, s15
	v_lshlrev_b64 v[2:3], 2, v[14:15]
	s_add_i32 s5, s4, s3
	s_mul_i32 s4, s24, s15
	v_lshlrev_b32_e32 v12, 2, v7
	s_lshl_b64 s[4:5], s[4:5], 2
	v_add_nc_u32_e32 v11, v9, v8
	v_add_co_u32 v2, s3, s4, v2
	s_delay_alu instid0(VALU_DEP_1) | instskip(SKIP_1) | instid1(VALU_DEP_1)
	v_add_co_ci_u32_e64 v3, s3, s5, v3, s3
	v_add_co_u32 v4, s3, v4, v12
	v_add_co_ci_u32_e64 v5, s3, 0, v5, s3
	s_delay_alu instid0(VALU_DEP_4) | instskip(NEXT) | instid1(VALU_DEP_1)
	v_add_co_u32 v12, s3, v2, v18
	v_add_co_ci_u32_e64 v13, s3, 0, v3, s3
	s_delay_alu instid0(VALU_DEP_4) | instskip(NEXT) | instid1(VALU_DEP_1)
	v_add_co_u32 v2, s3, s26, v4
	v_add_co_ci_u32_e64 v3, s3, s27, v5, s3
	s_delay_alu instid0(VALU_DEP_4)
	v_add_co_u32 v4, s3, s20, v12
	v_add_nc_u32_e32 v12, 0x400, v9
	v_add_co_ci_u32_e64 v5, s3, s21, v13, s3
	v_add_nc_u32_e32 v13, 0x800, v9
	v_add_nc_u32_e32 v14, 0xc00, v9
	s_and_b32 s4, s2, vcc_lo
	s_mov_b64 s[2:3], 0
	s_branch .LBB1000_5
.LBB1000_4:                             ;   in Loop: Header=BB1000_5 Depth=1
	s_or_b32 exec_lo, exec_lo, s5
	s_add_u32 s2, s2, 32
	s_addc_u32 s3, s3, 0
	v_add_co_u32 v2, vcc_lo, 0x80, v2
	v_cmp_lt_i64_e64 s5, s[2:3], s[16:17]
	v_add_co_ci_u32_e32 v3, vcc_lo, 0, v3, vcc_lo
	v_add_co_u32 v4, vcc_lo, 0x80, v4
	v_add_co_ci_u32_e32 v5, vcc_lo, 0, v5, vcc_lo
	s_delay_alu instid0(VALU_DEP_4)
	s_and_b32 vcc_lo, exec_lo, s5
	s_waitcnt_vscnt null, 0x0
	s_barrier
	buffer_gl0_inv
	s_cbranch_vccz .LBB1000_11
.LBB1000_5:                             ; =>This Inner Loop Header: Depth=1
	v_add_co_u32 v15, s5, v6, s2
	s_delay_alu instid0(VALU_DEP_1) | instskip(NEXT) | instid1(VALU_DEP_1)
	v_add_co_ci_u32_e64 v16, null, 0, s3, s5
	v_cmp_gt_i64_e32 vcc_lo, s[16:17], v[15:16]
	v_mov_b32_e32 v15, 0
	s_and_b32 s6, s0, vcc_lo
	s_delay_alu instid0(SALU_CYCLE_1)
	s_and_saveexec_b32 s5, s6
	s_cbranch_execz .LBB1000_7
; %bb.6:                                ;   in Loop: Header=BB1000_5 Depth=1
	global_load_b32 v15, v[4:5], off
.LBB1000_7:                             ;   in Loop: Header=BB1000_5 Depth=1
	s_or_b32 exec_lo, exec_lo, s5
	v_add_co_u32 v16, s5, v7, s2
	s_delay_alu instid0(VALU_DEP_1)
	v_add_co_ci_u32_e64 v17, null, 0, s3, s5
	s_waitcnt vmcnt(0)
	ds_store_b32 v10, v15
	v_cmp_gt_i64_e32 vcc_lo, s[16:17], v[16:17]
	v_mov_b32_e32 v16, 0
	s_and_b32 s6, s1, vcc_lo
	s_delay_alu instid0(SALU_CYCLE_1)
	s_and_saveexec_b32 s5, s6
	s_cbranch_execz .LBB1000_9
; %bb.8:                                ;   in Loop: Header=BB1000_5 Depth=1
	global_load_b32 v16, v[2:3], off
.LBB1000_9:                             ;   in Loop: Header=BB1000_5 Depth=1
	s_or_b32 exec_lo, exec_lo, s5
	s_waitcnt vmcnt(0)
	ds_store_b32 v11, v16
	s_waitcnt lgkmcnt(0)
	s_barrier
	buffer_gl0_inv
	s_and_saveexec_b32 s5, s4
	s_cbranch_execz .LBB1000_4
; %bb.10:                               ;   in Loop: Header=BB1000_5 Depth=1
	global_load_b32 v29, v[0:1], off
	ds_load_2addr_b32 v[23:24], v9 offset1:32
	ds_load_b128 v[15:18], v8
	ds_load_2addr_b32 v[25:26], v9 offset0:64 offset1:96
	ds_load_b128 v[19:22], v8 offset:16
	ds_load_2addr_b32 v[27:28], v9 offset0:128 offset1:160
	s_waitcnt lgkmcnt(3)
	v_fma_f32 v30, v15, v23, 0
	s_delay_alu instid0(VALU_DEP_1) | instskip(SKIP_3) | instid1(VALU_DEP_1)
	v_fmac_f32_e32 v30, v16, v24
	ds_load_2addr_b32 v[23:24], v9 offset0:192 offset1:224
	s_waitcnt lgkmcnt(3)
	v_fmac_f32_e32 v30, v17, v25
	v_fmac_f32_e32 v30, v18, v26
	ds_load_2addr_b32 v[25:26], v12 offset1:32
	ds_load_b128 v[15:18], v8 offset:32
	s_waitcnt lgkmcnt(3)
	v_fmac_f32_e32 v30, v19, v27
	s_delay_alu instid0(VALU_DEP_1) | instskip(SKIP_3) | instid1(VALU_DEP_1)
	v_fmac_f32_e32 v30, v20, v28
	ds_load_2addr_b32 v[27:28], v12 offset0:64 offset1:96
	s_waitcnt lgkmcnt(3)
	v_fmac_f32_e32 v30, v21, v23
	v_fmac_f32_e32 v30, v22, v24
	ds_load_b128 v[19:22], v8 offset:48
	ds_load_2addr_b32 v[23:24], v12 offset0:128 offset1:160
	s_waitcnt lgkmcnt(3)
	v_fmac_f32_e32 v30, v15, v25
	s_delay_alu instid0(VALU_DEP_1) | instskip(SKIP_3) | instid1(VALU_DEP_1)
	v_fmac_f32_e32 v30, v16, v26
	ds_load_2addr_b32 v[25:26], v12 offset0:192 offset1:224
	s_waitcnt lgkmcnt(3)
	v_fmac_f32_e32 v30, v17, v27
	v_fmac_f32_e32 v30, v18, v28
	ds_load_2addr_b32 v[27:28], v13 offset1:32
	ds_load_b128 v[15:18], v8 offset:64
	s_waitcnt lgkmcnt(3)
	v_fmac_f32_e32 v30, v19, v23
	s_delay_alu instid0(VALU_DEP_1) | instskip(SKIP_3) | instid1(VALU_DEP_1)
	v_fmac_f32_e32 v30, v20, v24
	ds_load_2addr_b32 v[23:24], v13 offset0:64 offset1:96
	s_waitcnt lgkmcnt(3)
	v_fmac_f32_e32 v30, v21, v25
	v_fmac_f32_e32 v30, v22, v26
	ds_load_b128 v[19:22], v8 offset:80
	ds_load_2addr_b32 v[25:26], v13 offset0:128 offset1:160
	s_waitcnt lgkmcnt(3)
	v_fmac_f32_e32 v30, v15, v27
	;; [unrolled: 20-line block ×3, first 2 shown]
	s_delay_alu instid0(VALU_DEP_1) | instskip(SKIP_3) | instid1(VALU_DEP_1)
	v_fmac_f32_e32 v30, v16, v24
	ds_load_2addr_b32 v[15:16], v14 offset0:192 offset1:224
	s_waitcnt lgkmcnt(3)
	v_fmac_f32_e32 v30, v17, v25
	v_fmac_f32_e32 v30, v18, v26
	s_waitcnt lgkmcnt(1)
	s_delay_alu instid0(VALU_DEP_1) | instskip(NEXT) | instid1(VALU_DEP_1)
	v_fmac_f32_e32 v30, v19, v27
	v_fmac_f32_e32 v30, v20, v28
	s_waitcnt lgkmcnt(0)
	s_delay_alu instid0(VALU_DEP_1) | instskip(NEXT) | instid1(VALU_DEP_1)
	v_fmac_f32_e32 v30, v21, v15
	v_fmac_f32_e32 v30, v22, v16
	s_waitcnt vmcnt(0)
	s_delay_alu instid0(VALU_DEP_1)
	v_fmac_f32_e32 v29, s8, v30
	global_store_b32 v[0:1], v29, off
	s_branch .LBB1000_4
.LBB1000_11:
	s_endpgm
	.section	.rodata,"a",@progbits
	.p2align	6, 0x0
	.amdhsa_kernel _ZL26rocblas_syr2k_her2k_kernelIlLb0ELb0ELb1ELi32EPKfS1_PfEvbiT_T4_T5_S3_lS5_S3_lT6_S3_li
		.amdhsa_group_segment_fixed_size 8192
		.amdhsa_private_segment_fixed_size 0
		.amdhsa_kernarg_size 100
		.amdhsa_user_sgpr_count 13
		.amdhsa_user_sgpr_dispatch_ptr 0
		.amdhsa_user_sgpr_queue_ptr 0
		.amdhsa_user_sgpr_kernarg_segment_ptr 1
		.amdhsa_user_sgpr_dispatch_id 0
		.amdhsa_user_sgpr_private_segment_size 0
		.amdhsa_wavefront_size32 1
		.amdhsa_uses_dynamic_stack 0
		.amdhsa_enable_private_segment 0
		.amdhsa_system_sgpr_workgroup_id_x 1
		.amdhsa_system_sgpr_workgroup_id_y 1
		.amdhsa_system_sgpr_workgroup_id_z 1
		.amdhsa_system_sgpr_workgroup_info 0
		.amdhsa_system_vgpr_workitem_id 1
		.amdhsa_next_free_vgpr 31
		.amdhsa_next_free_sgpr 32
		.amdhsa_reserve_vcc 1
		.amdhsa_float_round_mode_32 0
		.amdhsa_float_round_mode_16_64 0
		.amdhsa_float_denorm_mode_32 3
		.amdhsa_float_denorm_mode_16_64 3
		.amdhsa_dx10_clamp 1
		.amdhsa_ieee_mode 1
		.amdhsa_fp16_overflow 0
		.amdhsa_workgroup_processor_mode 1
		.amdhsa_memory_ordered 1
		.amdhsa_forward_progress 0
		.amdhsa_shared_vgpr_count 0
		.amdhsa_exception_fp_ieee_invalid_op 0
		.amdhsa_exception_fp_denorm_src 0
		.amdhsa_exception_fp_ieee_div_zero 0
		.amdhsa_exception_fp_ieee_overflow 0
		.amdhsa_exception_fp_ieee_underflow 0
		.amdhsa_exception_fp_ieee_inexact 0
		.amdhsa_exception_int_div_zero 0
	.end_amdhsa_kernel
	.section	.text._ZL26rocblas_syr2k_her2k_kernelIlLb0ELb0ELb1ELi32EPKfS1_PfEvbiT_T4_T5_S3_lS5_S3_lT6_S3_li,"axG",@progbits,_ZL26rocblas_syr2k_her2k_kernelIlLb0ELb0ELb1ELi32EPKfS1_PfEvbiT_T4_T5_S3_lS5_S3_lT6_S3_li,comdat
.Lfunc_end1000:
	.size	_ZL26rocblas_syr2k_her2k_kernelIlLb0ELb0ELb1ELi32EPKfS1_PfEvbiT_T4_T5_S3_lS5_S3_lT6_S3_li, .Lfunc_end1000-_ZL26rocblas_syr2k_her2k_kernelIlLb0ELb0ELb1ELi32EPKfS1_PfEvbiT_T4_T5_S3_lS5_S3_lT6_S3_li
                                        ; -- End function
	.section	.AMDGPU.csdata,"",@progbits
; Kernel info:
; codeLenInByte = 1352
; NumSgprs: 34
; NumVgprs: 31
; ScratchSize: 0
; MemoryBound: 0
; FloatMode: 240
; IeeeMode: 1
; LDSByteSize: 8192 bytes/workgroup (compile time only)
; SGPRBlocks: 4
; VGPRBlocks: 3
; NumSGPRsForWavesPerEU: 34
; NumVGPRsForWavesPerEU: 31
; Occupancy: 16
; WaveLimiterHint : 0
; COMPUTE_PGM_RSRC2:SCRATCH_EN: 0
; COMPUTE_PGM_RSRC2:USER_SGPR: 13
; COMPUTE_PGM_RSRC2:TRAP_HANDLER: 0
; COMPUTE_PGM_RSRC2:TGID_X_EN: 1
; COMPUTE_PGM_RSRC2:TGID_Y_EN: 1
; COMPUTE_PGM_RSRC2:TGID_Z_EN: 1
; COMPUTE_PGM_RSRC2:TIDIG_COMP_CNT: 1
	.section	.text._ZL26rocblas_syr2k_her2k_kernelIlLb0ELb0ELb0ELi32EdPKdPdEvbiT_T4_T5_S3_lS5_S3_lT6_S3_li,"axG",@progbits,_ZL26rocblas_syr2k_her2k_kernelIlLb0ELb0ELb0ELi32EdPKdPdEvbiT_T4_T5_S3_lS5_S3_lT6_S3_li,comdat
	.globl	_ZL26rocblas_syr2k_her2k_kernelIlLb0ELb0ELb0ELi32EdPKdPdEvbiT_T4_T5_S3_lS5_S3_lT6_S3_li ; -- Begin function _ZL26rocblas_syr2k_her2k_kernelIlLb0ELb0ELb0ELi32EdPKdPdEvbiT_T4_T5_S3_lS5_S3_lT6_S3_li
	.p2align	8
	.type	_ZL26rocblas_syr2k_her2k_kernelIlLb0ELb0ELb0ELi32EdPKdPdEvbiT_T4_T5_S3_lS5_S3_lT6_S3_li,@function
_ZL26rocblas_syr2k_her2k_kernelIlLb0ELb0ELb0ELi32EdPKdPdEvbiT_T4_T5_S3_lS5_S3_lT6_S3_li: ; @_ZL26rocblas_syr2k_her2k_kernelIlLb0ELb0ELb0ELi32EdPKdPdEvbiT_T4_T5_S3_lS5_S3_lT6_S3_li
; %bb.0:
	s_load_b512 s[16:31], s[0:1], 0x8
	s_waitcnt lgkmcnt(0)
	v_cmp_eq_f64_e64 s2, s[18:19], 0
	s_delay_alu instid0(VALU_DEP_1)
	s_and_b32 vcc_lo, exec_lo, s2
	s_cbranch_vccnz .LBB1001_11
; %bb.1:
	s_load_b64 s[2:3], s[0:1], 0x0
	s_lshl_b32 s8, s14, 5
	s_lshl_b32 s9, s13, 5
	s_waitcnt lgkmcnt(0)
	s_and_b32 s2, 1, s2
	s_delay_alu instid0(SALU_CYCLE_1) | instskip(SKIP_1) | instid1(SALU_CYCLE_1)
	s_cmp_eq_u32 s2, 1
	s_cselect_b32 s2, -1, 0
	s_and_b32 s4, s2, exec_lo
	s_cselect_b32 s4, s9, s8
	s_cselect_b32 s5, s8, s9
	s_delay_alu instid0(SALU_CYCLE_1)
	s_cmp_gt_i32 s4, s5
	s_cbranch_scc1 .LBB1001_11
; %bb.2:
	v_cmp_lt_i64_e64 s4, s[16:17], 1
	s_delay_alu instid0(VALU_DEP_1)
	s_and_b32 vcc_lo, exec_lo, s4
	s_cbranch_vccnz .LBB1001_11
; %bb.3:
	s_clause 0x1
	s_load_b64 s[10:11], s[0:1], 0x58
	s_load_b128 s[4:7], s[0:1], 0x48
	v_bfe_u32 v10, v0, 10, 10
	v_and_b32_e32 v11, 0x3ff, v0
	s_delay_alu instid0(VALU_DEP_2) | instskip(NEXT) | instid1(VALU_DEP_1)
	v_dual_mov_b32 v3, 0 :: v_dual_add_nc_u32 v4, s8, v10
	v_dual_mov_b32 v5, v3 :: v_dual_add_nc_u32 v2, s9, v11
	v_lshlrev_b32_e32 v8, 3, v10
	v_lshlrev_b32_e32 v12, 8, v11
	s_delay_alu instid0(VALU_DEP_4) | instskip(NEXT) | instid1(VALU_DEP_4)
	v_ashrrev_i32_e32 v1, 31, v4
	v_max_i32_e32 v0, v2, v4
	v_cndmask_b32_e64 v6, v2, v4, s2
	v_cndmask_b32_e64 v7, v4, v2, s2
	v_or_b32_e32 v13, 0x2000, v8
	v_add_nc_u32_e32 v14, v12, v8
	v_cmp_gt_i32_e32 vcc_lo, s3, v0
	v_mov_b32_e32 v8, v2
	s_waitcnt lgkmcnt(0)
	s_mul_i32 s1, s15, s11
	v_mul_lo_u32 v9, v1, s6
	v_mul_lo_u32 v16, v4, s7
	v_mad_u64_u32 v[0:1], null, v4, s6, 0
	s_mul_hi_u32 s2, s15, s10
	s_mul_i32 s0, s15, s10
	s_add_i32 s1, s2, s1
	v_cmp_le_i32_e64 s2, v7, v6
	v_mad_u64_u32 v[6:7], null, s28, v11, 0
	s_delay_alu instid0(VALU_DEP_3) | instskip(SKIP_3) | instid1(VALU_DEP_3)
	v_add3_u32 v1, v1, v16, v9
	v_mad_u64_u32 v[16:17], null, s22, v10, 0
	s_lshl_b64 s[0:1], s[0:1], 3
	v_ashrrev_i32_e32 v9, 31, v2
	v_lshlrev_b64 v[0:1], 3, v[0:1]
	v_mad_u64_u32 v[18:19], null, s29, v11, v[7:8]
	s_add_u32 s4, s4, s0
	s_mov_b32 s8, s3
	s_addc_u32 s5, s5, s1
	s_ashr_i32 s9, s3, 31
	s_mul_hi_u32 s3, s30, s15
	v_cmp_gt_i64_e64 s0, s[8:9], v[2:3]
	s_delay_alu instid0(VALU_DEP_2)
	v_mov_b32_e32 v7, v18
	v_cmp_gt_i64_e64 s1, s[8:9], v[4:5]
	s_and_b32 s8, s2, vcc_lo
	v_add_co_u32 v19, vcc_lo, s4, v0
	v_add_co_ci_u32_e32 v20, vcc_lo, s5, v1, vcc_lo
	v_lshlrev_b64 v[0:1], 3, v[8:9]
	v_mov_b32_e32 v8, v17
	s_mul_i32 s2, s31, s15
	v_lshlrev_b64 v[6:7], 3, v[6:7]
	s_add_i32 s3, s3, s2
	s_mul_i32 s2, s30, s15
	v_mad_u64_u32 v[17:18], null, s23, v10, v[8:9]
	v_add_co_u32 v0, vcc_lo, v19, v0
	s_lshl_b64 s[2:3], s[2:3], 3
	v_add_co_ci_u32_e32 v1, vcc_lo, v20, v1, vcc_lo
	v_add_co_u32 v8, vcc_lo, s2, v6
	v_add_co_ci_u32_e32 v9, vcc_lo, s3, v7, vcc_lo
	s_mul_i32 s2, s25, s15
	s_mul_hi_u32 s3, s24, s15
	v_lshlrev_b64 v[6:7], 3, v[16:17]
	v_add_nc_u32_e32 v17, 0x1000, v13
	s_add_i32 s3, s3, s2
	s_mul_i32 s2, s24, s15
	v_lshlrev_b64 v[4:5], 3, v[4:5]
	s_lshl_b64 s[2:3], s[2:3], 3
	v_lshlrev_b64 v[2:3], 3, v[2:3]
	v_add_co_u32 v6, vcc_lo, s2, v6
	v_add_co_ci_u32_e32 v7, vcc_lo, s3, v7, vcc_lo
	s_delay_alu instid0(VALU_DEP_4) | instskip(SKIP_1) | instid1(VALU_DEP_4)
	v_add_co_u32 v4, vcc_lo, v8, v4
	v_add_co_ci_u32_e32 v5, vcc_lo, v9, v5, vcc_lo
	v_add_co_u32 v6, vcc_lo, v6, v2
	s_delay_alu instid0(VALU_DEP_4) | instskip(NEXT) | instid1(VALU_DEP_4)
	v_add_co_ci_u32_e32 v7, vcc_lo, v7, v3, vcc_lo
	v_add_co_u32 v2, vcc_lo, s26, v4
	s_delay_alu instid0(VALU_DEP_4) | instskip(NEXT) | instid1(VALU_DEP_4)
	v_add_co_ci_u32_e32 v3, vcc_lo, s27, v5, vcc_lo
	v_add_co_u32 v4, vcc_lo, s20, v6
	v_add_nc_u32_e32 v15, v13, v12
	v_add_co_ci_u32_e32 v5, vcc_lo, s21, v7, vcc_lo
	v_add_nc_u32_e32 v16, 0x800, v13
	v_add_nc_u32_e32 v18, 0x1800, v13
	s_lshl_b64 s[2:3], s[28:29], 8
	s_lshl_b64 s[4:5], s[22:23], 8
	s_mov_b64 s[6:7], 0
	s_branch .LBB1001_5
.LBB1001_4:                             ;   in Loop: Header=BB1001_5 Depth=1
	s_or_b32 exec_lo, exec_lo, s9
	s_add_u32 s6, s6, 32
	s_addc_u32 s7, s7, 0
	v_add_co_u32 v2, vcc_lo, v2, s2
	v_cmp_lt_i64_e64 s9, s[6:7], s[16:17]
	v_add_co_ci_u32_e32 v3, vcc_lo, s3, v3, vcc_lo
	v_add_co_u32 v4, vcc_lo, v4, s4
	v_add_co_ci_u32_e32 v5, vcc_lo, s5, v5, vcc_lo
	s_delay_alu instid0(VALU_DEP_4)
	s_and_b32 vcc_lo, exec_lo, s9
	s_waitcnt_vscnt null, 0x0
	s_barrier
	buffer_gl0_inv
	s_cbranch_vccz .LBB1001_11
.LBB1001_5:                             ; =>This Inner Loop Header: Depth=1
	v_add_co_u32 v8, s9, v10, s6
	s_delay_alu instid0(VALU_DEP_1) | instskip(SKIP_2) | instid1(VALU_DEP_3)
	v_add_co_ci_u32_e64 v9, null, 0, s7, s9
	v_mov_b32_e32 v6, 0
	v_mov_b32_e32 v7, 0
	v_cmp_gt_i64_e32 vcc_lo, s[16:17], v[8:9]
	s_delay_alu instid0(VALU_DEP_2) | instskip(SKIP_1) | instid1(SALU_CYCLE_1)
	v_dual_mov_b32 v9, v7 :: v_dual_mov_b32 v8, v6
	s_and_b32 s10, s0, vcc_lo
	s_and_saveexec_b32 s9, s10
	s_cbranch_execz .LBB1001_7
; %bb.6:                                ;   in Loop: Header=BB1001_5 Depth=1
	global_load_b64 v[8:9], v[4:5], off
.LBB1001_7:                             ;   in Loop: Header=BB1001_5 Depth=1
	s_or_b32 exec_lo, exec_lo, s9
	v_add_co_u32 v19, s9, v11, s6
	s_delay_alu instid0(VALU_DEP_1) | instskip(SKIP_4) | instid1(SALU_CYCLE_1)
	v_add_co_ci_u32_e64 v20, null, 0, s7, s9
	s_waitcnt vmcnt(0)
	ds_store_b64 v14, v[8:9]
	v_cmp_gt_i64_e32 vcc_lo, s[16:17], v[19:20]
	s_and_b32 s10, s1, vcc_lo
	s_and_saveexec_b32 s9, s10
	s_cbranch_execz .LBB1001_9
; %bb.8:                                ;   in Loop: Header=BB1001_5 Depth=1
	global_load_b64 v[6:7], v[2:3], off
.LBB1001_9:                             ;   in Loop: Header=BB1001_5 Depth=1
	s_or_b32 exec_lo, exec_lo, s9
	s_waitcnt vmcnt(0)
	ds_store_b64 v15, v[6:7]
	s_waitcnt lgkmcnt(0)
	s_barrier
	buffer_gl0_inv
	s_and_saveexec_b32 s9, s8
	s_cbranch_execz .LBB1001_4
; %bb.10:                               ;   in Loop: Header=BB1001_5 Depth=1
	ds_load_2addr_b64 v[6:9], v13 offset1:32
	ds_load_b128 v[19:22], v12
	ds_load_b128 v[23:26], v12 offset:16
	s_waitcnt lgkmcnt(1)
	v_fma_f64 v[6:7], v[19:20], v[6:7], 0
	s_delay_alu instid0(VALU_DEP_1) | instskip(SKIP_3) | instid1(VALU_DEP_1)
	v_fma_f64 v[19:20], v[21:22], v[8:9], v[6:7]
	ds_load_2addr_b64 v[6:9], v13 offset0:64 offset1:96
	s_waitcnt lgkmcnt(0)
	v_fma_f64 v[6:7], v[23:24], v[6:7], v[19:20]
	v_fma_f64 v[27:28], v[25:26], v[8:9], v[6:7]
	ds_load_2addr_b64 v[6:9], v13 offset0:128 offset1:160
	ds_load_b128 v[19:22], v12 offset:32
	ds_load_b128 v[23:26], v12 offset:48
	s_waitcnt lgkmcnt(1)
	v_fma_f64 v[6:7], v[19:20], v[6:7], v[27:28]
	s_delay_alu instid0(VALU_DEP_1) | instskip(SKIP_3) | instid1(VALU_DEP_1)
	v_fma_f64 v[19:20], v[21:22], v[8:9], v[6:7]
	ds_load_2addr_b64 v[6:9], v13 offset0:192 offset1:224
	s_waitcnt lgkmcnt(0)
	v_fma_f64 v[6:7], v[23:24], v[6:7], v[19:20]
	v_fma_f64 v[27:28], v[25:26], v[8:9], v[6:7]
	ds_load_2addr_b64 v[6:9], v16 offset1:32
	ds_load_b128 v[19:22], v12 offset:64
	ds_load_b128 v[23:26], v12 offset:80
	s_waitcnt lgkmcnt(1)
	v_fma_f64 v[6:7], v[19:20], v[6:7], v[27:28]
	s_delay_alu instid0(VALU_DEP_1) | instskip(SKIP_3) | instid1(VALU_DEP_1)
	v_fma_f64 v[19:20], v[21:22], v[8:9], v[6:7]
	ds_load_2addr_b64 v[6:9], v16 offset0:64 offset1:96
	s_waitcnt lgkmcnt(0)
	v_fma_f64 v[6:7], v[23:24], v[6:7], v[19:20]
	v_fma_f64 v[27:28], v[25:26], v[8:9], v[6:7]
	ds_load_2addr_b64 v[6:9], v16 offset0:128 offset1:160
	ds_load_b128 v[19:22], v12 offset:96
	ds_load_b128 v[23:26], v12 offset:112
	s_waitcnt lgkmcnt(1)
	v_fma_f64 v[6:7], v[19:20], v[6:7], v[27:28]
	s_delay_alu instid0(VALU_DEP_1) | instskip(SKIP_3) | instid1(VALU_DEP_1)
	v_fma_f64 v[19:20], v[21:22], v[8:9], v[6:7]
	ds_load_2addr_b64 v[6:9], v16 offset0:192 offset1:224
	s_waitcnt lgkmcnt(0)
	v_fma_f64 v[6:7], v[23:24], v[6:7], v[19:20]
	v_fma_f64 v[27:28], v[25:26], v[8:9], v[6:7]
	ds_load_2addr_b64 v[6:9], v17 offset1:32
	ds_load_b128 v[19:22], v12 offset:128
	;; [unrolled: 22-line block ×3, first 2 shown]
	global_load_b64 v[29:30], v[0:1], off
	ds_load_b128 v[23:26], v12 offset:208
	s_waitcnt lgkmcnt(1)
	v_fma_f64 v[6:7], v[19:20], v[6:7], v[27:28]
	s_delay_alu instid0(VALU_DEP_1) | instskip(SKIP_3) | instid1(VALU_DEP_1)
	v_fma_f64 v[19:20], v[21:22], v[8:9], v[6:7]
	ds_load_2addr_b64 v[6:9], v18 offset0:64 offset1:96
	s_waitcnt lgkmcnt(0)
	v_fma_f64 v[6:7], v[23:24], v[6:7], v[19:20]
	v_fma_f64 v[27:28], v[25:26], v[8:9], v[6:7]
	ds_load_2addr_b64 v[6:9], v18 offset0:128 offset1:160
	ds_load_b128 v[19:22], v12 offset:224
	ds_load_b128 v[23:26], v12 offset:240
	s_waitcnt lgkmcnt(1)
	v_fma_f64 v[6:7], v[19:20], v[6:7], v[27:28]
	s_delay_alu instid0(VALU_DEP_1) | instskip(SKIP_3) | instid1(VALU_DEP_1)
	v_fma_f64 v[19:20], v[21:22], v[8:9], v[6:7]
	ds_load_2addr_b64 v[6:9], v18 offset0:192 offset1:224
	s_waitcnt lgkmcnt(0)
	v_fma_f64 v[6:7], v[23:24], v[6:7], v[19:20]
	v_fma_f64 v[6:7], v[25:26], v[8:9], v[6:7]
	s_waitcnt vmcnt(0)
	s_delay_alu instid0(VALU_DEP_1)
	v_fma_f64 v[6:7], v[6:7], s[18:19], v[29:30]
	global_store_b64 v[0:1], v[6:7], off
	s_branch .LBB1001_4
.LBB1001_11:
	s_endpgm
	.section	.rodata,"a",@progbits
	.p2align	6, 0x0
	.amdhsa_kernel _ZL26rocblas_syr2k_her2k_kernelIlLb0ELb0ELb0ELi32EdPKdPdEvbiT_T4_T5_S3_lS5_S3_lT6_S3_li
		.amdhsa_group_segment_fixed_size 16384
		.amdhsa_private_segment_fixed_size 0
		.amdhsa_kernarg_size 100
		.amdhsa_user_sgpr_count 13
		.amdhsa_user_sgpr_dispatch_ptr 0
		.amdhsa_user_sgpr_queue_ptr 0
		.amdhsa_user_sgpr_kernarg_segment_ptr 1
		.amdhsa_user_sgpr_dispatch_id 0
		.amdhsa_user_sgpr_private_segment_size 0
		.amdhsa_wavefront_size32 1
		.amdhsa_uses_dynamic_stack 0
		.amdhsa_enable_private_segment 0
		.amdhsa_system_sgpr_workgroup_id_x 1
		.amdhsa_system_sgpr_workgroup_id_y 1
		.amdhsa_system_sgpr_workgroup_id_z 1
		.amdhsa_system_sgpr_workgroup_info 0
		.amdhsa_system_vgpr_workitem_id 1
		.amdhsa_next_free_vgpr 31
		.amdhsa_next_free_sgpr 32
		.amdhsa_reserve_vcc 1
		.amdhsa_float_round_mode_32 0
		.amdhsa_float_round_mode_16_64 0
		.amdhsa_float_denorm_mode_32 3
		.amdhsa_float_denorm_mode_16_64 3
		.amdhsa_dx10_clamp 1
		.amdhsa_ieee_mode 1
		.amdhsa_fp16_overflow 0
		.amdhsa_workgroup_processor_mode 1
		.amdhsa_memory_ordered 1
		.amdhsa_forward_progress 0
		.amdhsa_shared_vgpr_count 0
		.amdhsa_exception_fp_ieee_invalid_op 0
		.amdhsa_exception_fp_denorm_src 0
		.amdhsa_exception_fp_ieee_div_zero 0
		.amdhsa_exception_fp_ieee_overflow 0
		.amdhsa_exception_fp_ieee_underflow 0
		.amdhsa_exception_fp_ieee_inexact 0
		.amdhsa_exception_int_div_zero 0
	.end_amdhsa_kernel
	.section	.text._ZL26rocblas_syr2k_her2k_kernelIlLb0ELb0ELb0ELi32EdPKdPdEvbiT_T4_T5_S3_lS5_S3_lT6_S3_li,"axG",@progbits,_ZL26rocblas_syr2k_her2k_kernelIlLb0ELb0ELb0ELi32EdPKdPdEvbiT_T4_T5_S3_lS5_S3_lT6_S3_li,comdat
.Lfunc_end1001:
	.size	_ZL26rocblas_syr2k_her2k_kernelIlLb0ELb0ELb0ELi32EdPKdPdEvbiT_T4_T5_S3_lS5_S3_lT6_S3_li, .Lfunc_end1001-_ZL26rocblas_syr2k_her2k_kernelIlLb0ELb0ELb0ELi32EdPKdPdEvbiT_T4_T5_S3_lS5_S3_lT6_S3_li
                                        ; -- End function
	.section	.AMDGPU.csdata,"",@progbits
; Kernel info:
; codeLenInByte = 1500
; NumSgprs: 34
; NumVgprs: 31
; ScratchSize: 0
; MemoryBound: 0
; FloatMode: 240
; IeeeMode: 1
; LDSByteSize: 16384 bytes/workgroup (compile time only)
; SGPRBlocks: 4
; VGPRBlocks: 3
; NumSGPRsForWavesPerEU: 34
; NumVGPRsForWavesPerEU: 31
; Occupancy: 16
; WaveLimiterHint : 0
; COMPUTE_PGM_RSRC2:SCRATCH_EN: 0
; COMPUTE_PGM_RSRC2:USER_SGPR: 13
; COMPUTE_PGM_RSRC2:TRAP_HANDLER: 0
; COMPUTE_PGM_RSRC2:TGID_X_EN: 1
; COMPUTE_PGM_RSRC2:TGID_Y_EN: 1
; COMPUTE_PGM_RSRC2:TGID_Z_EN: 1
; COMPUTE_PGM_RSRC2:TIDIG_COMP_CNT: 1
	.section	.text._ZL26rocblas_syr2k_her2k_kernelIlLb0ELb0ELb1ELi32EdPKdPdEvbiT_T4_T5_S3_lS5_S3_lT6_S3_li,"axG",@progbits,_ZL26rocblas_syr2k_her2k_kernelIlLb0ELb0ELb1ELi32EdPKdPdEvbiT_T4_T5_S3_lS5_S3_lT6_S3_li,comdat
	.globl	_ZL26rocblas_syr2k_her2k_kernelIlLb0ELb0ELb1ELi32EdPKdPdEvbiT_T4_T5_S3_lS5_S3_lT6_S3_li ; -- Begin function _ZL26rocblas_syr2k_her2k_kernelIlLb0ELb0ELb1ELi32EdPKdPdEvbiT_T4_T5_S3_lS5_S3_lT6_S3_li
	.p2align	8
	.type	_ZL26rocblas_syr2k_her2k_kernelIlLb0ELb0ELb1ELi32EdPKdPdEvbiT_T4_T5_S3_lS5_S3_lT6_S3_li,@function
_ZL26rocblas_syr2k_her2k_kernelIlLb0ELb0ELb1ELi32EdPKdPdEvbiT_T4_T5_S3_lS5_S3_lT6_S3_li: ; @_ZL26rocblas_syr2k_her2k_kernelIlLb0ELb0ELb1ELi32EdPKdPdEvbiT_T4_T5_S3_lS5_S3_lT6_S3_li
; %bb.0:
	s_load_b512 s[16:31], s[0:1], 0x8
	s_waitcnt lgkmcnt(0)
	v_cmp_eq_f64_e64 s2, s[18:19], 0
	s_delay_alu instid0(VALU_DEP_1)
	s_and_b32 vcc_lo, exec_lo, s2
	s_cbranch_vccnz .LBB1002_11
; %bb.1:
	s_load_b64 s[2:3], s[0:1], 0x0
	s_lshl_b32 s8, s14, 5
	s_lshl_b32 s9, s13, 5
	s_waitcnt lgkmcnt(0)
	s_and_b32 s2, 1, s2
	s_delay_alu instid0(SALU_CYCLE_1) | instskip(SKIP_1) | instid1(SALU_CYCLE_1)
	s_cmp_eq_u32 s2, 1
	s_cselect_b32 s2, -1, 0
	s_and_b32 s4, s2, exec_lo
	s_cselect_b32 s4, s9, s8
	s_cselect_b32 s5, s8, s9
	s_delay_alu instid0(SALU_CYCLE_1)
	s_cmp_gt_i32 s4, s5
	s_cbranch_scc1 .LBB1002_11
; %bb.2:
	v_cmp_lt_i64_e64 s4, s[16:17], 1
	s_delay_alu instid0(VALU_DEP_1)
	s_and_b32 vcc_lo, exec_lo, s4
	s_cbranch_vccnz .LBB1002_11
; %bb.3:
	s_clause 0x1
	s_load_b64 s[10:11], s[0:1], 0x58
	s_load_b128 s[4:7], s[0:1], 0x48
	v_bfe_u32 v10, v0, 10, 10
	v_mov_b32_e32 v1, 0
	v_and_b32_e32 v11, 0x3ff, v0
	s_delay_alu instid0(VALU_DEP_2) | instskip(NEXT) | instid1(VALU_DEP_2)
	v_dual_mov_b32 v3, v1 :: v_dual_add_nc_u32 v2, s8, v10
	v_add_nc_u32_e32 v0, s9, v11
	s_mov_b32 s8, s3
	s_delay_alu instid0(VALU_DEP_2) | instskip(SKIP_1) | instid1(VALU_DEP_3)
	v_ashrrev_i32_e32 v4, 31, v2
	v_mad_u64_u32 v[6:7], null, s28, v2, 0
	v_cndmask_b32_e64 v8, v0, v2, s2
	v_cndmask_b32_e64 v9, v2, v0, s2
	v_lshlrev_b32_e32 v18, 3, v10
	v_max_i32_e32 v19, v0, v2
	s_waitcnt lgkmcnt(0)
	s_mul_i32 s1, s15, s11
	v_mul_lo_u32 v16, v4, s6
	v_mul_lo_u32 v17, v2, s7
	v_mad_u64_u32 v[4:5], null, v2, s6, 0
	s_mul_hi_u32 s2, s15, s10
	s_mul_i32 s0, s15, s10
	s_add_i32 s1, s2, s1
	v_cmp_le_i32_e64 s2, v9, v8
	s_lshl_b64 s[0:1], s[0:1], 3
	v_mad_u64_u32 v[8:9], null, s22, v0, 0
	s_delay_alu instid0(VALU_DEP_3)
	v_add3_u32 v5, v5, v17, v16
	s_add_u32 s4, s4, s0
	s_addc_u32 s5, s5, s1
	s_ashr_i32 s9, s3, 31
	v_lshlrev_b32_e32 v12, 8, v11
	v_lshlrev_b64 v[4:5], 3, v[4:5]
	v_cmp_gt_i64_e64 s1, s[8:9], v[2:3]
	v_mov_b32_e32 v3, v7
	v_cmp_gt_i64_e64 s0, s[8:9], v[0:1]
	v_ashrrev_i32_e32 v1, 31, v0
	v_cmp_gt_i32_e32 vcc_lo, s3, v19
	v_or_b32_e32 v13, 0x2000, v18
	v_mad_u64_u32 v[16:17], null, s29, v2, v[3:4]
	v_mov_b32_e32 v3, v9
	v_add_co_u32 v17, s3, s4, v4
	s_delay_alu instid0(VALU_DEP_1) | instskip(NEXT) | instid1(VALU_DEP_3)
	v_add_co_ci_u32_e64 v19, s3, s5, v5, s3
	v_mad_u64_u32 v[4:5], null, s23, v0, v[3:4]
	v_mov_b32_e32 v7, v16
	v_lshlrev_b64 v[1:2], 3, v[0:1]
	s_mul_i32 s3, s31, s15
	s_mul_hi_u32 s4, s30, s15
	v_add_nc_u32_e32 v16, 0x800, v13
	v_lshlrev_b64 v[5:6], 3, v[6:7]
	s_add_i32 s5, s4, s3
	s_mul_i32 s4, s30, s15
	v_add_co_u32 v0, s3, v17, v1
	s_lshl_b64 s[4:5], s[4:5], 3
	v_mov_b32_e32 v9, v4
	v_add_co_ci_u32_e64 v1, s3, v19, v2, s3
	v_add_co_u32 v4, s3, s4, v5
	s_delay_alu instid0(VALU_DEP_1)
	v_add_co_ci_u32_e64 v5, s3, s5, v6, s3
	s_mul_i32 s3, s25, s15
	s_mul_hi_u32 s4, s24, s15
	v_lshlrev_b64 v[2:3], 3, v[8:9]
	s_add_i32 s5, s4, s3
	s_mul_i32 s4, s24, s15
	v_lshlrev_b32_e32 v6, 3, v11
	s_lshl_b64 s[4:5], s[4:5], 3
	v_add_nc_u32_e32 v14, v12, v18
	v_add_co_u32 v2, s3, s4, v2
	s_delay_alu instid0(VALU_DEP_1) | instskip(SKIP_1) | instid1(VALU_DEP_1)
	v_add_co_ci_u32_e64 v3, s3, s5, v3, s3
	v_add_co_u32 v4, s3, v4, v6
	v_add_co_ci_u32_e64 v5, s3, 0, v5, s3
	s_delay_alu instid0(VALU_DEP_4) | instskip(NEXT) | instid1(VALU_DEP_1)
	v_add_co_u32 v6, s3, v2, v18
	v_add_co_ci_u32_e64 v7, s3, 0, v3, s3
	s_delay_alu instid0(VALU_DEP_4) | instskip(NEXT) | instid1(VALU_DEP_1)
	v_add_co_u32 v2, s3, s26, v4
	v_add_co_ci_u32_e64 v3, s3, s27, v5, s3
	s_delay_alu instid0(VALU_DEP_4)
	v_add_co_u32 v4, s3, s20, v6
	v_add_nc_u32_e32 v15, v13, v12
	v_add_co_ci_u32_e64 v5, s3, s21, v7, s3
	v_add_nc_u32_e32 v17, 0x1000, v13
	v_add_nc_u32_e32 v18, 0x1800, v13
	s_and_b32 s4, s2, vcc_lo
	s_mov_b64 s[2:3], 0
	s_branch .LBB1002_5
.LBB1002_4:                             ;   in Loop: Header=BB1002_5 Depth=1
	s_or_b32 exec_lo, exec_lo, s5
	s_add_u32 s2, s2, 32
	s_addc_u32 s3, s3, 0
	v_add_co_u32 v2, vcc_lo, 0x100, v2
	v_cmp_lt_i64_e64 s5, s[2:3], s[16:17]
	v_add_co_ci_u32_e32 v3, vcc_lo, 0, v3, vcc_lo
	v_add_co_u32 v4, vcc_lo, 0x100, v4
	v_add_co_ci_u32_e32 v5, vcc_lo, 0, v5, vcc_lo
	s_delay_alu instid0(VALU_DEP_4)
	s_and_b32 vcc_lo, exec_lo, s5
	s_waitcnt_vscnt null, 0x0
	s_barrier
	buffer_gl0_inv
	s_cbranch_vccz .LBB1002_11
.LBB1002_5:                             ; =>This Inner Loop Header: Depth=1
	v_add_co_u32 v8, s5, v10, s2
	s_delay_alu instid0(VALU_DEP_1) | instskip(SKIP_2) | instid1(VALU_DEP_3)
	v_add_co_ci_u32_e64 v9, null, 0, s3, s5
	v_mov_b32_e32 v6, 0
	v_mov_b32_e32 v7, 0
	v_cmp_gt_i64_e32 vcc_lo, s[16:17], v[8:9]
	s_delay_alu instid0(VALU_DEP_2) | instskip(SKIP_1) | instid1(SALU_CYCLE_1)
	v_dual_mov_b32 v9, v7 :: v_dual_mov_b32 v8, v6
	s_and_b32 s6, s0, vcc_lo
	s_and_saveexec_b32 s5, s6
	s_cbranch_execz .LBB1002_7
; %bb.6:                                ;   in Loop: Header=BB1002_5 Depth=1
	global_load_b64 v[8:9], v[4:5], off
.LBB1002_7:                             ;   in Loop: Header=BB1002_5 Depth=1
	s_or_b32 exec_lo, exec_lo, s5
	v_add_co_u32 v19, s5, v11, s2
	s_delay_alu instid0(VALU_DEP_1) | instskip(SKIP_4) | instid1(SALU_CYCLE_1)
	v_add_co_ci_u32_e64 v20, null, 0, s3, s5
	s_waitcnt vmcnt(0)
	ds_store_b64 v14, v[8:9]
	v_cmp_gt_i64_e32 vcc_lo, s[16:17], v[19:20]
	s_and_b32 s6, s1, vcc_lo
	s_and_saveexec_b32 s5, s6
	s_cbranch_execz .LBB1002_9
; %bb.8:                                ;   in Loop: Header=BB1002_5 Depth=1
	global_load_b64 v[6:7], v[2:3], off
.LBB1002_9:                             ;   in Loop: Header=BB1002_5 Depth=1
	s_or_b32 exec_lo, exec_lo, s5
	s_waitcnt vmcnt(0)
	ds_store_b64 v15, v[6:7]
	s_waitcnt lgkmcnt(0)
	s_barrier
	buffer_gl0_inv
	s_and_saveexec_b32 s5, s4
	s_cbranch_execz .LBB1002_4
; %bb.10:                               ;   in Loop: Header=BB1002_5 Depth=1
	ds_load_2addr_b64 v[6:9], v13 offset1:32
	ds_load_b128 v[19:22], v12
	ds_load_b128 v[23:26], v12 offset:16
	s_waitcnt lgkmcnt(1)
	v_fma_f64 v[6:7], v[19:20], v[6:7], 0
	s_delay_alu instid0(VALU_DEP_1) | instskip(SKIP_3) | instid1(VALU_DEP_1)
	v_fma_f64 v[19:20], v[21:22], v[8:9], v[6:7]
	ds_load_2addr_b64 v[6:9], v13 offset0:64 offset1:96
	s_waitcnt lgkmcnt(0)
	v_fma_f64 v[6:7], v[23:24], v[6:7], v[19:20]
	v_fma_f64 v[27:28], v[25:26], v[8:9], v[6:7]
	ds_load_2addr_b64 v[6:9], v13 offset0:128 offset1:160
	ds_load_b128 v[19:22], v12 offset:32
	ds_load_b128 v[23:26], v12 offset:48
	s_waitcnt lgkmcnt(1)
	v_fma_f64 v[6:7], v[19:20], v[6:7], v[27:28]
	s_delay_alu instid0(VALU_DEP_1) | instskip(SKIP_3) | instid1(VALU_DEP_1)
	v_fma_f64 v[19:20], v[21:22], v[8:9], v[6:7]
	ds_load_2addr_b64 v[6:9], v13 offset0:192 offset1:224
	s_waitcnt lgkmcnt(0)
	v_fma_f64 v[6:7], v[23:24], v[6:7], v[19:20]
	v_fma_f64 v[27:28], v[25:26], v[8:9], v[6:7]
	ds_load_2addr_b64 v[6:9], v16 offset1:32
	ds_load_b128 v[19:22], v12 offset:64
	ds_load_b128 v[23:26], v12 offset:80
	s_waitcnt lgkmcnt(1)
	v_fma_f64 v[6:7], v[19:20], v[6:7], v[27:28]
	s_delay_alu instid0(VALU_DEP_1) | instskip(SKIP_3) | instid1(VALU_DEP_1)
	v_fma_f64 v[19:20], v[21:22], v[8:9], v[6:7]
	ds_load_2addr_b64 v[6:9], v16 offset0:64 offset1:96
	s_waitcnt lgkmcnt(0)
	v_fma_f64 v[6:7], v[23:24], v[6:7], v[19:20]
	v_fma_f64 v[27:28], v[25:26], v[8:9], v[6:7]
	ds_load_2addr_b64 v[6:9], v16 offset0:128 offset1:160
	ds_load_b128 v[19:22], v12 offset:96
	ds_load_b128 v[23:26], v12 offset:112
	s_waitcnt lgkmcnt(1)
	v_fma_f64 v[6:7], v[19:20], v[6:7], v[27:28]
	s_delay_alu instid0(VALU_DEP_1) | instskip(SKIP_3) | instid1(VALU_DEP_1)
	v_fma_f64 v[19:20], v[21:22], v[8:9], v[6:7]
	ds_load_2addr_b64 v[6:9], v16 offset0:192 offset1:224
	s_waitcnt lgkmcnt(0)
	v_fma_f64 v[6:7], v[23:24], v[6:7], v[19:20]
	v_fma_f64 v[27:28], v[25:26], v[8:9], v[6:7]
	ds_load_2addr_b64 v[6:9], v17 offset1:32
	ds_load_b128 v[19:22], v12 offset:128
	;; [unrolled: 22-line block ×3, first 2 shown]
	global_load_b64 v[29:30], v[0:1], off
	ds_load_b128 v[23:26], v12 offset:208
	s_waitcnt lgkmcnt(1)
	v_fma_f64 v[6:7], v[19:20], v[6:7], v[27:28]
	s_delay_alu instid0(VALU_DEP_1) | instskip(SKIP_3) | instid1(VALU_DEP_1)
	v_fma_f64 v[19:20], v[21:22], v[8:9], v[6:7]
	ds_load_2addr_b64 v[6:9], v18 offset0:64 offset1:96
	s_waitcnt lgkmcnt(0)
	v_fma_f64 v[6:7], v[23:24], v[6:7], v[19:20]
	v_fma_f64 v[27:28], v[25:26], v[8:9], v[6:7]
	ds_load_2addr_b64 v[6:9], v18 offset0:128 offset1:160
	ds_load_b128 v[19:22], v12 offset:224
	ds_load_b128 v[23:26], v12 offset:240
	s_waitcnt lgkmcnt(1)
	v_fma_f64 v[6:7], v[19:20], v[6:7], v[27:28]
	s_delay_alu instid0(VALU_DEP_1) | instskip(SKIP_3) | instid1(VALU_DEP_1)
	v_fma_f64 v[19:20], v[21:22], v[8:9], v[6:7]
	ds_load_2addr_b64 v[6:9], v18 offset0:192 offset1:224
	s_waitcnt lgkmcnt(0)
	v_fma_f64 v[6:7], v[23:24], v[6:7], v[19:20]
	v_fma_f64 v[6:7], v[25:26], v[8:9], v[6:7]
	s_waitcnt vmcnt(0)
	s_delay_alu instid0(VALU_DEP_1)
	v_fma_f64 v[6:7], v[6:7], s[18:19], v[29:30]
	global_store_b64 v[0:1], v[6:7], off
	s_branch .LBB1002_4
.LBB1002_11:
	s_endpgm
	.section	.rodata,"a",@progbits
	.p2align	6, 0x0
	.amdhsa_kernel _ZL26rocblas_syr2k_her2k_kernelIlLb0ELb0ELb1ELi32EdPKdPdEvbiT_T4_T5_S3_lS5_S3_lT6_S3_li
		.amdhsa_group_segment_fixed_size 16384
		.amdhsa_private_segment_fixed_size 0
		.amdhsa_kernarg_size 100
		.amdhsa_user_sgpr_count 13
		.amdhsa_user_sgpr_dispatch_ptr 0
		.amdhsa_user_sgpr_queue_ptr 0
		.amdhsa_user_sgpr_kernarg_segment_ptr 1
		.amdhsa_user_sgpr_dispatch_id 0
		.amdhsa_user_sgpr_private_segment_size 0
		.amdhsa_wavefront_size32 1
		.amdhsa_uses_dynamic_stack 0
		.amdhsa_enable_private_segment 0
		.amdhsa_system_sgpr_workgroup_id_x 1
		.amdhsa_system_sgpr_workgroup_id_y 1
		.amdhsa_system_sgpr_workgroup_id_z 1
		.amdhsa_system_sgpr_workgroup_info 0
		.amdhsa_system_vgpr_workitem_id 1
		.amdhsa_next_free_vgpr 31
		.amdhsa_next_free_sgpr 32
		.amdhsa_reserve_vcc 1
		.amdhsa_float_round_mode_32 0
		.amdhsa_float_round_mode_16_64 0
		.amdhsa_float_denorm_mode_32 3
		.amdhsa_float_denorm_mode_16_64 3
		.amdhsa_dx10_clamp 1
		.amdhsa_ieee_mode 1
		.amdhsa_fp16_overflow 0
		.amdhsa_workgroup_processor_mode 1
		.amdhsa_memory_ordered 1
		.amdhsa_forward_progress 0
		.amdhsa_shared_vgpr_count 0
		.amdhsa_exception_fp_ieee_invalid_op 0
		.amdhsa_exception_fp_denorm_src 0
		.amdhsa_exception_fp_ieee_div_zero 0
		.amdhsa_exception_fp_ieee_overflow 0
		.amdhsa_exception_fp_ieee_underflow 0
		.amdhsa_exception_fp_ieee_inexact 0
		.amdhsa_exception_int_div_zero 0
	.end_amdhsa_kernel
	.section	.text._ZL26rocblas_syr2k_her2k_kernelIlLb0ELb0ELb1ELi32EdPKdPdEvbiT_T4_T5_S3_lS5_S3_lT6_S3_li,"axG",@progbits,_ZL26rocblas_syr2k_her2k_kernelIlLb0ELb0ELb1ELi32EdPKdPdEvbiT_T4_T5_S3_lS5_S3_lT6_S3_li,comdat
.Lfunc_end1002:
	.size	_ZL26rocblas_syr2k_her2k_kernelIlLb0ELb0ELb1ELi32EdPKdPdEvbiT_T4_T5_S3_lS5_S3_lT6_S3_li, .Lfunc_end1002-_ZL26rocblas_syr2k_her2k_kernelIlLb0ELb0ELb1ELi32EdPKdPdEvbiT_T4_T5_S3_lS5_S3_lT6_S3_li
                                        ; -- End function
	.section	.AMDGPU.csdata,"",@progbits
; Kernel info:
; codeLenInByte = 1532
; NumSgprs: 34
; NumVgprs: 31
; ScratchSize: 0
; MemoryBound: 0
; FloatMode: 240
; IeeeMode: 1
; LDSByteSize: 16384 bytes/workgroup (compile time only)
; SGPRBlocks: 4
; VGPRBlocks: 3
; NumSGPRsForWavesPerEU: 34
; NumVGPRsForWavesPerEU: 31
; Occupancy: 16
; WaveLimiterHint : 0
; COMPUTE_PGM_RSRC2:SCRATCH_EN: 0
; COMPUTE_PGM_RSRC2:USER_SGPR: 13
; COMPUTE_PGM_RSRC2:TRAP_HANDLER: 0
; COMPUTE_PGM_RSRC2:TGID_X_EN: 1
; COMPUTE_PGM_RSRC2:TGID_Y_EN: 1
; COMPUTE_PGM_RSRC2:TGID_Z_EN: 1
; COMPUTE_PGM_RSRC2:TIDIG_COMP_CNT: 1
	.section	.text._ZL37rocblas_syrkx_herkx_restricted_kernelIldLi16ELi32ELi8ELi1ELi1ELb0ELc84ELc76EKddEviT_PT9_S1_lS3_S1_lPT10_S1_li,"axG",@progbits,_ZL37rocblas_syrkx_herkx_restricted_kernelIldLi16ELi32ELi8ELi1ELi1ELb0ELc84ELc76EKddEviT_PT9_S1_lS3_S1_lPT10_S1_li,comdat
	.globl	_ZL37rocblas_syrkx_herkx_restricted_kernelIldLi16ELi32ELi8ELi1ELi1ELb0ELc84ELc76EKddEviT_PT9_S1_lS3_S1_lPT10_S1_li ; -- Begin function _ZL37rocblas_syrkx_herkx_restricted_kernelIldLi16ELi32ELi8ELi1ELi1ELb0ELc84ELc76EKddEviT_PT9_S1_lS3_S1_lPT10_S1_li
	.p2align	8
	.type	_ZL37rocblas_syrkx_herkx_restricted_kernelIldLi16ELi32ELi8ELi1ELi1ELb0ELc84ELc76EKddEviT_PT9_S1_lS3_S1_lPT10_S1_li,@function
_ZL37rocblas_syrkx_herkx_restricted_kernelIldLi16ELi32ELi8ELi1ELi1ELb0ELc84ELc76EKddEviT_PT9_S1_lS3_S1_lPT10_S1_li: ; @_ZL37rocblas_syrkx_herkx_restricted_kernelIldLi16ELi32ELi8ELi1ELi1ELb0ELc84ELc76EKddEviT_PT9_S1_lS3_S1_lPT10_S1_li
; %bb.0:
	s_load_b512 s[16:31], s[0:1], 0x8
	v_mov_b32_e32 v10, 0
	v_dual_mov_b32 v11, 0 :: v_dual_and_b32 v12, 0x3ff, v0
	v_bfe_u32 v13, v0, 10, 10
	s_delay_alu instid0(VALU_DEP_3) | instskip(NEXT) | instid1(VALU_DEP_3)
	v_mov_b32_e32 v6, v10
	v_dual_mov_b32 v2, v10 :: v_dual_mov_b32 v3, v11
	v_dual_mov_b32 v7, v11 :: v_dual_mov_b32 v0, v10
	v_mov_b32_e32 v1, v11
	s_lshl_b32 s8, s13, 5
	s_lshl_b32 s9, s14, 5
	s_waitcnt lgkmcnt(0)
	v_cmp_lt_i64_e64 s2, s[16:17], 1
	s_delay_alu instid0(VALU_DEP_1)
	s_and_b32 vcc_lo, exec_lo, s2
	s_cbranch_vccnz .LBB1003_3
; %bb.1:
	v_lshl_add_u32 v2, v13, 4, v12
	v_dual_mov_b32 v1, 0 :: v_dual_and_b32 v0, 7, v12
	v_lshlrev_b32_e32 v14, 3, v12
	s_mul_i32 s3, s23, s15
	s_delay_alu instid0(VALU_DEP_3)
	v_and_b32_e32 v8, 31, v2
	v_lshrrev_b32_e32 v9, 3, v2
	v_lshrrev_b32_e32 v2, 5, v2
	v_mov_b32_e32 v3, v1
	v_lshlrev_b32_e32 v11, 3, v0
	v_add_nc_u32_e32 v6, s8, v8
	v_add_nc_u32_e32 v10, s9, v9
	s_mul_hi_u32 s4, s22, s15
	s_mul_i32 s2, s22, s15
	s_add_i32 s3, s4, s3
	v_ashrrev_i32_e32 v7, 31, v6
	v_ashrrev_i32_e32 v15, 31, v10
	v_mad_u64_u32 v[4:5], null, s20, v6, v[2:3]
	v_mul_lo_u32 v3, s21, v6
	s_delay_alu instid0(VALU_DEP_4)
	v_mul_lo_u32 v16, s20, v7
	v_mul_lo_u32 v17, v10, s27
	v_mad_u64_u32 v[6:7], null, v10, s26, v[0:1]
	v_mul_lo_u32 v0, v15, s26
	v_lshlrev_b32_e32 v1, 3, v8
	s_lshl_b64 s[2:3], s[2:3], 3
	s_mul_hi_u32 s5, s28, s15
	v_add3_u32 v5, v3, v5, v16
	s_add_u32 s4, s18, s2
	v_lshl_or_b32 v15, v2, 8, v1
	s_mul_i32 s2, s29, s15
	v_add3_u32 v7, v0, v7, v17
	v_lshlrev_b64 v[0:1], 3, v[4:5]
	s_addc_u32 s6, s19, s3
	s_add_i32 s3, s5, s2
	s_mul_i32 s2, s28, s15
	v_lshlrev_b64 v[2:3], 3, v[6:7]
	s_lshl_b64 s[2:3], s[2:3], 3
	v_add_co_u32 v4, vcc_lo, s4, v0
	v_add_co_ci_u32_e32 v5, vcc_lo, s6, v1, vcc_lo
	v_mov_b32_e32 v0, 0
	v_lshl_or_b32 v8, v9, 6, v11
	v_mov_b32_e32 v1, 0
	s_add_u32 s2, s24, s2
	s_addc_u32 s3, s25, s3
	v_lshl_add_u32 v17, v13, 6, 0x800
	s_delay_alu instid0(VALU_DEP_2)
	v_dual_mov_b32 v11, v1 :: v_dual_add_nc_u32 v16, 0x800, v8
	v_add_co_u32 v8, vcc_lo, s2, v2
	v_add_co_ci_u32_e32 v9, vcc_lo, s3, v3, vcc_lo
	v_mov_b32_e32 v3, v1
	v_dual_mov_b32 v7, v1 :: v_dual_mov_b32 v2, v0
	v_mov_b32_e32 v6, v0
	v_mov_b32_e32 v10, v0
	s_mov_b64 s[2:3], 0
.LBB1003_2:                             ; =>This Inner Loop Header: Depth=1
	global_load_b64 v[18:19], v[4:5], off
	global_load_b64 v[20:21], v[8:9], off
	s_add_u32 s2, s2, 8
	v_add_co_u32 v4, vcc_lo, v4, 64
	s_addc_u32 s3, s3, 0
	v_add_co_ci_u32_e32 v5, vcc_lo, 0, v5, vcc_lo
	v_cmp_ge_u64_e64 s4, s[2:3], s[16:17]
	v_add_co_u32 v8, vcc_lo, v8, 64
	v_add_co_ci_u32_e32 v9, vcc_lo, 0, v9, vcc_lo
	s_waitcnt vmcnt(1)
	ds_store_b64 v15, v[18:19]
	s_waitcnt vmcnt(0)
	ds_store_b64 v16, v[20:21]
	s_waitcnt lgkmcnt(0)
	s_barrier
	buffer_gl0_inv
	ds_load_2addr_b64 v[18:21], v14 offset1:16
	ds_load_b128 v[22:25], v17
	ds_load_b128 v[26:29], v17 offset:1024
	ds_load_b128 v[30:33], v17 offset:16
	;; [unrolled: 1-line block ×3, first 2 shown]
	s_and_b32 vcc_lo, exec_lo, s4
	s_waitcnt lgkmcnt(3)
	v_fma_f64 v[10:11], v[18:19], v[22:23], v[10:11]
	v_fma_f64 v[6:7], v[20:21], v[22:23], v[6:7]
	s_waitcnt lgkmcnt(2)
	v_fma_f64 v[18:19], v[18:19], v[26:27], v[2:3]
	v_fma_f64 v[20:21], v[20:21], v[26:27], v[0:1]
	ds_load_2addr_b64 v[0:3], v14 offset0:32 offset1:48
	s_waitcnt lgkmcnt(0)
	v_fma_f64 v[10:11], v[0:1], v[24:25], v[10:11]
	v_fma_f64 v[6:7], v[2:3], v[24:25], v[6:7]
	v_fma_f64 v[18:19], v[0:1], v[28:29], v[18:19]
	v_fma_f64 v[20:21], v[2:3], v[28:29], v[20:21]
	ds_load_2addr_b64 v[0:3], v14 offset0:64 offset1:80
	s_waitcnt lgkmcnt(0)
	v_fma_f64 v[10:11], v[0:1], v[30:31], v[10:11]
	v_fma_f64 v[6:7], v[2:3], v[30:31], v[6:7]
	;; [unrolled: 6-line block ×3, first 2 shown]
	v_fma_f64 v[34:35], v[0:1], v[36:37], v[18:19]
	v_fma_f64 v[36:37], v[2:3], v[36:37], v[20:21]
	ds_load_2addr_b64 v[0:3], v14 offset0:128 offset1:144
	ds_load_b128 v[18:21], v17 offset:32
	ds_load_b128 v[22:25], v17 offset:1056
	;; [unrolled: 1-line block ×4, first 2 shown]
	s_waitcnt lgkmcnt(3)
	v_fma_f64 v[10:11], v[0:1], v[18:19], v[10:11]
	v_fma_f64 v[6:7], v[2:3], v[18:19], v[6:7]
	s_waitcnt lgkmcnt(2)
	v_fma_f64 v[18:19], v[0:1], v[22:23], v[34:35]
	v_fma_f64 v[22:23], v[2:3], v[22:23], v[36:37]
	ds_load_2addr_b64 v[0:3], v14 offset0:160 offset1:176
	s_waitcnt lgkmcnt(0)
	v_fma_f64 v[10:11], v[0:1], v[20:21], v[10:11]
	v_fma_f64 v[6:7], v[2:3], v[20:21], v[6:7]
	;; [unrolled: 1-line block ×4, first 2 shown]
	ds_load_2addr_b64 v[0:3], v14 offset0:192 offset1:208
	s_waitcnt lgkmcnt(0)
	v_fma_f64 v[10:11], v[0:1], v[26:27], v[10:11]
	v_fma_f64 v[6:7], v[2:3], v[26:27], v[6:7]
	v_fma_f64 v[0:1], v[0:1], v[30:31], v[18:19]
	v_fma_f64 v[22:23], v[2:3], v[30:31], v[20:21]
	ds_load_2addr_b64 v[18:21], v14 offset0:224 offset1:240
	s_waitcnt lgkmcnt(0)
	s_barrier
	buffer_gl0_inv
	v_fma_f64 v[10:11], v[18:19], v[28:29], v[10:11]
	v_fma_f64 v[6:7], v[20:21], v[28:29], v[6:7]
	;; [unrolled: 1-line block ×4, first 2 shown]
	s_cbranch_vccz .LBB1003_2
.LBB1003_3:
	s_load_b128 s[4:7], s[0:1], 0x48
	v_add_nc_u32_e32 v13, s9, v13
	s_load_b32 s9, s[0:1], 0x0
	s_delay_alu instid0(VALU_DEP_1) | instskip(SKIP_1) | instid1(VALU_DEP_1)
	v_ashrrev_i32_e32 v4, 31, v13
	s_waitcnt lgkmcnt(0)
	v_mul_lo_u32 v5, v4, s4
	v_mul_lo_u32 v14, v13, s5
	v_mad_u64_u32 v[8:9], null, v13, s4, 0
	s_mul_i32 s1, s15, s7
	s_mul_hi_u32 s3, s15, s6
	s_mul_i32 s2, s15, s6
	s_add_i32 s3, s3, s1
	v_add_nc_u32_e32 v4, s8, v12
	s_lshl_b64 s[2:3], s[2:3], 3
	s_delay_alu instid0(VALU_DEP_2)
	v_add3_u32 v9, v9, v14, v5
	s_add_u32 s2, s30, s2
	s_addc_u32 s3, s31, s3
	v_cmp_le_i32_e64 s0, v13, v4
	v_cmp_gt_i32_e32 vcc_lo, s9, v4
	v_lshlrev_b64 v[8:9], 3, v[8:9]
	s_delay_alu instid0(VALU_DEP_3) | instskip(NEXT) | instid1(VALU_DEP_1)
	s_and_b32 s0, s0, vcc_lo
	v_add_co_u32 v12, s1, s2, v8
	s_delay_alu instid0(VALU_DEP_1)
	v_add_co_ci_u32_e64 v14, s1, s3, v9, s1
	s_and_saveexec_b32 s1, s0
	s_cbranch_execz .LBB1003_5
; %bb.4:
	v_ashrrev_i32_e32 v5, 31, v4
	s_delay_alu instid0(VALU_DEP_1) | instskip(NEXT) | instid1(VALU_DEP_1)
	v_lshlrev_b64 v[8:9], 3, v[4:5]
	v_add_co_u32 v8, s0, v12, v8
	s_delay_alu instid0(VALU_DEP_1)
	v_add_co_ci_u32_e64 v9, s0, v14, v9, s0
	global_load_b64 v[15:16], v[8:9], off
	s_waitcnt vmcnt(0)
	v_add_f64 v[10:11], v[10:11], v[15:16]
	global_store_b64 v[8:9], v[10:11], off
.LBB1003_5:
	s_or_b32 exec_lo, exec_lo, s1
	v_add_nc_u32_e32 v8, 16, v4
	s_delay_alu instid0(VALU_DEP_1) | instskip(SKIP_1) | instid1(VALU_DEP_1)
	v_cmp_le_i32_e64 s1, v13, v8
	v_cmp_gt_i32_e64 s0, s9, v8
	s_and_b32 s1, s1, s0
	s_delay_alu instid0(SALU_CYCLE_1)
	s_and_saveexec_b32 s6, s1
	s_cbranch_execz .LBB1003_7
; %bb.6:
	v_ashrrev_i32_e32 v9, 31, v8
	s_delay_alu instid0(VALU_DEP_1) | instskip(NEXT) | instid1(VALU_DEP_1)
	v_lshlrev_b64 v[9:10], 3, v[8:9]
	v_add_co_u32 v9, s1, v12, v9
	s_delay_alu instid0(VALU_DEP_1)
	v_add_co_ci_u32_e64 v10, s1, v14, v10, s1
	global_load_b64 v[11:12], v[9:10], off
	s_waitcnt vmcnt(0)
	v_add_f64 v[5:6], v[6:7], v[11:12]
	global_store_b64 v[9:10], v[5:6], off
.LBB1003_7:
	s_or_b32 exec_lo, exec_lo, s6
	v_add_nc_u32_e32 v6, 16, v13
	s_delay_alu instid0(VALU_DEP_1) | instskip(SKIP_3) | instid1(VALU_DEP_4)
	v_ashrrev_i32_e32 v5, 31, v6
	v_mul_lo_u32 v7, v6, s5
	v_mad_u64_u32 v[9:10], null, v6, s4, 0
	v_cmp_le_i32_e64 s1, v6, v4
	v_mul_lo_u32 v5, v5, s4
	s_delay_alu instid0(VALU_DEP_1) | instskip(NEXT) | instid1(VALU_DEP_1)
	v_add3_u32 v10, v10, v7, v5
	v_lshlrev_b64 v[9:10], 3, v[9:10]
	s_delay_alu instid0(VALU_DEP_1) | instskip(NEXT) | instid1(VALU_DEP_1)
	v_add_co_u32 v7, s2, s2, v9
	v_add_co_ci_u32_e64 v10, s2, s3, v10, s2
	s_and_b32 s2, s1, vcc_lo
	s_delay_alu instid0(SALU_CYCLE_1)
	s_and_saveexec_b32 s1, s2
	s_cbranch_execz .LBB1003_9
; %bb.8:
	v_ashrrev_i32_e32 v5, 31, v4
	s_delay_alu instid0(VALU_DEP_1) | instskip(NEXT) | instid1(VALU_DEP_1)
	v_lshlrev_b64 v[4:5], 3, v[4:5]
	v_add_co_u32 v4, vcc_lo, v7, v4
	s_delay_alu instid0(VALU_DEP_2)
	v_add_co_ci_u32_e32 v5, vcc_lo, v10, v5, vcc_lo
	global_load_b64 v[11:12], v[4:5], off
	s_waitcnt vmcnt(0)
	v_add_f64 v[2:3], v[2:3], v[11:12]
	global_store_b64 v[4:5], v[2:3], off
.LBB1003_9:
	s_or_b32 exec_lo, exec_lo, s1
	v_cmp_le_i32_e32 vcc_lo, v6, v8
	s_and_b32 s0, vcc_lo, s0
	s_delay_alu instid0(SALU_CYCLE_1)
	s_and_saveexec_b32 s1, s0
	s_cbranch_execz .LBB1003_11
; %bb.10:
	v_ashrrev_i32_e32 v9, 31, v8
	s_delay_alu instid0(VALU_DEP_1) | instskip(NEXT) | instid1(VALU_DEP_1)
	v_lshlrev_b64 v[2:3], 3, v[8:9]
	v_add_co_u32 v2, vcc_lo, v7, v2
	s_delay_alu instid0(VALU_DEP_2)
	v_add_co_ci_u32_e32 v3, vcc_lo, v10, v3, vcc_lo
	global_load_b64 v[4:5], v[2:3], off
	s_waitcnt vmcnt(0)
	v_add_f64 v[0:1], v[0:1], v[4:5]
	global_store_b64 v[2:3], v[0:1], off
.LBB1003_11:
	s_nop 0
	s_sendmsg sendmsg(MSG_DEALLOC_VGPRS)
	s_endpgm
	.section	.rodata,"a",@progbits
	.p2align	6, 0x0
	.amdhsa_kernel _ZL37rocblas_syrkx_herkx_restricted_kernelIldLi16ELi32ELi8ELi1ELi1ELb0ELc84ELc76EKddEviT_PT9_S1_lS3_S1_lPT10_S1_li
		.amdhsa_group_segment_fixed_size 4096
		.amdhsa_private_segment_fixed_size 0
		.amdhsa_kernarg_size 92
		.amdhsa_user_sgpr_count 13
		.amdhsa_user_sgpr_dispatch_ptr 0
		.amdhsa_user_sgpr_queue_ptr 0
		.amdhsa_user_sgpr_kernarg_segment_ptr 1
		.amdhsa_user_sgpr_dispatch_id 0
		.amdhsa_user_sgpr_private_segment_size 0
		.amdhsa_wavefront_size32 1
		.amdhsa_uses_dynamic_stack 0
		.amdhsa_enable_private_segment 0
		.amdhsa_system_sgpr_workgroup_id_x 1
		.amdhsa_system_sgpr_workgroup_id_y 1
		.amdhsa_system_sgpr_workgroup_id_z 1
		.amdhsa_system_sgpr_workgroup_info 0
		.amdhsa_system_vgpr_workitem_id 1
		.amdhsa_next_free_vgpr 38
		.amdhsa_next_free_sgpr 32
		.amdhsa_reserve_vcc 1
		.amdhsa_float_round_mode_32 0
		.amdhsa_float_round_mode_16_64 0
		.amdhsa_float_denorm_mode_32 3
		.amdhsa_float_denorm_mode_16_64 3
		.amdhsa_dx10_clamp 1
		.amdhsa_ieee_mode 1
		.amdhsa_fp16_overflow 0
		.amdhsa_workgroup_processor_mode 1
		.amdhsa_memory_ordered 1
		.amdhsa_forward_progress 0
		.amdhsa_shared_vgpr_count 0
		.amdhsa_exception_fp_ieee_invalid_op 0
		.amdhsa_exception_fp_denorm_src 0
		.amdhsa_exception_fp_ieee_div_zero 0
		.amdhsa_exception_fp_ieee_overflow 0
		.amdhsa_exception_fp_ieee_underflow 0
		.amdhsa_exception_fp_ieee_inexact 0
		.amdhsa_exception_int_div_zero 0
	.end_amdhsa_kernel
	.section	.text._ZL37rocblas_syrkx_herkx_restricted_kernelIldLi16ELi32ELi8ELi1ELi1ELb0ELc84ELc76EKddEviT_PT9_S1_lS3_S1_lPT10_S1_li,"axG",@progbits,_ZL37rocblas_syrkx_herkx_restricted_kernelIldLi16ELi32ELi8ELi1ELi1ELb0ELc84ELc76EKddEviT_PT9_S1_lS3_S1_lPT10_S1_li,comdat
.Lfunc_end1003:
	.size	_ZL37rocblas_syrkx_herkx_restricted_kernelIldLi16ELi32ELi8ELi1ELi1ELb0ELc84ELc76EKddEviT_PT9_S1_lS3_S1_lPT10_S1_li, .Lfunc_end1003-_ZL37rocblas_syrkx_herkx_restricted_kernelIldLi16ELi32ELi8ELi1ELi1ELb0ELc84ELc76EKddEviT_PT9_S1_lS3_S1_lPT10_S1_li
                                        ; -- End function
	.section	.AMDGPU.csdata,"",@progbits
; Kernel info:
; codeLenInByte = 1524
; NumSgprs: 34
; NumVgprs: 38
; ScratchSize: 0
; MemoryBound: 0
; FloatMode: 240
; IeeeMode: 1
; LDSByteSize: 4096 bytes/workgroup (compile time only)
; SGPRBlocks: 4
; VGPRBlocks: 4
; NumSGPRsForWavesPerEU: 34
; NumVGPRsForWavesPerEU: 38
; Occupancy: 16
; WaveLimiterHint : 1
; COMPUTE_PGM_RSRC2:SCRATCH_EN: 0
; COMPUTE_PGM_RSRC2:USER_SGPR: 13
; COMPUTE_PGM_RSRC2:TRAP_HANDLER: 0
; COMPUTE_PGM_RSRC2:TGID_X_EN: 1
; COMPUTE_PGM_RSRC2:TGID_Y_EN: 1
; COMPUTE_PGM_RSRC2:TGID_Z_EN: 1
; COMPUTE_PGM_RSRC2:TIDIG_COMP_CNT: 1
	.section	.text._ZL37rocblas_syrkx_herkx_restricted_kernelIldLi16ELi32ELi8ELi1ELi1ELb0ELc67ELc76EKddEviT_PT9_S1_lS3_S1_lPT10_S1_li,"axG",@progbits,_ZL37rocblas_syrkx_herkx_restricted_kernelIldLi16ELi32ELi8ELi1ELi1ELb0ELc67ELc76EKddEviT_PT9_S1_lS3_S1_lPT10_S1_li,comdat
	.globl	_ZL37rocblas_syrkx_herkx_restricted_kernelIldLi16ELi32ELi8ELi1ELi1ELb0ELc67ELc76EKddEviT_PT9_S1_lS3_S1_lPT10_S1_li ; -- Begin function _ZL37rocblas_syrkx_herkx_restricted_kernelIldLi16ELi32ELi8ELi1ELi1ELb0ELc67ELc76EKddEviT_PT9_S1_lS3_S1_lPT10_S1_li
	.p2align	8
	.type	_ZL37rocblas_syrkx_herkx_restricted_kernelIldLi16ELi32ELi8ELi1ELi1ELb0ELc67ELc76EKddEviT_PT9_S1_lS3_S1_lPT10_S1_li,@function
_ZL37rocblas_syrkx_herkx_restricted_kernelIldLi16ELi32ELi8ELi1ELi1ELb0ELc67ELc76EKddEviT_PT9_S1_lS3_S1_lPT10_S1_li: ; @_ZL37rocblas_syrkx_herkx_restricted_kernelIldLi16ELi32ELi8ELi1ELi1ELb0ELc67ELc76EKddEviT_PT9_S1_lS3_S1_lPT10_S1_li
; %bb.0:
	s_load_b512 s[16:31], s[0:1], 0x8
	v_mov_b32_e32 v10, 0
	v_dual_mov_b32 v11, 0 :: v_dual_and_b32 v12, 0x3ff, v0
	v_bfe_u32 v13, v0, 10, 10
	s_delay_alu instid0(VALU_DEP_3) | instskip(NEXT) | instid1(VALU_DEP_3)
	v_mov_b32_e32 v6, v10
	v_dual_mov_b32 v2, v10 :: v_dual_mov_b32 v3, v11
	v_dual_mov_b32 v7, v11 :: v_dual_mov_b32 v0, v10
	v_mov_b32_e32 v1, v11
	s_lshl_b32 s8, s13, 5
	s_lshl_b32 s9, s14, 5
	s_waitcnt lgkmcnt(0)
	v_cmp_lt_i64_e64 s2, s[16:17], 1
	s_delay_alu instid0(VALU_DEP_1)
	s_and_b32 vcc_lo, exec_lo, s2
	s_cbranch_vccnz .LBB1004_3
; %bb.1:
	v_lshl_add_u32 v2, v13, 4, v12
	v_dual_mov_b32 v1, 0 :: v_dual_and_b32 v0, 7, v12
	v_lshlrev_b32_e32 v14, 3, v12
	s_mul_i32 s3, s23, s15
	s_delay_alu instid0(VALU_DEP_3)
	v_and_b32_e32 v8, 31, v2
	v_lshrrev_b32_e32 v9, 3, v2
	v_lshrrev_b32_e32 v2, 5, v2
	v_mov_b32_e32 v3, v1
	v_lshlrev_b32_e32 v11, 3, v0
	v_add_nc_u32_e32 v6, s8, v8
	v_add_nc_u32_e32 v10, s9, v9
	s_mul_hi_u32 s4, s22, s15
	s_mul_i32 s2, s22, s15
	s_add_i32 s3, s4, s3
	v_ashrrev_i32_e32 v7, 31, v6
	v_ashrrev_i32_e32 v15, 31, v10
	v_mad_u64_u32 v[4:5], null, s20, v6, v[2:3]
	v_mul_lo_u32 v3, s21, v6
	s_delay_alu instid0(VALU_DEP_4)
	v_mul_lo_u32 v16, s20, v7
	v_mul_lo_u32 v17, v10, s27
	v_mad_u64_u32 v[6:7], null, v10, s26, v[0:1]
	v_mul_lo_u32 v0, v15, s26
	v_lshlrev_b32_e32 v1, 3, v8
	s_lshl_b64 s[2:3], s[2:3], 3
	s_mul_hi_u32 s5, s28, s15
	v_add3_u32 v5, v3, v5, v16
	s_add_u32 s4, s18, s2
	v_lshl_or_b32 v15, v2, 8, v1
	s_mul_i32 s2, s29, s15
	v_add3_u32 v7, v0, v7, v17
	v_lshlrev_b64 v[0:1], 3, v[4:5]
	s_addc_u32 s6, s19, s3
	s_add_i32 s3, s5, s2
	s_mul_i32 s2, s28, s15
	v_lshlrev_b64 v[2:3], 3, v[6:7]
	s_lshl_b64 s[2:3], s[2:3], 3
	v_add_co_u32 v4, vcc_lo, s4, v0
	v_add_co_ci_u32_e32 v5, vcc_lo, s6, v1, vcc_lo
	v_mov_b32_e32 v0, 0
	v_lshl_or_b32 v8, v9, 6, v11
	v_mov_b32_e32 v1, 0
	s_add_u32 s2, s24, s2
	s_addc_u32 s3, s25, s3
	v_lshl_add_u32 v17, v13, 6, 0x800
	s_delay_alu instid0(VALU_DEP_2)
	v_dual_mov_b32 v11, v1 :: v_dual_add_nc_u32 v16, 0x800, v8
	v_add_co_u32 v8, vcc_lo, s2, v2
	v_add_co_ci_u32_e32 v9, vcc_lo, s3, v3, vcc_lo
	v_mov_b32_e32 v3, v1
	v_dual_mov_b32 v7, v1 :: v_dual_mov_b32 v2, v0
	v_mov_b32_e32 v6, v0
	v_mov_b32_e32 v10, v0
	s_mov_b64 s[2:3], 0
.LBB1004_2:                             ; =>This Inner Loop Header: Depth=1
	global_load_b64 v[18:19], v[4:5], off
	global_load_b64 v[20:21], v[8:9], off
	s_add_u32 s2, s2, 8
	v_add_co_u32 v4, vcc_lo, v4, 64
	s_addc_u32 s3, s3, 0
	v_add_co_ci_u32_e32 v5, vcc_lo, 0, v5, vcc_lo
	v_cmp_ge_u64_e64 s4, s[2:3], s[16:17]
	v_add_co_u32 v8, vcc_lo, v8, 64
	v_add_co_ci_u32_e32 v9, vcc_lo, 0, v9, vcc_lo
	s_waitcnt vmcnt(1)
	ds_store_b64 v15, v[18:19]
	s_waitcnt vmcnt(0)
	ds_store_b64 v16, v[20:21]
	s_waitcnt lgkmcnt(0)
	s_barrier
	buffer_gl0_inv
	ds_load_2addr_b64 v[18:21], v14 offset1:16
	ds_load_b128 v[22:25], v17
	ds_load_b128 v[26:29], v17 offset:1024
	ds_load_b128 v[30:33], v17 offset:16
	;; [unrolled: 1-line block ×3, first 2 shown]
	s_and_b32 vcc_lo, exec_lo, s4
	s_waitcnt lgkmcnt(3)
	v_fma_f64 v[10:11], v[18:19], v[22:23], v[10:11]
	v_fma_f64 v[6:7], v[20:21], v[22:23], v[6:7]
	s_waitcnt lgkmcnt(2)
	v_fma_f64 v[18:19], v[18:19], v[26:27], v[2:3]
	v_fma_f64 v[20:21], v[20:21], v[26:27], v[0:1]
	ds_load_2addr_b64 v[0:3], v14 offset0:32 offset1:48
	s_waitcnt lgkmcnt(0)
	v_fma_f64 v[10:11], v[0:1], v[24:25], v[10:11]
	v_fma_f64 v[6:7], v[2:3], v[24:25], v[6:7]
	v_fma_f64 v[18:19], v[0:1], v[28:29], v[18:19]
	v_fma_f64 v[20:21], v[2:3], v[28:29], v[20:21]
	ds_load_2addr_b64 v[0:3], v14 offset0:64 offset1:80
	s_waitcnt lgkmcnt(0)
	v_fma_f64 v[10:11], v[0:1], v[30:31], v[10:11]
	v_fma_f64 v[6:7], v[2:3], v[30:31], v[6:7]
	v_fma_f64 v[18:19], v[0:1], v[34:35], v[18:19]
	v_fma_f64 v[20:21], v[2:3], v[34:35], v[20:21]
	ds_load_2addr_b64 v[0:3], v14 offset0:96 offset1:112
	s_waitcnt lgkmcnt(0)
	v_fma_f64 v[10:11], v[0:1], v[32:33], v[10:11]
	v_fma_f64 v[6:7], v[2:3], v[32:33], v[6:7]
	v_fma_f64 v[34:35], v[0:1], v[36:37], v[18:19]
	v_fma_f64 v[36:37], v[2:3], v[36:37], v[20:21]
	ds_load_2addr_b64 v[0:3], v14 offset0:128 offset1:144
	ds_load_b128 v[18:21], v17 offset:32
	ds_load_b128 v[22:25], v17 offset:1056
	ds_load_b128 v[26:29], v17 offset:48
	ds_load_b128 v[30:33], v17 offset:1072
	s_waitcnt lgkmcnt(3)
	v_fma_f64 v[10:11], v[0:1], v[18:19], v[10:11]
	v_fma_f64 v[6:7], v[2:3], v[18:19], v[6:7]
	s_waitcnt lgkmcnt(2)
	v_fma_f64 v[18:19], v[0:1], v[22:23], v[34:35]
	v_fma_f64 v[22:23], v[2:3], v[22:23], v[36:37]
	ds_load_2addr_b64 v[0:3], v14 offset0:160 offset1:176
	s_waitcnt lgkmcnt(0)
	v_fma_f64 v[10:11], v[0:1], v[20:21], v[10:11]
	v_fma_f64 v[6:7], v[2:3], v[20:21], v[6:7]
	;; [unrolled: 1-line block ×4, first 2 shown]
	ds_load_2addr_b64 v[0:3], v14 offset0:192 offset1:208
	s_waitcnt lgkmcnt(0)
	v_fma_f64 v[10:11], v[0:1], v[26:27], v[10:11]
	v_fma_f64 v[6:7], v[2:3], v[26:27], v[6:7]
	;; [unrolled: 1-line block ×4, first 2 shown]
	ds_load_2addr_b64 v[18:21], v14 offset0:224 offset1:240
	s_waitcnt lgkmcnt(0)
	s_barrier
	buffer_gl0_inv
	v_fma_f64 v[10:11], v[18:19], v[28:29], v[10:11]
	v_fma_f64 v[6:7], v[20:21], v[28:29], v[6:7]
	;; [unrolled: 1-line block ×4, first 2 shown]
	s_cbranch_vccz .LBB1004_2
.LBB1004_3:
	s_load_b128 s[4:7], s[0:1], 0x48
	v_add_nc_u32_e32 v13, s9, v13
	s_load_b32 s9, s[0:1], 0x0
	s_delay_alu instid0(VALU_DEP_1) | instskip(SKIP_1) | instid1(VALU_DEP_1)
	v_ashrrev_i32_e32 v4, 31, v13
	s_waitcnt lgkmcnt(0)
	v_mul_lo_u32 v5, v4, s4
	v_mul_lo_u32 v14, v13, s5
	v_mad_u64_u32 v[8:9], null, v13, s4, 0
	s_mul_i32 s1, s15, s7
	s_mul_hi_u32 s3, s15, s6
	s_mul_i32 s2, s15, s6
	s_add_i32 s3, s3, s1
	v_add_nc_u32_e32 v4, s8, v12
	s_lshl_b64 s[2:3], s[2:3], 3
	s_delay_alu instid0(VALU_DEP_2)
	v_add3_u32 v9, v9, v14, v5
	s_add_u32 s2, s30, s2
	s_addc_u32 s3, s31, s3
	v_cmp_le_i32_e64 s0, v13, v4
	v_cmp_gt_i32_e32 vcc_lo, s9, v4
	v_lshlrev_b64 v[8:9], 3, v[8:9]
	s_delay_alu instid0(VALU_DEP_3) | instskip(NEXT) | instid1(VALU_DEP_1)
	s_and_b32 s0, s0, vcc_lo
	v_add_co_u32 v12, s1, s2, v8
	s_delay_alu instid0(VALU_DEP_1)
	v_add_co_ci_u32_e64 v14, s1, s3, v9, s1
	s_and_saveexec_b32 s1, s0
	s_cbranch_execz .LBB1004_5
; %bb.4:
	v_ashrrev_i32_e32 v5, 31, v4
	s_delay_alu instid0(VALU_DEP_1) | instskip(NEXT) | instid1(VALU_DEP_1)
	v_lshlrev_b64 v[8:9], 3, v[4:5]
	v_add_co_u32 v8, s0, v12, v8
	s_delay_alu instid0(VALU_DEP_1)
	v_add_co_ci_u32_e64 v9, s0, v14, v9, s0
	global_load_b64 v[15:16], v[8:9], off
	s_waitcnt vmcnt(0)
	v_add_f64 v[10:11], v[10:11], v[15:16]
	global_store_b64 v[8:9], v[10:11], off
.LBB1004_5:
	s_or_b32 exec_lo, exec_lo, s1
	v_add_nc_u32_e32 v8, 16, v4
	s_delay_alu instid0(VALU_DEP_1) | instskip(SKIP_1) | instid1(VALU_DEP_1)
	v_cmp_le_i32_e64 s1, v13, v8
	v_cmp_gt_i32_e64 s0, s9, v8
	s_and_b32 s1, s1, s0
	s_delay_alu instid0(SALU_CYCLE_1)
	s_and_saveexec_b32 s6, s1
	s_cbranch_execz .LBB1004_7
; %bb.6:
	v_ashrrev_i32_e32 v9, 31, v8
	s_delay_alu instid0(VALU_DEP_1) | instskip(NEXT) | instid1(VALU_DEP_1)
	v_lshlrev_b64 v[9:10], 3, v[8:9]
	v_add_co_u32 v9, s1, v12, v9
	s_delay_alu instid0(VALU_DEP_1)
	v_add_co_ci_u32_e64 v10, s1, v14, v10, s1
	global_load_b64 v[11:12], v[9:10], off
	s_waitcnt vmcnt(0)
	v_add_f64 v[5:6], v[6:7], v[11:12]
	global_store_b64 v[9:10], v[5:6], off
.LBB1004_7:
	s_or_b32 exec_lo, exec_lo, s6
	v_add_nc_u32_e32 v6, 16, v13
	s_delay_alu instid0(VALU_DEP_1) | instskip(SKIP_3) | instid1(VALU_DEP_4)
	v_ashrrev_i32_e32 v5, 31, v6
	v_mul_lo_u32 v7, v6, s5
	v_mad_u64_u32 v[9:10], null, v6, s4, 0
	v_cmp_le_i32_e64 s1, v6, v4
	v_mul_lo_u32 v5, v5, s4
	s_delay_alu instid0(VALU_DEP_1) | instskip(NEXT) | instid1(VALU_DEP_1)
	v_add3_u32 v10, v10, v7, v5
	v_lshlrev_b64 v[9:10], 3, v[9:10]
	s_delay_alu instid0(VALU_DEP_1) | instskip(NEXT) | instid1(VALU_DEP_1)
	v_add_co_u32 v7, s2, s2, v9
	v_add_co_ci_u32_e64 v10, s2, s3, v10, s2
	s_and_b32 s2, s1, vcc_lo
	s_delay_alu instid0(SALU_CYCLE_1)
	s_and_saveexec_b32 s1, s2
	s_cbranch_execz .LBB1004_9
; %bb.8:
	v_ashrrev_i32_e32 v5, 31, v4
	s_delay_alu instid0(VALU_DEP_1) | instskip(NEXT) | instid1(VALU_DEP_1)
	v_lshlrev_b64 v[4:5], 3, v[4:5]
	v_add_co_u32 v4, vcc_lo, v7, v4
	s_delay_alu instid0(VALU_DEP_2)
	v_add_co_ci_u32_e32 v5, vcc_lo, v10, v5, vcc_lo
	global_load_b64 v[11:12], v[4:5], off
	s_waitcnt vmcnt(0)
	v_add_f64 v[2:3], v[2:3], v[11:12]
	global_store_b64 v[4:5], v[2:3], off
.LBB1004_9:
	s_or_b32 exec_lo, exec_lo, s1
	v_cmp_le_i32_e32 vcc_lo, v6, v8
	s_and_b32 s0, vcc_lo, s0
	s_delay_alu instid0(SALU_CYCLE_1)
	s_and_saveexec_b32 s1, s0
	s_cbranch_execz .LBB1004_11
; %bb.10:
	v_ashrrev_i32_e32 v9, 31, v8
	s_delay_alu instid0(VALU_DEP_1) | instskip(NEXT) | instid1(VALU_DEP_1)
	v_lshlrev_b64 v[2:3], 3, v[8:9]
	v_add_co_u32 v2, vcc_lo, v7, v2
	s_delay_alu instid0(VALU_DEP_2)
	v_add_co_ci_u32_e32 v3, vcc_lo, v10, v3, vcc_lo
	global_load_b64 v[4:5], v[2:3], off
	s_waitcnt vmcnt(0)
	v_add_f64 v[0:1], v[0:1], v[4:5]
	global_store_b64 v[2:3], v[0:1], off
.LBB1004_11:
	s_nop 0
	s_sendmsg sendmsg(MSG_DEALLOC_VGPRS)
	s_endpgm
	.section	.rodata,"a",@progbits
	.p2align	6, 0x0
	.amdhsa_kernel _ZL37rocblas_syrkx_herkx_restricted_kernelIldLi16ELi32ELi8ELi1ELi1ELb0ELc67ELc76EKddEviT_PT9_S1_lS3_S1_lPT10_S1_li
		.amdhsa_group_segment_fixed_size 4096
		.amdhsa_private_segment_fixed_size 0
		.amdhsa_kernarg_size 92
		.amdhsa_user_sgpr_count 13
		.amdhsa_user_sgpr_dispatch_ptr 0
		.amdhsa_user_sgpr_queue_ptr 0
		.amdhsa_user_sgpr_kernarg_segment_ptr 1
		.amdhsa_user_sgpr_dispatch_id 0
		.amdhsa_user_sgpr_private_segment_size 0
		.amdhsa_wavefront_size32 1
		.amdhsa_uses_dynamic_stack 0
		.amdhsa_enable_private_segment 0
		.amdhsa_system_sgpr_workgroup_id_x 1
		.amdhsa_system_sgpr_workgroup_id_y 1
		.amdhsa_system_sgpr_workgroup_id_z 1
		.amdhsa_system_sgpr_workgroup_info 0
		.amdhsa_system_vgpr_workitem_id 1
		.amdhsa_next_free_vgpr 38
		.amdhsa_next_free_sgpr 32
		.amdhsa_reserve_vcc 1
		.amdhsa_float_round_mode_32 0
		.amdhsa_float_round_mode_16_64 0
		.amdhsa_float_denorm_mode_32 3
		.amdhsa_float_denorm_mode_16_64 3
		.amdhsa_dx10_clamp 1
		.amdhsa_ieee_mode 1
		.amdhsa_fp16_overflow 0
		.amdhsa_workgroup_processor_mode 1
		.amdhsa_memory_ordered 1
		.amdhsa_forward_progress 0
		.amdhsa_shared_vgpr_count 0
		.amdhsa_exception_fp_ieee_invalid_op 0
		.amdhsa_exception_fp_denorm_src 0
		.amdhsa_exception_fp_ieee_div_zero 0
		.amdhsa_exception_fp_ieee_overflow 0
		.amdhsa_exception_fp_ieee_underflow 0
		.amdhsa_exception_fp_ieee_inexact 0
		.amdhsa_exception_int_div_zero 0
	.end_amdhsa_kernel
	.section	.text._ZL37rocblas_syrkx_herkx_restricted_kernelIldLi16ELi32ELi8ELi1ELi1ELb0ELc67ELc76EKddEviT_PT9_S1_lS3_S1_lPT10_S1_li,"axG",@progbits,_ZL37rocblas_syrkx_herkx_restricted_kernelIldLi16ELi32ELi8ELi1ELi1ELb0ELc67ELc76EKddEviT_PT9_S1_lS3_S1_lPT10_S1_li,comdat
.Lfunc_end1004:
	.size	_ZL37rocblas_syrkx_herkx_restricted_kernelIldLi16ELi32ELi8ELi1ELi1ELb0ELc67ELc76EKddEviT_PT9_S1_lS3_S1_lPT10_S1_li, .Lfunc_end1004-_ZL37rocblas_syrkx_herkx_restricted_kernelIldLi16ELi32ELi8ELi1ELi1ELb0ELc67ELc76EKddEviT_PT9_S1_lS3_S1_lPT10_S1_li
                                        ; -- End function
	.section	.AMDGPU.csdata,"",@progbits
; Kernel info:
; codeLenInByte = 1524
; NumSgprs: 34
; NumVgprs: 38
; ScratchSize: 0
; MemoryBound: 0
; FloatMode: 240
; IeeeMode: 1
; LDSByteSize: 4096 bytes/workgroup (compile time only)
; SGPRBlocks: 4
; VGPRBlocks: 4
; NumSGPRsForWavesPerEU: 34
; NumVGPRsForWavesPerEU: 38
; Occupancy: 16
; WaveLimiterHint : 1
; COMPUTE_PGM_RSRC2:SCRATCH_EN: 0
; COMPUTE_PGM_RSRC2:USER_SGPR: 13
; COMPUTE_PGM_RSRC2:TRAP_HANDLER: 0
; COMPUTE_PGM_RSRC2:TGID_X_EN: 1
; COMPUTE_PGM_RSRC2:TGID_Y_EN: 1
; COMPUTE_PGM_RSRC2:TGID_Z_EN: 1
; COMPUTE_PGM_RSRC2:TIDIG_COMP_CNT: 1
	.section	.text._ZL37rocblas_syrkx_herkx_restricted_kernelIldLi16ELi32ELi8ELi1ELi1ELb0ELc78ELc76EKddEviT_PT9_S1_lS3_S1_lPT10_S1_li,"axG",@progbits,_ZL37rocblas_syrkx_herkx_restricted_kernelIldLi16ELi32ELi8ELi1ELi1ELb0ELc78ELc76EKddEviT_PT9_S1_lS3_S1_lPT10_S1_li,comdat
	.globl	_ZL37rocblas_syrkx_herkx_restricted_kernelIldLi16ELi32ELi8ELi1ELi1ELb0ELc78ELc76EKddEviT_PT9_S1_lS3_S1_lPT10_S1_li ; -- Begin function _ZL37rocblas_syrkx_herkx_restricted_kernelIldLi16ELi32ELi8ELi1ELi1ELb0ELc78ELc76EKddEviT_PT9_S1_lS3_S1_lPT10_S1_li
	.p2align	8
	.type	_ZL37rocblas_syrkx_herkx_restricted_kernelIldLi16ELi32ELi8ELi1ELi1ELb0ELc78ELc76EKddEviT_PT9_S1_lS3_S1_lPT10_S1_li,@function
_ZL37rocblas_syrkx_herkx_restricted_kernelIldLi16ELi32ELi8ELi1ELi1ELb0ELc78ELc76EKddEviT_PT9_S1_lS3_S1_lPT10_S1_li: ; @_ZL37rocblas_syrkx_herkx_restricted_kernelIldLi16ELi32ELi8ELi1ELi1ELb0ELc78ELc76EKddEviT_PT9_S1_lS3_S1_lPT10_S1_li
; %bb.0:
	s_load_b512 s[16:31], s[0:1], 0x8
	v_mov_b32_e32 v10, 0
	v_dual_mov_b32 v11, 0 :: v_dual_and_b32 v12, 0x3ff, v0
	v_bfe_u32 v13, v0, 10, 10
	s_delay_alu instid0(VALU_DEP_3) | instskip(NEXT) | instid1(VALU_DEP_3)
	v_mov_b32_e32 v6, v10
	v_dual_mov_b32 v2, v10 :: v_dual_mov_b32 v3, v11
	v_dual_mov_b32 v7, v11 :: v_dual_mov_b32 v0, v10
	v_mov_b32_e32 v1, v11
	s_lshl_b32 s8, s13, 5
	s_lshl_b32 s9, s14, 5
	s_waitcnt lgkmcnt(0)
	v_cmp_lt_i64_e64 s2, s[16:17], 1
	s_delay_alu instid0(VALU_DEP_1)
	s_and_b32 vcc_lo, exec_lo, s2
	s_cbranch_vccnz .LBB1005_3
; %bb.1:
	v_lshl_add_u32 v1, v13, 4, v12
	v_and_b32_e32 v11, 7, v12
	s_mul_i32 s3, s23, s15
	s_mul_hi_u32 s5, s22, s15
	s_mul_i32 s2, s22, s15
	v_and_b32_e32 v10, 31, v1
	v_lshrrev_b32_e32 v16, 3, v1
	v_lshrrev_b32_e32 v17, 5, v1
	s_add_i32 s3, s5, s3
	s_mul_i32 s6, s29, s15
	v_add_nc_u32_e32 v0, s8, v10
	v_add_nc_u32_e32 v2, s9, v16
	s_lshl_b64 s[2:3], s[2:3], 3
	s_mul_hi_u32 s7, s28, s15
	s_add_u32 s10, s18, s2
	v_ashrrev_i32_e32 v1, 31, v0
	v_ashrrev_i32_e32 v3, 31, v2
	s_mul_i32 s4, s28, s15
	s_addc_u32 s11, s19, s3
	s_add_i32 s5, s7, s6
	v_mad_u64_u32 v[4:5], null, v17, s20, v[0:1]
	v_mov_b32_e32 v0, 0
	v_mad_u64_u32 v[6:7], null, v11, s26, v[2:3]
	v_dual_mov_b32 v1, 0 :: v_dual_lshlrev_b32 v14, 3, v12
	v_lshlrev_b32_e32 v18, 3, v11
	v_mov_b32_e32 v2, v5
	s_lshl_b64 s[4:5], s[4:5], 3
	s_lshl_b64 s[2:3], s[20:21], 6
	s_delay_alu instid0(VALU_DEP_4)
	v_mov_b32_e32 v3, v7
	s_add_u32 s4, s24, s4
	s_addc_u32 s5, s25, s5
	v_lshl_add_u32 v15, v13, 6, 0x800
	s_mov_b64 s[6:7], 0
	v_mad_u64_u32 v[7:8], null, v17, s21, v[2:3]
	v_mad_u64_u32 v[8:9], null, v11, s27, v[3:4]
	v_lshlrev_b32_e32 v9, 3, v10
	s_delay_alu instid0(VALU_DEP_3) | instskip(NEXT) | instid1(VALU_DEP_3)
	v_mov_b32_e32 v5, v7
	v_mov_b32_e32 v7, v8
	s_delay_alu instid0(VALU_DEP_2) | instskip(NEXT) | instid1(VALU_DEP_2)
	v_lshlrev_b64 v[2:3], 3, v[4:5]
	v_lshlrev_b64 v[6:7], 3, v[6:7]
	s_delay_alu instid0(VALU_DEP_2) | instskip(NEXT) | instid1(VALU_DEP_3)
	v_add_co_u32 v4, vcc_lo, s10, v2
	v_add_co_ci_u32_e32 v5, vcc_lo, s11, v3, vcc_lo
	v_mov_b32_e32 v3, v1
	v_lshl_or_b32 v10, v16, 6, v18
	v_add_co_u32 v8, vcc_lo, s4, v6
	v_lshl_or_b32 v16, v17, 8, v9
	v_add_co_ci_u32_e32 v9, vcc_lo, s5, v7, vcc_lo
	s_delay_alu instid0(VALU_DEP_4)
	v_dual_mov_b32 v2, v0 :: v_dual_add_nc_u32 v17, 0x800, v10
	v_dual_mov_b32 v7, v1 :: v_dual_mov_b32 v6, v0
	v_dual_mov_b32 v11, v1 :: v_dual_mov_b32 v10, v0
	s_lshl_b64 s[4:5], s[26:27], 6
.LBB1005_2:                             ; =>This Inner Loop Header: Depth=1
	global_load_b64 v[18:19], v[4:5], off
	global_load_b64 v[20:21], v[8:9], off
	s_add_u32 s6, s6, 8
	v_add_co_u32 v4, vcc_lo, v4, s2
	s_addc_u32 s7, s7, 0
	v_add_co_ci_u32_e32 v5, vcc_lo, s3, v5, vcc_lo
	v_cmp_ge_u64_e64 s10, s[6:7], s[16:17]
	v_add_co_u32 v8, vcc_lo, v8, s4
	v_add_co_ci_u32_e32 v9, vcc_lo, s5, v9, vcc_lo
	s_waitcnt vmcnt(1)
	ds_store_b64 v16, v[18:19]
	s_waitcnt vmcnt(0)
	ds_store_b64 v17, v[20:21]
	s_waitcnt lgkmcnt(0)
	s_barrier
	buffer_gl0_inv
	ds_load_2addr_b64 v[18:21], v14 offset1:16
	ds_load_b128 v[22:25], v15
	ds_load_b128 v[26:29], v15 offset:1024
	ds_load_b128 v[30:33], v15 offset:16
	;; [unrolled: 1-line block ×3, first 2 shown]
	s_and_b32 vcc_lo, exec_lo, s10
	s_waitcnt lgkmcnt(3)
	v_fma_f64 v[10:11], v[18:19], v[22:23], v[10:11]
	v_fma_f64 v[6:7], v[20:21], v[22:23], v[6:7]
	s_waitcnt lgkmcnt(2)
	v_fma_f64 v[18:19], v[18:19], v[26:27], v[2:3]
	v_fma_f64 v[20:21], v[20:21], v[26:27], v[0:1]
	ds_load_2addr_b64 v[0:3], v14 offset0:32 offset1:48
	s_waitcnt lgkmcnt(0)
	v_fma_f64 v[10:11], v[0:1], v[24:25], v[10:11]
	v_fma_f64 v[6:7], v[2:3], v[24:25], v[6:7]
	v_fma_f64 v[18:19], v[0:1], v[28:29], v[18:19]
	v_fma_f64 v[20:21], v[2:3], v[28:29], v[20:21]
	ds_load_2addr_b64 v[0:3], v14 offset0:64 offset1:80
	s_waitcnt lgkmcnt(0)
	v_fma_f64 v[10:11], v[0:1], v[30:31], v[10:11]
	v_fma_f64 v[6:7], v[2:3], v[30:31], v[6:7]
	;; [unrolled: 6-line block ×3, first 2 shown]
	v_fma_f64 v[34:35], v[0:1], v[36:37], v[18:19]
	v_fma_f64 v[36:37], v[2:3], v[36:37], v[20:21]
	ds_load_2addr_b64 v[0:3], v14 offset0:128 offset1:144
	ds_load_b128 v[18:21], v15 offset:32
	ds_load_b128 v[22:25], v15 offset:1056
	;; [unrolled: 1-line block ×4, first 2 shown]
	s_waitcnt lgkmcnt(3)
	v_fma_f64 v[10:11], v[0:1], v[18:19], v[10:11]
	v_fma_f64 v[6:7], v[2:3], v[18:19], v[6:7]
	s_waitcnt lgkmcnt(2)
	v_fma_f64 v[18:19], v[0:1], v[22:23], v[34:35]
	v_fma_f64 v[22:23], v[2:3], v[22:23], v[36:37]
	ds_load_2addr_b64 v[0:3], v14 offset0:160 offset1:176
	s_waitcnt lgkmcnt(0)
	v_fma_f64 v[10:11], v[0:1], v[20:21], v[10:11]
	v_fma_f64 v[6:7], v[2:3], v[20:21], v[6:7]
	v_fma_f64 v[18:19], v[0:1], v[24:25], v[18:19]
	v_fma_f64 v[20:21], v[2:3], v[24:25], v[22:23]
	ds_load_2addr_b64 v[0:3], v14 offset0:192 offset1:208
	s_waitcnt lgkmcnt(0)
	v_fma_f64 v[10:11], v[0:1], v[26:27], v[10:11]
	v_fma_f64 v[6:7], v[2:3], v[26:27], v[6:7]
	;; [unrolled: 1-line block ×4, first 2 shown]
	ds_load_2addr_b64 v[18:21], v14 offset0:224 offset1:240
	s_waitcnt lgkmcnt(0)
	s_barrier
	buffer_gl0_inv
	v_fma_f64 v[10:11], v[18:19], v[28:29], v[10:11]
	v_fma_f64 v[6:7], v[20:21], v[28:29], v[6:7]
	;; [unrolled: 1-line block ×4, first 2 shown]
	s_cbranch_vccz .LBB1005_2
.LBB1005_3:
	s_load_b128 s[4:7], s[0:1], 0x48
	v_add_nc_u32_e32 v13, s9, v13
	s_load_b32 s9, s[0:1], 0x0
	s_delay_alu instid0(VALU_DEP_1) | instskip(SKIP_1) | instid1(VALU_DEP_1)
	v_ashrrev_i32_e32 v4, 31, v13
	s_waitcnt lgkmcnt(0)
	v_mul_lo_u32 v5, v4, s4
	v_mul_lo_u32 v14, v13, s5
	v_mad_u64_u32 v[8:9], null, v13, s4, 0
	s_mul_i32 s1, s15, s7
	s_mul_hi_u32 s3, s15, s6
	s_mul_i32 s2, s15, s6
	s_add_i32 s3, s3, s1
	v_add_nc_u32_e32 v4, s8, v12
	s_lshl_b64 s[2:3], s[2:3], 3
	s_delay_alu instid0(VALU_DEP_2)
	v_add3_u32 v9, v9, v14, v5
	s_add_u32 s2, s30, s2
	s_addc_u32 s3, s31, s3
	v_cmp_le_i32_e64 s0, v13, v4
	v_cmp_gt_i32_e32 vcc_lo, s9, v4
	v_lshlrev_b64 v[8:9], 3, v[8:9]
	s_delay_alu instid0(VALU_DEP_3) | instskip(NEXT) | instid1(VALU_DEP_1)
	s_and_b32 s0, s0, vcc_lo
	v_add_co_u32 v12, s1, s2, v8
	s_delay_alu instid0(VALU_DEP_1)
	v_add_co_ci_u32_e64 v14, s1, s3, v9, s1
	s_and_saveexec_b32 s1, s0
	s_cbranch_execz .LBB1005_5
; %bb.4:
	v_ashrrev_i32_e32 v5, 31, v4
	s_delay_alu instid0(VALU_DEP_1) | instskip(NEXT) | instid1(VALU_DEP_1)
	v_lshlrev_b64 v[8:9], 3, v[4:5]
	v_add_co_u32 v8, s0, v12, v8
	s_delay_alu instid0(VALU_DEP_1)
	v_add_co_ci_u32_e64 v9, s0, v14, v9, s0
	global_load_b64 v[15:16], v[8:9], off
	s_waitcnt vmcnt(0)
	v_add_f64 v[10:11], v[10:11], v[15:16]
	global_store_b64 v[8:9], v[10:11], off
.LBB1005_5:
	s_or_b32 exec_lo, exec_lo, s1
	v_add_nc_u32_e32 v8, 16, v4
	s_delay_alu instid0(VALU_DEP_1) | instskip(SKIP_1) | instid1(VALU_DEP_1)
	v_cmp_le_i32_e64 s1, v13, v8
	v_cmp_gt_i32_e64 s0, s9, v8
	s_and_b32 s1, s1, s0
	s_delay_alu instid0(SALU_CYCLE_1)
	s_and_saveexec_b32 s6, s1
	s_cbranch_execz .LBB1005_7
; %bb.6:
	v_ashrrev_i32_e32 v9, 31, v8
	s_delay_alu instid0(VALU_DEP_1) | instskip(NEXT) | instid1(VALU_DEP_1)
	v_lshlrev_b64 v[9:10], 3, v[8:9]
	v_add_co_u32 v9, s1, v12, v9
	s_delay_alu instid0(VALU_DEP_1)
	v_add_co_ci_u32_e64 v10, s1, v14, v10, s1
	global_load_b64 v[11:12], v[9:10], off
	s_waitcnt vmcnt(0)
	v_add_f64 v[5:6], v[6:7], v[11:12]
	global_store_b64 v[9:10], v[5:6], off
.LBB1005_7:
	s_or_b32 exec_lo, exec_lo, s6
	v_add_nc_u32_e32 v6, 16, v13
	s_delay_alu instid0(VALU_DEP_1) | instskip(SKIP_3) | instid1(VALU_DEP_4)
	v_ashrrev_i32_e32 v5, 31, v6
	v_mul_lo_u32 v7, v6, s5
	v_mad_u64_u32 v[9:10], null, v6, s4, 0
	v_cmp_le_i32_e64 s1, v6, v4
	v_mul_lo_u32 v5, v5, s4
	s_delay_alu instid0(VALU_DEP_1) | instskip(NEXT) | instid1(VALU_DEP_1)
	v_add3_u32 v10, v10, v7, v5
	v_lshlrev_b64 v[9:10], 3, v[9:10]
	s_delay_alu instid0(VALU_DEP_1) | instskip(NEXT) | instid1(VALU_DEP_1)
	v_add_co_u32 v7, s2, s2, v9
	v_add_co_ci_u32_e64 v10, s2, s3, v10, s2
	s_and_b32 s2, s1, vcc_lo
	s_delay_alu instid0(SALU_CYCLE_1)
	s_and_saveexec_b32 s1, s2
	s_cbranch_execz .LBB1005_9
; %bb.8:
	v_ashrrev_i32_e32 v5, 31, v4
	s_delay_alu instid0(VALU_DEP_1) | instskip(NEXT) | instid1(VALU_DEP_1)
	v_lshlrev_b64 v[4:5], 3, v[4:5]
	v_add_co_u32 v4, vcc_lo, v7, v4
	s_delay_alu instid0(VALU_DEP_2)
	v_add_co_ci_u32_e32 v5, vcc_lo, v10, v5, vcc_lo
	global_load_b64 v[11:12], v[4:5], off
	s_waitcnt vmcnt(0)
	v_add_f64 v[2:3], v[2:3], v[11:12]
	global_store_b64 v[4:5], v[2:3], off
.LBB1005_9:
	s_or_b32 exec_lo, exec_lo, s1
	v_cmp_le_i32_e32 vcc_lo, v6, v8
	s_and_b32 s0, vcc_lo, s0
	s_delay_alu instid0(SALU_CYCLE_1)
	s_and_saveexec_b32 s1, s0
	s_cbranch_execz .LBB1005_11
; %bb.10:
	v_ashrrev_i32_e32 v9, 31, v8
	s_delay_alu instid0(VALU_DEP_1) | instskip(NEXT) | instid1(VALU_DEP_1)
	v_lshlrev_b64 v[2:3], 3, v[8:9]
	v_add_co_u32 v2, vcc_lo, v7, v2
	s_delay_alu instid0(VALU_DEP_2)
	v_add_co_ci_u32_e32 v3, vcc_lo, v10, v3, vcc_lo
	global_load_b64 v[4:5], v[2:3], off
	s_waitcnt vmcnt(0)
	v_add_f64 v[0:1], v[0:1], v[4:5]
	global_store_b64 v[2:3], v[0:1], off
.LBB1005_11:
	s_nop 0
	s_sendmsg sendmsg(MSG_DEALLOC_VGPRS)
	s_endpgm
	.section	.rodata,"a",@progbits
	.p2align	6, 0x0
	.amdhsa_kernel _ZL37rocblas_syrkx_herkx_restricted_kernelIldLi16ELi32ELi8ELi1ELi1ELb0ELc78ELc76EKddEviT_PT9_S1_lS3_S1_lPT10_S1_li
		.amdhsa_group_segment_fixed_size 4096
		.amdhsa_private_segment_fixed_size 0
		.amdhsa_kernarg_size 92
		.amdhsa_user_sgpr_count 13
		.amdhsa_user_sgpr_dispatch_ptr 0
		.amdhsa_user_sgpr_queue_ptr 0
		.amdhsa_user_sgpr_kernarg_segment_ptr 1
		.amdhsa_user_sgpr_dispatch_id 0
		.amdhsa_user_sgpr_private_segment_size 0
		.amdhsa_wavefront_size32 1
		.amdhsa_uses_dynamic_stack 0
		.amdhsa_enable_private_segment 0
		.amdhsa_system_sgpr_workgroup_id_x 1
		.amdhsa_system_sgpr_workgroup_id_y 1
		.amdhsa_system_sgpr_workgroup_id_z 1
		.amdhsa_system_sgpr_workgroup_info 0
		.amdhsa_system_vgpr_workitem_id 1
		.amdhsa_next_free_vgpr 38
		.amdhsa_next_free_sgpr 32
		.amdhsa_reserve_vcc 1
		.amdhsa_float_round_mode_32 0
		.amdhsa_float_round_mode_16_64 0
		.amdhsa_float_denorm_mode_32 3
		.amdhsa_float_denorm_mode_16_64 3
		.amdhsa_dx10_clamp 1
		.amdhsa_ieee_mode 1
		.amdhsa_fp16_overflow 0
		.amdhsa_workgroup_processor_mode 1
		.amdhsa_memory_ordered 1
		.amdhsa_forward_progress 0
		.amdhsa_shared_vgpr_count 0
		.amdhsa_exception_fp_ieee_invalid_op 0
		.amdhsa_exception_fp_denorm_src 0
		.amdhsa_exception_fp_ieee_div_zero 0
		.amdhsa_exception_fp_ieee_overflow 0
		.amdhsa_exception_fp_ieee_underflow 0
		.amdhsa_exception_fp_ieee_inexact 0
		.amdhsa_exception_int_div_zero 0
	.end_amdhsa_kernel
	.section	.text._ZL37rocblas_syrkx_herkx_restricted_kernelIldLi16ELi32ELi8ELi1ELi1ELb0ELc78ELc76EKddEviT_PT9_S1_lS3_S1_lPT10_S1_li,"axG",@progbits,_ZL37rocblas_syrkx_herkx_restricted_kernelIldLi16ELi32ELi8ELi1ELi1ELb0ELc78ELc76EKddEviT_PT9_S1_lS3_S1_lPT10_S1_li,comdat
.Lfunc_end1005:
	.size	_ZL37rocblas_syrkx_herkx_restricted_kernelIldLi16ELi32ELi8ELi1ELi1ELb0ELc78ELc76EKddEviT_PT9_S1_lS3_S1_lPT10_S1_li, .Lfunc_end1005-_ZL37rocblas_syrkx_herkx_restricted_kernelIldLi16ELi32ELi8ELi1ELi1ELb0ELc78ELc76EKddEviT_PT9_S1_lS3_S1_lPT10_S1_li
                                        ; -- End function
	.section	.AMDGPU.csdata,"",@progbits
; Kernel info:
; codeLenInByte = 1516
; NumSgprs: 34
; NumVgprs: 38
; ScratchSize: 0
; MemoryBound: 0
; FloatMode: 240
; IeeeMode: 1
; LDSByteSize: 4096 bytes/workgroup (compile time only)
; SGPRBlocks: 4
; VGPRBlocks: 4
; NumSGPRsForWavesPerEU: 34
; NumVGPRsForWavesPerEU: 38
; Occupancy: 16
; WaveLimiterHint : 1
; COMPUTE_PGM_RSRC2:SCRATCH_EN: 0
; COMPUTE_PGM_RSRC2:USER_SGPR: 13
; COMPUTE_PGM_RSRC2:TRAP_HANDLER: 0
; COMPUTE_PGM_RSRC2:TGID_X_EN: 1
; COMPUTE_PGM_RSRC2:TGID_Y_EN: 1
; COMPUTE_PGM_RSRC2:TGID_Z_EN: 1
; COMPUTE_PGM_RSRC2:TIDIG_COMP_CNT: 1
	.section	.text._ZL37rocblas_syrkx_herkx_restricted_kernelIldLi16ELi32ELi8ELi1ELi1ELb0ELc84ELc85EKddEviT_PT9_S1_lS3_S1_lPT10_S1_li,"axG",@progbits,_ZL37rocblas_syrkx_herkx_restricted_kernelIldLi16ELi32ELi8ELi1ELi1ELb0ELc84ELc85EKddEviT_PT9_S1_lS3_S1_lPT10_S1_li,comdat
	.globl	_ZL37rocblas_syrkx_herkx_restricted_kernelIldLi16ELi32ELi8ELi1ELi1ELb0ELc84ELc85EKddEviT_PT9_S1_lS3_S1_lPT10_S1_li ; -- Begin function _ZL37rocblas_syrkx_herkx_restricted_kernelIldLi16ELi32ELi8ELi1ELi1ELb0ELc84ELc85EKddEviT_PT9_S1_lS3_S1_lPT10_S1_li
	.p2align	8
	.type	_ZL37rocblas_syrkx_herkx_restricted_kernelIldLi16ELi32ELi8ELi1ELi1ELb0ELc84ELc85EKddEviT_PT9_S1_lS3_S1_lPT10_S1_li,@function
_ZL37rocblas_syrkx_herkx_restricted_kernelIldLi16ELi32ELi8ELi1ELi1ELb0ELc84ELc85EKddEviT_PT9_S1_lS3_S1_lPT10_S1_li: ; @_ZL37rocblas_syrkx_herkx_restricted_kernelIldLi16ELi32ELi8ELi1ELi1ELb0ELc84ELc85EKddEviT_PT9_S1_lS3_S1_lPT10_S1_li
; %bb.0:
	s_load_b512 s[16:31], s[0:1], 0x8
	v_mov_b32_e32 v10, 0
	v_dual_mov_b32 v11, 0 :: v_dual_and_b32 v12, 0x3ff, v0
	v_bfe_u32 v13, v0, 10, 10
	s_delay_alu instid0(VALU_DEP_3) | instskip(NEXT) | instid1(VALU_DEP_3)
	v_mov_b32_e32 v6, v10
	v_dual_mov_b32 v2, v10 :: v_dual_mov_b32 v3, v11
	v_dual_mov_b32 v7, v11 :: v_dual_mov_b32 v0, v10
	v_mov_b32_e32 v1, v11
	s_lshl_b32 s8, s13, 5
	s_lshl_b32 s9, s14, 5
	s_waitcnt lgkmcnt(0)
	v_cmp_lt_i64_e64 s2, s[16:17], 1
	s_delay_alu instid0(VALU_DEP_1)
	s_and_b32 vcc_lo, exec_lo, s2
	s_cbranch_vccnz .LBB1006_3
; %bb.1:
	v_lshl_add_u32 v2, v13, 4, v12
	v_dual_mov_b32 v1, 0 :: v_dual_and_b32 v0, 7, v12
	v_lshlrev_b32_e32 v14, 3, v12
	s_mul_i32 s3, s23, s15
	s_delay_alu instid0(VALU_DEP_3)
	v_and_b32_e32 v8, 31, v2
	v_lshrrev_b32_e32 v9, 3, v2
	v_lshrrev_b32_e32 v2, 5, v2
	v_mov_b32_e32 v3, v1
	v_lshlrev_b32_e32 v11, 3, v0
	v_add_nc_u32_e32 v6, s8, v8
	v_add_nc_u32_e32 v10, s9, v9
	s_mul_hi_u32 s4, s22, s15
	s_mul_i32 s2, s22, s15
	s_add_i32 s3, s4, s3
	v_ashrrev_i32_e32 v7, 31, v6
	v_ashrrev_i32_e32 v15, 31, v10
	v_mad_u64_u32 v[4:5], null, s20, v6, v[2:3]
	v_mul_lo_u32 v3, s21, v6
	s_delay_alu instid0(VALU_DEP_4)
	v_mul_lo_u32 v16, s20, v7
	v_mul_lo_u32 v17, v10, s27
	v_mad_u64_u32 v[6:7], null, v10, s26, v[0:1]
	v_mul_lo_u32 v0, v15, s26
	v_lshlrev_b32_e32 v1, 3, v8
	s_lshl_b64 s[2:3], s[2:3], 3
	s_mul_hi_u32 s5, s28, s15
	v_add3_u32 v5, v3, v5, v16
	s_add_u32 s4, s18, s2
	v_lshl_or_b32 v15, v2, 8, v1
	s_mul_i32 s2, s29, s15
	v_add3_u32 v7, v0, v7, v17
	v_lshlrev_b64 v[0:1], 3, v[4:5]
	s_addc_u32 s6, s19, s3
	s_add_i32 s3, s5, s2
	s_mul_i32 s2, s28, s15
	v_lshlrev_b64 v[2:3], 3, v[6:7]
	s_lshl_b64 s[2:3], s[2:3], 3
	v_add_co_u32 v4, vcc_lo, s4, v0
	v_add_co_ci_u32_e32 v5, vcc_lo, s6, v1, vcc_lo
	v_mov_b32_e32 v0, 0
	v_lshl_or_b32 v8, v9, 6, v11
	v_mov_b32_e32 v1, 0
	s_add_u32 s2, s24, s2
	s_addc_u32 s3, s25, s3
	v_lshl_add_u32 v17, v13, 6, 0x800
	s_delay_alu instid0(VALU_DEP_2)
	v_dual_mov_b32 v11, v1 :: v_dual_add_nc_u32 v16, 0x800, v8
	v_add_co_u32 v8, vcc_lo, s2, v2
	v_add_co_ci_u32_e32 v9, vcc_lo, s3, v3, vcc_lo
	v_mov_b32_e32 v3, v1
	v_dual_mov_b32 v7, v1 :: v_dual_mov_b32 v2, v0
	v_mov_b32_e32 v6, v0
	v_mov_b32_e32 v10, v0
	s_mov_b64 s[2:3], 0
.LBB1006_2:                             ; =>This Inner Loop Header: Depth=1
	global_load_b64 v[18:19], v[4:5], off
	global_load_b64 v[20:21], v[8:9], off
	s_add_u32 s2, s2, 8
	v_add_co_u32 v4, vcc_lo, v4, 64
	s_addc_u32 s3, s3, 0
	v_add_co_ci_u32_e32 v5, vcc_lo, 0, v5, vcc_lo
	v_cmp_ge_u64_e64 s4, s[2:3], s[16:17]
	v_add_co_u32 v8, vcc_lo, v8, 64
	v_add_co_ci_u32_e32 v9, vcc_lo, 0, v9, vcc_lo
	s_waitcnt vmcnt(1)
	ds_store_b64 v15, v[18:19]
	s_waitcnt vmcnt(0)
	ds_store_b64 v16, v[20:21]
	s_waitcnt lgkmcnt(0)
	s_barrier
	buffer_gl0_inv
	ds_load_2addr_b64 v[18:21], v14 offset1:16
	ds_load_b128 v[22:25], v17
	ds_load_b128 v[26:29], v17 offset:1024
	ds_load_b128 v[30:33], v17 offset:16
	;; [unrolled: 1-line block ×3, first 2 shown]
	s_and_b32 vcc_lo, exec_lo, s4
	s_waitcnt lgkmcnt(3)
	v_fma_f64 v[10:11], v[18:19], v[22:23], v[10:11]
	v_fma_f64 v[6:7], v[20:21], v[22:23], v[6:7]
	s_waitcnt lgkmcnt(2)
	v_fma_f64 v[18:19], v[18:19], v[26:27], v[2:3]
	v_fma_f64 v[20:21], v[20:21], v[26:27], v[0:1]
	ds_load_2addr_b64 v[0:3], v14 offset0:32 offset1:48
	s_waitcnt lgkmcnt(0)
	v_fma_f64 v[10:11], v[0:1], v[24:25], v[10:11]
	v_fma_f64 v[6:7], v[2:3], v[24:25], v[6:7]
	v_fma_f64 v[18:19], v[0:1], v[28:29], v[18:19]
	v_fma_f64 v[20:21], v[2:3], v[28:29], v[20:21]
	ds_load_2addr_b64 v[0:3], v14 offset0:64 offset1:80
	s_waitcnt lgkmcnt(0)
	v_fma_f64 v[10:11], v[0:1], v[30:31], v[10:11]
	v_fma_f64 v[6:7], v[2:3], v[30:31], v[6:7]
	v_fma_f64 v[18:19], v[0:1], v[34:35], v[18:19]
	v_fma_f64 v[20:21], v[2:3], v[34:35], v[20:21]
	ds_load_2addr_b64 v[0:3], v14 offset0:96 offset1:112
	s_waitcnt lgkmcnt(0)
	v_fma_f64 v[10:11], v[0:1], v[32:33], v[10:11]
	v_fma_f64 v[6:7], v[2:3], v[32:33], v[6:7]
	v_fma_f64 v[34:35], v[0:1], v[36:37], v[18:19]
	v_fma_f64 v[36:37], v[2:3], v[36:37], v[20:21]
	ds_load_2addr_b64 v[0:3], v14 offset0:128 offset1:144
	ds_load_b128 v[18:21], v17 offset:32
	ds_load_b128 v[22:25], v17 offset:1056
	;; [unrolled: 1-line block ×4, first 2 shown]
	s_waitcnt lgkmcnt(3)
	v_fma_f64 v[10:11], v[0:1], v[18:19], v[10:11]
	v_fma_f64 v[6:7], v[2:3], v[18:19], v[6:7]
	s_waitcnt lgkmcnt(2)
	v_fma_f64 v[18:19], v[0:1], v[22:23], v[34:35]
	v_fma_f64 v[22:23], v[2:3], v[22:23], v[36:37]
	ds_load_2addr_b64 v[0:3], v14 offset0:160 offset1:176
	s_waitcnt lgkmcnt(0)
	v_fma_f64 v[10:11], v[0:1], v[20:21], v[10:11]
	v_fma_f64 v[6:7], v[2:3], v[20:21], v[6:7]
	;; [unrolled: 1-line block ×4, first 2 shown]
	ds_load_2addr_b64 v[0:3], v14 offset0:192 offset1:208
	s_waitcnt lgkmcnt(0)
	v_fma_f64 v[10:11], v[0:1], v[26:27], v[10:11]
	v_fma_f64 v[6:7], v[2:3], v[26:27], v[6:7]
	v_fma_f64 v[0:1], v[0:1], v[30:31], v[18:19]
	v_fma_f64 v[22:23], v[2:3], v[30:31], v[20:21]
	ds_load_2addr_b64 v[18:21], v14 offset0:224 offset1:240
	s_waitcnt lgkmcnt(0)
	s_barrier
	buffer_gl0_inv
	v_fma_f64 v[10:11], v[18:19], v[28:29], v[10:11]
	v_fma_f64 v[6:7], v[20:21], v[28:29], v[6:7]
	;; [unrolled: 1-line block ×4, first 2 shown]
	s_cbranch_vccz .LBB1006_2
.LBB1006_3:
	s_clause 0x1
	s_load_b128 s[4:7], s[0:1], 0x48
	s_load_b32 s2, s[0:1], 0x0
	v_add_nc_u32_e32 v13, s9, v13
	s_delay_alu instid0(VALU_DEP_1) | instskip(SKIP_1) | instid1(VALU_DEP_1)
	v_ashrrev_i32_e32 v4, 31, v13
	s_waitcnt lgkmcnt(0)
	v_mul_lo_u32 v5, v4, s4
	v_mul_lo_u32 v14, v13, s5
	v_mad_u64_u32 v[8:9], null, v13, s4, 0
	s_mul_i32 s1, s15, s7
	s_mul_hi_u32 s3, s15, s6
	s_mul_i32 s6, s15, s6
	s_add_i32 s7, s3, s1
	v_add_nc_u32_e32 v4, s8, v12
	s_lshl_b64 s[6:7], s[6:7], 3
	s_delay_alu instid0(VALU_DEP_2)
	v_add3_u32 v9, v9, v14, v5
	s_add_u32 s3, s30, s6
	v_cmp_gt_i32_e32 vcc_lo, s2, v13
	v_cmp_le_i32_e64 s0, v4, v13
	s_addc_u32 s6, s31, s7
	v_lshlrev_b64 v[8:9], 3, v[8:9]
	s_delay_alu instid0(VALU_DEP_2) | instskip(NEXT) | instid1(VALU_DEP_1)
	s_and_b32 s0, vcc_lo, s0
	v_add_co_u32 v12, s1, s3, v8
	s_delay_alu instid0(VALU_DEP_1)
	v_add_co_ci_u32_e64 v14, s1, s6, v9, s1
	s_and_saveexec_b32 s1, s0
	s_cbranch_execz .LBB1006_5
; %bb.4:
	v_ashrrev_i32_e32 v5, 31, v4
	s_delay_alu instid0(VALU_DEP_1) | instskip(NEXT) | instid1(VALU_DEP_1)
	v_lshlrev_b64 v[8:9], 3, v[4:5]
	v_add_co_u32 v8, s0, v12, v8
	s_delay_alu instid0(VALU_DEP_1)
	v_add_co_ci_u32_e64 v9, s0, v14, v9, s0
	global_load_b64 v[15:16], v[8:9], off
	s_waitcnt vmcnt(0)
	v_add_f64 v[10:11], v[10:11], v[15:16]
	global_store_b64 v[8:9], v[10:11], off
.LBB1006_5:
	s_or_b32 exec_lo, exec_lo, s1
	v_add_nc_u32_e32 v8, 16, v4
	s_delay_alu instid0(VALU_DEP_1) | instskip(NEXT) | instid1(VALU_DEP_1)
	v_cmp_le_i32_e64 s0, v8, v13
	s_and_b32 s1, vcc_lo, s0
	s_delay_alu instid0(SALU_CYCLE_1)
	s_and_saveexec_b32 s0, s1
	s_cbranch_execz .LBB1006_7
; %bb.6:
	v_ashrrev_i32_e32 v9, 31, v8
	s_delay_alu instid0(VALU_DEP_1) | instskip(NEXT) | instid1(VALU_DEP_1)
	v_lshlrev_b64 v[9:10], 3, v[8:9]
	v_add_co_u32 v9, vcc_lo, v12, v9
	s_delay_alu instid0(VALU_DEP_2)
	v_add_co_ci_u32_e32 v10, vcc_lo, v14, v10, vcc_lo
	global_load_b64 v[11:12], v[9:10], off
	s_waitcnt vmcnt(0)
	v_add_f64 v[5:6], v[6:7], v[11:12]
	global_store_b64 v[9:10], v[5:6], off
.LBB1006_7:
	s_or_b32 exec_lo, exec_lo, s0
	v_add_nc_u32_e32 v6, 16, v13
	s_delay_alu instid0(VALU_DEP_1) | instskip(SKIP_3) | instid1(VALU_DEP_4)
	v_ashrrev_i32_e32 v5, 31, v6
	v_mul_lo_u32 v7, v6, s5
	v_mad_u64_u32 v[9:10], null, v6, s4, 0
	v_cmp_gt_i32_e32 vcc_lo, s2, v6
	v_mul_lo_u32 v5, v5, s4
	v_cmp_le_i32_e64 s0, v4, v6
	s_delay_alu instid0(VALU_DEP_1) | instskip(NEXT) | instid1(VALU_DEP_2)
	s_and_b32 s0, vcc_lo, s0
	v_add3_u32 v10, v10, v7, v5
	s_delay_alu instid0(VALU_DEP_1) | instskip(NEXT) | instid1(VALU_DEP_1)
	v_lshlrev_b64 v[9:10], 3, v[9:10]
	v_add_co_u32 v7, s1, s3, v9
	s_delay_alu instid0(VALU_DEP_1)
	v_add_co_ci_u32_e64 v10, s1, s6, v10, s1
	s_and_saveexec_b32 s1, s0
	s_cbranch_execz .LBB1006_9
; %bb.8:
	v_ashrrev_i32_e32 v5, 31, v4
	s_delay_alu instid0(VALU_DEP_1) | instskip(NEXT) | instid1(VALU_DEP_1)
	v_lshlrev_b64 v[4:5], 3, v[4:5]
	v_add_co_u32 v4, s0, v7, v4
	s_delay_alu instid0(VALU_DEP_1)
	v_add_co_ci_u32_e64 v5, s0, v10, v5, s0
	global_load_b64 v[11:12], v[4:5], off
	s_waitcnt vmcnt(0)
	v_add_f64 v[2:3], v[2:3], v[11:12]
	global_store_b64 v[4:5], v[2:3], off
.LBB1006_9:
	s_or_b32 exec_lo, exec_lo, s1
	v_cmp_le_i32_e64 s0, v8, v6
	s_delay_alu instid0(VALU_DEP_1) | instskip(NEXT) | instid1(SALU_CYCLE_1)
	s_and_b32 s0, vcc_lo, s0
	s_and_saveexec_b32 s1, s0
	s_cbranch_execz .LBB1006_11
; %bb.10:
	v_ashrrev_i32_e32 v9, 31, v8
	s_delay_alu instid0(VALU_DEP_1) | instskip(NEXT) | instid1(VALU_DEP_1)
	v_lshlrev_b64 v[2:3], 3, v[8:9]
	v_add_co_u32 v2, vcc_lo, v7, v2
	s_delay_alu instid0(VALU_DEP_2)
	v_add_co_ci_u32_e32 v3, vcc_lo, v10, v3, vcc_lo
	global_load_b64 v[4:5], v[2:3], off
	s_waitcnt vmcnt(0)
	v_add_f64 v[0:1], v[0:1], v[4:5]
	global_store_b64 v[2:3], v[0:1], off
.LBB1006_11:
	s_nop 0
	s_sendmsg sendmsg(MSG_DEALLOC_VGPRS)
	s_endpgm
	.section	.rodata,"a",@progbits
	.p2align	6, 0x0
	.amdhsa_kernel _ZL37rocblas_syrkx_herkx_restricted_kernelIldLi16ELi32ELi8ELi1ELi1ELb0ELc84ELc85EKddEviT_PT9_S1_lS3_S1_lPT10_S1_li
		.amdhsa_group_segment_fixed_size 4096
		.amdhsa_private_segment_fixed_size 0
		.amdhsa_kernarg_size 92
		.amdhsa_user_sgpr_count 13
		.amdhsa_user_sgpr_dispatch_ptr 0
		.amdhsa_user_sgpr_queue_ptr 0
		.amdhsa_user_sgpr_kernarg_segment_ptr 1
		.amdhsa_user_sgpr_dispatch_id 0
		.amdhsa_user_sgpr_private_segment_size 0
		.amdhsa_wavefront_size32 1
		.amdhsa_uses_dynamic_stack 0
		.amdhsa_enable_private_segment 0
		.amdhsa_system_sgpr_workgroup_id_x 1
		.amdhsa_system_sgpr_workgroup_id_y 1
		.amdhsa_system_sgpr_workgroup_id_z 1
		.amdhsa_system_sgpr_workgroup_info 0
		.amdhsa_system_vgpr_workitem_id 1
		.amdhsa_next_free_vgpr 38
		.amdhsa_next_free_sgpr 32
		.amdhsa_reserve_vcc 1
		.amdhsa_float_round_mode_32 0
		.amdhsa_float_round_mode_16_64 0
		.amdhsa_float_denorm_mode_32 3
		.amdhsa_float_denorm_mode_16_64 3
		.amdhsa_dx10_clamp 1
		.amdhsa_ieee_mode 1
		.amdhsa_fp16_overflow 0
		.amdhsa_workgroup_processor_mode 1
		.amdhsa_memory_ordered 1
		.amdhsa_forward_progress 0
		.amdhsa_shared_vgpr_count 0
		.amdhsa_exception_fp_ieee_invalid_op 0
		.amdhsa_exception_fp_denorm_src 0
		.amdhsa_exception_fp_ieee_div_zero 0
		.amdhsa_exception_fp_ieee_overflow 0
		.amdhsa_exception_fp_ieee_underflow 0
		.amdhsa_exception_fp_ieee_inexact 0
		.amdhsa_exception_int_div_zero 0
	.end_amdhsa_kernel
	.section	.text._ZL37rocblas_syrkx_herkx_restricted_kernelIldLi16ELi32ELi8ELi1ELi1ELb0ELc84ELc85EKddEviT_PT9_S1_lS3_S1_lPT10_S1_li,"axG",@progbits,_ZL37rocblas_syrkx_herkx_restricted_kernelIldLi16ELi32ELi8ELi1ELi1ELb0ELc84ELc85EKddEviT_PT9_S1_lS3_S1_lPT10_S1_li,comdat
.Lfunc_end1006:
	.size	_ZL37rocblas_syrkx_herkx_restricted_kernelIldLi16ELi32ELi8ELi1ELi1ELb0ELc84ELc85EKddEviT_PT9_S1_lS3_S1_lPT10_S1_li, .Lfunc_end1006-_ZL37rocblas_syrkx_herkx_restricted_kernelIldLi16ELi32ELi8ELi1ELi1ELb0ELc84ELc85EKddEviT_PT9_S1_lS3_S1_lPT10_S1_li
                                        ; -- End function
	.section	.AMDGPU.csdata,"",@progbits
; Kernel info:
; codeLenInByte = 1528
; NumSgprs: 34
; NumVgprs: 38
; ScratchSize: 0
; MemoryBound: 0
; FloatMode: 240
; IeeeMode: 1
; LDSByteSize: 4096 bytes/workgroup (compile time only)
; SGPRBlocks: 4
; VGPRBlocks: 4
; NumSGPRsForWavesPerEU: 34
; NumVGPRsForWavesPerEU: 38
; Occupancy: 16
; WaveLimiterHint : 1
; COMPUTE_PGM_RSRC2:SCRATCH_EN: 0
; COMPUTE_PGM_RSRC2:USER_SGPR: 13
; COMPUTE_PGM_RSRC2:TRAP_HANDLER: 0
; COMPUTE_PGM_RSRC2:TGID_X_EN: 1
; COMPUTE_PGM_RSRC2:TGID_Y_EN: 1
; COMPUTE_PGM_RSRC2:TGID_Z_EN: 1
; COMPUTE_PGM_RSRC2:TIDIG_COMP_CNT: 1
	.section	.text._ZL37rocblas_syrkx_herkx_restricted_kernelIldLi16ELi32ELi8ELi1ELi1ELb0ELc67ELc85EKddEviT_PT9_S1_lS3_S1_lPT10_S1_li,"axG",@progbits,_ZL37rocblas_syrkx_herkx_restricted_kernelIldLi16ELi32ELi8ELi1ELi1ELb0ELc67ELc85EKddEviT_PT9_S1_lS3_S1_lPT10_S1_li,comdat
	.globl	_ZL37rocblas_syrkx_herkx_restricted_kernelIldLi16ELi32ELi8ELi1ELi1ELb0ELc67ELc85EKddEviT_PT9_S1_lS3_S1_lPT10_S1_li ; -- Begin function _ZL37rocblas_syrkx_herkx_restricted_kernelIldLi16ELi32ELi8ELi1ELi1ELb0ELc67ELc85EKddEviT_PT9_S1_lS3_S1_lPT10_S1_li
	.p2align	8
	.type	_ZL37rocblas_syrkx_herkx_restricted_kernelIldLi16ELi32ELi8ELi1ELi1ELb0ELc67ELc85EKddEviT_PT9_S1_lS3_S1_lPT10_S1_li,@function
_ZL37rocblas_syrkx_herkx_restricted_kernelIldLi16ELi32ELi8ELi1ELi1ELb0ELc67ELc85EKddEviT_PT9_S1_lS3_S1_lPT10_S1_li: ; @_ZL37rocblas_syrkx_herkx_restricted_kernelIldLi16ELi32ELi8ELi1ELi1ELb0ELc67ELc85EKddEviT_PT9_S1_lS3_S1_lPT10_S1_li
; %bb.0:
	s_load_b512 s[16:31], s[0:1], 0x8
	v_mov_b32_e32 v10, 0
	v_dual_mov_b32 v11, 0 :: v_dual_and_b32 v12, 0x3ff, v0
	v_bfe_u32 v13, v0, 10, 10
	s_delay_alu instid0(VALU_DEP_3) | instskip(NEXT) | instid1(VALU_DEP_3)
	v_mov_b32_e32 v6, v10
	v_dual_mov_b32 v2, v10 :: v_dual_mov_b32 v3, v11
	v_dual_mov_b32 v7, v11 :: v_dual_mov_b32 v0, v10
	v_mov_b32_e32 v1, v11
	s_lshl_b32 s8, s13, 5
	s_lshl_b32 s9, s14, 5
	s_waitcnt lgkmcnt(0)
	v_cmp_lt_i64_e64 s2, s[16:17], 1
	s_delay_alu instid0(VALU_DEP_1)
	s_and_b32 vcc_lo, exec_lo, s2
	s_cbranch_vccnz .LBB1007_3
; %bb.1:
	v_lshl_add_u32 v2, v13, 4, v12
	v_dual_mov_b32 v1, 0 :: v_dual_and_b32 v0, 7, v12
	v_lshlrev_b32_e32 v14, 3, v12
	s_mul_i32 s3, s23, s15
	s_delay_alu instid0(VALU_DEP_3)
	v_and_b32_e32 v8, 31, v2
	v_lshrrev_b32_e32 v9, 3, v2
	v_lshrrev_b32_e32 v2, 5, v2
	v_mov_b32_e32 v3, v1
	v_lshlrev_b32_e32 v11, 3, v0
	v_add_nc_u32_e32 v6, s8, v8
	v_add_nc_u32_e32 v10, s9, v9
	s_mul_hi_u32 s4, s22, s15
	s_mul_i32 s2, s22, s15
	s_add_i32 s3, s4, s3
	v_ashrrev_i32_e32 v7, 31, v6
	v_ashrrev_i32_e32 v15, 31, v10
	v_mad_u64_u32 v[4:5], null, s20, v6, v[2:3]
	v_mul_lo_u32 v3, s21, v6
	s_delay_alu instid0(VALU_DEP_4)
	v_mul_lo_u32 v16, s20, v7
	v_mul_lo_u32 v17, v10, s27
	v_mad_u64_u32 v[6:7], null, v10, s26, v[0:1]
	v_mul_lo_u32 v0, v15, s26
	v_lshlrev_b32_e32 v1, 3, v8
	s_lshl_b64 s[2:3], s[2:3], 3
	s_mul_hi_u32 s5, s28, s15
	v_add3_u32 v5, v3, v5, v16
	s_add_u32 s4, s18, s2
	v_lshl_or_b32 v15, v2, 8, v1
	s_mul_i32 s2, s29, s15
	v_add3_u32 v7, v0, v7, v17
	v_lshlrev_b64 v[0:1], 3, v[4:5]
	s_addc_u32 s6, s19, s3
	s_add_i32 s3, s5, s2
	s_mul_i32 s2, s28, s15
	v_lshlrev_b64 v[2:3], 3, v[6:7]
	s_lshl_b64 s[2:3], s[2:3], 3
	v_add_co_u32 v4, vcc_lo, s4, v0
	v_add_co_ci_u32_e32 v5, vcc_lo, s6, v1, vcc_lo
	v_mov_b32_e32 v0, 0
	v_lshl_or_b32 v8, v9, 6, v11
	v_mov_b32_e32 v1, 0
	s_add_u32 s2, s24, s2
	s_addc_u32 s3, s25, s3
	v_lshl_add_u32 v17, v13, 6, 0x800
	s_delay_alu instid0(VALU_DEP_2)
	v_dual_mov_b32 v11, v1 :: v_dual_add_nc_u32 v16, 0x800, v8
	v_add_co_u32 v8, vcc_lo, s2, v2
	v_add_co_ci_u32_e32 v9, vcc_lo, s3, v3, vcc_lo
	v_mov_b32_e32 v3, v1
	v_dual_mov_b32 v7, v1 :: v_dual_mov_b32 v2, v0
	v_mov_b32_e32 v6, v0
	v_mov_b32_e32 v10, v0
	s_mov_b64 s[2:3], 0
.LBB1007_2:                             ; =>This Inner Loop Header: Depth=1
	global_load_b64 v[18:19], v[4:5], off
	global_load_b64 v[20:21], v[8:9], off
	s_add_u32 s2, s2, 8
	v_add_co_u32 v4, vcc_lo, v4, 64
	s_addc_u32 s3, s3, 0
	v_add_co_ci_u32_e32 v5, vcc_lo, 0, v5, vcc_lo
	v_cmp_ge_u64_e64 s4, s[2:3], s[16:17]
	v_add_co_u32 v8, vcc_lo, v8, 64
	v_add_co_ci_u32_e32 v9, vcc_lo, 0, v9, vcc_lo
	s_waitcnt vmcnt(1)
	ds_store_b64 v15, v[18:19]
	s_waitcnt vmcnt(0)
	ds_store_b64 v16, v[20:21]
	s_waitcnt lgkmcnt(0)
	s_barrier
	buffer_gl0_inv
	ds_load_2addr_b64 v[18:21], v14 offset1:16
	ds_load_b128 v[22:25], v17
	ds_load_b128 v[26:29], v17 offset:1024
	ds_load_b128 v[30:33], v17 offset:16
	;; [unrolled: 1-line block ×3, first 2 shown]
	s_and_b32 vcc_lo, exec_lo, s4
	s_waitcnt lgkmcnt(3)
	v_fma_f64 v[10:11], v[18:19], v[22:23], v[10:11]
	v_fma_f64 v[6:7], v[20:21], v[22:23], v[6:7]
	s_waitcnt lgkmcnt(2)
	v_fma_f64 v[18:19], v[18:19], v[26:27], v[2:3]
	v_fma_f64 v[20:21], v[20:21], v[26:27], v[0:1]
	ds_load_2addr_b64 v[0:3], v14 offset0:32 offset1:48
	s_waitcnt lgkmcnt(0)
	v_fma_f64 v[10:11], v[0:1], v[24:25], v[10:11]
	v_fma_f64 v[6:7], v[2:3], v[24:25], v[6:7]
	v_fma_f64 v[18:19], v[0:1], v[28:29], v[18:19]
	v_fma_f64 v[20:21], v[2:3], v[28:29], v[20:21]
	ds_load_2addr_b64 v[0:3], v14 offset0:64 offset1:80
	s_waitcnt lgkmcnt(0)
	v_fma_f64 v[10:11], v[0:1], v[30:31], v[10:11]
	v_fma_f64 v[6:7], v[2:3], v[30:31], v[6:7]
	;; [unrolled: 6-line block ×3, first 2 shown]
	v_fma_f64 v[34:35], v[0:1], v[36:37], v[18:19]
	v_fma_f64 v[36:37], v[2:3], v[36:37], v[20:21]
	ds_load_2addr_b64 v[0:3], v14 offset0:128 offset1:144
	ds_load_b128 v[18:21], v17 offset:32
	ds_load_b128 v[22:25], v17 offset:1056
	;; [unrolled: 1-line block ×4, first 2 shown]
	s_waitcnt lgkmcnt(3)
	v_fma_f64 v[10:11], v[0:1], v[18:19], v[10:11]
	v_fma_f64 v[6:7], v[2:3], v[18:19], v[6:7]
	s_waitcnt lgkmcnt(2)
	v_fma_f64 v[18:19], v[0:1], v[22:23], v[34:35]
	v_fma_f64 v[22:23], v[2:3], v[22:23], v[36:37]
	ds_load_2addr_b64 v[0:3], v14 offset0:160 offset1:176
	s_waitcnt lgkmcnt(0)
	v_fma_f64 v[10:11], v[0:1], v[20:21], v[10:11]
	v_fma_f64 v[6:7], v[2:3], v[20:21], v[6:7]
	;; [unrolled: 1-line block ×4, first 2 shown]
	ds_load_2addr_b64 v[0:3], v14 offset0:192 offset1:208
	s_waitcnt lgkmcnt(0)
	v_fma_f64 v[10:11], v[0:1], v[26:27], v[10:11]
	v_fma_f64 v[6:7], v[2:3], v[26:27], v[6:7]
	;; [unrolled: 1-line block ×4, first 2 shown]
	ds_load_2addr_b64 v[18:21], v14 offset0:224 offset1:240
	s_waitcnt lgkmcnt(0)
	s_barrier
	buffer_gl0_inv
	v_fma_f64 v[10:11], v[18:19], v[28:29], v[10:11]
	v_fma_f64 v[6:7], v[20:21], v[28:29], v[6:7]
	;; [unrolled: 1-line block ×4, first 2 shown]
	s_cbranch_vccz .LBB1007_2
.LBB1007_3:
	s_clause 0x1
	s_load_b128 s[4:7], s[0:1], 0x48
	s_load_b32 s2, s[0:1], 0x0
	v_add_nc_u32_e32 v13, s9, v13
	s_delay_alu instid0(VALU_DEP_1) | instskip(SKIP_1) | instid1(VALU_DEP_1)
	v_ashrrev_i32_e32 v4, 31, v13
	s_waitcnt lgkmcnt(0)
	v_mul_lo_u32 v5, v4, s4
	v_mul_lo_u32 v14, v13, s5
	v_mad_u64_u32 v[8:9], null, v13, s4, 0
	s_mul_i32 s1, s15, s7
	s_mul_hi_u32 s3, s15, s6
	s_mul_i32 s6, s15, s6
	s_add_i32 s7, s3, s1
	v_add_nc_u32_e32 v4, s8, v12
	s_lshl_b64 s[6:7], s[6:7], 3
	s_delay_alu instid0(VALU_DEP_2)
	v_add3_u32 v9, v9, v14, v5
	s_add_u32 s3, s30, s6
	v_cmp_gt_i32_e32 vcc_lo, s2, v13
	v_cmp_le_i32_e64 s0, v4, v13
	s_addc_u32 s6, s31, s7
	v_lshlrev_b64 v[8:9], 3, v[8:9]
	s_delay_alu instid0(VALU_DEP_2) | instskip(NEXT) | instid1(VALU_DEP_1)
	s_and_b32 s0, vcc_lo, s0
	v_add_co_u32 v12, s1, s3, v8
	s_delay_alu instid0(VALU_DEP_1)
	v_add_co_ci_u32_e64 v14, s1, s6, v9, s1
	s_and_saveexec_b32 s1, s0
	s_cbranch_execz .LBB1007_5
; %bb.4:
	v_ashrrev_i32_e32 v5, 31, v4
	s_delay_alu instid0(VALU_DEP_1) | instskip(NEXT) | instid1(VALU_DEP_1)
	v_lshlrev_b64 v[8:9], 3, v[4:5]
	v_add_co_u32 v8, s0, v12, v8
	s_delay_alu instid0(VALU_DEP_1)
	v_add_co_ci_u32_e64 v9, s0, v14, v9, s0
	global_load_b64 v[15:16], v[8:9], off
	s_waitcnt vmcnt(0)
	v_add_f64 v[10:11], v[10:11], v[15:16]
	global_store_b64 v[8:9], v[10:11], off
.LBB1007_5:
	s_or_b32 exec_lo, exec_lo, s1
	v_add_nc_u32_e32 v8, 16, v4
	s_delay_alu instid0(VALU_DEP_1) | instskip(NEXT) | instid1(VALU_DEP_1)
	v_cmp_le_i32_e64 s0, v8, v13
	s_and_b32 s1, vcc_lo, s0
	s_delay_alu instid0(SALU_CYCLE_1)
	s_and_saveexec_b32 s0, s1
	s_cbranch_execz .LBB1007_7
; %bb.6:
	v_ashrrev_i32_e32 v9, 31, v8
	s_delay_alu instid0(VALU_DEP_1) | instskip(NEXT) | instid1(VALU_DEP_1)
	v_lshlrev_b64 v[9:10], 3, v[8:9]
	v_add_co_u32 v9, vcc_lo, v12, v9
	s_delay_alu instid0(VALU_DEP_2)
	v_add_co_ci_u32_e32 v10, vcc_lo, v14, v10, vcc_lo
	global_load_b64 v[11:12], v[9:10], off
	s_waitcnt vmcnt(0)
	v_add_f64 v[5:6], v[6:7], v[11:12]
	global_store_b64 v[9:10], v[5:6], off
.LBB1007_7:
	s_or_b32 exec_lo, exec_lo, s0
	v_add_nc_u32_e32 v6, 16, v13
	s_delay_alu instid0(VALU_DEP_1) | instskip(SKIP_3) | instid1(VALU_DEP_4)
	v_ashrrev_i32_e32 v5, 31, v6
	v_mul_lo_u32 v7, v6, s5
	v_mad_u64_u32 v[9:10], null, v6, s4, 0
	v_cmp_gt_i32_e32 vcc_lo, s2, v6
	v_mul_lo_u32 v5, v5, s4
	v_cmp_le_i32_e64 s0, v4, v6
	s_delay_alu instid0(VALU_DEP_1) | instskip(NEXT) | instid1(VALU_DEP_2)
	s_and_b32 s0, vcc_lo, s0
	v_add3_u32 v10, v10, v7, v5
	s_delay_alu instid0(VALU_DEP_1) | instskip(NEXT) | instid1(VALU_DEP_1)
	v_lshlrev_b64 v[9:10], 3, v[9:10]
	v_add_co_u32 v7, s1, s3, v9
	s_delay_alu instid0(VALU_DEP_1)
	v_add_co_ci_u32_e64 v10, s1, s6, v10, s1
	s_and_saveexec_b32 s1, s0
	s_cbranch_execz .LBB1007_9
; %bb.8:
	v_ashrrev_i32_e32 v5, 31, v4
	s_delay_alu instid0(VALU_DEP_1) | instskip(NEXT) | instid1(VALU_DEP_1)
	v_lshlrev_b64 v[4:5], 3, v[4:5]
	v_add_co_u32 v4, s0, v7, v4
	s_delay_alu instid0(VALU_DEP_1)
	v_add_co_ci_u32_e64 v5, s0, v10, v5, s0
	global_load_b64 v[11:12], v[4:5], off
	s_waitcnt vmcnt(0)
	v_add_f64 v[2:3], v[2:3], v[11:12]
	global_store_b64 v[4:5], v[2:3], off
.LBB1007_9:
	s_or_b32 exec_lo, exec_lo, s1
	v_cmp_le_i32_e64 s0, v8, v6
	s_delay_alu instid0(VALU_DEP_1) | instskip(NEXT) | instid1(SALU_CYCLE_1)
	s_and_b32 s0, vcc_lo, s0
	s_and_saveexec_b32 s1, s0
	s_cbranch_execz .LBB1007_11
; %bb.10:
	v_ashrrev_i32_e32 v9, 31, v8
	s_delay_alu instid0(VALU_DEP_1) | instskip(NEXT) | instid1(VALU_DEP_1)
	v_lshlrev_b64 v[2:3], 3, v[8:9]
	v_add_co_u32 v2, vcc_lo, v7, v2
	s_delay_alu instid0(VALU_DEP_2)
	v_add_co_ci_u32_e32 v3, vcc_lo, v10, v3, vcc_lo
	global_load_b64 v[4:5], v[2:3], off
	s_waitcnt vmcnt(0)
	v_add_f64 v[0:1], v[0:1], v[4:5]
	global_store_b64 v[2:3], v[0:1], off
.LBB1007_11:
	s_nop 0
	s_sendmsg sendmsg(MSG_DEALLOC_VGPRS)
	s_endpgm
	.section	.rodata,"a",@progbits
	.p2align	6, 0x0
	.amdhsa_kernel _ZL37rocblas_syrkx_herkx_restricted_kernelIldLi16ELi32ELi8ELi1ELi1ELb0ELc67ELc85EKddEviT_PT9_S1_lS3_S1_lPT10_S1_li
		.amdhsa_group_segment_fixed_size 4096
		.amdhsa_private_segment_fixed_size 0
		.amdhsa_kernarg_size 92
		.amdhsa_user_sgpr_count 13
		.amdhsa_user_sgpr_dispatch_ptr 0
		.amdhsa_user_sgpr_queue_ptr 0
		.amdhsa_user_sgpr_kernarg_segment_ptr 1
		.amdhsa_user_sgpr_dispatch_id 0
		.amdhsa_user_sgpr_private_segment_size 0
		.amdhsa_wavefront_size32 1
		.amdhsa_uses_dynamic_stack 0
		.amdhsa_enable_private_segment 0
		.amdhsa_system_sgpr_workgroup_id_x 1
		.amdhsa_system_sgpr_workgroup_id_y 1
		.amdhsa_system_sgpr_workgroup_id_z 1
		.amdhsa_system_sgpr_workgroup_info 0
		.amdhsa_system_vgpr_workitem_id 1
		.amdhsa_next_free_vgpr 38
		.amdhsa_next_free_sgpr 32
		.amdhsa_reserve_vcc 1
		.amdhsa_float_round_mode_32 0
		.amdhsa_float_round_mode_16_64 0
		.amdhsa_float_denorm_mode_32 3
		.amdhsa_float_denorm_mode_16_64 3
		.amdhsa_dx10_clamp 1
		.amdhsa_ieee_mode 1
		.amdhsa_fp16_overflow 0
		.amdhsa_workgroup_processor_mode 1
		.amdhsa_memory_ordered 1
		.amdhsa_forward_progress 0
		.amdhsa_shared_vgpr_count 0
		.amdhsa_exception_fp_ieee_invalid_op 0
		.amdhsa_exception_fp_denorm_src 0
		.amdhsa_exception_fp_ieee_div_zero 0
		.amdhsa_exception_fp_ieee_overflow 0
		.amdhsa_exception_fp_ieee_underflow 0
		.amdhsa_exception_fp_ieee_inexact 0
		.amdhsa_exception_int_div_zero 0
	.end_amdhsa_kernel
	.section	.text._ZL37rocblas_syrkx_herkx_restricted_kernelIldLi16ELi32ELi8ELi1ELi1ELb0ELc67ELc85EKddEviT_PT9_S1_lS3_S1_lPT10_S1_li,"axG",@progbits,_ZL37rocblas_syrkx_herkx_restricted_kernelIldLi16ELi32ELi8ELi1ELi1ELb0ELc67ELc85EKddEviT_PT9_S1_lS3_S1_lPT10_S1_li,comdat
.Lfunc_end1007:
	.size	_ZL37rocblas_syrkx_herkx_restricted_kernelIldLi16ELi32ELi8ELi1ELi1ELb0ELc67ELc85EKddEviT_PT9_S1_lS3_S1_lPT10_S1_li, .Lfunc_end1007-_ZL37rocblas_syrkx_herkx_restricted_kernelIldLi16ELi32ELi8ELi1ELi1ELb0ELc67ELc85EKddEviT_PT9_S1_lS3_S1_lPT10_S1_li
                                        ; -- End function
	.section	.AMDGPU.csdata,"",@progbits
; Kernel info:
; codeLenInByte = 1528
; NumSgprs: 34
; NumVgprs: 38
; ScratchSize: 0
; MemoryBound: 0
; FloatMode: 240
; IeeeMode: 1
; LDSByteSize: 4096 bytes/workgroup (compile time only)
; SGPRBlocks: 4
; VGPRBlocks: 4
; NumSGPRsForWavesPerEU: 34
; NumVGPRsForWavesPerEU: 38
; Occupancy: 16
; WaveLimiterHint : 1
; COMPUTE_PGM_RSRC2:SCRATCH_EN: 0
; COMPUTE_PGM_RSRC2:USER_SGPR: 13
; COMPUTE_PGM_RSRC2:TRAP_HANDLER: 0
; COMPUTE_PGM_RSRC2:TGID_X_EN: 1
; COMPUTE_PGM_RSRC2:TGID_Y_EN: 1
; COMPUTE_PGM_RSRC2:TGID_Z_EN: 1
; COMPUTE_PGM_RSRC2:TIDIG_COMP_CNT: 1
	.section	.text._ZL37rocblas_syrkx_herkx_restricted_kernelIldLi16ELi32ELi8ELi1ELi1ELb0ELc78ELc85EKddEviT_PT9_S1_lS3_S1_lPT10_S1_li,"axG",@progbits,_ZL37rocblas_syrkx_herkx_restricted_kernelIldLi16ELi32ELi8ELi1ELi1ELb0ELc78ELc85EKddEviT_PT9_S1_lS3_S1_lPT10_S1_li,comdat
	.globl	_ZL37rocblas_syrkx_herkx_restricted_kernelIldLi16ELi32ELi8ELi1ELi1ELb0ELc78ELc85EKddEviT_PT9_S1_lS3_S1_lPT10_S1_li ; -- Begin function _ZL37rocblas_syrkx_herkx_restricted_kernelIldLi16ELi32ELi8ELi1ELi1ELb0ELc78ELc85EKddEviT_PT9_S1_lS3_S1_lPT10_S1_li
	.p2align	8
	.type	_ZL37rocblas_syrkx_herkx_restricted_kernelIldLi16ELi32ELi8ELi1ELi1ELb0ELc78ELc85EKddEviT_PT9_S1_lS3_S1_lPT10_S1_li,@function
_ZL37rocblas_syrkx_herkx_restricted_kernelIldLi16ELi32ELi8ELi1ELi1ELb0ELc78ELc85EKddEviT_PT9_S1_lS3_S1_lPT10_S1_li: ; @_ZL37rocblas_syrkx_herkx_restricted_kernelIldLi16ELi32ELi8ELi1ELi1ELb0ELc78ELc85EKddEviT_PT9_S1_lS3_S1_lPT10_S1_li
; %bb.0:
	s_load_b512 s[16:31], s[0:1], 0x8
	v_mov_b32_e32 v10, 0
	v_dual_mov_b32 v11, 0 :: v_dual_and_b32 v12, 0x3ff, v0
	v_bfe_u32 v13, v0, 10, 10
	s_delay_alu instid0(VALU_DEP_3) | instskip(NEXT) | instid1(VALU_DEP_3)
	v_mov_b32_e32 v6, v10
	v_dual_mov_b32 v2, v10 :: v_dual_mov_b32 v3, v11
	v_dual_mov_b32 v7, v11 :: v_dual_mov_b32 v0, v10
	v_mov_b32_e32 v1, v11
	s_lshl_b32 s8, s13, 5
	s_lshl_b32 s9, s14, 5
	s_waitcnt lgkmcnt(0)
	v_cmp_lt_i64_e64 s2, s[16:17], 1
	s_delay_alu instid0(VALU_DEP_1)
	s_and_b32 vcc_lo, exec_lo, s2
	s_cbranch_vccnz .LBB1008_3
; %bb.1:
	v_lshl_add_u32 v1, v13, 4, v12
	v_and_b32_e32 v11, 7, v12
	s_mul_i32 s3, s23, s15
	s_mul_hi_u32 s5, s22, s15
	s_mul_i32 s2, s22, s15
	v_and_b32_e32 v10, 31, v1
	v_lshrrev_b32_e32 v16, 3, v1
	v_lshrrev_b32_e32 v17, 5, v1
	s_add_i32 s3, s5, s3
	s_mul_i32 s6, s29, s15
	v_add_nc_u32_e32 v0, s8, v10
	v_add_nc_u32_e32 v2, s9, v16
	s_lshl_b64 s[2:3], s[2:3], 3
	s_mul_hi_u32 s7, s28, s15
	s_add_u32 s10, s18, s2
	v_ashrrev_i32_e32 v1, 31, v0
	v_ashrrev_i32_e32 v3, 31, v2
	s_mul_i32 s4, s28, s15
	s_addc_u32 s11, s19, s3
	s_add_i32 s5, s7, s6
	v_mad_u64_u32 v[4:5], null, v17, s20, v[0:1]
	v_mov_b32_e32 v0, 0
	v_mad_u64_u32 v[6:7], null, v11, s26, v[2:3]
	v_dual_mov_b32 v1, 0 :: v_dual_lshlrev_b32 v14, 3, v12
	v_lshlrev_b32_e32 v18, 3, v11
	v_mov_b32_e32 v2, v5
	s_lshl_b64 s[4:5], s[4:5], 3
	s_lshl_b64 s[2:3], s[20:21], 6
	s_delay_alu instid0(VALU_DEP_4)
	v_mov_b32_e32 v3, v7
	s_add_u32 s4, s24, s4
	s_addc_u32 s5, s25, s5
	v_lshl_add_u32 v15, v13, 6, 0x800
	s_mov_b64 s[6:7], 0
	v_mad_u64_u32 v[7:8], null, v17, s21, v[2:3]
	v_mad_u64_u32 v[8:9], null, v11, s27, v[3:4]
	v_lshlrev_b32_e32 v9, 3, v10
	s_delay_alu instid0(VALU_DEP_3) | instskip(NEXT) | instid1(VALU_DEP_3)
	v_mov_b32_e32 v5, v7
	v_mov_b32_e32 v7, v8
	s_delay_alu instid0(VALU_DEP_2) | instskip(NEXT) | instid1(VALU_DEP_2)
	v_lshlrev_b64 v[2:3], 3, v[4:5]
	v_lshlrev_b64 v[6:7], 3, v[6:7]
	s_delay_alu instid0(VALU_DEP_2) | instskip(NEXT) | instid1(VALU_DEP_3)
	v_add_co_u32 v4, vcc_lo, s10, v2
	v_add_co_ci_u32_e32 v5, vcc_lo, s11, v3, vcc_lo
	v_mov_b32_e32 v3, v1
	v_lshl_or_b32 v10, v16, 6, v18
	v_add_co_u32 v8, vcc_lo, s4, v6
	v_lshl_or_b32 v16, v17, 8, v9
	v_add_co_ci_u32_e32 v9, vcc_lo, s5, v7, vcc_lo
	s_delay_alu instid0(VALU_DEP_4)
	v_dual_mov_b32 v2, v0 :: v_dual_add_nc_u32 v17, 0x800, v10
	v_dual_mov_b32 v7, v1 :: v_dual_mov_b32 v6, v0
	v_dual_mov_b32 v11, v1 :: v_dual_mov_b32 v10, v0
	s_lshl_b64 s[4:5], s[26:27], 6
.LBB1008_2:                             ; =>This Inner Loop Header: Depth=1
	global_load_b64 v[18:19], v[4:5], off
	global_load_b64 v[20:21], v[8:9], off
	s_add_u32 s6, s6, 8
	v_add_co_u32 v4, vcc_lo, v4, s2
	s_addc_u32 s7, s7, 0
	v_add_co_ci_u32_e32 v5, vcc_lo, s3, v5, vcc_lo
	v_cmp_ge_u64_e64 s10, s[6:7], s[16:17]
	v_add_co_u32 v8, vcc_lo, v8, s4
	v_add_co_ci_u32_e32 v9, vcc_lo, s5, v9, vcc_lo
	s_waitcnt vmcnt(1)
	ds_store_b64 v16, v[18:19]
	s_waitcnt vmcnt(0)
	ds_store_b64 v17, v[20:21]
	s_waitcnt lgkmcnt(0)
	s_barrier
	buffer_gl0_inv
	ds_load_2addr_b64 v[18:21], v14 offset1:16
	ds_load_b128 v[22:25], v15
	ds_load_b128 v[26:29], v15 offset:1024
	ds_load_b128 v[30:33], v15 offset:16
	;; [unrolled: 1-line block ×3, first 2 shown]
	s_and_b32 vcc_lo, exec_lo, s10
	s_waitcnt lgkmcnt(3)
	v_fma_f64 v[10:11], v[18:19], v[22:23], v[10:11]
	v_fma_f64 v[6:7], v[20:21], v[22:23], v[6:7]
	s_waitcnt lgkmcnt(2)
	v_fma_f64 v[18:19], v[18:19], v[26:27], v[2:3]
	v_fma_f64 v[20:21], v[20:21], v[26:27], v[0:1]
	ds_load_2addr_b64 v[0:3], v14 offset0:32 offset1:48
	s_waitcnt lgkmcnt(0)
	v_fma_f64 v[10:11], v[0:1], v[24:25], v[10:11]
	v_fma_f64 v[6:7], v[2:3], v[24:25], v[6:7]
	v_fma_f64 v[18:19], v[0:1], v[28:29], v[18:19]
	v_fma_f64 v[20:21], v[2:3], v[28:29], v[20:21]
	ds_load_2addr_b64 v[0:3], v14 offset0:64 offset1:80
	s_waitcnt lgkmcnt(0)
	v_fma_f64 v[10:11], v[0:1], v[30:31], v[10:11]
	v_fma_f64 v[6:7], v[2:3], v[30:31], v[6:7]
	;; [unrolled: 6-line block ×3, first 2 shown]
	v_fma_f64 v[34:35], v[0:1], v[36:37], v[18:19]
	v_fma_f64 v[36:37], v[2:3], v[36:37], v[20:21]
	ds_load_2addr_b64 v[0:3], v14 offset0:128 offset1:144
	ds_load_b128 v[18:21], v15 offset:32
	ds_load_b128 v[22:25], v15 offset:1056
	;; [unrolled: 1-line block ×4, first 2 shown]
	s_waitcnt lgkmcnt(3)
	v_fma_f64 v[10:11], v[0:1], v[18:19], v[10:11]
	v_fma_f64 v[6:7], v[2:3], v[18:19], v[6:7]
	s_waitcnt lgkmcnt(2)
	v_fma_f64 v[18:19], v[0:1], v[22:23], v[34:35]
	v_fma_f64 v[22:23], v[2:3], v[22:23], v[36:37]
	ds_load_2addr_b64 v[0:3], v14 offset0:160 offset1:176
	s_waitcnt lgkmcnt(0)
	v_fma_f64 v[10:11], v[0:1], v[20:21], v[10:11]
	v_fma_f64 v[6:7], v[2:3], v[20:21], v[6:7]
	;; [unrolled: 1-line block ×4, first 2 shown]
	ds_load_2addr_b64 v[0:3], v14 offset0:192 offset1:208
	s_waitcnt lgkmcnt(0)
	v_fma_f64 v[10:11], v[0:1], v[26:27], v[10:11]
	v_fma_f64 v[6:7], v[2:3], v[26:27], v[6:7]
	;; [unrolled: 1-line block ×4, first 2 shown]
	ds_load_2addr_b64 v[18:21], v14 offset0:224 offset1:240
	s_waitcnt lgkmcnt(0)
	s_barrier
	buffer_gl0_inv
	v_fma_f64 v[10:11], v[18:19], v[28:29], v[10:11]
	v_fma_f64 v[6:7], v[20:21], v[28:29], v[6:7]
	v_fma_f64 v[2:3], v[18:19], v[32:33], v[0:1]
	v_fma_f64 v[0:1], v[20:21], v[32:33], v[22:23]
	s_cbranch_vccz .LBB1008_2
.LBB1008_3:
	s_clause 0x1
	s_load_b128 s[4:7], s[0:1], 0x48
	s_load_b32 s2, s[0:1], 0x0
	v_add_nc_u32_e32 v13, s9, v13
	s_delay_alu instid0(VALU_DEP_1) | instskip(SKIP_1) | instid1(VALU_DEP_1)
	v_ashrrev_i32_e32 v4, 31, v13
	s_waitcnt lgkmcnt(0)
	v_mul_lo_u32 v5, v4, s4
	v_mul_lo_u32 v14, v13, s5
	v_mad_u64_u32 v[8:9], null, v13, s4, 0
	s_mul_i32 s1, s15, s7
	s_mul_hi_u32 s3, s15, s6
	s_mul_i32 s6, s15, s6
	s_add_i32 s7, s3, s1
	v_add_nc_u32_e32 v4, s8, v12
	s_lshl_b64 s[6:7], s[6:7], 3
	s_delay_alu instid0(VALU_DEP_2)
	v_add3_u32 v9, v9, v14, v5
	s_add_u32 s3, s30, s6
	v_cmp_gt_i32_e32 vcc_lo, s2, v13
	v_cmp_le_i32_e64 s0, v4, v13
	s_addc_u32 s6, s31, s7
	v_lshlrev_b64 v[8:9], 3, v[8:9]
	s_delay_alu instid0(VALU_DEP_2) | instskip(NEXT) | instid1(VALU_DEP_1)
	s_and_b32 s0, vcc_lo, s0
	v_add_co_u32 v12, s1, s3, v8
	s_delay_alu instid0(VALU_DEP_1)
	v_add_co_ci_u32_e64 v14, s1, s6, v9, s1
	s_and_saveexec_b32 s1, s0
	s_cbranch_execz .LBB1008_5
; %bb.4:
	v_ashrrev_i32_e32 v5, 31, v4
	s_delay_alu instid0(VALU_DEP_1) | instskip(NEXT) | instid1(VALU_DEP_1)
	v_lshlrev_b64 v[8:9], 3, v[4:5]
	v_add_co_u32 v8, s0, v12, v8
	s_delay_alu instid0(VALU_DEP_1)
	v_add_co_ci_u32_e64 v9, s0, v14, v9, s0
	global_load_b64 v[15:16], v[8:9], off
	s_waitcnt vmcnt(0)
	v_add_f64 v[10:11], v[10:11], v[15:16]
	global_store_b64 v[8:9], v[10:11], off
.LBB1008_5:
	s_or_b32 exec_lo, exec_lo, s1
	v_add_nc_u32_e32 v8, 16, v4
	s_delay_alu instid0(VALU_DEP_1) | instskip(NEXT) | instid1(VALU_DEP_1)
	v_cmp_le_i32_e64 s0, v8, v13
	s_and_b32 s1, vcc_lo, s0
	s_delay_alu instid0(SALU_CYCLE_1)
	s_and_saveexec_b32 s0, s1
	s_cbranch_execz .LBB1008_7
; %bb.6:
	v_ashrrev_i32_e32 v9, 31, v8
	s_delay_alu instid0(VALU_DEP_1) | instskip(NEXT) | instid1(VALU_DEP_1)
	v_lshlrev_b64 v[9:10], 3, v[8:9]
	v_add_co_u32 v9, vcc_lo, v12, v9
	s_delay_alu instid0(VALU_DEP_2)
	v_add_co_ci_u32_e32 v10, vcc_lo, v14, v10, vcc_lo
	global_load_b64 v[11:12], v[9:10], off
	s_waitcnt vmcnt(0)
	v_add_f64 v[5:6], v[6:7], v[11:12]
	global_store_b64 v[9:10], v[5:6], off
.LBB1008_7:
	s_or_b32 exec_lo, exec_lo, s0
	v_add_nc_u32_e32 v6, 16, v13
	s_delay_alu instid0(VALU_DEP_1) | instskip(SKIP_3) | instid1(VALU_DEP_4)
	v_ashrrev_i32_e32 v5, 31, v6
	v_mul_lo_u32 v7, v6, s5
	v_mad_u64_u32 v[9:10], null, v6, s4, 0
	v_cmp_gt_i32_e32 vcc_lo, s2, v6
	v_mul_lo_u32 v5, v5, s4
	v_cmp_le_i32_e64 s0, v4, v6
	s_delay_alu instid0(VALU_DEP_1) | instskip(NEXT) | instid1(VALU_DEP_2)
	s_and_b32 s0, vcc_lo, s0
	v_add3_u32 v10, v10, v7, v5
	s_delay_alu instid0(VALU_DEP_1) | instskip(NEXT) | instid1(VALU_DEP_1)
	v_lshlrev_b64 v[9:10], 3, v[9:10]
	v_add_co_u32 v7, s1, s3, v9
	s_delay_alu instid0(VALU_DEP_1)
	v_add_co_ci_u32_e64 v10, s1, s6, v10, s1
	s_and_saveexec_b32 s1, s0
	s_cbranch_execz .LBB1008_9
; %bb.8:
	v_ashrrev_i32_e32 v5, 31, v4
	s_delay_alu instid0(VALU_DEP_1) | instskip(NEXT) | instid1(VALU_DEP_1)
	v_lshlrev_b64 v[4:5], 3, v[4:5]
	v_add_co_u32 v4, s0, v7, v4
	s_delay_alu instid0(VALU_DEP_1)
	v_add_co_ci_u32_e64 v5, s0, v10, v5, s0
	global_load_b64 v[11:12], v[4:5], off
	s_waitcnt vmcnt(0)
	v_add_f64 v[2:3], v[2:3], v[11:12]
	global_store_b64 v[4:5], v[2:3], off
.LBB1008_9:
	s_or_b32 exec_lo, exec_lo, s1
	v_cmp_le_i32_e64 s0, v8, v6
	s_delay_alu instid0(VALU_DEP_1) | instskip(NEXT) | instid1(SALU_CYCLE_1)
	s_and_b32 s0, vcc_lo, s0
	s_and_saveexec_b32 s1, s0
	s_cbranch_execz .LBB1008_11
; %bb.10:
	v_ashrrev_i32_e32 v9, 31, v8
	s_delay_alu instid0(VALU_DEP_1) | instskip(NEXT) | instid1(VALU_DEP_1)
	v_lshlrev_b64 v[2:3], 3, v[8:9]
	v_add_co_u32 v2, vcc_lo, v7, v2
	s_delay_alu instid0(VALU_DEP_2)
	v_add_co_ci_u32_e32 v3, vcc_lo, v10, v3, vcc_lo
	global_load_b64 v[4:5], v[2:3], off
	s_waitcnt vmcnt(0)
	v_add_f64 v[0:1], v[0:1], v[4:5]
	global_store_b64 v[2:3], v[0:1], off
.LBB1008_11:
	s_nop 0
	s_sendmsg sendmsg(MSG_DEALLOC_VGPRS)
	s_endpgm
	.section	.rodata,"a",@progbits
	.p2align	6, 0x0
	.amdhsa_kernel _ZL37rocblas_syrkx_herkx_restricted_kernelIldLi16ELi32ELi8ELi1ELi1ELb0ELc78ELc85EKddEviT_PT9_S1_lS3_S1_lPT10_S1_li
		.amdhsa_group_segment_fixed_size 4096
		.amdhsa_private_segment_fixed_size 0
		.amdhsa_kernarg_size 92
		.amdhsa_user_sgpr_count 13
		.amdhsa_user_sgpr_dispatch_ptr 0
		.amdhsa_user_sgpr_queue_ptr 0
		.amdhsa_user_sgpr_kernarg_segment_ptr 1
		.amdhsa_user_sgpr_dispatch_id 0
		.amdhsa_user_sgpr_private_segment_size 0
		.amdhsa_wavefront_size32 1
		.amdhsa_uses_dynamic_stack 0
		.amdhsa_enable_private_segment 0
		.amdhsa_system_sgpr_workgroup_id_x 1
		.amdhsa_system_sgpr_workgroup_id_y 1
		.amdhsa_system_sgpr_workgroup_id_z 1
		.amdhsa_system_sgpr_workgroup_info 0
		.amdhsa_system_vgpr_workitem_id 1
		.amdhsa_next_free_vgpr 38
		.amdhsa_next_free_sgpr 32
		.amdhsa_reserve_vcc 1
		.amdhsa_float_round_mode_32 0
		.amdhsa_float_round_mode_16_64 0
		.amdhsa_float_denorm_mode_32 3
		.amdhsa_float_denorm_mode_16_64 3
		.amdhsa_dx10_clamp 1
		.amdhsa_ieee_mode 1
		.amdhsa_fp16_overflow 0
		.amdhsa_workgroup_processor_mode 1
		.amdhsa_memory_ordered 1
		.amdhsa_forward_progress 0
		.amdhsa_shared_vgpr_count 0
		.amdhsa_exception_fp_ieee_invalid_op 0
		.amdhsa_exception_fp_denorm_src 0
		.amdhsa_exception_fp_ieee_div_zero 0
		.amdhsa_exception_fp_ieee_overflow 0
		.amdhsa_exception_fp_ieee_underflow 0
		.amdhsa_exception_fp_ieee_inexact 0
		.amdhsa_exception_int_div_zero 0
	.end_amdhsa_kernel
	.section	.text._ZL37rocblas_syrkx_herkx_restricted_kernelIldLi16ELi32ELi8ELi1ELi1ELb0ELc78ELc85EKddEviT_PT9_S1_lS3_S1_lPT10_S1_li,"axG",@progbits,_ZL37rocblas_syrkx_herkx_restricted_kernelIldLi16ELi32ELi8ELi1ELi1ELb0ELc78ELc85EKddEviT_PT9_S1_lS3_S1_lPT10_S1_li,comdat
.Lfunc_end1008:
	.size	_ZL37rocblas_syrkx_herkx_restricted_kernelIldLi16ELi32ELi8ELi1ELi1ELb0ELc78ELc85EKddEviT_PT9_S1_lS3_S1_lPT10_S1_li, .Lfunc_end1008-_ZL37rocblas_syrkx_herkx_restricted_kernelIldLi16ELi32ELi8ELi1ELi1ELb0ELc78ELc85EKddEviT_PT9_S1_lS3_S1_lPT10_S1_li
                                        ; -- End function
	.section	.AMDGPU.csdata,"",@progbits
; Kernel info:
; codeLenInByte = 1520
; NumSgprs: 34
; NumVgprs: 38
; ScratchSize: 0
; MemoryBound: 0
; FloatMode: 240
; IeeeMode: 1
; LDSByteSize: 4096 bytes/workgroup (compile time only)
; SGPRBlocks: 4
; VGPRBlocks: 4
; NumSGPRsForWavesPerEU: 34
; NumVGPRsForWavesPerEU: 38
; Occupancy: 16
; WaveLimiterHint : 1
; COMPUTE_PGM_RSRC2:SCRATCH_EN: 0
; COMPUTE_PGM_RSRC2:USER_SGPR: 13
; COMPUTE_PGM_RSRC2:TRAP_HANDLER: 0
; COMPUTE_PGM_RSRC2:TGID_X_EN: 1
; COMPUTE_PGM_RSRC2:TGID_Y_EN: 1
; COMPUTE_PGM_RSRC2:TGID_Z_EN: 1
; COMPUTE_PGM_RSRC2:TIDIG_COMP_CNT: 1
	.section	.text._ZL37rocblas_syrkx_herkx_restricted_kernelIldLi16ELi32ELi8ELi1ELin1ELb0ELc84ELc76EKddEviT_PT9_S1_lS3_S1_lPT10_S1_li,"axG",@progbits,_ZL37rocblas_syrkx_herkx_restricted_kernelIldLi16ELi32ELi8ELi1ELin1ELb0ELc84ELc76EKddEviT_PT9_S1_lS3_S1_lPT10_S1_li,comdat
	.globl	_ZL37rocblas_syrkx_herkx_restricted_kernelIldLi16ELi32ELi8ELi1ELin1ELb0ELc84ELc76EKddEviT_PT9_S1_lS3_S1_lPT10_S1_li ; -- Begin function _ZL37rocblas_syrkx_herkx_restricted_kernelIldLi16ELi32ELi8ELi1ELin1ELb0ELc84ELc76EKddEviT_PT9_S1_lS3_S1_lPT10_S1_li
	.p2align	8
	.type	_ZL37rocblas_syrkx_herkx_restricted_kernelIldLi16ELi32ELi8ELi1ELin1ELb0ELc84ELc76EKddEviT_PT9_S1_lS3_S1_lPT10_S1_li,@function
_ZL37rocblas_syrkx_herkx_restricted_kernelIldLi16ELi32ELi8ELi1ELin1ELb0ELc84ELc76EKddEviT_PT9_S1_lS3_S1_lPT10_S1_li: ; @_ZL37rocblas_syrkx_herkx_restricted_kernelIldLi16ELi32ELi8ELi1ELin1ELb0ELc84ELc76EKddEviT_PT9_S1_lS3_S1_lPT10_S1_li
; %bb.0:
	s_load_b512 s[16:31], s[0:1], 0x8
	v_mov_b32_e32 v10, 0
	v_dual_mov_b32 v11, 0 :: v_dual_and_b32 v12, 0x3ff, v0
	v_bfe_u32 v13, v0, 10, 10
	s_delay_alu instid0(VALU_DEP_3) | instskip(NEXT) | instid1(VALU_DEP_3)
	v_mov_b32_e32 v6, v10
	v_dual_mov_b32 v2, v10 :: v_dual_mov_b32 v3, v11
	v_dual_mov_b32 v7, v11 :: v_dual_mov_b32 v0, v10
	v_mov_b32_e32 v1, v11
	s_lshl_b32 s8, s13, 5
	s_lshl_b32 s9, s14, 5
	s_waitcnt lgkmcnt(0)
	v_cmp_lt_i64_e64 s2, s[16:17], 1
	s_delay_alu instid0(VALU_DEP_1)
	s_and_b32 vcc_lo, exec_lo, s2
	s_cbranch_vccnz .LBB1009_3
; %bb.1:
	v_lshl_add_u32 v2, v13, 4, v12
	v_dual_mov_b32 v1, 0 :: v_dual_and_b32 v0, 7, v12
	v_lshlrev_b32_e32 v14, 3, v12
	s_mul_i32 s3, s23, s15
	s_delay_alu instid0(VALU_DEP_3)
	v_and_b32_e32 v8, 31, v2
	v_lshrrev_b32_e32 v9, 3, v2
	v_lshrrev_b32_e32 v2, 5, v2
	v_mov_b32_e32 v3, v1
	v_lshlrev_b32_e32 v11, 3, v0
	v_add_nc_u32_e32 v6, s8, v8
	v_add_nc_u32_e32 v10, s9, v9
	s_mul_hi_u32 s4, s22, s15
	s_mul_i32 s2, s22, s15
	s_add_i32 s3, s4, s3
	v_ashrrev_i32_e32 v7, 31, v6
	v_ashrrev_i32_e32 v15, 31, v10
	v_mad_u64_u32 v[4:5], null, s20, v6, v[2:3]
	v_mul_lo_u32 v3, s21, v6
	s_delay_alu instid0(VALU_DEP_4)
	v_mul_lo_u32 v16, s20, v7
	v_mul_lo_u32 v17, v10, s27
	v_mad_u64_u32 v[6:7], null, v10, s26, v[0:1]
	v_mul_lo_u32 v0, v15, s26
	v_lshlrev_b32_e32 v1, 3, v8
	s_lshl_b64 s[2:3], s[2:3], 3
	s_mul_hi_u32 s5, s28, s15
	v_add3_u32 v5, v3, v5, v16
	s_add_u32 s4, s18, s2
	v_lshl_or_b32 v15, v2, 8, v1
	s_mul_i32 s2, s29, s15
	v_add3_u32 v7, v0, v7, v17
	v_lshlrev_b64 v[0:1], 3, v[4:5]
	s_addc_u32 s6, s19, s3
	s_add_i32 s3, s5, s2
	s_mul_i32 s2, s28, s15
	v_lshlrev_b64 v[2:3], 3, v[6:7]
	s_lshl_b64 s[2:3], s[2:3], 3
	v_add_co_u32 v4, vcc_lo, s4, v0
	v_add_co_ci_u32_e32 v5, vcc_lo, s6, v1, vcc_lo
	v_mov_b32_e32 v0, 0
	v_lshl_or_b32 v8, v9, 6, v11
	v_mov_b32_e32 v1, 0
	s_add_u32 s2, s24, s2
	s_addc_u32 s3, s25, s3
	v_lshl_add_u32 v17, v13, 6, 0x800
	s_delay_alu instid0(VALU_DEP_2)
	v_dual_mov_b32 v11, v1 :: v_dual_add_nc_u32 v16, 0x800, v8
	v_add_co_u32 v8, vcc_lo, s2, v2
	v_add_co_ci_u32_e32 v9, vcc_lo, s3, v3, vcc_lo
	v_mov_b32_e32 v3, v1
	v_dual_mov_b32 v7, v1 :: v_dual_mov_b32 v2, v0
	v_mov_b32_e32 v6, v0
	v_mov_b32_e32 v10, v0
	s_mov_b64 s[2:3], 0
.LBB1009_2:                             ; =>This Inner Loop Header: Depth=1
	global_load_b64 v[18:19], v[4:5], off
	global_load_b64 v[20:21], v[8:9], off
	s_add_u32 s2, s2, 8
	v_add_co_u32 v4, vcc_lo, v4, 64
	s_addc_u32 s3, s3, 0
	v_add_co_ci_u32_e32 v5, vcc_lo, 0, v5, vcc_lo
	v_cmp_ge_u64_e64 s4, s[2:3], s[16:17]
	v_add_co_u32 v8, vcc_lo, v8, 64
	v_add_co_ci_u32_e32 v9, vcc_lo, 0, v9, vcc_lo
	s_waitcnt vmcnt(1)
	ds_store_b64 v15, v[18:19]
	s_waitcnt vmcnt(0)
	ds_store_b64 v16, v[20:21]
	s_waitcnt lgkmcnt(0)
	s_barrier
	buffer_gl0_inv
	ds_load_2addr_b64 v[18:21], v14 offset1:16
	ds_load_b128 v[22:25], v17
	ds_load_b128 v[26:29], v17 offset:1024
	ds_load_b128 v[30:33], v17 offset:16
	;; [unrolled: 1-line block ×3, first 2 shown]
	s_and_b32 vcc_lo, exec_lo, s4
	s_waitcnt lgkmcnt(3)
	v_fma_f64 v[10:11], v[18:19], v[22:23], v[10:11]
	v_fma_f64 v[6:7], v[20:21], v[22:23], v[6:7]
	s_waitcnt lgkmcnt(2)
	v_fma_f64 v[18:19], v[18:19], v[26:27], v[2:3]
	v_fma_f64 v[20:21], v[20:21], v[26:27], v[0:1]
	ds_load_2addr_b64 v[0:3], v14 offset0:32 offset1:48
	s_waitcnt lgkmcnt(0)
	v_fma_f64 v[10:11], v[0:1], v[24:25], v[10:11]
	v_fma_f64 v[6:7], v[2:3], v[24:25], v[6:7]
	v_fma_f64 v[18:19], v[0:1], v[28:29], v[18:19]
	v_fma_f64 v[20:21], v[2:3], v[28:29], v[20:21]
	ds_load_2addr_b64 v[0:3], v14 offset0:64 offset1:80
	s_waitcnt lgkmcnt(0)
	v_fma_f64 v[10:11], v[0:1], v[30:31], v[10:11]
	v_fma_f64 v[6:7], v[2:3], v[30:31], v[6:7]
	;; [unrolled: 6-line block ×3, first 2 shown]
	v_fma_f64 v[34:35], v[0:1], v[36:37], v[18:19]
	v_fma_f64 v[36:37], v[2:3], v[36:37], v[20:21]
	ds_load_2addr_b64 v[0:3], v14 offset0:128 offset1:144
	ds_load_b128 v[18:21], v17 offset:32
	ds_load_b128 v[22:25], v17 offset:1056
	;; [unrolled: 1-line block ×4, first 2 shown]
	s_waitcnt lgkmcnt(3)
	v_fma_f64 v[10:11], v[0:1], v[18:19], v[10:11]
	v_fma_f64 v[6:7], v[2:3], v[18:19], v[6:7]
	s_waitcnt lgkmcnt(2)
	v_fma_f64 v[18:19], v[0:1], v[22:23], v[34:35]
	v_fma_f64 v[22:23], v[2:3], v[22:23], v[36:37]
	ds_load_2addr_b64 v[0:3], v14 offset0:160 offset1:176
	s_waitcnt lgkmcnt(0)
	v_fma_f64 v[10:11], v[0:1], v[20:21], v[10:11]
	v_fma_f64 v[6:7], v[2:3], v[20:21], v[6:7]
	;; [unrolled: 1-line block ×4, first 2 shown]
	ds_load_2addr_b64 v[0:3], v14 offset0:192 offset1:208
	s_waitcnt lgkmcnt(0)
	v_fma_f64 v[10:11], v[0:1], v[26:27], v[10:11]
	v_fma_f64 v[6:7], v[2:3], v[26:27], v[6:7]
	;; [unrolled: 1-line block ×4, first 2 shown]
	ds_load_2addr_b64 v[18:21], v14 offset0:224 offset1:240
	s_waitcnt lgkmcnt(0)
	s_barrier
	buffer_gl0_inv
	v_fma_f64 v[10:11], v[18:19], v[28:29], v[10:11]
	v_fma_f64 v[6:7], v[20:21], v[28:29], v[6:7]
	;; [unrolled: 1-line block ×4, first 2 shown]
	s_cbranch_vccz .LBB1009_2
.LBB1009_3:
	s_load_b128 s[4:7], s[0:1], 0x48
	v_add_nc_u32_e32 v13, s9, v13
	s_load_b32 s9, s[0:1], 0x0
	s_delay_alu instid0(VALU_DEP_1) | instskip(SKIP_1) | instid1(VALU_DEP_1)
	v_ashrrev_i32_e32 v4, 31, v13
	s_waitcnt lgkmcnt(0)
	v_mul_lo_u32 v5, v4, s4
	v_mul_lo_u32 v14, v13, s5
	v_mad_u64_u32 v[8:9], null, v13, s4, 0
	s_mul_i32 s1, s15, s7
	s_mul_hi_u32 s3, s15, s6
	s_mul_i32 s2, s15, s6
	s_add_i32 s3, s3, s1
	v_add_nc_u32_e32 v4, s8, v12
	s_lshl_b64 s[2:3], s[2:3], 3
	s_delay_alu instid0(VALU_DEP_2)
	v_add3_u32 v9, v9, v14, v5
	s_add_u32 s2, s30, s2
	s_addc_u32 s3, s31, s3
	v_cmp_le_i32_e64 s0, v13, v4
	v_cmp_gt_i32_e32 vcc_lo, s9, v4
	v_lshlrev_b64 v[8:9], 3, v[8:9]
	s_delay_alu instid0(VALU_DEP_3) | instskip(NEXT) | instid1(VALU_DEP_1)
	s_and_b32 s0, s0, vcc_lo
	v_add_co_u32 v12, s1, s2, v8
	s_delay_alu instid0(VALU_DEP_1)
	v_add_co_ci_u32_e64 v14, s1, s3, v9, s1
	s_and_saveexec_b32 s1, s0
	s_cbranch_execz .LBB1009_5
; %bb.4:
	v_ashrrev_i32_e32 v5, 31, v4
	s_delay_alu instid0(VALU_DEP_1) | instskip(NEXT) | instid1(VALU_DEP_1)
	v_lshlrev_b64 v[8:9], 3, v[4:5]
	v_add_co_u32 v8, s0, v12, v8
	s_delay_alu instid0(VALU_DEP_1)
	v_add_co_ci_u32_e64 v9, s0, v14, v9, s0
	global_load_b64 v[15:16], v[8:9], off
	s_waitcnt vmcnt(0)
	v_add_f64 v[10:11], v[10:11], -v[15:16]
	global_store_b64 v[8:9], v[10:11], off
.LBB1009_5:
	s_or_b32 exec_lo, exec_lo, s1
	v_add_nc_u32_e32 v8, 16, v4
	s_delay_alu instid0(VALU_DEP_1) | instskip(SKIP_1) | instid1(VALU_DEP_1)
	v_cmp_le_i32_e64 s1, v13, v8
	v_cmp_gt_i32_e64 s0, s9, v8
	s_and_b32 s1, s1, s0
	s_delay_alu instid0(SALU_CYCLE_1)
	s_and_saveexec_b32 s6, s1
	s_cbranch_execz .LBB1009_7
; %bb.6:
	v_ashrrev_i32_e32 v9, 31, v8
	s_delay_alu instid0(VALU_DEP_1) | instskip(NEXT) | instid1(VALU_DEP_1)
	v_lshlrev_b64 v[9:10], 3, v[8:9]
	v_add_co_u32 v9, s1, v12, v9
	s_delay_alu instid0(VALU_DEP_1)
	v_add_co_ci_u32_e64 v10, s1, v14, v10, s1
	global_load_b64 v[11:12], v[9:10], off
	s_waitcnt vmcnt(0)
	v_add_f64 v[5:6], v[6:7], -v[11:12]
	global_store_b64 v[9:10], v[5:6], off
.LBB1009_7:
	s_or_b32 exec_lo, exec_lo, s6
	v_add_nc_u32_e32 v6, 16, v13
	s_delay_alu instid0(VALU_DEP_1) | instskip(SKIP_3) | instid1(VALU_DEP_4)
	v_ashrrev_i32_e32 v5, 31, v6
	v_mul_lo_u32 v7, v6, s5
	v_mad_u64_u32 v[9:10], null, v6, s4, 0
	v_cmp_le_i32_e64 s1, v6, v4
	v_mul_lo_u32 v5, v5, s4
	s_delay_alu instid0(VALU_DEP_1) | instskip(NEXT) | instid1(VALU_DEP_1)
	v_add3_u32 v10, v10, v7, v5
	v_lshlrev_b64 v[9:10], 3, v[9:10]
	s_delay_alu instid0(VALU_DEP_1) | instskip(NEXT) | instid1(VALU_DEP_1)
	v_add_co_u32 v7, s2, s2, v9
	v_add_co_ci_u32_e64 v10, s2, s3, v10, s2
	s_and_b32 s2, s1, vcc_lo
	s_delay_alu instid0(SALU_CYCLE_1)
	s_and_saveexec_b32 s1, s2
	s_cbranch_execz .LBB1009_9
; %bb.8:
	v_ashrrev_i32_e32 v5, 31, v4
	s_delay_alu instid0(VALU_DEP_1) | instskip(NEXT) | instid1(VALU_DEP_1)
	v_lshlrev_b64 v[4:5], 3, v[4:5]
	v_add_co_u32 v4, vcc_lo, v7, v4
	s_delay_alu instid0(VALU_DEP_2)
	v_add_co_ci_u32_e32 v5, vcc_lo, v10, v5, vcc_lo
	global_load_b64 v[11:12], v[4:5], off
	s_waitcnt vmcnt(0)
	v_add_f64 v[2:3], v[2:3], -v[11:12]
	global_store_b64 v[4:5], v[2:3], off
.LBB1009_9:
	s_or_b32 exec_lo, exec_lo, s1
	v_cmp_le_i32_e32 vcc_lo, v6, v8
	s_and_b32 s0, vcc_lo, s0
	s_delay_alu instid0(SALU_CYCLE_1)
	s_and_saveexec_b32 s1, s0
	s_cbranch_execz .LBB1009_11
; %bb.10:
	v_ashrrev_i32_e32 v9, 31, v8
	s_delay_alu instid0(VALU_DEP_1) | instskip(NEXT) | instid1(VALU_DEP_1)
	v_lshlrev_b64 v[2:3], 3, v[8:9]
	v_add_co_u32 v2, vcc_lo, v7, v2
	s_delay_alu instid0(VALU_DEP_2)
	v_add_co_ci_u32_e32 v3, vcc_lo, v10, v3, vcc_lo
	global_load_b64 v[4:5], v[2:3], off
	s_waitcnt vmcnt(0)
	v_add_f64 v[0:1], v[0:1], -v[4:5]
	global_store_b64 v[2:3], v[0:1], off
.LBB1009_11:
	s_nop 0
	s_sendmsg sendmsg(MSG_DEALLOC_VGPRS)
	s_endpgm
	.section	.rodata,"a",@progbits
	.p2align	6, 0x0
	.amdhsa_kernel _ZL37rocblas_syrkx_herkx_restricted_kernelIldLi16ELi32ELi8ELi1ELin1ELb0ELc84ELc76EKddEviT_PT9_S1_lS3_S1_lPT10_S1_li
		.amdhsa_group_segment_fixed_size 4096
		.amdhsa_private_segment_fixed_size 0
		.amdhsa_kernarg_size 92
		.amdhsa_user_sgpr_count 13
		.amdhsa_user_sgpr_dispatch_ptr 0
		.amdhsa_user_sgpr_queue_ptr 0
		.amdhsa_user_sgpr_kernarg_segment_ptr 1
		.amdhsa_user_sgpr_dispatch_id 0
		.amdhsa_user_sgpr_private_segment_size 0
		.amdhsa_wavefront_size32 1
		.amdhsa_uses_dynamic_stack 0
		.amdhsa_enable_private_segment 0
		.amdhsa_system_sgpr_workgroup_id_x 1
		.amdhsa_system_sgpr_workgroup_id_y 1
		.amdhsa_system_sgpr_workgroup_id_z 1
		.amdhsa_system_sgpr_workgroup_info 0
		.amdhsa_system_vgpr_workitem_id 1
		.amdhsa_next_free_vgpr 38
		.amdhsa_next_free_sgpr 32
		.amdhsa_reserve_vcc 1
		.amdhsa_float_round_mode_32 0
		.amdhsa_float_round_mode_16_64 0
		.amdhsa_float_denorm_mode_32 3
		.amdhsa_float_denorm_mode_16_64 3
		.amdhsa_dx10_clamp 1
		.amdhsa_ieee_mode 1
		.amdhsa_fp16_overflow 0
		.amdhsa_workgroup_processor_mode 1
		.amdhsa_memory_ordered 1
		.amdhsa_forward_progress 0
		.amdhsa_shared_vgpr_count 0
		.amdhsa_exception_fp_ieee_invalid_op 0
		.amdhsa_exception_fp_denorm_src 0
		.amdhsa_exception_fp_ieee_div_zero 0
		.amdhsa_exception_fp_ieee_overflow 0
		.amdhsa_exception_fp_ieee_underflow 0
		.amdhsa_exception_fp_ieee_inexact 0
		.amdhsa_exception_int_div_zero 0
	.end_amdhsa_kernel
	.section	.text._ZL37rocblas_syrkx_herkx_restricted_kernelIldLi16ELi32ELi8ELi1ELin1ELb0ELc84ELc76EKddEviT_PT9_S1_lS3_S1_lPT10_S1_li,"axG",@progbits,_ZL37rocblas_syrkx_herkx_restricted_kernelIldLi16ELi32ELi8ELi1ELin1ELb0ELc84ELc76EKddEviT_PT9_S1_lS3_S1_lPT10_S1_li,comdat
.Lfunc_end1009:
	.size	_ZL37rocblas_syrkx_herkx_restricted_kernelIldLi16ELi32ELi8ELi1ELin1ELb0ELc84ELc76EKddEviT_PT9_S1_lS3_S1_lPT10_S1_li, .Lfunc_end1009-_ZL37rocblas_syrkx_herkx_restricted_kernelIldLi16ELi32ELi8ELi1ELin1ELb0ELc84ELc76EKddEviT_PT9_S1_lS3_S1_lPT10_S1_li
                                        ; -- End function
	.section	.AMDGPU.csdata,"",@progbits
; Kernel info:
; codeLenInByte = 1524
; NumSgprs: 34
; NumVgprs: 38
; ScratchSize: 0
; MemoryBound: 0
; FloatMode: 240
; IeeeMode: 1
; LDSByteSize: 4096 bytes/workgroup (compile time only)
; SGPRBlocks: 4
; VGPRBlocks: 4
; NumSGPRsForWavesPerEU: 34
; NumVGPRsForWavesPerEU: 38
; Occupancy: 16
; WaveLimiterHint : 1
; COMPUTE_PGM_RSRC2:SCRATCH_EN: 0
; COMPUTE_PGM_RSRC2:USER_SGPR: 13
; COMPUTE_PGM_RSRC2:TRAP_HANDLER: 0
; COMPUTE_PGM_RSRC2:TGID_X_EN: 1
; COMPUTE_PGM_RSRC2:TGID_Y_EN: 1
; COMPUTE_PGM_RSRC2:TGID_Z_EN: 1
; COMPUTE_PGM_RSRC2:TIDIG_COMP_CNT: 1
	.section	.text._ZL37rocblas_syrkx_herkx_restricted_kernelIldLi16ELi32ELi8ELi1ELin1ELb0ELc67ELc76EKddEviT_PT9_S1_lS3_S1_lPT10_S1_li,"axG",@progbits,_ZL37rocblas_syrkx_herkx_restricted_kernelIldLi16ELi32ELi8ELi1ELin1ELb0ELc67ELc76EKddEviT_PT9_S1_lS3_S1_lPT10_S1_li,comdat
	.globl	_ZL37rocblas_syrkx_herkx_restricted_kernelIldLi16ELi32ELi8ELi1ELin1ELb0ELc67ELc76EKddEviT_PT9_S1_lS3_S1_lPT10_S1_li ; -- Begin function _ZL37rocblas_syrkx_herkx_restricted_kernelIldLi16ELi32ELi8ELi1ELin1ELb0ELc67ELc76EKddEviT_PT9_S1_lS3_S1_lPT10_S1_li
	.p2align	8
	.type	_ZL37rocblas_syrkx_herkx_restricted_kernelIldLi16ELi32ELi8ELi1ELin1ELb0ELc67ELc76EKddEviT_PT9_S1_lS3_S1_lPT10_S1_li,@function
_ZL37rocblas_syrkx_herkx_restricted_kernelIldLi16ELi32ELi8ELi1ELin1ELb0ELc67ELc76EKddEviT_PT9_S1_lS3_S1_lPT10_S1_li: ; @_ZL37rocblas_syrkx_herkx_restricted_kernelIldLi16ELi32ELi8ELi1ELin1ELb0ELc67ELc76EKddEviT_PT9_S1_lS3_S1_lPT10_S1_li
; %bb.0:
	s_load_b512 s[16:31], s[0:1], 0x8
	v_mov_b32_e32 v10, 0
	v_dual_mov_b32 v11, 0 :: v_dual_and_b32 v12, 0x3ff, v0
	v_bfe_u32 v13, v0, 10, 10
	s_delay_alu instid0(VALU_DEP_3) | instskip(NEXT) | instid1(VALU_DEP_3)
	v_mov_b32_e32 v6, v10
	v_dual_mov_b32 v2, v10 :: v_dual_mov_b32 v3, v11
	v_dual_mov_b32 v7, v11 :: v_dual_mov_b32 v0, v10
	v_mov_b32_e32 v1, v11
	s_lshl_b32 s8, s13, 5
	s_lshl_b32 s9, s14, 5
	s_waitcnt lgkmcnt(0)
	v_cmp_lt_i64_e64 s2, s[16:17], 1
	s_delay_alu instid0(VALU_DEP_1)
	s_and_b32 vcc_lo, exec_lo, s2
	s_cbranch_vccnz .LBB1010_3
; %bb.1:
	v_lshl_add_u32 v2, v13, 4, v12
	v_dual_mov_b32 v1, 0 :: v_dual_and_b32 v0, 7, v12
	v_lshlrev_b32_e32 v14, 3, v12
	s_mul_i32 s3, s23, s15
	s_delay_alu instid0(VALU_DEP_3)
	v_and_b32_e32 v8, 31, v2
	v_lshrrev_b32_e32 v9, 3, v2
	v_lshrrev_b32_e32 v2, 5, v2
	v_mov_b32_e32 v3, v1
	v_lshlrev_b32_e32 v11, 3, v0
	v_add_nc_u32_e32 v6, s8, v8
	v_add_nc_u32_e32 v10, s9, v9
	s_mul_hi_u32 s4, s22, s15
	s_mul_i32 s2, s22, s15
	s_add_i32 s3, s4, s3
	v_ashrrev_i32_e32 v7, 31, v6
	v_ashrrev_i32_e32 v15, 31, v10
	v_mad_u64_u32 v[4:5], null, s20, v6, v[2:3]
	v_mul_lo_u32 v3, s21, v6
	s_delay_alu instid0(VALU_DEP_4)
	v_mul_lo_u32 v16, s20, v7
	v_mul_lo_u32 v17, v10, s27
	v_mad_u64_u32 v[6:7], null, v10, s26, v[0:1]
	v_mul_lo_u32 v0, v15, s26
	v_lshlrev_b32_e32 v1, 3, v8
	s_lshl_b64 s[2:3], s[2:3], 3
	s_mul_hi_u32 s5, s28, s15
	v_add3_u32 v5, v3, v5, v16
	s_add_u32 s4, s18, s2
	v_lshl_or_b32 v15, v2, 8, v1
	s_mul_i32 s2, s29, s15
	v_add3_u32 v7, v0, v7, v17
	v_lshlrev_b64 v[0:1], 3, v[4:5]
	s_addc_u32 s6, s19, s3
	s_add_i32 s3, s5, s2
	s_mul_i32 s2, s28, s15
	v_lshlrev_b64 v[2:3], 3, v[6:7]
	s_lshl_b64 s[2:3], s[2:3], 3
	v_add_co_u32 v4, vcc_lo, s4, v0
	v_add_co_ci_u32_e32 v5, vcc_lo, s6, v1, vcc_lo
	v_mov_b32_e32 v0, 0
	v_lshl_or_b32 v8, v9, 6, v11
	v_mov_b32_e32 v1, 0
	s_add_u32 s2, s24, s2
	s_addc_u32 s3, s25, s3
	v_lshl_add_u32 v17, v13, 6, 0x800
	s_delay_alu instid0(VALU_DEP_2)
	v_dual_mov_b32 v11, v1 :: v_dual_add_nc_u32 v16, 0x800, v8
	v_add_co_u32 v8, vcc_lo, s2, v2
	v_add_co_ci_u32_e32 v9, vcc_lo, s3, v3, vcc_lo
	v_mov_b32_e32 v3, v1
	v_dual_mov_b32 v7, v1 :: v_dual_mov_b32 v2, v0
	v_mov_b32_e32 v6, v0
	v_mov_b32_e32 v10, v0
	s_mov_b64 s[2:3], 0
.LBB1010_2:                             ; =>This Inner Loop Header: Depth=1
	global_load_b64 v[18:19], v[4:5], off
	global_load_b64 v[20:21], v[8:9], off
	s_add_u32 s2, s2, 8
	v_add_co_u32 v4, vcc_lo, v4, 64
	s_addc_u32 s3, s3, 0
	v_add_co_ci_u32_e32 v5, vcc_lo, 0, v5, vcc_lo
	v_cmp_ge_u64_e64 s4, s[2:3], s[16:17]
	v_add_co_u32 v8, vcc_lo, v8, 64
	v_add_co_ci_u32_e32 v9, vcc_lo, 0, v9, vcc_lo
	s_waitcnt vmcnt(1)
	ds_store_b64 v15, v[18:19]
	s_waitcnt vmcnt(0)
	ds_store_b64 v16, v[20:21]
	s_waitcnt lgkmcnt(0)
	s_barrier
	buffer_gl0_inv
	ds_load_2addr_b64 v[18:21], v14 offset1:16
	ds_load_b128 v[22:25], v17
	ds_load_b128 v[26:29], v17 offset:1024
	ds_load_b128 v[30:33], v17 offset:16
	;; [unrolled: 1-line block ×3, first 2 shown]
	s_and_b32 vcc_lo, exec_lo, s4
	s_waitcnt lgkmcnt(3)
	v_fma_f64 v[10:11], v[18:19], v[22:23], v[10:11]
	v_fma_f64 v[6:7], v[20:21], v[22:23], v[6:7]
	s_waitcnt lgkmcnt(2)
	v_fma_f64 v[18:19], v[18:19], v[26:27], v[2:3]
	v_fma_f64 v[20:21], v[20:21], v[26:27], v[0:1]
	ds_load_2addr_b64 v[0:3], v14 offset0:32 offset1:48
	s_waitcnt lgkmcnt(0)
	v_fma_f64 v[10:11], v[0:1], v[24:25], v[10:11]
	v_fma_f64 v[6:7], v[2:3], v[24:25], v[6:7]
	v_fma_f64 v[18:19], v[0:1], v[28:29], v[18:19]
	v_fma_f64 v[20:21], v[2:3], v[28:29], v[20:21]
	ds_load_2addr_b64 v[0:3], v14 offset0:64 offset1:80
	s_waitcnt lgkmcnt(0)
	v_fma_f64 v[10:11], v[0:1], v[30:31], v[10:11]
	v_fma_f64 v[6:7], v[2:3], v[30:31], v[6:7]
	;; [unrolled: 6-line block ×3, first 2 shown]
	v_fma_f64 v[34:35], v[0:1], v[36:37], v[18:19]
	v_fma_f64 v[36:37], v[2:3], v[36:37], v[20:21]
	ds_load_2addr_b64 v[0:3], v14 offset0:128 offset1:144
	ds_load_b128 v[18:21], v17 offset:32
	ds_load_b128 v[22:25], v17 offset:1056
	;; [unrolled: 1-line block ×4, first 2 shown]
	s_waitcnt lgkmcnt(3)
	v_fma_f64 v[10:11], v[0:1], v[18:19], v[10:11]
	v_fma_f64 v[6:7], v[2:3], v[18:19], v[6:7]
	s_waitcnt lgkmcnt(2)
	v_fma_f64 v[18:19], v[0:1], v[22:23], v[34:35]
	v_fma_f64 v[22:23], v[2:3], v[22:23], v[36:37]
	ds_load_2addr_b64 v[0:3], v14 offset0:160 offset1:176
	s_waitcnt lgkmcnt(0)
	v_fma_f64 v[10:11], v[0:1], v[20:21], v[10:11]
	v_fma_f64 v[6:7], v[2:3], v[20:21], v[6:7]
	;; [unrolled: 1-line block ×4, first 2 shown]
	ds_load_2addr_b64 v[0:3], v14 offset0:192 offset1:208
	s_waitcnt lgkmcnt(0)
	v_fma_f64 v[10:11], v[0:1], v[26:27], v[10:11]
	v_fma_f64 v[6:7], v[2:3], v[26:27], v[6:7]
	;; [unrolled: 1-line block ×4, first 2 shown]
	ds_load_2addr_b64 v[18:21], v14 offset0:224 offset1:240
	s_waitcnt lgkmcnt(0)
	s_barrier
	buffer_gl0_inv
	v_fma_f64 v[10:11], v[18:19], v[28:29], v[10:11]
	v_fma_f64 v[6:7], v[20:21], v[28:29], v[6:7]
	;; [unrolled: 1-line block ×4, first 2 shown]
	s_cbranch_vccz .LBB1010_2
.LBB1010_3:
	s_load_b128 s[4:7], s[0:1], 0x48
	v_add_nc_u32_e32 v13, s9, v13
	s_load_b32 s9, s[0:1], 0x0
	s_delay_alu instid0(VALU_DEP_1) | instskip(SKIP_1) | instid1(VALU_DEP_1)
	v_ashrrev_i32_e32 v4, 31, v13
	s_waitcnt lgkmcnt(0)
	v_mul_lo_u32 v5, v4, s4
	v_mul_lo_u32 v14, v13, s5
	v_mad_u64_u32 v[8:9], null, v13, s4, 0
	s_mul_i32 s1, s15, s7
	s_mul_hi_u32 s3, s15, s6
	s_mul_i32 s2, s15, s6
	s_add_i32 s3, s3, s1
	v_add_nc_u32_e32 v4, s8, v12
	s_lshl_b64 s[2:3], s[2:3], 3
	s_delay_alu instid0(VALU_DEP_2)
	v_add3_u32 v9, v9, v14, v5
	s_add_u32 s2, s30, s2
	s_addc_u32 s3, s31, s3
	v_cmp_le_i32_e64 s0, v13, v4
	v_cmp_gt_i32_e32 vcc_lo, s9, v4
	v_lshlrev_b64 v[8:9], 3, v[8:9]
	s_delay_alu instid0(VALU_DEP_3) | instskip(NEXT) | instid1(VALU_DEP_1)
	s_and_b32 s0, s0, vcc_lo
	v_add_co_u32 v12, s1, s2, v8
	s_delay_alu instid0(VALU_DEP_1)
	v_add_co_ci_u32_e64 v14, s1, s3, v9, s1
	s_and_saveexec_b32 s1, s0
	s_cbranch_execz .LBB1010_5
; %bb.4:
	v_ashrrev_i32_e32 v5, 31, v4
	s_delay_alu instid0(VALU_DEP_1) | instskip(NEXT) | instid1(VALU_DEP_1)
	v_lshlrev_b64 v[8:9], 3, v[4:5]
	v_add_co_u32 v8, s0, v12, v8
	s_delay_alu instid0(VALU_DEP_1)
	v_add_co_ci_u32_e64 v9, s0, v14, v9, s0
	global_load_b64 v[15:16], v[8:9], off
	s_waitcnt vmcnt(0)
	v_add_f64 v[10:11], v[10:11], -v[15:16]
	global_store_b64 v[8:9], v[10:11], off
.LBB1010_5:
	s_or_b32 exec_lo, exec_lo, s1
	v_add_nc_u32_e32 v8, 16, v4
	s_delay_alu instid0(VALU_DEP_1) | instskip(SKIP_1) | instid1(VALU_DEP_1)
	v_cmp_le_i32_e64 s1, v13, v8
	v_cmp_gt_i32_e64 s0, s9, v8
	s_and_b32 s1, s1, s0
	s_delay_alu instid0(SALU_CYCLE_1)
	s_and_saveexec_b32 s6, s1
	s_cbranch_execz .LBB1010_7
; %bb.6:
	v_ashrrev_i32_e32 v9, 31, v8
	s_delay_alu instid0(VALU_DEP_1) | instskip(NEXT) | instid1(VALU_DEP_1)
	v_lshlrev_b64 v[9:10], 3, v[8:9]
	v_add_co_u32 v9, s1, v12, v9
	s_delay_alu instid0(VALU_DEP_1)
	v_add_co_ci_u32_e64 v10, s1, v14, v10, s1
	global_load_b64 v[11:12], v[9:10], off
	s_waitcnt vmcnt(0)
	v_add_f64 v[5:6], v[6:7], -v[11:12]
	global_store_b64 v[9:10], v[5:6], off
.LBB1010_7:
	s_or_b32 exec_lo, exec_lo, s6
	v_add_nc_u32_e32 v6, 16, v13
	s_delay_alu instid0(VALU_DEP_1) | instskip(SKIP_3) | instid1(VALU_DEP_4)
	v_ashrrev_i32_e32 v5, 31, v6
	v_mul_lo_u32 v7, v6, s5
	v_mad_u64_u32 v[9:10], null, v6, s4, 0
	v_cmp_le_i32_e64 s1, v6, v4
	v_mul_lo_u32 v5, v5, s4
	s_delay_alu instid0(VALU_DEP_1) | instskip(NEXT) | instid1(VALU_DEP_1)
	v_add3_u32 v10, v10, v7, v5
	v_lshlrev_b64 v[9:10], 3, v[9:10]
	s_delay_alu instid0(VALU_DEP_1) | instskip(NEXT) | instid1(VALU_DEP_1)
	v_add_co_u32 v7, s2, s2, v9
	v_add_co_ci_u32_e64 v10, s2, s3, v10, s2
	s_and_b32 s2, s1, vcc_lo
	s_delay_alu instid0(SALU_CYCLE_1)
	s_and_saveexec_b32 s1, s2
	s_cbranch_execz .LBB1010_9
; %bb.8:
	v_ashrrev_i32_e32 v5, 31, v4
	s_delay_alu instid0(VALU_DEP_1) | instskip(NEXT) | instid1(VALU_DEP_1)
	v_lshlrev_b64 v[4:5], 3, v[4:5]
	v_add_co_u32 v4, vcc_lo, v7, v4
	s_delay_alu instid0(VALU_DEP_2)
	v_add_co_ci_u32_e32 v5, vcc_lo, v10, v5, vcc_lo
	global_load_b64 v[11:12], v[4:5], off
	s_waitcnt vmcnt(0)
	v_add_f64 v[2:3], v[2:3], -v[11:12]
	global_store_b64 v[4:5], v[2:3], off
.LBB1010_9:
	s_or_b32 exec_lo, exec_lo, s1
	v_cmp_le_i32_e32 vcc_lo, v6, v8
	s_and_b32 s0, vcc_lo, s0
	s_delay_alu instid0(SALU_CYCLE_1)
	s_and_saveexec_b32 s1, s0
	s_cbranch_execz .LBB1010_11
; %bb.10:
	v_ashrrev_i32_e32 v9, 31, v8
	s_delay_alu instid0(VALU_DEP_1) | instskip(NEXT) | instid1(VALU_DEP_1)
	v_lshlrev_b64 v[2:3], 3, v[8:9]
	v_add_co_u32 v2, vcc_lo, v7, v2
	s_delay_alu instid0(VALU_DEP_2)
	v_add_co_ci_u32_e32 v3, vcc_lo, v10, v3, vcc_lo
	global_load_b64 v[4:5], v[2:3], off
	s_waitcnt vmcnt(0)
	v_add_f64 v[0:1], v[0:1], -v[4:5]
	global_store_b64 v[2:3], v[0:1], off
.LBB1010_11:
	s_nop 0
	s_sendmsg sendmsg(MSG_DEALLOC_VGPRS)
	s_endpgm
	.section	.rodata,"a",@progbits
	.p2align	6, 0x0
	.amdhsa_kernel _ZL37rocblas_syrkx_herkx_restricted_kernelIldLi16ELi32ELi8ELi1ELin1ELb0ELc67ELc76EKddEviT_PT9_S1_lS3_S1_lPT10_S1_li
		.amdhsa_group_segment_fixed_size 4096
		.amdhsa_private_segment_fixed_size 0
		.amdhsa_kernarg_size 92
		.amdhsa_user_sgpr_count 13
		.amdhsa_user_sgpr_dispatch_ptr 0
		.amdhsa_user_sgpr_queue_ptr 0
		.amdhsa_user_sgpr_kernarg_segment_ptr 1
		.amdhsa_user_sgpr_dispatch_id 0
		.amdhsa_user_sgpr_private_segment_size 0
		.amdhsa_wavefront_size32 1
		.amdhsa_uses_dynamic_stack 0
		.amdhsa_enable_private_segment 0
		.amdhsa_system_sgpr_workgroup_id_x 1
		.amdhsa_system_sgpr_workgroup_id_y 1
		.amdhsa_system_sgpr_workgroup_id_z 1
		.amdhsa_system_sgpr_workgroup_info 0
		.amdhsa_system_vgpr_workitem_id 1
		.amdhsa_next_free_vgpr 38
		.amdhsa_next_free_sgpr 32
		.amdhsa_reserve_vcc 1
		.amdhsa_float_round_mode_32 0
		.amdhsa_float_round_mode_16_64 0
		.amdhsa_float_denorm_mode_32 3
		.amdhsa_float_denorm_mode_16_64 3
		.amdhsa_dx10_clamp 1
		.amdhsa_ieee_mode 1
		.amdhsa_fp16_overflow 0
		.amdhsa_workgroup_processor_mode 1
		.amdhsa_memory_ordered 1
		.amdhsa_forward_progress 0
		.amdhsa_shared_vgpr_count 0
		.amdhsa_exception_fp_ieee_invalid_op 0
		.amdhsa_exception_fp_denorm_src 0
		.amdhsa_exception_fp_ieee_div_zero 0
		.amdhsa_exception_fp_ieee_overflow 0
		.amdhsa_exception_fp_ieee_underflow 0
		.amdhsa_exception_fp_ieee_inexact 0
		.amdhsa_exception_int_div_zero 0
	.end_amdhsa_kernel
	.section	.text._ZL37rocblas_syrkx_herkx_restricted_kernelIldLi16ELi32ELi8ELi1ELin1ELb0ELc67ELc76EKddEviT_PT9_S1_lS3_S1_lPT10_S1_li,"axG",@progbits,_ZL37rocblas_syrkx_herkx_restricted_kernelIldLi16ELi32ELi8ELi1ELin1ELb0ELc67ELc76EKddEviT_PT9_S1_lS3_S1_lPT10_S1_li,comdat
.Lfunc_end1010:
	.size	_ZL37rocblas_syrkx_herkx_restricted_kernelIldLi16ELi32ELi8ELi1ELin1ELb0ELc67ELc76EKddEviT_PT9_S1_lS3_S1_lPT10_S1_li, .Lfunc_end1010-_ZL37rocblas_syrkx_herkx_restricted_kernelIldLi16ELi32ELi8ELi1ELin1ELb0ELc67ELc76EKddEviT_PT9_S1_lS3_S1_lPT10_S1_li
                                        ; -- End function
	.section	.AMDGPU.csdata,"",@progbits
; Kernel info:
; codeLenInByte = 1524
; NumSgprs: 34
; NumVgprs: 38
; ScratchSize: 0
; MemoryBound: 0
; FloatMode: 240
; IeeeMode: 1
; LDSByteSize: 4096 bytes/workgroup (compile time only)
; SGPRBlocks: 4
; VGPRBlocks: 4
; NumSGPRsForWavesPerEU: 34
; NumVGPRsForWavesPerEU: 38
; Occupancy: 16
; WaveLimiterHint : 1
; COMPUTE_PGM_RSRC2:SCRATCH_EN: 0
; COMPUTE_PGM_RSRC2:USER_SGPR: 13
; COMPUTE_PGM_RSRC2:TRAP_HANDLER: 0
; COMPUTE_PGM_RSRC2:TGID_X_EN: 1
; COMPUTE_PGM_RSRC2:TGID_Y_EN: 1
; COMPUTE_PGM_RSRC2:TGID_Z_EN: 1
; COMPUTE_PGM_RSRC2:TIDIG_COMP_CNT: 1
	.section	.text._ZL37rocblas_syrkx_herkx_restricted_kernelIldLi16ELi32ELi8ELi1ELin1ELb0ELc78ELc76EKddEviT_PT9_S1_lS3_S1_lPT10_S1_li,"axG",@progbits,_ZL37rocblas_syrkx_herkx_restricted_kernelIldLi16ELi32ELi8ELi1ELin1ELb0ELc78ELc76EKddEviT_PT9_S1_lS3_S1_lPT10_S1_li,comdat
	.globl	_ZL37rocblas_syrkx_herkx_restricted_kernelIldLi16ELi32ELi8ELi1ELin1ELb0ELc78ELc76EKddEviT_PT9_S1_lS3_S1_lPT10_S1_li ; -- Begin function _ZL37rocblas_syrkx_herkx_restricted_kernelIldLi16ELi32ELi8ELi1ELin1ELb0ELc78ELc76EKddEviT_PT9_S1_lS3_S1_lPT10_S1_li
	.p2align	8
	.type	_ZL37rocblas_syrkx_herkx_restricted_kernelIldLi16ELi32ELi8ELi1ELin1ELb0ELc78ELc76EKddEviT_PT9_S1_lS3_S1_lPT10_S1_li,@function
_ZL37rocblas_syrkx_herkx_restricted_kernelIldLi16ELi32ELi8ELi1ELin1ELb0ELc78ELc76EKddEviT_PT9_S1_lS3_S1_lPT10_S1_li: ; @_ZL37rocblas_syrkx_herkx_restricted_kernelIldLi16ELi32ELi8ELi1ELin1ELb0ELc78ELc76EKddEviT_PT9_S1_lS3_S1_lPT10_S1_li
; %bb.0:
	s_load_b512 s[16:31], s[0:1], 0x8
	v_mov_b32_e32 v10, 0
	v_dual_mov_b32 v11, 0 :: v_dual_and_b32 v12, 0x3ff, v0
	v_bfe_u32 v13, v0, 10, 10
	s_delay_alu instid0(VALU_DEP_3) | instskip(NEXT) | instid1(VALU_DEP_3)
	v_mov_b32_e32 v6, v10
	v_dual_mov_b32 v2, v10 :: v_dual_mov_b32 v3, v11
	v_dual_mov_b32 v7, v11 :: v_dual_mov_b32 v0, v10
	v_mov_b32_e32 v1, v11
	s_lshl_b32 s8, s13, 5
	s_lshl_b32 s9, s14, 5
	s_waitcnt lgkmcnt(0)
	v_cmp_lt_i64_e64 s2, s[16:17], 1
	s_delay_alu instid0(VALU_DEP_1)
	s_and_b32 vcc_lo, exec_lo, s2
	s_cbranch_vccnz .LBB1011_3
; %bb.1:
	v_lshl_add_u32 v1, v13, 4, v12
	v_and_b32_e32 v11, 7, v12
	s_mul_i32 s3, s23, s15
	s_mul_hi_u32 s5, s22, s15
	s_mul_i32 s2, s22, s15
	v_and_b32_e32 v10, 31, v1
	v_lshrrev_b32_e32 v16, 3, v1
	v_lshrrev_b32_e32 v17, 5, v1
	s_add_i32 s3, s5, s3
	s_mul_i32 s6, s29, s15
	v_add_nc_u32_e32 v0, s8, v10
	v_add_nc_u32_e32 v2, s9, v16
	s_lshl_b64 s[2:3], s[2:3], 3
	s_mul_hi_u32 s7, s28, s15
	s_add_u32 s10, s18, s2
	v_ashrrev_i32_e32 v1, 31, v0
	v_ashrrev_i32_e32 v3, 31, v2
	s_mul_i32 s4, s28, s15
	s_addc_u32 s11, s19, s3
	s_add_i32 s5, s7, s6
	v_mad_u64_u32 v[4:5], null, v17, s20, v[0:1]
	v_mov_b32_e32 v0, 0
	v_mad_u64_u32 v[6:7], null, v11, s26, v[2:3]
	v_dual_mov_b32 v1, 0 :: v_dual_lshlrev_b32 v14, 3, v12
	v_lshlrev_b32_e32 v18, 3, v11
	v_mov_b32_e32 v2, v5
	s_lshl_b64 s[4:5], s[4:5], 3
	s_lshl_b64 s[2:3], s[20:21], 6
	s_delay_alu instid0(VALU_DEP_4)
	v_mov_b32_e32 v3, v7
	s_add_u32 s4, s24, s4
	s_addc_u32 s5, s25, s5
	v_lshl_add_u32 v15, v13, 6, 0x800
	s_mov_b64 s[6:7], 0
	v_mad_u64_u32 v[7:8], null, v17, s21, v[2:3]
	v_mad_u64_u32 v[8:9], null, v11, s27, v[3:4]
	v_lshlrev_b32_e32 v9, 3, v10
	s_delay_alu instid0(VALU_DEP_3) | instskip(NEXT) | instid1(VALU_DEP_3)
	v_mov_b32_e32 v5, v7
	v_mov_b32_e32 v7, v8
	s_delay_alu instid0(VALU_DEP_2) | instskip(NEXT) | instid1(VALU_DEP_2)
	v_lshlrev_b64 v[2:3], 3, v[4:5]
	v_lshlrev_b64 v[6:7], 3, v[6:7]
	s_delay_alu instid0(VALU_DEP_2) | instskip(NEXT) | instid1(VALU_DEP_3)
	v_add_co_u32 v4, vcc_lo, s10, v2
	v_add_co_ci_u32_e32 v5, vcc_lo, s11, v3, vcc_lo
	v_mov_b32_e32 v3, v1
	v_lshl_or_b32 v10, v16, 6, v18
	v_add_co_u32 v8, vcc_lo, s4, v6
	v_lshl_or_b32 v16, v17, 8, v9
	v_add_co_ci_u32_e32 v9, vcc_lo, s5, v7, vcc_lo
	s_delay_alu instid0(VALU_DEP_4)
	v_dual_mov_b32 v2, v0 :: v_dual_add_nc_u32 v17, 0x800, v10
	v_dual_mov_b32 v7, v1 :: v_dual_mov_b32 v6, v0
	v_dual_mov_b32 v11, v1 :: v_dual_mov_b32 v10, v0
	s_lshl_b64 s[4:5], s[26:27], 6
.LBB1011_2:                             ; =>This Inner Loop Header: Depth=1
	global_load_b64 v[18:19], v[4:5], off
	global_load_b64 v[20:21], v[8:9], off
	s_add_u32 s6, s6, 8
	v_add_co_u32 v4, vcc_lo, v4, s2
	s_addc_u32 s7, s7, 0
	v_add_co_ci_u32_e32 v5, vcc_lo, s3, v5, vcc_lo
	v_cmp_ge_u64_e64 s10, s[6:7], s[16:17]
	v_add_co_u32 v8, vcc_lo, v8, s4
	v_add_co_ci_u32_e32 v9, vcc_lo, s5, v9, vcc_lo
	s_waitcnt vmcnt(1)
	ds_store_b64 v16, v[18:19]
	s_waitcnt vmcnt(0)
	ds_store_b64 v17, v[20:21]
	s_waitcnt lgkmcnt(0)
	s_barrier
	buffer_gl0_inv
	ds_load_2addr_b64 v[18:21], v14 offset1:16
	ds_load_b128 v[22:25], v15
	ds_load_b128 v[26:29], v15 offset:1024
	ds_load_b128 v[30:33], v15 offset:16
	;; [unrolled: 1-line block ×3, first 2 shown]
	s_and_b32 vcc_lo, exec_lo, s10
	s_waitcnt lgkmcnt(3)
	v_fma_f64 v[10:11], v[18:19], v[22:23], v[10:11]
	v_fma_f64 v[6:7], v[20:21], v[22:23], v[6:7]
	s_waitcnt lgkmcnt(2)
	v_fma_f64 v[18:19], v[18:19], v[26:27], v[2:3]
	v_fma_f64 v[20:21], v[20:21], v[26:27], v[0:1]
	ds_load_2addr_b64 v[0:3], v14 offset0:32 offset1:48
	s_waitcnt lgkmcnt(0)
	v_fma_f64 v[10:11], v[0:1], v[24:25], v[10:11]
	v_fma_f64 v[6:7], v[2:3], v[24:25], v[6:7]
	v_fma_f64 v[18:19], v[0:1], v[28:29], v[18:19]
	v_fma_f64 v[20:21], v[2:3], v[28:29], v[20:21]
	ds_load_2addr_b64 v[0:3], v14 offset0:64 offset1:80
	s_waitcnt lgkmcnt(0)
	v_fma_f64 v[10:11], v[0:1], v[30:31], v[10:11]
	v_fma_f64 v[6:7], v[2:3], v[30:31], v[6:7]
	;; [unrolled: 6-line block ×3, first 2 shown]
	v_fma_f64 v[34:35], v[0:1], v[36:37], v[18:19]
	v_fma_f64 v[36:37], v[2:3], v[36:37], v[20:21]
	ds_load_2addr_b64 v[0:3], v14 offset0:128 offset1:144
	ds_load_b128 v[18:21], v15 offset:32
	ds_load_b128 v[22:25], v15 offset:1056
	;; [unrolled: 1-line block ×4, first 2 shown]
	s_waitcnt lgkmcnt(3)
	v_fma_f64 v[10:11], v[0:1], v[18:19], v[10:11]
	v_fma_f64 v[6:7], v[2:3], v[18:19], v[6:7]
	s_waitcnt lgkmcnt(2)
	v_fma_f64 v[18:19], v[0:1], v[22:23], v[34:35]
	v_fma_f64 v[22:23], v[2:3], v[22:23], v[36:37]
	ds_load_2addr_b64 v[0:3], v14 offset0:160 offset1:176
	s_waitcnt lgkmcnt(0)
	v_fma_f64 v[10:11], v[0:1], v[20:21], v[10:11]
	v_fma_f64 v[6:7], v[2:3], v[20:21], v[6:7]
	;; [unrolled: 1-line block ×4, first 2 shown]
	ds_load_2addr_b64 v[0:3], v14 offset0:192 offset1:208
	s_waitcnt lgkmcnt(0)
	v_fma_f64 v[10:11], v[0:1], v[26:27], v[10:11]
	v_fma_f64 v[6:7], v[2:3], v[26:27], v[6:7]
	;; [unrolled: 1-line block ×4, first 2 shown]
	ds_load_2addr_b64 v[18:21], v14 offset0:224 offset1:240
	s_waitcnt lgkmcnt(0)
	s_barrier
	buffer_gl0_inv
	v_fma_f64 v[10:11], v[18:19], v[28:29], v[10:11]
	v_fma_f64 v[6:7], v[20:21], v[28:29], v[6:7]
	;; [unrolled: 1-line block ×4, first 2 shown]
	s_cbranch_vccz .LBB1011_2
.LBB1011_3:
	s_load_b128 s[4:7], s[0:1], 0x48
	v_add_nc_u32_e32 v13, s9, v13
	s_load_b32 s9, s[0:1], 0x0
	s_delay_alu instid0(VALU_DEP_1) | instskip(SKIP_1) | instid1(VALU_DEP_1)
	v_ashrrev_i32_e32 v4, 31, v13
	s_waitcnt lgkmcnt(0)
	v_mul_lo_u32 v5, v4, s4
	v_mul_lo_u32 v14, v13, s5
	v_mad_u64_u32 v[8:9], null, v13, s4, 0
	s_mul_i32 s1, s15, s7
	s_mul_hi_u32 s3, s15, s6
	s_mul_i32 s2, s15, s6
	s_add_i32 s3, s3, s1
	v_add_nc_u32_e32 v4, s8, v12
	s_lshl_b64 s[2:3], s[2:3], 3
	s_delay_alu instid0(VALU_DEP_2)
	v_add3_u32 v9, v9, v14, v5
	s_add_u32 s2, s30, s2
	s_addc_u32 s3, s31, s3
	v_cmp_le_i32_e64 s0, v13, v4
	v_cmp_gt_i32_e32 vcc_lo, s9, v4
	v_lshlrev_b64 v[8:9], 3, v[8:9]
	s_delay_alu instid0(VALU_DEP_3) | instskip(NEXT) | instid1(VALU_DEP_1)
	s_and_b32 s0, s0, vcc_lo
	v_add_co_u32 v12, s1, s2, v8
	s_delay_alu instid0(VALU_DEP_1)
	v_add_co_ci_u32_e64 v14, s1, s3, v9, s1
	s_and_saveexec_b32 s1, s0
	s_cbranch_execz .LBB1011_5
; %bb.4:
	v_ashrrev_i32_e32 v5, 31, v4
	s_delay_alu instid0(VALU_DEP_1) | instskip(NEXT) | instid1(VALU_DEP_1)
	v_lshlrev_b64 v[8:9], 3, v[4:5]
	v_add_co_u32 v8, s0, v12, v8
	s_delay_alu instid0(VALU_DEP_1)
	v_add_co_ci_u32_e64 v9, s0, v14, v9, s0
	global_load_b64 v[15:16], v[8:9], off
	s_waitcnt vmcnt(0)
	v_add_f64 v[10:11], v[10:11], -v[15:16]
	global_store_b64 v[8:9], v[10:11], off
.LBB1011_5:
	s_or_b32 exec_lo, exec_lo, s1
	v_add_nc_u32_e32 v8, 16, v4
	s_delay_alu instid0(VALU_DEP_1) | instskip(SKIP_1) | instid1(VALU_DEP_1)
	v_cmp_le_i32_e64 s1, v13, v8
	v_cmp_gt_i32_e64 s0, s9, v8
	s_and_b32 s1, s1, s0
	s_delay_alu instid0(SALU_CYCLE_1)
	s_and_saveexec_b32 s6, s1
	s_cbranch_execz .LBB1011_7
; %bb.6:
	v_ashrrev_i32_e32 v9, 31, v8
	s_delay_alu instid0(VALU_DEP_1) | instskip(NEXT) | instid1(VALU_DEP_1)
	v_lshlrev_b64 v[9:10], 3, v[8:9]
	v_add_co_u32 v9, s1, v12, v9
	s_delay_alu instid0(VALU_DEP_1)
	v_add_co_ci_u32_e64 v10, s1, v14, v10, s1
	global_load_b64 v[11:12], v[9:10], off
	s_waitcnt vmcnt(0)
	v_add_f64 v[5:6], v[6:7], -v[11:12]
	global_store_b64 v[9:10], v[5:6], off
.LBB1011_7:
	s_or_b32 exec_lo, exec_lo, s6
	v_add_nc_u32_e32 v6, 16, v13
	s_delay_alu instid0(VALU_DEP_1) | instskip(SKIP_3) | instid1(VALU_DEP_4)
	v_ashrrev_i32_e32 v5, 31, v6
	v_mul_lo_u32 v7, v6, s5
	v_mad_u64_u32 v[9:10], null, v6, s4, 0
	v_cmp_le_i32_e64 s1, v6, v4
	v_mul_lo_u32 v5, v5, s4
	s_delay_alu instid0(VALU_DEP_1) | instskip(NEXT) | instid1(VALU_DEP_1)
	v_add3_u32 v10, v10, v7, v5
	v_lshlrev_b64 v[9:10], 3, v[9:10]
	s_delay_alu instid0(VALU_DEP_1) | instskip(NEXT) | instid1(VALU_DEP_1)
	v_add_co_u32 v7, s2, s2, v9
	v_add_co_ci_u32_e64 v10, s2, s3, v10, s2
	s_and_b32 s2, s1, vcc_lo
	s_delay_alu instid0(SALU_CYCLE_1)
	s_and_saveexec_b32 s1, s2
	s_cbranch_execz .LBB1011_9
; %bb.8:
	v_ashrrev_i32_e32 v5, 31, v4
	s_delay_alu instid0(VALU_DEP_1) | instskip(NEXT) | instid1(VALU_DEP_1)
	v_lshlrev_b64 v[4:5], 3, v[4:5]
	v_add_co_u32 v4, vcc_lo, v7, v4
	s_delay_alu instid0(VALU_DEP_2)
	v_add_co_ci_u32_e32 v5, vcc_lo, v10, v5, vcc_lo
	global_load_b64 v[11:12], v[4:5], off
	s_waitcnt vmcnt(0)
	v_add_f64 v[2:3], v[2:3], -v[11:12]
	global_store_b64 v[4:5], v[2:3], off
.LBB1011_9:
	s_or_b32 exec_lo, exec_lo, s1
	v_cmp_le_i32_e32 vcc_lo, v6, v8
	s_and_b32 s0, vcc_lo, s0
	s_delay_alu instid0(SALU_CYCLE_1)
	s_and_saveexec_b32 s1, s0
	s_cbranch_execz .LBB1011_11
; %bb.10:
	v_ashrrev_i32_e32 v9, 31, v8
	s_delay_alu instid0(VALU_DEP_1) | instskip(NEXT) | instid1(VALU_DEP_1)
	v_lshlrev_b64 v[2:3], 3, v[8:9]
	v_add_co_u32 v2, vcc_lo, v7, v2
	s_delay_alu instid0(VALU_DEP_2)
	v_add_co_ci_u32_e32 v3, vcc_lo, v10, v3, vcc_lo
	global_load_b64 v[4:5], v[2:3], off
	s_waitcnt vmcnt(0)
	v_add_f64 v[0:1], v[0:1], -v[4:5]
	global_store_b64 v[2:3], v[0:1], off
.LBB1011_11:
	s_nop 0
	s_sendmsg sendmsg(MSG_DEALLOC_VGPRS)
	s_endpgm
	.section	.rodata,"a",@progbits
	.p2align	6, 0x0
	.amdhsa_kernel _ZL37rocblas_syrkx_herkx_restricted_kernelIldLi16ELi32ELi8ELi1ELin1ELb0ELc78ELc76EKddEviT_PT9_S1_lS3_S1_lPT10_S1_li
		.amdhsa_group_segment_fixed_size 4096
		.amdhsa_private_segment_fixed_size 0
		.amdhsa_kernarg_size 92
		.amdhsa_user_sgpr_count 13
		.amdhsa_user_sgpr_dispatch_ptr 0
		.amdhsa_user_sgpr_queue_ptr 0
		.amdhsa_user_sgpr_kernarg_segment_ptr 1
		.amdhsa_user_sgpr_dispatch_id 0
		.amdhsa_user_sgpr_private_segment_size 0
		.amdhsa_wavefront_size32 1
		.amdhsa_uses_dynamic_stack 0
		.amdhsa_enable_private_segment 0
		.amdhsa_system_sgpr_workgroup_id_x 1
		.amdhsa_system_sgpr_workgroup_id_y 1
		.amdhsa_system_sgpr_workgroup_id_z 1
		.amdhsa_system_sgpr_workgroup_info 0
		.amdhsa_system_vgpr_workitem_id 1
		.amdhsa_next_free_vgpr 38
		.amdhsa_next_free_sgpr 32
		.amdhsa_reserve_vcc 1
		.amdhsa_float_round_mode_32 0
		.amdhsa_float_round_mode_16_64 0
		.amdhsa_float_denorm_mode_32 3
		.amdhsa_float_denorm_mode_16_64 3
		.amdhsa_dx10_clamp 1
		.amdhsa_ieee_mode 1
		.amdhsa_fp16_overflow 0
		.amdhsa_workgroup_processor_mode 1
		.amdhsa_memory_ordered 1
		.amdhsa_forward_progress 0
		.amdhsa_shared_vgpr_count 0
		.amdhsa_exception_fp_ieee_invalid_op 0
		.amdhsa_exception_fp_denorm_src 0
		.amdhsa_exception_fp_ieee_div_zero 0
		.amdhsa_exception_fp_ieee_overflow 0
		.amdhsa_exception_fp_ieee_underflow 0
		.amdhsa_exception_fp_ieee_inexact 0
		.amdhsa_exception_int_div_zero 0
	.end_amdhsa_kernel
	.section	.text._ZL37rocblas_syrkx_herkx_restricted_kernelIldLi16ELi32ELi8ELi1ELin1ELb0ELc78ELc76EKddEviT_PT9_S1_lS3_S1_lPT10_S1_li,"axG",@progbits,_ZL37rocblas_syrkx_herkx_restricted_kernelIldLi16ELi32ELi8ELi1ELin1ELb0ELc78ELc76EKddEviT_PT9_S1_lS3_S1_lPT10_S1_li,comdat
.Lfunc_end1011:
	.size	_ZL37rocblas_syrkx_herkx_restricted_kernelIldLi16ELi32ELi8ELi1ELin1ELb0ELc78ELc76EKddEviT_PT9_S1_lS3_S1_lPT10_S1_li, .Lfunc_end1011-_ZL37rocblas_syrkx_herkx_restricted_kernelIldLi16ELi32ELi8ELi1ELin1ELb0ELc78ELc76EKddEviT_PT9_S1_lS3_S1_lPT10_S1_li
                                        ; -- End function
	.section	.AMDGPU.csdata,"",@progbits
; Kernel info:
; codeLenInByte = 1516
; NumSgprs: 34
; NumVgprs: 38
; ScratchSize: 0
; MemoryBound: 0
; FloatMode: 240
; IeeeMode: 1
; LDSByteSize: 4096 bytes/workgroup (compile time only)
; SGPRBlocks: 4
; VGPRBlocks: 4
; NumSGPRsForWavesPerEU: 34
; NumVGPRsForWavesPerEU: 38
; Occupancy: 16
; WaveLimiterHint : 1
; COMPUTE_PGM_RSRC2:SCRATCH_EN: 0
; COMPUTE_PGM_RSRC2:USER_SGPR: 13
; COMPUTE_PGM_RSRC2:TRAP_HANDLER: 0
; COMPUTE_PGM_RSRC2:TGID_X_EN: 1
; COMPUTE_PGM_RSRC2:TGID_Y_EN: 1
; COMPUTE_PGM_RSRC2:TGID_Z_EN: 1
; COMPUTE_PGM_RSRC2:TIDIG_COMP_CNT: 1
	.section	.text._ZL37rocblas_syrkx_herkx_restricted_kernelIldLi16ELi32ELi8ELi1ELin1ELb0ELc84ELc85EKddEviT_PT9_S1_lS3_S1_lPT10_S1_li,"axG",@progbits,_ZL37rocblas_syrkx_herkx_restricted_kernelIldLi16ELi32ELi8ELi1ELin1ELb0ELc84ELc85EKddEviT_PT9_S1_lS3_S1_lPT10_S1_li,comdat
	.globl	_ZL37rocblas_syrkx_herkx_restricted_kernelIldLi16ELi32ELi8ELi1ELin1ELb0ELc84ELc85EKddEviT_PT9_S1_lS3_S1_lPT10_S1_li ; -- Begin function _ZL37rocblas_syrkx_herkx_restricted_kernelIldLi16ELi32ELi8ELi1ELin1ELb0ELc84ELc85EKddEviT_PT9_S1_lS3_S1_lPT10_S1_li
	.p2align	8
	.type	_ZL37rocblas_syrkx_herkx_restricted_kernelIldLi16ELi32ELi8ELi1ELin1ELb0ELc84ELc85EKddEviT_PT9_S1_lS3_S1_lPT10_S1_li,@function
_ZL37rocblas_syrkx_herkx_restricted_kernelIldLi16ELi32ELi8ELi1ELin1ELb0ELc84ELc85EKddEviT_PT9_S1_lS3_S1_lPT10_S1_li: ; @_ZL37rocblas_syrkx_herkx_restricted_kernelIldLi16ELi32ELi8ELi1ELin1ELb0ELc84ELc85EKddEviT_PT9_S1_lS3_S1_lPT10_S1_li
; %bb.0:
	s_load_b512 s[16:31], s[0:1], 0x8
	v_mov_b32_e32 v10, 0
	v_dual_mov_b32 v11, 0 :: v_dual_and_b32 v12, 0x3ff, v0
	v_bfe_u32 v13, v0, 10, 10
	s_delay_alu instid0(VALU_DEP_3) | instskip(NEXT) | instid1(VALU_DEP_3)
	v_mov_b32_e32 v6, v10
	v_dual_mov_b32 v2, v10 :: v_dual_mov_b32 v3, v11
	v_dual_mov_b32 v7, v11 :: v_dual_mov_b32 v0, v10
	v_mov_b32_e32 v1, v11
	s_lshl_b32 s8, s13, 5
	s_lshl_b32 s9, s14, 5
	s_waitcnt lgkmcnt(0)
	v_cmp_lt_i64_e64 s2, s[16:17], 1
	s_delay_alu instid0(VALU_DEP_1)
	s_and_b32 vcc_lo, exec_lo, s2
	s_cbranch_vccnz .LBB1012_3
; %bb.1:
	v_lshl_add_u32 v2, v13, 4, v12
	v_dual_mov_b32 v1, 0 :: v_dual_and_b32 v0, 7, v12
	v_lshlrev_b32_e32 v14, 3, v12
	s_mul_i32 s3, s23, s15
	s_delay_alu instid0(VALU_DEP_3)
	v_and_b32_e32 v8, 31, v2
	v_lshrrev_b32_e32 v9, 3, v2
	v_lshrrev_b32_e32 v2, 5, v2
	v_mov_b32_e32 v3, v1
	v_lshlrev_b32_e32 v11, 3, v0
	v_add_nc_u32_e32 v6, s8, v8
	v_add_nc_u32_e32 v10, s9, v9
	s_mul_hi_u32 s4, s22, s15
	s_mul_i32 s2, s22, s15
	s_add_i32 s3, s4, s3
	v_ashrrev_i32_e32 v7, 31, v6
	v_ashrrev_i32_e32 v15, 31, v10
	v_mad_u64_u32 v[4:5], null, s20, v6, v[2:3]
	v_mul_lo_u32 v3, s21, v6
	s_delay_alu instid0(VALU_DEP_4)
	v_mul_lo_u32 v16, s20, v7
	v_mul_lo_u32 v17, v10, s27
	v_mad_u64_u32 v[6:7], null, v10, s26, v[0:1]
	v_mul_lo_u32 v0, v15, s26
	v_lshlrev_b32_e32 v1, 3, v8
	s_lshl_b64 s[2:3], s[2:3], 3
	s_mul_hi_u32 s5, s28, s15
	v_add3_u32 v5, v3, v5, v16
	s_add_u32 s4, s18, s2
	v_lshl_or_b32 v15, v2, 8, v1
	s_mul_i32 s2, s29, s15
	v_add3_u32 v7, v0, v7, v17
	v_lshlrev_b64 v[0:1], 3, v[4:5]
	s_addc_u32 s6, s19, s3
	s_add_i32 s3, s5, s2
	s_mul_i32 s2, s28, s15
	v_lshlrev_b64 v[2:3], 3, v[6:7]
	s_lshl_b64 s[2:3], s[2:3], 3
	v_add_co_u32 v4, vcc_lo, s4, v0
	v_add_co_ci_u32_e32 v5, vcc_lo, s6, v1, vcc_lo
	v_mov_b32_e32 v0, 0
	v_lshl_or_b32 v8, v9, 6, v11
	v_mov_b32_e32 v1, 0
	s_add_u32 s2, s24, s2
	s_addc_u32 s3, s25, s3
	v_lshl_add_u32 v17, v13, 6, 0x800
	s_delay_alu instid0(VALU_DEP_2)
	v_dual_mov_b32 v11, v1 :: v_dual_add_nc_u32 v16, 0x800, v8
	v_add_co_u32 v8, vcc_lo, s2, v2
	v_add_co_ci_u32_e32 v9, vcc_lo, s3, v3, vcc_lo
	v_mov_b32_e32 v3, v1
	v_dual_mov_b32 v7, v1 :: v_dual_mov_b32 v2, v0
	v_mov_b32_e32 v6, v0
	v_mov_b32_e32 v10, v0
	s_mov_b64 s[2:3], 0
.LBB1012_2:                             ; =>This Inner Loop Header: Depth=1
	global_load_b64 v[18:19], v[4:5], off
	global_load_b64 v[20:21], v[8:9], off
	s_add_u32 s2, s2, 8
	v_add_co_u32 v4, vcc_lo, v4, 64
	s_addc_u32 s3, s3, 0
	v_add_co_ci_u32_e32 v5, vcc_lo, 0, v5, vcc_lo
	v_cmp_ge_u64_e64 s4, s[2:3], s[16:17]
	v_add_co_u32 v8, vcc_lo, v8, 64
	v_add_co_ci_u32_e32 v9, vcc_lo, 0, v9, vcc_lo
	s_waitcnt vmcnt(1)
	ds_store_b64 v15, v[18:19]
	s_waitcnt vmcnt(0)
	ds_store_b64 v16, v[20:21]
	s_waitcnt lgkmcnt(0)
	s_barrier
	buffer_gl0_inv
	ds_load_2addr_b64 v[18:21], v14 offset1:16
	ds_load_b128 v[22:25], v17
	ds_load_b128 v[26:29], v17 offset:1024
	ds_load_b128 v[30:33], v17 offset:16
	;; [unrolled: 1-line block ×3, first 2 shown]
	s_and_b32 vcc_lo, exec_lo, s4
	s_waitcnt lgkmcnt(3)
	v_fma_f64 v[10:11], v[18:19], v[22:23], v[10:11]
	v_fma_f64 v[6:7], v[20:21], v[22:23], v[6:7]
	s_waitcnt lgkmcnt(2)
	v_fma_f64 v[18:19], v[18:19], v[26:27], v[2:3]
	v_fma_f64 v[20:21], v[20:21], v[26:27], v[0:1]
	ds_load_2addr_b64 v[0:3], v14 offset0:32 offset1:48
	s_waitcnt lgkmcnt(0)
	v_fma_f64 v[10:11], v[0:1], v[24:25], v[10:11]
	v_fma_f64 v[6:7], v[2:3], v[24:25], v[6:7]
	v_fma_f64 v[18:19], v[0:1], v[28:29], v[18:19]
	v_fma_f64 v[20:21], v[2:3], v[28:29], v[20:21]
	ds_load_2addr_b64 v[0:3], v14 offset0:64 offset1:80
	s_waitcnt lgkmcnt(0)
	v_fma_f64 v[10:11], v[0:1], v[30:31], v[10:11]
	v_fma_f64 v[6:7], v[2:3], v[30:31], v[6:7]
	;; [unrolled: 6-line block ×3, first 2 shown]
	v_fma_f64 v[34:35], v[0:1], v[36:37], v[18:19]
	v_fma_f64 v[36:37], v[2:3], v[36:37], v[20:21]
	ds_load_2addr_b64 v[0:3], v14 offset0:128 offset1:144
	ds_load_b128 v[18:21], v17 offset:32
	ds_load_b128 v[22:25], v17 offset:1056
	;; [unrolled: 1-line block ×4, first 2 shown]
	s_waitcnt lgkmcnt(3)
	v_fma_f64 v[10:11], v[0:1], v[18:19], v[10:11]
	v_fma_f64 v[6:7], v[2:3], v[18:19], v[6:7]
	s_waitcnt lgkmcnt(2)
	v_fma_f64 v[18:19], v[0:1], v[22:23], v[34:35]
	v_fma_f64 v[22:23], v[2:3], v[22:23], v[36:37]
	ds_load_2addr_b64 v[0:3], v14 offset0:160 offset1:176
	s_waitcnt lgkmcnt(0)
	v_fma_f64 v[10:11], v[0:1], v[20:21], v[10:11]
	v_fma_f64 v[6:7], v[2:3], v[20:21], v[6:7]
	;; [unrolled: 1-line block ×4, first 2 shown]
	ds_load_2addr_b64 v[0:3], v14 offset0:192 offset1:208
	s_waitcnt lgkmcnt(0)
	v_fma_f64 v[10:11], v[0:1], v[26:27], v[10:11]
	v_fma_f64 v[6:7], v[2:3], v[26:27], v[6:7]
	;; [unrolled: 1-line block ×4, first 2 shown]
	ds_load_2addr_b64 v[18:21], v14 offset0:224 offset1:240
	s_waitcnt lgkmcnt(0)
	s_barrier
	buffer_gl0_inv
	v_fma_f64 v[10:11], v[18:19], v[28:29], v[10:11]
	v_fma_f64 v[6:7], v[20:21], v[28:29], v[6:7]
	v_fma_f64 v[2:3], v[18:19], v[32:33], v[0:1]
	v_fma_f64 v[0:1], v[20:21], v[32:33], v[22:23]
	s_cbranch_vccz .LBB1012_2
.LBB1012_3:
	s_clause 0x1
	s_load_b128 s[4:7], s[0:1], 0x48
	s_load_b32 s2, s[0:1], 0x0
	v_add_nc_u32_e32 v13, s9, v13
	s_delay_alu instid0(VALU_DEP_1) | instskip(SKIP_1) | instid1(VALU_DEP_1)
	v_ashrrev_i32_e32 v4, 31, v13
	s_waitcnt lgkmcnt(0)
	v_mul_lo_u32 v5, v4, s4
	v_mul_lo_u32 v14, v13, s5
	v_mad_u64_u32 v[8:9], null, v13, s4, 0
	s_mul_i32 s1, s15, s7
	s_mul_hi_u32 s3, s15, s6
	s_mul_i32 s6, s15, s6
	s_add_i32 s7, s3, s1
	v_add_nc_u32_e32 v4, s8, v12
	s_lshl_b64 s[6:7], s[6:7], 3
	s_delay_alu instid0(VALU_DEP_2)
	v_add3_u32 v9, v9, v14, v5
	s_add_u32 s3, s30, s6
	v_cmp_gt_i32_e32 vcc_lo, s2, v13
	v_cmp_le_i32_e64 s0, v4, v13
	s_addc_u32 s6, s31, s7
	v_lshlrev_b64 v[8:9], 3, v[8:9]
	s_delay_alu instid0(VALU_DEP_2) | instskip(NEXT) | instid1(VALU_DEP_1)
	s_and_b32 s0, vcc_lo, s0
	v_add_co_u32 v12, s1, s3, v8
	s_delay_alu instid0(VALU_DEP_1)
	v_add_co_ci_u32_e64 v14, s1, s6, v9, s1
	s_and_saveexec_b32 s1, s0
	s_cbranch_execz .LBB1012_5
; %bb.4:
	v_ashrrev_i32_e32 v5, 31, v4
	s_delay_alu instid0(VALU_DEP_1) | instskip(NEXT) | instid1(VALU_DEP_1)
	v_lshlrev_b64 v[8:9], 3, v[4:5]
	v_add_co_u32 v8, s0, v12, v8
	s_delay_alu instid0(VALU_DEP_1)
	v_add_co_ci_u32_e64 v9, s0, v14, v9, s0
	global_load_b64 v[15:16], v[8:9], off
	s_waitcnt vmcnt(0)
	v_add_f64 v[10:11], v[10:11], -v[15:16]
	global_store_b64 v[8:9], v[10:11], off
.LBB1012_5:
	s_or_b32 exec_lo, exec_lo, s1
	v_add_nc_u32_e32 v8, 16, v4
	s_delay_alu instid0(VALU_DEP_1) | instskip(NEXT) | instid1(VALU_DEP_1)
	v_cmp_le_i32_e64 s0, v8, v13
	s_and_b32 s1, vcc_lo, s0
	s_delay_alu instid0(SALU_CYCLE_1)
	s_and_saveexec_b32 s0, s1
	s_cbranch_execz .LBB1012_7
; %bb.6:
	v_ashrrev_i32_e32 v9, 31, v8
	s_delay_alu instid0(VALU_DEP_1) | instskip(NEXT) | instid1(VALU_DEP_1)
	v_lshlrev_b64 v[9:10], 3, v[8:9]
	v_add_co_u32 v9, vcc_lo, v12, v9
	s_delay_alu instid0(VALU_DEP_2)
	v_add_co_ci_u32_e32 v10, vcc_lo, v14, v10, vcc_lo
	global_load_b64 v[11:12], v[9:10], off
	s_waitcnt vmcnt(0)
	v_add_f64 v[5:6], v[6:7], -v[11:12]
	global_store_b64 v[9:10], v[5:6], off
.LBB1012_7:
	s_or_b32 exec_lo, exec_lo, s0
	v_add_nc_u32_e32 v6, 16, v13
	s_delay_alu instid0(VALU_DEP_1) | instskip(SKIP_3) | instid1(VALU_DEP_4)
	v_ashrrev_i32_e32 v5, 31, v6
	v_mul_lo_u32 v7, v6, s5
	v_mad_u64_u32 v[9:10], null, v6, s4, 0
	v_cmp_gt_i32_e32 vcc_lo, s2, v6
	v_mul_lo_u32 v5, v5, s4
	v_cmp_le_i32_e64 s0, v4, v6
	s_delay_alu instid0(VALU_DEP_1) | instskip(NEXT) | instid1(VALU_DEP_2)
	s_and_b32 s0, vcc_lo, s0
	v_add3_u32 v10, v10, v7, v5
	s_delay_alu instid0(VALU_DEP_1) | instskip(NEXT) | instid1(VALU_DEP_1)
	v_lshlrev_b64 v[9:10], 3, v[9:10]
	v_add_co_u32 v7, s1, s3, v9
	s_delay_alu instid0(VALU_DEP_1)
	v_add_co_ci_u32_e64 v10, s1, s6, v10, s1
	s_and_saveexec_b32 s1, s0
	s_cbranch_execz .LBB1012_9
; %bb.8:
	v_ashrrev_i32_e32 v5, 31, v4
	s_delay_alu instid0(VALU_DEP_1) | instskip(NEXT) | instid1(VALU_DEP_1)
	v_lshlrev_b64 v[4:5], 3, v[4:5]
	v_add_co_u32 v4, s0, v7, v4
	s_delay_alu instid0(VALU_DEP_1)
	v_add_co_ci_u32_e64 v5, s0, v10, v5, s0
	global_load_b64 v[11:12], v[4:5], off
	s_waitcnt vmcnt(0)
	v_add_f64 v[2:3], v[2:3], -v[11:12]
	global_store_b64 v[4:5], v[2:3], off
.LBB1012_9:
	s_or_b32 exec_lo, exec_lo, s1
	v_cmp_le_i32_e64 s0, v8, v6
	s_delay_alu instid0(VALU_DEP_1) | instskip(NEXT) | instid1(SALU_CYCLE_1)
	s_and_b32 s0, vcc_lo, s0
	s_and_saveexec_b32 s1, s0
	s_cbranch_execz .LBB1012_11
; %bb.10:
	v_ashrrev_i32_e32 v9, 31, v8
	s_delay_alu instid0(VALU_DEP_1) | instskip(NEXT) | instid1(VALU_DEP_1)
	v_lshlrev_b64 v[2:3], 3, v[8:9]
	v_add_co_u32 v2, vcc_lo, v7, v2
	s_delay_alu instid0(VALU_DEP_2)
	v_add_co_ci_u32_e32 v3, vcc_lo, v10, v3, vcc_lo
	global_load_b64 v[4:5], v[2:3], off
	s_waitcnt vmcnt(0)
	v_add_f64 v[0:1], v[0:1], -v[4:5]
	global_store_b64 v[2:3], v[0:1], off
.LBB1012_11:
	s_nop 0
	s_sendmsg sendmsg(MSG_DEALLOC_VGPRS)
	s_endpgm
	.section	.rodata,"a",@progbits
	.p2align	6, 0x0
	.amdhsa_kernel _ZL37rocblas_syrkx_herkx_restricted_kernelIldLi16ELi32ELi8ELi1ELin1ELb0ELc84ELc85EKddEviT_PT9_S1_lS3_S1_lPT10_S1_li
		.amdhsa_group_segment_fixed_size 4096
		.amdhsa_private_segment_fixed_size 0
		.amdhsa_kernarg_size 92
		.amdhsa_user_sgpr_count 13
		.amdhsa_user_sgpr_dispatch_ptr 0
		.amdhsa_user_sgpr_queue_ptr 0
		.amdhsa_user_sgpr_kernarg_segment_ptr 1
		.amdhsa_user_sgpr_dispatch_id 0
		.amdhsa_user_sgpr_private_segment_size 0
		.amdhsa_wavefront_size32 1
		.amdhsa_uses_dynamic_stack 0
		.amdhsa_enable_private_segment 0
		.amdhsa_system_sgpr_workgroup_id_x 1
		.amdhsa_system_sgpr_workgroup_id_y 1
		.amdhsa_system_sgpr_workgroup_id_z 1
		.amdhsa_system_sgpr_workgroup_info 0
		.amdhsa_system_vgpr_workitem_id 1
		.amdhsa_next_free_vgpr 38
		.amdhsa_next_free_sgpr 32
		.amdhsa_reserve_vcc 1
		.amdhsa_float_round_mode_32 0
		.amdhsa_float_round_mode_16_64 0
		.amdhsa_float_denorm_mode_32 3
		.amdhsa_float_denorm_mode_16_64 3
		.amdhsa_dx10_clamp 1
		.amdhsa_ieee_mode 1
		.amdhsa_fp16_overflow 0
		.amdhsa_workgroup_processor_mode 1
		.amdhsa_memory_ordered 1
		.amdhsa_forward_progress 0
		.amdhsa_shared_vgpr_count 0
		.amdhsa_exception_fp_ieee_invalid_op 0
		.amdhsa_exception_fp_denorm_src 0
		.amdhsa_exception_fp_ieee_div_zero 0
		.amdhsa_exception_fp_ieee_overflow 0
		.amdhsa_exception_fp_ieee_underflow 0
		.amdhsa_exception_fp_ieee_inexact 0
		.amdhsa_exception_int_div_zero 0
	.end_amdhsa_kernel
	.section	.text._ZL37rocblas_syrkx_herkx_restricted_kernelIldLi16ELi32ELi8ELi1ELin1ELb0ELc84ELc85EKddEviT_PT9_S1_lS3_S1_lPT10_S1_li,"axG",@progbits,_ZL37rocblas_syrkx_herkx_restricted_kernelIldLi16ELi32ELi8ELi1ELin1ELb0ELc84ELc85EKddEviT_PT9_S1_lS3_S1_lPT10_S1_li,comdat
.Lfunc_end1012:
	.size	_ZL37rocblas_syrkx_herkx_restricted_kernelIldLi16ELi32ELi8ELi1ELin1ELb0ELc84ELc85EKddEviT_PT9_S1_lS3_S1_lPT10_S1_li, .Lfunc_end1012-_ZL37rocblas_syrkx_herkx_restricted_kernelIldLi16ELi32ELi8ELi1ELin1ELb0ELc84ELc85EKddEviT_PT9_S1_lS3_S1_lPT10_S1_li
                                        ; -- End function
	.section	.AMDGPU.csdata,"",@progbits
; Kernel info:
; codeLenInByte = 1528
; NumSgprs: 34
; NumVgprs: 38
; ScratchSize: 0
; MemoryBound: 0
; FloatMode: 240
; IeeeMode: 1
; LDSByteSize: 4096 bytes/workgroup (compile time only)
; SGPRBlocks: 4
; VGPRBlocks: 4
; NumSGPRsForWavesPerEU: 34
; NumVGPRsForWavesPerEU: 38
; Occupancy: 16
; WaveLimiterHint : 1
; COMPUTE_PGM_RSRC2:SCRATCH_EN: 0
; COMPUTE_PGM_RSRC2:USER_SGPR: 13
; COMPUTE_PGM_RSRC2:TRAP_HANDLER: 0
; COMPUTE_PGM_RSRC2:TGID_X_EN: 1
; COMPUTE_PGM_RSRC2:TGID_Y_EN: 1
; COMPUTE_PGM_RSRC2:TGID_Z_EN: 1
; COMPUTE_PGM_RSRC2:TIDIG_COMP_CNT: 1
	.section	.text._ZL37rocblas_syrkx_herkx_restricted_kernelIldLi16ELi32ELi8ELi1ELin1ELb0ELc67ELc85EKddEviT_PT9_S1_lS3_S1_lPT10_S1_li,"axG",@progbits,_ZL37rocblas_syrkx_herkx_restricted_kernelIldLi16ELi32ELi8ELi1ELin1ELb0ELc67ELc85EKddEviT_PT9_S1_lS3_S1_lPT10_S1_li,comdat
	.globl	_ZL37rocblas_syrkx_herkx_restricted_kernelIldLi16ELi32ELi8ELi1ELin1ELb0ELc67ELc85EKddEviT_PT9_S1_lS3_S1_lPT10_S1_li ; -- Begin function _ZL37rocblas_syrkx_herkx_restricted_kernelIldLi16ELi32ELi8ELi1ELin1ELb0ELc67ELc85EKddEviT_PT9_S1_lS3_S1_lPT10_S1_li
	.p2align	8
	.type	_ZL37rocblas_syrkx_herkx_restricted_kernelIldLi16ELi32ELi8ELi1ELin1ELb0ELc67ELc85EKddEviT_PT9_S1_lS3_S1_lPT10_S1_li,@function
_ZL37rocblas_syrkx_herkx_restricted_kernelIldLi16ELi32ELi8ELi1ELin1ELb0ELc67ELc85EKddEviT_PT9_S1_lS3_S1_lPT10_S1_li: ; @_ZL37rocblas_syrkx_herkx_restricted_kernelIldLi16ELi32ELi8ELi1ELin1ELb0ELc67ELc85EKddEviT_PT9_S1_lS3_S1_lPT10_S1_li
; %bb.0:
	s_load_b512 s[16:31], s[0:1], 0x8
	v_mov_b32_e32 v10, 0
	v_dual_mov_b32 v11, 0 :: v_dual_and_b32 v12, 0x3ff, v0
	v_bfe_u32 v13, v0, 10, 10
	s_delay_alu instid0(VALU_DEP_3) | instskip(NEXT) | instid1(VALU_DEP_3)
	v_mov_b32_e32 v6, v10
	v_dual_mov_b32 v2, v10 :: v_dual_mov_b32 v3, v11
	v_dual_mov_b32 v7, v11 :: v_dual_mov_b32 v0, v10
	v_mov_b32_e32 v1, v11
	s_lshl_b32 s8, s13, 5
	s_lshl_b32 s9, s14, 5
	s_waitcnt lgkmcnt(0)
	v_cmp_lt_i64_e64 s2, s[16:17], 1
	s_delay_alu instid0(VALU_DEP_1)
	s_and_b32 vcc_lo, exec_lo, s2
	s_cbranch_vccnz .LBB1013_3
; %bb.1:
	v_lshl_add_u32 v2, v13, 4, v12
	v_dual_mov_b32 v1, 0 :: v_dual_and_b32 v0, 7, v12
	v_lshlrev_b32_e32 v14, 3, v12
	s_mul_i32 s3, s23, s15
	s_delay_alu instid0(VALU_DEP_3)
	v_and_b32_e32 v8, 31, v2
	v_lshrrev_b32_e32 v9, 3, v2
	v_lshrrev_b32_e32 v2, 5, v2
	v_mov_b32_e32 v3, v1
	v_lshlrev_b32_e32 v11, 3, v0
	v_add_nc_u32_e32 v6, s8, v8
	v_add_nc_u32_e32 v10, s9, v9
	s_mul_hi_u32 s4, s22, s15
	s_mul_i32 s2, s22, s15
	s_add_i32 s3, s4, s3
	v_ashrrev_i32_e32 v7, 31, v6
	v_ashrrev_i32_e32 v15, 31, v10
	v_mad_u64_u32 v[4:5], null, s20, v6, v[2:3]
	v_mul_lo_u32 v3, s21, v6
	s_delay_alu instid0(VALU_DEP_4)
	v_mul_lo_u32 v16, s20, v7
	v_mul_lo_u32 v17, v10, s27
	v_mad_u64_u32 v[6:7], null, v10, s26, v[0:1]
	v_mul_lo_u32 v0, v15, s26
	v_lshlrev_b32_e32 v1, 3, v8
	s_lshl_b64 s[2:3], s[2:3], 3
	s_mul_hi_u32 s5, s28, s15
	v_add3_u32 v5, v3, v5, v16
	s_add_u32 s4, s18, s2
	v_lshl_or_b32 v15, v2, 8, v1
	s_mul_i32 s2, s29, s15
	v_add3_u32 v7, v0, v7, v17
	v_lshlrev_b64 v[0:1], 3, v[4:5]
	s_addc_u32 s6, s19, s3
	s_add_i32 s3, s5, s2
	s_mul_i32 s2, s28, s15
	v_lshlrev_b64 v[2:3], 3, v[6:7]
	s_lshl_b64 s[2:3], s[2:3], 3
	v_add_co_u32 v4, vcc_lo, s4, v0
	v_add_co_ci_u32_e32 v5, vcc_lo, s6, v1, vcc_lo
	v_mov_b32_e32 v0, 0
	v_lshl_or_b32 v8, v9, 6, v11
	v_mov_b32_e32 v1, 0
	s_add_u32 s2, s24, s2
	s_addc_u32 s3, s25, s3
	v_lshl_add_u32 v17, v13, 6, 0x800
	s_delay_alu instid0(VALU_DEP_2)
	v_dual_mov_b32 v11, v1 :: v_dual_add_nc_u32 v16, 0x800, v8
	v_add_co_u32 v8, vcc_lo, s2, v2
	v_add_co_ci_u32_e32 v9, vcc_lo, s3, v3, vcc_lo
	v_mov_b32_e32 v3, v1
	v_dual_mov_b32 v7, v1 :: v_dual_mov_b32 v2, v0
	v_mov_b32_e32 v6, v0
	v_mov_b32_e32 v10, v0
	s_mov_b64 s[2:3], 0
.LBB1013_2:                             ; =>This Inner Loop Header: Depth=1
	global_load_b64 v[18:19], v[4:5], off
	global_load_b64 v[20:21], v[8:9], off
	s_add_u32 s2, s2, 8
	v_add_co_u32 v4, vcc_lo, v4, 64
	s_addc_u32 s3, s3, 0
	v_add_co_ci_u32_e32 v5, vcc_lo, 0, v5, vcc_lo
	v_cmp_ge_u64_e64 s4, s[2:3], s[16:17]
	v_add_co_u32 v8, vcc_lo, v8, 64
	v_add_co_ci_u32_e32 v9, vcc_lo, 0, v9, vcc_lo
	s_waitcnt vmcnt(1)
	ds_store_b64 v15, v[18:19]
	s_waitcnt vmcnt(0)
	ds_store_b64 v16, v[20:21]
	s_waitcnt lgkmcnt(0)
	s_barrier
	buffer_gl0_inv
	ds_load_2addr_b64 v[18:21], v14 offset1:16
	ds_load_b128 v[22:25], v17
	ds_load_b128 v[26:29], v17 offset:1024
	ds_load_b128 v[30:33], v17 offset:16
	;; [unrolled: 1-line block ×3, first 2 shown]
	s_and_b32 vcc_lo, exec_lo, s4
	s_waitcnt lgkmcnt(3)
	v_fma_f64 v[10:11], v[18:19], v[22:23], v[10:11]
	v_fma_f64 v[6:7], v[20:21], v[22:23], v[6:7]
	s_waitcnt lgkmcnt(2)
	v_fma_f64 v[18:19], v[18:19], v[26:27], v[2:3]
	v_fma_f64 v[20:21], v[20:21], v[26:27], v[0:1]
	ds_load_2addr_b64 v[0:3], v14 offset0:32 offset1:48
	s_waitcnt lgkmcnt(0)
	v_fma_f64 v[10:11], v[0:1], v[24:25], v[10:11]
	v_fma_f64 v[6:7], v[2:3], v[24:25], v[6:7]
	v_fma_f64 v[18:19], v[0:1], v[28:29], v[18:19]
	v_fma_f64 v[20:21], v[2:3], v[28:29], v[20:21]
	ds_load_2addr_b64 v[0:3], v14 offset0:64 offset1:80
	s_waitcnt lgkmcnt(0)
	v_fma_f64 v[10:11], v[0:1], v[30:31], v[10:11]
	v_fma_f64 v[6:7], v[2:3], v[30:31], v[6:7]
	v_fma_f64 v[18:19], v[0:1], v[34:35], v[18:19]
	v_fma_f64 v[20:21], v[2:3], v[34:35], v[20:21]
	ds_load_2addr_b64 v[0:3], v14 offset0:96 offset1:112
	s_waitcnt lgkmcnt(0)
	v_fma_f64 v[10:11], v[0:1], v[32:33], v[10:11]
	v_fma_f64 v[6:7], v[2:3], v[32:33], v[6:7]
	v_fma_f64 v[34:35], v[0:1], v[36:37], v[18:19]
	v_fma_f64 v[36:37], v[2:3], v[36:37], v[20:21]
	ds_load_2addr_b64 v[0:3], v14 offset0:128 offset1:144
	ds_load_b128 v[18:21], v17 offset:32
	ds_load_b128 v[22:25], v17 offset:1056
	;; [unrolled: 1-line block ×4, first 2 shown]
	s_waitcnt lgkmcnt(3)
	v_fma_f64 v[10:11], v[0:1], v[18:19], v[10:11]
	v_fma_f64 v[6:7], v[2:3], v[18:19], v[6:7]
	s_waitcnt lgkmcnt(2)
	v_fma_f64 v[18:19], v[0:1], v[22:23], v[34:35]
	v_fma_f64 v[22:23], v[2:3], v[22:23], v[36:37]
	ds_load_2addr_b64 v[0:3], v14 offset0:160 offset1:176
	s_waitcnt lgkmcnt(0)
	v_fma_f64 v[10:11], v[0:1], v[20:21], v[10:11]
	v_fma_f64 v[6:7], v[2:3], v[20:21], v[6:7]
	;; [unrolled: 1-line block ×4, first 2 shown]
	ds_load_2addr_b64 v[0:3], v14 offset0:192 offset1:208
	s_waitcnt lgkmcnt(0)
	v_fma_f64 v[10:11], v[0:1], v[26:27], v[10:11]
	v_fma_f64 v[6:7], v[2:3], v[26:27], v[6:7]
	;; [unrolled: 1-line block ×4, first 2 shown]
	ds_load_2addr_b64 v[18:21], v14 offset0:224 offset1:240
	s_waitcnt lgkmcnt(0)
	s_barrier
	buffer_gl0_inv
	v_fma_f64 v[10:11], v[18:19], v[28:29], v[10:11]
	v_fma_f64 v[6:7], v[20:21], v[28:29], v[6:7]
	;; [unrolled: 1-line block ×4, first 2 shown]
	s_cbranch_vccz .LBB1013_2
.LBB1013_3:
	s_clause 0x1
	s_load_b128 s[4:7], s[0:1], 0x48
	s_load_b32 s2, s[0:1], 0x0
	v_add_nc_u32_e32 v13, s9, v13
	s_delay_alu instid0(VALU_DEP_1) | instskip(SKIP_1) | instid1(VALU_DEP_1)
	v_ashrrev_i32_e32 v4, 31, v13
	s_waitcnt lgkmcnt(0)
	v_mul_lo_u32 v5, v4, s4
	v_mul_lo_u32 v14, v13, s5
	v_mad_u64_u32 v[8:9], null, v13, s4, 0
	s_mul_i32 s1, s15, s7
	s_mul_hi_u32 s3, s15, s6
	s_mul_i32 s6, s15, s6
	s_add_i32 s7, s3, s1
	v_add_nc_u32_e32 v4, s8, v12
	s_lshl_b64 s[6:7], s[6:7], 3
	s_delay_alu instid0(VALU_DEP_2)
	v_add3_u32 v9, v9, v14, v5
	s_add_u32 s3, s30, s6
	v_cmp_gt_i32_e32 vcc_lo, s2, v13
	v_cmp_le_i32_e64 s0, v4, v13
	s_addc_u32 s6, s31, s7
	v_lshlrev_b64 v[8:9], 3, v[8:9]
	s_delay_alu instid0(VALU_DEP_2) | instskip(NEXT) | instid1(VALU_DEP_1)
	s_and_b32 s0, vcc_lo, s0
	v_add_co_u32 v12, s1, s3, v8
	s_delay_alu instid0(VALU_DEP_1)
	v_add_co_ci_u32_e64 v14, s1, s6, v9, s1
	s_and_saveexec_b32 s1, s0
	s_cbranch_execz .LBB1013_5
; %bb.4:
	v_ashrrev_i32_e32 v5, 31, v4
	s_delay_alu instid0(VALU_DEP_1) | instskip(NEXT) | instid1(VALU_DEP_1)
	v_lshlrev_b64 v[8:9], 3, v[4:5]
	v_add_co_u32 v8, s0, v12, v8
	s_delay_alu instid0(VALU_DEP_1)
	v_add_co_ci_u32_e64 v9, s0, v14, v9, s0
	global_load_b64 v[15:16], v[8:9], off
	s_waitcnt vmcnt(0)
	v_add_f64 v[10:11], v[10:11], -v[15:16]
	global_store_b64 v[8:9], v[10:11], off
.LBB1013_5:
	s_or_b32 exec_lo, exec_lo, s1
	v_add_nc_u32_e32 v8, 16, v4
	s_delay_alu instid0(VALU_DEP_1) | instskip(NEXT) | instid1(VALU_DEP_1)
	v_cmp_le_i32_e64 s0, v8, v13
	s_and_b32 s1, vcc_lo, s0
	s_delay_alu instid0(SALU_CYCLE_1)
	s_and_saveexec_b32 s0, s1
	s_cbranch_execz .LBB1013_7
; %bb.6:
	v_ashrrev_i32_e32 v9, 31, v8
	s_delay_alu instid0(VALU_DEP_1) | instskip(NEXT) | instid1(VALU_DEP_1)
	v_lshlrev_b64 v[9:10], 3, v[8:9]
	v_add_co_u32 v9, vcc_lo, v12, v9
	s_delay_alu instid0(VALU_DEP_2)
	v_add_co_ci_u32_e32 v10, vcc_lo, v14, v10, vcc_lo
	global_load_b64 v[11:12], v[9:10], off
	s_waitcnt vmcnt(0)
	v_add_f64 v[5:6], v[6:7], -v[11:12]
	global_store_b64 v[9:10], v[5:6], off
.LBB1013_7:
	s_or_b32 exec_lo, exec_lo, s0
	v_add_nc_u32_e32 v6, 16, v13
	s_delay_alu instid0(VALU_DEP_1) | instskip(SKIP_3) | instid1(VALU_DEP_4)
	v_ashrrev_i32_e32 v5, 31, v6
	v_mul_lo_u32 v7, v6, s5
	v_mad_u64_u32 v[9:10], null, v6, s4, 0
	v_cmp_gt_i32_e32 vcc_lo, s2, v6
	v_mul_lo_u32 v5, v5, s4
	v_cmp_le_i32_e64 s0, v4, v6
	s_delay_alu instid0(VALU_DEP_1) | instskip(NEXT) | instid1(VALU_DEP_2)
	s_and_b32 s0, vcc_lo, s0
	v_add3_u32 v10, v10, v7, v5
	s_delay_alu instid0(VALU_DEP_1) | instskip(NEXT) | instid1(VALU_DEP_1)
	v_lshlrev_b64 v[9:10], 3, v[9:10]
	v_add_co_u32 v7, s1, s3, v9
	s_delay_alu instid0(VALU_DEP_1)
	v_add_co_ci_u32_e64 v10, s1, s6, v10, s1
	s_and_saveexec_b32 s1, s0
	s_cbranch_execz .LBB1013_9
; %bb.8:
	v_ashrrev_i32_e32 v5, 31, v4
	s_delay_alu instid0(VALU_DEP_1) | instskip(NEXT) | instid1(VALU_DEP_1)
	v_lshlrev_b64 v[4:5], 3, v[4:5]
	v_add_co_u32 v4, s0, v7, v4
	s_delay_alu instid0(VALU_DEP_1)
	v_add_co_ci_u32_e64 v5, s0, v10, v5, s0
	global_load_b64 v[11:12], v[4:5], off
	s_waitcnt vmcnt(0)
	v_add_f64 v[2:3], v[2:3], -v[11:12]
	global_store_b64 v[4:5], v[2:3], off
.LBB1013_9:
	s_or_b32 exec_lo, exec_lo, s1
	v_cmp_le_i32_e64 s0, v8, v6
	s_delay_alu instid0(VALU_DEP_1) | instskip(NEXT) | instid1(SALU_CYCLE_1)
	s_and_b32 s0, vcc_lo, s0
	s_and_saveexec_b32 s1, s0
	s_cbranch_execz .LBB1013_11
; %bb.10:
	v_ashrrev_i32_e32 v9, 31, v8
	s_delay_alu instid0(VALU_DEP_1) | instskip(NEXT) | instid1(VALU_DEP_1)
	v_lshlrev_b64 v[2:3], 3, v[8:9]
	v_add_co_u32 v2, vcc_lo, v7, v2
	s_delay_alu instid0(VALU_DEP_2)
	v_add_co_ci_u32_e32 v3, vcc_lo, v10, v3, vcc_lo
	global_load_b64 v[4:5], v[2:3], off
	s_waitcnt vmcnt(0)
	v_add_f64 v[0:1], v[0:1], -v[4:5]
	global_store_b64 v[2:3], v[0:1], off
.LBB1013_11:
	s_nop 0
	s_sendmsg sendmsg(MSG_DEALLOC_VGPRS)
	s_endpgm
	.section	.rodata,"a",@progbits
	.p2align	6, 0x0
	.amdhsa_kernel _ZL37rocblas_syrkx_herkx_restricted_kernelIldLi16ELi32ELi8ELi1ELin1ELb0ELc67ELc85EKddEviT_PT9_S1_lS3_S1_lPT10_S1_li
		.amdhsa_group_segment_fixed_size 4096
		.amdhsa_private_segment_fixed_size 0
		.amdhsa_kernarg_size 92
		.amdhsa_user_sgpr_count 13
		.amdhsa_user_sgpr_dispatch_ptr 0
		.amdhsa_user_sgpr_queue_ptr 0
		.amdhsa_user_sgpr_kernarg_segment_ptr 1
		.amdhsa_user_sgpr_dispatch_id 0
		.amdhsa_user_sgpr_private_segment_size 0
		.amdhsa_wavefront_size32 1
		.amdhsa_uses_dynamic_stack 0
		.amdhsa_enable_private_segment 0
		.amdhsa_system_sgpr_workgroup_id_x 1
		.amdhsa_system_sgpr_workgroup_id_y 1
		.amdhsa_system_sgpr_workgroup_id_z 1
		.amdhsa_system_sgpr_workgroup_info 0
		.amdhsa_system_vgpr_workitem_id 1
		.amdhsa_next_free_vgpr 38
		.amdhsa_next_free_sgpr 32
		.amdhsa_reserve_vcc 1
		.amdhsa_float_round_mode_32 0
		.amdhsa_float_round_mode_16_64 0
		.amdhsa_float_denorm_mode_32 3
		.amdhsa_float_denorm_mode_16_64 3
		.amdhsa_dx10_clamp 1
		.amdhsa_ieee_mode 1
		.amdhsa_fp16_overflow 0
		.amdhsa_workgroup_processor_mode 1
		.amdhsa_memory_ordered 1
		.amdhsa_forward_progress 0
		.amdhsa_shared_vgpr_count 0
		.amdhsa_exception_fp_ieee_invalid_op 0
		.amdhsa_exception_fp_denorm_src 0
		.amdhsa_exception_fp_ieee_div_zero 0
		.amdhsa_exception_fp_ieee_overflow 0
		.amdhsa_exception_fp_ieee_underflow 0
		.amdhsa_exception_fp_ieee_inexact 0
		.amdhsa_exception_int_div_zero 0
	.end_amdhsa_kernel
	.section	.text._ZL37rocblas_syrkx_herkx_restricted_kernelIldLi16ELi32ELi8ELi1ELin1ELb0ELc67ELc85EKddEviT_PT9_S1_lS3_S1_lPT10_S1_li,"axG",@progbits,_ZL37rocblas_syrkx_herkx_restricted_kernelIldLi16ELi32ELi8ELi1ELin1ELb0ELc67ELc85EKddEviT_PT9_S1_lS3_S1_lPT10_S1_li,comdat
.Lfunc_end1013:
	.size	_ZL37rocblas_syrkx_herkx_restricted_kernelIldLi16ELi32ELi8ELi1ELin1ELb0ELc67ELc85EKddEviT_PT9_S1_lS3_S1_lPT10_S1_li, .Lfunc_end1013-_ZL37rocblas_syrkx_herkx_restricted_kernelIldLi16ELi32ELi8ELi1ELin1ELb0ELc67ELc85EKddEviT_PT9_S1_lS3_S1_lPT10_S1_li
                                        ; -- End function
	.section	.AMDGPU.csdata,"",@progbits
; Kernel info:
; codeLenInByte = 1528
; NumSgprs: 34
; NumVgprs: 38
; ScratchSize: 0
; MemoryBound: 0
; FloatMode: 240
; IeeeMode: 1
; LDSByteSize: 4096 bytes/workgroup (compile time only)
; SGPRBlocks: 4
; VGPRBlocks: 4
; NumSGPRsForWavesPerEU: 34
; NumVGPRsForWavesPerEU: 38
; Occupancy: 16
; WaveLimiterHint : 1
; COMPUTE_PGM_RSRC2:SCRATCH_EN: 0
; COMPUTE_PGM_RSRC2:USER_SGPR: 13
; COMPUTE_PGM_RSRC2:TRAP_HANDLER: 0
; COMPUTE_PGM_RSRC2:TGID_X_EN: 1
; COMPUTE_PGM_RSRC2:TGID_Y_EN: 1
; COMPUTE_PGM_RSRC2:TGID_Z_EN: 1
; COMPUTE_PGM_RSRC2:TIDIG_COMP_CNT: 1
	.section	.text._ZL37rocblas_syrkx_herkx_restricted_kernelIldLi16ELi32ELi8ELi1ELin1ELb0ELc78ELc85EKddEviT_PT9_S1_lS3_S1_lPT10_S1_li,"axG",@progbits,_ZL37rocblas_syrkx_herkx_restricted_kernelIldLi16ELi32ELi8ELi1ELin1ELb0ELc78ELc85EKddEviT_PT9_S1_lS3_S1_lPT10_S1_li,comdat
	.globl	_ZL37rocblas_syrkx_herkx_restricted_kernelIldLi16ELi32ELi8ELi1ELin1ELb0ELc78ELc85EKddEviT_PT9_S1_lS3_S1_lPT10_S1_li ; -- Begin function _ZL37rocblas_syrkx_herkx_restricted_kernelIldLi16ELi32ELi8ELi1ELin1ELb0ELc78ELc85EKddEviT_PT9_S1_lS3_S1_lPT10_S1_li
	.p2align	8
	.type	_ZL37rocblas_syrkx_herkx_restricted_kernelIldLi16ELi32ELi8ELi1ELin1ELb0ELc78ELc85EKddEviT_PT9_S1_lS3_S1_lPT10_S1_li,@function
_ZL37rocblas_syrkx_herkx_restricted_kernelIldLi16ELi32ELi8ELi1ELin1ELb0ELc78ELc85EKddEviT_PT9_S1_lS3_S1_lPT10_S1_li: ; @_ZL37rocblas_syrkx_herkx_restricted_kernelIldLi16ELi32ELi8ELi1ELin1ELb0ELc78ELc85EKddEviT_PT9_S1_lS3_S1_lPT10_S1_li
; %bb.0:
	s_load_b512 s[16:31], s[0:1], 0x8
	v_mov_b32_e32 v10, 0
	v_dual_mov_b32 v11, 0 :: v_dual_and_b32 v12, 0x3ff, v0
	v_bfe_u32 v13, v0, 10, 10
	s_delay_alu instid0(VALU_DEP_3) | instskip(NEXT) | instid1(VALU_DEP_3)
	v_mov_b32_e32 v6, v10
	v_dual_mov_b32 v2, v10 :: v_dual_mov_b32 v3, v11
	v_dual_mov_b32 v7, v11 :: v_dual_mov_b32 v0, v10
	v_mov_b32_e32 v1, v11
	s_lshl_b32 s8, s13, 5
	s_lshl_b32 s9, s14, 5
	s_waitcnt lgkmcnt(0)
	v_cmp_lt_i64_e64 s2, s[16:17], 1
	s_delay_alu instid0(VALU_DEP_1)
	s_and_b32 vcc_lo, exec_lo, s2
	s_cbranch_vccnz .LBB1014_3
; %bb.1:
	v_lshl_add_u32 v1, v13, 4, v12
	v_and_b32_e32 v11, 7, v12
	s_mul_i32 s3, s23, s15
	s_mul_hi_u32 s5, s22, s15
	s_mul_i32 s2, s22, s15
	v_and_b32_e32 v10, 31, v1
	v_lshrrev_b32_e32 v16, 3, v1
	v_lshrrev_b32_e32 v17, 5, v1
	s_add_i32 s3, s5, s3
	s_mul_i32 s6, s29, s15
	v_add_nc_u32_e32 v0, s8, v10
	v_add_nc_u32_e32 v2, s9, v16
	s_lshl_b64 s[2:3], s[2:3], 3
	s_mul_hi_u32 s7, s28, s15
	s_add_u32 s10, s18, s2
	v_ashrrev_i32_e32 v1, 31, v0
	v_ashrrev_i32_e32 v3, 31, v2
	s_mul_i32 s4, s28, s15
	s_addc_u32 s11, s19, s3
	s_add_i32 s5, s7, s6
	v_mad_u64_u32 v[4:5], null, v17, s20, v[0:1]
	v_mov_b32_e32 v0, 0
	v_mad_u64_u32 v[6:7], null, v11, s26, v[2:3]
	v_dual_mov_b32 v1, 0 :: v_dual_lshlrev_b32 v14, 3, v12
	v_lshlrev_b32_e32 v18, 3, v11
	v_mov_b32_e32 v2, v5
	s_lshl_b64 s[4:5], s[4:5], 3
	s_lshl_b64 s[2:3], s[20:21], 6
	s_delay_alu instid0(VALU_DEP_4)
	v_mov_b32_e32 v3, v7
	s_add_u32 s4, s24, s4
	s_addc_u32 s5, s25, s5
	v_lshl_add_u32 v15, v13, 6, 0x800
	s_mov_b64 s[6:7], 0
	v_mad_u64_u32 v[7:8], null, v17, s21, v[2:3]
	v_mad_u64_u32 v[8:9], null, v11, s27, v[3:4]
	v_lshlrev_b32_e32 v9, 3, v10
	s_delay_alu instid0(VALU_DEP_3) | instskip(NEXT) | instid1(VALU_DEP_3)
	v_mov_b32_e32 v5, v7
	v_mov_b32_e32 v7, v8
	s_delay_alu instid0(VALU_DEP_2) | instskip(NEXT) | instid1(VALU_DEP_2)
	v_lshlrev_b64 v[2:3], 3, v[4:5]
	v_lshlrev_b64 v[6:7], 3, v[6:7]
	s_delay_alu instid0(VALU_DEP_2) | instskip(NEXT) | instid1(VALU_DEP_3)
	v_add_co_u32 v4, vcc_lo, s10, v2
	v_add_co_ci_u32_e32 v5, vcc_lo, s11, v3, vcc_lo
	v_mov_b32_e32 v3, v1
	v_lshl_or_b32 v10, v16, 6, v18
	v_add_co_u32 v8, vcc_lo, s4, v6
	v_lshl_or_b32 v16, v17, 8, v9
	v_add_co_ci_u32_e32 v9, vcc_lo, s5, v7, vcc_lo
	s_delay_alu instid0(VALU_DEP_4)
	v_dual_mov_b32 v2, v0 :: v_dual_add_nc_u32 v17, 0x800, v10
	v_dual_mov_b32 v7, v1 :: v_dual_mov_b32 v6, v0
	v_dual_mov_b32 v11, v1 :: v_dual_mov_b32 v10, v0
	s_lshl_b64 s[4:5], s[26:27], 6
.LBB1014_2:                             ; =>This Inner Loop Header: Depth=1
	global_load_b64 v[18:19], v[4:5], off
	global_load_b64 v[20:21], v[8:9], off
	s_add_u32 s6, s6, 8
	v_add_co_u32 v4, vcc_lo, v4, s2
	s_addc_u32 s7, s7, 0
	v_add_co_ci_u32_e32 v5, vcc_lo, s3, v5, vcc_lo
	v_cmp_ge_u64_e64 s10, s[6:7], s[16:17]
	v_add_co_u32 v8, vcc_lo, v8, s4
	v_add_co_ci_u32_e32 v9, vcc_lo, s5, v9, vcc_lo
	s_waitcnt vmcnt(1)
	ds_store_b64 v16, v[18:19]
	s_waitcnt vmcnt(0)
	ds_store_b64 v17, v[20:21]
	s_waitcnt lgkmcnt(0)
	s_barrier
	buffer_gl0_inv
	ds_load_2addr_b64 v[18:21], v14 offset1:16
	ds_load_b128 v[22:25], v15
	ds_load_b128 v[26:29], v15 offset:1024
	ds_load_b128 v[30:33], v15 offset:16
	;; [unrolled: 1-line block ×3, first 2 shown]
	s_and_b32 vcc_lo, exec_lo, s10
	s_waitcnt lgkmcnt(3)
	v_fma_f64 v[10:11], v[18:19], v[22:23], v[10:11]
	v_fma_f64 v[6:7], v[20:21], v[22:23], v[6:7]
	s_waitcnt lgkmcnt(2)
	v_fma_f64 v[18:19], v[18:19], v[26:27], v[2:3]
	v_fma_f64 v[20:21], v[20:21], v[26:27], v[0:1]
	ds_load_2addr_b64 v[0:3], v14 offset0:32 offset1:48
	s_waitcnt lgkmcnt(0)
	v_fma_f64 v[10:11], v[0:1], v[24:25], v[10:11]
	v_fma_f64 v[6:7], v[2:3], v[24:25], v[6:7]
	v_fma_f64 v[18:19], v[0:1], v[28:29], v[18:19]
	v_fma_f64 v[20:21], v[2:3], v[28:29], v[20:21]
	ds_load_2addr_b64 v[0:3], v14 offset0:64 offset1:80
	s_waitcnt lgkmcnt(0)
	v_fma_f64 v[10:11], v[0:1], v[30:31], v[10:11]
	v_fma_f64 v[6:7], v[2:3], v[30:31], v[6:7]
	;; [unrolled: 6-line block ×3, first 2 shown]
	v_fma_f64 v[34:35], v[0:1], v[36:37], v[18:19]
	v_fma_f64 v[36:37], v[2:3], v[36:37], v[20:21]
	ds_load_2addr_b64 v[0:3], v14 offset0:128 offset1:144
	ds_load_b128 v[18:21], v15 offset:32
	ds_load_b128 v[22:25], v15 offset:1056
	;; [unrolled: 1-line block ×4, first 2 shown]
	s_waitcnt lgkmcnt(3)
	v_fma_f64 v[10:11], v[0:1], v[18:19], v[10:11]
	v_fma_f64 v[6:7], v[2:3], v[18:19], v[6:7]
	s_waitcnt lgkmcnt(2)
	v_fma_f64 v[18:19], v[0:1], v[22:23], v[34:35]
	v_fma_f64 v[22:23], v[2:3], v[22:23], v[36:37]
	ds_load_2addr_b64 v[0:3], v14 offset0:160 offset1:176
	s_waitcnt lgkmcnt(0)
	v_fma_f64 v[10:11], v[0:1], v[20:21], v[10:11]
	v_fma_f64 v[6:7], v[2:3], v[20:21], v[6:7]
	;; [unrolled: 1-line block ×4, first 2 shown]
	ds_load_2addr_b64 v[0:3], v14 offset0:192 offset1:208
	s_waitcnt lgkmcnt(0)
	v_fma_f64 v[10:11], v[0:1], v[26:27], v[10:11]
	v_fma_f64 v[6:7], v[2:3], v[26:27], v[6:7]
	;; [unrolled: 1-line block ×4, first 2 shown]
	ds_load_2addr_b64 v[18:21], v14 offset0:224 offset1:240
	s_waitcnt lgkmcnt(0)
	s_barrier
	buffer_gl0_inv
	v_fma_f64 v[10:11], v[18:19], v[28:29], v[10:11]
	v_fma_f64 v[6:7], v[20:21], v[28:29], v[6:7]
	;; [unrolled: 1-line block ×4, first 2 shown]
	s_cbranch_vccz .LBB1014_2
.LBB1014_3:
	s_clause 0x1
	s_load_b128 s[4:7], s[0:1], 0x48
	s_load_b32 s2, s[0:1], 0x0
	v_add_nc_u32_e32 v13, s9, v13
	s_delay_alu instid0(VALU_DEP_1) | instskip(SKIP_1) | instid1(VALU_DEP_1)
	v_ashrrev_i32_e32 v4, 31, v13
	s_waitcnt lgkmcnt(0)
	v_mul_lo_u32 v5, v4, s4
	v_mul_lo_u32 v14, v13, s5
	v_mad_u64_u32 v[8:9], null, v13, s4, 0
	s_mul_i32 s1, s15, s7
	s_mul_hi_u32 s3, s15, s6
	s_mul_i32 s6, s15, s6
	s_add_i32 s7, s3, s1
	v_add_nc_u32_e32 v4, s8, v12
	s_lshl_b64 s[6:7], s[6:7], 3
	s_delay_alu instid0(VALU_DEP_2)
	v_add3_u32 v9, v9, v14, v5
	s_add_u32 s3, s30, s6
	v_cmp_gt_i32_e32 vcc_lo, s2, v13
	v_cmp_le_i32_e64 s0, v4, v13
	s_addc_u32 s6, s31, s7
	v_lshlrev_b64 v[8:9], 3, v[8:9]
	s_delay_alu instid0(VALU_DEP_2) | instskip(NEXT) | instid1(VALU_DEP_1)
	s_and_b32 s0, vcc_lo, s0
	v_add_co_u32 v12, s1, s3, v8
	s_delay_alu instid0(VALU_DEP_1)
	v_add_co_ci_u32_e64 v14, s1, s6, v9, s1
	s_and_saveexec_b32 s1, s0
	s_cbranch_execz .LBB1014_5
; %bb.4:
	v_ashrrev_i32_e32 v5, 31, v4
	s_delay_alu instid0(VALU_DEP_1) | instskip(NEXT) | instid1(VALU_DEP_1)
	v_lshlrev_b64 v[8:9], 3, v[4:5]
	v_add_co_u32 v8, s0, v12, v8
	s_delay_alu instid0(VALU_DEP_1)
	v_add_co_ci_u32_e64 v9, s0, v14, v9, s0
	global_load_b64 v[15:16], v[8:9], off
	s_waitcnt vmcnt(0)
	v_add_f64 v[10:11], v[10:11], -v[15:16]
	global_store_b64 v[8:9], v[10:11], off
.LBB1014_5:
	s_or_b32 exec_lo, exec_lo, s1
	v_add_nc_u32_e32 v8, 16, v4
	s_delay_alu instid0(VALU_DEP_1) | instskip(NEXT) | instid1(VALU_DEP_1)
	v_cmp_le_i32_e64 s0, v8, v13
	s_and_b32 s1, vcc_lo, s0
	s_delay_alu instid0(SALU_CYCLE_1)
	s_and_saveexec_b32 s0, s1
	s_cbranch_execz .LBB1014_7
; %bb.6:
	v_ashrrev_i32_e32 v9, 31, v8
	s_delay_alu instid0(VALU_DEP_1) | instskip(NEXT) | instid1(VALU_DEP_1)
	v_lshlrev_b64 v[9:10], 3, v[8:9]
	v_add_co_u32 v9, vcc_lo, v12, v9
	s_delay_alu instid0(VALU_DEP_2)
	v_add_co_ci_u32_e32 v10, vcc_lo, v14, v10, vcc_lo
	global_load_b64 v[11:12], v[9:10], off
	s_waitcnt vmcnt(0)
	v_add_f64 v[5:6], v[6:7], -v[11:12]
	global_store_b64 v[9:10], v[5:6], off
.LBB1014_7:
	s_or_b32 exec_lo, exec_lo, s0
	v_add_nc_u32_e32 v6, 16, v13
	s_delay_alu instid0(VALU_DEP_1) | instskip(SKIP_3) | instid1(VALU_DEP_4)
	v_ashrrev_i32_e32 v5, 31, v6
	v_mul_lo_u32 v7, v6, s5
	v_mad_u64_u32 v[9:10], null, v6, s4, 0
	v_cmp_gt_i32_e32 vcc_lo, s2, v6
	v_mul_lo_u32 v5, v5, s4
	v_cmp_le_i32_e64 s0, v4, v6
	s_delay_alu instid0(VALU_DEP_1) | instskip(NEXT) | instid1(VALU_DEP_2)
	s_and_b32 s0, vcc_lo, s0
	v_add3_u32 v10, v10, v7, v5
	s_delay_alu instid0(VALU_DEP_1) | instskip(NEXT) | instid1(VALU_DEP_1)
	v_lshlrev_b64 v[9:10], 3, v[9:10]
	v_add_co_u32 v7, s1, s3, v9
	s_delay_alu instid0(VALU_DEP_1)
	v_add_co_ci_u32_e64 v10, s1, s6, v10, s1
	s_and_saveexec_b32 s1, s0
	s_cbranch_execz .LBB1014_9
; %bb.8:
	v_ashrrev_i32_e32 v5, 31, v4
	s_delay_alu instid0(VALU_DEP_1) | instskip(NEXT) | instid1(VALU_DEP_1)
	v_lshlrev_b64 v[4:5], 3, v[4:5]
	v_add_co_u32 v4, s0, v7, v4
	s_delay_alu instid0(VALU_DEP_1)
	v_add_co_ci_u32_e64 v5, s0, v10, v5, s0
	global_load_b64 v[11:12], v[4:5], off
	s_waitcnt vmcnt(0)
	v_add_f64 v[2:3], v[2:3], -v[11:12]
	global_store_b64 v[4:5], v[2:3], off
.LBB1014_9:
	s_or_b32 exec_lo, exec_lo, s1
	v_cmp_le_i32_e64 s0, v8, v6
	s_delay_alu instid0(VALU_DEP_1) | instskip(NEXT) | instid1(SALU_CYCLE_1)
	s_and_b32 s0, vcc_lo, s0
	s_and_saveexec_b32 s1, s0
	s_cbranch_execz .LBB1014_11
; %bb.10:
	v_ashrrev_i32_e32 v9, 31, v8
	s_delay_alu instid0(VALU_DEP_1) | instskip(NEXT) | instid1(VALU_DEP_1)
	v_lshlrev_b64 v[2:3], 3, v[8:9]
	v_add_co_u32 v2, vcc_lo, v7, v2
	s_delay_alu instid0(VALU_DEP_2)
	v_add_co_ci_u32_e32 v3, vcc_lo, v10, v3, vcc_lo
	global_load_b64 v[4:5], v[2:3], off
	s_waitcnt vmcnt(0)
	v_add_f64 v[0:1], v[0:1], -v[4:5]
	global_store_b64 v[2:3], v[0:1], off
.LBB1014_11:
	s_nop 0
	s_sendmsg sendmsg(MSG_DEALLOC_VGPRS)
	s_endpgm
	.section	.rodata,"a",@progbits
	.p2align	6, 0x0
	.amdhsa_kernel _ZL37rocblas_syrkx_herkx_restricted_kernelIldLi16ELi32ELi8ELi1ELin1ELb0ELc78ELc85EKddEviT_PT9_S1_lS3_S1_lPT10_S1_li
		.amdhsa_group_segment_fixed_size 4096
		.amdhsa_private_segment_fixed_size 0
		.amdhsa_kernarg_size 92
		.amdhsa_user_sgpr_count 13
		.amdhsa_user_sgpr_dispatch_ptr 0
		.amdhsa_user_sgpr_queue_ptr 0
		.amdhsa_user_sgpr_kernarg_segment_ptr 1
		.amdhsa_user_sgpr_dispatch_id 0
		.amdhsa_user_sgpr_private_segment_size 0
		.amdhsa_wavefront_size32 1
		.amdhsa_uses_dynamic_stack 0
		.amdhsa_enable_private_segment 0
		.amdhsa_system_sgpr_workgroup_id_x 1
		.amdhsa_system_sgpr_workgroup_id_y 1
		.amdhsa_system_sgpr_workgroup_id_z 1
		.amdhsa_system_sgpr_workgroup_info 0
		.amdhsa_system_vgpr_workitem_id 1
		.amdhsa_next_free_vgpr 38
		.amdhsa_next_free_sgpr 32
		.amdhsa_reserve_vcc 1
		.amdhsa_float_round_mode_32 0
		.amdhsa_float_round_mode_16_64 0
		.amdhsa_float_denorm_mode_32 3
		.amdhsa_float_denorm_mode_16_64 3
		.amdhsa_dx10_clamp 1
		.amdhsa_ieee_mode 1
		.amdhsa_fp16_overflow 0
		.amdhsa_workgroup_processor_mode 1
		.amdhsa_memory_ordered 1
		.amdhsa_forward_progress 0
		.amdhsa_shared_vgpr_count 0
		.amdhsa_exception_fp_ieee_invalid_op 0
		.amdhsa_exception_fp_denorm_src 0
		.amdhsa_exception_fp_ieee_div_zero 0
		.amdhsa_exception_fp_ieee_overflow 0
		.amdhsa_exception_fp_ieee_underflow 0
		.amdhsa_exception_fp_ieee_inexact 0
		.amdhsa_exception_int_div_zero 0
	.end_amdhsa_kernel
	.section	.text._ZL37rocblas_syrkx_herkx_restricted_kernelIldLi16ELi32ELi8ELi1ELin1ELb0ELc78ELc85EKddEviT_PT9_S1_lS3_S1_lPT10_S1_li,"axG",@progbits,_ZL37rocblas_syrkx_herkx_restricted_kernelIldLi16ELi32ELi8ELi1ELin1ELb0ELc78ELc85EKddEviT_PT9_S1_lS3_S1_lPT10_S1_li,comdat
.Lfunc_end1014:
	.size	_ZL37rocblas_syrkx_herkx_restricted_kernelIldLi16ELi32ELi8ELi1ELin1ELb0ELc78ELc85EKddEviT_PT9_S1_lS3_S1_lPT10_S1_li, .Lfunc_end1014-_ZL37rocblas_syrkx_herkx_restricted_kernelIldLi16ELi32ELi8ELi1ELin1ELb0ELc78ELc85EKddEviT_PT9_S1_lS3_S1_lPT10_S1_li
                                        ; -- End function
	.section	.AMDGPU.csdata,"",@progbits
; Kernel info:
; codeLenInByte = 1520
; NumSgprs: 34
; NumVgprs: 38
; ScratchSize: 0
; MemoryBound: 0
; FloatMode: 240
; IeeeMode: 1
; LDSByteSize: 4096 bytes/workgroup (compile time only)
; SGPRBlocks: 4
; VGPRBlocks: 4
; NumSGPRsForWavesPerEU: 34
; NumVGPRsForWavesPerEU: 38
; Occupancy: 16
; WaveLimiterHint : 1
; COMPUTE_PGM_RSRC2:SCRATCH_EN: 0
; COMPUTE_PGM_RSRC2:USER_SGPR: 13
; COMPUTE_PGM_RSRC2:TRAP_HANDLER: 0
; COMPUTE_PGM_RSRC2:TGID_X_EN: 1
; COMPUTE_PGM_RSRC2:TGID_Y_EN: 1
; COMPUTE_PGM_RSRC2:TGID_Z_EN: 1
; COMPUTE_PGM_RSRC2:TIDIG_COMP_CNT: 1
	.section	.text._ZL37rocblas_syrkx_herkx_restricted_kernelIldLi16ELi32ELi8ELi1ELi0ELb0ELc84ELc76EKddEviT_PT9_S1_lS3_S1_lPT10_S1_li,"axG",@progbits,_ZL37rocblas_syrkx_herkx_restricted_kernelIldLi16ELi32ELi8ELi1ELi0ELb0ELc84ELc76EKddEviT_PT9_S1_lS3_S1_lPT10_S1_li,comdat
	.globl	_ZL37rocblas_syrkx_herkx_restricted_kernelIldLi16ELi32ELi8ELi1ELi0ELb0ELc84ELc76EKddEviT_PT9_S1_lS3_S1_lPT10_S1_li ; -- Begin function _ZL37rocblas_syrkx_herkx_restricted_kernelIldLi16ELi32ELi8ELi1ELi0ELb0ELc84ELc76EKddEviT_PT9_S1_lS3_S1_lPT10_S1_li
	.p2align	8
	.type	_ZL37rocblas_syrkx_herkx_restricted_kernelIldLi16ELi32ELi8ELi1ELi0ELb0ELc84ELc76EKddEviT_PT9_S1_lS3_S1_lPT10_S1_li,@function
_ZL37rocblas_syrkx_herkx_restricted_kernelIldLi16ELi32ELi8ELi1ELi0ELb0ELc84ELc76EKddEviT_PT9_S1_lS3_S1_lPT10_S1_li: ; @_ZL37rocblas_syrkx_herkx_restricted_kernelIldLi16ELi32ELi8ELi1ELi0ELb0ELc84ELc76EKddEviT_PT9_S1_lS3_S1_lPT10_S1_li
; %bb.0:
	s_load_b512 s[16:31], s[0:1], 0x8
	v_mov_b32_e32 v10, 0
	v_dual_mov_b32 v11, 0 :: v_dual_and_b32 v12, 0x3ff, v0
	v_bfe_u32 v13, v0, 10, 10
	s_delay_alu instid0(VALU_DEP_3) | instskip(NEXT) | instid1(VALU_DEP_3)
	v_mov_b32_e32 v8, v10
	v_dual_mov_b32 v2, v10 :: v_dual_mov_b32 v3, v11
	v_dual_mov_b32 v9, v11 :: v_dual_mov_b32 v0, v10
	v_mov_b32_e32 v1, v11
	s_lshl_b32 s8, s13, 5
	s_lshl_b32 s9, s14, 5
	s_waitcnt lgkmcnt(0)
	v_cmp_lt_i64_e64 s2, s[16:17], 1
	s_delay_alu instid0(VALU_DEP_1)
	s_and_b32 vcc_lo, exec_lo, s2
	s_cbranch_vccnz .LBB1015_3
; %bb.1:
	v_lshl_add_u32 v2, v13, 4, v12
	v_dual_mov_b32 v1, 0 :: v_dual_and_b32 v0, 7, v12
	v_lshlrev_b32_e32 v14, 3, v12
	s_mul_i32 s3, s23, s15
	s_delay_alu instid0(VALU_DEP_3)
	v_and_b32_e32 v8, 31, v2
	v_lshrrev_b32_e32 v9, 3, v2
	v_lshrrev_b32_e32 v2, 5, v2
	v_mov_b32_e32 v3, v1
	v_lshlrev_b32_e32 v11, 3, v0
	v_add_nc_u32_e32 v6, s8, v8
	v_add_nc_u32_e32 v10, s9, v9
	s_mul_hi_u32 s4, s22, s15
	s_mul_i32 s2, s22, s15
	s_add_i32 s3, s4, s3
	v_ashrrev_i32_e32 v7, 31, v6
	v_ashrrev_i32_e32 v15, 31, v10
	v_mad_u64_u32 v[4:5], null, s20, v6, v[2:3]
	v_mul_lo_u32 v3, s21, v6
	s_delay_alu instid0(VALU_DEP_4)
	v_mul_lo_u32 v16, s20, v7
	v_mul_lo_u32 v17, v10, s27
	v_mad_u64_u32 v[6:7], null, v10, s26, v[0:1]
	v_mul_lo_u32 v0, v15, s26
	v_lshlrev_b32_e32 v1, 3, v8
	s_lshl_b64 s[2:3], s[2:3], 3
	s_mul_hi_u32 s5, s28, s15
	v_add3_u32 v5, v3, v5, v16
	s_add_u32 s4, s18, s2
	v_lshl_or_b32 v15, v2, 8, v1
	s_mul_i32 s2, s29, s15
	v_add3_u32 v7, v0, v7, v17
	v_lshlrev_b64 v[0:1], 3, v[4:5]
	s_addc_u32 s6, s19, s3
	s_add_i32 s3, s5, s2
	s_mul_i32 s2, s28, s15
	v_lshlrev_b64 v[2:3], 3, v[6:7]
	s_lshl_b64 s[2:3], s[2:3], 3
	v_add_co_u32 v4, vcc_lo, s4, v0
	v_add_co_ci_u32_e32 v5, vcc_lo, s6, v1, vcc_lo
	v_mov_b32_e32 v0, 0
	v_lshl_or_b32 v8, v9, 6, v11
	v_mov_b32_e32 v1, 0
	s_add_u32 s2, s24, s2
	s_addc_u32 s3, s25, s3
	v_add_co_u32 v6, vcc_lo, s2, v2
	s_delay_alu instid0(VALU_DEP_2)
	v_dual_mov_b32 v11, v1 :: v_dual_add_nc_u32 v16, 0x800, v8
	v_add_co_ci_u32_e32 v7, vcc_lo, s3, v3, vcc_lo
	v_mov_b32_e32 v3, v1
	v_mov_b32_e32 v9, v1
	v_lshl_add_u32 v17, v13, 6, 0x800
	v_mov_b32_e32 v2, v0
	v_mov_b32_e32 v8, v0
	;; [unrolled: 1-line block ×3, first 2 shown]
	s_mov_b64 s[2:3], 0
.LBB1015_2:                             ; =>This Inner Loop Header: Depth=1
	global_load_b64 v[18:19], v[4:5], off
	global_load_b64 v[20:21], v[6:7], off
	s_add_u32 s2, s2, 8
	v_add_co_u32 v4, vcc_lo, v4, 64
	s_addc_u32 s3, s3, 0
	v_add_co_ci_u32_e32 v5, vcc_lo, 0, v5, vcc_lo
	v_cmp_ge_u64_e64 s4, s[2:3], s[16:17]
	v_add_co_u32 v6, vcc_lo, v6, 64
	v_add_co_ci_u32_e32 v7, vcc_lo, 0, v7, vcc_lo
	s_waitcnt vmcnt(1)
	ds_store_b64 v15, v[18:19]
	s_waitcnt vmcnt(0)
	ds_store_b64 v16, v[20:21]
	s_waitcnt lgkmcnt(0)
	s_barrier
	buffer_gl0_inv
	ds_load_2addr_b64 v[18:21], v14 offset1:16
	ds_load_b128 v[22:25], v17
	ds_load_b128 v[26:29], v17 offset:1024
	ds_load_b128 v[30:33], v17 offset:16
	;; [unrolled: 1-line block ×3, first 2 shown]
	s_and_b32 vcc_lo, exec_lo, s4
	s_waitcnt lgkmcnt(3)
	v_fma_f64 v[10:11], v[18:19], v[22:23], v[10:11]
	v_fma_f64 v[8:9], v[20:21], v[22:23], v[8:9]
	s_waitcnt lgkmcnt(2)
	v_fma_f64 v[18:19], v[18:19], v[26:27], v[2:3]
	v_fma_f64 v[20:21], v[20:21], v[26:27], v[0:1]
	ds_load_2addr_b64 v[0:3], v14 offset0:32 offset1:48
	s_waitcnt lgkmcnt(0)
	v_fma_f64 v[10:11], v[0:1], v[24:25], v[10:11]
	v_fma_f64 v[8:9], v[2:3], v[24:25], v[8:9]
	v_fma_f64 v[18:19], v[0:1], v[28:29], v[18:19]
	v_fma_f64 v[20:21], v[2:3], v[28:29], v[20:21]
	ds_load_2addr_b64 v[0:3], v14 offset0:64 offset1:80
	s_waitcnt lgkmcnt(0)
	v_fma_f64 v[10:11], v[0:1], v[30:31], v[10:11]
	v_fma_f64 v[8:9], v[2:3], v[30:31], v[8:9]
	v_fma_f64 v[18:19], v[0:1], v[34:35], v[18:19]
	v_fma_f64 v[20:21], v[2:3], v[34:35], v[20:21]
	ds_load_2addr_b64 v[0:3], v14 offset0:96 offset1:112
	s_waitcnt lgkmcnt(0)
	v_fma_f64 v[30:31], v[0:1], v[32:33], v[10:11]
	v_fma_f64 v[32:33], v[2:3], v[32:33], v[8:9]
	v_fma_f64 v[34:35], v[0:1], v[36:37], v[18:19]
	v_fma_f64 v[36:37], v[2:3], v[36:37], v[20:21]
	ds_load_2addr_b64 v[0:3], v14 offset0:128 offset1:144
	ds_load_b128 v[8:11], v17 offset:32
	ds_load_b128 v[18:21], v17 offset:1056
	;; [unrolled: 1-line block ×4, first 2 shown]
	s_waitcnt lgkmcnt(3)
	v_fma_f64 v[30:31], v[0:1], v[8:9], v[30:31]
	v_fma_f64 v[8:9], v[2:3], v[8:9], v[32:33]
	s_waitcnt lgkmcnt(2)
	v_fma_f64 v[32:33], v[0:1], v[18:19], v[34:35]
	v_fma_f64 v[18:19], v[2:3], v[18:19], v[36:37]
	ds_load_2addr_b64 v[0:3], v14 offset0:160 offset1:176
	s_waitcnt lgkmcnt(0)
	v_fma_f64 v[30:31], v[0:1], v[10:11], v[30:31]
	v_fma_f64 v[8:9], v[2:3], v[10:11], v[8:9]
	v_fma_f64 v[10:11], v[0:1], v[20:21], v[32:33]
	v_fma_f64 v[18:19], v[2:3], v[20:21], v[18:19]
	ds_load_2addr_b64 v[0:3], v14 offset0:192 offset1:208
	s_waitcnt lgkmcnt(0)
	v_fma_f64 v[30:31], v[0:1], v[22:23], v[30:31]
	v_fma_f64 v[8:9], v[2:3], v[22:23], v[8:9]
	;; [unrolled: 1-line block ×4, first 2 shown]
	ds_load_2addr_b64 v[18:21], v14 offset0:224 offset1:240
	s_waitcnt lgkmcnt(0)
	s_barrier
	buffer_gl0_inv
	v_fma_f64 v[10:11], v[18:19], v[24:25], v[30:31]
	v_fma_f64 v[8:9], v[20:21], v[24:25], v[8:9]
	;; [unrolled: 1-line block ×4, first 2 shown]
	s_cbranch_vccz .LBB1015_2
.LBB1015_3:
	s_load_b128 s[4:7], s[0:1], 0x48
	v_add_nc_u32_e32 v13, s9, v13
	s_load_b32 s9, s[0:1], 0x0
	s_delay_alu instid0(VALU_DEP_1) | instskip(SKIP_1) | instid1(VALU_DEP_1)
	v_ashrrev_i32_e32 v4, 31, v13
	s_waitcnt lgkmcnt(0)
	v_mul_lo_u32 v7, v4, s4
	v_mul_lo_u32 v14, v13, s5
	v_mad_u64_u32 v[5:6], null, v13, s4, 0
	s_mul_i32 s1, s15, s7
	s_mul_hi_u32 s3, s15, s6
	s_mul_i32 s2, s15, s6
	s_add_i32 s3, s3, s1
	v_add_nc_u32_e32 v4, s8, v12
	s_lshl_b64 s[2:3], s[2:3], 3
	s_delay_alu instid0(VALU_DEP_2)
	v_add3_u32 v6, v6, v14, v7
	s_add_u32 s2, s30, s2
	s_addc_u32 s3, s31, s3
	v_cmp_le_i32_e64 s0, v13, v4
	v_cmp_gt_i32_e32 vcc_lo, s9, v4
	v_lshlrev_b64 v[5:6], 3, v[5:6]
	s_delay_alu instid0(VALU_DEP_3) | instskip(NEXT) | instid1(VALU_DEP_1)
	s_and_b32 s0, s0, vcc_lo
	v_add_co_u32 v12, s1, s2, v5
	s_delay_alu instid0(VALU_DEP_1)
	v_add_co_ci_u32_e64 v14, s1, s3, v6, s1
	s_and_saveexec_b32 s1, s0
	s_cbranch_execz .LBB1015_5
; %bb.4:
	v_ashrrev_i32_e32 v5, 31, v4
	s_delay_alu instid0(VALU_DEP_1) | instskip(NEXT) | instid1(VALU_DEP_1)
	v_lshlrev_b64 v[5:6], 3, v[4:5]
	v_add_co_u32 v5, s0, v12, v5
	s_delay_alu instid0(VALU_DEP_1)
	v_add_co_ci_u32_e64 v6, s0, v14, v6, s0
	global_store_b64 v[5:6], v[10:11], off
.LBB1015_5:
	s_or_b32 exec_lo, exec_lo, s1
	v_add_nc_u32_e32 v6, 16, v4
	s_delay_alu instid0(VALU_DEP_1) | instskip(SKIP_1) | instid1(VALU_DEP_1)
	v_cmp_le_i32_e64 s1, v13, v6
	v_cmp_gt_i32_e64 s0, s9, v6
	s_and_b32 s1, s1, s0
	s_delay_alu instid0(SALU_CYCLE_1)
	s_and_saveexec_b32 s6, s1
	s_cbranch_execz .LBB1015_7
; %bb.6:
	v_ashrrev_i32_e32 v7, 31, v6
	s_delay_alu instid0(VALU_DEP_1) | instskip(NEXT) | instid1(VALU_DEP_1)
	v_lshlrev_b64 v[10:11], 3, v[6:7]
	v_add_co_u32 v10, s1, v12, v10
	s_delay_alu instid0(VALU_DEP_1)
	v_add_co_ci_u32_e64 v11, s1, v14, v11, s1
	global_store_b64 v[10:11], v[8:9], off
.LBB1015_7:
	s_or_b32 exec_lo, exec_lo, s6
	v_add_nc_u32_e32 v7, 16, v13
	s_delay_alu instid0(VALU_DEP_1) | instskip(SKIP_3) | instid1(VALU_DEP_4)
	v_ashrrev_i32_e32 v5, 31, v7
	v_mul_lo_u32 v10, v7, s5
	v_mad_u64_u32 v[8:9], null, v7, s4, 0
	v_cmp_le_i32_e64 s1, v7, v4
	v_mul_lo_u32 v5, v5, s4
	s_delay_alu instid0(VALU_DEP_1) | instskip(NEXT) | instid1(VALU_DEP_1)
	v_add3_u32 v9, v9, v10, v5
	v_lshlrev_b64 v[8:9], 3, v[8:9]
	s_delay_alu instid0(VALU_DEP_1) | instskip(NEXT) | instid1(VALU_DEP_1)
	v_add_co_u32 v8, s2, s2, v8
	v_add_co_ci_u32_e64 v9, s2, s3, v9, s2
	s_and_b32 s2, s1, vcc_lo
	s_delay_alu instid0(SALU_CYCLE_1)
	s_and_saveexec_b32 s1, s2
	s_cbranch_execz .LBB1015_9
; %bb.8:
	v_ashrrev_i32_e32 v5, 31, v4
	s_delay_alu instid0(VALU_DEP_1) | instskip(NEXT) | instid1(VALU_DEP_1)
	v_lshlrev_b64 v[4:5], 3, v[4:5]
	v_add_co_u32 v4, vcc_lo, v8, v4
	s_delay_alu instid0(VALU_DEP_2)
	v_add_co_ci_u32_e32 v5, vcc_lo, v9, v5, vcc_lo
	global_store_b64 v[4:5], v[2:3], off
.LBB1015_9:
	s_or_b32 exec_lo, exec_lo, s1
	v_cmp_le_i32_e32 vcc_lo, v7, v6
	s_and_b32 s0, vcc_lo, s0
	s_delay_alu instid0(SALU_CYCLE_1)
	s_and_saveexec_b32 s1, s0
	s_cbranch_execz .LBB1015_11
; %bb.10:
	v_ashrrev_i32_e32 v7, 31, v6
	s_delay_alu instid0(VALU_DEP_1) | instskip(NEXT) | instid1(VALU_DEP_1)
	v_lshlrev_b64 v[2:3], 3, v[6:7]
	v_add_co_u32 v2, vcc_lo, v8, v2
	s_delay_alu instid0(VALU_DEP_2)
	v_add_co_ci_u32_e32 v3, vcc_lo, v9, v3, vcc_lo
	global_store_b64 v[2:3], v[0:1], off
.LBB1015_11:
	s_nop 0
	s_sendmsg sendmsg(MSG_DEALLOC_VGPRS)
	s_endpgm
	.section	.rodata,"a",@progbits
	.p2align	6, 0x0
	.amdhsa_kernel _ZL37rocblas_syrkx_herkx_restricted_kernelIldLi16ELi32ELi8ELi1ELi0ELb0ELc84ELc76EKddEviT_PT9_S1_lS3_S1_lPT10_S1_li
		.amdhsa_group_segment_fixed_size 4096
		.amdhsa_private_segment_fixed_size 0
		.amdhsa_kernarg_size 92
		.amdhsa_user_sgpr_count 13
		.amdhsa_user_sgpr_dispatch_ptr 0
		.amdhsa_user_sgpr_queue_ptr 0
		.amdhsa_user_sgpr_kernarg_segment_ptr 1
		.amdhsa_user_sgpr_dispatch_id 0
		.amdhsa_user_sgpr_private_segment_size 0
		.amdhsa_wavefront_size32 1
		.amdhsa_uses_dynamic_stack 0
		.amdhsa_enable_private_segment 0
		.amdhsa_system_sgpr_workgroup_id_x 1
		.amdhsa_system_sgpr_workgroup_id_y 1
		.amdhsa_system_sgpr_workgroup_id_z 1
		.amdhsa_system_sgpr_workgroup_info 0
		.amdhsa_system_vgpr_workitem_id 1
		.amdhsa_next_free_vgpr 38
		.amdhsa_next_free_sgpr 32
		.amdhsa_reserve_vcc 1
		.amdhsa_float_round_mode_32 0
		.amdhsa_float_round_mode_16_64 0
		.amdhsa_float_denorm_mode_32 3
		.amdhsa_float_denorm_mode_16_64 3
		.amdhsa_dx10_clamp 1
		.amdhsa_ieee_mode 1
		.amdhsa_fp16_overflow 0
		.amdhsa_workgroup_processor_mode 1
		.amdhsa_memory_ordered 1
		.amdhsa_forward_progress 0
		.amdhsa_shared_vgpr_count 0
		.amdhsa_exception_fp_ieee_invalid_op 0
		.amdhsa_exception_fp_denorm_src 0
		.amdhsa_exception_fp_ieee_div_zero 0
		.amdhsa_exception_fp_ieee_overflow 0
		.amdhsa_exception_fp_ieee_underflow 0
		.amdhsa_exception_fp_ieee_inexact 0
		.amdhsa_exception_int_div_zero 0
	.end_amdhsa_kernel
	.section	.text._ZL37rocblas_syrkx_herkx_restricted_kernelIldLi16ELi32ELi8ELi1ELi0ELb0ELc84ELc76EKddEviT_PT9_S1_lS3_S1_lPT10_S1_li,"axG",@progbits,_ZL37rocblas_syrkx_herkx_restricted_kernelIldLi16ELi32ELi8ELi1ELi0ELb0ELc84ELc76EKddEviT_PT9_S1_lS3_S1_lPT10_S1_li,comdat
.Lfunc_end1015:
	.size	_ZL37rocblas_syrkx_herkx_restricted_kernelIldLi16ELi32ELi8ELi1ELi0ELb0ELc84ELc76EKddEviT_PT9_S1_lS3_S1_lPT10_S1_li, .Lfunc_end1015-_ZL37rocblas_syrkx_herkx_restricted_kernelIldLi16ELi32ELi8ELi1ELi0ELb0ELc84ELc76EKddEviT_PT9_S1_lS3_S1_lPT10_S1_li
                                        ; -- End function
	.section	.AMDGPU.csdata,"",@progbits
; Kernel info:
; codeLenInByte = 1444
; NumSgprs: 34
; NumVgprs: 38
; ScratchSize: 0
; MemoryBound: 0
; FloatMode: 240
; IeeeMode: 1
; LDSByteSize: 4096 bytes/workgroup (compile time only)
; SGPRBlocks: 4
; VGPRBlocks: 4
; NumSGPRsForWavesPerEU: 34
; NumVGPRsForWavesPerEU: 38
; Occupancy: 16
; WaveLimiterHint : 1
; COMPUTE_PGM_RSRC2:SCRATCH_EN: 0
; COMPUTE_PGM_RSRC2:USER_SGPR: 13
; COMPUTE_PGM_RSRC2:TRAP_HANDLER: 0
; COMPUTE_PGM_RSRC2:TGID_X_EN: 1
; COMPUTE_PGM_RSRC2:TGID_Y_EN: 1
; COMPUTE_PGM_RSRC2:TGID_Z_EN: 1
; COMPUTE_PGM_RSRC2:TIDIG_COMP_CNT: 1
	.section	.text._ZL37rocblas_syrkx_herkx_restricted_kernelIldLi16ELi32ELi8ELi1ELi0ELb0ELc67ELc76EKddEviT_PT9_S1_lS3_S1_lPT10_S1_li,"axG",@progbits,_ZL37rocblas_syrkx_herkx_restricted_kernelIldLi16ELi32ELi8ELi1ELi0ELb0ELc67ELc76EKddEviT_PT9_S1_lS3_S1_lPT10_S1_li,comdat
	.globl	_ZL37rocblas_syrkx_herkx_restricted_kernelIldLi16ELi32ELi8ELi1ELi0ELb0ELc67ELc76EKddEviT_PT9_S1_lS3_S1_lPT10_S1_li ; -- Begin function _ZL37rocblas_syrkx_herkx_restricted_kernelIldLi16ELi32ELi8ELi1ELi0ELb0ELc67ELc76EKddEviT_PT9_S1_lS3_S1_lPT10_S1_li
	.p2align	8
	.type	_ZL37rocblas_syrkx_herkx_restricted_kernelIldLi16ELi32ELi8ELi1ELi0ELb0ELc67ELc76EKddEviT_PT9_S1_lS3_S1_lPT10_S1_li,@function
_ZL37rocblas_syrkx_herkx_restricted_kernelIldLi16ELi32ELi8ELi1ELi0ELb0ELc67ELc76EKddEviT_PT9_S1_lS3_S1_lPT10_S1_li: ; @_ZL37rocblas_syrkx_herkx_restricted_kernelIldLi16ELi32ELi8ELi1ELi0ELb0ELc67ELc76EKddEviT_PT9_S1_lS3_S1_lPT10_S1_li
; %bb.0:
	s_load_b512 s[16:31], s[0:1], 0x8
	v_mov_b32_e32 v10, 0
	v_dual_mov_b32 v11, 0 :: v_dual_and_b32 v12, 0x3ff, v0
	v_bfe_u32 v13, v0, 10, 10
	s_delay_alu instid0(VALU_DEP_3) | instskip(NEXT) | instid1(VALU_DEP_3)
	v_mov_b32_e32 v8, v10
	v_dual_mov_b32 v2, v10 :: v_dual_mov_b32 v3, v11
	v_dual_mov_b32 v9, v11 :: v_dual_mov_b32 v0, v10
	v_mov_b32_e32 v1, v11
	s_lshl_b32 s8, s13, 5
	s_lshl_b32 s9, s14, 5
	s_waitcnt lgkmcnt(0)
	v_cmp_lt_i64_e64 s2, s[16:17], 1
	s_delay_alu instid0(VALU_DEP_1)
	s_and_b32 vcc_lo, exec_lo, s2
	s_cbranch_vccnz .LBB1016_3
; %bb.1:
	v_lshl_add_u32 v2, v13, 4, v12
	v_dual_mov_b32 v1, 0 :: v_dual_and_b32 v0, 7, v12
	v_lshlrev_b32_e32 v14, 3, v12
	s_mul_i32 s3, s23, s15
	s_delay_alu instid0(VALU_DEP_3)
	v_and_b32_e32 v8, 31, v2
	v_lshrrev_b32_e32 v9, 3, v2
	v_lshrrev_b32_e32 v2, 5, v2
	v_mov_b32_e32 v3, v1
	v_lshlrev_b32_e32 v11, 3, v0
	v_add_nc_u32_e32 v6, s8, v8
	v_add_nc_u32_e32 v10, s9, v9
	s_mul_hi_u32 s4, s22, s15
	s_mul_i32 s2, s22, s15
	s_add_i32 s3, s4, s3
	v_ashrrev_i32_e32 v7, 31, v6
	v_ashrrev_i32_e32 v15, 31, v10
	v_mad_u64_u32 v[4:5], null, s20, v6, v[2:3]
	v_mul_lo_u32 v3, s21, v6
	s_delay_alu instid0(VALU_DEP_4)
	v_mul_lo_u32 v16, s20, v7
	v_mul_lo_u32 v17, v10, s27
	v_mad_u64_u32 v[6:7], null, v10, s26, v[0:1]
	v_mul_lo_u32 v0, v15, s26
	v_lshlrev_b32_e32 v1, 3, v8
	s_lshl_b64 s[2:3], s[2:3], 3
	s_mul_hi_u32 s5, s28, s15
	v_add3_u32 v5, v3, v5, v16
	s_add_u32 s4, s18, s2
	v_lshl_or_b32 v15, v2, 8, v1
	s_mul_i32 s2, s29, s15
	v_add3_u32 v7, v0, v7, v17
	v_lshlrev_b64 v[0:1], 3, v[4:5]
	s_addc_u32 s6, s19, s3
	s_add_i32 s3, s5, s2
	s_mul_i32 s2, s28, s15
	v_lshlrev_b64 v[2:3], 3, v[6:7]
	s_lshl_b64 s[2:3], s[2:3], 3
	v_add_co_u32 v4, vcc_lo, s4, v0
	v_add_co_ci_u32_e32 v5, vcc_lo, s6, v1, vcc_lo
	v_mov_b32_e32 v0, 0
	v_lshl_or_b32 v8, v9, 6, v11
	v_mov_b32_e32 v1, 0
	s_add_u32 s2, s24, s2
	s_addc_u32 s3, s25, s3
	v_add_co_u32 v6, vcc_lo, s2, v2
	s_delay_alu instid0(VALU_DEP_2)
	v_dual_mov_b32 v11, v1 :: v_dual_add_nc_u32 v16, 0x800, v8
	v_add_co_ci_u32_e32 v7, vcc_lo, s3, v3, vcc_lo
	v_mov_b32_e32 v3, v1
	v_mov_b32_e32 v9, v1
	v_lshl_add_u32 v17, v13, 6, 0x800
	v_mov_b32_e32 v2, v0
	v_mov_b32_e32 v8, v0
	;; [unrolled: 1-line block ×3, first 2 shown]
	s_mov_b64 s[2:3], 0
.LBB1016_2:                             ; =>This Inner Loop Header: Depth=1
	global_load_b64 v[18:19], v[4:5], off
	global_load_b64 v[20:21], v[6:7], off
	s_add_u32 s2, s2, 8
	v_add_co_u32 v4, vcc_lo, v4, 64
	s_addc_u32 s3, s3, 0
	v_add_co_ci_u32_e32 v5, vcc_lo, 0, v5, vcc_lo
	v_cmp_ge_u64_e64 s4, s[2:3], s[16:17]
	v_add_co_u32 v6, vcc_lo, v6, 64
	v_add_co_ci_u32_e32 v7, vcc_lo, 0, v7, vcc_lo
	s_waitcnt vmcnt(1)
	ds_store_b64 v15, v[18:19]
	s_waitcnt vmcnt(0)
	ds_store_b64 v16, v[20:21]
	s_waitcnt lgkmcnt(0)
	s_barrier
	buffer_gl0_inv
	ds_load_2addr_b64 v[18:21], v14 offset1:16
	ds_load_b128 v[22:25], v17
	ds_load_b128 v[26:29], v17 offset:1024
	ds_load_b128 v[30:33], v17 offset:16
	ds_load_b128 v[34:37], v17 offset:1040
	s_and_b32 vcc_lo, exec_lo, s4
	s_waitcnt lgkmcnt(3)
	v_fma_f64 v[10:11], v[18:19], v[22:23], v[10:11]
	v_fma_f64 v[8:9], v[20:21], v[22:23], v[8:9]
	s_waitcnt lgkmcnt(2)
	v_fma_f64 v[18:19], v[18:19], v[26:27], v[2:3]
	v_fma_f64 v[20:21], v[20:21], v[26:27], v[0:1]
	ds_load_2addr_b64 v[0:3], v14 offset0:32 offset1:48
	s_waitcnt lgkmcnt(0)
	v_fma_f64 v[10:11], v[0:1], v[24:25], v[10:11]
	v_fma_f64 v[8:9], v[2:3], v[24:25], v[8:9]
	v_fma_f64 v[18:19], v[0:1], v[28:29], v[18:19]
	v_fma_f64 v[20:21], v[2:3], v[28:29], v[20:21]
	ds_load_2addr_b64 v[0:3], v14 offset0:64 offset1:80
	s_waitcnt lgkmcnt(0)
	v_fma_f64 v[10:11], v[0:1], v[30:31], v[10:11]
	v_fma_f64 v[8:9], v[2:3], v[30:31], v[8:9]
	;; [unrolled: 6-line block ×3, first 2 shown]
	v_fma_f64 v[34:35], v[0:1], v[36:37], v[18:19]
	v_fma_f64 v[36:37], v[2:3], v[36:37], v[20:21]
	ds_load_2addr_b64 v[0:3], v14 offset0:128 offset1:144
	ds_load_b128 v[8:11], v17 offset:32
	ds_load_b128 v[18:21], v17 offset:1056
	;; [unrolled: 1-line block ×4, first 2 shown]
	s_waitcnt lgkmcnt(3)
	v_fma_f64 v[30:31], v[0:1], v[8:9], v[30:31]
	v_fma_f64 v[8:9], v[2:3], v[8:9], v[32:33]
	s_waitcnt lgkmcnt(2)
	v_fma_f64 v[32:33], v[0:1], v[18:19], v[34:35]
	v_fma_f64 v[18:19], v[2:3], v[18:19], v[36:37]
	ds_load_2addr_b64 v[0:3], v14 offset0:160 offset1:176
	s_waitcnt lgkmcnt(0)
	v_fma_f64 v[30:31], v[0:1], v[10:11], v[30:31]
	v_fma_f64 v[8:9], v[2:3], v[10:11], v[8:9]
	v_fma_f64 v[10:11], v[0:1], v[20:21], v[32:33]
	v_fma_f64 v[18:19], v[2:3], v[20:21], v[18:19]
	ds_load_2addr_b64 v[0:3], v14 offset0:192 offset1:208
	s_waitcnt lgkmcnt(0)
	v_fma_f64 v[30:31], v[0:1], v[22:23], v[30:31]
	v_fma_f64 v[8:9], v[2:3], v[22:23], v[8:9]
	;; [unrolled: 1-line block ×4, first 2 shown]
	ds_load_2addr_b64 v[18:21], v14 offset0:224 offset1:240
	s_waitcnt lgkmcnt(0)
	s_barrier
	buffer_gl0_inv
	v_fma_f64 v[10:11], v[18:19], v[24:25], v[30:31]
	v_fma_f64 v[8:9], v[20:21], v[24:25], v[8:9]
	;; [unrolled: 1-line block ×4, first 2 shown]
	s_cbranch_vccz .LBB1016_2
.LBB1016_3:
	s_load_b128 s[4:7], s[0:1], 0x48
	v_add_nc_u32_e32 v13, s9, v13
	s_load_b32 s9, s[0:1], 0x0
	s_delay_alu instid0(VALU_DEP_1) | instskip(SKIP_1) | instid1(VALU_DEP_1)
	v_ashrrev_i32_e32 v4, 31, v13
	s_waitcnt lgkmcnt(0)
	v_mul_lo_u32 v7, v4, s4
	v_mul_lo_u32 v14, v13, s5
	v_mad_u64_u32 v[5:6], null, v13, s4, 0
	s_mul_i32 s1, s15, s7
	s_mul_hi_u32 s3, s15, s6
	s_mul_i32 s2, s15, s6
	s_add_i32 s3, s3, s1
	v_add_nc_u32_e32 v4, s8, v12
	s_lshl_b64 s[2:3], s[2:3], 3
	s_delay_alu instid0(VALU_DEP_2)
	v_add3_u32 v6, v6, v14, v7
	s_add_u32 s2, s30, s2
	s_addc_u32 s3, s31, s3
	v_cmp_le_i32_e64 s0, v13, v4
	v_cmp_gt_i32_e32 vcc_lo, s9, v4
	v_lshlrev_b64 v[5:6], 3, v[5:6]
	s_delay_alu instid0(VALU_DEP_3) | instskip(NEXT) | instid1(VALU_DEP_1)
	s_and_b32 s0, s0, vcc_lo
	v_add_co_u32 v12, s1, s2, v5
	s_delay_alu instid0(VALU_DEP_1)
	v_add_co_ci_u32_e64 v14, s1, s3, v6, s1
	s_and_saveexec_b32 s1, s0
	s_cbranch_execz .LBB1016_5
; %bb.4:
	v_ashrrev_i32_e32 v5, 31, v4
	s_delay_alu instid0(VALU_DEP_1) | instskip(NEXT) | instid1(VALU_DEP_1)
	v_lshlrev_b64 v[5:6], 3, v[4:5]
	v_add_co_u32 v5, s0, v12, v5
	s_delay_alu instid0(VALU_DEP_1)
	v_add_co_ci_u32_e64 v6, s0, v14, v6, s0
	global_store_b64 v[5:6], v[10:11], off
.LBB1016_5:
	s_or_b32 exec_lo, exec_lo, s1
	v_add_nc_u32_e32 v6, 16, v4
	s_delay_alu instid0(VALU_DEP_1) | instskip(SKIP_1) | instid1(VALU_DEP_1)
	v_cmp_le_i32_e64 s1, v13, v6
	v_cmp_gt_i32_e64 s0, s9, v6
	s_and_b32 s1, s1, s0
	s_delay_alu instid0(SALU_CYCLE_1)
	s_and_saveexec_b32 s6, s1
	s_cbranch_execz .LBB1016_7
; %bb.6:
	v_ashrrev_i32_e32 v7, 31, v6
	s_delay_alu instid0(VALU_DEP_1) | instskip(NEXT) | instid1(VALU_DEP_1)
	v_lshlrev_b64 v[10:11], 3, v[6:7]
	v_add_co_u32 v10, s1, v12, v10
	s_delay_alu instid0(VALU_DEP_1)
	v_add_co_ci_u32_e64 v11, s1, v14, v11, s1
	global_store_b64 v[10:11], v[8:9], off
.LBB1016_7:
	s_or_b32 exec_lo, exec_lo, s6
	v_add_nc_u32_e32 v7, 16, v13
	s_delay_alu instid0(VALU_DEP_1) | instskip(SKIP_3) | instid1(VALU_DEP_4)
	v_ashrrev_i32_e32 v5, 31, v7
	v_mul_lo_u32 v10, v7, s5
	v_mad_u64_u32 v[8:9], null, v7, s4, 0
	v_cmp_le_i32_e64 s1, v7, v4
	v_mul_lo_u32 v5, v5, s4
	s_delay_alu instid0(VALU_DEP_1) | instskip(NEXT) | instid1(VALU_DEP_1)
	v_add3_u32 v9, v9, v10, v5
	v_lshlrev_b64 v[8:9], 3, v[8:9]
	s_delay_alu instid0(VALU_DEP_1) | instskip(NEXT) | instid1(VALU_DEP_1)
	v_add_co_u32 v8, s2, s2, v8
	v_add_co_ci_u32_e64 v9, s2, s3, v9, s2
	s_and_b32 s2, s1, vcc_lo
	s_delay_alu instid0(SALU_CYCLE_1)
	s_and_saveexec_b32 s1, s2
	s_cbranch_execz .LBB1016_9
; %bb.8:
	v_ashrrev_i32_e32 v5, 31, v4
	s_delay_alu instid0(VALU_DEP_1) | instskip(NEXT) | instid1(VALU_DEP_1)
	v_lshlrev_b64 v[4:5], 3, v[4:5]
	v_add_co_u32 v4, vcc_lo, v8, v4
	s_delay_alu instid0(VALU_DEP_2)
	v_add_co_ci_u32_e32 v5, vcc_lo, v9, v5, vcc_lo
	global_store_b64 v[4:5], v[2:3], off
.LBB1016_9:
	s_or_b32 exec_lo, exec_lo, s1
	v_cmp_le_i32_e32 vcc_lo, v7, v6
	s_and_b32 s0, vcc_lo, s0
	s_delay_alu instid0(SALU_CYCLE_1)
	s_and_saveexec_b32 s1, s0
	s_cbranch_execz .LBB1016_11
; %bb.10:
	v_ashrrev_i32_e32 v7, 31, v6
	s_delay_alu instid0(VALU_DEP_1) | instskip(NEXT) | instid1(VALU_DEP_1)
	v_lshlrev_b64 v[2:3], 3, v[6:7]
	v_add_co_u32 v2, vcc_lo, v8, v2
	s_delay_alu instid0(VALU_DEP_2)
	v_add_co_ci_u32_e32 v3, vcc_lo, v9, v3, vcc_lo
	global_store_b64 v[2:3], v[0:1], off
.LBB1016_11:
	s_nop 0
	s_sendmsg sendmsg(MSG_DEALLOC_VGPRS)
	s_endpgm
	.section	.rodata,"a",@progbits
	.p2align	6, 0x0
	.amdhsa_kernel _ZL37rocblas_syrkx_herkx_restricted_kernelIldLi16ELi32ELi8ELi1ELi0ELb0ELc67ELc76EKddEviT_PT9_S1_lS3_S1_lPT10_S1_li
		.amdhsa_group_segment_fixed_size 4096
		.amdhsa_private_segment_fixed_size 0
		.amdhsa_kernarg_size 92
		.amdhsa_user_sgpr_count 13
		.amdhsa_user_sgpr_dispatch_ptr 0
		.amdhsa_user_sgpr_queue_ptr 0
		.amdhsa_user_sgpr_kernarg_segment_ptr 1
		.amdhsa_user_sgpr_dispatch_id 0
		.amdhsa_user_sgpr_private_segment_size 0
		.amdhsa_wavefront_size32 1
		.amdhsa_uses_dynamic_stack 0
		.amdhsa_enable_private_segment 0
		.amdhsa_system_sgpr_workgroup_id_x 1
		.amdhsa_system_sgpr_workgroup_id_y 1
		.amdhsa_system_sgpr_workgroup_id_z 1
		.amdhsa_system_sgpr_workgroup_info 0
		.amdhsa_system_vgpr_workitem_id 1
		.amdhsa_next_free_vgpr 38
		.amdhsa_next_free_sgpr 32
		.amdhsa_reserve_vcc 1
		.amdhsa_float_round_mode_32 0
		.amdhsa_float_round_mode_16_64 0
		.amdhsa_float_denorm_mode_32 3
		.amdhsa_float_denorm_mode_16_64 3
		.amdhsa_dx10_clamp 1
		.amdhsa_ieee_mode 1
		.amdhsa_fp16_overflow 0
		.amdhsa_workgroup_processor_mode 1
		.amdhsa_memory_ordered 1
		.amdhsa_forward_progress 0
		.amdhsa_shared_vgpr_count 0
		.amdhsa_exception_fp_ieee_invalid_op 0
		.amdhsa_exception_fp_denorm_src 0
		.amdhsa_exception_fp_ieee_div_zero 0
		.amdhsa_exception_fp_ieee_overflow 0
		.amdhsa_exception_fp_ieee_underflow 0
		.amdhsa_exception_fp_ieee_inexact 0
		.amdhsa_exception_int_div_zero 0
	.end_amdhsa_kernel
	.section	.text._ZL37rocblas_syrkx_herkx_restricted_kernelIldLi16ELi32ELi8ELi1ELi0ELb0ELc67ELc76EKddEviT_PT9_S1_lS3_S1_lPT10_S1_li,"axG",@progbits,_ZL37rocblas_syrkx_herkx_restricted_kernelIldLi16ELi32ELi8ELi1ELi0ELb0ELc67ELc76EKddEviT_PT9_S1_lS3_S1_lPT10_S1_li,comdat
.Lfunc_end1016:
	.size	_ZL37rocblas_syrkx_herkx_restricted_kernelIldLi16ELi32ELi8ELi1ELi0ELb0ELc67ELc76EKddEviT_PT9_S1_lS3_S1_lPT10_S1_li, .Lfunc_end1016-_ZL37rocblas_syrkx_herkx_restricted_kernelIldLi16ELi32ELi8ELi1ELi0ELb0ELc67ELc76EKddEviT_PT9_S1_lS3_S1_lPT10_S1_li
                                        ; -- End function
	.section	.AMDGPU.csdata,"",@progbits
; Kernel info:
; codeLenInByte = 1444
; NumSgprs: 34
; NumVgprs: 38
; ScratchSize: 0
; MemoryBound: 0
; FloatMode: 240
; IeeeMode: 1
; LDSByteSize: 4096 bytes/workgroup (compile time only)
; SGPRBlocks: 4
; VGPRBlocks: 4
; NumSGPRsForWavesPerEU: 34
; NumVGPRsForWavesPerEU: 38
; Occupancy: 16
; WaveLimiterHint : 1
; COMPUTE_PGM_RSRC2:SCRATCH_EN: 0
; COMPUTE_PGM_RSRC2:USER_SGPR: 13
; COMPUTE_PGM_RSRC2:TRAP_HANDLER: 0
; COMPUTE_PGM_RSRC2:TGID_X_EN: 1
; COMPUTE_PGM_RSRC2:TGID_Y_EN: 1
; COMPUTE_PGM_RSRC2:TGID_Z_EN: 1
; COMPUTE_PGM_RSRC2:TIDIG_COMP_CNT: 1
	.section	.text._ZL37rocblas_syrkx_herkx_restricted_kernelIldLi16ELi32ELi8ELi1ELi0ELb0ELc78ELc76EKddEviT_PT9_S1_lS3_S1_lPT10_S1_li,"axG",@progbits,_ZL37rocblas_syrkx_herkx_restricted_kernelIldLi16ELi32ELi8ELi1ELi0ELb0ELc78ELc76EKddEviT_PT9_S1_lS3_S1_lPT10_S1_li,comdat
	.globl	_ZL37rocblas_syrkx_herkx_restricted_kernelIldLi16ELi32ELi8ELi1ELi0ELb0ELc78ELc76EKddEviT_PT9_S1_lS3_S1_lPT10_S1_li ; -- Begin function _ZL37rocblas_syrkx_herkx_restricted_kernelIldLi16ELi32ELi8ELi1ELi0ELb0ELc78ELc76EKddEviT_PT9_S1_lS3_S1_lPT10_S1_li
	.p2align	8
	.type	_ZL37rocblas_syrkx_herkx_restricted_kernelIldLi16ELi32ELi8ELi1ELi0ELb0ELc78ELc76EKddEviT_PT9_S1_lS3_S1_lPT10_S1_li,@function
_ZL37rocblas_syrkx_herkx_restricted_kernelIldLi16ELi32ELi8ELi1ELi0ELb0ELc78ELc76EKddEviT_PT9_S1_lS3_S1_lPT10_S1_li: ; @_ZL37rocblas_syrkx_herkx_restricted_kernelIldLi16ELi32ELi8ELi1ELi0ELb0ELc78ELc76EKddEviT_PT9_S1_lS3_S1_lPT10_S1_li
; %bb.0:
	s_load_b512 s[16:31], s[0:1], 0x8
	v_mov_b32_e32 v10, 0
	v_dual_mov_b32 v11, 0 :: v_dual_and_b32 v12, 0x3ff, v0
	v_bfe_u32 v13, v0, 10, 10
	s_delay_alu instid0(VALU_DEP_3) | instskip(NEXT) | instid1(VALU_DEP_3)
	v_mov_b32_e32 v8, v10
	v_dual_mov_b32 v2, v10 :: v_dual_mov_b32 v3, v11
	v_dual_mov_b32 v9, v11 :: v_dual_mov_b32 v0, v10
	v_mov_b32_e32 v1, v11
	s_lshl_b32 s8, s13, 5
	s_lshl_b32 s9, s14, 5
	s_waitcnt lgkmcnt(0)
	v_cmp_lt_i64_e64 s2, s[16:17], 1
	s_delay_alu instid0(VALU_DEP_1)
	s_and_b32 vcc_lo, exec_lo, s2
	s_cbranch_vccnz .LBB1017_3
; %bb.1:
	v_lshl_add_u32 v1, v13, 4, v12
	v_and_b32_e32 v11, 7, v12
	s_mul_i32 s3, s23, s15
	s_mul_hi_u32 s5, s22, s15
	s_mul_i32 s2, s22, s15
	v_and_b32_e32 v10, 31, v1
	v_lshrrev_b32_e32 v16, 3, v1
	v_lshrrev_b32_e32 v17, 5, v1
	s_add_i32 s3, s5, s3
	s_mul_i32 s6, s29, s15
	v_add_nc_u32_e32 v0, s8, v10
	v_add_nc_u32_e32 v2, s9, v16
	s_lshl_b64 s[2:3], s[2:3], 3
	s_mul_hi_u32 s7, s28, s15
	s_add_u32 s10, s18, s2
	v_ashrrev_i32_e32 v1, 31, v0
	v_ashrrev_i32_e32 v3, 31, v2
	s_mul_i32 s4, s28, s15
	s_addc_u32 s11, s19, s3
	s_add_i32 s5, s7, s6
	v_mad_u64_u32 v[4:5], null, v17, s20, v[0:1]
	v_mov_b32_e32 v0, 0
	v_mad_u64_u32 v[6:7], null, v11, s26, v[2:3]
	v_dual_mov_b32 v1, 0 :: v_dual_lshlrev_b32 v14, 3, v12
	v_lshlrev_b32_e32 v18, 3, v11
	v_mov_b32_e32 v2, v5
	s_lshl_b64 s[4:5], s[4:5], 3
	s_lshl_b64 s[2:3], s[20:21], 6
	s_delay_alu instid0(VALU_DEP_4)
	v_mov_b32_e32 v3, v7
	s_add_u32 s4, s24, s4
	s_addc_u32 s5, s25, s5
	v_lshl_add_u32 v15, v13, 6, 0x800
	s_mov_b64 s[6:7], 0
	v_mad_u64_u32 v[7:8], null, v17, s21, v[2:3]
	v_mad_u64_u32 v[8:9], null, v11, s27, v[3:4]
	v_lshlrev_b32_e32 v9, 3, v10
	s_delay_alu instid0(VALU_DEP_3) | instskip(NEXT) | instid1(VALU_DEP_3)
	v_mov_b32_e32 v5, v7
	v_mov_b32_e32 v7, v8
	s_delay_alu instid0(VALU_DEP_2) | instskip(NEXT) | instid1(VALU_DEP_2)
	v_lshlrev_b64 v[2:3], 3, v[4:5]
	v_lshlrev_b64 v[6:7], 3, v[6:7]
	s_delay_alu instid0(VALU_DEP_2) | instskip(NEXT) | instid1(VALU_DEP_3)
	v_add_co_u32 v4, vcc_lo, s10, v2
	v_add_co_ci_u32_e32 v5, vcc_lo, s11, v3, vcc_lo
	v_mov_b32_e32 v3, v1
	v_lshl_or_b32 v10, v16, 6, v18
	v_add_co_u32 v6, vcc_lo, s4, v6
	v_lshl_or_b32 v16, v17, 8, v9
	v_add_co_ci_u32_e32 v7, vcc_lo, s5, v7, vcc_lo
	s_delay_alu instid0(VALU_DEP_4)
	v_dual_mov_b32 v2, v0 :: v_dual_add_nc_u32 v17, 0x800, v10
	v_dual_mov_b32 v9, v1 :: v_dual_mov_b32 v8, v0
	v_dual_mov_b32 v11, v1 :: v_dual_mov_b32 v10, v0
	s_lshl_b64 s[4:5], s[26:27], 6
.LBB1017_2:                             ; =>This Inner Loop Header: Depth=1
	global_load_b64 v[18:19], v[4:5], off
	global_load_b64 v[20:21], v[6:7], off
	s_add_u32 s6, s6, 8
	v_add_co_u32 v4, vcc_lo, v4, s2
	s_addc_u32 s7, s7, 0
	v_add_co_ci_u32_e32 v5, vcc_lo, s3, v5, vcc_lo
	v_cmp_ge_u64_e64 s10, s[6:7], s[16:17]
	v_add_co_u32 v6, vcc_lo, v6, s4
	v_add_co_ci_u32_e32 v7, vcc_lo, s5, v7, vcc_lo
	s_waitcnt vmcnt(1)
	ds_store_b64 v16, v[18:19]
	s_waitcnt vmcnt(0)
	ds_store_b64 v17, v[20:21]
	s_waitcnt lgkmcnt(0)
	s_barrier
	buffer_gl0_inv
	ds_load_2addr_b64 v[18:21], v14 offset1:16
	ds_load_b128 v[22:25], v15
	ds_load_b128 v[26:29], v15 offset:1024
	ds_load_b128 v[30:33], v15 offset:16
	;; [unrolled: 1-line block ×3, first 2 shown]
	s_and_b32 vcc_lo, exec_lo, s10
	s_waitcnt lgkmcnt(3)
	v_fma_f64 v[10:11], v[18:19], v[22:23], v[10:11]
	v_fma_f64 v[8:9], v[20:21], v[22:23], v[8:9]
	s_waitcnt lgkmcnt(2)
	v_fma_f64 v[18:19], v[18:19], v[26:27], v[2:3]
	v_fma_f64 v[20:21], v[20:21], v[26:27], v[0:1]
	ds_load_2addr_b64 v[0:3], v14 offset0:32 offset1:48
	s_waitcnt lgkmcnt(0)
	v_fma_f64 v[10:11], v[0:1], v[24:25], v[10:11]
	v_fma_f64 v[8:9], v[2:3], v[24:25], v[8:9]
	v_fma_f64 v[18:19], v[0:1], v[28:29], v[18:19]
	v_fma_f64 v[20:21], v[2:3], v[28:29], v[20:21]
	ds_load_2addr_b64 v[0:3], v14 offset0:64 offset1:80
	s_waitcnt lgkmcnt(0)
	v_fma_f64 v[10:11], v[0:1], v[30:31], v[10:11]
	v_fma_f64 v[8:9], v[2:3], v[30:31], v[8:9]
	v_fma_f64 v[18:19], v[0:1], v[34:35], v[18:19]
	v_fma_f64 v[20:21], v[2:3], v[34:35], v[20:21]
	ds_load_2addr_b64 v[0:3], v14 offset0:96 offset1:112
	s_waitcnt lgkmcnt(0)
	v_fma_f64 v[30:31], v[0:1], v[32:33], v[10:11]
	v_fma_f64 v[32:33], v[2:3], v[32:33], v[8:9]
	v_fma_f64 v[34:35], v[0:1], v[36:37], v[18:19]
	v_fma_f64 v[36:37], v[2:3], v[36:37], v[20:21]
	ds_load_2addr_b64 v[0:3], v14 offset0:128 offset1:144
	ds_load_b128 v[8:11], v15 offset:32
	ds_load_b128 v[18:21], v15 offset:1056
	;; [unrolled: 1-line block ×4, first 2 shown]
	s_waitcnt lgkmcnt(3)
	v_fma_f64 v[30:31], v[0:1], v[8:9], v[30:31]
	v_fma_f64 v[8:9], v[2:3], v[8:9], v[32:33]
	s_waitcnt lgkmcnt(2)
	v_fma_f64 v[32:33], v[0:1], v[18:19], v[34:35]
	v_fma_f64 v[18:19], v[2:3], v[18:19], v[36:37]
	ds_load_2addr_b64 v[0:3], v14 offset0:160 offset1:176
	s_waitcnt lgkmcnt(0)
	v_fma_f64 v[30:31], v[0:1], v[10:11], v[30:31]
	v_fma_f64 v[8:9], v[2:3], v[10:11], v[8:9]
	v_fma_f64 v[10:11], v[0:1], v[20:21], v[32:33]
	v_fma_f64 v[18:19], v[2:3], v[20:21], v[18:19]
	ds_load_2addr_b64 v[0:3], v14 offset0:192 offset1:208
	s_waitcnt lgkmcnt(0)
	v_fma_f64 v[30:31], v[0:1], v[22:23], v[30:31]
	v_fma_f64 v[8:9], v[2:3], v[22:23], v[8:9]
	;; [unrolled: 1-line block ×4, first 2 shown]
	ds_load_2addr_b64 v[18:21], v14 offset0:224 offset1:240
	s_waitcnt lgkmcnt(0)
	s_barrier
	buffer_gl0_inv
	v_fma_f64 v[10:11], v[18:19], v[24:25], v[30:31]
	v_fma_f64 v[8:9], v[20:21], v[24:25], v[8:9]
	;; [unrolled: 1-line block ×4, first 2 shown]
	s_cbranch_vccz .LBB1017_2
.LBB1017_3:
	s_load_b128 s[4:7], s[0:1], 0x48
	v_add_nc_u32_e32 v13, s9, v13
	s_load_b32 s9, s[0:1], 0x0
	s_delay_alu instid0(VALU_DEP_1) | instskip(SKIP_1) | instid1(VALU_DEP_1)
	v_ashrrev_i32_e32 v4, 31, v13
	s_waitcnt lgkmcnt(0)
	v_mul_lo_u32 v7, v4, s4
	v_mul_lo_u32 v14, v13, s5
	v_mad_u64_u32 v[5:6], null, v13, s4, 0
	s_mul_i32 s1, s15, s7
	s_mul_hi_u32 s3, s15, s6
	s_mul_i32 s2, s15, s6
	s_add_i32 s3, s3, s1
	v_add_nc_u32_e32 v4, s8, v12
	s_lshl_b64 s[2:3], s[2:3], 3
	s_delay_alu instid0(VALU_DEP_2)
	v_add3_u32 v6, v6, v14, v7
	s_add_u32 s2, s30, s2
	s_addc_u32 s3, s31, s3
	v_cmp_le_i32_e64 s0, v13, v4
	v_cmp_gt_i32_e32 vcc_lo, s9, v4
	v_lshlrev_b64 v[5:6], 3, v[5:6]
	s_delay_alu instid0(VALU_DEP_3) | instskip(NEXT) | instid1(VALU_DEP_1)
	s_and_b32 s0, s0, vcc_lo
	v_add_co_u32 v12, s1, s2, v5
	s_delay_alu instid0(VALU_DEP_1)
	v_add_co_ci_u32_e64 v14, s1, s3, v6, s1
	s_and_saveexec_b32 s1, s0
	s_cbranch_execz .LBB1017_5
; %bb.4:
	v_ashrrev_i32_e32 v5, 31, v4
	s_delay_alu instid0(VALU_DEP_1) | instskip(NEXT) | instid1(VALU_DEP_1)
	v_lshlrev_b64 v[5:6], 3, v[4:5]
	v_add_co_u32 v5, s0, v12, v5
	s_delay_alu instid0(VALU_DEP_1)
	v_add_co_ci_u32_e64 v6, s0, v14, v6, s0
	global_store_b64 v[5:6], v[10:11], off
.LBB1017_5:
	s_or_b32 exec_lo, exec_lo, s1
	v_add_nc_u32_e32 v6, 16, v4
	s_delay_alu instid0(VALU_DEP_1) | instskip(SKIP_1) | instid1(VALU_DEP_1)
	v_cmp_le_i32_e64 s1, v13, v6
	v_cmp_gt_i32_e64 s0, s9, v6
	s_and_b32 s1, s1, s0
	s_delay_alu instid0(SALU_CYCLE_1)
	s_and_saveexec_b32 s6, s1
	s_cbranch_execz .LBB1017_7
; %bb.6:
	v_ashrrev_i32_e32 v7, 31, v6
	s_delay_alu instid0(VALU_DEP_1) | instskip(NEXT) | instid1(VALU_DEP_1)
	v_lshlrev_b64 v[10:11], 3, v[6:7]
	v_add_co_u32 v10, s1, v12, v10
	s_delay_alu instid0(VALU_DEP_1)
	v_add_co_ci_u32_e64 v11, s1, v14, v11, s1
	global_store_b64 v[10:11], v[8:9], off
.LBB1017_7:
	s_or_b32 exec_lo, exec_lo, s6
	v_add_nc_u32_e32 v7, 16, v13
	s_delay_alu instid0(VALU_DEP_1) | instskip(SKIP_3) | instid1(VALU_DEP_4)
	v_ashrrev_i32_e32 v5, 31, v7
	v_mul_lo_u32 v10, v7, s5
	v_mad_u64_u32 v[8:9], null, v7, s4, 0
	v_cmp_le_i32_e64 s1, v7, v4
	v_mul_lo_u32 v5, v5, s4
	s_delay_alu instid0(VALU_DEP_1) | instskip(NEXT) | instid1(VALU_DEP_1)
	v_add3_u32 v9, v9, v10, v5
	v_lshlrev_b64 v[8:9], 3, v[8:9]
	s_delay_alu instid0(VALU_DEP_1) | instskip(NEXT) | instid1(VALU_DEP_1)
	v_add_co_u32 v8, s2, s2, v8
	v_add_co_ci_u32_e64 v9, s2, s3, v9, s2
	s_and_b32 s2, s1, vcc_lo
	s_delay_alu instid0(SALU_CYCLE_1)
	s_and_saveexec_b32 s1, s2
	s_cbranch_execz .LBB1017_9
; %bb.8:
	v_ashrrev_i32_e32 v5, 31, v4
	s_delay_alu instid0(VALU_DEP_1) | instskip(NEXT) | instid1(VALU_DEP_1)
	v_lshlrev_b64 v[4:5], 3, v[4:5]
	v_add_co_u32 v4, vcc_lo, v8, v4
	s_delay_alu instid0(VALU_DEP_2)
	v_add_co_ci_u32_e32 v5, vcc_lo, v9, v5, vcc_lo
	global_store_b64 v[4:5], v[2:3], off
.LBB1017_9:
	s_or_b32 exec_lo, exec_lo, s1
	v_cmp_le_i32_e32 vcc_lo, v7, v6
	s_and_b32 s0, vcc_lo, s0
	s_delay_alu instid0(SALU_CYCLE_1)
	s_and_saveexec_b32 s1, s0
	s_cbranch_execz .LBB1017_11
; %bb.10:
	v_ashrrev_i32_e32 v7, 31, v6
	s_delay_alu instid0(VALU_DEP_1) | instskip(NEXT) | instid1(VALU_DEP_1)
	v_lshlrev_b64 v[2:3], 3, v[6:7]
	v_add_co_u32 v2, vcc_lo, v8, v2
	s_delay_alu instid0(VALU_DEP_2)
	v_add_co_ci_u32_e32 v3, vcc_lo, v9, v3, vcc_lo
	global_store_b64 v[2:3], v[0:1], off
.LBB1017_11:
	s_nop 0
	s_sendmsg sendmsg(MSG_DEALLOC_VGPRS)
	s_endpgm
	.section	.rodata,"a",@progbits
	.p2align	6, 0x0
	.amdhsa_kernel _ZL37rocblas_syrkx_herkx_restricted_kernelIldLi16ELi32ELi8ELi1ELi0ELb0ELc78ELc76EKddEviT_PT9_S1_lS3_S1_lPT10_S1_li
		.amdhsa_group_segment_fixed_size 4096
		.amdhsa_private_segment_fixed_size 0
		.amdhsa_kernarg_size 92
		.amdhsa_user_sgpr_count 13
		.amdhsa_user_sgpr_dispatch_ptr 0
		.amdhsa_user_sgpr_queue_ptr 0
		.amdhsa_user_sgpr_kernarg_segment_ptr 1
		.amdhsa_user_sgpr_dispatch_id 0
		.amdhsa_user_sgpr_private_segment_size 0
		.amdhsa_wavefront_size32 1
		.amdhsa_uses_dynamic_stack 0
		.amdhsa_enable_private_segment 0
		.amdhsa_system_sgpr_workgroup_id_x 1
		.amdhsa_system_sgpr_workgroup_id_y 1
		.amdhsa_system_sgpr_workgroup_id_z 1
		.amdhsa_system_sgpr_workgroup_info 0
		.amdhsa_system_vgpr_workitem_id 1
		.amdhsa_next_free_vgpr 38
		.amdhsa_next_free_sgpr 32
		.amdhsa_reserve_vcc 1
		.amdhsa_float_round_mode_32 0
		.amdhsa_float_round_mode_16_64 0
		.amdhsa_float_denorm_mode_32 3
		.amdhsa_float_denorm_mode_16_64 3
		.amdhsa_dx10_clamp 1
		.amdhsa_ieee_mode 1
		.amdhsa_fp16_overflow 0
		.amdhsa_workgroup_processor_mode 1
		.amdhsa_memory_ordered 1
		.amdhsa_forward_progress 0
		.amdhsa_shared_vgpr_count 0
		.amdhsa_exception_fp_ieee_invalid_op 0
		.amdhsa_exception_fp_denorm_src 0
		.amdhsa_exception_fp_ieee_div_zero 0
		.amdhsa_exception_fp_ieee_overflow 0
		.amdhsa_exception_fp_ieee_underflow 0
		.amdhsa_exception_fp_ieee_inexact 0
		.amdhsa_exception_int_div_zero 0
	.end_amdhsa_kernel
	.section	.text._ZL37rocblas_syrkx_herkx_restricted_kernelIldLi16ELi32ELi8ELi1ELi0ELb0ELc78ELc76EKddEviT_PT9_S1_lS3_S1_lPT10_S1_li,"axG",@progbits,_ZL37rocblas_syrkx_herkx_restricted_kernelIldLi16ELi32ELi8ELi1ELi0ELb0ELc78ELc76EKddEviT_PT9_S1_lS3_S1_lPT10_S1_li,comdat
.Lfunc_end1017:
	.size	_ZL37rocblas_syrkx_herkx_restricted_kernelIldLi16ELi32ELi8ELi1ELi0ELb0ELc78ELc76EKddEviT_PT9_S1_lS3_S1_lPT10_S1_li, .Lfunc_end1017-_ZL37rocblas_syrkx_herkx_restricted_kernelIldLi16ELi32ELi8ELi1ELi0ELb0ELc78ELc76EKddEviT_PT9_S1_lS3_S1_lPT10_S1_li
                                        ; -- End function
	.section	.AMDGPU.csdata,"",@progbits
; Kernel info:
; codeLenInByte = 1436
; NumSgprs: 34
; NumVgprs: 38
; ScratchSize: 0
; MemoryBound: 0
; FloatMode: 240
; IeeeMode: 1
; LDSByteSize: 4096 bytes/workgroup (compile time only)
; SGPRBlocks: 4
; VGPRBlocks: 4
; NumSGPRsForWavesPerEU: 34
; NumVGPRsForWavesPerEU: 38
; Occupancy: 16
; WaveLimiterHint : 1
; COMPUTE_PGM_RSRC2:SCRATCH_EN: 0
; COMPUTE_PGM_RSRC2:USER_SGPR: 13
; COMPUTE_PGM_RSRC2:TRAP_HANDLER: 0
; COMPUTE_PGM_RSRC2:TGID_X_EN: 1
; COMPUTE_PGM_RSRC2:TGID_Y_EN: 1
; COMPUTE_PGM_RSRC2:TGID_Z_EN: 1
; COMPUTE_PGM_RSRC2:TIDIG_COMP_CNT: 1
	.section	.text._ZL37rocblas_syrkx_herkx_restricted_kernelIldLi16ELi32ELi8ELi1ELi0ELb0ELc84ELc85EKddEviT_PT9_S1_lS3_S1_lPT10_S1_li,"axG",@progbits,_ZL37rocblas_syrkx_herkx_restricted_kernelIldLi16ELi32ELi8ELi1ELi0ELb0ELc84ELc85EKddEviT_PT9_S1_lS3_S1_lPT10_S1_li,comdat
	.globl	_ZL37rocblas_syrkx_herkx_restricted_kernelIldLi16ELi32ELi8ELi1ELi0ELb0ELc84ELc85EKddEviT_PT9_S1_lS3_S1_lPT10_S1_li ; -- Begin function _ZL37rocblas_syrkx_herkx_restricted_kernelIldLi16ELi32ELi8ELi1ELi0ELb0ELc84ELc85EKddEviT_PT9_S1_lS3_S1_lPT10_S1_li
	.p2align	8
	.type	_ZL37rocblas_syrkx_herkx_restricted_kernelIldLi16ELi32ELi8ELi1ELi0ELb0ELc84ELc85EKddEviT_PT9_S1_lS3_S1_lPT10_S1_li,@function
_ZL37rocblas_syrkx_herkx_restricted_kernelIldLi16ELi32ELi8ELi1ELi0ELb0ELc84ELc85EKddEviT_PT9_S1_lS3_S1_lPT10_S1_li: ; @_ZL37rocblas_syrkx_herkx_restricted_kernelIldLi16ELi32ELi8ELi1ELi0ELb0ELc84ELc85EKddEviT_PT9_S1_lS3_S1_lPT10_S1_li
; %bb.0:
	s_load_b512 s[16:31], s[0:1], 0x8
	v_mov_b32_e32 v10, 0
	v_dual_mov_b32 v11, 0 :: v_dual_and_b32 v12, 0x3ff, v0
	v_bfe_u32 v13, v0, 10, 10
	s_delay_alu instid0(VALU_DEP_3) | instskip(NEXT) | instid1(VALU_DEP_3)
	v_mov_b32_e32 v8, v10
	v_dual_mov_b32 v2, v10 :: v_dual_mov_b32 v3, v11
	v_dual_mov_b32 v9, v11 :: v_dual_mov_b32 v0, v10
	v_mov_b32_e32 v1, v11
	s_lshl_b32 s8, s13, 5
	s_lshl_b32 s9, s14, 5
	s_waitcnt lgkmcnt(0)
	v_cmp_lt_i64_e64 s2, s[16:17], 1
	s_delay_alu instid0(VALU_DEP_1)
	s_and_b32 vcc_lo, exec_lo, s2
	s_cbranch_vccnz .LBB1018_3
; %bb.1:
	v_lshl_add_u32 v2, v13, 4, v12
	v_dual_mov_b32 v1, 0 :: v_dual_and_b32 v0, 7, v12
	v_lshlrev_b32_e32 v14, 3, v12
	s_mul_i32 s3, s23, s15
	s_delay_alu instid0(VALU_DEP_3)
	v_and_b32_e32 v8, 31, v2
	v_lshrrev_b32_e32 v9, 3, v2
	v_lshrrev_b32_e32 v2, 5, v2
	v_mov_b32_e32 v3, v1
	v_lshlrev_b32_e32 v11, 3, v0
	v_add_nc_u32_e32 v6, s8, v8
	v_add_nc_u32_e32 v10, s9, v9
	s_mul_hi_u32 s4, s22, s15
	s_mul_i32 s2, s22, s15
	s_add_i32 s3, s4, s3
	v_ashrrev_i32_e32 v7, 31, v6
	v_ashrrev_i32_e32 v15, 31, v10
	v_mad_u64_u32 v[4:5], null, s20, v6, v[2:3]
	v_mul_lo_u32 v3, s21, v6
	s_delay_alu instid0(VALU_DEP_4)
	v_mul_lo_u32 v16, s20, v7
	v_mul_lo_u32 v17, v10, s27
	v_mad_u64_u32 v[6:7], null, v10, s26, v[0:1]
	v_mul_lo_u32 v0, v15, s26
	v_lshlrev_b32_e32 v1, 3, v8
	s_lshl_b64 s[2:3], s[2:3], 3
	s_mul_hi_u32 s5, s28, s15
	v_add3_u32 v5, v3, v5, v16
	s_add_u32 s4, s18, s2
	v_lshl_or_b32 v15, v2, 8, v1
	s_mul_i32 s2, s29, s15
	v_add3_u32 v7, v0, v7, v17
	v_lshlrev_b64 v[0:1], 3, v[4:5]
	s_addc_u32 s6, s19, s3
	s_add_i32 s3, s5, s2
	s_mul_i32 s2, s28, s15
	v_lshlrev_b64 v[2:3], 3, v[6:7]
	s_lshl_b64 s[2:3], s[2:3], 3
	v_add_co_u32 v4, vcc_lo, s4, v0
	v_add_co_ci_u32_e32 v5, vcc_lo, s6, v1, vcc_lo
	v_mov_b32_e32 v0, 0
	v_lshl_or_b32 v8, v9, 6, v11
	v_mov_b32_e32 v1, 0
	s_add_u32 s2, s24, s2
	s_addc_u32 s3, s25, s3
	v_add_co_u32 v6, vcc_lo, s2, v2
	s_delay_alu instid0(VALU_DEP_2)
	v_dual_mov_b32 v11, v1 :: v_dual_add_nc_u32 v16, 0x800, v8
	v_add_co_ci_u32_e32 v7, vcc_lo, s3, v3, vcc_lo
	v_mov_b32_e32 v3, v1
	v_mov_b32_e32 v9, v1
	v_lshl_add_u32 v17, v13, 6, 0x800
	v_mov_b32_e32 v2, v0
	v_mov_b32_e32 v8, v0
	;; [unrolled: 1-line block ×3, first 2 shown]
	s_mov_b64 s[2:3], 0
.LBB1018_2:                             ; =>This Inner Loop Header: Depth=1
	global_load_b64 v[18:19], v[4:5], off
	global_load_b64 v[20:21], v[6:7], off
	s_add_u32 s2, s2, 8
	v_add_co_u32 v4, vcc_lo, v4, 64
	s_addc_u32 s3, s3, 0
	v_add_co_ci_u32_e32 v5, vcc_lo, 0, v5, vcc_lo
	v_cmp_ge_u64_e64 s4, s[2:3], s[16:17]
	v_add_co_u32 v6, vcc_lo, v6, 64
	v_add_co_ci_u32_e32 v7, vcc_lo, 0, v7, vcc_lo
	s_waitcnt vmcnt(1)
	ds_store_b64 v15, v[18:19]
	s_waitcnt vmcnt(0)
	ds_store_b64 v16, v[20:21]
	s_waitcnt lgkmcnt(0)
	s_barrier
	buffer_gl0_inv
	ds_load_2addr_b64 v[18:21], v14 offset1:16
	ds_load_b128 v[22:25], v17
	ds_load_b128 v[26:29], v17 offset:1024
	ds_load_b128 v[30:33], v17 offset:16
	ds_load_b128 v[34:37], v17 offset:1040
	s_and_b32 vcc_lo, exec_lo, s4
	s_waitcnt lgkmcnt(3)
	v_fma_f64 v[10:11], v[18:19], v[22:23], v[10:11]
	v_fma_f64 v[8:9], v[20:21], v[22:23], v[8:9]
	s_waitcnt lgkmcnt(2)
	v_fma_f64 v[18:19], v[18:19], v[26:27], v[2:3]
	v_fma_f64 v[20:21], v[20:21], v[26:27], v[0:1]
	ds_load_2addr_b64 v[0:3], v14 offset0:32 offset1:48
	s_waitcnt lgkmcnt(0)
	v_fma_f64 v[10:11], v[0:1], v[24:25], v[10:11]
	v_fma_f64 v[8:9], v[2:3], v[24:25], v[8:9]
	v_fma_f64 v[18:19], v[0:1], v[28:29], v[18:19]
	v_fma_f64 v[20:21], v[2:3], v[28:29], v[20:21]
	ds_load_2addr_b64 v[0:3], v14 offset0:64 offset1:80
	s_waitcnt lgkmcnt(0)
	v_fma_f64 v[10:11], v[0:1], v[30:31], v[10:11]
	v_fma_f64 v[8:9], v[2:3], v[30:31], v[8:9]
	v_fma_f64 v[18:19], v[0:1], v[34:35], v[18:19]
	v_fma_f64 v[20:21], v[2:3], v[34:35], v[20:21]
	ds_load_2addr_b64 v[0:3], v14 offset0:96 offset1:112
	s_waitcnt lgkmcnt(0)
	v_fma_f64 v[30:31], v[0:1], v[32:33], v[10:11]
	v_fma_f64 v[32:33], v[2:3], v[32:33], v[8:9]
	v_fma_f64 v[34:35], v[0:1], v[36:37], v[18:19]
	v_fma_f64 v[36:37], v[2:3], v[36:37], v[20:21]
	ds_load_2addr_b64 v[0:3], v14 offset0:128 offset1:144
	ds_load_b128 v[8:11], v17 offset:32
	ds_load_b128 v[18:21], v17 offset:1056
	;; [unrolled: 1-line block ×4, first 2 shown]
	s_waitcnt lgkmcnt(3)
	v_fma_f64 v[30:31], v[0:1], v[8:9], v[30:31]
	v_fma_f64 v[8:9], v[2:3], v[8:9], v[32:33]
	s_waitcnt lgkmcnt(2)
	v_fma_f64 v[32:33], v[0:1], v[18:19], v[34:35]
	v_fma_f64 v[18:19], v[2:3], v[18:19], v[36:37]
	ds_load_2addr_b64 v[0:3], v14 offset0:160 offset1:176
	s_waitcnt lgkmcnt(0)
	v_fma_f64 v[30:31], v[0:1], v[10:11], v[30:31]
	v_fma_f64 v[8:9], v[2:3], v[10:11], v[8:9]
	;; [unrolled: 1-line block ×4, first 2 shown]
	ds_load_2addr_b64 v[0:3], v14 offset0:192 offset1:208
	s_waitcnt lgkmcnt(0)
	v_fma_f64 v[30:31], v[0:1], v[22:23], v[30:31]
	v_fma_f64 v[8:9], v[2:3], v[22:23], v[8:9]
	;; [unrolled: 1-line block ×4, first 2 shown]
	ds_load_2addr_b64 v[18:21], v14 offset0:224 offset1:240
	s_waitcnt lgkmcnt(0)
	s_barrier
	buffer_gl0_inv
	v_fma_f64 v[10:11], v[18:19], v[24:25], v[30:31]
	v_fma_f64 v[8:9], v[20:21], v[24:25], v[8:9]
	;; [unrolled: 1-line block ×4, first 2 shown]
	s_cbranch_vccz .LBB1018_2
.LBB1018_3:
	s_clause 0x1
	s_load_b128 s[4:7], s[0:1], 0x48
	s_load_b32 s2, s[0:1], 0x0
	v_add_nc_u32_e32 v13, s9, v13
	s_delay_alu instid0(VALU_DEP_1) | instskip(SKIP_1) | instid1(VALU_DEP_1)
	v_ashrrev_i32_e32 v4, 31, v13
	s_waitcnt lgkmcnt(0)
	v_mul_lo_u32 v7, v4, s4
	v_mul_lo_u32 v14, v13, s5
	v_mad_u64_u32 v[5:6], null, v13, s4, 0
	s_mul_i32 s1, s15, s7
	s_mul_hi_u32 s3, s15, s6
	s_mul_i32 s6, s15, s6
	s_add_i32 s7, s3, s1
	v_add_nc_u32_e32 v4, s8, v12
	s_lshl_b64 s[6:7], s[6:7], 3
	s_delay_alu instid0(VALU_DEP_2)
	v_add3_u32 v6, v6, v14, v7
	s_add_u32 s3, s30, s6
	v_cmp_gt_i32_e32 vcc_lo, s2, v13
	v_cmp_le_i32_e64 s0, v4, v13
	s_addc_u32 s6, s31, s7
	v_lshlrev_b64 v[5:6], 3, v[5:6]
	s_delay_alu instid0(VALU_DEP_2) | instskip(NEXT) | instid1(VALU_DEP_1)
	s_and_b32 s0, vcc_lo, s0
	v_add_co_u32 v12, s1, s3, v5
	s_delay_alu instid0(VALU_DEP_1)
	v_add_co_ci_u32_e64 v14, s1, s6, v6, s1
	s_and_saveexec_b32 s1, s0
	s_cbranch_execz .LBB1018_5
; %bb.4:
	v_ashrrev_i32_e32 v5, 31, v4
	s_delay_alu instid0(VALU_DEP_1) | instskip(NEXT) | instid1(VALU_DEP_1)
	v_lshlrev_b64 v[5:6], 3, v[4:5]
	v_add_co_u32 v5, s0, v12, v5
	s_delay_alu instid0(VALU_DEP_1)
	v_add_co_ci_u32_e64 v6, s0, v14, v6, s0
	global_store_b64 v[5:6], v[10:11], off
.LBB1018_5:
	s_or_b32 exec_lo, exec_lo, s1
	v_add_nc_u32_e32 v6, 16, v4
	s_delay_alu instid0(VALU_DEP_1) | instskip(NEXT) | instid1(VALU_DEP_1)
	v_cmp_le_i32_e64 s0, v6, v13
	s_and_b32 s1, vcc_lo, s0
	s_delay_alu instid0(SALU_CYCLE_1)
	s_and_saveexec_b32 s0, s1
	s_cbranch_execz .LBB1018_7
; %bb.6:
	v_ashrrev_i32_e32 v7, 31, v6
	s_delay_alu instid0(VALU_DEP_1) | instskip(NEXT) | instid1(VALU_DEP_1)
	v_lshlrev_b64 v[10:11], 3, v[6:7]
	v_add_co_u32 v10, vcc_lo, v12, v10
	s_delay_alu instid0(VALU_DEP_2)
	v_add_co_ci_u32_e32 v11, vcc_lo, v14, v11, vcc_lo
	global_store_b64 v[10:11], v[8:9], off
.LBB1018_7:
	s_or_b32 exec_lo, exec_lo, s0
	v_add_nc_u32_e32 v7, 16, v13
	s_delay_alu instid0(VALU_DEP_1) | instskip(SKIP_3) | instid1(VALU_DEP_4)
	v_ashrrev_i32_e32 v5, 31, v7
	v_mul_lo_u32 v10, v7, s5
	v_mad_u64_u32 v[8:9], null, v7, s4, 0
	v_cmp_gt_i32_e32 vcc_lo, s2, v7
	v_mul_lo_u32 v5, v5, s4
	v_cmp_le_i32_e64 s0, v4, v7
	s_delay_alu instid0(VALU_DEP_1) | instskip(NEXT) | instid1(VALU_DEP_2)
	s_and_b32 s0, vcc_lo, s0
	v_add3_u32 v9, v9, v10, v5
	s_delay_alu instid0(VALU_DEP_1) | instskip(NEXT) | instid1(VALU_DEP_1)
	v_lshlrev_b64 v[8:9], 3, v[8:9]
	v_add_co_u32 v8, s1, s3, v8
	s_delay_alu instid0(VALU_DEP_1)
	v_add_co_ci_u32_e64 v9, s1, s6, v9, s1
	s_and_saveexec_b32 s1, s0
	s_cbranch_execz .LBB1018_9
; %bb.8:
	v_ashrrev_i32_e32 v5, 31, v4
	s_delay_alu instid0(VALU_DEP_1) | instskip(NEXT) | instid1(VALU_DEP_1)
	v_lshlrev_b64 v[4:5], 3, v[4:5]
	v_add_co_u32 v4, s0, v8, v4
	s_delay_alu instid0(VALU_DEP_1)
	v_add_co_ci_u32_e64 v5, s0, v9, v5, s0
	global_store_b64 v[4:5], v[2:3], off
.LBB1018_9:
	s_or_b32 exec_lo, exec_lo, s1
	v_cmp_le_i32_e64 s0, v6, v7
	s_delay_alu instid0(VALU_DEP_1) | instskip(NEXT) | instid1(SALU_CYCLE_1)
	s_and_b32 s0, vcc_lo, s0
	s_and_saveexec_b32 s1, s0
	s_cbranch_execz .LBB1018_11
; %bb.10:
	v_ashrrev_i32_e32 v7, 31, v6
	s_delay_alu instid0(VALU_DEP_1) | instskip(NEXT) | instid1(VALU_DEP_1)
	v_lshlrev_b64 v[2:3], 3, v[6:7]
	v_add_co_u32 v2, vcc_lo, v8, v2
	s_delay_alu instid0(VALU_DEP_2)
	v_add_co_ci_u32_e32 v3, vcc_lo, v9, v3, vcc_lo
	global_store_b64 v[2:3], v[0:1], off
.LBB1018_11:
	s_nop 0
	s_sendmsg sendmsg(MSG_DEALLOC_VGPRS)
	s_endpgm
	.section	.rodata,"a",@progbits
	.p2align	6, 0x0
	.amdhsa_kernel _ZL37rocblas_syrkx_herkx_restricted_kernelIldLi16ELi32ELi8ELi1ELi0ELb0ELc84ELc85EKddEviT_PT9_S1_lS3_S1_lPT10_S1_li
		.amdhsa_group_segment_fixed_size 4096
		.amdhsa_private_segment_fixed_size 0
		.amdhsa_kernarg_size 92
		.amdhsa_user_sgpr_count 13
		.amdhsa_user_sgpr_dispatch_ptr 0
		.amdhsa_user_sgpr_queue_ptr 0
		.amdhsa_user_sgpr_kernarg_segment_ptr 1
		.amdhsa_user_sgpr_dispatch_id 0
		.amdhsa_user_sgpr_private_segment_size 0
		.amdhsa_wavefront_size32 1
		.amdhsa_uses_dynamic_stack 0
		.amdhsa_enable_private_segment 0
		.amdhsa_system_sgpr_workgroup_id_x 1
		.amdhsa_system_sgpr_workgroup_id_y 1
		.amdhsa_system_sgpr_workgroup_id_z 1
		.amdhsa_system_sgpr_workgroup_info 0
		.amdhsa_system_vgpr_workitem_id 1
		.amdhsa_next_free_vgpr 38
		.amdhsa_next_free_sgpr 32
		.amdhsa_reserve_vcc 1
		.amdhsa_float_round_mode_32 0
		.amdhsa_float_round_mode_16_64 0
		.amdhsa_float_denorm_mode_32 3
		.amdhsa_float_denorm_mode_16_64 3
		.amdhsa_dx10_clamp 1
		.amdhsa_ieee_mode 1
		.amdhsa_fp16_overflow 0
		.amdhsa_workgroup_processor_mode 1
		.amdhsa_memory_ordered 1
		.amdhsa_forward_progress 0
		.amdhsa_shared_vgpr_count 0
		.amdhsa_exception_fp_ieee_invalid_op 0
		.amdhsa_exception_fp_denorm_src 0
		.amdhsa_exception_fp_ieee_div_zero 0
		.amdhsa_exception_fp_ieee_overflow 0
		.amdhsa_exception_fp_ieee_underflow 0
		.amdhsa_exception_fp_ieee_inexact 0
		.amdhsa_exception_int_div_zero 0
	.end_amdhsa_kernel
	.section	.text._ZL37rocblas_syrkx_herkx_restricted_kernelIldLi16ELi32ELi8ELi1ELi0ELb0ELc84ELc85EKddEviT_PT9_S1_lS3_S1_lPT10_S1_li,"axG",@progbits,_ZL37rocblas_syrkx_herkx_restricted_kernelIldLi16ELi32ELi8ELi1ELi0ELb0ELc84ELc85EKddEviT_PT9_S1_lS3_S1_lPT10_S1_li,comdat
.Lfunc_end1018:
	.size	_ZL37rocblas_syrkx_herkx_restricted_kernelIldLi16ELi32ELi8ELi1ELi0ELb0ELc84ELc85EKddEviT_PT9_S1_lS3_S1_lPT10_S1_li, .Lfunc_end1018-_ZL37rocblas_syrkx_herkx_restricted_kernelIldLi16ELi32ELi8ELi1ELi0ELb0ELc84ELc85EKddEviT_PT9_S1_lS3_S1_lPT10_S1_li
                                        ; -- End function
	.section	.AMDGPU.csdata,"",@progbits
; Kernel info:
; codeLenInByte = 1448
; NumSgprs: 34
; NumVgprs: 38
; ScratchSize: 0
; MemoryBound: 0
; FloatMode: 240
; IeeeMode: 1
; LDSByteSize: 4096 bytes/workgroup (compile time only)
; SGPRBlocks: 4
; VGPRBlocks: 4
; NumSGPRsForWavesPerEU: 34
; NumVGPRsForWavesPerEU: 38
; Occupancy: 16
; WaveLimiterHint : 1
; COMPUTE_PGM_RSRC2:SCRATCH_EN: 0
; COMPUTE_PGM_RSRC2:USER_SGPR: 13
; COMPUTE_PGM_RSRC2:TRAP_HANDLER: 0
; COMPUTE_PGM_RSRC2:TGID_X_EN: 1
; COMPUTE_PGM_RSRC2:TGID_Y_EN: 1
; COMPUTE_PGM_RSRC2:TGID_Z_EN: 1
; COMPUTE_PGM_RSRC2:TIDIG_COMP_CNT: 1
	.section	.text._ZL37rocblas_syrkx_herkx_restricted_kernelIldLi16ELi32ELi8ELi1ELi0ELb0ELc67ELc85EKddEviT_PT9_S1_lS3_S1_lPT10_S1_li,"axG",@progbits,_ZL37rocblas_syrkx_herkx_restricted_kernelIldLi16ELi32ELi8ELi1ELi0ELb0ELc67ELc85EKddEviT_PT9_S1_lS3_S1_lPT10_S1_li,comdat
	.globl	_ZL37rocblas_syrkx_herkx_restricted_kernelIldLi16ELi32ELi8ELi1ELi0ELb0ELc67ELc85EKddEviT_PT9_S1_lS3_S1_lPT10_S1_li ; -- Begin function _ZL37rocblas_syrkx_herkx_restricted_kernelIldLi16ELi32ELi8ELi1ELi0ELb0ELc67ELc85EKddEviT_PT9_S1_lS3_S1_lPT10_S1_li
	.p2align	8
	.type	_ZL37rocblas_syrkx_herkx_restricted_kernelIldLi16ELi32ELi8ELi1ELi0ELb0ELc67ELc85EKddEviT_PT9_S1_lS3_S1_lPT10_S1_li,@function
_ZL37rocblas_syrkx_herkx_restricted_kernelIldLi16ELi32ELi8ELi1ELi0ELb0ELc67ELc85EKddEviT_PT9_S1_lS3_S1_lPT10_S1_li: ; @_ZL37rocblas_syrkx_herkx_restricted_kernelIldLi16ELi32ELi8ELi1ELi0ELb0ELc67ELc85EKddEviT_PT9_S1_lS3_S1_lPT10_S1_li
; %bb.0:
	s_load_b512 s[16:31], s[0:1], 0x8
	v_mov_b32_e32 v10, 0
	v_dual_mov_b32 v11, 0 :: v_dual_and_b32 v12, 0x3ff, v0
	v_bfe_u32 v13, v0, 10, 10
	s_delay_alu instid0(VALU_DEP_3) | instskip(NEXT) | instid1(VALU_DEP_3)
	v_mov_b32_e32 v8, v10
	v_dual_mov_b32 v2, v10 :: v_dual_mov_b32 v3, v11
	v_dual_mov_b32 v9, v11 :: v_dual_mov_b32 v0, v10
	v_mov_b32_e32 v1, v11
	s_lshl_b32 s8, s13, 5
	s_lshl_b32 s9, s14, 5
	s_waitcnt lgkmcnt(0)
	v_cmp_lt_i64_e64 s2, s[16:17], 1
	s_delay_alu instid0(VALU_DEP_1)
	s_and_b32 vcc_lo, exec_lo, s2
	s_cbranch_vccnz .LBB1019_3
; %bb.1:
	v_lshl_add_u32 v2, v13, 4, v12
	v_dual_mov_b32 v1, 0 :: v_dual_and_b32 v0, 7, v12
	v_lshlrev_b32_e32 v14, 3, v12
	s_mul_i32 s3, s23, s15
	s_delay_alu instid0(VALU_DEP_3)
	v_and_b32_e32 v8, 31, v2
	v_lshrrev_b32_e32 v9, 3, v2
	v_lshrrev_b32_e32 v2, 5, v2
	v_mov_b32_e32 v3, v1
	v_lshlrev_b32_e32 v11, 3, v0
	v_add_nc_u32_e32 v6, s8, v8
	v_add_nc_u32_e32 v10, s9, v9
	s_mul_hi_u32 s4, s22, s15
	s_mul_i32 s2, s22, s15
	s_add_i32 s3, s4, s3
	v_ashrrev_i32_e32 v7, 31, v6
	v_ashrrev_i32_e32 v15, 31, v10
	v_mad_u64_u32 v[4:5], null, s20, v6, v[2:3]
	v_mul_lo_u32 v3, s21, v6
	s_delay_alu instid0(VALU_DEP_4)
	v_mul_lo_u32 v16, s20, v7
	v_mul_lo_u32 v17, v10, s27
	v_mad_u64_u32 v[6:7], null, v10, s26, v[0:1]
	v_mul_lo_u32 v0, v15, s26
	v_lshlrev_b32_e32 v1, 3, v8
	s_lshl_b64 s[2:3], s[2:3], 3
	s_mul_hi_u32 s5, s28, s15
	v_add3_u32 v5, v3, v5, v16
	s_add_u32 s4, s18, s2
	v_lshl_or_b32 v15, v2, 8, v1
	s_mul_i32 s2, s29, s15
	v_add3_u32 v7, v0, v7, v17
	v_lshlrev_b64 v[0:1], 3, v[4:5]
	s_addc_u32 s6, s19, s3
	s_add_i32 s3, s5, s2
	s_mul_i32 s2, s28, s15
	v_lshlrev_b64 v[2:3], 3, v[6:7]
	s_lshl_b64 s[2:3], s[2:3], 3
	v_add_co_u32 v4, vcc_lo, s4, v0
	v_add_co_ci_u32_e32 v5, vcc_lo, s6, v1, vcc_lo
	v_mov_b32_e32 v0, 0
	v_lshl_or_b32 v8, v9, 6, v11
	v_mov_b32_e32 v1, 0
	s_add_u32 s2, s24, s2
	s_addc_u32 s3, s25, s3
	v_add_co_u32 v6, vcc_lo, s2, v2
	s_delay_alu instid0(VALU_DEP_2)
	v_dual_mov_b32 v11, v1 :: v_dual_add_nc_u32 v16, 0x800, v8
	v_add_co_ci_u32_e32 v7, vcc_lo, s3, v3, vcc_lo
	v_mov_b32_e32 v3, v1
	v_mov_b32_e32 v9, v1
	v_lshl_add_u32 v17, v13, 6, 0x800
	v_mov_b32_e32 v2, v0
	v_mov_b32_e32 v8, v0
	;; [unrolled: 1-line block ×3, first 2 shown]
	s_mov_b64 s[2:3], 0
.LBB1019_2:                             ; =>This Inner Loop Header: Depth=1
	global_load_b64 v[18:19], v[4:5], off
	global_load_b64 v[20:21], v[6:7], off
	s_add_u32 s2, s2, 8
	v_add_co_u32 v4, vcc_lo, v4, 64
	s_addc_u32 s3, s3, 0
	v_add_co_ci_u32_e32 v5, vcc_lo, 0, v5, vcc_lo
	v_cmp_ge_u64_e64 s4, s[2:3], s[16:17]
	v_add_co_u32 v6, vcc_lo, v6, 64
	v_add_co_ci_u32_e32 v7, vcc_lo, 0, v7, vcc_lo
	s_waitcnt vmcnt(1)
	ds_store_b64 v15, v[18:19]
	s_waitcnt vmcnt(0)
	ds_store_b64 v16, v[20:21]
	s_waitcnt lgkmcnt(0)
	s_barrier
	buffer_gl0_inv
	ds_load_2addr_b64 v[18:21], v14 offset1:16
	ds_load_b128 v[22:25], v17
	ds_load_b128 v[26:29], v17 offset:1024
	ds_load_b128 v[30:33], v17 offset:16
	;; [unrolled: 1-line block ×3, first 2 shown]
	s_and_b32 vcc_lo, exec_lo, s4
	s_waitcnt lgkmcnt(3)
	v_fma_f64 v[10:11], v[18:19], v[22:23], v[10:11]
	v_fma_f64 v[8:9], v[20:21], v[22:23], v[8:9]
	s_waitcnt lgkmcnt(2)
	v_fma_f64 v[18:19], v[18:19], v[26:27], v[2:3]
	v_fma_f64 v[20:21], v[20:21], v[26:27], v[0:1]
	ds_load_2addr_b64 v[0:3], v14 offset0:32 offset1:48
	s_waitcnt lgkmcnt(0)
	v_fma_f64 v[10:11], v[0:1], v[24:25], v[10:11]
	v_fma_f64 v[8:9], v[2:3], v[24:25], v[8:9]
	v_fma_f64 v[18:19], v[0:1], v[28:29], v[18:19]
	v_fma_f64 v[20:21], v[2:3], v[28:29], v[20:21]
	ds_load_2addr_b64 v[0:3], v14 offset0:64 offset1:80
	s_waitcnt lgkmcnt(0)
	v_fma_f64 v[10:11], v[0:1], v[30:31], v[10:11]
	v_fma_f64 v[8:9], v[2:3], v[30:31], v[8:9]
	;; [unrolled: 6-line block ×3, first 2 shown]
	v_fma_f64 v[34:35], v[0:1], v[36:37], v[18:19]
	v_fma_f64 v[36:37], v[2:3], v[36:37], v[20:21]
	ds_load_2addr_b64 v[0:3], v14 offset0:128 offset1:144
	ds_load_b128 v[8:11], v17 offset:32
	ds_load_b128 v[18:21], v17 offset:1056
	;; [unrolled: 1-line block ×4, first 2 shown]
	s_waitcnt lgkmcnt(3)
	v_fma_f64 v[30:31], v[0:1], v[8:9], v[30:31]
	v_fma_f64 v[8:9], v[2:3], v[8:9], v[32:33]
	s_waitcnt lgkmcnt(2)
	v_fma_f64 v[32:33], v[0:1], v[18:19], v[34:35]
	v_fma_f64 v[18:19], v[2:3], v[18:19], v[36:37]
	ds_load_2addr_b64 v[0:3], v14 offset0:160 offset1:176
	s_waitcnt lgkmcnt(0)
	v_fma_f64 v[30:31], v[0:1], v[10:11], v[30:31]
	v_fma_f64 v[8:9], v[2:3], v[10:11], v[8:9]
	;; [unrolled: 1-line block ×4, first 2 shown]
	ds_load_2addr_b64 v[0:3], v14 offset0:192 offset1:208
	s_waitcnt lgkmcnt(0)
	v_fma_f64 v[30:31], v[0:1], v[22:23], v[30:31]
	v_fma_f64 v[8:9], v[2:3], v[22:23], v[8:9]
	;; [unrolled: 1-line block ×4, first 2 shown]
	ds_load_2addr_b64 v[18:21], v14 offset0:224 offset1:240
	s_waitcnt lgkmcnt(0)
	s_barrier
	buffer_gl0_inv
	v_fma_f64 v[10:11], v[18:19], v[24:25], v[30:31]
	v_fma_f64 v[8:9], v[20:21], v[24:25], v[8:9]
	;; [unrolled: 1-line block ×4, first 2 shown]
	s_cbranch_vccz .LBB1019_2
.LBB1019_3:
	s_clause 0x1
	s_load_b128 s[4:7], s[0:1], 0x48
	s_load_b32 s2, s[0:1], 0x0
	v_add_nc_u32_e32 v13, s9, v13
	s_delay_alu instid0(VALU_DEP_1) | instskip(SKIP_1) | instid1(VALU_DEP_1)
	v_ashrrev_i32_e32 v4, 31, v13
	s_waitcnt lgkmcnt(0)
	v_mul_lo_u32 v7, v4, s4
	v_mul_lo_u32 v14, v13, s5
	v_mad_u64_u32 v[5:6], null, v13, s4, 0
	s_mul_i32 s1, s15, s7
	s_mul_hi_u32 s3, s15, s6
	s_mul_i32 s6, s15, s6
	s_add_i32 s7, s3, s1
	v_add_nc_u32_e32 v4, s8, v12
	s_lshl_b64 s[6:7], s[6:7], 3
	s_delay_alu instid0(VALU_DEP_2)
	v_add3_u32 v6, v6, v14, v7
	s_add_u32 s3, s30, s6
	v_cmp_gt_i32_e32 vcc_lo, s2, v13
	v_cmp_le_i32_e64 s0, v4, v13
	s_addc_u32 s6, s31, s7
	v_lshlrev_b64 v[5:6], 3, v[5:6]
	s_delay_alu instid0(VALU_DEP_2) | instskip(NEXT) | instid1(VALU_DEP_1)
	s_and_b32 s0, vcc_lo, s0
	v_add_co_u32 v12, s1, s3, v5
	s_delay_alu instid0(VALU_DEP_1)
	v_add_co_ci_u32_e64 v14, s1, s6, v6, s1
	s_and_saveexec_b32 s1, s0
	s_cbranch_execz .LBB1019_5
; %bb.4:
	v_ashrrev_i32_e32 v5, 31, v4
	s_delay_alu instid0(VALU_DEP_1) | instskip(NEXT) | instid1(VALU_DEP_1)
	v_lshlrev_b64 v[5:6], 3, v[4:5]
	v_add_co_u32 v5, s0, v12, v5
	s_delay_alu instid0(VALU_DEP_1)
	v_add_co_ci_u32_e64 v6, s0, v14, v6, s0
	global_store_b64 v[5:6], v[10:11], off
.LBB1019_5:
	s_or_b32 exec_lo, exec_lo, s1
	v_add_nc_u32_e32 v6, 16, v4
	s_delay_alu instid0(VALU_DEP_1) | instskip(NEXT) | instid1(VALU_DEP_1)
	v_cmp_le_i32_e64 s0, v6, v13
	s_and_b32 s1, vcc_lo, s0
	s_delay_alu instid0(SALU_CYCLE_1)
	s_and_saveexec_b32 s0, s1
	s_cbranch_execz .LBB1019_7
; %bb.6:
	v_ashrrev_i32_e32 v7, 31, v6
	s_delay_alu instid0(VALU_DEP_1) | instskip(NEXT) | instid1(VALU_DEP_1)
	v_lshlrev_b64 v[10:11], 3, v[6:7]
	v_add_co_u32 v10, vcc_lo, v12, v10
	s_delay_alu instid0(VALU_DEP_2)
	v_add_co_ci_u32_e32 v11, vcc_lo, v14, v11, vcc_lo
	global_store_b64 v[10:11], v[8:9], off
.LBB1019_7:
	s_or_b32 exec_lo, exec_lo, s0
	v_add_nc_u32_e32 v7, 16, v13
	s_delay_alu instid0(VALU_DEP_1) | instskip(SKIP_3) | instid1(VALU_DEP_4)
	v_ashrrev_i32_e32 v5, 31, v7
	v_mul_lo_u32 v10, v7, s5
	v_mad_u64_u32 v[8:9], null, v7, s4, 0
	v_cmp_gt_i32_e32 vcc_lo, s2, v7
	v_mul_lo_u32 v5, v5, s4
	v_cmp_le_i32_e64 s0, v4, v7
	s_delay_alu instid0(VALU_DEP_1) | instskip(NEXT) | instid1(VALU_DEP_2)
	s_and_b32 s0, vcc_lo, s0
	v_add3_u32 v9, v9, v10, v5
	s_delay_alu instid0(VALU_DEP_1) | instskip(NEXT) | instid1(VALU_DEP_1)
	v_lshlrev_b64 v[8:9], 3, v[8:9]
	v_add_co_u32 v8, s1, s3, v8
	s_delay_alu instid0(VALU_DEP_1)
	v_add_co_ci_u32_e64 v9, s1, s6, v9, s1
	s_and_saveexec_b32 s1, s0
	s_cbranch_execz .LBB1019_9
; %bb.8:
	v_ashrrev_i32_e32 v5, 31, v4
	s_delay_alu instid0(VALU_DEP_1) | instskip(NEXT) | instid1(VALU_DEP_1)
	v_lshlrev_b64 v[4:5], 3, v[4:5]
	v_add_co_u32 v4, s0, v8, v4
	s_delay_alu instid0(VALU_DEP_1)
	v_add_co_ci_u32_e64 v5, s0, v9, v5, s0
	global_store_b64 v[4:5], v[2:3], off
.LBB1019_9:
	s_or_b32 exec_lo, exec_lo, s1
	v_cmp_le_i32_e64 s0, v6, v7
	s_delay_alu instid0(VALU_DEP_1) | instskip(NEXT) | instid1(SALU_CYCLE_1)
	s_and_b32 s0, vcc_lo, s0
	s_and_saveexec_b32 s1, s0
	s_cbranch_execz .LBB1019_11
; %bb.10:
	v_ashrrev_i32_e32 v7, 31, v6
	s_delay_alu instid0(VALU_DEP_1) | instskip(NEXT) | instid1(VALU_DEP_1)
	v_lshlrev_b64 v[2:3], 3, v[6:7]
	v_add_co_u32 v2, vcc_lo, v8, v2
	s_delay_alu instid0(VALU_DEP_2)
	v_add_co_ci_u32_e32 v3, vcc_lo, v9, v3, vcc_lo
	global_store_b64 v[2:3], v[0:1], off
.LBB1019_11:
	s_nop 0
	s_sendmsg sendmsg(MSG_DEALLOC_VGPRS)
	s_endpgm
	.section	.rodata,"a",@progbits
	.p2align	6, 0x0
	.amdhsa_kernel _ZL37rocblas_syrkx_herkx_restricted_kernelIldLi16ELi32ELi8ELi1ELi0ELb0ELc67ELc85EKddEviT_PT9_S1_lS3_S1_lPT10_S1_li
		.amdhsa_group_segment_fixed_size 4096
		.amdhsa_private_segment_fixed_size 0
		.amdhsa_kernarg_size 92
		.amdhsa_user_sgpr_count 13
		.amdhsa_user_sgpr_dispatch_ptr 0
		.amdhsa_user_sgpr_queue_ptr 0
		.amdhsa_user_sgpr_kernarg_segment_ptr 1
		.amdhsa_user_sgpr_dispatch_id 0
		.amdhsa_user_sgpr_private_segment_size 0
		.amdhsa_wavefront_size32 1
		.amdhsa_uses_dynamic_stack 0
		.amdhsa_enable_private_segment 0
		.amdhsa_system_sgpr_workgroup_id_x 1
		.amdhsa_system_sgpr_workgroup_id_y 1
		.amdhsa_system_sgpr_workgroup_id_z 1
		.amdhsa_system_sgpr_workgroup_info 0
		.amdhsa_system_vgpr_workitem_id 1
		.amdhsa_next_free_vgpr 38
		.amdhsa_next_free_sgpr 32
		.amdhsa_reserve_vcc 1
		.amdhsa_float_round_mode_32 0
		.amdhsa_float_round_mode_16_64 0
		.amdhsa_float_denorm_mode_32 3
		.amdhsa_float_denorm_mode_16_64 3
		.amdhsa_dx10_clamp 1
		.amdhsa_ieee_mode 1
		.amdhsa_fp16_overflow 0
		.amdhsa_workgroup_processor_mode 1
		.amdhsa_memory_ordered 1
		.amdhsa_forward_progress 0
		.amdhsa_shared_vgpr_count 0
		.amdhsa_exception_fp_ieee_invalid_op 0
		.amdhsa_exception_fp_denorm_src 0
		.amdhsa_exception_fp_ieee_div_zero 0
		.amdhsa_exception_fp_ieee_overflow 0
		.amdhsa_exception_fp_ieee_underflow 0
		.amdhsa_exception_fp_ieee_inexact 0
		.amdhsa_exception_int_div_zero 0
	.end_amdhsa_kernel
	.section	.text._ZL37rocblas_syrkx_herkx_restricted_kernelIldLi16ELi32ELi8ELi1ELi0ELb0ELc67ELc85EKddEviT_PT9_S1_lS3_S1_lPT10_S1_li,"axG",@progbits,_ZL37rocblas_syrkx_herkx_restricted_kernelIldLi16ELi32ELi8ELi1ELi0ELb0ELc67ELc85EKddEviT_PT9_S1_lS3_S1_lPT10_S1_li,comdat
.Lfunc_end1019:
	.size	_ZL37rocblas_syrkx_herkx_restricted_kernelIldLi16ELi32ELi8ELi1ELi0ELb0ELc67ELc85EKddEviT_PT9_S1_lS3_S1_lPT10_S1_li, .Lfunc_end1019-_ZL37rocblas_syrkx_herkx_restricted_kernelIldLi16ELi32ELi8ELi1ELi0ELb0ELc67ELc85EKddEviT_PT9_S1_lS3_S1_lPT10_S1_li
                                        ; -- End function
	.section	.AMDGPU.csdata,"",@progbits
; Kernel info:
; codeLenInByte = 1448
; NumSgprs: 34
; NumVgprs: 38
; ScratchSize: 0
; MemoryBound: 0
; FloatMode: 240
; IeeeMode: 1
; LDSByteSize: 4096 bytes/workgroup (compile time only)
; SGPRBlocks: 4
; VGPRBlocks: 4
; NumSGPRsForWavesPerEU: 34
; NumVGPRsForWavesPerEU: 38
; Occupancy: 16
; WaveLimiterHint : 1
; COMPUTE_PGM_RSRC2:SCRATCH_EN: 0
; COMPUTE_PGM_RSRC2:USER_SGPR: 13
; COMPUTE_PGM_RSRC2:TRAP_HANDLER: 0
; COMPUTE_PGM_RSRC2:TGID_X_EN: 1
; COMPUTE_PGM_RSRC2:TGID_Y_EN: 1
; COMPUTE_PGM_RSRC2:TGID_Z_EN: 1
; COMPUTE_PGM_RSRC2:TIDIG_COMP_CNT: 1
	.section	.text._ZL37rocblas_syrkx_herkx_restricted_kernelIldLi16ELi32ELi8ELi1ELi0ELb0ELc78ELc85EKddEviT_PT9_S1_lS3_S1_lPT10_S1_li,"axG",@progbits,_ZL37rocblas_syrkx_herkx_restricted_kernelIldLi16ELi32ELi8ELi1ELi0ELb0ELc78ELc85EKddEviT_PT9_S1_lS3_S1_lPT10_S1_li,comdat
	.globl	_ZL37rocblas_syrkx_herkx_restricted_kernelIldLi16ELi32ELi8ELi1ELi0ELb0ELc78ELc85EKddEviT_PT9_S1_lS3_S1_lPT10_S1_li ; -- Begin function _ZL37rocblas_syrkx_herkx_restricted_kernelIldLi16ELi32ELi8ELi1ELi0ELb0ELc78ELc85EKddEviT_PT9_S1_lS3_S1_lPT10_S1_li
	.p2align	8
	.type	_ZL37rocblas_syrkx_herkx_restricted_kernelIldLi16ELi32ELi8ELi1ELi0ELb0ELc78ELc85EKddEviT_PT9_S1_lS3_S1_lPT10_S1_li,@function
_ZL37rocblas_syrkx_herkx_restricted_kernelIldLi16ELi32ELi8ELi1ELi0ELb0ELc78ELc85EKddEviT_PT9_S1_lS3_S1_lPT10_S1_li: ; @_ZL37rocblas_syrkx_herkx_restricted_kernelIldLi16ELi32ELi8ELi1ELi0ELb0ELc78ELc85EKddEviT_PT9_S1_lS3_S1_lPT10_S1_li
; %bb.0:
	s_load_b512 s[16:31], s[0:1], 0x8
	v_mov_b32_e32 v10, 0
	v_dual_mov_b32 v11, 0 :: v_dual_and_b32 v12, 0x3ff, v0
	v_bfe_u32 v13, v0, 10, 10
	s_delay_alu instid0(VALU_DEP_3) | instskip(NEXT) | instid1(VALU_DEP_3)
	v_mov_b32_e32 v8, v10
	v_dual_mov_b32 v2, v10 :: v_dual_mov_b32 v3, v11
	v_dual_mov_b32 v9, v11 :: v_dual_mov_b32 v0, v10
	v_mov_b32_e32 v1, v11
	s_lshl_b32 s8, s13, 5
	s_lshl_b32 s9, s14, 5
	s_waitcnt lgkmcnt(0)
	v_cmp_lt_i64_e64 s2, s[16:17], 1
	s_delay_alu instid0(VALU_DEP_1)
	s_and_b32 vcc_lo, exec_lo, s2
	s_cbranch_vccnz .LBB1020_3
; %bb.1:
	v_lshl_add_u32 v1, v13, 4, v12
	v_and_b32_e32 v11, 7, v12
	s_mul_i32 s3, s23, s15
	s_mul_hi_u32 s5, s22, s15
	s_mul_i32 s2, s22, s15
	v_and_b32_e32 v10, 31, v1
	v_lshrrev_b32_e32 v16, 3, v1
	v_lshrrev_b32_e32 v17, 5, v1
	s_add_i32 s3, s5, s3
	s_mul_i32 s6, s29, s15
	v_add_nc_u32_e32 v0, s8, v10
	v_add_nc_u32_e32 v2, s9, v16
	s_lshl_b64 s[2:3], s[2:3], 3
	s_mul_hi_u32 s7, s28, s15
	s_add_u32 s10, s18, s2
	v_ashrrev_i32_e32 v1, 31, v0
	v_ashrrev_i32_e32 v3, 31, v2
	s_mul_i32 s4, s28, s15
	s_addc_u32 s11, s19, s3
	s_add_i32 s5, s7, s6
	v_mad_u64_u32 v[4:5], null, v17, s20, v[0:1]
	v_mov_b32_e32 v0, 0
	v_mad_u64_u32 v[6:7], null, v11, s26, v[2:3]
	v_dual_mov_b32 v1, 0 :: v_dual_lshlrev_b32 v14, 3, v12
	v_lshlrev_b32_e32 v18, 3, v11
	v_mov_b32_e32 v2, v5
	s_lshl_b64 s[4:5], s[4:5], 3
	s_lshl_b64 s[2:3], s[20:21], 6
	s_delay_alu instid0(VALU_DEP_4)
	v_mov_b32_e32 v3, v7
	s_add_u32 s4, s24, s4
	s_addc_u32 s5, s25, s5
	v_lshl_add_u32 v15, v13, 6, 0x800
	s_mov_b64 s[6:7], 0
	v_mad_u64_u32 v[7:8], null, v17, s21, v[2:3]
	v_mad_u64_u32 v[8:9], null, v11, s27, v[3:4]
	v_lshlrev_b32_e32 v9, 3, v10
	s_delay_alu instid0(VALU_DEP_3) | instskip(NEXT) | instid1(VALU_DEP_3)
	v_mov_b32_e32 v5, v7
	v_mov_b32_e32 v7, v8
	s_delay_alu instid0(VALU_DEP_2) | instskip(NEXT) | instid1(VALU_DEP_2)
	v_lshlrev_b64 v[2:3], 3, v[4:5]
	v_lshlrev_b64 v[6:7], 3, v[6:7]
	s_delay_alu instid0(VALU_DEP_2) | instskip(NEXT) | instid1(VALU_DEP_3)
	v_add_co_u32 v4, vcc_lo, s10, v2
	v_add_co_ci_u32_e32 v5, vcc_lo, s11, v3, vcc_lo
	v_mov_b32_e32 v3, v1
	v_lshl_or_b32 v10, v16, 6, v18
	v_add_co_u32 v6, vcc_lo, s4, v6
	v_lshl_or_b32 v16, v17, 8, v9
	v_add_co_ci_u32_e32 v7, vcc_lo, s5, v7, vcc_lo
	s_delay_alu instid0(VALU_DEP_4)
	v_dual_mov_b32 v2, v0 :: v_dual_add_nc_u32 v17, 0x800, v10
	v_dual_mov_b32 v9, v1 :: v_dual_mov_b32 v8, v0
	v_dual_mov_b32 v11, v1 :: v_dual_mov_b32 v10, v0
	s_lshl_b64 s[4:5], s[26:27], 6
.LBB1020_2:                             ; =>This Inner Loop Header: Depth=1
	global_load_b64 v[18:19], v[4:5], off
	global_load_b64 v[20:21], v[6:7], off
	s_add_u32 s6, s6, 8
	v_add_co_u32 v4, vcc_lo, v4, s2
	s_addc_u32 s7, s7, 0
	v_add_co_ci_u32_e32 v5, vcc_lo, s3, v5, vcc_lo
	v_cmp_ge_u64_e64 s10, s[6:7], s[16:17]
	v_add_co_u32 v6, vcc_lo, v6, s4
	v_add_co_ci_u32_e32 v7, vcc_lo, s5, v7, vcc_lo
	s_waitcnt vmcnt(1)
	ds_store_b64 v16, v[18:19]
	s_waitcnt vmcnt(0)
	ds_store_b64 v17, v[20:21]
	s_waitcnt lgkmcnt(0)
	s_barrier
	buffer_gl0_inv
	ds_load_2addr_b64 v[18:21], v14 offset1:16
	ds_load_b128 v[22:25], v15
	ds_load_b128 v[26:29], v15 offset:1024
	ds_load_b128 v[30:33], v15 offset:16
	;; [unrolled: 1-line block ×3, first 2 shown]
	s_and_b32 vcc_lo, exec_lo, s10
	s_waitcnt lgkmcnt(3)
	v_fma_f64 v[10:11], v[18:19], v[22:23], v[10:11]
	v_fma_f64 v[8:9], v[20:21], v[22:23], v[8:9]
	s_waitcnt lgkmcnt(2)
	v_fma_f64 v[18:19], v[18:19], v[26:27], v[2:3]
	v_fma_f64 v[20:21], v[20:21], v[26:27], v[0:1]
	ds_load_2addr_b64 v[0:3], v14 offset0:32 offset1:48
	s_waitcnt lgkmcnt(0)
	v_fma_f64 v[10:11], v[0:1], v[24:25], v[10:11]
	v_fma_f64 v[8:9], v[2:3], v[24:25], v[8:9]
	v_fma_f64 v[18:19], v[0:1], v[28:29], v[18:19]
	v_fma_f64 v[20:21], v[2:3], v[28:29], v[20:21]
	ds_load_2addr_b64 v[0:3], v14 offset0:64 offset1:80
	s_waitcnt lgkmcnt(0)
	v_fma_f64 v[10:11], v[0:1], v[30:31], v[10:11]
	v_fma_f64 v[8:9], v[2:3], v[30:31], v[8:9]
	;; [unrolled: 6-line block ×3, first 2 shown]
	v_fma_f64 v[34:35], v[0:1], v[36:37], v[18:19]
	v_fma_f64 v[36:37], v[2:3], v[36:37], v[20:21]
	ds_load_2addr_b64 v[0:3], v14 offset0:128 offset1:144
	ds_load_b128 v[8:11], v15 offset:32
	ds_load_b128 v[18:21], v15 offset:1056
	;; [unrolled: 1-line block ×4, first 2 shown]
	s_waitcnt lgkmcnt(3)
	v_fma_f64 v[30:31], v[0:1], v[8:9], v[30:31]
	v_fma_f64 v[8:9], v[2:3], v[8:9], v[32:33]
	s_waitcnt lgkmcnt(2)
	v_fma_f64 v[32:33], v[0:1], v[18:19], v[34:35]
	v_fma_f64 v[18:19], v[2:3], v[18:19], v[36:37]
	ds_load_2addr_b64 v[0:3], v14 offset0:160 offset1:176
	s_waitcnt lgkmcnt(0)
	v_fma_f64 v[30:31], v[0:1], v[10:11], v[30:31]
	v_fma_f64 v[8:9], v[2:3], v[10:11], v[8:9]
	;; [unrolled: 1-line block ×4, first 2 shown]
	ds_load_2addr_b64 v[0:3], v14 offset0:192 offset1:208
	s_waitcnt lgkmcnt(0)
	v_fma_f64 v[30:31], v[0:1], v[22:23], v[30:31]
	v_fma_f64 v[8:9], v[2:3], v[22:23], v[8:9]
	;; [unrolled: 1-line block ×4, first 2 shown]
	ds_load_2addr_b64 v[18:21], v14 offset0:224 offset1:240
	s_waitcnt lgkmcnt(0)
	s_barrier
	buffer_gl0_inv
	v_fma_f64 v[10:11], v[18:19], v[24:25], v[30:31]
	v_fma_f64 v[8:9], v[20:21], v[24:25], v[8:9]
	v_fma_f64 v[2:3], v[18:19], v[28:29], v[0:1]
	v_fma_f64 v[0:1], v[20:21], v[28:29], v[22:23]
	s_cbranch_vccz .LBB1020_2
.LBB1020_3:
	s_clause 0x1
	s_load_b128 s[4:7], s[0:1], 0x48
	s_load_b32 s2, s[0:1], 0x0
	v_add_nc_u32_e32 v13, s9, v13
	s_delay_alu instid0(VALU_DEP_1) | instskip(SKIP_1) | instid1(VALU_DEP_1)
	v_ashrrev_i32_e32 v4, 31, v13
	s_waitcnt lgkmcnt(0)
	v_mul_lo_u32 v7, v4, s4
	v_mul_lo_u32 v14, v13, s5
	v_mad_u64_u32 v[5:6], null, v13, s4, 0
	s_mul_i32 s1, s15, s7
	s_mul_hi_u32 s3, s15, s6
	s_mul_i32 s6, s15, s6
	s_add_i32 s7, s3, s1
	v_add_nc_u32_e32 v4, s8, v12
	s_lshl_b64 s[6:7], s[6:7], 3
	s_delay_alu instid0(VALU_DEP_2)
	v_add3_u32 v6, v6, v14, v7
	s_add_u32 s3, s30, s6
	v_cmp_gt_i32_e32 vcc_lo, s2, v13
	v_cmp_le_i32_e64 s0, v4, v13
	s_addc_u32 s6, s31, s7
	v_lshlrev_b64 v[5:6], 3, v[5:6]
	s_delay_alu instid0(VALU_DEP_2) | instskip(NEXT) | instid1(VALU_DEP_1)
	s_and_b32 s0, vcc_lo, s0
	v_add_co_u32 v12, s1, s3, v5
	s_delay_alu instid0(VALU_DEP_1)
	v_add_co_ci_u32_e64 v14, s1, s6, v6, s1
	s_and_saveexec_b32 s1, s0
	s_cbranch_execz .LBB1020_5
; %bb.4:
	v_ashrrev_i32_e32 v5, 31, v4
	s_delay_alu instid0(VALU_DEP_1) | instskip(NEXT) | instid1(VALU_DEP_1)
	v_lshlrev_b64 v[5:6], 3, v[4:5]
	v_add_co_u32 v5, s0, v12, v5
	s_delay_alu instid0(VALU_DEP_1)
	v_add_co_ci_u32_e64 v6, s0, v14, v6, s0
	global_store_b64 v[5:6], v[10:11], off
.LBB1020_5:
	s_or_b32 exec_lo, exec_lo, s1
	v_add_nc_u32_e32 v6, 16, v4
	s_delay_alu instid0(VALU_DEP_1) | instskip(NEXT) | instid1(VALU_DEP_1)
	v_cmp_le_i32_e64 s0, v6, v13
	s_and_b32 s1, vcc_lo, s0
	s_delay_alu instid0(SALU_CYCLE_1)
	s_and_saveexec_b32 s0, s1
	s_cbranch_execz .LBB1020_7
; %bb.6:
	v_ashrrev_i32_e32 v7, 31, v6
	s_delay_alu instid0(VALU_DEP_1) | instskip(NEXT) | instid1(VALU_DEP_1)
	v_lshlrev_b64 v[10:11], 3, v[6:7]
	v_add_co_u32 v10, vcc_lo, v12, v10
	s_delay_alu instid0(VALU_DEP_2)
	v_add_co_ci_u32_e32 v11, vcc_lo, v14, v11, vcc_lo
	global_store_b64 v[10:11], v[8:9], off
.LBB1020_7:
	s_or_b32 exec_lo, exec_lo, s0
	v_add_nc_u32_e32 v7, 16, v13
	s_delay_alu instid0(VALU_DEP_1) | instskip(SKIP_3) | instid1(VALU_DEP_4)
	v_ashrrev_i32_e32 v5, 31, v7
	v_mul_lo_u32 v10, v7, s5
	v_mad_u64_u32 v[8:9], null, v7, s4, 0
	v_cmp_gt_i32_e32 vcc_lo, s2, v7
	v_mul_lo_u32 v5, v5, s4
	v_cmp_le_i32_e64 s0, v4, v7
	s_delay_alu instid0(VALU_DEP_1) | instskip(NEXT) | instid1(VALU_DEP_2)
	s_and_b32 s0, vcc_lo, s0
	v_add3_u32 v9, v9, v10, v5
	s_delay_alu instid0(VALU_DEP_1) | instskip(NEXT) | instid1(VALU_DEP_1)
	v_lshlrev_b64 v[8:9], 3, v[8:9]
	v_add_co_u32 v8, s1, s3, v8
	s_delay_alu instid0(VALU_DEP_1)
	v_add_co_ci_u32_e64 v9, s1, s6, v9, s1
	s_and_saveexec_b32 s1, s0
	s_cbranch_execz .LBB1020_9
; %bb.8:
	v_ashrrev_i32_e32 v5, 31, v4
	s_delay_alu instid0(VALU_DEP_1) | instskip(NEXT) | instid1(VALU_DEP_1)
	v_lshlrev_b64 v[4:5], 3, v[4:5]
	v_add_co_u32 v4, s0, v8, v4
	s_delay_alu instid0(VALU_DEP_1)
	v_add_co_ci_u32_e64 v5, s0, v9, v5, s0
	global_store_b64 v[4:5], v[2:3], off
.LBB1020_9:
	s_or_b32 exec_lo, exec_lo, s1
	v_cmp_le_i32_e64 s0, v6, v7
	s_delay_alu instid0(VALU_DEP_1) | instskip(NEXT) | instid1(SALU_CYCLE_1)
	s_and_b32 s0, vcc_lo, s0
	s_and_saveexec_b32 s1, s0
	s_cbranch_execz .LBB1020_11
; %bb.10:
	v_ashrrev_i32_e32 v7, 31, v6
	s_delay_alu instid0(VALU_DEP_1) | instskip(NEXT) | instid1(VALU_DEP_1)
	v_lshlrev_b64 v[2:3], 3, v[6:7]
	v_add_co_u32 v2, vcc_lo, v8, v2
	s_delay_alu instid0(VALU_DEP_2)
	v_add_co_ci_u32_e32 v3, vcc_lo, v9, v3, vcc_lo
	global_store_b64 v[2:3], v[0:1], off
.LBB1020_11:
	s_nop 0
	s_sendmsg sendmsg(MSG_DEALLOC_VGPRS)
	s_endpgm
	.section	.rodata,"a",@progbits
	.p2align	6, 0x0
	.amdhsa_kernel _ZL37rocblas_syrkx_herkx_restricted_kernelIldLi16ELi32ELi8ELi1ELi0ELb0ELc78ELc85EKddEviT_PT9_S1_lS3_S1_lPT10_S1_li
		.amdhsa_group_segment_fixed_size 4096
		.amdhsa_private_segment_fixed_size 0
		.amdhsa_kernarg_size 92
		.amdhsa_user_sgpr_count 13
		.amdhsa_user_sgpr_dispatch_ptr 0
		.amdhsa_user_sgpr_queue_ptr 0
		.amdhsa_user_sgpr_kernarg_segment_ptr 1
		.amdhsa_user_sgpr_dispatch_id 0
		.amdhsa_user_sgpr_private_segment_size 0
		.amdhsa_wavefront_size32 1
		.amdhsa_uses_dynamic_stack 0
		.amdhsa_enable_private_segment 0
		.amdhsa_system_sgpr_workgroup_id_x 1
		.amdhsa_system_sgpr_workgroup_id_y 1
		.amdhsa_system_sgpr_workgroup_id_z 1
		.amdhsa_system_sgpr_workgroup_info 0
		.amdhsa_system_vgpr_workitem_id 1
		.amdhsa_next_free_vgpr 38
		.amdhsa_next_free_sgpr 32
		.amdhsa_reserve_vcc 1
		.amdhsa_float_round_mode_32 0
		.amdhsa_float_round_mode_16_64 0
		.amdhsa_float_denorm_mode_32 3
		.amdhsa_float_denorm_mode_16_64 3
		.amdhsa_dx10_clamp 1
		.amdhsa_ieee_mode 1
		.amdhsa_fp16_overflow 0
		.amdhsa_workgroup_processor_mode 1
		.amdhsa_memory_ordered 1
		.amdhsa_forward_progress 0
		.amdhsa_shared_vgpr_count 0
		.amdhsa_exception_fp_ieee_invalid_op 0
		.amdhsa_exception_fp_denorm_src 0
		.amdhsa_exception_fp_ieee_div_zero 0
		.amdhsa_exception_fp_ieee_overflow 0
		.amdhsa_exception_fp_ieee_underflow 0
		.amdhsa_exception_fp_ieee_inexact 0
		.amdhsa_exception_int_div_zero 0
	.end_amdhsa_kernel
	.section	.text._ZL37rocblas_syrkx_herkx_restricted_kernelIldLi16ELi32ELi8ELi1ELi0ELb0ELc78ELc85EKddEviT_PT9_S1_lS3_S1_lPT10_S1_li,"axG",@progbits,_ZL37rocblas_syrkx_herkx_restricted_kernelIldLi16ELi32ELi8ELi1ELi0ELb0ELc78ELc85EKddEviT_PT9_S1_lS3_S1_lPT10_S1_li,comdat
.Lfunc_end1020:
	.size	_ZL37rocblas_syrkx_herkx_restricted_kernelIldLi16ELi32ELi8ELi1ELi0ELb0ELc78ELc85EKddEviT_PT9_S1_lS3_S1_lPT10_S1_li, .Lfunc_end1020-_ZL37rocblas_syrkx_herkx_restricted_kernelIldLi16ELi32ELi8ELi1ELi0ELb0ELc78ELc85EKddEviT_PT9_S1_lS3_S1_lPT10_S1_li
                                        ; -- End function
	.section	.AMDGPU.csdata,"",@progbits
; Kernel info:
; codeLenInByte = 1440
; NumSgprs: 34
; NumVgprs: 38
; ScratchSize: 0
; MemoryBound: 0
; FloatMode: 240
; IeeeMode: 1
; LDSByteSize: 4096 bytes/workgroup (compile time only)
; SGPRBlocks: 4
; VGPRBlocks: 4
; NumSGPRsForWavesPerEU: 34
; NumVGPRsForWavesPerEU: 38
; Occupancy: 16
; WaveLimiterHint : 1
; COMPUTE_PGM_RSRC2:SCRATCH_EN: 0
; COMPUTE_PGM_RSRC2:USER_SGPR: 13
; COMPUTE_PGM_RSRC2:TRAP_HANDLER: 0
; COMPUTE_PGM_RSRC2:TGID_X_EN: 1
; COMPUTE_PGM_RSRC2:TGID_Y_EN: 1
; COMPUTE_PGM_RSRC2:TGID_Z_EN: 1
; COMPUTE_PGM_RSRC2:TIDIG_COMP_CNT: 1
	.section	.text._ZL37rocblas_syrkx_herkx_restricted_kernelIldLi16ELi32ELi8ELin1ELi0ELb0ELc84ELc76EKddEviT_PT9_S1_lS3_S1_lPT10_S1_li,"axG",@progbits,_ZL37rocblas_syrkx_herkx_restricted_kernelIldLi16ELi32ELi8ELin1ELi0ELb0ELc84ELc76EKddEviT_PT9_S1_lS3_S1_lPT10_S1_li,comdat
	.globl	_ZL37rocblas_syrkx_herkx_restricted_kernelIldLi16ELi32ELi8ELin1ELi0ELb0ELc84ELc76EKddEviT_PT9_S1_lS3_S1_lPT10_S1_li ; -- Begin function _ZL37rocblas_syrkx_herkx_restricted_kernelIldLi16ELi32ELi8ELin1ELi0ELb0ELc84ELc76EKddEviT_PT9_S1_lS3_S1_lPT10_S1_li
	.p2align	8
	.type	_ZL37rocblas_syrkx_herkx_restricted_kernelIldLi16ELi32ELi8ELin1ELi0ELb0ELc84ELc76EKddEviT_PT9_S1_lS3_S1_lPT10_S1_li,@function
_ZL37rocblas_syrkx_herkx_restricted_kernelIldLi16ELi32ELi8ELin1ELi0ELb0ELc84ELc76EKddEviT_PT9_S1_lS3_S1_lPT10_S1_li: ; @_ZL37rocblas_syrkx_herkx_restricted_kernelIldLi16ELi32ELi8ELin1ELi0ELb0ELc84ELc76EKddEviT_PT9_S1_lS3_S1_lPT10_S1_li
; %bb.0:
	s_load_b512 s[16:31], s[0:1], 0x8
	v_mov_b32_e32 v10, 0
	v_dual_mov_b32 v11, 0 :: v_dual_and_b32 v12, 0x3ff, v0
	v_bfe_u32 v13, v0, 10, 10
	s_delay_alu instid0(VALU_DEP_3) | instskip(NEXT) | instid1(VALU_DEP_3)
	v_mov_b32_e32 v6, v10
	v_dual_mov_b32 v2, v10 :: v_dual_mov_b32 v3, v11
	v_dual_mov_b32 v7, v11 :: v_dual_mov_b32 v0, v10
	v_mov_b32_e32 v1, v11
	s_lshl_b32 s8, s13, 5
	s_lshl_b32 s9, s14, 5
	s_waitcnt lgkmcnt(0)
	v_cmp_lt_i64_e64 s2, s[16:17], 1
	s_delay_alu instid0(VALU_DEP_1)
	s_and_b32 vcc_lo, exec_lo, s2
	s_cbranch_vccnz .LBB1021_3
; %bb.1:
	v_lshl_add_u32 v2, v13, 4, v12
	v_dual_mov_b32 v1, 0 :: v_dual_and_b32 v0, 7, v12
	v_lshlrev_b32_e32 v14, 3, v12
	s_mul_i32 s3, s23, s15
	s_delay_alu instid0(VALU_DEP_3)
	v_and_b32_e32 v8, 31, v2
	v_lshrrev_b32_e32 v9, 3, v2
	v_lshrrev_b32_e32 v2, 5, v2
	v_mov_b32_e32 v3, v1
	v_lshlrev_b32_e32 v11, 3, v0
	v_add_nc_u32_e32 v6, s8, v8
	v_add_nc_u32_e32 v10, s9, v9
	s_mul_hi_u32 s4, s22, s15
	s_mul_i32 s2, s22, s15
	s_add_i32 s3, s4, s3
	v_ashrrev_i32_e32 v7, 31, v6
	v_ashrrev_i32_e32 v15, 31, v10
	v_mad_u64_u32 v[4:5], null, s20, v6, v[2:3]
	v_mul_lo_u32 v3, s21, v6
	s_delay_alu instid0(VALU_DEP_4)
	v_mul_lo_u32 v16, s20, v7
	v_mul_lo_u32 v17, v10, s27
	v_mad_u64_u32 v[6:7], null, v10, s26, v[0:1]
	v_mul_lo_u32 v0, v15, s26
	v_lshlrev_b32_e32 v1, 3, v8
	s_lshl_b64 s[2:3], s[2:3], 3
	s_mul_hi_u32 s5, s28, s15
	v_add3_u32 v5, v3, v5, v16
	s_add_u32 s4, s18, s2
	v_lshl_or_b32 v15, v2, 8, v1
	s_mul_i32 s2, s29, s15
	v_add3_u32 v7, v0, v7, v17
	v_lshlrev_b64 v[0:1], 3, v[4:5]
	s_addc_u32 s6, s19, s3
	s_add_i32 s3, s5, s2
	s_mul_i32 s2, s28, s15
	v_lshlrev_b64 v[2:3], 3, v[6:7]
	s_lshl_b64 s[2:3], s[2:3], 3
	v_add_co_u32 v4, vcc_lo, s4, v0
	v_add_co_ci_u32_e32 v5, vcc_lo, s6, v1, vcc_lo
	v_mov_b32_e32 v0, 0
	v_lshl_or_b32 v8, v9, 6, v11
	v_mov_b32_e32 v1, 0
	s_add_u32 s2, s24, s2
	s_addc_u32 s3, s25, s3
	v_lshl_add_u32 v17, v13, 6, 0x800
	s_delay_alu instid0(VALU_DEP_2)
	v_dual_mov_b32 v11, v1 :: v_dual_add_nc_u32 v16, 0x800, v8
	v_add_co_u32 v8, vcc_lo, s2, v2
	v_add_co_ci_u32_e32 v9, vcc_lo, s3, v3, vcc_lo
	v_mov_b32_e32 v3, v1
	v_dual_mov_b32 v7, v1 :: v_dual_mov_b32 v2, v0
	v_mov_b32_e32 v6, v0
	v_mov_b32_e32 v10, v0
	s_mov_b64 s[2:3], 0
.LBB1021_2:                             ; =>This Inner Loop Header: Depth=1
	global_load_b64 v[18:19], v[4:5], off
	global_load_b64 v[20:21], v[8:9], off
	s_add_u32 s2, s2, 8
	v_add_co_u32 v4, vcc_lo, v4, 64
	s_addc_u32 s3, s3, 0
	v_add_co_ci_u32_e32 v5, vcc_lo, 0, v5, vcc_lo
	v_cmp_ge_u64_e64 s4, s[2:3], s[16:17]
	v_add_co_u32 v8, vcc_lo, v8, 64
	v_add_co_ci_u32_e32 v9, vcc_lo, 0, v9, vcc_lo
	s_waitcnt vmcnt(1)
	ds_store_b64 v15, v[18:19]
	s_waitcnt vmcnt(0)
	ds_store_b64 v16, v[20:21]
	s_waitcnt lgkmcnt(0)
	s_barrier
	buffer_gl0_inv
	ds_load_2addr_b64 v[18:21], v14 offset1:16
	ds_load_b128 v[22:25], v17
	ds_load_b128 v[26:29], v17 offset:1024
	ds_load_b128 v[30:33], v17 offset:16
	;; [unrolled: 1-line block ×3, first 2 shown]
	s_and_b32 vcc_lo, exec_lo, s4
	s_waitcnt lgkmcnt(3)
	v_fma_f64 v[10:11], v[18:19], v[22:23], v[10:11]
	v_fma_f64 v[6:7], v[20:21], v[22:23], v[6:7]
	s_waitcnt lgkmcnt(2)
	v_fma_f64 v[18:19], v[18:19], v[26:27], v[2:3]
	v_fma_f64 v[20:21], v[20:21], v[26:27], v[0:1]
	ds_load_2addr_b64 v[0:3], v14 offset0:32 offset1:48
	s_waitcnt lgkmcnt(0)
	v_fma_f64 v[10:11], v[0:1], v[24:25], v[10:11]
	v_fma_f64 v[6:7], v[2:3], v[24:25], v[6:7]
	v_fma_f64 v[18:19], v[0:1], v[28:29], v[18:19]
	v_fma_f64 v[20:21], v[2:3], v[28:29], v[20:21]
	ds_load_2addr_b64 v[0:3], v14 offset0:64 offset1:80
	s_waitcnt lgkmcnt(0)
	v_fma_f64 v[10:11], v[0:1], v[30:31], v[10:11]
	v_fma_f64 v[6:7], v[2:3], v[30:31], v[6:7]
	;; [unrolled: 6-line block ×3, first 2 shown]
	v_fma_f64 v[34:35], v[0:1], v[36:37], v[18:19]
	v_fma_f64 v[36:37], v[2:3], v[36:37], v[20:21]
	ds_load_2addr_b64 v[0:3], v14 offset0:128 offset1:144
	ds_load_b128 v[18:21], v17 offset:32
	ds_load_b128 v[22:25], v17 offset:1056
	;; [unrolled: 1-line block ×4, first 2 shown]
	s_waitcnt lgkmcnt(3)
	v_fma_f64 v[10:11], v[0:1], v[18:19], v[10:11]
	v_fma_f64 v[6:7], v[2:3], v[18:19], v[6:7]
	s_waitcnt lgkmcnt(2)
	v_fma_f64 v[18:19], v[0:1], v[22:23], v[34:35]
	v_fma_f64 v[22:23], v[2:3], v[22:23], v[36:37]
	ds_load_2addr_b64 v[0:3], v14 offset0:160 offset1:176
	s_waitcnt lgkmcnt(0)
	v_fma_f64 v[10:11], v[0:1], v[20:21], v[10:11]
	v_fma_f64 v[6:7], v[2:3], v[20:21], v[6:7]
	v_fma_f64 v[18:19], v[0:1], v[24:25], v[18:19]
	v_fma_f64 v[20:21], v[2:3], v[24:25], v[22:23]
	ds_load_2addr_b64 v[0:3], v14 offset0:192 offset1:208
	s_waitcnt lgkmcnt(0)
	v_fma_f64 v[10:11], v[0:1], v[26:27], v[10:11]
	v_fma_f64 v[6:7], v[2:3], v[26:27], v[6:7]
	;; [unrolled: 1-line block ×4, first 2 shown]
	ds_load_2addr_b64 v[18:21], v14 offset0:224 offset1:240
	s_waitcnt lgkmcnt(0)
	s_barrier
	buffer_gl0_inv
	v_fma_f64 v[10:11], v[18:19], v[28:29], v[10:11]
	v_fma_f64 v[6:7], v[20:21], v[28:29], v[6:7]
	;; [unrolled: 1-line block ×4, first 2 shown]
	s_cbranch_vccz .LBB1021_2
.LBB1021_3:
	s_load_b128 s[4:7], s[0:1], 0x48
	v_add_nc_u32_e32 v13, s9, v13
	s_load_b32 s9, s[0:1], 0x0
	s_delay_alu instid0(VALU_DEP_1) | instskip(SKIP_1) | instid1(VALU_DEP_1)
	v_ashrrev_i32_e32 v4, 31, v13
	s_waitcnt lgkmcnt(0)
	v_mul_lo_u32 v5, v4, s4
	v_mul_lo_u32 v14, v13, s5
	v_mad_u64_u32 v[8:9], null, v13, s4, 0
	s_mul_i32 s1, s15, s7
	s_mul_hi_u32 s3, s15, s6
	s_mul_i32 s2, s15, s6
	s_add_i32 s3, s3, s1
	v_add_nc_u32_e32 v4, s8, v12
	s_lshl_b64 s[2:3], s[2:3], 3
	s_delay_alu instid0(VALU_DEP_2)
	v_add3_u32 v9, v9, v14, v5
	s_add_u32 s2, s30, s2
	s_addc_u32 s3, s31, s3
	v_cmp_le_i32_e64 s0, v13, v4
	v_cmp_gt_i32_e32 vcc_lo, s9, v4
	v_lshlrev_b64 v[8:9], 3, v[8:9]
	s_delay_alu instid0(VALU_DEP_3) | instskip(NEXT) | instid1(VALU_DEP_1)
	s_and_b32 s0, s0, vcc_lo
	v_add_co_u32 v12, s1, s2, v8
	s_delay_alu instid0(VALU_DEP_1)
	v_add_co_ci_u32_e64 v14, s1, s3, v9, s1
	s_and_saveexec_b32 s1, s0
	s_cbranch_execz .LBB1021_5
; %bb.4:
	v_ashrrev_i32_e32 v5, 31, v4
	v_xor_b32_e32 v11, 0x80000000, v11
	s_delay_alu instid0(VALU_DEP_2) | instskip(NEXT) | instid1(VALU_DEP_1)
	v_lshlrev_b64 v[8:9], 3, v[4:5]
	v_add_co_u32 v8, s0, v12, v8
	s_delay_alu instid0(VALU_DEP_1)
	v_add_co_ci_u32_e64 v9, s0, v14, v9, s0
	global_store_b64 v[8:9], v[10:11], off
.LBB1021_5:
	s_or_b32 exec_lo, exec_lo, s1
	v_add_nc_u32_e32 v8, 16, v4
	s_delay_alu instid0(VALU_DEP_1) | instskip(SKIP_1) | instid1(VALU_DEP_1)
	v_cmp_le_i32_e64 s1, v13, v8
	v_cmp_gt_i32_e64 s0, s9, v8
	s_and_b32 s1, s1, s0
	s_delay_alu instid0(SALU_CYCLE_1)
	s_and_saveexec_b32 s6, s1
	s_cbranch_execz .LBB1021_7
; %bb.6:
	v_ashrrev_i32_e32 v9, 31, v8
	v_xor_b32_e32 v7, 0x80000000, v7
	s_delay_alu instid0(VALU_DEP_2) | instskip(NEXT) | instid1(VALU_DEP_1)
	v_lshlrev_b64 v[9:10], 3, v[8:9]
	v_add_co_u32 v9, s1, v12, v9
	s_delay_alu instid0(VALU_DEP_1)
	v_add_co_ci_u32_e64 v10, s1, v14, v10, s1
	global_store_b64 v[9:10], v[6:7], off
.LBB1021_7:
	s_or_b32 exec_lo, exec_lo, s6
	v_add_nc_u32_e32 v9, 16, v13
	s_delay_alu instid0(VALU_DEP_1) | instskip(SKIP_3) | instid1(VALU_DEP_4)
	v_ashrrev_i32_e32 v7, 31, v9
	v_mul_lo_u32 v10, v9, s5
	v_mad_u64_u32 v[5:6], null, v9, s4, 0
	v_cmp_le_i32_e64 s1, v9, v4
	v_mul_lo_u32 v7, v7, s4
	s_delay_alu instid0(VALU_DEP_1) | instskip(NEXT) | instid1(VALU_DEP_1)
	v_add3_u32 v6, v6, v10, v7
	v_lshlrev_b64 v[6:7], 3, v[5:6]
	s_delay_alu instid0(VALU_DEP_1) | instskip(NEXT) | instid1(VALU_DEP_1)
	v_add_co_u32 v6, s2, s2, v6
	v_add_co_ci_u32_e64 v7, s2, s3, v7, s2
	s_and_b32 s2, s1, vcc_lo
	s_delay_alu instid0(SALU_CYCLE_1)
	s_and_saveexec_b32 s1, s2
	s_cbranch_execz .LBB1021_9
; %bb.8:
	v_ashrrev_i32_e32 v5, 31, v4
	v_xor_b32_e32 v3, 0x80000000, v3
	s_delay_alu instid0(VALU_DEP_2) | instskip(NEXT) | instid1(VALU_DEP_1)
	v_lshlrev_b64 v[4:5], 3, v[4:5]
	v_add_co_u32 v4, vcc_lo, v6, v4
	s_delay_alu instid0(VALU_DEP_2)
	v_add_co_ci_u32_e32 v5, vcc_lo, v7, v5, vcc_lo
	global_store_b64 v[4:5], v[2:3], off
.LBB1021_9:
	s_or_b32 exec_lo, exec_lo, s1
	v_cmp_le_i32_e32 vcc_lo, v9, v8
	s_and_b32 s0, vcc_lo, s0
	s_delay_alu instid0(SALU_CYCLE_1)
	s_and_saveexec_b32 s1, s0
	s_cbranch_execz .LBB1021_11
; %bb.10:
	v_ashrrev_i32_e32 v9, 31, v8
	v_xor_b32_e32 v1, 0x80000000, v1
	s_delay_alu instid0(VALU_DEP_2) | instskip(NEXT) | instid1(VALU_DEP_1)
	v_lshlrev_b64 v[2:3], 3, v[8:9]
	v_add_co_u32 v2, vcc_lo, v6, v2
	s_delay_alu instid0(VALU_DEP_2)
	v_add_co_ci_u32_e32 v3, vcc_lo, v7, v3, vcc_lo
	global_store_b64 v[2:3], v[0:1], off
.LBB1021_11:
	s_nop 0
	s_sendmsg sendmsg(MSG_DEALLOC_VGPRS)
	s_endpgm
	.section	.rodata,"a",@progbits
	.p2align	6, 0x0
	.amdhsa_kernel _ZL37rocblas_syrkx_herkx_restricted_kernelIldLi16ELi32ELi8ELin1ELi0ELb0ELc84ELc76EKddEviT_PT9_S1_lS3_S1_lPT10_S1_li
		.amdhsa_group_segment_fixed_size 4096
		.amdhsa_private_segment_fixed_size 0
		.amdhsa_kernarg_size 92
		.amdhsa_user_sgpr_count 13
		.amdhsa_user_sgpr_dispatch_ptr 0
		.amdhsa_user_sgpr_queue_ptr 0
		.amdhsa_user_sgpr_kernarg_segment_ptr 1
		.amdhsa_user_sgpr_dispatch_id 0
		.amdhsa_user_sgpr_private_segment_size 0
		.amdhsa_wavefront_size32 1
		.amdhsa_uses_dynamic_stack 0
		.amdhsa_enable_private_segment 0
		.amdhsa_system_sgpr_workgroup_id_x 1
		.amdhsa_system_sgpr_workgroup_id_y 1
		.amdhsa_system_sgpr_workgroup_id_z 1
		.amdhsa_system_sgpr_workgroup_info 0
		.amdhsa_system_vgpr_workitem_id 1
		.amdhsa_next_free_vgpr 38
		.amdhsa_next_free_sgpr 32
		.amdhsa_reserve_vcc 1
		.amdhsa_float_round_mode_32 0
		.amdhsa_float_round_mode_16_64 0
		.amdhsa_float_denorm_mode_32 3
		.amdhsa_float_denorm_mode_16_64 3
		.amdhsa_dx10_clamp 1
		.amdhsa_ieee_mode 1
		.amdhsa_fp16_overflow 0
		.amdhsa_workgroup_processor_mode 1
		.amdhsa_memory_ordered 1
		.amdhsa_forward_progress 0
		.amdhsa_shared_vgpr_count 0
		.amdhsa_exception_fp_ieee_invalid_op 0
		.amdhsa_exception_fp_denorm_src 0
		.amdhsa_exception_fp_ieee_div_zero 0
		.amdhsa_exception_fp_ieee_overflow 0
		.amdhsa_exception_fp_ieee_underflow 0
		.amdhsa_exception_fp_ieee_inexact 0
		.amdhsa_exception_int_div_zero 0
	.end_amdhsa_kernel
	.section	.text._ZL37rocblas_syrkx_herkx_restricted_kernelIldLi16ELi32ELi8ELin1ELi0ELb0ELc84ELc76EKddEviT_PT9_S1_lS3_S1_lPT10_S1_li,"axG",@progbits,_ZL37rocblas_syrkx_herkx_restricted_kernelIldLi16ELi32ELi8ELin1ELi0ELb0ELc84ELc76EKddEviT_PT9_S1_lS3_S1_lPT10_S1_li,comdat
.Lfunc_end1021:
	.size	_ZL37rocblas_syrkx_herkx_restricted_kernelIldLi16ELi32ELi8ELin1ELi0ELb0ELc84ELc76EKddEviT_PT9_S1_lS3_S1_lPT10_S1_li, .Lfunc_end1021-_ZL37rocblas_syrkx_herkx_restricted_kernelIldLi16ELi32ELi8ELin1ELi0ELb0ELc84ELc76EKddEviT_PT9_S1_lS3_S1_lPT10_S1_li
                                        ; -- End function
	.section	.AMDGPU.csdata,"",@progbits
; Kernel info:
; codeLenInByte = 1476
; NumSgprs: 34
; NumVgprs: 38
; ScratchSize: 0
; MemoryBound: 0
; FloatMode: 240
; IeeeMode: 1
; LDSByteSize: 4096 bytes/workgroup (compile time only)
; SGPRBlocks: 4
; VGPRBlocks: 4
; NumSGPRsForWavesPerEU: 34
; NumVGPRsForWavesPerEU: 38
; Occupancy: 16
; WaveLimiterHint : 1
; COMPUTE_PGM_RSRC2:SCRATCH_EN: 0
; COMPUTE_PGM_RSRC2:USER_SGPR: 13
; COMPUTE_PGM_RSRC2:TRAP_HANDLER: 0
; COMPUTE_PGM_RSRC2:TGID_X_EN: 1
; COMPUTE_PGM_RSRC2:TGID_Y_EN: 1
; COMPUTE_PGM_RSRC2:TGID_Z_EN: 1
; COMPUTE_PGM_RSRC2:TIDIG_COMP_CNT: 1
	.section	.text._ZL37rocblas_syrkx_herkx_restricted_kernelIldLi16ELi32ELi8ELin1ELi0ELb0ELc67ELc76EKddEviT_PT9_S1_lS3_S1_lPT10_S1_li,"axG",@progbits,_ZL37rocblas_syrkx_herkx_restricted_kernelIldLi16ELi32ELi8ELin1ELi0ELb0ELc67ELc76EKddEviT_PT9_S1_lS3_S1_lPT10_S1_li,comdat
	.globl	_ZL37rocblas_syrkx_herkx_restricted_kernelIldLi16ELi32ELi8ELin1ELi0ELb0ELc67ELc76EKddEviT_PT9_S1_lS3_S1_lPT10_S1_li ; -- Begin function _ZL37rocblas_syrkx_herkx_restricted_kernelIldLi16ELi32ELi8ELin1ELi0ELb0ELc67ELc76EKddEviT_PT9_S1_lS3_S1_lPT10_S1_li
	.p2align	8
	.type	_ZL37rocblas_syrkx_herkx_restricted_kernelIldLi16ELi32ELi8ELin1ELi0ELb0ELc67ELc76EKddEviT_PT9_S1_lS3_S1_lPT10_S1_li,@function
_ZL37rocblas_syrkx_herkx_restricted_kernelIldLi16ELi32ELi8ELin1ELi0ELb0ELc67ELc76EKddEviT_PT9_S1_lS3_S1_lPT10_S1_li: ; @_ZL37rocblas_syrkx_herkx_restricted_kernelIldLi16ELi32ELi8ELin1ELi0ELb0ELc67ELc76EKddEviT_PT9_S1_lS3_S1_lPT10_S1_li
; %bb.0:
	s_load_b512 s[16:31], s[0:1], 0x8
	v_mov_b32_e32 v10, 0
	v_dual_mov_b32 v11, 0 :: v_dual_and_b32 v12, 0x3ff, v0
	v_bfe_u32 v13, v0, 10, 10
	s_delay_alu instid0(VALU_DEP_3) | instskip(NEXT) | instid1(VALU_DEP_3)
	v_mov_b32_e32 v6, v10
	v_dual_mov_b32 v2, v10 :: v_dual_mov_b32 v3, v11
	v_dual_mov_b32 v7, v11 :: v_dual_mov_b32 v0, v10
	v_mov_b32_e32 v1, v11
	s_lshl_b32 s8, s13, 5
	s_lshl_b32 s9, s14, 5
	s_waitcnt lgkmcnt(0)
	v_cmp_lt_i64_e64 s2, s[16:17], 1
	s_delay_alu instid0(VALU_DEP_1)
	s_and_b32 vcc_lo, exec_lo, s2
	s_cbranch_vccnz .LBB1022_3
; %bb.1:
	v_lshl_add_u32 v2, v13, 4, v12
	v_dual_mov_b32 v1, 0 :: v_dual_and_b32 v0, 7, v12
	v_lshlrev_b32_e32 v14, 3, v12
	s_mul_i32 s3, s23, s15
	s_delay_alu instid0(VALU_DEP_3)
	v_and_b32_e32 v8, 31, v2
	v_lshrrev_b32_e32 v9, 3, v2
	v_lshrrev_b32_e32 v2, 5, v2
	v_mov_b32_e32 v3, v1
	v_lshlrev_b32_e32 v11, 3, v0
	v_add_nc_u32_e32 v6, s8, v8
	v_add_nc_u32_e32 v10, s9, v9
	s_mul_hi_u32 s4, s22, s15
	s_mul_i32 s2, s22, s15
	s_add_i32 s3, s4, s3
	v_ashrrev_i32_e32 v7, 31, v6
	v_ashrrev_i32_e32 v15, 31, v10
	v_mad_u64_u32 v[4:5], null, s20, v6, v[2:3]
	v_mul_lo_u32 v3, s21, v6
	s_delay_alu instid0(VALU_DEP_4)
	v_mul_lo_u32 v16, s20, v7
	v_mul_lo_u32 v17, v10, s27
	v_mad_u64_u32 v[6:7], null, v10, s26, v[0:1]
	v_mul_lo_u32 v0, v15, s26
	v_lshlrev_b32_e32 v1, 3, v8
	s_lshl_b64 s[2:3], s[2:3], 3
	s_mul_hi_u32 s5, s28, s15
	v_add3_u32 v5, v3, v5, v16
	s_add_u32 s4, s18, s2
	v_lshl_or_b32 v15, v2, 8, v1
	s_mul_i32 s2, s29, s15
	v_add3_u32 v7, v0, v7, v17
	v_lshlrev_b64 v[0:1], 3, v[4:5]
	s_addc_u32 s6, s19, s3
	s_add_i32 s3, s5, s2
	s_mul_i32 s2, s28, s15
	v_lshlrev_b64 v[2:3], 3, v[6:7]
	s_lshl_b64 s[2:3], s[2:3], 3
	v_add_co_u32 v4, vcc_lo, s4, v0
	v_add_co_ci_u32_e32 v5, vcc_lo, s6, v1, vcc_lo
	v_mov_b32_e32 v0, 0
	v_lshl_or_b32 v8, v9, 6, v11
	v_mov_b32_e32 v1, 0
	s_add_u32 s2, s24, s2
	s_addc_u32 s3, s25, s3
	v_lshl_add_u32 v17, v13, 6, 0x800
	s_delay_alu instid0(VALU_DEP_2)
	v_dual_mov_b32 v11, v1 :: v_dual_add_nc_u32 v16, 0x800, v8
	v_add_co_u32 v8, vcc_lo, s2, v2
	v_add_co_ci_u32_e32 v9, vcc_lo, s3, v3, vcc_lo
	v_mov_b32_e32 v3, v1
	v_dual_mov_b32 v7, v1 :: v_dual_mov_b32 v2, v0
	v_mov_b32_e32 v6, v0
	v_mov_b32_e32 v10, v0
	s_mov_b64 s[2:3], 0
.LBB1022_2:                             ; =>This Inner Loop Header: Depth=1
	global_load_b64 v[18:19], v[4:5], off
	global_load_b64 v[20:21], v[8:9], off
	s_add_u32 s2, s2, 8
	v_add_co_u32 v4, vcc_lo, v4, 64
	s_addc_u32 s3, s3, 0
	v_add_co_ci_u32_e32 v5, vcc_lo, 0, v5, vcc_lo
	v_cmp_ge_u64_e64 s4, s[2:3], s[16:17]
	v_add_co_u32 v8, vcc_lo, v8, 64
	v_add_co_ci_u32_e32 v9, vcc_lo, 0, v9, vcc_lo
	s_waitcnt vmcnt(1)
	ds_store_b64 v15, v[18:19]
	s_waitcnt vmcnt(0)
	ds_store_b64 v16, v[20:21]
	s_waitcnt lgkmcnt(0)
	s_barrier
	buffer_gl0_inv
	ds_load_2addr_b64 v[18:21], v14 offset1:16
	ds_load_b128 v[22:25], v17
	ds_load_b128 v[26:29], v17 offset:1024
	ds_load_b128 v[30:33], v17 offset:16
	;; [unrolled: 1-line block ×3, first 2 shown]
	s_and_b32 vcc_lo, exec_lo, s4
	s_waitcnt lgkmcnt(3)
	v_fma_f64 v[10:11], v[18:19], v[22:23], v[10:11]
	v_fma_f64 v[6:7], v[20:21], v[22:23], v[6:7]
	s_waitcnt lgkmcnt(2)
	v_fma_f64 v[18:19], v[18:19], v[26:27], v[2:3]
	v_fma_f64 v[20:21], v[20:21], v[26:27], v[0:1]
	ds_load_2addr_b64 v[0:3], v14 offset0:32 offset1:48
	s_waitcnt lgkmcnt(0)
	v_fma_f64 v[10:11], v[0:1], v[24:25], v[10:11]
	v_fma_f64 v[6:7], v[2:3], v[24:25], v[6:7]
	v_fma_f64 v[18:19], v[0:1], v[28:29], v[18:19]
	v_fma_f64 v[20:21], v[2:3], v[28:29], v[20:21]
	ds_load_2addr_b64 v[0:3], v14 offset0:64 offset1:80
	s_waitcnt lgkmcnt(0)
	v_fma_f64 v[10:11], v[0:1], v[30:31], v[10:11]
	v_fma_f64 v[6:7], v[2:3], v[30:31], v[6:7]
	;; [unrolled: 6-line block ×3, first 2 shown]
	v_fma_f64 v[34:35], v[0:1], v[36:37], v[18:19]
	v_fma_f64 v[36:37], v[2:3], v[36:37], v[20:21]
	ds_load_2addr_b64 v[0:3], v14 offset0:128 offset1:144
	ds_load_b128 v[18:21], v17 offset:32
	ds_load_b128 v[22:25], v17 offset:1056
	;; [unrolled: 1-line block ×4, first 2 shown]
	s_waitcnt lgkmcnt(3)
	v_fma_f64 v[10:11], v[0:1], v[18:19], v[10:11]
	v_fma_f64 v[6:7], v[2:3], v[18:19], v[6:7]
	s_waitcnt lgkmcnt(2)
	v_fma_f64 v[18:19], v[0:1], v[22:23], v[34:35]
	v_fma_f64 v[22:23], v[2:3], v[22:23], v[36:37]
	ds_load_2addr_b64 v[0:3], v14 offset0:160 offset1:176
	s_waitcnt lgkmcnt(0)
	v_fma_f64 v[10:11], v[0:1], v[20:21], v[10:11]
	v_fma_f64 v[6:7], v[2:3], v[20:21], v[6:7]
	;; [unrolled: 1-line block ×4, first 2 shown]
	ds_load_2addr_b64 v[0:3], v14 offset0:192 offset1:208
	s_waitcnt lgkmcnt(0)
	v_fma_f64 v[10:11], v[0:1], v[26:27], v[10:11]
	v_fma_f64 v[6:7], v[2:3], v[26:27], v[6:7]
	;; [unrolled: 1-line block ×4, first 2 shown]
	ds_load_2addr_b64 v[18:21], v14 offset0:224 offset1:240
	s_waitcnt lgkmcnt(0)
	s_barrier
	buffer_gl0_inv
	v_fma_f64 v[10:11], v[18:19], v[28:29], v[10:11]
	v_fma_f64 v[6:7], v[20:21], v[28:29], v[6:7]
	;; [unrolled: 1-line block ×4, first 2 shown]
	s_cbranch_vccz .LBB1022_2
.LBB1022_3:
	s_load_b128 s[4:7], s[0:1], 0x48
	v_add_nc_u32_e32 v13, s9, v13
	s_load_b32 s9, s[0:1], 0x0
	s_delay_alu instid0(VALU_DEP_1) | instskip(SKIP_1) | instid1(VALU_DEP_1)
	v_ashrrev_i32_e32 v4, 31, v13
	s_waitcnt lgkmcnt(0)
	v_mul_lo_u32 v5, v4, s4
	v_mul_lo_u32 v14, v13, s5
	v_mad_u64_u32 v[8:9], null, v13, s4, 0
	s_mul_i32 s1, s15, s7
	s_mul_hi_u32 s3, s15, s6
	s_mul_i32 s2, s15, s6
	s_add_i32 s3, s3, s1
	v_add_nc_u32_e32 v4, s8, v12
	s_lshl_b64 s[2:3], s[2:3], 3
	s_delay_alu instid0(VALU_DEP_2)
	v_add3_u32 v9, v9, v14, v5
	s_add_u32 s2, s30, s2
	s_addc_u32 s3, s31, s3
	v_cmp_le_i32_e64 s0, v13, v4
	v_cmp_gt_i32_e32 vcc_lo, s9, v4
	v_lshlrev_b64 v[8:9], 3, v[8:9]
	s_delay_alu instid0(VALU_DEP_3) | instskip(NEXT) | instid1(VALU_DEP_1)
	s_and_b32 s0, s0, vcc_lo
	v_add_co_u32 v12, s1, s2, v8
	s_delay_alu instid0(VALU_DEP_1)
	v_add_co_ci_u32_e64 v14, s1, s3, v9, s1
	s_and_saveexec_b32 s1, s0
	s_cbranch_execz .LBB1022_5
; %bb.4:
	v_ashrrev_i32_e32 v5, 31, v4
	v_xor_b32_e32 v11, 0x80000000, v11
	s_delay_alu instid0(VALU_DEP_2) | instskip(NEXT) | instid1(VALU_DEP_1)
	v_lshlrev_b64 v[8:9], 3, v[4:5]
	v_add_co_u32 v8, s0, v12, v8
	s_delay_alu instid0(VALU_DEP_1)
	v_add_co_ci_u32_e64 v9, s0, v14, v9, s0
	global_store_b64 v[8:9], v[10:11], off
.LBB1022_5:
	s_or_b32 exec_lo, exec_lo, s1
	v_add_nc_u32_e32 v8, 16, v4
	s_delay_alu instid0(VALU_DEP_1) | instskip(SKIP_1) | instid1(VALU_DEP_1)
	v_cmp_le_i32_e64 s1, v13, v8
	v_cmp_gt_i32_e64 s0, s9, v8
	s_and_b32 s1, s1, s0
	s_delay_alu instid0(SALU_CYCLE_1)
	s_and_saveexec_b32 s6, s1
	s_cbranch_execz .LBB1022_7
; %bb.6:
	v_ashrrev_i32_e32 v9, 31, v8
	v_xor_b32_e32 v7, 0x80000000, v7
	s_delay_alu instid0(VALU_DEP_2) | instskip(NEXT) | instid1(VALU_DEP_1)
	v_lshlrev_b64 v[9:10], 3, v[8:9]
	v_add_co_u32 v9, s1, v12, v9
	s_delay_alu instid0(VALU_DEP_1)
	v_add_co_ci_u32_e64 v10, s1, v14, v10, s1
	global_store_b64 v[9:10], v[6:7], off
.LBB1022_7:
	s_or_b32 exec_lo, exec_lo, s6
	v_add_nc_u32_e32 v9, 16, v13
	s_delay_alu instid0(VALU_DEP_1) | instskip(SKIP_3) | instid1(VALU_DEP_4)
	v_ashrrev_i32_e32 v7, 31, v9
	v_mul_lo_u32 v10, v9, s5
	v_mad_u64_u32 v[5:6], null, v9, s4, 0
	v_cmp_le_i32_e64 s1, v9, v4
	v_mul_lo_u32 v7, v7, s4
	s_delay_alu instid0(VALU_DEP_1) | instskip(NEXT) | instid1(VALU_DEP_1)
	v_add3_u32 v6, v6, v10, v7
	v_lshlrev_b64 v[6:7], 3, v[5:6]
	s_delay_alu instid0(VALU_DEP_1) | instskip(NEXT) | instid1(VALU_DEP_1)
	v_add_co_u32 v6, s2, s2, v6
	v_add_co_ci_u32_e64 v7, s2, s3, v7, s2
	s_and_b32 s2, s1, vcc_lo
	s_delay_alu instid0(SALU_CYCLE_1)
	s_and_saveexec_b32 s1, s2
	s_cbranch_execz .LBB1022_9
; %bb.8:
	v_ashrrev_i32_e32 v5, 31, v4
	v_xor_b32_e32 v3, 0x80000000, v3
	s_delay_alu instid0(VALU_DEP_2) | instskip(NEXT) | instid1(VALU_DEP_1)
	v_lshlrev_b64 v[4:5], 3, v[4:5]
	v_add_co_u32 v4, vcc_lo, v6, v4
	s_delay_alu instid0(VALU_DEP_2)
	v_add_co_ci_u32_e32 v5, vcc_lo, v7, v5, vcc_lo
	global_store_b64 v[4:5], v[2:3], off
.LBB1022_9:
	s_or_b32 exec_lo, exec_lo, s1
	v_cmp_le_i32_e32 vcc_lo, v9, v8
	s_and_b32 s0, vcc_lo, s0
	s_delay_alu instid0(SALU_CYCLE_1)
	s_and_saveexec_b32 s1, s0
	s_cbranch_execz .LBB1022_11
; %bb.10:
	v_ashrrev_i32_e32 v9, 31, v8
	v_xor_b32_e32 v1, 0x80000000, v1
	s_delay_alu instid0(VALU_DEP_2) | instskip(NEXT) | instid1(VALU_DEP_1)
	v_lshlrev_b64 v[2:3], 3, v[8:9]
	v_add_co_u32 v2, vcc_lo, v6, v2
	s_delay_alu instid0(VALU_DEP_2)
	v_add_co_ci_u32_e32 v3, vcc_lo, v7, v3, vcc_lo
	global_store_b64 v[2:3], v[0:1], off
.LBB1022_11:
	s_nop 0
	s_sendmsg sendmsg(MSG_DEALLOC_VGPRS)
	s_endpgm
	.section	.rodata,"a",@progbits
	.p2align	6, 0x0
	.amdhsa_kernel _ZL37rocblas_syrkx_herkx_restricted_kernelIldLi16ELi32ELi8ELin1ELi0ELb0ELc67ELc76EKddEviT_PT9_S1_lS3_S1_lPT10_S1_li
		.amdhsa_group_segment_fixed_size 4096
		.amdhsa_private_segment_fixed_size 0
		.amdhsa_kernarg_size 92
		.amdhsa_user_sgpr_count 13
		.amdhsa_user_sgpr_dispatch_ptr 0
		.amdhsa_user_sgpr_queue_ptr 0
		.amdhsa_user_sgpr_kernarg_segment_ptr 1
		.amdhsa_user_sgpr_dispatch_id 0
		.amdhsa_user_sgpr_private_segment_size 0
		.amdhsa_wavefront_size32 1
		.amdhsa_uses_dynamic_stack 0
		.amdhsa_enable_private_segment 0
		.amdhsa_system_sgpr_workgroup_id_x 1
		.amdhsa_system_sgpr_workgroup_id_y 1
		.amdhsa_system_sgpr_workgroup_id_z 1
		.amdhsa_system_sgpr_workgroup_info 0
		.amdhsa_system_vgpr_workitem_id 1
		.amdhsa_next_free_vgpr 38
		.amdhsa_next_free_sgpr 32
		.amdhsa_reserve_vcc 1
		.amdhsa_float_round_mode_32 0
		.amdhsa_float_round_mode_16_64 0
		.amdhsa_float_denorm_mode_32 3
		.amdhsa_float_denorm_mode_16_64 3
		.amdhsa_dx10_clamp 1
		.amdhsa_ieee_mode 1
		.amdhsa_fp16_overflow 0
		.amdhsa_workgroup_processor_mode 1
		.amdhsa_memory_ordered 1
		.amdhsa_forward_progress 0
		.amdhsa_shared_vgpr_count 0
		.amdhsa_exception_fp_ieee_invalid_op 0
		.amdhsa_exception_fp_denorm_src 0
		.amdhsa_exception_fp_ieee_div_zero 0
		.amdhsa_exception_fp_ieee_overflow 0
		.amdhsa_exception_fp_ieee_underflow 0
		.amdhsa_exception_fp_ieee_inexact 0
		.amdhsa_exception_int_div_zero 0
	.end_amdhsa_kernel
	.section	.text._ZL37rocblas_syrkx_herkx_restricted_kernelIldLi16ELi32ELi8ELin1ELi0ELb0ELc67ELc76EKddEviT_PT9_S1_lS3_S1_lPT10_S1_li,"axG",@progbits,_ZL37rocblas_syrkx_herkx_restricted_kernelIldLi16ELi32ELi8ELin1ELi0ELb0ELc67ELc76EKddEviT_PT9_S1_lS3_S1_lPT10_S1_li,comdat
.Lfunc_end1022:
	.size	_ZL37rocblas_syrkx_herkx_restricted_kernelIldLi16ELi32ELi8ELin1ELi0ELb0ELc67ELc76EKddEviT_PT9_S1_lS3_S1_lPT10_S1_li, .Lfunc_end1022-_ZL37rocblas_syrkx_herkx_restricted_kernelIldLi16ELi32ELi8ELin1ELi0ELb0ELc67ELc76EKddEviT_PT9_S1_lS3_S1_lPT10_S1_li
                                        ; -- End function
	.section	.AMDGPU.csdata,"",@progbits
; Kernel info:
; codeLenInByte = 1476
; NumSgprs: 34
; NumVgprs: 38
; ScratchSize: 0
; MemoryBound: 0
; FloatMode: 240
; IeeeMode: 1
; LDSByteSize: 4096 bytes/workgroup (compile time only)
; SGPRBlocks: 4
; VGPRBlocks: 4
; NumSGPRsForWavesPerEU: 34
; NumVGPRsForWavesPerEU: 38
; Occupancy: 16
; WaveLimiterHint : 1
; COMPUTE_PGM_RSRC2:SCRATCH_EN: 0
; COMPUTE_PGM_RSRC2:USER_SGPR: 13
; COMPUTE_PGM_RSRC2:TRAP_HANDLER: 0
; COMPUTE_PGM_RSRC2:TGID_X_EN: 1
; COMPUTE_PGM_RSRC2:TGID_Y_EN: 1
; COMPUTE_PGM_RSRC2:TGID_Z_EN: 1
; COMPUTE_PGM_RSRC2:TIDIG_COMP_CNT: 1
	.section	.text._ZL37rocblas_syrkx_herkx_restricted_kernelIldLi16ELi32ELi8ELin1ELi0ELb0ELc78ELc76EKddEviT_PT9_S1_lS3_S1_lPT10_S1_li,"axG",@progbits,_ZL37rocblas_syrkx_herkx_restricted_kernelIldLi16ELi32ELi8ELin1ELi0ELb0ELc78ELc76EKddEviT_PT9_S1_lS3_S1_lPT10_S1_li,comdat
	.globl	_ZL37rocblas_syrkx_herkx_restricted_kernelIldLi16ELi32ELi8ELin1ELi0ELb0ELc78ELc76EKddEviT_PT9_S1_lS3_S1_lPT10_S1_li ; -- Begin function _ZL37rocblas_syrkx_herkx_restricted_kernelIldLi16ELi32ELi8ELin1ELi0ELb0ELc78ELc76EKddEviT_PT9_S1_lS3_S1_lPT10_S1_li
	.p2align	8
	.type	_ZL37rocblas_syrkx_herkx_restricted_kernelIldLi16ELi32ELi8ELin1ELi0ELb0ELc78ELc76EKddEviT_PT9_S1_lS3_S1_lPT10_S1_li,@function
_ZL37rocblas_syrkx_herkx_restricted_kernelIldLi16ELi32ELi8ELin1ELi0ELb0ELc78ELc76EKddEviT_PT9_S1_lS3_S1_lPT10_S1_li: ; @_ZL37rocblas_syrkx_herkx_restricted_kernelIldLi16ELi32ELi8ELin1ELi0ELb0ELc78ELc76EKddEviT_PT9_S1_lS3_S1_lPT10_S1_li
; %bb.0:
	s_load_b512 s[16:31], s[0:1], 0x8
	v_mov_b32_e32 v10, 0
	v_dual_mov_b32 v11, 0 :: v_dual_and_b32 v12, 0x3ff, v0
	v_bfe_u32 v13, v0, 10, 10
	s_delay_alu instid0(VALU_DEP_3) | instskip(NEXT) | instid1(VALU_DEP_3)
	v_mov_b32_e32 v4, v10
	v_dual_mov_b32 v2, v10 :: v_dual_mov_b32 v3, v11
	v_dual_mov_b32 v5, v11 :: v_dual_mov_b32 v0, v10
	v_mov_b32_e32 v1, v11
	s_lshl_b32 s8, s13, 5
	s_lshl_b32 s9, s14, 5
	s_waitcnt lgkmcnt(0)
	v_cmp_lt_i64_e64 s2, s[16:17], 1
	s_delay_alu instid0(VALU_DEP_1)
	s_and_b32 vcc_lo, exec_lo, s2
	s_cbranch_vccnz .LBB1023_3
; %bb.1:
	v_lshl_add_u32 v1, v13, 4, v12
	v_and_b32_e32 v11, 7, v12
	s_mul_i32 s3, s23, s15
	s_mul_hi_u32 s5, s22, s15
	s_mul_i32 s2, s22, s15
	v_and_b32_e32 v10, 31, v1
	v_lshrrev_b32_e32 v16, 3, v1
	v_lshrrev_b32_e32 v17, 5, v1
	s_add_i32 s3, s5, s3
	s_mul_i32 s6, s29, s15
	v_add_nc_u32_e32 v0, s8, v10
	v_add_nc_u32_e32 v2, s9, v16
	s_lshl_b64 s[2:3], s[2:3], 3
	s_mul_hi_u32 s7, s28, s15
	s_add_u32 s10, s18, s2
	v_ashrrev_i32_e32 v1, 31, v0
	v_ashrrev_i32_e32 v3, 31, v2
	s_mul_i32 s4, s28, s15
	s_addc_u32 s11, s19, s3
	s_add_i32 s5, s7, s6
	v_mad_u64_u32 v[4:5], null, v17, s20, v[0:1]
	v_mov_b32_e32 v0, 0
	v_mad_u64_u32 v[6:7], null, v11, s26, v[2:3]
	v_dual_mov_b32 v1, 0 :: v_dual_lshlrev_b32 v14, 3, v12
	v_lshlrev_b32_e32 v18, 3, v11
	v_mov_b32_e32 v2, v5
	s_lshl_b64 s[4:5], s[4:5], 3
	s_lshl_b64 s[2:3], s[20:21], 6
	s_delay_alu instid0(VALU_DEP_4)
	v_mov_b32_e32 v3, v7
	s_add_u32 s4, s24, s4
	s_addc_u32 s5, s25, s5
	v_lshl_add_u32 v15, v13, 6, 0x800
	s_mov_b64 s[6:7], 0
	v_mad_u64_u32 v[7:8], null, v17, s21, v[2:3]
	v_mad_u64_u32 v[8:9], null, v11, s27, v[3:4]
	v_lshlrev_b32_e32 v9, 3, v10
	s_delay_alu instid0(VALU_DEP_3) | instskip(NEXT) | instid1(VALU_DEP_3)
	v_mov_b32_e32 v5, v7
	v_mov_b32_e32 v7, v8
	s_delay_alu instid0(VALU_DEP_2) | instskip(NEXT) | instid1(VALU_DEP_2)
	v_lshlrev_b64 v[2:3], 3, v[4:5]
	v_lshlrev_b64 v[4:5], 3, v[6:7]
	s_delay_alu instid0(VALU_DEP_2) | instskip(NEXT) | instid1(VALU_DEP_3)
	v_add_co_u32 v6, vcc_lo, s10, v2
	v_add_co_ci_u32_e32 v7, vcc_lo, s11, v3, vcc_lo
	v_mov_b32_e32 v3, v1
	v_lshl_or_b32 v10, v16, 6, v18
	v_add_co_u32 v8, vcc_lo, s4, v4
	v_lshl_or_b32 v16, v17, 8, v9
	v_add_co_ci_u32_e32 v9, vcc_lo, s5, v5, vcc_lo
	s_delay_alu instid0(VALU_DEP_4)
	v_dual_mov_b32 v2, v0 :: v_dual_add_nc_u32 v17, 0x800, v10
	v_dual_mov_b32 v5, v1 :: v_dual_mov_b32 v4, v0
	v_dual_mov_b32 v11, v1 :: v_dual_mov_b32 v10, v0
	s_lshl_b64 s[4:5], s[26:27], 6
.LBB1023_2:                             ; =>This Inner Loop Header: Depth=1
	global_load_b64 v[18:19], v[6:7], off
	global_load_b64 v[20:21], v[8:9], off
	s_add_u32 s6, s6, 8
	v_add_co_u32 v6, vcc_lo, v6, s2
	s_addc_u32 s7, s7, 0
	v_add_co_ci_u32_e32 v7, vcc_lo, s3, v7, vcc_lo
	v_cmp_ge_u64_e64 s10, s[6:7], s[16:17]
	v_add_co_u32 v8, vcc_lo, v8, s4
	v_add_co_ci_u32_e32 v9, vcc_lo, s5, v9, vcc_lo
	s_waitcnt vmcnt(1)
	ds_store_b64 v16, v[18:19]
	s_waitcnt vmcnt(0)
	ds_store_b64 v17, v[20:21]
	s_waitcnt lgkmcnt(0)
	s_barrier
	buffer_gl0_inv
	ds_load_2addr_b64 v[18:21], v14 offset1:16
	ds_load_b128 v[22:25], v15
	ds_load_b128 v[26:29], v15 offset:1024
	ds_load_b128 v[30:33], v15 offset:16
	;; [unrolled: 1-line block ×3, first 2 shown]
	s_and_b32 vcc_lo, exec_lo, s10
	s_waitcnt lgkmcnt(3)
	v_fma_f64 v[10:11], v[18:19], v[22:23], v[10:11]
	v_fma_f64 v[4:5], v[20:21], v[22:23], v[4:5]
	s_waitcnt lgkmcnt(2)
	v_fma_f64 v[18:19], v[18:19], v[26:27], v[2:3]
	v_fma_f64 v[20:21], v[20:21], v[26:27], v[0:1]
	ds_load_2addr_b64 v[0:3], v14 offset0:32 offset1:48
	s_waitcnt lgkmcnt(0)
	v_fma_f64 v[10:11], v[0:1], v[24:25], v[10:11]
	v_fma_f64 v[4:5], v[2:3], v[24:25], v[4:5]
	v_fma_f64 v[18:19], v[0:1], v[28:29], v[18:19]
	v_fma_f64 v[20:21], v[2:3], v[28:29], v[20:21]
	ds_load_2addr_b64 v[0:3], v14 offset0:64 offset1:80
	s_waitcnt lgkmcnt(0)
	v_fma_f64 v[10:11], v[0:1], v[30:31], v[10:11]
	v_fma_f64 v[4:5], v[2:3], v[30:31], v[4:5]
	;; [unrolled: 6-line block ×3, first 2 shown]
	v_fma_f64 v[34:35], v[0:1], v[36:37], v[18:19]
	v_fma_f64 v[36:37], v[2:3], v[36:37], v[20:21]
	ds_load_2addr_b64 v[0:3], v14 offset0:128 offset1:144
	ds_load_b128 v[18:21], v15 offset:32
	ds_load_b128 v[22:25], v15 offset:1056
	;; [unrolled: 1-line block ×4, first 2 shown]
	s_waitcnt lgkmcnt(3)
	v_fma_f64 v[10:11], v[0:1], v[18:19], v[10:11]
	v_fma_f64 v[4:5], v[2:3], v[18:19], v[4:5]
	s_waitcnt lgkmcnt(2)
	v_fma_f64 v[18:19], v[0:1], v[22:23], v[34:35]
	v_fma_f64 v[22:23], v[2:3], v[22:23], v[36:37]
	ds_load_2addr_b64 v[0:3], v14 offset0:160 offset1:176
	s_waitcnt lgkmcnt(0)
	v_fma_f64 v[10:11], v[0:1], v[20:21], v[10:11]
	v_fma_f64 v[4:5], v[2:3], v[20:21], v[4:5]
	v_fma_f64 v[18:19], v[0:1], v[24:25], v[18:19]
	v_fma_f64 v[20:21], v[2:3], v[24:25], v[22:23]
	ds_load_2addr_b64 v[0:3], v14 offset0:192 offset1:208
	s_waitcnt lgkmcnt(0)
	v_fma_f64 v[10:11], v[0:1], v[26:27], v[10:11]
	v_fma_f64 v[4:5], v[2:3], v[26:27], v[4:5]
	;; [unrolled: 1-line block ×4, first 2 shown]
	ds_load_2addr_b64 v[18:21], v14 offset0:224 offset1:240
	s_waitcnt lgkmcnt(0)
	s_barrier
	buffer_gl0_inv
	v_fma_f64 v[10:11], v[18:19], v[28:29], v[10:11]
	v_fma_f64 v[4:5], v[20:21], v[28:29], v[4:5]
	;; [unrolled: 1-line block ×4, first 2 shown]
	s_cbranch_vccz .LBB1023_2
.LBB1023_3:
	s_load_b128 s[4:7], s[0:1], 0x48
	v_add_nc_u32_e32 v13, s9, v13
	s_load_b32 s9, s[0:1], 0x0
	s_delay_alu instid0(VALU_DEP_1) | instskip(SKIP_1) | instid1(VALU_DEP_1)
	v_ashrrev_i32_e32 v6, 31, v13
	s_waitcnt lgkmcnt(0)
	v_mul_lo_u32 v9, v6, s4
	v_mul_lo_u32 v14, v13, s5
	v_mad_u64_u32 v[7:8], null, v13, s4, 0
	s_mul_i32 s1, s15, s7
	s_mul_hi_u32 s3, s15, s6
	s_mul_i32 s2, s15, s6
	s_add_i32 s3, s3, s1
	v_add_nc_u32_e32 v6, s8, v12
	s_lshl_b64 s[2:3], s[2:3], 3
	s_delay_alu instid0(VALU_DEP_2)
	v_add3_u32 v8, v8, v14, v9
	s_add_u32 s2, s30, s2
	s_addc_u32 s3, s31, s3
	v_cmp_le_i32_e64 s0, v13, v6
	v_cmp_gt_i32_e32 vcc_lo, s9, v6
	v_lshlrev_b64 v[7:8], 3, v[7:8]
	s_delay_alu instid0(VALU_DEP_3) | instskip(NEXT) | instid1(VALU_DEP_1)
	s_and_b32 s0, s0, vcc_lo
	v_add_co_u32 v12, s1, s2, v7
	s_delay_alu instid0(VALU_DEP_1)
	v_add_co_ci_u32_e64 v14, s1, s3, v8, s1
	s_and_saveexec_b32 s1, s0
	s_cbranch_execz .LBB1023_5
; %bb.4:
	v_ashrrev_i32_e32 v7, 31, v6
	v_xor_b32_e32 v11, 0x80000000, v11
	s_delay_alu instid0(VALU_DEP_2) | instskip(NEXT) | instid1(VALU_DEP_1)
	v_lshlrev_b64 v[7:8], 3, v[6:7]
	v_add_co_u32 v7, s0, v12, v7
	s_delay_alu instid0(VALU_DEP_1)
	v_add_co_ci_u32_e64 v8, s0, v14, v8, s0
	global_store_b64 v[7:8], v[10:11], off
.LBB1023_5:
	s_or_b32 exec_lo, exec_lo, s1
	v_add_nc_u32_e32 v8, 16, v6
	s_delay_alu instid0(VALU_DEP_1) | instskip(SKIP_1) | instid1(VALU_DEP_1)
	v_cmp_le_i32_e64 s1, v13, v8
	v_cmp_gt_i32_e64 s0, s9, v8
	s_and_b32 s1, s1, s0
	s_delay_alu instid0(SALU_CYCLE_1)
	s_and_saveexec_b32 s6, s1
	s_cbranch_execz .LBB1023_7
; %bb.6:
	v_ashrrev_i32_e32 v9, 31, v8
	v_xor_b32_e32 v5, 0x80000000, v5
	s_delay_alu instid0(VALU_DEP_2) | instskip(NEXT) | instid1(VALU_DEP_1)
	v_lshlrev_b64 v[9:10], 3, v[8:9]
	v_add_co_u32 v9, s1, v12, v9
	s_delay_alu instid0(VALU_DEP_1)
	v_add_co_ci_u32_e64 v10, s1, v14, v10, s1
	global_store_b64 v[9:10], v[4:5], off
.LBB1023_7:
	s_or_b32 exec_lo, exec_lo, s6
	v_add_nc_u32_e32 v9, 16, v13
	s_delay_alu instid0(VALU_DEP_1) | instskip(SKIP_3) | instid1(VALU_DEP_4)
	v_ashrrev_i32_e32 v7, 31, v9
	v_mul_lo_u32 v10, v9, s5
	v_mad_u64_u32 v[4:5], null, v9, s4, 0
	v_cmp_le_i32_e64 s1, v9, v6
	v_mul_lo_u32 v7, v7, s4
	s_delay_alu instid0(VALU_DEP_1) | instskip(NEXT) | instid1(VALU_DEP_1)
	v_add3_u32 v5, v5, v10, v7
	v_lshlrev_b64 v[4:5], 3, v[4:5]
	s_delay_alu instid0(VALU_DEP_1) | instskip(NEXT) | instid1(VALU_DEP_1)
	v_add_co_u32 v4, s2, s2, v4
	v_add_co_ci_u32_e64 v5, s2, s3, v5, s2
	s_and_b32 s2, s1, vcc_lo
	s_delay_alu instid0(SALU_CYCLE_1)
	s_and_saveexec_b32 s1, s2
	s_cbranch_execz .LBB1023_9
; %bb.8:
	v_ashrrev_i32_e32 v7, 31, v6
	v_xor_b32_e32 v3, 0x80000000, v3
	s_delay_alu instid0(VALU_DEP_2) | instskip(NEXT) | instid1(VALU_DEP_1)
	v_lshlrev_b64 v[6:7], 3, v[6:7]
	v_add_co_u32 v6, vcc_lo, v4, v6
	s_delay_alu instid0(VALU_DEP_2)
	v_add_co_ci_u32_e32 v7, vcc_lo, v5, v7, vcc_lo
	global_store_b64 v[6:7], v[2:3], off
.LBB1023_9:
	s_or_b32 exec_lo, exec_lo, s1
	v_cmp_le_i32_e32 vcc_lo, v9, v8
	s_and_b32 s0, vcc_lo, s0
	s_delay_alu instid0(SALU_CYCLE_1)
	s_and_saveexec_b32 s1, s0
	s_cbranch_execz .LBB1023_11
; %bb.10:
	v_ashrrev_i32_e32 v9, 31, v8
	v_xor_b32_e32 v1, 0x80000000, v1
	s_delay_alu instid0(VALU_DEP_2) | instskip(NEXT) | instid1(VALU_DEP_1)
	v_lshlrev_b64 v[2:3], 3, v[8:9]
	v_add_co_u32 v2, vcc_lo, v4, v2
	s_delay_alu instid0(VALU_DEP_2)
	v_add_co_ci_u32_e32 v3, vcc_lo, v5, v3, vcc_lo
	global_store_b64 v[2:3], v[0:1], off
.LBB1023_11:
	s_nop 0
	s_sendmsg sendmsg(MSG_DEALLOC_VGPRS)
	s_endpgm
	.section	.rodata,"a",@progbits
	.p2align	6, 0x0
	.amdhsa_kernel _ZL37rocblas_syrkx_herkx_restricted_kernelIldLi16ELi32ELi8ELin1ELi0ELb0ELc78ELc76EKddEviT_PT9_S1_lS3_S1_lPT10_S1_li
		.amdhsa_group_segment_fixed_size 4096
		.amdhsa_private_segment_fixed_size 0
		.amdhsa_kernarg_size 92
		.amdhsa_user_sgpr_count 13
		.amdhsa_user_sgpr_dispatch_ptr 0
		.amdhsa_user_sgpr_queue_ptr 0
		.amdhsa_user_sgpr_kernarg_segment_ptr 1
		.amdhsa_user_sgpr_dispatch_id 0
		.amdhsa_user_sgpr_private_segment_size 0
		.amdhsa_wavefront_size32 1
		.amdhsa_uses_dynamic_stack 0
		.amdhsa_enable_private_segment 0
		.amdhsa_system_sgpr_workgroup_id_x 1
		.amdhsa_system_sgpr_workgroup_id_y 1
		.amdhsa_system_sgpr_workgroup_id_z 1
		.amdhsa_system_sgpr_workgroup_info 0
		.amdhsa_system_vgpr_workitem_id 1
		.amdhsa_next_free_vgpr 38
		.amdhsa_next_free_sgpr 32
		.amdhsa_reserve_vcc 1
		.amdhsa_float_round_mode_32 0
		.amdhsa_float_round_mode_16_64 0
		.amdhsa_float_denorm_mode_32 3
		.amdhsa_float_denorm_mode_16_64 3
		.amdhsa_dx10_clamp 1
		.amdhsa_ieee_mode 1
		.amdhsa_fp16_overflow 0
		.amdhsa_workgroup_processor_mode 1
		.amdhsa_memory_ordered 1
		.amdhsa_forward_progress 0
		.amdhsa_shared_vgpr_count 0
		.amdhsa_exception_fp_ieee_invalid_op 0
		.amdhsa_exception_fp_denorm_src 0
		.amdhsa_exception_fp_ieee_div_zero 0
		.amdhsa_exception_fp_ieee_overflow 0
		.amdhsa_exception_fp_ieee_underflow 0
		.amdhsa_exception_fp_ieee_inexact 0
		.amdhsa_exception_int_div_zero 0
	.end_amdhsa_kernel
	.section	.text._ZL37rocblas_syrkx_herkx_restricted_kernelIldLi16ELi32ELi8ELin1ELi0ELb0ELc78ELc76EKddEviT_PT9_S1_lS3_S1_lPT10_S1_li,"axG",@progbits,_ZL37rocblas_syrkx_herkx_restricted_kernelIldLi16ELi32ELi8ELin1ELi0ELb0ELc78ELc76EKddEviT_PT9_S1_lS3_S1_lPT10_S1_li,comdat
.Lfunc_end1023:
	.size	_ZL37rocblas_syrkx_herkx_restricted_kernelIldLi16ELi32ELi8ELin1ELi0ELb0ELc78ELc76EKddEviT_PT9_S1_lS3_S1_lPT10_S1_li, .Lfunc_end1023-_ZL37rocblas_syrkx_herkx_restricted_kernelIldLi16ELi32ELi8ELin1ELi0ELb0ELc78ELc76EKddEviT_PT9_S1_lS3_S1_lPT10_S1_li
                                        ; -- End function
	.section	.AMDGPU.csdata,"",@progbits
; Kernel info:
; codeLenInByte = 1468
; NumSgprs: 34
; NumVgprs: 38
; ScratchSize: 0
; MemoryBound: 0
; FloatMode: 240
; IeeeMode: 1
; LDSByteSize: 4096 bytes/workgroup (compile time only)
; SGPRBlocks: 4
; VGPRBlocks: 4
; NumSGPRsForWavesPerEU: 34
; NumVGPRsForWavesPerEU: 38
; Occupancy: 16
; WaveLimiterHint : 1
; COMPUTE_PGM_RSRC2:SCRATCH_EN: 0
; COMPUTE_PGM_RSRC2:USER_SGPR: 13
; COMPUTE_PGM_RSRC2:TRAP_HANDLER: 0
; COMPUTE_PGM_RSRC2:TGID_X_EN: 1
; COMPUTE_PGM_RSRC2:TGID_Y_EN: 1
; COMPUTE_PGM_RSRC2:TGID_Z_EN: 1
; COMPUTE_PGM_RSRC2:TIDIG_COMP_CNT: 1
	.section	.text._ZL37rocblas_syrkx_herkx_restricted_kernelIldLi16ELi32ELi8ELin1ELi0ELb0ELc84ELc85EKddEviT_PT9_S1_lS3_S1_lPT10_S1_li,"axG",@progbits,_ZL37rocblas_syrkx_herkx_restricted_kernelIldLi16ELi32ELi8ELin1ELi0ELb0ELc84ELc85EKddEviT_PT9_S1_lS3_S1_lPT10_S1_li,comdat
	.globl	_ZL37rocblas_syrkx_herkx_restricted_kernelIldLi16ELi32ELi8ELin1ELi0ELb0ELc84ELc85EKddEviT_PT9_S1_lS3_S1_lPT10_S1_li ; -- Begin function _ZL37rocblas_syrkx_herkx_restricted_kernelIldLi16ELi32ELi8ELin1ELi0ELb0ELc84ELc85EKddEviT_PT9_S1_lS3_S1_lPT10_S1_li
	.p2align	8
	.type	_ZL37rocblas_syrkx_herkx_restricted_kernelIldLi16ELi32ELi8ELin1ELi0ELb0ELc84ELc85EKddEviT_PT9_S1_lS3_S1_lPT10_S1_li,@function
_ZL37rocblas_syrkx_herkx_restricted_kernelIldLi16ELi32ELi8ELin1ELi0ELb0ELc84ELc85EKddEviT_PT9_S1_lS3_S1_lPT10_S1_li: ; @_ZL37rocblas_syrkx_herkx_restricted_kernelIldLi16ELi32ELi8ELin1ELi0ELb0ELc84ELc85EKddEviT_PT9_S1_lS3_S1_lPT10_S1_li
; %bb.0:
	s_load_b512 s[16:31], s[0:1], 0x8
	v_mov_b32_e32 v10, 0
	v_dual_mov_b32 v11, 0 :: v_dual_and_b32 v12, 0x3ff, v0
	v_bfe_u32 v13, v0, 10, 10
	s_delay_alu instid0(VALU_DEP_3) | instskip(NEXT) | instid1(VALU_DEP_3)
	v_mov_b32_e32 v6, v10
	v_dual_mov_b32 v2, v10 :: v_dual_mov_b32 v3, v11
	v_dual_mov_b32 v7, v11 :: v_dual_mov_b32 v0, v10
	v_mov_b32_e32 v1, v11
	s_lshl_b32 s8, s13, 5
	s_lshl_b32 s9, s14, 5
	s_waitcnt lgkmcnt(0)
	v_cmp_lt_i64_e64 s2, s[16:17], 1
	s_delay_alu instid0(VALU_DEP_1)
	s_and_b32 vcc_lo, exec_lo, s2
	s_cbranch_vccnz .LBB1024_3
; %bb.1:
	v_lshl_add_u32 v2, v13, 4, v12
	v_dual_mov_b32 v1, 0 :: v_dual_and_b32 v0, 7, v12
	v_lshlrev_b32_e32 v14, 3, v12
	s_mul_i32 s3, s23, s15
	s_delay_alu instid0(VALU_DEP_3)
	v_and_b32_e32 v8, 31, v2
	v_lshrrev_b32_e32 v9, 3, v2
	v_lshrrev_b32_e32 v2, 5, v2
	v_mov_b32_e32 v3, v1
	v_lshlrev_b32_e32 v11, 3, v0
	v_add_nc_u32_e32 v6, s8, v8
	v_add_nc_u32_e32 v10, s9, v9
	s_mul_hi_u32 s4, s22, s15
	s_mul_i32 s2, s22, s15
	s_add_i32 s3, s4, s3
	v_ashrrev_i32_e32 v7, 31, v6
	v_ashrrev_i32_e32 v15, 31, v10
	v_mad_u64_u32 v[4:5], null, s20, v6, v[2:3]
	v_mul_lo_u32 v3, s21, v6
	s_delay_alu instid0(VALU_DEP_4)
	v_mul_lo_u32 v16, s20, v7
	v_mul_lo_u32 v17, v10, s27
	v_mad_u64_u32 v[6:7], null, v10, s26, v[0:1]
	v_mul_lo_u32 v0, v15, s26
	v_lshlrev_b32_e32 v1, 3, v8
	s_lshl_b64 s[2:3], s[2:3], 3
	s_mul_hi_u32 s5, s28, s15
	v_add3_u32 v5, v3, v5, v16
	s_add_u32 s4, s18, s2
	v_lshl_or_b32 v15, v2, 8, v1
	s_mul_i32 s2, s29, s15
	v_add3_u32 v7, v0, v7, v17
	v_lshlrev_b64 v[0:1], 3, v[4:5]
	s_addc_u32 s6, s19, s3
	s_add_i32 s3, s5, s2
	s_mul_i32 s2, s28, s15
	v_lshlrev_b64 v[2:3], 3, v[6:7]
	s_lshl_b64 s[2:3], s[2:3], 3
	v_add_co_u32 v4, vcc_lo, s4, v0
	v_add_co_ci_u32_e32 v5, vcc_lo, s6, v1, vcc_lo
	v_mov_b32_e32 v0, 0
	v_lshl_or_b32 v8, v9, 6, v11
	v_mov_b32_e32 v1, 0
	s_add_u32 s2, s24, s2
	s_addc_u32 s3, s25, s3
	v_lshl_add_u32 v17, v13, 6, 0x800
	s_delay_alu instid0(VALU_DEP_2)
	v_dual_mov_b32 v11, v1 :: v_dual_add_nc_u32 v16, 0x800, v8
	v_add_co_u32 v8, vcc_lo, s2, v2
	v_add_co_ci_u32_e32 v9, vcc_lo, s3, v3, vcc_lo
	v_mov_b32_e32 v3, v1
	v_dual_mov_b32 v7, v1 :: v_dual_mov_b32 v2, v0
	v_mov_b32_e32 v6, v0
	v_mov_b32_e32 v10, v0
	s_mov_b64 s[2:3], 0
.LBB1024_2:                             ; =>This Inner Loop Header: Depth=1
	global_load_b64 v[18:19], v[4:5], off
	global_load_b64 v[20:21], v[8:9], off
	s_add_u32 s2, s2, 8
	v_add_co_u32 v4, vcc_lo, v4, 64
	s_addc_u32 s3, s3, 0
	v_add_co_ci_u32_e32 v5, vcc_lo, 0, v5, vcc_lo
	v_cmp_ge_u64_e64 s4, s[2:3], s[16:17]
	v_add_co_u32 v8, vcc_lo, v8, 64
	v_add_co_ci_u32_e32 v9, vcc_lo, 0, v9, vcc_lo
	s_waitcnt vmcnt(1)
	ds_store_b64 v15, v[18:19]
	s_waitcnt vmcnt(0)
	ds_store_b64 v16, v[20:21]
	s_waitcnt lgkmcnt(0)
	s_barrier
	buffer_gl0_inv
	ds_load_2addr_b64 v[18:21], v14 offset1:16
	ds_load_b128 v[22:25], v17
	ds_load_b128 v[26:29], v17 offset:1024
	ds_load_b128 v[30:33], v17 offset:16
	ds_load_b128 v[34:37], v17 offset:1040
	s_and_b32 vcc_lo, exec_lo, s4
	s_waitcnt lgkmcnt(3)
	v_fma_f64 v[10:11], v[18:19], v[22:23], v[10:11]
	v_fma_f64 v[6:7], v[20:21], v[22:23], v[6:7]
	s_waitcnt lgkmcnt(2)
	v_fma_f64 v[18:19], v[18:19], v[26:27], v[2:3]
	v_fma_f64 v[20:21], v[20:21], v[26:27], v[0:1]
	ds_load_2addr_b64 v[0:3], v14 offset0:32 offset1:48
	s_waitcnt lgkmcnt(0)
	v_fma_f64 v[10:11], v[0:1], v[24:25], v[10:11]
	v_fma_f64 v[6:7], v[2:3], v[24:25], v[6:7]
	v_fma_f64 v[18:19], v[0:1], v[28:29], v[18:19]
	v_fma_f64 v[20:21], v[2:3], v[28:29], v[20:21]
	ds_load_2addr_b64 v[0:3], v14 offset0:64 offset1:80
	s_waitcnt lgkmcnt(0)
	v_fma_f64 v[10:11], v[0:1], v[30:31], v[10:11]
	v_fma_f64 v[6:7], v[2:3], v[30:31], v[6:7]
	;; [unrolled: 6-line block ×3, first 2 shown]
	v_fma_f64 v[34:35], v[0:1], v[36:37], v[18:19]
	v_fma_f64 v[36:37], v[2:3], v[36:37], v[20:21]
	ds_load_2addr_b64 v[0:3], v14 offset0:128 offset1:144
	ds_load_b128 v[18:21], v17 offset:32
	ds_load_b128 v[22:25], v17 offset:1056
	;; [unrolled: 1-line block ×4, first 2 shown]
	s_waitcnt lgkmcnt(3)
	v_fma_f64 v[10:11], v[0:1], v[18:19], v[10:11]
	v_fma_f64 v[6:7], v[2:3], v[18:19], v[6:7]
	s_waitcnt lgkmcnt(2)
	v_fma_f64 v[18:19], v[0:1], v[22:23], v[34:35]
	v_fma_f64 v[22:23], v[2:3], v[22:23], v[36:37]
	ds_load_2addr_b64 v[0:3], v14 offset0:160 offset1:176
	s_waitcnt lgkmcnt(0)
	v_fma_f64 v[10:11], v[0:1], v[20:21], v[10:11]
	v_fma_f64 v[6:7], v[2:3], v[20:21], v[6:7]
	;; [unrolled: 1-line block ×4, first 2 shown]
	ds_load_2addr_b64 v[0:3], v14 offset0:192 offset1:208
	s_waitcnt lgkmcnt(0)
	v_fma_f64 v[10:11], v[0:1], v[26:27], v[10:11]
	v_fma_f64 v[6:7], v[2:3], v[26:27], v[6:7]
	;; [unrolled: 1-line block ×4, first 2 shown]
	ds_load_2addr_b64 v[18:21], v14 offset0:224 offset1:240
	s_waitcnt lgkmcnt(0)
	s_barrier
	buffer_gl0_inv
	v_fma_f64 v[10:11], v[18:19], v[28:29], v[10:11]
	v_fma_f64 v[6:7], v[20:21], v[28:29], v[6:7]
	v_fma_f64 v[2:3], v[18:19], v[32:33], v[0:1]
	v_fma_f64 v[0:1], v[20:21], v[32:33], v[22:23]
	s_cbranch_vccz .LBB1024_2
.LBB1024_3:
	s_clause 0x1
	s_load_b128 s[4:7], s[0:1], 0x48
	s_load_b32 s2, s[0:1], 0x0
	v_add_nc_u32_e32 v13, s9, v13
	s_delay_alu instid0(VALU_DEP_1) | instskip(SKIP_1) | instid1(VALU_DEP_1)
	v_ashrrev_i32_e32 v4, 31, v13
	s_waitcnt lgkmcnt(0)
	v_mul_lo_u32 v5, v4, s4
	v_mul_lo_u32 v14, v13, s5
	v_mad_u64_u32 v[8:9], null, v13, s4, 0
	s_mul_i32 s1, s15, s7
	s_mul_hi_u32 s3, s15, s6
	s_mul_i32 s6, s15, s6
	s_add_i32 s7, s3, s1
	v_add_nc_u32_e32 v4, s8, v12
	s_lshl_b64 s[6:7], s[6:7], 3
	s_delay_alu instid0(VALU_DEP_2)
	v_add3_u32 v9, v9, v14, v5
	s_add_u32 s3, s30, s6
	v_cmp_gt_i32_e32 vcc_lo, s2, v13
	v_cmp_le_i32_e64 s0, v4, v13
	s_addc_u32 s6, s31, s7
	v_lshlrev_b64 v[8:9], 3, v[8:9]
	s_delay_alu instid0(VALU_DEP_2) | instskip(NEXT) | instid1(VALU_DEP_1)
	s_and_b32 s0, vcc_lo, s0
	v_add_co_u32 v12, s1, s3, v8
	s_delay_alu instid0(VALU_DEP_1)
	v_add_co_ci_u32_e64 v14, s1, s6, v9, s1
	s_and_saveexec_b32 s1, s0
	s_cbranch_execz .LBB1024_5
; %bb.4:
	v_ashrrev_i32_e32 v5, 31, v4
	v_xor_b32_e32 v11, 0x80000000, v11
	s_delay_alu instid0(VALU_DEP_2) | instskip(NEXT) | instid1(VALU_DEP_1)
	v_lshlrev_b64 v[8:9], 3, v[4:5]
	v_add_co_u32 v8, s0, v12, v8
	s_delay_alu instid0(VALU_DEP_1)
	v_add_co_ci_u32_e64 v9, s0, v14, v9, s0
	global_store_b64 v[8:9], v[10:11], off
.LBB1024_5:
	s_or_b32 exec_lo, exec_lo, s1
	v_add_nc_u32_e32 v8, 16, v4
	s_delay_alu instid0(VALU_DEP_1) | instskip(NEXT) | instid1(VALU_DEP_1)
	v_cmp_le_i32_e64 s0, v8, v13
	s_and_b32 s1, vcc_lo, s0
	s_delay_alu instid0(SALU_CYCLE_1)
	s_and_saveexec_b32 s0, s1
	s_cbranch_execz .LBB1024_7
; %bb.6:
	v_ashrrev_i32_e32 v9, 31, v8
	v_xor_b32_e32 v7, 0x80000000, v7
	s_delay_alu instid0(VALU_DEP_2) | instskip(NEXT) | instid1(VALU_DEP_1)
	v_lshlrev_b64 v[9:10], 3, v[8:9]
	v_add_co_u32 v9, vcc_lo, v12, v9
	s_delay_alu instid0(VALU_DEP_2)
	v_add_co_ci_u32_e32 v10, vcc_lo, v14, v10, vcc_lo
	global_store_b64 v[9:10], v[6:7], off
.LBB1024_7:
	s_or_b32 exec_lo, exec_lo, s0
	v_add_nc_u32_e32 v9, 16, v13
	s_delay_alu instid0(VALU_DEP_1) | instskip(SKIP_3) | instid1(VALU_DEP_4)
	v_ashrrev_i32_e32 v7, 31, v9
	v_mul_lo_u32 v10, v9, s5
	v_mad_u64_u32 v[5:6], null, v9, s4, 0
	v_cmp_gt_i32_e32 vcc_lo, s2, v9
	v_mul_lo_u32 v7, v7, s4
	v_cmp_le_i32_e64 s0, v4, v9
	s_delay_alu instid0(VALU_DEP_1) | instskip(NEXT) | instid1(VALU_DEP_2)
	s_and_b32 s0, vcc_lo, s0
	v_add3_u32 v6, v6, v10, v7
	s_delay_alu instid0(VALU_DEP_1) | instskip(NEXT) | instid1(VALU_DEP_1)
	v_lshlrev_b64 v[6:7], 3, v[5:6]
	v_add_co_u32 v6, s1, s3, v6
	s_delay_alu instid0(VALU_DEP_1)
	v_add_co_ci_u32_e64 v7, s1, s6, v7, s1
	s_and_saveexec_b32 s1, s0
	s_cbranch_execz .LBB1024_9
; %bb.8:
	v_ashrrev_i32_e32 v5, 31, v4
	v_xor_b32_e32 v3, 0x80000000, v3
	s_delay_alu instid0(VALU_DEP_2) | instskip(NEXT) | instid1(VALU_DEP_1)
	v_lshlrev_b64 v[4:5], 3, v[4:5]
	v_add_co_u32 v4, s0, v6, v4
	s_delay_alu instid0(VALU_DEP_1)
	v_add_co_ci_u32_e64 v5, s0, v7, v5, s0
	global_store_b64 v[4:5], v[2:3], off
.LBB1024_9:
	s_or_b32 exec_lo, exec_lo, s1
	v_cmp_le_i32_e64 s0, v8, v9
	s_delay_alu instid0(VALU_DEP_1) | instskip(NEXT) | instid1(SALU_CYCLE_1)
	s_and_b32 s0, vcc_lo, s0
	s_and_saveexec_b32 s1, s0
	s_cbranch_execz .LBB1024_11
; %bb.10:
	v_ashrrev_i32_e32 v9, 31, v8
	v_xor_b32_e32 v1, 0x80000000, v1
	s_delay_alu instid0(VALU_DEP_2) | instskip(NEXT) | instid1(VALU_DEP_1)
	v_lshlrev_b64 v[2:3], 3, v[8:9]
	v_add_co_u32 v2, vcc_lo, v6, v2
	s_delay_alu instid0(VALU_DEP_2)
	v_add_co_ci_u32_e32 v3, vcc_lo, v7, v3, vcc_lo
	global_store_b64 v[2:3], v[0:1], off
.LBB1024_11:
	s_nop 0
	s_sendmsg sendmsg(MSG_DEALLOC_VGPRS)
	s_endpgm
	.section	.rodata,"a",@progbits
	.p2align	6, 0x0
	.amdhsa_kernel _ZL37rocblas_syrkx_herkx_restricted_kernelIldLi16ELi32ELi8ELin1ELi0ELb0ELc84ELc85EKddEviT_PT9_S1_lS3_S1_lPT10_S1_li
		.amdhsa_group_segment_fixed_size 4096
		.amdhsa_private_segment_fixed_size 0
		.amdhsa_kernarg_size 92
		.amdhsa_user_sgpr_count 13
		.amdhsa_user_sgpr_dispatch_ptr 0
		.amdhsa_user_sgpr_queue_ptr 0
		.amdhsa_user_sgpr_kernarg_segment_ptr 1
		.amdhsa_user_sgpr_dispatch_id 0
		.amdhsa_user_sgpr_private_segment_size 0
		.amdhsa_wavefront_size32 1
		.amdhsa_uses_dynamic_stack 0
		.amdhsa_enable_private_segment 0
		.amdhsa_system_sgpr_workgroup_id_x 1
		.amdhsa_system_sgpr_workgroup_id_y 1
		.amdhsa_system_sgpr_workgroup_id_z 1
		.amdhsa_system_sgpr_workgroup_info 0
		.amdhsa_system_vgpr_workitem_id 1
		.amdhsa_next_free_vgpr 38
		.amdhsa_next_free_sgpr 32
		.amdhsa_reserve_vcc 1
		.amdhsa_float_round_mode_32 0
		.amdhsa_float_round_mode_16_64 0
		.amdhsa_float_denorm_mode_32 3
		.amdhsa_float_denorm_mode_16_64 3
		.amdhsa_dx10_clamp 1
		.amdhsa_ieee_mode 1
		.amdhsa_fp16_overflow 0
		.amdhsa_workgroup_processor_mode 1
		.amdhsa_memory_ordered 1
		.amdhsa_forward_progress 0
		.amdhsa_shared_vgpr_count 0
		.amdhsa_exception_fp_ieee_invalid_op 0
		.amdhsa_exception_fp_denorm_src 0
		.amdhsa_exception_fp_ieee_div_zero 0
		.amdhsa_exception_fp_ieee_overflow 0
		.amdhsa_exception_fp_ieee_underflow 0
		.amdhsa_exception_fp_ieee_inexact 0
		.amdhsa_exception_int_div_zero 0
	.end_amdhsa_kernel
	.section	.text._ZL37rocblas_syrkx_herkx_restricted_kernelIldLi16ELi32ELi8ELin1ELi0ELb0ELc84ELc85EKddEviT_PT9_S1_lS3_S1_lPT10_S1_li,"axG",@progbits,_ZL37rocblas_syrkx_herkx_restricted_kernelIldLi16ELi32ELi8ELin1ELi0ELb0ELc84ELc85EKddEviT_PT9_S1_lS3_S1_lPT10_S1_li,comdat
.Lfunc_end1024:
	.size	_ZL37rocblas_syrkx_herkx_restricted_kernelIldLi16ELi32ELi8ELin1ELi0ELb0ELc84ELc85EKddEviT_PT9_S1_lS3_S1_lPT10_S1_li, .Lfunc_end1024-_ZL37rocblas_syrkx_herkx_restricted_kernelIldLi16ELi32ELi8ELin1ELi0ELb0ELc84ELc85EKddEviT_PT9_S1_lS3_S1_lPT10_S1_li
                                        ; -- End function
	.section	.AMDGPU.csdata,"",@progbits
; Kernel info:
; codeLenInByte = 1480
; NumSgprs: 34
; NumVgprs: 38
; ScratchSize: 0
; MemoryBound: 0
; FloatMode: 240
; IeeeMode: 1
; LDSByteSize: 4096 bytes/workgroup (compile time only)
; SGPRBlocks: 4
; VGPRBlocks: 4
; NumSGPRsForWavesPerEU: 34
; NumVGPRsForWavesPerEU: 38
; Occupancy: 16
; WaveLimiterHint : 1
; COMPUTE_PGM_RSRC2:SCRATCH_EN: 0
; COMPUTE_PGM_RSRC2:USER_SGPR: 13
; COMPUTE_PGM_RSRC2:TRAP_HANDLER: 0
; COMPUTE_PGM_RSRC2:TGID_X_EN: 1
; COMPUTE_PGM_RSRC2:TGID_Y_EN: 1
; COMPUTE_PGM_RSRC2:TGID_Z_EN: 1
; COMPUTE_PGM_RSRC2:TIDIG_COMP_CNT: 1
	.section	.text._ZL37rocblas_syrkx_herkx_restricted_kernelIldLi16ELi32ELi8ELin1ELi0ELb0ELc67ELc85EKddEviT_PT9_S1_lS3_S1_lPT10_S1_li,"axG",@progbits,_ZL37rocblas_syrkx_herkx_restricted_kernelIldLi16ELi32ELi8ELin1ELi0ELb0ELc67ELc85EKddEviT_PT9_S1_lS3_S1_lPT10_S1_li,comdat
	.globl	_ZL37rocblas_syrkx_herkx_restricted_kernelIldLi16ELi32ELi8ELin1ELi0ELb0ELc67ELc85EKddEviT_PT9_S1_lS3_S1_lPT10_S1_li ; -- Begin function _ZL37rocblas_syrkx_herkx_restricted_kernelIldLi16ELi32ELi8ELin1ELi0ELb0ELc67ELc85EKddEviT_PT9_S1_lS3_S1_lPT10_S1_li
	.p2align	8
	.type	_ZL37rocblas_syrkx_herkx_restricted_kernelIldLi16ELi32ELi8ELin1ELi0ELb0ELc67ELc85EKddEviT_PT9_S1_lS3_S1_lPT10_S1_li,@function
_ZL37rocblas_syrkx_herkx_restricted_kernelIldLi16ELi32ELi8ELin1ELi0ELb0ELc67ELc85EKddEviT_PT9_S1_lS3_S1_lPT10_S1_li: ; @_ZL37rocblas_syrkx_herkx_restricted_kernelIldLi16ELi32ELi8ELin1ELi0ELb0ELc67ELc85EKddEviT_PT9_S1_lS3_S1_lPT10_S1_li
; %bb.0:
	s_load_b512 s[16:31], s[0:1], 0x8
	v_mov_b32_e32 v10, 0
	v_dual_mov_b32 v11, 0 :: v_dual_and_b32 v12, 0x3ff, v0
	v_bfe_u32 v13, v0, 10, 10
	s_delay_alu instid0(VALU_DEP_3) | instskip(NEXT) | instid1(VALU_DEP_3)
	v_mov_b32_e32 v6, v10
	v_dual_mov_b32 v2, v10 :: v_dual_mov_b32 v3, v11
	v_dual_mov_b32 v7, v11 :: v_dual_mov_b32 v0, v10
	v_mov_b32_e32 v1, v11
	s_lshl_b32 s8, s13, 5
	s_lshl_b32 s9, s14, 5
	s_waitcnt lgkmcnt(0)
	v_cmp_lt_i64_e64 s2, s[16:17], 1
	s_delay_alu instid0(VALU_DEP_1)
	s_and_b32 vcc_lo, exec_lo, s2
	s_cbranch_vccnz .LBB1025_3
; %bb.1:
	v_lshl_add_u32 v2, v13, 4, v12
	v_dual_mov_b32 v1, 0 :: v_dual_and_b32 v0, 7, v12
	v_lshlrev_b32_e32 v14, 3, v12
	s_mul_i32 s3, s23, s15
	s_delay_alu instid0(VALU_DEP_3)
	v_and_b32_e32 v8, 31, v2
	v_lshrrev_b32_e32 v9, 3, v2
	v_lshrrev_b32_e32 v2, 5, v2
	v_mov_b32_e32 v3, v1
	v_lshlrev_b32_e32 v11, 3, v0
	v_add_nc_u32_e32 v6, s8, v8
	v_add_nc_u32_e32 v10, s9, v9
	s_mul_hi_u32 s4, s22, s15
	s_mul_i32 s2, s22, s15
	s_add_i32 s3, s4, s3
	v_ashrrev_i32_e32 v7, 31, v6
	v_ashrrev_i32_e32 v15, 31, v10
	v_mad_u64_u32 v[4:5], null, s20, v6, v[2:3]
	v_mul_lo_u32 v3, s21, v6
	s_delay_alu instid0(VALU_DEP_4)
	v_mul_lo_u32 v16, s20, v7
	v_mul_lo_u32 v17, v10, s27
	v_mad_u64_u32 v[6:7], null, v10, s26, v[0:1]
	v_mul_lo_u32 v0, v15, s26
	v_lshlrev_b32_e32 v1, 3, v8
	s_lshl_b64 s[2:3], s[2:3], 3
	s_mul_hi_u32 s5, s28, s15
	v_add3_u32 v5, v3, v5, v16
	s_add_u32 s4, s18, s2
	v_lshl_or_b32 v15, v2, 8, v1
	s_mul_i32 s2, s29, s15
	v_add3_u32 v7, v0, v7, v17
	v_lshlrev_b64 v[0:1], 3, v[4:5]
	s_addc_u32 s6, s19, s3
	s_add_i32 s3, s5, s2
	s_mul_i32 s2, s28, s15
	v_lshlrev_b64 v[2:3], 3, v[6:7]
	s_lshl_b64 s[2:3], s[2:3], 3
	v_add_co_u32 v4, vcc_lo, s4, v0
	v_add_co_ci_u32_e32 v5, vcc_lo, s6, v1, vcc_lo
	v_mov_b32_e32 v0, 0
	v_lshl_or_b32 v8, v9, 6, v11
	v_mov_b32_e32 v1, 0
	s_add_u32 s2, s24, s2
	s_addc_u32 s3, s25, s3
	v_lshl_add_u32 v17, v13, 6, 0x800
	s_delay_alu instid0(VALU_DEP_2)
	v_dual_mov_b32 v11, v1 :: v_dual_add_nc_u32 v16, 0x800, v8
	v_add_co_u32 v8, vcc_lo, s2, v2
	v_add_co_ci_u32_e32 v9, vcc_lo, s3, v3, vcc_lo
	v_mov_b32_e32 v3, v1
	v_dual_mov_b32 v7, v1 :: v_dual_mov_b32 v2, v0
	v_mov_b32_e32 v6, v0
	v_mov_b32_e32 v10, v0
	s_mov_b64 s[2:3], 0
.LBB1025_2:                             ; =>This Inner Loop Header: Depth=1
	global_load_b64 v[18:19], v[4:5], off
	global_load_b64 v[20:21], v[8:9], off
	s_add_u32 s2, s2, 8
	v_add_co_u32 v4, vcc_lo, v4, 64
	s_addc_u32 s3, s3, 0
	v_add_co_ci_u32_e32 v5, vcc_lo, 0, v5, vcc_lo
	v_cmp_ge_u64_e64 s4, s[2:3], s[16:17]
	v_add_co_u32 v8, vcc_lo, v8, 64
	v_add_co_ci_u32_e32 v9, vcc_lo, 0, v9, vcc_lo
	s_waitcnt vmcnt(1)
	ds_store_b64 v15, v[18:19]
	s_waitcnt vmcnt(0)
	ds_store_b64 v16, v[20:21]
	s_waitcnt lgkmcnt(0)
	s_barrier
	buffer_gl0_inv
	ds_load_2addr_b64 v[18:21], v14 offset1:16
	ds_load_b128 v[22:25], v17
	ds_load_b128 v[26:29], v17 offset:1024
	ds_load_b128 v[30:33], v17 offset:16
	;; [unrolled: 1-line block ×3, first 2 shown]
	s_and_b32 vcc_lo, exec_lo, s4
	s_waitcnt lgkmcnt(3)
	v_fma_f64 v[10:11], v[18:19], v[22:23], v[10:11]
	v_fma_f64 v[6:7], v[20:21], v[22:23], v[6:7]
	s_waitcnt lgkmcnt(2)
	v_fma_f64 v[18:19], v[18:19], v[26:27], v[2:3]
	v_fma_f64 v[20:21], v[20:21], v[26:27], v[0:1]
	ds_load_2addr_b64 v[0:3], v14 offset0:32 offset1:48
	s_waitcnt lgkmcnt(0)
	v_fma_f64 v[10:11], v[0:1], v[24:25], v[10:11]
	v_fma_f64 v[6:7], v[2:3], v[24:25], v[6:7]
	v_fma_f64 v[18:19], v[0:1], v[28:29], v[18:19]
	v_fma_f64 v[20:21], v[2:3], v[28:29], v[20:21]
	ds_load_2addr_b64 v[0:3], v14 offset0:64 offset1:80
	s_waitcnt lgkmcnt(0)
	v_fma_f64 v[10:11], v[0:1], v[30:31], v[10:11]
	v_fma_f64 v[6:7], v[2:3], v[30:31], v[6:7]
	;; [unrolled: 6-line block ×3, first 2 shown]
	v_fma_f64 v[34:35], v[0:1], v[36:37], v[18:19]
	v_fma_f64 v[36:37], v[2:3], v[36:37], v[20:21]
	ds_load_2addr_b64 v[0:3], v14 offset0:128 offset1:144
	ds_load_b128 v[18:21], v17 offset:32
	ds_load_b128 v[22:25], v17 offset:1056
	;; [unrolled: 1-line block ×4, first 2 shown]
	s_waitcnt lgkmcnt(3)
	v_fma_f64 v[10:11], v[0:1], v[18:19], v[10:11]
	v_fma_f64 v[6:7], v[2:3], v[18:19], v[6:7]
	s_waitcnt lgkmcnt(2)
	v_fma_f64 v[18:19], v[0:1], v[22:23], v[34:35]
	v_fma_f64 v[22:23], v[2:3], v[22:23], v[36:37]
	ds_load_2addr_b64 v[0:3], v14 offset0:160 offset1:176
	s_waitcnt lgkmcnt(0)
	v_fma_f64 v[10:11], v[0:1], v[20:21], v[10:11]
	v_fma_f64 v[6:7], v[2:3], v[20:21], v[6:7]
	;; [unrolled: 1-line block ×4, first 2 shown]
	ds_load_2addr_b64 v[0:3], v14 offset0:192 offset1:208
	s_waitcnt lgkmcnt(0)
	v_fma_f64 v[10:11], v[0:1], v[26:27], v[10:11]
	v_fma_f64 v[6:7], v[2:3], v[26:27], v[6:7]
	;; [unrolled: 1-line block ×4, first 2 shown]
	ds_load_2addr_b64 v[18:21], v14 offset0:224 offset1:240
	s_waitcnt lgkmcnt(0)
	s_barrier
	buffer_gl0_inv
	v_fma_f64 v[10:11], v[18:19], v[28:29], v[10:11]
	v_fma_f64 v[6:7], v[20:21], v[28:29], v[6:7]
	;; [unrolled: 1-line block ×4, first 2 shown]
	s_cbranch_vccz .LBB1025_2
.LBB1025_3:
	s_clause 0x1
	s_load_b128 s[4:7], s[0:1], 0x48
	s_load_b32 s2, s[0:1], 0x0
	v_add_nc_u32_e32 v13, s9, v13
	s_delay_alu instid0(VALU_DEP_1) | instskip(SKIP_1) | instid1(VALU_DEP_1)
	v_ashrrev_i32_e32 v4, 31, v13
	s_waitcnt lgkmcnt(0)
	v_mul_lo_u32 v5, v4, s4
	v_mul_lo_u32 v14, v13, s5
	v_mad_u64_u32 v[8:9], null, v13, s4, 0
	s_mul_i32 s1, s15, s7
	s_mul_hi_u32 s3, s15, s6
	s_mul_i32 s6, s15, s6
	s_add_i32 s7, s3, s1
	v_add_nc_u32_e32 v4, s8, v12
	s_lshl_b64 s[6:7], s[6:7], 3
	s_delay_alu instid0(VALU_DEP_2)
	v_add3_u32 v9, v9, v14, v5
	s_add_u32 s3, s30, s6
	v_cmp_gt_i32_e32 vcc_lo, s2, v13
	v_cmp_le_i32_e64 s0, v4, v13
	s_addc_u32 s6, s31, s7
	v_lshlrev_b64 v[8:9], 3, v[8:9]
	s_delay_alu instid0(VALU_DEP_2) | instskip(NEXT) | instid1(VALU_DEP_1)
	s_and_b32 s0, vcc_lo, s0
	v_add_co_u32 v12, s1, s3, v8
	s_delay_alu instid0(VALU_DEP_1)
	v_add_co_ci_u32_e64 v14, s1, s6, v9, s1
	s_and_saveexec_b32 s1, s0
	s_cbranch_execz .LBB1025_5
; %bb.4:
	v_ashrrev_i32_e32 v5, 31, v4
	v_xor_b32_e32 v11, 0x80000000, v11
	s_delay_alu instid0(VALU_DEP_2) | instskip(NEXT) | instid1(VALU_DEP_1)
	v_lshlrev_b64 v[8:9], 3, v[4:5]
	v_add_co_u32 v8, s0, v12, v8
	s_delay_alu instid0(VALU_DEP_1)
	v_add_co_ci_u32_e64 v9, s0, v14, v9, s0
	global_store_b64 v[8:9], v[10:11], off
.LBB1025_5:
	s_or_b32 exec_lo, exec_lo, s1
	v_add_nc_u32_e32 v8, 16, v4
	s_delay_alu instid0(VALU_DEP_1) | instskip(NEXT) | instid1(VALU_DEP_1)
	v_cmp_le_i32_e64 s0, v8, v13
	s_and_b32 s1, vcc_lo, s0
	s_delay_alu instid0(SALU_CYCLE_1)
	s_and_saveexec_b32 s0, s1
	s_cbranch_execz .LBB1025_7
; %bb.6:
	v_ashrrev_i32_e32 v9, 31, v8
	v_xor_b32_e32 v7, 0x80000000, v7
	s_delay_alu instid0(VALU_DEP_2) | instskip(NEXT) | instid1(VALU_DEP_1)
	v_lshlrev_b64 v[9:10], 3, v[8:9]
	v_add_co_u32 v9, vcc_lo, v12, v9
	s_delay_alu instid0(VALU_DEP_2)
	v_add_co_ci_u32_e32 v10, vcc_lo, v14, v10, vcc_lo
	global_store_b64 v[9:10], v[6:7], off
.LBB1025_7:
	s_or_b32 exec_lo, exec_lo, s0
	v_add_nc_u32_e32 v9, 16, v13
	s_delay_alu instid0(VALU_DEP_1) | instskip(SKIP_3) | instid1(VALU_DEP_4)
	v_ashrrev_i32_e32 v7, 31, v9
	v_mul_lo_u32 v10, v9, s5
	v_mad_u64_u32 v[5:6], null, v9, s4, 0
	v_cmp_gt_i32_e32 vcc_lo, s2, v9
	v_mul_lo_u32 v7, v7, s4
	v_cmp_le_i32_e64 s0, v4, v9
	s_delay_alu instid0(VALU_DEP_1) | instskip(NEXT) | instid1(VALU_DEP_2)
	s_and_b32 s0, vcc_lo, s0
	v_add3_u32 v6, v6, v10, v7
	s_delay_alu instid0(VALU_DEP_1) | instskip(NEXT) | instid1(VALU_DEP_1)
	v_lshlrev_b64 v[6:7], 3, v[5:6]
	v_add_co_u32 v6, s1, s3, v6
	s_delay_alu instid0(VALU_DEP_1)
	v_add_co_ci_u32_e64 v7, s1, s6, v7, s1
	s_and_saveexec_b32 s1, s0
	s_cbranch_execz .LBB1025_9
; %bb.8:
	v_ashrrev_i32_e32 v5, 31, v4
	v_xor_b32_e32 v3, 0x80000000, v3
	s_delay_alu instid0(VALU_DEP_2) | instskip(NEXT) | instid1(VALU_DEP_1)
	v_lshlrev_b64 v[4:5], 3, v[4:5]
	v_add_co_u32 v4, s0, v6, v4
	s_delay_alu instid0(VALU_DEP_1)
	v_add_co_ci_u32_e64 v5, s0, v7, v5, s0
	global_store_b64 v[4:5], v[2:3], off
.LBB1025_9:
	s_or_b32 exec_lo, exec_lo, s1
	v_cmp_le_i32_e64 s0, v8, v9
	s_delay_alu instid0(VALU_DEP_1) | instskip(NEXT) | instid1(SALU_CYCLE_1)
	s_and_b32 s0, vcc_lo, s0
	s_and_saveexec_b32 s1, s0
	s_cbranch_execz .LBB1025_11
; %bb.10:
	v_ashrrev_i32_e32 v9, 31, v8
	v_xor_b32_e32 v1, 0x80000000, v1
	s_delay_alu instid0(VALU_DEP_2) | instskip(NEXT) | instid1(VALU_DEP_1)
	v_lshlrev_b64 v[2:3], 3, v[8:9]
	v_add_co_u32 v2, vcc_lo, v6, v2
	s_delay_alu instid0(VALU_DEP_2)
	v_add_co_ci_u32_e32 v3, vcc_lo, v7, v3, vcc_lo
	global_store_b64 v[2:3], v[0:1], off
.LBB1025_11:
	s_nop 0
	s_sendmsg sendmsg(MSG_DEALLOC_VGPRS)
	s_endpgm
	.section	.rodata,"a",@progbits
	.p2align	6, 0x0
	.amdhsa_kernel _ZL37rocblas_syrkx_herkx_restricted_kernelIldLi16ELi32ELi8ELin1ELi0ELb0ELc67ELc85EKddEviT_PT9_S1_lS3_S1_lPT10_S1_li
		.amdhsa_group_segment_fixed_size 4096
		.amdhsa_private_segment_fixed_size 0
		.amdhsa_kernarg_size 92
		.amdhsa_user_sgpr_count 13
		.amdhsa_user_sgpr_dispatch_ptr 0
		.amdhsa_user_sgpr_queue_ptr 0
		.amdhsa_user_sgpr_kernarg_segment_ptr 1
		.amdhsa_user_sgpr_dispatch_id 0
		.amdhsa_user_sgpr_private_segment_size 0
		.amdhsa_wavefront_size32 1
		.amdhsa_uses_dynamic_stack 0
		.amdhsa_enable_private_segment 0
		.amdhsa_system_sgpr_workgroup_id_x 1
		.amdhsa_system_sgpr_workgroup_id_y 1
		.amdhsa_system_sgpr_workgroup_id_z 1
		.amdhsa_system_sgpr_workgroup_info 0
		.amdhsa_system_vgpr_workitem_id 1
		.amdhsa_next_free_vgpr 38
		.amdhsa_next_free_sgpr 32
		.amdhsa_reserve_vcc 1
		.amdhsa_float_round_mode_32 0
		.amdhsa_float_round_mode_16_64 0
		.amdhsa_float_denorm_mode_32 3
		.amdhsa_float_denorm_mode_16_64 3
		.amdhsa_dx10_clamp 1
		.amdhsa_ieee_mode 1
		.amdhsa_fp16_overflow 0
		.amdhsa_workgroup_processor_mode 1
		.amdhsa_memory_ordered 1
		.amdhsa_forward_progress 0
		.amdhsa_shared_vgpr_count 0
		.amdhsa_exception_fp_ieee_invalid_op 0
		.amdhsa_exception_fp_denorm_src 0
		.amdhsa_exception_fp_ieee_div_zero 0
		.amdhsa_exception_fp_ieee_overflow 0
		.amdhsa_exception_fp_ieee_underflow 0
		.amdhsa_exception_fp_ieee_inexact 0
		.amdhsa_exception_int_div_zero 0
	.end_amdhsa_kernel
	.section	.text._ZL37rocblas_syrkx_herkx_restricted_kernelIldLi16ELi32ELi8ELin1ELi0ELb0ELc67ELc85EKddEviT_PT9_S1_lS3_S1_lPT10_S1_li,"axG",@progbits,_ZL37rocblas_syrkx_herkx_restricted_kernelIldLi16ELi32ELi8ELin1ELi0ELb0ELc67ELc85EKddEviT_PT9_S1_lS3_S1_lPT10_S1_li,comdat
.Lfunc_end1025:
	.size	_ZL37rocblas_syrkx_herkx_restricted_kernelIldLi16ELi32ELi8ELin1ELi0ELb0ELc67ELc85EKddEviT_PT9_S1_lS3_S1_lPT10_S1_li, .Lfunc_end1025-_ZL37rocblas_syrkx_herkx_restricted_kernelIldLi16ELi32ELi8ELin1ELi0ELb0ELc67ELc85EKddEviT_PT9_S1_lS3_S1_lPT10_S1_li
                                        ; -- End function
	.section	.AMDGPU.csdata,"",@progbits
; Kernel info:
; codeLenInByte = 1480
; NumSgprs: 34
; NumVgprs: 38
; ScratchSize: 0
; MemoryBound: 0
; FloatMode: 240
; IeeeMode: 1
; LDSByteSize: 4096 bytes/workgroup (compile time only)
; SGPRBlocks: 4
; VGPRBlocks: 4
; NumSGPRsForWavesPerEU: 34
; NumVGPRsForWavesPerEU: 38
; Occupancy: 16
; WaveLimiterHint : 1
; COMPUTE_PGM_RSRC2:SCRATCH_EN: 0
; COMPUTE_PGM_RSRC2:USER_SGPR: 13
; COMPUTE_PGM_RSRC2:TRAP_HANDLER: 0
; COMPUTE_PGM_RSRC2:TGID_X_EN: 1
; COMPUTE_PGM_RSRC2:TGID_Y_EN: 1
; COMPUTE_PGM_RSRC2:TGID_Z_EN: 1
; COMPUTE_PGM_RSRC2:TIDIG_COMP_CNT: 1
	.section	.text._ZL37rocblas_syrkx_herkx_restricted_kernelIldLi16ELi32ELi8ELin1ELi0ELb0ELc78ELc85EKddEviT_PT9_S1_lS3_S1_lPT10_S1_li,"axG",@progbits,_ZL37rocblas_syrkx_herkx_restricted_kernelIldLi16ELi32ELi8ELin1ELi0ELb0ELc78ELc85EKddEviT_PT9_S1_lS3_S1_lPT10_S1_li,comdat
	.globl	_ZL37rocblas_syrkx_herkx_restricted_kernelIldLi16ELi32ELi8ELin1ELi0ELb0ELc78ELc85EKddEviT_PT9_S1_lS3_S1_lPT10_S1_li ; -- Begin function _ZL37rocblas_syrkx_herkx_restricted_kernelIldLi16ELi32ELi8ELin1ELi0ELb0ELc78ELc85EKddEviT_PT9_S1_lS3_S1_lPT10_S1_li
	.p2align	8
	.type	_ZL37rocblas_syrkx_herkx_restricted_kernelIldLi16ELi32ELi8ELin1ELi0ELb0ELc78ELc85EKddEviT_PT9_S1_lS3_S1_lPT10_S1_li,@function
_ZL37rocblas_syrkx_herkx_restricted_kernelIldLi16ELi32ELi8ELin1ELi0ELb0ELc78ELc85EKddEviT_PT9_S1_lS3_S1_lPT10_S1_li: ; @_ZL37rocblas_syrkx_herkx_restricted_kernelIldLi16ELi32ELi8ELin1ELi0ELb0ELc78ELc85EKddEviT_PT9_S1_lS3_S1_lPT10_S1_li
; %bb.0:
	s_load_b512 s[16:31], s[0:1], 0x8
	v_mov_b32_e32 v10, 0
	v_dual_mov_b32 v11, 0 :: v_dual_and_b32 v12, 0x3ff, v0
	v_bfe_u32 v13, v0, 10, 10
	s_delay_alu instid0(VALU_DEP_3) | instskip(NEXT) | instid1(VALU_DEP_3)
	v_mov_b32_e32 v4, v10
	v_dual_mov_b32 v2, v10 :: v_dual_mov_b32 v3, v11
	v_dual_mov_b32 v5, v11 :: v_dual_mov_b32 v0, v10
	v_mov_b32_e32 v1, v11
	s_lshl_b32 s8, s13, 5
	s_lshl_b32 s9, s14, 5
	s_waitcnt lgkmcnt(0)
	v_cmp_lt_i64_e64 s2, s[16:17], 1
	s_delay_alu instid0(VALU_DEP_1)
	s_and_b32 vcc_lo, exec_lo, s2
	s_cbranch_vccnz .LBB1026_3
; %bb.1:
	v_lshl_add_u32 v1, v13, 4, v12
	v_and_b32_e32 v11, 7, v12
	s_mul_i32 s3, s23, s15
	s_mul_hi_u32 s5, s22, s15
	s_mul_i32 s2, s22, s15
	v_and_b32_e32 v10, 31, v1
	v_lshrrev_b32_e32 v16, 3, v1
	v_lshrrev_b32_e32 v17, 5, v1
	s_add_i32 s3, s5, s3
	s_mul_i32 s6, s29, s15
	v_add_nc_u32_e32 v0, s8, v10
	v_add_nc_u32_e32 v2, s9, v16
	s_lshl_b64 s[2:3], s[2:3], 3
	s_mul_hi_u32 s7, s28, s15
	s_add_u32 s10, s18, s2
	v_ashrrev_i32_e32 v1, 31, v0
	v_ashrrev_i32_e32 v3, 31, v2
	s_mul_i32 s4, s28, s15
	s_addc_u32 s11, s19, s3
	s_add_i32 s5, s7, s6
	v_mad_u64_u32 v[4:5], null, v17, s20, v[0:1]
	v_mov_b32_e32 v0, 0
	v_mad_u64_u32 v[6:7], null, v11, s26, v[2:3]
	v_dual_mov_b32 v1, 0 :: v_dual_lshlrev_b32 v14, 3, v12
	v_lshlrev_b32_e32 v18, 3, v11
	v_mov_b32_e32 v2, v5
	s_lshl_b64 s[4:5], s[4:5], 3
	s_lshl_b64 s[2:3], s[20:21], 6
	s_delay_alu instid0(VALU_DEP_4)
	v_mov_b32_e32 v3, v7
	s_add_u32 s4, s24, s4
	s_addc_u32 s5, s25, s5
	v_lshl_add_u32 v15, v13, 6, 0x800
	s_mov_b64 s[6:7], 0
	v_mad_u64_u32 v[7:8], null, v17, s21, v[2:3]
	v_mad_u64_u32 v[8:9], null, v11, s27, v[3:4]
	v_lshlrev_b32_e32 v9, 3, v10
	s_delay_alu instid0(VALU_DEP_3) | instskip(NEXT) | instid1(VALU_DEP_3)
	v_mov_b32_e32 v5, v7
	v_mov_b32_e32 v7, v8
	s_delay_alu instid0(VALU_DEP_2) | instskip(NEXT) | instid1(VALU_DEP_2)
	v_lshlrev_b64 v[2:3], 3, v[4:5]
	v_lshlrev_b64 v[4:5], 3, v[6:7]
	s_delay_alu instid0(VALU_DEP_2) | instskip(NEXT) | instid1(VALU_DEP_3)
	v_add_co_u32 v6, vcc_lo, s10, v2
	v_add_co_ci_u32_e32 v7, vcc_lo, s11, v3, vcc_lo
	v_mov_b32_e32 v3, v1
	v_lshl_or_b32 v10, v16, 6, v18
	v_add_co_u32 v8, vcc_lo, s4, v4
	v_lshl_or_b32 v16, v17, 8, v9
	v_add_co_ci_u32_e32 v9, vcc_lo, s5, v5, vcc_lo
	s_delay_alu instid0(VALU_DEP_4)
	v_dual_mov_b32 v2, v0 :: v_dual_add_nc_u32 v17, 0x800, v10
	v_dual_mov_b32 v5, v1 :: v_dual_mov_b32 v4, v0
	v_dual_mov_b32 v11, v1 :: v_dual_mov_b32 v10, v0
	s_lshl_b64 s[4:5], s[26:27], 6
.LBB1026_2:                             ; =>This Inner Loop Header: Depth=1
	global_load_b64 v[18:19], v[6:7], off
	global_load_b64 v[20:21], v[8:9], off
	s_add_u32 s6, s6, 8
	v_add_co_u32 v6, vcc_lo, v6, s2
	s_addc_u32 s7, s7, 0
	v_add_co_ci_u32_e32 v7, vcc_lo, s3, v7, vcc_lo
	v_cmp_ge_u64_e64 s10, s[6:7], s[16:17]
	v_add_co_u32 v8, vcc_lo, v8, s4
	v_add_co_ci_u32_e32 v9, vcc_lo, s5, v9, vcc_lo
	s_waitcnt vmcnt(1)
	ds_store_b64 v16, v[18:19]
	s_waitcnt vmcnt(0)
	ds_store_b64 v17, v[20:21]
	s_waitcnt lgkmcnt(0)
	s_barrier
	buffer_gl0_inv
	ds_load_2addr_b64 v[18:21], v14 offset1:16
	ds_load_b128 v[22:25], v15
	ds_load_b128 v[26:29], v15 offset:1024
	ds_load_b128 v[30:33], v15 offset:16
	;; [unrolled: 1-line block ×3, first 2 shown]
	s_and_b32 vcc_lo, exec_lo, s10
	s_waitcnt lgkmcnt(3)
	v_fma_f64 v[10:11], v[18:19], v[22:23], v[10:11]
	v_fma_f64 v[4:5], v[20:21], v[22:23], v[4:5]
	s_waitcnt lgkmcnt(2)
	v_fma_f64 v[18:19], v[18:19], v[26:27], v[2:3]
	v_fma_f64 v[20:21], v[20:21], v[26:27], v[0:1]
	ds_load_2addr_b64 v[0:3], v14 offset0:32 offset1:48
	s_waitcnt lgkmcnt(0)
	v_fma_f64 v[10:11], v[0:1], v[24:25], v[10:11]
	v_fma_f64 v[4:5], v[2:3], v[24:25], v[4:5]
	v_fma_f64 v[18:19], v[0:1], v[28:29], v[18:19]
	v_fma_f64 v[20:21], v[2:3], v[28:29], v[20:21]
	ds_load_2addr_b64 v[0:3], v14 offset0:64 offset1:80
	s_waitcnt lgkmcnt(0)
	v_fma_f64 v[10:11], v[0:1], v[30:31], v[10:11]
	v_fma_f64 v[4:5], v[2:3], v[30:31], v[4:5]
	;; [unrolled: 6-line block ×3, first 2 shown]
	v_fma_f64 v[34:35], v[0:1], v[36:37], v[18:19]
	v_fma_f64 v[36:37], v[2:3], v[36:37], v[20:21]
	ds_load_2addr_b64 v[0:3], v14 offset0:128 offset1:144
	ds_load_b128 v[18:21], v15 offset:32
	ds_load_b128 v[22:25], v15 offset:1056
	;; [unrolled: 1-line block ×4, first 2 shown]
	s_waitcnt lgkmcnt(3)
	v_fma_f64 v[10:11], v[0:1], v[18:19], v[10:11]
	v_fma_f64 v[4:5], v[2:3], v[18:19], v[4:5]
	s_waitcnt lgkmcnt(2)
	v_fma_f64 v[18:19], v[0:1], v[22:23], v[34:35]
	v_fma_f64 v[22:23], v[2:3], v[22:23], v[36:37]
	ds_load_2addr_b64 v[0:3], v14 offset0:160 offset1:176
	s_waitcnt lgkmcnt(0)
	v_fma_f64 v[10:11], v[0:1], v[20:21], v[10:11]
	v_fma_f64 v[4:5], v[2:3], v[20:21], v[4:5]
	;; [unrolled: 1-line block ×4, first 2 shown]
	ds_load_2addr_b64 v[0:3], v14 offset0:192 offset1:208
	s_waitcnt lgkmcnt(0)
	v_fma_f64 v[10:11], v[0:1], v[26:27], v[10:11]
	v_fma_f64 v[4:5], v[2:3], v[26:27], v[4:5]
	;; [unrolled: 1-line block ×4, first 2 shown]
	ds_load_2addr_b64 v[18:21], v14 offset0:224 offset1:240
	s_waitcnt lgkmcnt(0)
	s_barrier
	buffer_gl0_inv
	v_fma_f64 v[10:11], v[18:19], v[28:29], v[10:11]
	v_fma_f64 v[4:5], v[20:21], v[28:29], v[4:5]
	;; [unrolled: 1-line block ×4, first 2 shown]
	s_cbranch_vccz .LBB1026_2
.LBB1026_3:
	s_clause 0x1
	s_load_b128 s[4:7], s[0:1], 0x48
	s_load_b32 s2, s[0:1], 0x0
	v_add_nc_u32_e32 v13, s9, v13
	s_delay_alu instid0(VALU_DEP_1) | instskip(SKIP_1) | instid1(VALU_DEP_1)
	v_ashrrev_i32_e32 v6, 31, v13
	s_waitcnt lgkmcnt(0)
	v_mul_lo_u32 v9, v6, s4
	v_mul_lo_u32 v14, v13, s5
	v_mad_u64_u32 v[7:8], null, v13, s4, 0
	s_mul_i32 s1, s15, s7
	s_mul_hi_u32 s3, s15, s6
	s_mul_i32 s6, s15, s6
	s_add_i32 s7, s3, s1
	v_add_nc_u32_e32 v6, s8, v12
	s_lshl_b64 s[6:7], s[6:7], 3
	s_delay_alu instid0(VALU_DEP_2)
	v_add3_u32 v8, v8, v14, v9
	s_add_u32 s3, s30, s6
	v_cmp_gt_i32_e32 vcc_lo, s2, v13
	v_cmp_le_i32_e64 s0, v6, v13
	s_addc_u32 s6, s31, s7
	v_lshlrev_b64 v[7:8], 3, v[7:8]
	s_delay_alu instid0(VALU_DEP_2) | instskip(NEXT) | instid1(VALU_DEP_1)
	s_and_b32 s0, vcc_lo, s0
	v_add_co_u32 v12, s1, s3, v7
	s_delay_alu instid0(VALU_DEP_1)
	v_add_co_ci_u32_e64 v14, s1, s6, v8, s1
	s_and_saveexec_b32 s1, s0
	s_cbranch_execz .LBB1026_5
; %bb.4:
	v_ashrrev_i32_e32 v7, 31, v6
	v_xor_b32_e32 v11, 0x80000000, v11
	s_delay_alu instid0(VALU_DEP_2) | instskip(NEXT) | instid1(VALU_DEP_1)
	v_lshlrev_b64 v[7:8], 3, v[6:7]
	v_add_co_u32 v7, s0, v12, v7
	s_delay_alu instid0(VALU_DEP_1)
	v_add_co_ci_u32_e64 v8, s0, v14, v8, s0
	global_store_b64 v[7:8], v[10:11], off
.LBB1026_5:
	s_or_b32 exec_lo, exec_lo, s1
	v_add_nc_u32_e32 v8, 16, v6
	s_delay_alu instid0(VALU_DEP_1) | instskip(NEXT) | instid1(VALU_DEP_1)
	v_cmp_le_i32_e64 s0, v8, v13
	s_and_b32 s1, vcc_lo, s0
	s_delay_alu instid0(SALU_CYCLE_1)
	s_and_saveexec_b32 s0, s1
	s_cbranch_execz .LBB1026_7
; %bb.6:
	v_ashrrev_i32_e32 v9, 31, v8
	v_xor_b32_e32 v5, 0x80000000, v5
	s_delay_alu instid0(VALU_DEP_2) | instskip(NEXT) | instid1(VALU_DEP_1)
	v_lshlrev_b64 v[9:10], 3, v[8:9]
	v_add_co_u32 v9, vcc_lo, v12, v9
	s_delay_alu instid0(VALU_DEP_2)
	v_add_co_ci_u32_e32 v10, vcc_lo, v14, v10, vcc_lo
	global_store_b64 v[9:10], v[4:5], off
.LBB1026_7:
	s_or_b32 exec_lo, exec_lo, s0
	v_add_nc_u32_e32 v9, 16, v13
	s_delay_alu instid0(VALU_DEP_1) | instskip(SKIP_3) | instid1(VALU_DEP_4)
	v_ashrrev_i32_e32 v7, 31, v9
	v_mul_lo_u32 v10, v9, s5
	v_mad_u64_u32 v[4:5], null, v9, s4, 0
	v_cmp_gt_i32_e32 vcc_lo, s2, v9
	v_mul_lo_u32 v7, v7, s4
	v_cmp_le_i32_e64 s0, v6, v9
	s_delay_alu instid0(VALU_DEP_1) | instskip(NEXT) | instid1(VALU_DEP_2)
	s_and_b32 s0, vcc_lo, s0
	v_add3_u32 v5, v5, v10, v7
	s_delay_alu instid0(VALU_DEP_1) | instskip(NEXT) | instid1(VALU_DEP_1)
	v_lshlrev_b64 v[4:5], 3, v[4:5]
	v_add_co_u32 v4, s1, s3, v4
	s_delay_alu instid0(VALU_DEP_1)
	v_add_co_ci_u32_e64 v5, s1, s6, v5, s1
	s_and_saveexec_b32 s1, s0
	s_cbranch_execz .LBB1026_9
; %bb.8:
	v_ashrrev_i32_e32 v7, 31, v6
	v_xor_b32_e32 v3, 0x80000000, v3
	s_delay_alu instid0(VALU_DEP_2) | instskip(NEXT) | instid1(VALU_DEP_1)
	v_lshlrev_b64 v[6:7], 3, v[6:7]
	v_add_co_u32 v6, s0, v4, v6
	s_delay_alu instid0(VALU_DEP_1)
	v_add_co_ci_u32_e64 v7, s0, v5, v7, s0
	global_store_b64 v[6:7], v[2:3], off
.LBB1026_9:
	s_or_b32 exec_lo, exec_lo, s1
	v_cmp_le_i32_e64 s0, v8, v9
	s_delay_alu instid0(VALU_DEP_1) | instskip(NEXT) | instid1(SALU_CYCLE_1)
	s_and_b32 s0, vcc_lo, s0
	s_and_saveexec_b32 s1, s0
	s_cbranch_execz .LBB1026_11
; %bb.10:
	v_ashrrev_i32_e32 v9, 31, v8
	v_xor_b32_e32 v1, 0x80000000, v1
	s_delay_alu instid0(VALU_DEP_2) | instskip(NEXT) | instid1(VALU_DEP_1)
	v_lshlrev_b64 v[2:3], 3, v[8:9]
	v_add_co_u32 v2, vcc_lo, v4, v2
	s_delay_alu instid0(VALU_DEP_2)
	v_add_co_ci_u32_e32 v3, vcc_lo, v5, v3, vcc_lo
	global_store_b64 v[2:3], v[0:1], off
.LBB1026_11:
	s_nop 0
	s_sendmsg sendmsg(MSG_DEALLOC_VGPRS)
	s_endpgm
	.section	.rodata,"a",@progbits
	.p2align	6, 0x0
	.amdhsa_kernel _ZL37rocblas_syrkx_herkx_restricted_kernelIldLi16ELi32ELi8ELin1ELi0ELb0ELc78ELc85EKddEviT_PT9_S1_lS3_S1_lPT10_S1_li
		.amdhsa_group_segment_fixed_size 4096
		.amdhsa_private_segment_fixed_size 0
		.amdhsa_kernarg_size 92
		.amdhsa_user_sgpr_count 13
		.amdhsa_user_sgpr_dispatch_ptr 0
		.amdhsa_user_sgpr_queue_ptr 0
		.amdhsa_user_sgpr_kernarg_segment_ptr 1
		.amdhsa_user_sgpr_dispatch_id 0
		.amdhsa_user_sgpr_private_segment_size 0
		.amdhsa_wavefront_size32 1
		.amdhsa_uses_dynamic_stack 0
		.amdhsa_enable_private_segment 0
		.amdhsa_system_sgpr_workgroup_id_x 1
		.amdhsa_system_sgpr_workgroup_id_y 1
		.amdhsa_system_sgpr_workgroup_id_z 1
		.amdhsa_system_sgpr_workgroup_info 0
		.amdhsa_system_vgpr_workitem_id 1
		.amdhsa_next_free_vgpr 38
		.amdhsa_next_free_sgpr 32
		.amdhsa_reserve_vcc 1
		.amdhsa_float_round_mode_32 0
		.amdhsa_float_round_mode_16_64 0
		.amdhsa_float_denorm_mode_32 3
		.amdhsa_float_denorm_mode_16_64 3
		.amdhsa_dx10_clamp 1
		.amdhsa_ieee_mode 1
		.amdhsa_fp16_overflow 0
		.amdhsa_workgroup_processor_mode 1
		.amdhsa_memory_ordered 1
		.amdhsa_forward_progress 0
		.amdhsa_shared_vgpr_count 0
		.amdhsa_exception_fp_ieee_invalid_op 0
		.amdhsa_exception_fp_denorm_src 0
		.amdhsa_exception_fp_ieee_div_zero 0
		.amdhsa_exception_fp_ieee_overflow 0
		.amdhsa_exception_fp_ieee_underflow 0
		.amdhsa_exception_fp_ieee_inexact 0
		.amdhsa_exception_int_div_zero 0
	.end_amdhsa_kernel
	.section	.text._ZL37rocblas_syrkx_herkx_restricted_kernelIldLi16ELi32ELi8ELin1ELi0ELb0ELc78ELc85EKddEviT_PT9_S1_lS3_S1_lPT10_S1_li,"axG",@progbits,_ZL37rocblas_syrkx_herkx_restricted_kernelIldLi16ELi32ELi8ELin1ELi0ELb0ELc78ELc85EKddEviT_PT9_S1_lS3_S1_lPT10_S1_li,comdat
.Lfunc_end1026:
	.size	_ZL37rocblas_syrkx_herkx_restricted_kernelIldLi16ELi32ELi8ELin1ELi0ELb0ELc78ELc85EKddEviT_PT9_S1_lS3_S1_lPT10_S1_li, .Lfunc_end1026-_ZL37rocblas_syrkx_herkx_restricted_kernelIldLi16ELi32ELi8ELin1ELi0ELb0ELc78ELc85EKddEviT_PT9_S1_lS3_S1_lPT10_S1_li
                                        ; -- End function
	.section	.AMDGPU.csdata,"",@progbits
; Kernel info:
; codeLenInByte = 1472
; NumSgprs: 34
; NumVgprs: 38
; ScratchSize: 0
; MemoryBound: 0
; FloatMode: 240
; IeeeMode: 1
; LDSByteSize: 4096 bytes/workgroup (compile time only)
; SGPRBlocks: 4
; VGPRBlocks: 4
; NumSGPRsForWavesPerEU: 34
; NumVGPRsForWavesPerEU: 38
; Occupancy: 16
; WaveLimiterHint : 1
; COMPUTE_PGM_RSRC2:SCRATCH_EN: 0
; COMPUTE_PGM_RSRC2:USER_SGPR: 13
; COMPUTE_PGM_RSRC2:TRAP_HANDLER: 0
; COMPUTE_PGM_RSRC2:TGID_X_EN: 1
; COMPUTE_PGM_RSRC2:TGID_Y_EN: 1
; COMPUTE_PGM_RSRC2:TGID_Z_EN: 1
; COMPUTE_PGM_RSRC2:TIDIG_COMP_CNT: 1
	.section	.text._ZL37rocblas_syrkx_herkx_restricted_kernelIldLi16ELi32ELi8ELb1ELb0ELc84ELc76EKddEviT_T0_PT8_S1_lS4_S1_lS2_PT9_S1_li,"axG",@progbits,_ZL37rocblas_syrkx_herkx_restricted_kernelIldLi16ELi32ELi8ELb1ELb0ELc84ELc76EKddEviT_T0_PT8_S1_lS4_S1_lS2_PT9_S1_li,comdat
	.globl	_ZL37rocblas_syrkx_herkx_restricted_kernelIldLi16ELi32ELi8ELb1ELb0ELc84ELc76EKddEviT_T0_PT8_S1_lS4_S1_lS2_PT9_S1_li ; -- Begin function _ZL37rocblas_syrkx_herkx_restricted_kernelIldLi16ELi32ELi8ELb1ELb0ELc84ELc76EKddEviT_T0_PT8_S1_lS4_S1_lS2_PT9_S1_li
	.p2align	8
	.type	_ZL37rocblas_syrkx_herkx_restricted_kernelIldLi16ELi32ELi8ELb1ELb0ELc84ELc76EKddEviT_T0_PT8_S1_lS4_S1_lS2_PT9_S1_li,@function
_ZL37rocblas_syrkx_herkx_restricted_kernelIldLi16ELi32ELi8ELb1ELb0ELc84ELc76EKddEviT_T0_PT8_S1_lS4_S1_lS2_PT9_S1_li: ; @_ZL37rocblas_syrkx_herkx_restricted_kernelIldLi16ELi32ELi8ELb1ELb0ELc84ELc76EKddEviT_T0_PT8_S1_lS4_S1_lS2_PT9_S1_li
; %bb.0:
	s_load_b512 s[16:31], s[0:1], 0x8
	v_mov_b32_e32 v10, 0
	v_dual_mov_b32 v11, 0 :: v_dual_and_b32 v12, 0x3ff, v0
	v_bfe_u32 v13, v0, 10, 10
	s_delay_alu instid0(VALU_DEP_3) | instskip(NEXT) | instid1(VALU_DEP_3)
	v_mov_b32_e32 v8, v10
	v_dual_mov_b32 v2, v10 :: v_dual_mov_b32 v3, v11
	v_dual_mov_b32 v9, v11 :: v_dual_mov_b32 v0, v10
	v_mov_b32_e32 v1, v11
	s_lshl_b32 s8, s13, 5
	s_lshl_b32 s9, s14, 5
	s_waitcnt lgkmcnt(0)
	v_cmp_lt_i64_e64 s2, s[16:17], 1
	s_delay_alu instid0(VALU_DEP_1)
	s_and_b32 vcc_lo, exec_lo, s2
	s_cbranch_vccnz .LBB1027_3
; %bb.1:
	v_lshl_add_u32 v2, v13, 4, v12
	v_dual_mov_b32 v1, 0 :: v_dual_and_b32 v0, 7, v12
	v_lshlrev_b32_e32 v14, 3, v12
	s_mul_i32 s3, s31, s15
	s_delay_alu instid0(VALU_DEP_3)
	v_lshrrev_b32_e32 v6, 3, v2
	v_and_b32_e32 v8, 31, v2
	v_lshrrev_b32_e32 v2, 5, v2
	v_mov_b32_e32 v3, v1
	v_lshlrev_b32_e32 v9, 3, v0
	v_add_nc_u32_e32 v7, s9, v6
	v_add_nc_u32_e32 v11, s8, v8
	s_mul_hi_u32 s4, s30, s15
	s_mul_i32 s2, s30, s15
	v_lshl_or_b32 v6, v6, 6, v9
	v_ashrrev_i32_e32 v10, 31, v7
	v_mul_lo_u32 v15, v7, s29
	v_mad_u64_u32 v[4:5], null, v7, s28, v[0:1]
	v_mad_u64_u32 v[0:1], null, s22, v11, v[2:3]
	s_delay_alu instid0(VALU_DEP_4)
	v_mul_lo_u32 v7, v10, s28
	v_ashrrev_i32_e32 v10, 31, v11
	v_mul_lo_u32 v9, s23, v11
	v_add_nc_u32_e32 v16, 0x800, v6
	s_add_i32 s3, s4, s3
	v_lshl_add_u32 v17, v13, 6, 0x800
	v_mul_lo_u32 v10, s22, v10
	s_lshl_b64 s[2:3], s[2:3], 3
	v_add3_u32 v5, v7, v5, v15
	s_add_u32 s4, s26, s2
	s_addc_u32 s5, s27, s3
	s_mul_i32 s2, s25, s15
	s_mul_hi_u32 s3, s24, s15
	s_delay_alu instid0(VALU_DEP_2) | instskip(SKIP_2) | instid1(SALU_CYCLE_1)
	v_add3_u32 v1, v9, v1, v10
	s_add_i32 s3, s3, s2
	s_mul_i32 s2, s24, s15
	s_lshl_b64 s[2:3], s[2:3], 3
	s_delay_alu instid0(VALU_DEP_1) | instskip(SKIP_4) | instid1(VALU_DEP_1)
	v_lshlrev_b64 v[6:7], 3, v[0:1]
	v_mov_b32_e32 v0, 0
	v_dual_mov_b32 v1, 0 :: v_dual_lshlrev_b32 v8, 3, v8
	s_add_u32 s2, s20, s2
	s_addc_u32 s3, s21, s3
	v_dual_mov_b32 v11, v1 :: v_dual_mov_b32 v10, v0
	s_delay_alu instid0(VALU_DEP_2) | instskip(SKIP_2) | instid1(VALU_DEP_2)
	v_lshl_or_b32 v15, v2, 8, v8
	v_lshlrev_b64 v[2:3], 3, v[4:5]
	v_dual_mov_b32 v9, v1 :: v_dual_mov_b32 v8, v0
	v_add_co_u32 v4, vcc_lo, s4, v2
	s_delay_alu instid0(VALU_DEP_3)
	v_add_co_ci_u32_e32 v5, vcc_lo, s5, v3, vcc_lo
	v_add_co_u32 v6, vcc_lo, s2, v6
	v_mov_b32_e32 v3, v1
	v_add_co_ci_u32_e32 v7, vcc_lo, s3, v7, vcc_lo
	v_mov_b32_e32 v2, v0
	s_mov_b64 s[2:3], 0
.LBB1027_2:                             ; =>This Inner Loop Header: Depth=1
	global_load_b64 v[18:19], v[6:7], off
	global_load_b64 v[20:21], v[4:5], off
	s_add_u32 s2, s2, 8
	v_add_co_u32 v4, vcc_lo, v4, 64
	s_addc_u32 s3, s3, 0
	v_add_co_ci_u32_e32 v5, vcc_lo, 0, v5, vcc_lo
	v_cmp_ge_u64_e64 s4, s[2:3], s[16:17]
	v_add_co_u32 v6, vcc_lo, v6, 64
	v_add_co_ci_u32_e32 v7, vcc_lo, 0, v7, vcc_lo
	s_waitcnt vmcnt(1)
	ds_store_b64 v15, v[18:19]
	s_waitcnt vmcnt(0)
	ds_store_b64 v16, v[20:21]
	s_waitcnt lgkmcnt(0)
	s_barrier
	buffer_gl0_inv
	ds_load_2addr_b64 v[18:21], v14 offset1:16
	ds_load_b128 v[22:25], v17
	ds_load_b128 v[26:29], v17 offset:1024
	ds_load_b128 v[30:33], v17 offset:16
	;; [unrolled: 1-line block ×3, first 2 shown]
	s_and_b32 vcc_lo, exec_lo, s4
	s_waitcnt lgkmcnt(3)
	v_fma_f64 v[10:11], v[18:19], v[22:23], v[10:11]
	v_fma_f64 v[8:9], v[20:21], v[22:23], v[8:9]
	s_waitcnt lgkmcnt(2)
	v_fma_f64 v[18:19], v[18:19], v[26:27], v[2:3]
	v_fma_f64 v[20:21], v[20:21], v[26:27], v[0:1]
	ds_load_2addr_b64 v[0:3], v14 offset0:32 offset1:48
	s_waitcnt lgkmcnt(0)
	v_fma_f64 v[10:11], v[0:1], v[24:25], v[10:11]
	v_fma_f64 v[8:9], v[2:3], v[24:25], v[8:9]
	v_fma_f64 v[18:19], v[0:1], v[28:29], v[18:19]
	v_fma_f64 v[20:21], v[2:3], v[28:29], v[20:21]
	ds_load_2addr_b64 v[0:3], v14 offset0:64 offset1:80
	s_waitcnt lgkmcnt(0)
	v_fma_f64 v[10:11], v[0:1], v[30:31], v[10:11]
	v_fma_f64 v[8:9], v[2:3], v[30:31], v[8:9]
	;; [unrolled: 6-line block ×3, first 2 shown]
	v_fma_f64 v[34:35], v[0:1], v[36:37], v[18:19]
	v_fma_f64 v[36:37], v[2:3], v[36:37], v[20:21]
	ds_load_2addr_b64 v[0:3], v14 offset0:128 offset1:144
	ds_load_b128 v[8:11], v17 offset:32
	ds_load_b128 v[18:21], v17 offset:1056
	;; [unrolled: 1-line block ×4, first 2 shown]
	s_waitcnt lgkmcnt(3)
	v_fma_f64 v[30:31], v[0:1], v[8:9], v[30:31]
	v_fma_f64 v[8:9], v[2:3], v[8:9], v[32:33]
	s_waitcnt lgkmcnt(2)
	v_fma_f64 v[32:33], v[0:1], v[18:19], v[34:35]
	v_fma_f64 v[18:19], v[2:3], v[18:19], v[36:37]
	ds_load_2addr_b64 v[0:3], v14 offset0:160 offset1:176
	s_waitcnt lgkmcnt(0)
	v_fma_f64 v[30:31], v[0:1], v[10:11], v[30:31]
	v_fma_f64 v[8:9], v[2:3], v[10:11], v[8:9]
	;; [unrolled: 1-line block ×4, first 2 shown]
	ds_load_2addr_b64 v[0:3], v14 offset0:192 offset1:208
	s_waitcnt lgkmcnt(0)
	v_fma_f64 v[30:31], v[0:1], v[22:23], v[30:31]
	v_fma_f64 v[8:9], v[2:3], v[22:23], v[8:9]
	;; [unrolled: 1-line block ×4, first 2 shown]
	ds_load_2addr_b64 v[18:21], v14 offset0:224 offset1:240
	s_waitcnt lgkmcnt(0)
	s_barrier
	buffer_gl0_inv
	v_fma_f64 v[10:11], v[18:19], v[24:25], v[30:31]
	v_fma_f64 v[8:9], v[20:21], v[24:25], v[8:9]
	;; [unrolled: 1-line block ×4, first 2 shown]
	s_cbranch_vccz .LBB1027_2
.LBB1027_3:
	s_load_b128 s[4:7], s[0:1], 0x50
	v_add_nc_u32_e32 v13, s9, v13
	s_clause 0x1
	s_load_b32 s9, s[0:1], 0x0
	s_load_b64 s[2:3], s[0:1], 0x60
	s_delay_alu instid0(VALU_DEP_1) | instskip(SKIP_1) | instid1(VALU_DEP_1)
	v_ashrrev_i32_e32 v4, 31, v13
	s_waitcnt lgkmcnt(0)
	v_mul_lo_u32 v7, v4, s6
	v_mul_lo_u32 v14, v13, s7
	v_mad_u64_u32 v[5:6], null, v13, s6, 0
	s_mul_i32 s1, s15, s3
	s_mul_hi_u32 s3, s15, s2
	s_mul_i32 s2, s15, s2
	s_add_i32 s3, s3, s1
	v_add_nc_u32_e32 v4, s8, v12
	s_lshl_b64 s[2:3], s[2:3], 3
	s_delay_alu instid0(VALU_DEP_2)
	v_add3_u32 v6, v6, v14, v7
	s_add_u32 s2, s4, s2
	s_addc_u32 s3, s5, s3
	v_cmp_le_i32_e64 s0, v13, v4
	v_cmp_gt_i32_e32 vcc_lo, s9, v4
	v_lshlrev_b64 v[5:6], 3, v[5:6]
	s_delay_alu instid0(VALU_DEP_3) | instskip(NEXT) | instid1(VALU_DEP_1)
	s_and_b32 s0, s0, vcc_lo
	v_add_co_u32 v12, s1, s2, v5
	s_delay_alu instid0(VALU_DEP_1)
	v_add_co_ci_u32_e64 v14, s1, s3, v6, s1
	s_and_saveexec_b32 s1, s0
	s_cbranch_execz .LBB1027_5
; %bb.4:
	v_mul_f64 v[6:7], v[10:11], s[18:19]
	v_ashrrev_i32_e32 v5, 31, v4
	s_delay_alu instid0(VALU_DEP_1) | instskip(NEXT) | instid1(VALU_DEP_1)
	v_lshlrev_b64 v[10:11], 3, v[4:5]
	v_add_co_u32 v10, s0, v12, v10
	s_delay_alu instid0(VALU_DEP_1)
	v_add_co_ci_u32_e64 v11, s0, v14, v11, s0
	global_store_b64 v[10:11], v[6:7], off
.LBB1027_5:
	s_or_b32 exec_lo, exec_lo, s1
	v_add_nc_u32_e32 v6, 16, v4
	s_delay_alu instid0(VALU_DEP_1) | instskip(SKIP_1) | instid1(VALU_DEP_1)
	v_cmp_le_i32_e64 s1, v13, v6
	v_cmp_gt_i32_e64 s0, s9, v6
	s_and_b32 s1, s1, s0
	s_delay_alu instid0(SALU_CYCLE_1)
	s_and_saveexec_b32 s4, s1
	s_cbranch_execz .LBB1027_7
; %bb.6:
	v_mul_f64 v[8:9], v[8:9], s[18:19]
	v_ashrrev_i32_e32 v7, 31, v6
	s_delay_alu instid0(VALU_DEP_1) | instskip(NEXT) | instid1(VALU_DEP_1)
	v_lshlrev_b64 v[10:11], 3, v[6:7]
	v_add_co_u32 v10, s1, v12, v10
	s_delay_alu instid0(VALU_DEP_1)
	v_add_co_ci_u32_e64 v11, s1, v14, v11, s1
	global_store_b64 v[10:11], v[8:9], off
.LBB1027_7:
	s_or_b32 exec_lo, exec_lo, s4
	v_add_nc_u32_e32 v7, 16, v13
	s_delay_alu instid0(VALU_DEP_1) | instskip(SKIP_3) | instid1(VALU_DEP_4)
	v_ashrrev_i32_e32 v5, 31, v7
	v_mul_lo_u32 v10, v7, s7
	v_mad_u64_u32 v[8:9], null, v7, s6, 0
	v_cmp_le_i32_e64 s1, v7, v4
	v_mul_lo_u32 v5, v5, s6
	s_delay_alu instid0(VALU_DEP_1) | instskip(NEXT) | instid1(VALU_DEP_1)
	v_add3_u32 v9, v9, v10, v5
	v_lshlrev_b64 v[8:9], 3, v[8:9]
	s_delay_alu instid0(VALU_DEP_1) | instskip(NEXT) | instid1(VALU_DEP_1)
	v_add_co_u32 v8, s2, s2, v8
	v_add_co_ci_u32_e64 v9, s2, s3, v9, s2
	s_and_b32 s2, s1, vcc_lo
	s_delay_alu instid0(SALU_CYCLE_1)
	s_and_saveexec_b32 s1, s2
	s_cbranch_execz .LBB1027_9
; %bb.8:
	v_mul_f64 v[2:3], v[2:3], s[18:19]
	v_ashrrev_i32_e32 v5, 31, v4
	s_delay_alu instid0(VALU_DEP_1) | instskip(NEXT) | instid1(VALU_DEP_1)
	v_lshlrev_b64 v[4:5], 3, v[4:5]
	v_add_co_u32 v4, vcc_lo, v8, v4
	s_delay_alu instid0(VALU_DEP_2)
	v_add_co_ci_u32_e32 v5, vcc_lo, v9, v5, vcc_lo
	global_store_b64 v[4:5], v[2:3], off
.LBB1027_9:
	s_or_b32 exec_lo, exec_lo, s1
	v_cmp_le_i32_e32 vcc_lo, v7, v6
	s_and_b32 s0, vcc_lo, s0
	s_delay_alu instid0(SALU_CYCLE_1)
	s_and_saveexec_b32 s1, s0
	s_cbranch_execz .LBB1027_11
; %bb.10:
	v_mul_f64 v[0:1], v[0:1], s[18:19]
	v_ashrrev_i32_e32 v7, 31, v6
	s_delay_alu instid0(VALU_DEP_1) | instskip(NEXT) | instid1(VALU_DEP_1)
	v_lshlrev_b64 v[2:3], 3, v[6:7]
	v_add_co_u32 v2, vcc_lo, v8, v2
	s_delay_alu instid0(VALU_DEP_2)
	v_add_co_ci_u32_e32 v3, vcc_lo, v9, v3, vcc_lo
	global_store_b64 v[2:3], v[0:1], off
.LBB1027_11:
	s_nop 0
	s_sendmsg sendmsg(MSG_DEALLOC_VGPRS)
	s_endpgm
	.section	.rodata,"a",@progbits
	.p2align	6, 0x0
	.amdhsa_kernel _ZL37rocblas_syrkx_herkx_restricted_kernelIldLi16ELi32ELi8ELb1ELb0ELc84ELc76EKddEviT_T0_PT8_S1_lS4_S1_lS2_PT9_S1_li
		.amdhsa_group_segment_fixed_size 4096
		.amdhsa_private_segment_fixed_size 0
		.amdhsa_kernarg_size 108
		.amdhsa_user_sgpr_count 13
		.amdhsa_user_sgpr_dispatch_ptr 0
		.amdhsa_user_sgpr_queue_ptr 0
		.amdhsa_user_sgpr_kernarg_segment_ptr 1
		.amdhsa_user_sgpr_dispatch_id 0
		.amdhsa_user_sgpr_private_segment_size 0
		.amdhsa_wavefront_size32 1
		.amdhsa_uses_dynamic_stack 0
		.amdhsa_enable_private_segment 0
		.amdhsa_system_sgpr_workgroup_id_x 1
		.amdhsa_system_sgpr_workgroup_id_y 1
		.amdhsa_system_sgpr_workgroup_id_z 1
		.amdhsa_system_sgpr_workgroup_info 0
		.amdhsa_system_vgpr_workitem_id 1
		.amdhsa_next_free_vgpr 38
		.amdhsa_next_free_sgpr 32
		.amdhsa_reserve_vcc 1
		.amdhsa_float_round_mode_32 0
		.amdhsa_float_round_mode_16_64 0
		.amdhsa_float_denorm_mode_32 3
		.amdhsa_float_denorm_mode_16_64 3
		.amdhsa_dx10_clamp 1
		.amdhsa_ieee_mode 1
		.amdhsa_fp16_overflow 0
		.amdhsa_workgroup_processor_mode 1
		.amdhsa_memory_ordered 1
		.amdhsa_forward_progress 0
		.amdhsa_shared_vgpr_count 0
		.amdhsa_exception_fp_ieee_invalid_op 0
		.amdhsa_exception_fp_denorm_src 0
		.amdhsa_exception_fp_ieee_div_zero 0
		.amdhsa_exception_fp_ieee_overflow 0
		.amdhsa_exception_fp_ieee_underflow 0
		.amdhsa_exception_fp_ieee_inexact 0
		.amdhsa_exception_int_div_zero 0
	.end_amdhsa_kernel
	.section	.text._ZL37rocblas_syrkx_herkx_restricted_kernelIldLi16ELi32ELi8ELb1ELb0ELc84ELc76EKddEviT_T0_PT8_S1_lS4_S1_lS2_PT9_S1_li,"axG",@progbits,_ZL37rocblas_syrkx_herkx_restricted_kernelIldLi16ELi32ELi8ELb1ELb0ELc84ELc76EKddEviT_T0_PT8_S1_lS4_S1_lS2_PT9_S1_li,comdat
.Lfunc_end1027:
	.size	_ZL37rocblas_syrkx_herkx_restricted_kernelIldLi16ELi32ELi8ELb1ELb0ELc84ELc76EKddEviT_T0_PT8_S1_lS4_S1_lS2_PT9_S1_li, .Lfunc_end1027-_ZL37rocblas_syrkx_herkx_restricted_kernelIldLi16ELi32ELi8ELb1ELb0ELc84ELc76EKddEviT_T0_PT8_S1_lS4_S1_lS2_PT9_S1_li
                                        ; -- End function
	.section	.AMDGPU.csdata,"",@progbits
; Kernel info:
; codeLenInByte = 1500
; NumSgprs: 34
; NumVgprs: 38
; ScratchSize: 0
; MemoryBound: 0
; FloatMode: 240
; IeeeMode: 1
; LDSByteSize: 4096 bytes/workgroup (compile time only)
; SGPRBlocks: 4
; VGPRBlocks: 4
; NumSGPRsForWavesPerEU: 34
; NumVGPRsForWavesPerEU: 38
; Occupancy: 16
; WaveLimiterHint : 1
; COMPUTE_PGM_RSRC2:SCRATCH_EN: 0
; COMPUTE_PGM_RSRC2:USER_SGPR: 13
; COMPUTE_PGM_RSRC2:TRAP_HANDLER: 0
; COMPUTE_PGM_RSRC2:TGID_X_EN: 1
; COMPUTE_PGM_RSRC2:TGID_Y_EN: 1
; COMPUTE_PGM_RSRC2:TGID_Z_EN: 1
; COMPUTE_PGM_RSRC2:TIDIG_COMP_CNT: 1
	.section	.text._ZL37rocblas_syrkx_herkx_restricted_kernelIldLi16ELi32ELi8ELb1ELb0ELc67ELc76EKddEviT_T0_PT8_S1_lS4_S1_lS2_PT9_S1_li,"axG",@progbits,_ZL37rocblas_syrkx_herkx_restricted_kernelIldLi16ELi32ELi8ELb1ELb0ELc67ELc76EKddEviT_T0_PT8_S1_lS4_S1_lS2_PT9_S1_li,comdat
	.globl	_ZL37rocblas_syrkx_herkx_restricted_kernelIldLi16ELi32ELi8ELb1ELb0ELc67ELc76EKddEviT_T0_PT8_S1_lS4_S1_lS2_PT9_S1_li ; -- Begin function _ZL37rocblas_syrkx_herkx_restricted_kernelIldLi16ELi32ELi8ELb1ELb0ELc67ELc76EKddEviT_T0_PT8_S1_lS4_S1_lS2_PT9_S1_li
	.p2align	8
	.type	_ZL37rocblas_syrkx_herkx_restricted_kernelIldLi16ELi32ELi8ELb1ELb0ELc67ELc76EKddEviT_T0_PT8_S1_lS4_S1_lS2_PT9_S1_li,@function
_ZL37rocblas_syrkx_herkx_restricted_kernelIldLi16ELi32ELi8ELb1ELb0ELc67ELc76EKddEviT_T0_PT8_S1_lS4_S1_lS2_PT9_S1_li: ; @_ZL37rocblas_syrkx_herkx_restricted_kernelIldLi16ELi32ELi8ELb1ELb0ELc67ELc76EKddEviT_T0_PT8_S1_lS4_S1_lS2_PT9_S1_li
; %bb.0:
	s_load_b512 s[16:31], s[0:1], 0x8
	v_mov_b32_e32 v10, 0
	v_dual_mov_b32 v11, 0 :: v_dual_and_b32 v12, 0x3ff, v0
	v_bfe_u32 v13, v0, 10, 10
	s_delay_alu instid0(VALU_DEP_3) | instskip(NEXT) | instid1(VALU_DEP_3)
	v_mov_b32_e32 v8, v10
	v_dual_mov_b32 v2, v10 :: v_dual_mov_b32 v3, v11
	v_dual_mov_b32 v9, v11 :: v_dual_mov_b32 v0, v10
	v_mov_b32_e32 v1, v11
	s_lshl_b32 s8, s13, 5
	s_lshl_b32 s9, s14, 5
	s_waitcnt lgkmcnt(0)
	v_cmp_lt_i64_e64 s2, s[16:17], 1
	s_delay_alu instid0(VALU_DEP_1)
	s_and_b32 vcc_lo, exec_lo, s2
	s_cbranch_vccnz .LBB1028_3
; %bb.1:
	v_lshl_add_u32 v2, v13, 4, v12
	v_dual_mov_b32 v1, 0 :: v_dual_and_b32 v0, 7, v12
	v_lshlrev_b32_e32 v14, 3, v12
	s_mul_i32 s3, s31, s15
	s_delay_alu instid0(VALU_DEP_3)
	v_lshrrev_b32_e32 v6, 3, v2
	v_and_b32_e32 v8, 31, v2
	v_lshrrev_b32_e32 v2, 5, v2
	v_mov_b32_e32 v3, v1
	v_lshlrev_b32_e32 v9, 3, v0
	v_add_nc_u32_e32 v7, s9, v6
	v_add_nc_u32_e32 v11, s8, v8
	s_mul_hi_u32 s4, s30, s15
	s_mul_i32 s2, s30, s15
	v_lshl_or_b32 v6, v6, 6, v9
	v_ashrrev_i32_e32 v10, 31, v7
	v_mul_lo_u32 v15, v7, s29
	v_mad_u64_u32 v[4:5], null, v7, s28, v[0:1]
	v_mad_u64_u32 v[0:1], null, s22, v11, v[2:3]
	s_delay_alu instid0(VALU_DEP_4)
	v_mul_lo_u32 v7, v10, s28
	v_ashrrev_i32_e32 v10, 31, v11
	v_mul_lo_u32 v9, s23, v11
	v_add_nc_u32_e32 v16, 0x800, v6
	s_add_i32 s3, s4, s3
	v_lshl_add_u32 v17, v13, 6, 0x800
	v_mul_lo_u32 v10, s22, v10
	s_lshl_b64 s[2:3], s[2:3], 3
	v_add3_u32 v5, v7, v5, v15
	s_add_u32 s4, s26, s2
	s_addc_u32 s5, s27, s3
	s_mul_i32 s2, s25, s15
	s_mul_hi_u32 s3, s24, s15
	s_delay_alu instid0(VALU_DEP_2) | instskip(SKIP_2) | instid1(SALU_CYCLE_1)
	v_add3_u32 v1, v9, v1, v10
	s_add_i32 s3, s3, s2
	s_mul_i32 s2, s24, s15
	s_lshl_b64 s[2:3], s[2:3], 3
	s_delay_alu instid0(VALU_DEP_1) | instskip(SKIP_4) | instid1(VALU_DEP_1)
	v_lshlrev_b64 v[6:7], 3, v[0:1]
	v_mov_b32_e32 v0, 0
	v_dual_mov_b32 v1, 0 :: v_dual_lshlrev_b32 v8, 3, v8
	s_add_u32 s2, s20, s2
	s_addc_u32 s3, s21, s3
	v_dual_mov_b32 v11, v1 :: v_dual_mov_b32 v10, v0
	s_delay_alu instid0(VALU_DEP_2) | instskip(SKIP_2) | instid1(VALU_DEP_2)
	v_lshl_or_b32 v15, v2, 8, v8
	v_lshlrev_b64 v[2:3], 3, v[4:5]
	v_dual_mov_b32 v9, v1 :: v_dual_mov_b32 v8, v0
	v_add_co_u32 v4, vcc_lo, s4, v2
	s_delay_alu instid0(VALU_DEP_3)
	v_add_co_ci_u32_e32 v5, vcc_lo, s5, v3, vcc_lo
	v_add_co_u32 v6, vcc_lo, s2, v6
	v_mov_b32_e32 v3, v1
	v_add_co_ci_u32_e32 v7, vcc_lo, s3, v7, vcc_lo
	v_mov_b32_e32 v2, v0
	s_mov_b64 s[2:3], 0
.LBB1028_2:                             ; =>This Inner Loop Header: Depth=1
	global_load_b64 v[18:19], v[6:7], off
	global_load_b64 v[20:21], v[4:5], off
	s_add_u32 s2, s2, 8
	v_add_co_u32 v4, vcc_lo, v4, 64
	s_addc_u32 s3, s3, 0
	v_add_co_ci_u32_e32 v5, vcc_lo, 0, v5, vcc_lo
	v_cmp_ge_u64_e64 s4, s[2:3], s[16:17]
	v_add_co_u32 v6, vcc_lo, v6, 64
	v_add_co_ci_u32_e32 v7, vcc_lo, 0, v7, vcc_lo
	s_waitcnt vmcnt(1)
	ds_store_b64 v15, v[18:19]
	s_waitcnt vmcnt(0)
	ds_store_b64 v16, v[20:21]
	s_waitcnt lgkmcnt(0)
	s_barrier
	buffer_gl0_inv
	ds_load_2addr_b64 v[18:21], v14 offset1:16
	ds_load_b128 v[22:25], v17
	ds_load_b128 v[26:29], v17 offset:1024
	ds_load_b128 v[30:33], v17 offset:16
	;; [unrolled: 1-line block ×3, first 2 shown]
	s_and_b32 vcc_lo, exec_lo, s4
	s_waitcnt lgkmcnt(3)
	v_fma_f64 v[10:11], v[18:19], v[22:23], v[10:11]
	v_fma_f64 v[8:9], v[20:21], v[22:23], v[8:9]
	s_waitcnt lgkmcnt(2)
	v_fma_f64 v[18:19], v[18:19], v[26:27], v[2:3]
	v_fma_f64 v[20:21], v[20:21], v[26:27], v[0:1]
	ds_load_2addr_b64 v[0:3], v14 offset0:32 offset1:48
	s_waitcnt lgkmcnt(0)
	v_fma_f64 v[10:11], v[0:1], v[24:25], v[10:11]
	v_fma_f64 v[8:9], v[2:3], v[24:25], v[8:9]
	v_fma_f64 v[18:19], v[0:1], v[28:29], v[18:19]
	v_fma_f64 v[20:21], v[2:3], v[28:29], v[20:21]
	ds_load_2addr_b64 v[0:3], v14 offset0:64 offset1:80
	s_waitcnt lgkmcnt(0)
	v_fma_f64 v[10:11], v[0:1], v[30:31], v[10:11]
	v_fma_f64 v[8:9], v[2:3], v[30:31], v[8:9]
	;; [unrolled: 6-line block ×3, first 2 shown]
	v_fma_f64 v[34:35], v[0:1], v[36:37], v[18:19]
	v_fma_f64 v[36:37], v[2:3], v[36:37], v[20:21]
	ds_load_2addr_b64 v[0:3], v14 offset0:128 offset1:144
	ds_load_b128 v[8:11], v17 offset:32
	ds_load_b128 v[18:21], v17 offset:1056
	ds_load_b128 v[22:25], v17 offset:48
	ds_load_b128 v[26:29], v17 offset:1072
	s_waitcnt lgkmcnt(3)
	v_fma_f64 v[30:31], v[0:1], v[8:9], v[30:31]
	v_fma_f64 v[8:9], v[2:3], v[8:9], v[32:33]
	s_waitcnt lgkmcnt(2)
	v_fma_f64 v[32:33], v[0:1], v[18:19], v[34:35]
	v_fma_f64 v[18:19], v[2:3], v[18:19], v[36:37]
	ds_load_2addr_b64 v[0:3], v14 offset0:160 offset1:176
	s_waitcnt lgkmcnt(0)
	v_fma_f64 v[30:31], v[0:1], v[10:11], v[30:31]
	v_fma_f64 v[8:9], v[2:3], v[10:11], v[8:9]
	;; [unrolled: 1-line block ×4, first 2 shown]
	ds_load_2addr_b64 v[0:3], v14 offset0:192 offset1:208
	s_waitcnt lgkmcnt(0)
	v_fma_f64 v[30:31], v[0:1], v[22:23], v[30:31]
	v_fma_f64 v[8:9], v[2:3], v[22:23], v[8:9]
	;; [unrolled: 1-line block ×4, first 2 shown]
	ds_load_2addr_b64 v[18:21], v14 offset0:224 offset1:240
	s_waitcnt lgkmcnt(0)
	s_barrier
	buffer_gl0_inv
	v_fma_f64 v[10:11], v[18:19], v[24:25], v[30:31]
	v_fma_f64 v[8:9], v[20:21], v[24:25], v[8:9]
	;; [unrolled: 1-line block ×4, first 2 shown]
	s_cbranch_vccz .LBB1028_2
.LBB1028_3:
	s_load_b128 s[4:7], s[0:1], 0x50
	v_add_nc_u32_e32 v13, s9, v13
	s_clause 0x1
	s_load_b32 s9, s[0:1], 0x0
	s_load_b64 s[2:3], s[0:1], 0x60
	s_delay_alu instid0(VALU_DEP_1) | instskip(SKIP_1) | instid1(VALU_DEP_1)
	v_ashrrev_i32_e32 v4, 31, v13
	s_waitcnt lgkmcnt(0)
	v_mul_lo_u32 v7, v4, s6
	v_mul_lo_u32 v14, v13, s7
	v_mad_u64_u32 v[5:6], null, v13, s6, 0
	s_mul_i32 s1, s15, s3
	s_mul_hi_u32 s3, s15, s2
	s_mul_i32 s2, s15, s2
	s_add_i32 s3, s3, s1
	v_add_nc_u32_e32 v4, s8, v12
	s_lshl_b64 s[2:3], s[2:3], 3
	s_delay_alu instid0(VALU_DEP_2)
	v_add3_u32 v6, v6, v14, v7
	s_add_u32 s2, s4, s2
	s_addc_u32 s3, s5, s3
	v_cmp_le_i32_e64 s0, v13, v4
	v_cmp_gt_i32_e32 vcc_lo, s9, v4
	v_lshlrev_b64 v[5:6], 3, v[5:6]
	s_delay_alu instid0(VALU_DEP_3) | instskip(NEXT) | instid1(VALU_DEP_1)
	s_and_b32 s0, s0, vcc_lo
	v_add_co_u32 v12, s1, s2, v5
	s_delay_alu instid0(VALU_DEP_1)
	v_add_co_ci_u32_e64 v14, s1, s3, v6, s1
	s_and_saveexec_b32 s1, s0
	s_cbranch_execz .LBB1028_5
; %bb.4:
	v_mul_f64 v[6:7], v[10:11], s[18:19]
	v_ashrrev_i32_e32 v5, 31, v4
	s_delay_alu instid0(VALU_DEP_1) | instskip(NEXT) | instid1(VALU_DEP_1)
	v_lshlrev_b64 v[10:11], 3, v[4:5]
	v_add_co_u32 v10, s0, v12, v10
	s_delay_alu instid0(VALU_DEP_1)
	v_add_co_ci_u32_e64 v11, s0, v14, v11, s0
	global_store_b64 v[10:11], v[6:7], off
.LBB1028_5:
	s_or_b32 exec_lo, exec_lo, s1
	v_add_nc_u32_e32 v6, 16, v4
	s_delay_alu instid0(VALU_DEP_1) | instskip(SKIP_1) | instid1(VALU_DEP_1)
	v_cmp_le_i32_e64 s1, v13, v6
	v_cmp_gt_i32_e64 s0, s9, v6
	s_and_b32 s1, s1, s0
	s_delay_alu instid0(SALU_CYCLE_1)
	s_and_saveexec_b32 s4, s1
	s_cbranch_execz .LBB1028_7
; %bb.6:
	v_mul_f64 v[8:9], v[8:9], s[18:19]
	v_ashrrev_i32_e32 v7, 31, v6
	s_delay_alu instid0(VALU_DEP_1) | instskip(NEXT) | instid1(VALU_DEP_1)
	v_lshlrev_b64 v[10:11], 3, v[6:7]
	v_add_co_u32 v10, s1, v12, v10
	s_delay_alu instid0(VALU_DEP_1)
	v_add_co_ci_u32_e64 v11, s1, v14, v11, s1
	global_store_b64 v[10:11], v[8:9], off
.LBB1028_7:
	s_or_b32 exec_lo, exec_lo, s4
	v_add_nc_u32_e32 v7, 16, v13
	s_delay_alu instid0(VALU_DEP_1) | instskip(SKIP_3) | instid1(VALU_DEP_4)
	v_ashrrev_i32_e32 v5, 31, v7
	v_mul_lo_u32 v10, v7, s7
	v_mad_u64_u32 v[8:9], null, v7, s6, 0
	v_cmp_le_i32_e64 s1, v7, v4
	v_mul_lo_u32 v5, v5, s6
	s_delay_alu instid0(VALU_DEP_1) | instskip(NEXT) | instid1(VALU_DEP_1)
	v_add3_u32 v9, v9, v10, v5
	v_lshlrev_b64 v[8:9], 3, v[8:9]
	s_delay_alu instid0(VALU_DEP_1) | instskip(NEXT) | instid1(VALU_DEP_1)
	v_add_co_u32 v8, s2, s2, v8
	v_add_co_ci_u32_e64 v9, s2, s3, v9, s2
	s_and_b32 s2, s1, vcc_lo
	s_delay_alu instid0(SALU_CYCLE_1)
	s_and_saveexec_b32 s1, s2
	s_cbranch_execz .LBB1028_9
; %bb.8:
	v_mul_f64 v[2:3], v[2:3], s[18:19]
	v_ashrrev_i32_e32 v5, 31, v4
	s_delay_alu instid0(VALU_DEP_1) | instskip(NEXT) | instid1(VALU_DEP_1)
	v_lshlrev_b64 v[4:5], 3, v[4:5]
	v_add_co_u32 v4, vcc_lo, v8, v4
	s_delay_alu instid0(VALU_DEP_2)
	v_add_co_ci_u32_e32 v5, vcc_lo, v9, v5, vcc_lo
	global_store_b64 v[4:5], v[2:3], off
.LBB1028_9:
	s_or_b32 exec_lo, exec_lo, s1
	v_cmp_le_i32_e32 vcc_lo, v7, v6
	s_and_b32 s0, vcc_lo, s0
	s_delay_alu instid0(SALU_CYCLE_1)
	s_and_saveexec_b32 s1, s0
	s_cbranch_execz .LBB1028_11
; %bb.10:
	v_mul_f64 v[0:1], v[0:1], s[18:19]
	v_ashrrev_i32_e32 v7, 31, v6
	s_delay_alu instid0(VALU_DEP_1) | instskip(NEXT) | instid1(VALU_DEP_1)
	v_lshlrev_b64 v[2:3], 3, v[6:7]
	v_add_co_u32 v2, vcc_lo, v8, v2
	s_delay_alu instid0(VALU_DEP_2)
	v_add_co_ci_u32_e32 v3, vcc_lo, v9, v3, vcc_lo
	global_store_b64 v[2:3], v[0:1], off
.LBB1028_11:
	s_nop 0
	s_sendmsg sendmsg(MSG_DEALLOC_VGPRS)
	s_endpgm
	.section	.rodata,"a",@progbits
	.p2align	6, 0x0
	.amdhsa_kernel _ZL37rocblas_syrkx_herkx_restricted_kernelIldLi16ELi32ELi8ELb1ELb0ELc67ELc76EKddEviT_T0_PT8_S1_lS4_S1_lS2_PT9_S1_li
		.amdhsa_group_segment_fixed_size 4096
		.amdhsa_private_segment_fixed_size 0
		.amdhsa_kernarg_size 108
		.amdhsa_user_sgpr_count 13
		.amdhsa_user_sgpr_dispatch_ptr 0
		.amdhsa_user_sgpr_queue_ptr 0
		.amdhsa_user_sgpr_kernarg_segment_ptr 1
		.amdhsa_user_sgpr_dispatch_id 0
		.amdhsa_user_sgpr_private_segment_size 0
		.amdhsa_wavefront_size32 1
		.amdhsa_uses_dynamic_stack 0
		.amdhsa_enable_private_segment 0
		.amdhsa_system_sgpr_workgroup_id_x 1
		.amdhsa_system_sgpr_workgroup_id_y 1
		.amdhsa_system_sgpr_workgroup_id_z 1
		.amdhsa_system_sgpr_workgroup_info 0
		.amdhsa_system_vgpr_workitem_id 1
		.amdhsa_next_free_vgpr 38
		.amdhsa_next_free_sgpr 32
		.amdhsa_reserve_vcc 1
		.amdhsa_float_round_mode_32 0
		.amdhsa_float_round_mode_16_64 0
		.amdhsa_float_denorm_mode_32 3
		.amdhsa_float_denorm_mode_16_64 3
		.amdhsa_dx10_clamp 1
		.amdhsa_ieee_mode 1
		.amdhsa_fp16_overflow 0
		.amdhsa_workgroup_processor_mode 1
		.amdhsa_memory_ordered 1
		.amdhsa_forward_progress 0
		.amdhsa_shared_vgpr_count 0
		.amdhsa_exception_fp_ieee_invalid_op 0
		.amdhsa_exception_fp_denorm_src 0
		.amdhsa_exception_fp_ieee_div_zero 0
		.amdhsa_exception_fp_ieee_overflow 0
		.amdhsa_exception_fp_ieee_underflow 0
		.amdhsa_exception_fp_ieee_inexact 0
		.amdhsa_exception_int_div_zero 0
	.end_amdhsa_kernel
	.section	.text._ZL37rocblas_syrkx_herkx_restricted_kernelIldLi16ELi32ELi8ELb1ELb0ELc67ELc76EKddEviT_T0_PT8_S1_lS4_S1_lS2_PT9_S1_li,"axG",@progbits,_ZL37rocblas_syrkx_herkx_restricted_kernelIldLi16ELi32ELi8ELb1ELb0ELc67ELc76EKddEviT_T0_PT8_S1_lS4_S1_lS2_PT9_S1_li,comdat
.Lfunc_end1028:
	.size	_ZL37rocblas_syrkx_herkx_restricted_kernelIldLi16ELi32ELi8ELb1ELb0ELc67ELc76EKddEviT_T0_PT8_S1_lS4_S1_lS2_PT9_S1_li, .Lfunc_end1028-_ZL37rocblas_syrkx_herkx_restricted_kernelIldLi16ELi32ELi8ELb1ELb0ELc67ELc76EKddEviT_T0_PT8_S1_lS4_S1_lS2_PT9_S1_li
                                        ; -- End function
	.section	.AMDGPU.csdata,"",@progbits
; Kernel info:
; codeLenInByte = 1500
; NumSgprs: 34
; NumVgprs: 38
; ScratchSize: 0
; MemoryBound: 0
; FloatMode: 240
; IeeeMode: 1
; LDSByteSize: 4096 bytes/workgroup (compile time only)
; SGPRBlocks: 4
; VGPRBlocks: 4
; NumSGPRsForWavesPerEU: 34
; NumVGPRsForWavesPerEU: 38
; Occupancy: 16
; WaveLimiterHint : 1
; COMPUTE_PGM_RSRC2:SCRATCH_EN: 0
; COMPUTE_PGM_RSRC2:USER_SGPR: 13
; COMPUTE_PGM_RSRC2:TRAP_HANDLER: 0
; COMPUTE_PGM_RSRC2:TGID_X_EN: 1
; COMPUTE_PGM_RSRC2:TGID_Y_EN: 1
; COMPUTE_PGM_RSRC2:TGID_Z_EN: 1
; COMPUTE_PGM_RSRC2:TIDIG_COMP_CNT: 1
	.section	.text._ZL37rocblas_syrkx_herkx_restricted_kernelIldLi16ELi32ELi8ELb1ELb0ELc78ELc76EKddEviT_T0_PT8_S1_lS4_S1_lS2_PT9_S1_li,"axG",@progbits,_ZL37rocblas_syrkx_herkx_restricted_kernelIldLi16ELi32ELi8ELb1ELb0ELc78ELc76EKddEviT_T0_PT8_S1_lS4_S1_lS2_PT9_S1_li,comdat
	.globl	_ZL37rocblas_syrkx_herkx_restricted_kernelIldLi16ELi32ELi8ELb1ELb0ELc78ELc76EKddEviT_T0_PT8_S1_lS4_S1_lS2_PT9_S1_li ; -- Begin function _ZL37rocblas_syrkx_herkx_restricted_kernelIldLi16ELi32ELi8ELb1ELb0ELc78ELc76EKddEviT_T0_PT8_S1_lS4_S1_lS2_PT9_S1_li
	.p2align	8
	.type	_ZL37rocblas_syrkx_herkx_restricted_kernelIldLi16ELi32ELi8ELb1ELb0ELc78ELc76EKddEviT_T0_PT8_S1_lS4_S1_lS2_PT9_S1_li,@function
_ZL37rocblas_syrkx_herkx_restricted_kernelIldLi16ELi32ELi8ELb1ELb0ELc78ELc76EKddEviT_T0_PT8_S1_lS4_S1_lS2_PT9_S1_li: ; @_ZL37rocblas_syrkx_herkx_restricted_kernelIldLi16ELi32ELi8ELb1ELb0ELc78ELc76EKddEviT_T0_PT8_S1_lS4_S1_lS2_PT9_S1_li
; %bb.0:
	s_load_b512 s[16:31], s[0:1], 0x8
	v_mov_b32_e32 v10, 0
	v_dual_mov_b32 v11, 0 :: v_dual_and_b32 v12, 0x3ff, v0
	v_bfe_u32 v13, v0, 10, 10
	s_delay_alu instid0(VALU_DEP_3) | instskip(NEXT) | instid1(VALU_DEP_3)
	v_mov_b32_e32 v8, v10
	v_dual_mov_b32 v2, v10 :: v_dual_mov_b32 v3, v11
	v_dual_mov_b32 v9, v11 :: v_dual_mov_b32 v0, v10
	v_mov_b32_e32 v1, v11
	s_lshl_b32 s8, s13, 5
	s_lshl_b32 s9, s14, 5
	s_waitcnt lgkmcnt(0)
	v_cmp_lt_i64_e64 s2, s[16:17], 1
	s_delay_alu instid0(VALU_DEP_1)
	s_and_b32 vcc_lo, exec_lo, s2
	s_cbranch_vccnz .LBB1029_3
; %bb.1:
	v_lshl_add_u32 v3, v13, 4, v12
	v_and_b32_e32 v9, 7, v12
	v_lshlrev_b32_e32 v14, 3, v12
	s_mul_i32 s3, s31, s15
	s_mul_hi_u32 s5, s30, s15
	v_lshrrev_b32_e32 v10, 3, v3
	v_lshrrev_b32_e32 v16, 5, v3
	s_mul_i32 s2, s30, s15
	s_add_i32 s3, s5, s3
	s_mul_i32 s6, s25, s15
	v_add_nc_u32_e32 v0, s9, v10
	s_lshl_b64 s[2:3], s[2:3], 3
	s_mul_hi_u32 s7, s24, s15
	s_add_u32 s10, s26, s2
	s_addc_u32 s11, s27, s3
	v_ashrrev_i32_e32 v1, 31, v0
	s_mul_i32 s4, s24, s15
	s_add_i32 s5, s7, s6
	s_lshl_b64 s[2:3], s[28:29], 6
	s_lshl_b64 s[4:5], s[4:5], 3
	v_mad_u64_u32 v[4:5], null, v9, s28, v[0:1]
	v_dual_mov_b32 v0, 0 :: v_dual_and_b32 v11, 31, v3
	v_mov_b32_e32 v1, 0
	v_lshlrev_b32_e32 v17, 3, v9
	s_add_u32 s4, s20, s4
	s_delay_alu instid0(VALU_DEP_3) | instskip(SKIP_3) | instid1(VALU_DEP_2)
	v_add_nc_u32_e32 v2, s8, v11
	s_addc_u32 s5, s21, s5
	v_lshl_add_u32 v15, v13, 6, 0x800
	s_mov_b64 s[6:7], 0
	v_ashrrev_i32_e32 v3, 31, v2
	s_delay_alu instid0(VALU_DEP_1) | instskip(NEXT) | instid1(VALU_DEP_1)
	v_mad_u64_u32 v[6:7], null, v16, s22, v[2:3]
	v_dual_mov_b32 v2, v5 :: v_dual_mov_b32 v3, v7
	s_delay_alu instid0(VALU_DEP_1) | instskip(SKIP_2) | instid1(VALU_DEP_3)
	v_mad_u64_u32 v[7:8], null, v9, s29, v[2:3]
	v_mad_u64_u32 v[8:9], null, v16, s23, v[3:4]
	v_lshlrev_b32_e32 v9, 3, v11
	v_mov_b32_e32 v5, v7
	s_delay_alu instid0(VALU_DEP_2) | instskip(NEXT) | instid1(VALU_DEP_4)
	v_lshl_or_b32 v16, v16, 8, v9
	v_mov_b32_e32 v7, v8
	v_dual_mov_b32 v9, v1 :: v_dual_mov_b32 v8, v0
	s_delay_alu instid0(VALU_DEP_4) | instskip(NEXT) | instid1(VALU_DEP_3)
	v_lshlrev_b64 v[2:3], 3, v[4:5]
	v_lshlrev_b64 v[6:7], 3, v[6:7]
	s_delay_alu instid0(VALU_DEP_2) | instskip(NEXT) | instid1(VALU_DEP_3)
	v_add_co_u32 v4, vcc_lo, s10, v2
	v_add_co_ci_u32_e32 v5, vcc_lo, s11, v3, vcc_lo
	v_dual_mov_b32 v3, v1 :: v_dual_mov_b32 v2, v0
	v_lshl_or_b32 v10, v10, 6, v17
	v_add_co_u32 v6, vcc_lo, s4, v6
	v_add_co_ci_u32_e32 v7, vcc_lo, s5, v7, vcc_lo
	s_delay_alu instid0(VALU_DEP_3)
	v_add_nc_u32_e32 v17, 0x800, v10
	v_dual_mov_b32 v11, v1 :: v_dual_mov_b32 v10, v0
	s_lshl_b64 s[4:5], s[22:23], 6
.LBB1029_2:                             ; =>This Inner Loop Header: Depth=1
	global_load_b64 v[18:19], v[6:7], off
	global_load_b64 v[20:21], v[4:5], off
	s_add_u32 s6, s6, 8
	v_add_co_u32 v4, vcc_lo, v4, s2
	s_addc_u32 s7, s7, 0
	v_add_co_ci_u32_e32 v5, vcc_lo, s3, v5, vcc_lo
	v_cmp_ge_u64_e64 s10, s[6:7], s[16:17]
	v_add_co_u32 v6, vcc_lo, v6, s4
	v_add_co_ci_u32_e32 v7, vcc_lo, s5, v7, vcc_lo
	s_waitcnt vmcnt(1)
	ds_store_b64 v16, v[18:19]
	s_waitcnt vmcnt(0)
	ds_store_b64 v17, v[20:21]
	s_waitcnt lgkmcnt(0)
	s_barrier
	buffer_gl0_inv
	ds_load_2addr_b64 v[18:21], v14 offset1:16
	ds_load_b128 v[22:25], v15
	ds_load_b128 v[26:29], v15 offset:1024
	ds_load_b128 v[30:33], v15 offset:16
	;; [unrolled: 1-line block ×3, first 2 shown]
	s_and_b32 vcc_lo, exec_lo, s10
	s_waitcnt lgkmcnt(3)
	v_fma_f64 v[10:11], v[18:19], v[22:23], v[10:11]
	v_fma_f64 v[8:9], v[20:21], v[22:23], v[8:9]
	s_waitcnt lgkmcnt(2)
	v_fma_f64 v[18:19], v[18:19], v[26:27], v[2:3]
	v_fma_f64 v[20:21], v[20:21], v[26:27], v[0:1]
	ds_load_2addr_b64 v[0:3], v14 offset0:32 offset1:48
	s_waitcnt lgkmcnt(0)
	v_fma_f64 v[10:11], v[0:1], v[24:25], v[10:11]
	v_fma_f64 v[8:9], v[2:3], v[24:25], v[8:9]
	v_fma_f64 v[18:19], v[0:1], v[28:29], v[18:19]
	v_fma_f64 v[20:21], v[2:3], v[28:29], v[20:21]
	ds_load_2addr_b64 v[0:3], v14 offset0:64 offset1:80
	s_waitcnt lgkmcnt(0)
	v_fma_f64 v[10:11], v[0:1], v[30:31], v[10:11]
	v_fma_f64 v[8:9], v[2:3], v[30:31], v[8:9]
	;; [unrolled: 6-line block ×3, first 2 shown]
	v_fma_f64 v[34:35], v[0:1], v[36:37], v[18:19]
	v_fma_f64 v[36:37], v[2:3], v[36:37], v[20:21]
	ds_load_2addr_b64 v[0:3], v14 offset0:128 offset1:144
	ds_load_b128 v[8:11], v15 offset:32
	ds_load_b128 v[18:21], v15 offset:1056
	;; [unrolled: 1-line block ×4, first 2 shown]
	s_waitcnt lgkmcnt(3)
	v_fma_f64 v[30:31], v[0:1], v[8:9], v[30:31]
	v_fma_f64 v[8:9], v[2:3], v[8:9], v[32:33]
	s_waitcnt lgkmcnt(2)
	v_fma_f64 v[32:33], v[0:1], v[18:19], v[34:35]
	v_fma_f64 v[18:19], v[2:3], v[18:19], v[36:37]
	ds_load_2addr_b64 v[0:3], v14 offset0:160 offset1:176
	s_waitcnt lgkmcnt(0)
	v_fma_f64 v[30:31], v[0:1], v[10:11], v[30:31]
	v_fma_f64 v[8:9], v[2:3], v[10:11], v[8:9]
	;; [unrolled: 1-line block ×4, first 2 shown]
	ds_load_2addr_b64 v[0:3], v14 offset0:192 offset1:208
	s_waitcnt lgkmcnt(0)
	v_fma_f64 v[30:31], v[0:1], v[22:23], v[30:31]
	v_fma_f64 v[8:9], v[2:3], v[22:23], v[8:9]
	;; [unrolled: 1-line block ×4, first 2 shown]
	ds_load_2addr_b64 v[18:21], v14 offset0:224 offset1:240
	s_waitcnt lgkmcnt(0)
	s_barrier
	buffer_gl0_inv
	v_fma_f64 v[10:11], v[18:19], v[24:25], v[30:31]
	v_fma_f64 v[8:9], v[20:21], v[24:25], v[8:9]
	;; [unrolled: 1-line block ×4, first 2 shown]
	s_cbranch_vccz .LBB1029_2
.LBB1029_3:
	s_load_b128 s[4:7], s[0:1], 0x50
	v_add_nc_u32_e32 v13, s9, v13
	s_clause 0x1
	s_load_b32 s9, s[0:1], 0x0
	s_load_b64 s[2:3], s[0:1], 0x60
	s_delay_alu instid0(VALU_DEP_1) | instskip(SKIP_1) | instid1(VALU_DEP_1)
	v_ashrrev_i32_e32 v4, 31, v13
	s_waitcnt lgkmcnt(0)
	v_mul_lo_u32 v7, v4, s6
	v_mul_lo_u32 v14, v13, s7
	v_mad_u64_u32 v[5:6], null, v13, s6, 0
	s_mul_i32 s1, s15, s3
	s_mul_hi_u32 s3, s15, s2
	s_mul_i32 s2, s15, s2
	s_add_i32 s3, s3, s1
	v_add_nc_u32_e32 v4, s8, v12
	s_lshl_b64 s[2:3], s[2:3], 3
	s_delay_alu instid0(VALU_DEP_2)
	v_add3_u32 v6, v6, v14, v7
	s_add_u32 s2, s4, s2
	s_addc_u32 s3, s5, s3
	v_cmp_le_i32_e64 s0, v13, v4
	v_cmp_gt_i32_e32 vcc_lo, s9, v4
	v_lshlrev_b64 v[5:6], 3, v[5:6]
	s_delay_alu instid0(VALU_DEP_3) | instskip(NEXT) | instid1(VALU_DEP_1)
	s_and_b32 s0, s0, vcc_lo
	v_add_co_u32 v12, s1, s2, v5
	s_delay_alu instid0(VALU_DEP_1)
	v_add_co_ci_u32_e64 v14, s1, s3, v6, s1
	s_and_saveexec_b32 s1, s0
	s_cbranch_execz .LBB1029_5
; %bb.4:
	v_mul_f64 v[6:7], v[10:11], s[18:19]
	v_ashrrev_i32_e32 v5, 31, v4
	s_delay_alu instid0(VALU_DEP_1) | instskip(NEXT) | instid1(VALU_DEP_1)
	v_lshlrev_b64 v[10:11], 3, v[4:5]
	v_add_co_u32 v10, s0, v12, v10
	s_delay_alu instid0(VALU_DEP_1)
	v_add_co_ci_u32_e64 v11, s0, v14, v11, s0
	global_store_b64 v[10:11], v[6:7], off
.LBB1029_5:
	s_or_b32 exec_lo, exec_lo, s1
	v_add_nc_u32_e32 v6, 16, v4
	s_delay_alu instid0(VALU_DEP_1) | instskip(SKIP_1) | instid1(VALU_DEP_1)
	v_cmp_le_i32_e64 s1, v13, v6
	v_cmp_gt_i32_e64 s0, s9, v6
	s_and_b32 s1, s1, s0
	s_delay_alu instid0(SALU_CYCLE_1)
	s_and_saveexec_b32 s4, s1
	s_cbranch_execz .LBB1029_7
; %bb.6:
	v_mul_f64 v[8:9], v[8:9], s[18:19]
	v_ashrrev_i32_e32 v7, 31, v6
	s_delay_alu instid0(VALU_DEP_1) | instskip(NEXT) | instid1(VALU_DEP_1)
	v_lshlrev_b64 v[10:11], 3, v[6:7]
	v_add_co_u32 v10, s1, v12, v10
	s_delay_alu instid0(VALU_DEP_1)
	v_add_co_ci_u32_e64 v11, s1, v14, v11, s1
	global_store_b64 v[10:11], v[8:9], off
.LBB1029_7:
	s_or_b32 exec_lo, exec_lo, s4
	v_add_nc_u32_e32 v7, 16, v13
	s_delay_alu instid0(VALU_DEP_1) | instskip(SKIP_3) | instid1(VALU_DEP_4)
	v_ashrrev_i32_e32 v5, 31, v7
	v_mul_lo_u32 v10, v7, s7
	v_mad_u64_u32 v[8:9], null, v7, s6, 0
	v_cmp_le_i32_e64 s1, v7, v4
	v_mul_lo_u32 v5, v5, s6
	s_delay_alu instid0(VALU_DEP_1) | instskip(NEXT) | instid1(VALU_DEP_1)
	v_add3_u32 v9, v9, v10, v5
	v_lshlrev_b64 v[8:9], 3, v[8:9]
	s_delay_alu instid0(VALU_DEP_1) | instskip(NEXT) | instid1(VALU_DEP_1)
	v_add_co_u32 v8, s2, s2, v8
	v_add_co_ci_u32_e64 v9, s2, s3, v9, s2
	s_and_b32 s2, s1, vcc_lo
	s_delay_alu instid0(SALU_CYCLE_1)
	s_and_saveexec_b32 s1, s2
	s_cbranch_execz .LBB1029_9
; %bb.8:
	v_mul_f64 v[2:3], v[2:3], s[18:19]
	v_ashrrev_i32_e32 v5, 31, v4
	s_delay_alu instid0(VALU_DEP_1) | instskip(NEXT) | instid1(VALU_DEP_1)
	v_lshlrev_b64 v[4:5], 3, v[4:5]
	v_add_co_u32 v4, vcc_lo, v8, v4
	s_delay_alu instid0(VALU_DEP_2)
	v_add_co_ci_u32_e32 v5, vcc_lo, v9, v5, vcc_lo
	global_store_b64 v[4:5], v[2:3], off
.LBB1029_9:
	s_or_b32 exec_lo, exec_lo, s1
	v_cmp_le_i32_e32 vcc_lo, v7, v6
	s_and_b32 s0, vcc_lo, s0
	s_delay_alu instid0(SALU_CYCLE_1)
	s_and_saveexec_b32 s1, s0
	s_cbranch_execz .LBB1029_11
; %bb.10:
	v_mul_f64 v[0:1], v[0:1], s[18:19]
	v_ashrrev_i32_e32 v7, 31, v6
	s_delay_alu instid0(VALU_DEP_1) | instskip(NEXT) | instid1(VALU_DEP_1)
	v_lshlrev_b64 v[2:3], 3, v[6:7]
	v_add_co_u32 v2, vcc_lo, v8, v2
	s_delay_alu instid0(VALU_DEP_2)
	v_add_co_ci_u32_e32 v3, vcc_lo, v9, v3, vcc_lo
	global_store_b64 v[2:3], v[0:1], off
.LBB1029_11:
	s_nop 0
	s_sendmsg sendmsg(MSG_DEALLOC_VGPRS)
	s_endpgm
	.section	.rodata,"a",@progbits
	.p2align	6, 0x0
	.amdhsa_kernel _ZL37rocblas_syrkx_herkx_restricted_kernelIldLi16ELi32ELi8ELb1ELb0ELc78ELc76EKddEviT_T0_PT8_S1_lS4_S1_lS2_PT9_S1_li
		.amdhsa_group_segment_fixed_size 4096
		.amdhsa_private_segment_fixed_size 0
		.amdhsa_kernarg_size 108
		.amdhsa_user_sgpr_count 13
		.amdhsa_user_sgpr_dispatch_ptr 0
		.amdhsa_user_sgpr_queue_ptr 0
		.amdhsa_user_sgpr_kernarg_segment_ptr 1
		.amdhsa_user_sgpr_dispatch_id 0
		.amdhsa_user_sgpr_private_segment_size 0
		.amdhsa_wavefront_size32 1
		.amdhsa_uses_dynamic_stack 0
		.amdhsa_enable_private_segment 0
		.amdhsa_system_sgpr_workgroup_id_x 1
		.amdhsa_system_sgpr_workgroup_id_y 1
		.amdhsa_system_sgpr_workgroup_id_z 1
		.amdhsa_system_sgpr_workgroup_info 0
		.amdhsa_system_vgpr_workitem_id 1
		.amdhsa_next_free_vgpr 38
		.amdhsa_next_free_sgpr 32
		.amdhsa_reserve_vcc 1
		.amdhsa_float_round_mode_32 0
		.amdhsa_float_round_mode_16_64 0
		.amdhsa_float_denorm_mode_32 3
		.amdhsa_float_denorm_mode_16_64 3
		.amdhsa_dx10_clamp 1
		.amdhsa_ieee_mode 1
		.amdhsa_fp16_overflow 0
		.amdhsa_workgroup_processor_mode 1
		.amdhsa_memory_ordered 1
		.amdhsa_forward_progress 0
		.amdhsa_shared_vgpr_count 0
		.amdhsa_exception_fp_ieee_invalid_op 0
		.amdhsa_exception_fp_denorm_src 0
		.amdhsa_exception_fp_ieee_div_zero 0
		.amdhsa_exception_fp_ieee_overflow 0
		.amdhsa_exception_fp_ieee_underflow 0
		.amdhsa_exception_fp_ieee_inexact 0
		.amdhsa_exception_int_div_zero 0
	.end_amdhsa_kernel
	.section	.text._ZL37rocblas_syrkx_herkx_restricted_kernelIldLi16ELi32ELi8ELb1ELb0ELc78ELc76EKddEviT_T0_PT8_S1_lS4_S1_lS2_PT9_S1_li,"axG",@progbits,_ZL37rocblas_syrkx_herkx_restricted_kernelIldLi16ELi32ELi8ELb1ELb0ELc78ELc76EKddEviT_T0_PT8_S1_lS4_S1_lS2_PT9_S1_li,comdat
.Lfunc_end1029:
	.size	_ZL37rocblas_syrkx_herkx_restricted_kernelIldLi16ELi32ELi8ELb1ELb0ELc78ELc76EKddEviT_T0_PT8_S1_lS4_S1_lS2_PT9_S1_li, .Lfunc_end1029-_ZL37rocblas_syrkx_herkx_restricted_kernelIldLi16ELi32ELi8ELb1ELb0ELc78ELc76EKddEviT_T0_PT8_S1_lS4_S1_lS2_PT9_S1_li
                                        ; -- End function
	.section	.AMDGPU.csdata,"",@progbits
; Kernel info:
; codeLenInByte = 1488
; NumSgprs: 34
; NumVgprs: 38
; ScratchSize: 0
; MemoryBound: 0
; FloatMode: 240
; IeeeMode: 1
; LDSByteSize: 4096 bytes/workgroup (compile time only)
; SGPRBlocks: 4
; VGPRBlocks: 4
; NumSGPRsForWavesPerEU: 34
; NumVGPRsForWavesPerEU: 38
; Occupancy: 16
; WaveLimiterHint : 1
; COMPUTE_PGM_RSRC2:SCRATCH_EN: 0
; COMPUTE_PGM_RSRC2:USER_SGPR: 13
; COMPUTE_PGM_RSRC2:TRAP_HANDLER: 0
; COMPUTE_PGM_RSRC2:TGID_X_EN: 1
; COMPUTE_PGM_RSRC2:TGID_Y_EN: 1
; COMPUTE_PGM_RSRC2:TGID_Z_EN: 1
; COMPUTE_PGM_RSRC2:TIDIG_COMP_CNT: 1
	.section	.text._ZL37rocblas_syrkx_herkx_restricted_kernelIldLi16ELi32ELi8ELb1ELb0ELc84ELc85EKddEviT_T0_PT8_S1_lS4_S1_lS2_PT9_S1_li,"axG",@progbits,_ZL37rocblas_syrkx_herkx_restricted_kernelIldLi16ELi32ELi8ELb1ELb0ELc84ELc85EKddEviT_T0_PT8_S1_lS4_S1_lS2_PT9_S1_li,comdat
	.globl	_ZL37rocblas_syrkx_herkx_restricted_kernelIldLi16ELi32ELi8ELb1ELb0ELc84ELc85EKddEviT_T0_PT8_S1_lS4_S1_lS2_PT9_S1_li ; -- Begin function _ZL37rocblas_syrkx_herkx_restricted_kernelIldLi16ELi32ELi8ELb1ELb0ELc84ELc85EKddEviT_T0_PT8_S1_lS4_S1_lS2_PT9_S1_li
	.p2align	8
	.type	_ZL37rocblas_syrkx_herkx_restricted_kernelIldLi16ELi32ELi8ELb1ELb0ELc84ELc85EKddEviT_T0_PT8_S1_lS4_S1_lS2_PT9_S1_li,@function
_ZL37rocblas_syrkx_herkx_restricted_kernelIldLi16ELi32ELi8ELb1ELb0ELc84ELc85EKddEviT_T0_PT8_S1_lS4_S1_lS2_PT9_S1_li: ; @_ZL37rocblas_syrkx_herkx_restricted_kernelIldLi16ELi32ELi8ELb1ELb0ELc84ELc85EKddEviT_T0_PT8_S1_lS4_S1_lS2_PT9_S1_li
; %bb.0:
	s_load_b512 s[16:31], s[0:1], 0x8
	v_mov_b32_e32 v10, 0
	v_dual_mov_b32 v11, 0 :: v_dual_and_b32 v12, 0x3ff, v0
	v_bfe_u32 v13, v0, 10, 10
	s_delay_alu instid0(VALU_DEP_3) | instskip(NEXT) | instid1(VALU_DEP_3)
	v_mov_b32_e32 v8, v10
	v_dual_mov_b32 v2, v10 :: v_dual_mov_b32 v3, v11
	v_dual_mov_b32 v9, v11 :: v_dual_mov_b32 v0, v10
	v_mov_b32_e32 v1, v11
	s_lshl_b32 s8, s13, 5
	s_lshl_b32 s9, s14, 5
	s_waitcnt lgkmcnt(0)
	v_cmp_lt_i64_e64 s2, s[16:17], 1
	s_delay_alu instid0(VALU_DEP_1)
	s_and_b32 vcc_lo, exec_lo, s2
	s_cbranch_vccnz .LBB1030_3
; %bb.1:
	v_lshl_add_u32 v2, v13, 4, v12
	v_dual_mov_b32 v1, 0 :: v_dual_and_b32 v0, 7, v12
	v_lshlrev_b32_e32 v14, 3, v12
	s_mul_i32 s3, s31, s15
	s_delay_alu instid0(VALU_DEP_3)
	v_lshrrev_b32_e32 v6, 3, v2
	v_and_b32_e32 v8, 31, v2
	v_lshrrev_b32_e32 v2, 5, v2
	v_mov_b32_e32 v3, v1
	v_lshlrev_b32_e32 v9, 3, v0
	v_add_nc_u32_e32 v7, s9, v6
	v_add_nc_u32_e32 v11, s8, v8
	s_mul_hi_u32 s4, s30, s15
	s_mul_i32 s2, s30, s15
	v_lshl_or_b32 v6, v6, 6, v9
	v_ashrrev_i32_e32 v10, 31, v7
	v_mul_lo_u32 v15, v7, s29
	v_mad_u64_u32 v[4:5], null, v7, s28, v[0:1]
	v_mad_u64_u32 v[0:1], null, s22, v11, v[2:3]
	s_delay_alu instid0(VALU_DEP_4)
	v_mul_lo_u32 v7, v10, s28
	v_ashrrev_i32_e32 v10, 31, v11
	v_mul_lo_u32 v9, s23, v11
	v_add_nc_u32_e32 v16, 0x800, v6
	s_add_i32 s3, s4, s3
	v_lshl_add_u32 v17, v13, 6, 0x800
	v_mul_lo_u32 v10, s22, v10
	s_lshl_b64 s[2:3], s[2:3], 3
	v_add3_u32 v5, v7, v5, v15
	s_add_u32 s4, s26, s2
	s_addc_u32 s5, s27, s3
	s_mul_i32 s2, s25, s15
	s_mul_hi_u32 s3, s24, s15
	s_delay_alu instid0(VALU_DEP_2) | instskip(SKIP_2) | instid1(SALU_CYCLE_1)
	v_add3_u32 v1, v9, v1, v10
	s_add_i32 s3, s3, s2
	s_mul_i32 s2, s24, s15
	s_lshl_b64 s[2:3], s[2:3], 3
	s_delay_alu instid0(VALU_DEP_1) | instskip(SKIP_4) | instid1(VALU_DEP_1)
	v_lshlrev_b64 v[6:7], 3, v[0:1]
	v_mov_b32_e32 v0, 0
	v_dual_mov_b32 v1, 0 :: v_dual_lshlrev_b32 v8, 3, v8
	s_add_u32 s2, s20, s2
	s_addc_u32 s3, s21, s3
	v_dual_mov_b32 v11, v1 :: v_dual_mov_b32 v10, v0
	s_delay_alu instid0(VALU_DEP_2) | instskip(SKIP_2) | instid1(VALU_DEP_2)
	v_lshl_or_b32 v15, v2, 8, v8
	v_lshlrev_b64 v[2:3], 3, v[4:5]
	v_dual_mov_b32 v9, v1 :: v_dual_mov_b32 v8, v0
	v_add_co_u32 v4, vcc_lo, s4, v2
	s_delay_alu instid0(VALU_DEP_3)
	v_add_co_ci_u32_e32 v5, vcc_lo, s5, v3, vcc_lo
	v_add_co_u32 v6, vcc_lo, s2, v6
	v_mov_b32_e32 v3, v1
	v_add_co_ci_u32_e32 v7, vcc_lo, s3, v7, vcc_lo
	v_mov_b32_e32 v2, v0
	s_mov_b64 s[2:3], 0
.LBB1030_2:                             ; =>This Inner Loop Header: Depth=1
	global_load_b64 v[18:19], v[6:7], off
	global_load_b64 v[20:21], v[4:5], off
	s_add_u32 s2, s2, 8
	v_add_co_u32 v4, vcc_lo, v4, 64
	s_addc_u32 s3, s3, 0
	v_add_co_ci_u32_e32 v5, vcc_lo, 0, v5, vcc_lo
	v_cmp_ge_u64_e64 s4, s[2:3], s[16:17]
	v_add_co_u32 v6, vcc_lo, v6, 64
	v_add_co_ci_u32_e32 v7, vcc_lo, 0, v7, vcc_lo
	s_waitcnt vmcnt(1)
	ds_store_b64 v15, v[18:19]
	s_waitcnt vmcnt(0)
	ds_store_b64 v16, v[20:21]
	s_waitcnt lgkmcnt(0)
	s_barrier
	buffer_gl0_inv
	ds_load_2addr_b64 v[18:21], v14 offset1:16
	ds_load_b128 v[22:25], v17
	ds_load_b128 v[26:29], v17 offset:1024
	ds_load_b128 v[30:33], v17 offset:16
	;; [unrolled: 1-line block ×3, first 2 shown]
	s_and_b32 vcc_lo, exec_lo, s4
	s_waitcnt lgkmcnt(3)
	v_fma_f64 v[10:11], v[18:19], v[22:23], v[10:11]
	v_fma_f64 v[8:9], v[20:21], v[22:23], v[8:9]
	s_waitcnt lgkmcnt(2)
	v_fma_f64 v[18:19], v[18:19], v[26:27], v[2:3]
	v_fma_f64 v[20:21], v[20:21], v[26:27], v[0:1]
	ds_load_2addr_b64 v[0:3], v14 offset0:32 offset1:48
	s_waitcnt lgkmcnt(0)
	v_fma_f64 v[10:11], v[0:1], v[24:25], v[10:11]
	v_fma_f64 v[8:9], v[2:3], v[24:25], v[8:9]
	v_fma_f64 v[18:19], v[0:1], v[28:29], v[18:19]
	v_fma_f64 v[20:21], v[2:3], v[28:29], v[20:21]
	ds_load_2addr_b64 v[0:3], v14 offset0:64 offset1:80
	s_waitcnt lgkmcnt(0)
	v_fma_f64 v[10:11], v[0:1], v[30:31], v[10:11]
	v_fma_f64 v[8:9], v[2:3], v[30:31], v[8:9]
	;; [unrolled: 6-line block ×3, first 2 shown]
	v_fma_f64 v[34:35], v[0:1], v[36:37], v[18:19]
	v_fma_f64 v[36:37], v[2:3], v[36:37], v[20:21]
	ds_load_2addr_b64 v[0:3], v14 offset0:128 offset1:144
	ds_load_b128 v[8:11], v17 offset:32
	ds_load_b128 v[18:21], v17 offset:1056
	;; [unrolled: 1-line block ×4, first 2 shown]
	s_waitcnt lgkmcnt(3)
	v_fma_f64 v[30:31], v[0:1], v[8:9], v[30:31]
	v_fma_f64 v[8:9], v[2:3], v[8:9], v[32:33]
	s_waitcnt lgkmcnt(2)
	v_fma_f64 v[32:33], v[0:1], v[18:19], v[34:35]
	v_fma_f64 v[18:19], v[2:3], v[18:19], v[36:37]
	ds_load_2addr_b64 v[0:3], v14 offset0:160 offset1:176
	s_waitcnt lgkmcnt(0)
	v_fma_f64 v[30:31], v[0:1], v[10:11], v[30:31]
	v_fma_f64 v[8:9], v[2:3], v[10:11], v[8:9]
	;; [unrolled: 1-line block ×4, first 2 shown]
	ds_load_2addr_b64 v[0:3], v14 offset0:192 offset1:208
	s_waitcnt lgkmcnt(0)
	v_fma_f64 v[30:31], v[0:1], v[22:23], v[30:31]
	v_fma_f64 v[8:9], v[2:3], v[22:23], v[8:9]
	;; [unrolled: 1-line block ×4, first 2 shown]
	ds_load_2addr_b64 v[18:21], v14 offset0:224 offset1:240
	s_waitcnt lgkmcnt(0)
	s_barrier
	buffer_gl0_inv
	v_fma_f64 v[10:11], v[18:19], v[24:25], v[30:31]
	v_fma_f64 v[8:9], v[20:21], v[24:25], v[8:9]
	;; [unrolled: 1-line block ×4, first 2 shown]
	s_cbranch_vccz .LBB1030_2
.LBB1030_3:
	s_clause 0x1
	s_load_b128 s[4:7], s[0:1], 0x50
	s_load_b32 s2, s[0:1], 0x0
	v_add_nc_u32_e32 v13, s9, v13
	s_load_b64 s[10:11], s[0:1], 0x60
	s_delay_alu instid0(VALU_DEP_1) | instskip(SKIP_1) | instid1(VALU_DEP_1)
	v_ashrrev_i32_e32 v4, 31, v13
	s_waitcnt lgkmcnt(0)
	v_mul_lo_u32 v7, v4, s6
	v_mul_lo_u32 v14, v13, s7
	v_mad_u64_u32 v[5:6], null, v13, s6, 0
	s_mul_i32 s1, s15, s11
	s_mul_hi_u32 s3, s15, s10
	v_add_nc_u32_e32 v4, s8, v12
	s_mul_i32 s8, s15, s10
	s_add_i32 s9, s3, s1
	v_cmp_gt_i32_e32 vcc_lo, s2, v13
	s_delay_alu instid0(VALU_DEP_3)
	v_add3_u32 v6, v6, v14, v7
	s_lshl_b64 s[8:9], s[8:9], 3
	v_cmp_le_i32_e64 s0, v4, v13
	s_add_u32 s3, s4, s8
	s_addc_u32 s4, s5, s9
	v_lshlrev_b64 v[5:6], 3, v[5:6]
	s_delay_alu instid0(VALU_DEP_2) | instskip(NEXT) | instid1(VALU_DEP_1)
	s_and_b32 s0, vcc_lo, s0
	v_add_co_u32 v12, s1, s3, v5
	s_delay_alu instid0(VALU_DEP_1)
	v_add_co_ci_u32_e64 v14, s1, s4, v6, s1
	s_and_saveexec_b32 s1, s0
	s_cbranch_execz .LBB1030_5
; %bb.4:
	v_mul_f64 v[6:7], v[10:11], s[18:19]
	v_ashrrev_i32_e32 v5, 31, v4
	s_delay_alu instid0(VALU_DEP_1) | instskip(NEXT) | instid1(VALU_DEP_1)
	v_lshlrev_b64 v[10:11], 3, v[4:5]
	v_add_co_u32 v10, s0, v12, v10
	s_delay_alu instid0(VALU_DEP_1)
	v_add_co_ci_u32_e64 v11, s0, v14, v11, s0
	global_store_b64 v[10:11], v[6:7], off
.LBB1030_5:
	s_or_b32 exec_lo, exec_lo, s1
	v_add_nc_u32_e32 v6, 16, v4
	s_delay_alu instid0(VALU_DEP_1) | instskip(NEXT) | instid1(VALU_DEP_1)
	v_cmp_le_i32_e64 s0, v6, v13
	s_and_b32 s1, vcc_lo, s0
	s_delay_alu instid0(SALU_CYCLE_1)
	s_and_saveexec_b32 s0, s1
	s_cbranch_execz .LBB1030_7
; %bb.6:
	v_mul_f64 v[8:9], v[8:9], s[18:19]
	v_ashrrev_i32_e32 v7, 31, v6
	s_delay_alu instid0(VALU_DEP_1) | instskip(NEXT) | instid1(VALU_DEP_1)
	v_lshlrev_b64 v[10:11], 3, v[6:7]
	v_add_co_u32 v10, vcc_lo, v12, v10
	s_delay_alu instid0(VALU_DEP_2)
	v_add_co_ci_u32_e32 v11, vcc_lo, v14, v11, vcc_lo
	global_store_b64 v[10:11], v[8:9], off
.LBB1030_7:
	s_or_b32 exec_lo, exec_lo, s0
	v_add_nc_u32_e32 v7, 16, v13
	s_delay_alu instid0(VALU_DEP_1) | instskip(SKIP_3) | instid1(VALU_DEP_4)
	v_ashrrev_i32_e32 v5, 31, v7
	v_mul_lo_u32 v10, v7, s7
	v_mad_u64_u32 v[8:9], null, v7, s6, 0
	v_cmp_gt_i32_e32 vcc_lo, s2, v7
	v_mul_lo_u32 v5, v5, s6
	v_cmp_le_i32_e64 s0, v4, v7
	s_delay_alu instid0(VALU_DEP_1) | instskip(NEXT) | instid1(VALU_DEP_2)
	s_and_b32 s0, vcc_lo, s0
	v_add3_u32 v9, v9, v10, v5
	s_delay_alu instid0(VALU_DEP_1) | instskip(NEXT) | instid1(VALU_DEP_1)
	v_lshlrev_b64 v[8:9], 3, v[8:9]
	v_add_co_u32 v8, s1, s3, v8
	s_delay_alu instid0(VALU_DEP_1)
	v_add_co_ci_u32_e64 v9, s1, s4, v9, s1
	s_and_saveexec_b32 s1, s0
	s_cbranch_execz .LBB1030_9
; %bb.8:
	v_mul_f64 v[2:3], v[2:3], s[18:19]
	v_ashrrev_i32_e32 v5, 31, v4
	s_delay_alu instid0(VALU_DEP_1) | instskip(NEXT) | instid1(VALU_DEP_1)
	v_lshlrev_b64 v[4:5], 3, v[4:5]
	v_add_co_u32 v4, s0, v8, v4
	s_delay_alu instid0(VALU_DEP_1)
	v_add_co_ci_u32_e64 v5, s0, v9, v5, s0
	global_store_b64 v[4:5], v[2:3], off
.LBB1030_9:
	s_or_b32 exec_lo, exec_lo, s1
	v_cmp_le_i32_e64 s0, v6, v7
	s_delay_alu instid0(VALU_DEP_1) | instskip(NEXT) | instid1(SALU_CYCLE_1)
	s_and_b32 s0, vcc_lo, s0
	s_and_saveexec_b32 s1, s0
	s_cbranch_execz .LBB1030_11
; %bb.10:
	v_mul_f64 v[0:1], v[0:1], s[18:19]
	v_ashrrev_i32_e32 v7, 31, v6
	s_delay_alu instid0(VALU_DEP_1) | instskip(NEXT) | instid1(VALU_DEP_1)
	v_lshlrev_b64 v[2:3], 3, v[6:7]
	v_add_co_u32 v2, vcc_lo, v8, v2
	s_delay_alu instid0(VALU_DEP_2)
	v_add_co_ci_u32_e32 v3, vcc_lo, v9, v3, vcc_lo
	global_store_b64 v[2:3], v[0:1], off
.LBB1030_11:
	s_nop 0
	s_sendmsg sendmsg(MSG_DEALLOC_VGPRS)
	s_endpgm
	.section	.rodata,"a",@progbits
	.p2align	6, 0x0
	.amdhsa_kernel _ZL37rocblas_syrkx_herkx_restricted_kernelIldLi16ELi32ELi8ELb1ELb0ELc84ELc85EKddEviT_T0_PT8_S1_lS4_S1_lS2_PT9_S1_li
		.amdhsa_group_segment_fixed_size 4096
		.amdhsa_private_segment_fixed_size 0
		.amdhsa_kernarg_size 108
		.amdhsa_user_sgpr_count 13
		.amdhsa_user_sgpr_dispatch_ptr 0
		.amdhsa_user_sgpr_queue_ptr 0
		.amdhsa_user_sgpr_kernarg_segment_ptr 1
		.amdhsa_user_sgpr_dispatch_id 0
		.amdhsa_user_sgpr_private_segment_size 0
		.amdhsa_wavefront_size32 1
		.amdhsa_uses_dynamic_stack 0
		.amdhsa_enable_private_segment 0
		.amdhsa_system_sgpr_workgroup_id_x 1
		.amdhsa_system_sgpr_workgroup_id_y 1
		.amdhsa_system_sgpr_workgroup_id_z 1
		.amdhsa_system_sgpr_workgroup_info 0
		.amdhsa_system_vgpr_workitem_id 1
		.amdhsa_next_free_vgpr 38
		.amdhsa_next_free_sgpr 32
		.amdhsa_reserve_vcc 1
		.amdhsa_float_round_mode_32 0
		.amdhsa_float_round_mode_16_64 0
		.amdhsa_float_denorm_mode_32 3
		.amdhsa_float_denorm_mode_16_64 3
		.amdhsa_dx10_clamp 1
		.amdhsa_ieee_mode 1
		.amdhsa_fp16_overflow 0
		.amdhsa_workgroup_processor_mode 1
		.amdhsa_memory_ordered 1
		.amdhsa_forward_progress 0
		.amdhsa_shared_vgpr_count 0
		.amdhsa_exception_fp_ieee_invalid_op 0
		.amdhsa_exception_fp_denorm_src 0
		.amdhsa_exception_fp_ieee_div_zero 0
		.amdhsa_exception_fp_ieee_overflow 0
		.amdhsa_exception_fp_ieee_underflow 0
		.amdhsa_exception_fp_ieee_inexact 0
		.amdhsa_exception_int_div_zero 0
	.end_amdhsa_kernel
	.section	.text._ZL37rocblas_syrkx_herkx_restricted_kernelIldLi16ELi32ELi8ELb1ELb0ELc84ELc85EKddEviT_T0_PT8_S1_lS4_S1_lS2_PT9_S1_li,"axG",@progbits,_ZL37rocblas_syrkx_herkx_restricted_kernelIldLi16ELi32ELi8ELb1ELb0ELc84ELc85EKddEviT_T0_PT8_S1_lS4_S1_lS2_PT9_S1_li,comdat
.Lfunc_end1030:
	.size	_ZL37rocblas_syrkx_herkx_restricted_kernelIldLi16ELi32ELi8ELb1ELb0ELc84ELc85EKddEviT_T0_PT8_S1_lS4_S1_lS2_PT9_S1_li, .Lfunc_end1030-_ZL37rocblas_syrkx_herkx_restricted_kernelIldLi16ELi32ELi8ELb1ELb0ELc84ELc85EKddEviT_T0_PT8_S1_lS4_S1_lS2_PT9_S1_li
                                        ; -- End function
	.section	.AMDGPU.csdata,"",@progbits
; Kernel info:
; codeLenInByte = 1500
; NumSgprs: 34
; NumVgprs: 38
; ScratchSize: 0
; MemoryBound: 0
; FloatMode: 240
; IeeeMode: 1
; LDSByteSize: 4096 bytes/workgroup (compile time only)
; SGPRBlocks: 4
; VGPRBlocks: 4
; NumSGPRsForWavesPerEU: 34
; NumVGPRsForWavesPerEU: 38
; Occupancy: 16
; WaveLimiterHint : 1
; COMPUTE_PGM_RSRC2:SCRATCH_EN: 0
; COMPUTE_PGM_RSRC2:USER_SGPR: 13
; COMPUTE_PGM_RSRC2:TRAP_HANDLER: 0
; COMPUTE_PGM_RSRC2:TGID_X_EN: 1
; COMPUTE_PGM_RSRC2:TGID_Y_EN: 1
; COMPUTE_PGM_RSRC2:TGID_Z_EN: 1
; COMPUTE_PGM_RSRC2:TIDIG_COMP_CNT: 1
	.section	.text._ZL37rocblas_syrkx_herkx_restricted_kernelIldLi16ELi32ELi8ELb1ELb0ELc67ELc85EKddEviT_T0_PT8_S1_lS4_S1_lS2_PT9_S1_li,"axG",@progbits,_ZL37rocblas_syrkx_herkx_restricted_kernelIldLi16ELi32ELi8ELb1ELb0ELc67ELc85EKddEviT_T0_PT8_S1_lS4_S1_lS2_PT9_S1_li,comdat
	.globl	_ZL37rocblas_syrkx_herkx_restricted_kernelIldLi16ELi32ELi8ELb1ELb0ELc67ELc85EKddEviT_T0_PT8_S1_lS4_S1_lS2_PT9_S1_li ; -- Begin function _ZL37rocblas_syrkx_herkx_restricted_kernelIldLi16ELi32ELi8ELb1ELb0ELc67ELc85EKddEviT_T0_PT8_S1_lS4_S1_lS2_PT9_S1_li
	.p2align	8
	.type	_ZL37rocblas_syrkx_herkx_restricted_kernelIldLi16ELi32ELi8ELb1ELb0ELc67ELc85EKddEviT_T0_PT8_S1_lS4_S1_lS2_PT9_S1_li,@function
_ZL37rocblas_syrkx_herkx_restricted_kernelIldLi16ELi32ELi8ELb1ELb0ELc67ELc85EKddEviT_T0_PT8_S1_lS4_S1_lS2_PT9_S1_li: ; @_ZL37rocblas_syrkx_herkx_restricted_kernelIldLi16ELi32ELi8ELb1ELb0ELc67ELc85EKddEviT_T0_PT8_S1_lS4_S1_lS2_PT9_S1_li
; %bb.0:
	s_load_b512 s[16:31], s[0:1], 0x8
	v_mov_b32_e32 v10, 0
	v_dual_mov_b32 v11, 0 :: v_dual_and_b32 v12, 0x3ff, v0
	v_bfe_u32 v13, v0, 10, 10
	s_delay_alu instid0(VALU_DEP_3) | instskip(NEXT) | instid1(VALU_DEP_3)
	v_mov_b32_e32 v8, v10
	v_dual_mov_b32 v2, v10 :: v_dual_mov_b32 v3, v11
	v_dual_mov_b32 v9, v11 :: v_dual_mov_b32 v0, v10
	v_mov_b32_e32 v1, v11
	s_lshl_b32 s8, s13, 5
	s_lshl_b32 s9, s14, 5
	s_waitcnt lgkmcnt(0)
	v_cmp_lt_i64_e64 s2, s[16:17], 1
	s_delay_alu instid0(VALU_DEP_1)
	s_and_b32 vcc_lo, exec_lo, s2
	s_cbranch_vccnz .LBB1031_3
; %bb.1:
	v_lshl_add_u32 v2, v13, 4, v12
	v_dual_mov_b32 v1, 0 :: v_dual_and_b32 v0, 7, v12
	v_lshlrev_b32_e32 v14, 3, v12
	s_mul_i32 s3, s31, s15
	s_delay_alu instid0(VALU_DEP_3)
	v_lshrrev_b32_e32 v6, 3, v2
	v_and_b32_e32 v8, 31, v2
	v_lshrrev_b32_e32 v2, 5, v2
	v_mov_b32_e32 v3, v1
	v_lshlrev_b32_e32 v9, 3, v0
	v_add_nc_u32_e32 v7, s9, v6
	v_add_nc_u32_e32 v11, s8, v8
	s_mul_hi_u32 s4, s30, s15
	s_mul_i32 s2, s30, s15
	v_lshl_or_b32 v6, v6, 6, v9
	v_ashrrev_i32_e32 v10, 31, v7
	v_mul_lo_u32 v15, v7, s29
	v_mad_u64_u32 v[4:5], null, v7, s28, v[0:1]
	v_mad_u64_u32 v[0:1], null, s22, v11, v[2:3]
	s_delay_alu instid0(VALU_DEP_4)
	v_mul_lo_u32 v7, v10, s28
	v_ashrrev_i32_e32 v10, 31, v11
	v_mul_lo_u32 v9, s23, v11
	v_add_nc_u32_e32 v16, 0x800, v6
	s_add_i32 s3, s4, s3
	v_lshl_add_u32 v17, v13, 6, 0x800
	v_mul_lo_u32 v10, s22, v10
	s_lshl_b64 s[2:3], s[2:3], 3
	v_add3_u32 v5, v7, v5, v15
	s_add_u32 s4, s26, s2
	s_addc_u32 s5, s27, s3
	s_mul_i32 s2, s25, s15
	s_mul_hi_u32 s3, s24, s15
	s_delay_alu instid0(VALU_DEP_2) | instskip(SKIP_2) | instid1(SALU_CYCLE_1)
	v_add3_u32 v1, v9, v1, v10
	s_add_i32 s3, s3, s2
	s_mul_i32 s2, s24, s15
	s_lshl_b64 s[2:3], s[2:3], 3
	s_delay_alu instid0(VALU_DEP_1) | instskip(SKIP_4) | instid1(VALU_DEP_1)
	v_lshlrev_b64 v[6:7], 3, v[0:1]
	v_mov_b32_e32 v0, 0
	v_dual_mov_b32 v1, 0 :: v_dual_lshlrev_b32 v8, 3, v8
	s_add_u32 s2, s20, s2
	s_addc_u32 s3, s21, s3
	v_dual_mov_b32 v11, v1 :: v_dual_mov_b32 v10, v0
	s_delay_alu instid0(VALU_DEP_2) | instskip(SKIP_2) | instid1(VALU_DEP_2)
	v_lshl_or_b32 v15, v2, 8, v8
	v_lshlrev_b64 v[2:3], 3, v[4:5]
	v_dual_mov_b32 v9, v1 :: v_dual_mov_b32 v8, v0
	v_add_co_u32 v4, vcc_lo, s4, v2
	s_delay_alu instid0(VALU_DEP_3)
	v_add_co_ci_u32_e32 v5, vcc_lo, s5, v3, vcc_lo
	v_add_co_u32 v6, vcc_lo, s2, v6
	v_mov_b32_e32 v3, v1
	v_add_co_ci_u32_e32 v7, vcc_lo, s3, v7, vcc_lo
	v_mov_b32_e32 v2, v0
	s_mov_b64 s[2:3], 0
.LBB1031_2:                             ; =>This Inner Loop Header: Depth=1
	global_load_b64 v[18:19], v[6:7], off
	global_load_b64 v[20:21], v[4:5], off
	s_add_u32 s2, s2, 8
	v_add_co_u32 v4, vcc_lo, v4, 64
	s_addc_u32 s3, s3, 0
	v_add_co_ci_u32_e32 v5, vcc_lo, 0, v5, vcc_lo
	v_cmp_ge_u64_e64 s4, s[2:3], s[16:17]
	v_add_co_u32 v6, vcc_lo, v6, 64
	v_add_co_ci_u32_e32 v7, vcc_lo, 0, v7, vcc_lo
	s_waitcnt vmcnt(1)
	ds_store_b64 v15, v[18:19]
	s_waitcnt vmcnt(0)
	ds_store_b64 v16, v[20:21]
	s_waitcnt lgkmcnt(0)
	s_barrier
	buffer_gl0_inv
	ds_load_2addr_b64 v[18:21], v14 offset1:16
	ds_load_b128 v[22:25], v17
	ds_load_b128 v[26:29], v17 offset:1024
	ds_load_b128 v[30:33], v17 offset:16
	;; [unrolled: 1-line block ×3, first 2 shown]
	s_and_b32 vcc_lo, exec_lo, s4
	s_waitcnt lgkmcnt(3)
	v_fma_f64 v[10:11], v[18:19], v[22:23], v[10:11]
	v_fma_f64 v[8:9], v[20:21], v[22:23], v[8:9]
	s_waitcnt lgkmcnt(2)
	v_fma_f64 v[18:19], v[18:19], v[26:27], v[2:3]
	v_fma_f64 v[20:21], v[20:21], v[26:27], v[0:1]
	ds_load_2addr_b64 v[0:3], v14 offset0:32 offset1:48
	s_waitcnt lgkmcnt(0)
	v_fma_f64 v[10:11], v[0:1], v[24:25], v[10:11]
	v_fma_f64 v[8:9], v[2:3], v[24:25], v[8:9]
	v_fma_f64 v[18:19], v[0:1], v[28:29], v[18:19]
	v_fma_f64 v[20:21], v[2:3], v[28:29], v[20:21]
	ds_load_2addr_b64 v[0:3], v14 offset0:64 offset1:80
	s_waitcnt lgkmcnt(0)
	v_fma_f64 v[10:11], v[0:1], v[30:31], v[10:11]
	v_fma_f64 v[8:9], v[2:3], v[30:31], v[8:9]
	;; [unrolled: 6-line block ×3, first 2 shown]
	v_fma_f64 v[34:35], v[0:1], v[36:37], v[18:19]
	v_fma_f64 v[36:37], v[2:3], v[36:37], v[20:21]
	ds_load_2addr_b64 v[0:3], v14 offset0:128 offset1:144
	ds_load_b128 v[8:11], v17 offset:32
	ds_load_b128 v[18:21], v17 offset:1056
	;; [unrolled: 1-line block ×4, first 2 shown]
	s_waitcnt lgkmcnt(3)
	v_fma_f64 v[30:31], v[0:1], v[8:9], v[30:31]
	v_fma_f64 v[8:9], v[2:3], v[8:9], v[32:33]
	s_waitcnt lgkmcnt(2)
	v_fma_f64 v[32:33], v[0:1], v[18:19], v[34:35]
	v_fma_f64 v[18:19], v[2:3], v[18:19], v[36:37]
	ds_load_2addr_b64 v[0:3], v14 offset0:160 offset1:176
	s_waitcnt lgkmcnt(0)
	v_fma_f64 v[30:31], v[0:1], v[10:11], v[30:31]
	v_fma_f64 v[8:9], v[2:3], v[10:11], v[8:9]
	;; [unrolled: 1-line block ×4, first 2 shown]
	ds_load_2addr_b64 v[0:3], v14 offset0:192 offset1:208
	s_waitcnt lgkmcnt(0)
	v_fma_f64 v[30:31], v[0:1], v[22:23], v[30:31]
	v_fma_f64 v[8:9], v[2:3], v[22:23], v[8:9]
	;; [unrolled: 1-line block ×4, first 2 shown]
	ds_load_2addr_b64 v[18:21], v14 offset0:224 offset1:240
	s_waitcnt lgkmcnt(0)
	s_barrier
	buffer_gl0_inv
	v_fma_f64 v[10:11], v[18:19], v[24:25], v[30:31]
	v_fma_f64 v[8:9], v[20:21], v[24:25], v[8:9]
	;; [unrolled: 1-line block ×4, first 2 shown]
	s_cbranch_vccz .LBB1031_2
.LBB1031_3:
	s_clause 0x1
	s_load_b128 s[4:7], s[0:1], 0x50
	s_load_b32 s2, s[0:1], 0x0
	v_add_nc_u32_e32 v13, s9, v13
	s_load_b64 s[10:11], s[0:1], 0x60
	s_delay_alu instid0(VALU_DEP_1) | instskip(SKIP_1) | instid1(VALU_DEP_1)
	v_ashrrev_i32_e32 v4, 31, v13
	s_waitcnt lgkmcnt(0)
	v_mul_lo_u32 v7, v4, s6
	v_mul_lo_u32 v14, v13, s7
	v_mad_u64_u32 v[5:6], null, v13, s6, 0
	s_mul_i32 s1, s15, s11
	s_mul_hi_u32 s3, s15, s10
	v_add_nc_u32_e32 v4, s8, v12
	s_mul_i32 s8, s15, s10
	s_add_i32 s9, s3, s1
	v_cmp_gt_i32_e32 vcc_lo, s2, v13
	s_delay_alu instid0(VALU_DEP_3)
	v_add3_u32 v6, v6, v14, v7
	s_lshl_b64 s[8:9], s[8:9], 3
	v_cmp_le_i32_e64 s0, v4, v13
	s_add_u32 s3, s4, s8
	s_addc_u32 s4, s5, s9
	v_lshlrev_b64 v[5:6], 3, v[5:6]
	s_delay_alu instid0(VALU_DEP_2) | instskip(NEXT) | instid1(VALU_DEP_1)
	s_and_b32 s0, vcc_lo, s0
	v_add_co_u32 v12, s1, s3, v5
	s_delay_alu instid0(VALU_DEP_1)
	v_add_co_ci_u32_e64 v14, s1, s4, v6, s1
	s_and_saveexec_b32 s1, s0
	s_cbranch_execz .LBB1031_5
; %bb.4:
	v_mul_f64 v[6:7], v[10:11], s[18:19]
	v_ashrrev_i32_e32 v5, 31, v4
	s_delay_alu instid0(VALU_DEP_1) | instskip(NEXT) | instid1(VALU_DEP_1)
	v_lshlrev_b64 v[10:11], 3, v[4:5]
	v_add_co_u32 v10, s0, v12, v10
	s_delay_alu instid0(VALU_DEP_1)
	v_add_co_ci_u32_e64 v11, s0, v14, v11, s0
	global_store_b64 v[10:11], v[6:7], off
.LBB1031_5:
	s_or_b32 exec_lo, exec_lo, s1
	v_add_nc_u32_e32 v6, 16, v4
	s_delay_alu instid0(VALU_DEP_1) | instskip(NEXT) | instid1(VALU_DEP_1)
	v_cmp_le_i32_e64 s0, v6, v13
	s_and_b32 s1, vcc_lo, s0
	s_delay_alu instid0(SALU_CYCLE_1)
	s_and_saveexec_b32 s0, s1
	s_cbranch_execz .LBB1031_7
; %bb.6:
	v_mul_f64 v[8:9], v[8:9], s[18:19]
	v_ashrrev_i32_e32 v7, 31, v6
	s_delay_alu instid0(VALU_DEP_1) | instskip(NEXT) | instid1(VALU_DEP_1)
	v_lshlrev_b64 v[10:11], 3, v[6:7]
	v_add_co_u32 v10, vcc_lo, v12, v10
	s_delay_alu instid0(VALU_DEP_2)
	v_add_co_ci_u32_e32 v11, vcc_lo, v14, v11, vcc_lo
	global_store_b64 v[10:11], v[8:9], off
.LBB1031_7:
	s_or_b32 exec_lo, exec_lo, s0
	v_add_nc_u32_e32 v7, 16, v13
	s_delay_alu instid0(VALU_DEP_1) | instskip(SKIP_3) | instid1(VALU_DEP_4)
	v_ashrrev_i32_e32 v5, 31, v7
	v_mul_lo_u32 v10, v7, s7
	v_mad_u64_u32 v[8:9], null, v7, s6, 0
	v_cmp_gt_i32_e32 vcc_lo, s2, v7
	v_mul_lo_u32 v5, v5, s6
	v_cmp_le_i32_e64 s0, v4, v7
	s_delay_alu instid0(VALU_DEP_1) | instskip(NEXT) | instid1(VALU_DEP_2)
	s_and_b32 s0, vcc_lo, s0
	v_add3_u32 v9, v9, v10, v5
	s_delay_alu instid0(VALU_DEP_1) | instskip(NEXT) | instid1(VALU_DEP_1)
	v_lshlrev_b64 v[8:9], 3, v[8:9]
	v_add_co_u32 v8, s1, s3, v8
	s_delay_alu instid0(VALU_DEP_1)
	v_add_co_ci_u32_e64 v9, s1, s4, v9, s1
	s_and_saveexec_b32 s1, s0
	s_cbranch_execz .LBB1031_9
; %bb.8:
	v_mul_f64 v[2:3], v[2:3], s[18:19]
	v_ashrrev_i32_e32 v5, 31, v4
	s_delay_alu instid0(VALU_DEP_1) | instskip(NEXT) | instid1(VALU_DEP_1)
	v_lshlrev_b64 v[4:5], 3, v[4:5]
	v_add_co_u32 v4, s0, v8, v4
	s_delay_alu instid0(VALU_DEP_1)
	v_add_co_ci_u32_e64 v5, s0, v9, v5, s0
	global_store_b64 v[4:5], v[2:3], off
.LBB1031_9:
	s_or_b32 exec_lo, exec_lo, s1
	v_cmp_le_i32_e64 s0, v6, v7
	s_delay_alu instid0(VALU_DEP_1) | instskip(NEXT) | instid1(SALU_CYCLE_1)
	s_and_b32 s0, vcc_lo, s0
	s_and_saveexec_b32 s1, s0
	s_cbranch_execz .LBB1031_11
; %bb.10:
	v_mul_f64 v[0:1], v[0:1], s[18:19]
	v_ashrrev_i32_e32 v7, 31, v6
	s_delay_alu instid0(VALU_DEP_1) | instskip(NEXT) | instid1(VALU_DEP_1)
	v_lshlrev_b64 v[2:3], 3, v[6:7]
	v_add_co_u32 v2, vcc_lo, v8, v2
	s_delay_alu instid0(VALU_DEP_2)
	v_add_co_ci_u32_e32 v3, vcc_lo, v9, v3, vcc_lo
	global_store_b64 v[2:3], v[0:1], off
.LBB1031_11:
	s_nop 0
	s_sendmsg sendmsg(MSG_DEALLOC_VGPRS)
	s_endpgm
	.section	.rodata,"a",@progbits
	.p2align	6, 0x0
	.amdhsa_kernel _ZL37rocblas_syrkx_herkx_restricted_kernelIldLi16ELi32ELi8ELb1ELb0ELc67ELc85EKddEviT_T0_PT8_S1_lS4_S1_lS2_PT9_S1_li
		.amdhsa_group_segment_fixed_size 4096
		.amdhsa_private_segment_fixed_size 0
		.amdhsa_kernarg_size 108
		.amdhsa_user_sgpr_count 13
		.amdhsa_user_sgpr_dispatch_ptr 0
		.amdhsa_user_sgpr_queue_ptr 0
		.amdhsa_user_sgpr_kernarg_segment_ptr 1
		.amdhsa_user_sgpr_dispatch_id 0
		.amdhsa_user_sgpr_private_segment_size 0
		.amdhsa_wavefront_size32 1
		.amdhsa_uses_dynamic_stack 0
		.amdhsa_enable_private_segment 0
		.amdhsa_system_sgpr_workgroup_id_x 1
		.amdhsa_system_sgpr_workgroup_id_y 1
		.amdhsa_system_sgpr_workgroup_id_z 1
		.amdhsa_system_sgpr_workgroup_info 0
		.amdhsa_system_vgpr_workitem_id 1
		.amdhsa_next_free_vgpr 38
		.amdhsa_next_free_sgpr 32
		.amdhsa_reserve_vcc 1
		.amdhsa_float_round_mode_32 0
		.amdhsa_float_round_mode_16_64 0
		.amdhsa_float_denorm_mode_32 3
		.amdhsa_float_denorm_mode_16_64 3
		.amdhsa_dx10_clamp 1
		.amdhsa_ieee_mode 1
		.amdhsa_fp16_overflow 0
		.amdhsa_workgroup_processor_mode 1
		.amdhsa_memory_ordered 1
		.amdhsa_forward_progress 0
		.amdhsa_shared_vgpr_count 0
		.amdhsa_exception_fp_ieee_invalid_op 0
		.amdhsa_exception_fp_denorm_src 0
		.amdhsa_exception_fp_ieee_div_zero 0
		.amdhsa_exception_fp_ieee_overflow 0
		.amdhsa_exception_fp_ieee_underflow 0
		.amdhsa_exception_fp_ieee_inexact 0
		.amdhsa_exception_int_div_zero 0
	.end_amdhsa_kernel
	.section	.text._ZL37rocblas_syrkx_herkx_restricted_kernelIldLi16ELi32ELi8ELb1ELb0ELc67ELc85EKddEviT_T0_PT8_S1_lS4_S1_lS2_PT9_S1_li,"axG",@progbits,_ZL37rocblas_syrkx_herkx_restricted_kernelIldLi16ELi32ELi8ELb1ELb0ELc67ELc85EKddEviT_T0_PT8_S1_lS4_S1_lS2_PT9_S1_li,comdat
.Lfunc_end1031:
	.size	_ZL37rocblas_syrkx_herkx_restricted_kernelIldLi16ELi32ELi8ELb1ELb0ELc67ELc85EKddEviT_T0_PT8_S1_lS4_S1_lS2_PT9_S1_li, .Lfunc_end1031-_ZL37rocblas_syrkx_herkx_restricted_kernelIldLi16ELi32ELi8ELb1ELb0ELc67ELc85EKddEviT_T0_PT8_S1_lS4_S1_lS2_PT9_S1_li
                                        ; -- End function
	.section	.AMDGPU.csdata,"",@progbits
; Kernel info:
; codeLenInByte = 1500
; NumSgprs: 34
; NumVgprs: 38
; ScratchSize: 0
; MemoryBound: 0
; FloatMode: 240
; IeeeMode: 1
; LDSByteSize: 4096 bytes/workgroup (compile time only)
; SGPRBlocks: 4
; VGPRBlocks: 4
; NumSGPRsForWavesPerEU: 34
; NumVGPRsForWavesPerEU: 38
; Occupancy: 16
; WaveLimiterHint : 1
; COMPUTE_PGM_RSRC2:SCRATCH_EN: 0
; COMPUTE_PGM_RSRC2:USER_SGPR: 13
; COMPUTE_PGM_RSRC2:TRAP_HANDLER: 0
; COMPUTE_PGM_RSRC2:TGID_X_EN: 1
; COMPUTE_PGM_RSRC2:TGID_Y_EN: 1
; COMPUTE_PGM_RSRC2:TGID_Z_EN: 1
; COMPUTE_PGM_RSRC2:TIDIG_COMP_CNT: 1
	.section	.text._ZL37rocblas_syrkx_herkx_restricted_kernelIldLi16ELi32ELi8ELb1ELb0ELc78ELc85EKddEviT_T0_PT8_S1_lS4_S1_lS2_PT9_S1_li,"axG",@progbits,_ZL37rocblas_syrkx_herkx_restricted_kernelIldLi16ELi32ELi8ELb1ELb0ELc78ELc85EKddEviT_T0_PT8_S1_lS4_S1_lS2_PT9_S1_li,comdat
	.globl	_ZL37rocblas_syrkx_herkx_restricted_kernelIldLi16ELi32ELi8ELb1ELb0ELc78ELc85EKddEviT_T0_PT8_S1_lS4_S1_lS2_PT9_S1_li ; -- Begin function _ZL37rocblas_syrkx_herkx_restricted_kernelIldLi16ELi32ELi8ELb1ELb0ELc78ELc85EKddEviT_T0_PT8_S1_lS4_S1_lS2_PT9_S1_li
	.p2align	8
	.type	_ZL37rocblas_syrkx_herkx_restricted_kernelIldLi16ELi32ELi8ELb1ELb0ELc78ELc85EKddEviT_T0_PT8_S1_lS4_S1_lS2_PT9_S1_li,@function
_ZL37rocblas_syrkx_herkx_restricted_kernelIldLi16ELi32ELi8ELb1ELb0ELc78ELc85EKddEviT_T0_PT8_S1_lS4_S1_lS2_PT9_S1_li: ; @_ZL37rocblas_syrkx_herkx_restricted_kernelIldLi16ELi32ELi8ELb1ELb0ELc78ELc85EKddEviT_T0_PT8_S1_lS4_S1_lS2_PT9_S1_li
; %bb.0:
	s_load_b512 s[16:31], s[0:1], 0x8
	v_mov_b32_e32 v10, 0
	v_dual_mov_b32 v11, 0 :: v_dual_and_b32 v12, 0x3ff, v0
	v_bfe_u32 v13, v0, 10, 10
	s_delay_alu instid0(VALU_DEP_3) | instskip(NEXT) | instid1(VALU_DEP_3)
	v_mov_b32_e32 v8, v10
	v_dual_mov_b32 v2, v10 :: v_dual_mov_b32 v3, v11
	v_dual_mov_b32 v9, v11 :: v_dual_mov_b32 v0, v10
	v_mov_b32_e32 v1, v11
	s_lshl_b32 s8, s13, 5
	s_lshl_b32 s9, s14, 5
	s_waitcnt lgkmcnt(0)
	v_cmp_lt_i64_e64 s2, s[16:17], 1
	s_delay_alu instid0(VALU_DEP_1)
	s_and_b32 vcc_lo, exec_lo, s2
	s_cbranch_vccnz .LBB1032_3
; %bb.1:
	v_lshl_add_u32 v3, v13, 4, v12
	v_and_b32_e32 v9, 7, v12
	v_lshlrev_b32_e32 v14, 3, v12
	s_mul_i32 s3, s31, s15
	s_mul_hi_u32 s5, s30, s15
	v_lshrrev_b32_e32 v10, 3, v3
	v_lshrrev_b32_e32 v16, 5, v3
	s_mul_i32 s2, s30, s15
	s_add_i32 s3, s5, s3
	s_mul_i32 s6, s25, s15
	v_add_nc_u32_e32 v0, s9, v10
	s_lshl_b64 s[2:3], s[2:3], 3
	s_mul_hi_u32 s7, s24, s15
	s_add_u32 s10, s26, s2
	s_addc_u32 s11, s27, s3
	v_ashrrev_i32_e32 v1, 31, v0
	s_mul_i32 s4, s24, s15
	s_add_i32 s5, s7, s6
	s_lshl_b64 s[2:3], s[28:29], 6
	s_lshl_b64 s[4:5], s[4:5], 3
	v_mad_u64_u32 v[4:5], null, v9, s28, v[0:1]
	v_dual_mov_b32 v0, 0 :: v_dual_and_b32 v11, 31, v3
	v_mov_b32_e32 v1, 0
	v_lshlrev_b32_e32 v17, 3, v9
	s_add_u32 s4, s20, s4
	s_delay_alu instid0(VALU_DEP_3) | instskip(SKIP_3) | instid1(VALU_DEP_2)
	v_add_nc_u32_e32 v2, s8, v11
	s_addc_u32 s5, s21, s5
	v_lshl_add_u32 v15, v13, 6, 0x800
	s_mov_b64 s[6:7], 0
	v_ashrrev_i32_e32 v3, 31, v2
	s_delay_alu instid0(VALU_DEP_1) | instskip(NEXT) | instid1(VALU_DEP_1)
	v_mad_u64_u32 v[6:7], null, v16, s22, v[2:3]
	v_dual_mov_b32 v2, v5 :: v_dual_mov_b32 v3, v7
	s_delay_alu instid0(VALU_DEP_1) | instskip(SKIP_2) | instid1(VALU_DEP_3)
	v_mad_u64_u32 v[7:8], null, v9, s29, v[2:3]
	v_mad_u64_u32 v[8:9], null, v16, s23, v[3:4]
	v_lshlrev_b32_e32 v9, 3, v11
	v_mov_b32_e32 v5, v7
	s_delay_alu instid0(VALU_DEP_2) | instskip(NEXT) | instid1(VALU_DEP_4)
	v_lshl_or_b32 v16, v16, 8, v9
	v_mov_b32_e32 v7, v8
	v_dual_mov_b32 v9, v1 :: v_dual_mov_b32 v8, v0
	s_delay_alu instid0(VALU_DEP_4) | instskip(NEXT) | instid1(VALU_DEP_3)
	v_lshlrev_b64 v[2:3], 3, v[4:5]
	v_lshlrev_b64 v[6:7], 3, v[6:7]
	s_delay_alu instid0(VALU_DEP_2) | instskip(NEXT) | instid1(VALU_DEP_3)
	v_add_co_u32 v4, vcc_lo, s10, v2
	v_add_co_ci_u32_e32 v5, vcc_lo, s11, v3, vcc_lo
	v_dual_mov_b32 v3, v1 :: v_dual_mov_b32 v2, v0
	v_lshl_or_b32 v10, v10, 6, v17
	v_add_co_u32 v6, vcc_lo, s4, v6
	v_add_co_ci_u32_e32 v7, vcc_lo, s5, v7, vcc_lo
	s_delay_alu instid0(VALU_DEP_3)
	v_add_nc_u32_e32 v17, 0x800, v10
	v_dual_mov_b32 v11, v1 :: v_dual_mov_b32 v10, v0
	s_lshl_b64 s[4:5], s[22:23], 6
.LBB1032_2:                             ; =>This Inner Loop Header: Depth=1
	global_load_b64 v[18:19], v[6:7], off
	global_load_b64 v[20:21], v[4:5], off
	s_add_u32 s6, s6, 8
	v_add_co_u32 v4, vcc_lo, v4, s2
	s_addc_u32 s7, s7, 0
	v_add_co_ci_u32_e32 v5, vcc_lo, s3, v5, vcc_lo
	v_cmp_ge_u64_e64 s10, s[6:7], s[16:17]
	v_add_co_u32 v6, vcc_lo, v6, s4
	v_add_co_ci_u32_e32 v7, vcc_lo, s5, v7, vcc_lo
	s_waitcnt vmcnt(1)
	ds_store_b64 v16, v[18:19]
	s_waitcnt vmcnt(0)
	ds_store_b64 v17, v[20:21]
	s_waitcnt lgkmcnt(0)
	s_barrier
	buffer_gl0_inv
	ds_load_2addr_b64 v[18:21], v14 offset1:16
	ds_load_b128 v[22:25], v15
	ds_load_b128 v[26:29], v15 offset:1024
	ds_load_b128 v[30:33], v15 offset:16
	;; [unrolled: 1-line block ×3, first 2 shown]
	s_and_b32 vcc_lo, exec_lo, s10
	s_waitcnt lgkmcnt(3)
	v_fma_f64 v[10:11], v[18:19], v[22:23], v[10:11]
	v_fma_f64 v[8:9], v[20:21], v[22:23], v[8:9]
	s_waitcnt lgkmcnt(2)
	v_fma_f64 v[18:19], v[18:19], v[26:27], v[2:3]
	v_fma_f64 v[20:21], v[20:21], v[26:27], v[0:1]
	ds_load_2addr_b64 v[0:3], v14 offset0:32 offset1:48
	s_waitcnt lgkmcnt(0)
	v_fma_f64 v[10:11], v[0:1], v[24:25], v[10:11]
	v_fma_f64 v[8:9], v[2:3], v[24:25], v[8:9]
	v_fma_f64 v[18:19], v[0:1], v[28:29], v[18:19]
	v_fma_f64 v[20:21], v[2:3], v[28:29], v[20:21]
	ds_load_2addr_b64 v[0:3], v14 offset0:64 offset1:80
	s_waitcnt lgkmcnt(0)
	v_fma_f64 v[10:11], v[0:1], v[30:31], v[10:11]
	v_fma_f64 v[8:9], v[2:3], v[30:31], v[8:9]
	v_fma_f64 v[18:19], v[0:1], v[34:35], v[18:19]
	v_fma_f64 v[20:21], v[2:3], v[34:35], v[20:21]
	ds_load_2addr_b64 v[0:3], v14 offset0:96 offset1:112
	s_waitcnt lgkmcnt(0)
	v_fma_f64 v[30:31], v[0:1], v[32:33], v[10:11]
	v_fma_f64 v[32:33], v[2:3], v[32:33], v[8:9]
	v_fma_f64 v[34:35], v[0:1], v[36:37], v[18:19]
	v_fma_f64 v[36:37], v[2:3], v[36:37], v[20:21]
	ds_load_2addr_b64 v[0:3], v14 offset0:128 offset1:144
	ds_load_b128 v[8:11], v15 offset:32
	ds_load_b128 v[18:21], v15 offset:1056
	;; [unrolled: 1-line block ×4, first 2 shown]
	s_waitcnt lgkmcnt(3)
	v_fma_f64 v[30:31], v[0:1], v[8:9], v[30:31]
	v_fma_f64 v[8:9], v[2:3], v[8:9], v[32:33]
	s_waitcnt lgkmcnt(2)
	v_fma_f64 v[32:33], v[0:1], v[18:19], v[34:35]
	v_fma_f64 v[18:19], v[2:3], v[18:19], v[36:37]
	ds_load_2addr_b64 v[0:3], v14 offset0:160 offset1:176
	s_waitcnt lgkmcnt(0)
	v_fma_f64 v[30:31], v[0:1], v[10:11], v[30:31]
	v_fma_f64 v[8:9], v[2:3], v[10:11], v[8:9]
	;; [unrolled: 1-line block ×4, first 2 shown]
	ds_load_2addr_b64 v[0:3], v14 offset0:192 offset1:208
	s_waitcnt lgkmcnt(0)
	v_fma_f64 v[30:31], v[0:1], v[22:23], v[30:31]
	v_fma_f64 v[8:9], v[2:3], v[22:23], v[8:9]
	;; [unrolled: 1-line block ×4, first 2 shown]
	ds_load_2addr_b64 v[18:21], v14 offset0:224 offset1:240
	s_waitcnt lgkmcnt(0)
	s_barrier
	buffer_gl0_inv
	v_fma_f64 v[10:11], v[18:19], v[24:25], v[30:31]
	v_fma_f64 v[8:9], v[20:21], v[24:25], v[8:9]
	;; [unrolled: 1-line block ×4, first 2 shown]
	s_cbranch_vccz .LBB1032_2
.LBB1032_3:
	s_clause 0x1
	s_load_b128 s[4:7], s[0:1], 0x50
	s_load_b32 s2, s[0:1], 0x0
	v_add_nc_u32_e32 v13, s9, v13
	s_load_b64 s[10:11], s[0:1], 0x60
	s_delay_alu instid0(VALU_DEP_1) | instskip(SKIP_1) | instid1(VALU_DEP_1)
	v_ashrrev_i32_e32 v4, 31, v13
	s_waitcnt lgkmcnt(0)
	v_mul_lo_u32 v7, v4, s6
	v_mul_lo_u32 v14, v13, s7
	v_mad_u64_u32 v[5:6], null, v13, s6, 0
	s_mul_i32 s1, s15, s11
	s_mul_hi_u32 s3, s15, s10
	v_add_nc_u32_e32 v4, s8, v12
	s_mul_i32 s8, s15, s10
	s_add_i32 s9, s3, s1
	v_cmp_gt_i32_e32 vcc_lo, s2, v13
	s_delay_alu instid0(VALU_DEP_3)
	v_add3_u32 v6, v6, v14, v7
	s_lshl_b64 s[8:9], s[8:9], 3
	v_cmp_le_i32_e64 s0, v4, v13
	s_add_u32 s3, s4, s8
	s_addc_u32 s4, s5, s9
	v_lshlrev_b64 v[5:6], 3, v[5:6]
	s_delay_alu instid0(VALU_DEP_2) | instskip(NEXT) | instid1(VALU_DEP_1)
	s_and_b32 s0, vcc_lo, s0
	v_add_co_u32 v12, s1, s3, v5
	s_delay_alu instid0(VALU_DEP_1)
	v_add_co_ci_u32_e64 v14, s1, s4, v6, s1
	s_and_saveexec_b32 s1, s0
	s_cbranch_execz .LBB1032_5
; %bb.4:
	v_mul_f64 v[6:7], v[10:11], s[18:19]
	v_ashrrev_i32_e32 v5, 31, v4
	s_delay_alu instid0(VALU_DEP_1) | instskip(NEXT) | instid1(VALU_DEP_1)
	v_lshlrev_b64 v[10:11], 3, v[4:5]
	v_add_co_u32 v10, s0, v12, v10
	s_delay_alu instid0(VALU_DEP_1)
	v_add_co_ci_u32_e64 v11, s0, v14, v11, s0
	global_store_b64 v[10:11], v[6:7], off
.LBB1032_5:
	s_or_b32 exec_lo, exec_lo, s1
	v_add_nc_u32_e32 v6, 16, v4
	s_delay_alu instid0(VALU_DEP_1) | instskip(NEXT) | instid1(VALU_DEP_1)
	v_cmp_le_i32_e64 s0, v6, v13
	s_and_b32 s1, vcc_lo, s0
	s_delay_alu instid0(SALU_CYCLE_1)
	s_and_saveexec_b32 s0, s1
	s_cbranch_execz .LBB1032_7
; %bb.6:
	v_mul_f64 v[8:9], v[8:9], s[18:19]
	v_ashrrev_i32_e32 v7, 31, v6
	s_delay_alu instid0(VALU_DEP_1) | instskip(NEXT) | instid1(VALU_DEP_1)
	v_lshlrev_b64 v[10:11], 3, v[6:7]
	v_add_co_u32 v10, vcc_lo, v12, v10
	s_delay_alu instid0(VALU_DEP_2)
	v_add_co_ci_u32_e32 v11, vcc_lo, v14, v11, vcc_lo
	global_store_b64 v[10:11], v[8:9], off
.LBB1032_7:
	s_or_b32 exec_lo, exec_lo, s0
	v_add_nc_u32_e32 v7, 16, v13
	s_delay_alu instid0(VALU_DEP_1) | instskip(SKIP_3) | instid1(VALU_DEP_4)
	v_ashrrev_i32_e32 v5, 31, v7
	v_mul_lo_u32 v10, v7, s7
	v_mad_u64_u32 v[8:9], null, v7, s6, 0
	v_cmp_gt_i32_e32 vcc_lo, s2, v7
	v_mul_lo_u32 v5, v5, s6
	v_cmp_le_i32_e64 s0, v4, v7
	s_delay_alu instid0(VALU_DEP_1) | instskip(NEXT) | instid1(VALU_DEP_2)
	s_and_b32 s0, vcc_lo, s0
	v_add3_u32 v9, v9, v10, v5
	s_delay_alu instid0(VALU_DEP_1) | instskip(NEXT) | instid1(VALU_DEP_1)
	v_lshlrev_b64 v[8:9], 3, v[8:9]
	v_add_co_u32 v8, s1, s3, v8
	s_delay_alu instid0(VALU_DEP_1)
	v_add_co_ci_u32_e64 v9, s1, s4, v9, s1
	s_and_saveexec_b32 s1, s0
	s_cbranch_execz .LBB1032_9
; %bb.8:
	v_mul_f64 v[2:3], v[2:3], s[18:19]
	v_ashrrev_i32_e32 v5, 31, v4
	s_delay_alu instid0(VALU_DEP_1) | instskip(NEXT) | instid1(VALU_DEP_1)
	v_lshlrev_b64 v[4:5], 3, v[4:5]
	v_add_co_u32 v4, s0, v8, v4
	s_delay_alu instid0(VALU_DEP_1)
	v_add_co_ci_u32_e64 v5, s0, v9, v5, s0
	global_store_b64 v[4:5], v[2:3], off
.LBB1032_9:
	s_or_b32 exec_lo, exec_lo, s1
	v_cmp_le_i32_e64 s0, v6, v7
	s_delay_alu instid0(VALU_DEP_1) | instskip(NEXT) | instid1(SALU_CYCLE_1)
	s_and_b32 s0, vcc_lo, s0
	s_and_saveexec_b32 s1, s0
	s_cbranch_execz .LBB1032_11
; %bb.10:
	v_mul_f64 v[0:1], v[0:1], s[18:19]
	v_ashrrev_i32_e32 v7, 31, v6
	s_delay_alu instid0(VALU_DEP_1) | instskip(NEXT) | instid1(VALU_DEP_1)
	v_lshlrev_b64 v[2:3], 3, v[6:7]
	v_add_co_u32 v2, vcc_lo, v8, v2
	s_delay_alu instid0(VALU_DEP_2)
	v_add_co_ci_u32_e32 v3, vcc_lo, v9, v3, vcc_lo
	global_store_b64 v[2:3], v[0:1], off
.LBB1032_11:
	s_nop 0
	s_sendmsg sendmsg(MSG_DEALLOC_VGPRS)
	s_endpgm
	.section	.rodata,"a",@progbits
	.p2align	6, 0x0
	.amdhsa_kernel _ZL37rocblas_syrkx_herkx_restricted_kernelIldLi16ELi32ELi8ELb1ELb0ELc78ELc85EKddEviT_T0_PT8_S1_lS4_S1_lS2_PT9_S1_li
		.amdhsa_group_segment_fixed_size 4096
		.amdhsa_private_segment_fixed_size 0
		.amdhsa_kernarg_size 108
		.amdhsa_user_sgpr_count 13
		.amdhsa_user_sgpr_dispatch_ptr 0
		.amdhsa_user_sgpr_queue_ptr 0
		.amdhsa_user_sgpr_kernarg_segment_ptr 1
		.amdhsa_user_sgpr_dispatch_id 0
		.amdhsa_user_sgpr_private_segment_size 0
		.amdhsa_wavefront_size32 1
		.amdhsa_uses_dynamic_stack 0
		.amdhsa_enable_private_segment 0
		.amdhsa_system_sgpr_workgroup_id_x 1
		.amdhsa_system_sgpr_workgroup_id_y 1
		.amdhsa_system_sgpr_workgroup_id_z 1
		.amdhsa_system_sgpr_workgroup_info 0
		.amdhsa_system_vgpr_workitem_id 1
		.amdhsa_next_free_vgpr 38
		.amdhsa_next_free_sgpr 32
		.amdhsa_reserve_vcc 1
		.amdhsa_float_round_mode_32 0
		.amdhsa_float_round_mode_16_64 0
		.amdhsa_float_denorm_mode_32 3
		.amdhsa_float_denorm_mode_16_64 3
		.amdhsa_dx10_clamp 1
		.amdhsa_ieee_mode 1
		.amdhsa_fp16_overflow 0
		.amdhsa_workgroup_processor_mode 1
		.amdhsa_memory_ordered 1
		.amdhsa_forward_progress 0
		.amdhsa_shared_vgpr_count 0
		.amdhsa_exception_fp_ieee_invalid_op 0
		.amdhsa_exception_fp_denorm_src 0
		.amdhsa_exception_fp_ieee_div_zero 0
		.amdhsa_exception_fp_ieee_overflow 0
		.amdhsa_exception_fp_ieee_underflow 0
		.amdhsa_exception_fp_ieee_inexact 0
		.amdhsa_exception_int_div_zero 0
	.end_amdhsa_kernel
	.section	.text._ZL37rocblas_syrkx_herkx_restricted_kernelIldLi16ELi32ELi8ELb1ELb0ELc78ELc85EKddEviT_T0_PT8_S1_lS4_S1_lS2_PT9_S1_li,"axG",@progbits,_ZL37rocblas_syrkx_herkx_restricted_kernelIldLi16ELi32ELi8ELb1ELb0ELc78ELc85EKddEviT_T0_PT8_S1_lS4_S1_lS2_PT9_S1_li,comdat
.Lfunc_end1032:
	.size	_ZL37rocblas_syrkx_herkx_restricted_kernelIldLi16ELi32ELi8ELb1ELb0ELc78ELc85EKddEviT_T0_PT8_S1_lS4_S1_lS2_PT9_S1_li, .Lfunc_end1032-_ZL37rocblas_syrkx_herkx_restricted_kernelIldLi16ELi32ELi8ELb1ELb0ELc78ELc85EKddEviT_T0_PT8_S1_lS4_S1_lS2_PT9_S1_li
                                        ; -- End function
	.section	.AMDGPU.csdata,"",@progbits
; Kernel info:
; codeLenInByte = 1488
; NumSgprs: 34
; NumVgprs: 38
; ScratchSize: 0
; MemoryBound: 0
; FloatMode: 240
; IeeeMode: 1
; LDSByteSize: 4096 bytes/workgroup (compile time only)
; SGPRBlocks: 4
; VGPRBlocks: 4
; NumSGPRsForWavesPerEU: 34
; NumVGPRsForWavesPerEU: 38
; Occupancy: 16
; WaveLimiterHint : 1
; COMPUTE_PGM_RSRC2:SCRATCH_EN: 0
; COMPUTE_PGM_RSRC2:USER_SGPR: 13
; COMPUTE_PGM_RSRC2:TRAP_HANDLER: 0
; COMPUTE_PGM_RSRC2:TGID_X_EN: 1
; COMPUTE_PGM_RSRC2:TGID_Y_EN: 1
; COMPUTE_PGM_RSRC2:TGID_Z_EN: 1
; COMPUTE_PGM_RSRC2:TIDIG_COMP_CNT: 1
	.section	.text._ZL37rocblas_syrkx_herkx_restricted_kernelIldLi16ELi32ELi8ELb0ELb0ELc84ELc76EKddEviT_T0_PT8_S1_lS4_S1_lS2_PT9_S1_li,"axG",@progbits,_ZL37rocblas_syrkx_herkx_restricted_kernelIldLi16ELi32ELi8ELb0ELb0ELc84ELc76EKddEviT_T0_PT8_S1_lS4_S1_lS2_PT9_S1_li,comdat
	.globl	_ZL37rocblas_syrkx_herkx_restricted_kernelIldLi16ELi32ELi8ELb0ELb0ELc84ELc76EKddEviT_T0_PT8_S1_lS4_S1_lS2_PT9_S1_li ; -- Begin function _ZL37rocblas_syrkx_herkx_restricted_kernelIldLi16ELi32ELi8ELb0ELb0ELc84ELc76EKddEviT_T0_PT8_S1_lS4_S1_lS2_PT9_S1_li
	.p2align	8
	.type	_ZL37rocblas_syrkx_herkx_restricted_kernelIldLi16ELi32ELi8ELb0ELb0ELc84ELc76EKddEviT_T0_PT8_S1_lS4_S1_lS2_PT9_S1_li,@function
_ZL37rocblas_syrkx_herkx_restricted_kernelIldLi16ELi32ELi8ELb0ELb0ELc84ELc76EKddEviT_T0_PT8_S1_lS4_S1_lS2_PT9_S1_li: ; @_ZL37rocblas_syrkx_herkx_restricted_kernelIldLi16ELi32ELi8ELb0ELb0ELc84ELc76EKddEviT_T0_PT8_S1_lS4_S1_lS2_PT9_S1_li
; %bb.0:
	s_load_b512 s[16:31], s[0:1], 0x8
	v_mov_b32_e32 v10, 0
	v_dual_mov_b32 v11, 0 :: v_dual_and_b32 v12, 0x3ff, v0
	v_bfe_u32 v13, v0, 10, 10
	s_delay_alu instid0(VALU_DEP_3) | instskip(NEXT) | instid1(VALU_DEP_3)
	v_mov_b32_e32 v6, v10
	v_dual_mov_b32 v2, v10 :: v_dual_mov_b32 v3, v11
	v_dual_mov_b32 v7, v11 :: v_dual_mov_b32 v0, v10
	v_mov_b32_e32 v1, v11
	s_lshl_b32 s12, s13, 5
	s_lshl_b32 s13, s14, 5
	s_waitcnt lgkmcnt(0)
	v_cmp_lt_i64_e64 s2, s[16:17], 1
	s_delay_alu instid0(VALU_DEP_1)
	s_and_b32 vcc_lo, exec_lo, s2
	s_cbranch_vccnz .LBB1033_3
; %bb.1:
	v_lshl_add_u32 v2, v13, 4, v12
	v_dual_mov_b32 v1, 0 :: v_dual_and_b32 v0, 7, v12
	v_lshlrev_b32_e32 v14, 3, v12
	s_mul_i32 s3, s31, s15
	s_delay_alu instid0(VALU_DEP_3)
	v_lshrrev_b32_e32 v6, 3, v2
	v_and_b32_e32 v8, 31, v2
	v_lshrrev_b32_e32 v2, 5, v2
	v_mov_b32_e32 v3, v1
	v_lshlrev_b32_e32 v9, 3, v0
	v_add_nc_u32_e32 v7, s13, v6
	v_add_nc_u32_e32 v11, s12, v8
	s_mul_hi_u32 s4, s30, s15
	s_mul_i32 s2, s30, s15
	v_lshl_or_b32 v6, v6, 6, v9
	v_ashrrev_i32_e32 v10, 31, v7
	v_mul_lo_u32 v15, v7, s29
	v_mad_u64_u32 v[4:5], null, v7, s28, v[0:1]
	v_mad_u64_u32 v[0:1], null, s22, v11, v[2:3]
	s_delay_alu instid0(VALU_DEP_4)
	v_mul_lo_u32 v7, v10, s28
	v_ashrrev_i32_e32 v10, 31, v11
	v_mul_lo_u32 v9, s23, v11
	v_add_nc_u32_e32 v16, 0x800, v6
	s_add_i32 s3, s4, s3
	v_lshl_add_u32 v17, v13, 6, 0x800
	v_mul_lo_u32 v10, s22, v10
	s_lshl_b64 s[2:3], s[2:3], 3
	v_add3_u32 v5, v7, v5, v15
	s_add_u32 s4, s26, s2
	s_addc_u32 s5, s27, s3
	s_mul_i32 s2, s25, s15
	s_mul_hi_u32 s3, s24, s15
	s_delay_alu instid0(VALU_DEP_2) | instskip(SKIP_2) | instid1(SALU_CYCLE_1)
	v_add3_u32 v1, v9, v1, v10
	s_add_i32 s3, s3, s2
	s_mul_i32 s2, s24, s15
	s_lshl_b64 s[2:3], s[2:3], 3
	s_delay_alu instid0(VALU_DEP_1) | instskip(SKIP_4) | instid1(VALU_DEP_1)
	v_lshlrev_b64 v[6:7], 3, v[0:1]
	v_mov_b32_e32 v0, 0
	v_dual_mov_b32 v1, 0 :: v_dual_lshlrev_b32 v8, 3, v8
	s_add_u32 s2, s20, s2
	s_addc_u32 s3, s21, s3
	v_dual_mov_b32 v11, v1 :: v_dual_mov_b32 v10, v0
	s_delay_alu instid0(VALU_DEP_2) | instskip(SKIP_1) | instid1(VALU_DEP_1)
	v_lshl_or_b32 v15, v2, 8, v8
	v_lshlrev_b64 v[2:3], 3, v[4:5]
	v_add_co_u32 v4, vcc_lo, s4, v2
	s_delay_alu instid0(VALU_DEP_2)
	v_add_co_ci_u32_e32 v5, vcc_lo, s5, v3, vcc_lo
	v_add_co_u32 v8, vcc_lo, s2, v6
	v_add_co_ci_u32_e32 v9, vcc_lo, s3, v7, vcc_lo
	v_mov_b32_e32 v3, v1
	v_dual_mov_b32 v7, v1 :: v_dual_mov_b32 v2, v0
	v_mov_b32_e32 v6, v0
	s_mov_b64 s[2:3], 0
.LBB1033_2:                             ; =>This Inner Loop Header: Depth=1
	global_load_b64 v[18:19], v[8:9], off
	global_load_b64 v[20:21], v[4:5], off
	s_add_u32 s2, s2, 8
	v_add_co_u32 v4, vcc_lo, v4, 64
	s_addc_u32 s3, s3, 0
	v_add_co_ci_u32_e32 v5, vcc_lo, 0, v5, vcc_lo
	v_cmp_ge_u64_e64 s4, s[2:3], s[16:17]
	v_add_co_u32 v8, vcc_lo, v8, 64
	v_add_co_ci_u32_e32 v9, vcc_lo, 0, v9, vcc_lo
	s_waitcnt vmcnt(1)
	ds_store_b64 v15, v[18:19]
	s_waitcnt vmcnt(0)
	ds_store_b64 v16, v[20:21]
	s_waitcnt lgkmcnt(0)
	s_barrier
	buffer_gl0_inv
	ds_load_2addr_b64 v[18:21], v14 offset1:16
	ds_load_b128 v[22:25], v17
	ds_load_b128 v[26:29], v17 offset:1024
	ds_load_b128 v[30:33], v17 offset:16
	ds_load_b128 v[34:37], v17 offset:1040
	s_and_b32 vcc_lo, exec_lo, s4
	s_waitcnt lgkmcnt(3)
	v_fma_f64 v[10:11], v[18:19], v[22:23], v[10:11]
	v_fma_f64 v[6:7], v[20:21], v[22:23], v[6:7]
	s_waitcnt lgkmcnt(2)
	v_fma_f64 v[18:19], v[18:19], v[26:27], v[2:3]
	v_fma_f64 v[20:21], v[20:21], v[26:27], v[0:1]
	ds_load_2addr_b64 v[0:3], v14 offset0:32 offset1:48
	s_waitcnt lgkmcnt(0)
	v_fma_f64 v[10:11], v[0:1], v[24:25], v[10:11]
	v_fma_f64 v[6:7], v[2:3], v[24:25], v[6:7]
	v_fma_f64 v[18:19], v[0:1], v[28:29], v[18:19]
	v_fma_f64 v[20:21], v[2:3], v[28:29], v[20:21]
	ds_load_2addr_b64 v[0:3], v14 offset0:64 offset1:80
	s_waitcnt lgkmcnt(0)
	v_fma_f64 v[10:11], v[0:1], v[30:31], v[10:11]
	v_fma_f64 v[6:7], v[2:3], v[30:31], v[6:7]
	;; [unrolled: 6-line block ×3, first 2 shown]
	v_fma_f64 v[34:35], v[0:1], v[36:37], v[18:19]
	v_fma_f64 v[36:37], v[2:3], v[36:37], v[20:21]
	ds_load_2addr_b64 v[0:3], v14 offset0:128 offset1:144
	ds_load_b128 v[18:21], v17 offset:32
	ds_load_b128 v[22:25], v17 offset:1056
	;; [unrolled: 1-line block ×4, first 2 shown]
	s_waitcnt lgkmcnt(3)
	v_fma_f64 v[10:11], v[0:1], v[18:19], v[10:11]
	v_fma_f64 v[6:7], v[2:3], v[18:19], v[6:7]
	s_waitcnt lgkmcnt(2)
	v_fma_f64 v[18:19], v[0:1], v[22:23], v[34:35]
	v_fma_f64 v[22:23], v[2:3], v[22:23], v[36:37]
	ds_load_2addr_b64 v[0:3], v14 offset0:160 offset1:176
	s_waitcnt lgkmcnt(0)
	v_fma_f64 v[10:11], v[0:1], v[20:21], v[10:11]
	v_fma_f64 v[6:7], v[2:3], v[20:21], v[6:7]
	;; [unrolled: 1-line block ×4, first 2 shown]
	ds_load_2addr_b64 v[0:3], v14 offset0:192 offset1:208
	s_waitcnt lgkmcnt(0)
	v_fma_f64 v[10:11], v[0:1], v[26:27], v[10:11]
	v_fma_f64 v[6:7], v[2:3], v[26:27], v[6:7]
	v_fma_f64 v[0:1], v[0:1], v[30:31], v[18:19]
	v_fma_f64 v[22:23], v[2:3], v[30:31], v[20:21]
	ds_load_2addr_b64 v[18:21], v14 offset0:224 offset1:240
	s_waitcnt lgkmcnt(0)
	s_barrier
	buffer_gl0_inv
	v_fma_f64 v[10:11], v[18:19], v[28:29], v[10:11]
	v_fma_f64 v[6:7], v[20:21], v[28:29], v[6:7]
	;; [unrolled: 1-line block ×4, first 2 shown]
	s_cbranch_vccz .LBB1033_2
.LBB1033_3:
	s_load_b256 s[4:11], s[0:1], 0x48
	v_add_nc_u32_e32 v13, s13, v13
	s_load_b32 s13, s[0:1], 0x0
	s_delay_alu instid0(VALU_DEP_1) | instskip(SKIP_1) | instid1(VALU_DEP_1)
	v_ashrrev_i32_e32 v4, 31, v13
	s_waitcnt lgkmcnt(0)
	v_mul_lo_u32 v5, v4, s8
	v_mul_lo_u32 v14, v13, s9
	v_mad_u64_u32 v[8:9], null, v13, s8, 0
	s_mul_i32 s1, s15, s11
	s_mul_hi_u32 s3, s15, s10
	s_mul_i32 s2, s15, s10
	s_add_i32 s3, s3, s1
	v_add_nc_u32_e32 v4, s12, v12
	s_lshl_b64 s[2:3], s[2:3], 3
	s_delay_alu instid0(VALU_DEP_2)
	v_add3_u32 v9, v9, v14, v5
	s_add_u32 s2, s6, s2
	s_addc_u32 s3, s7, s3
	v_cmp_le_i32_e64 s0, v13, v4
	v_cmp_gt_i32_e32 vcc_lo, s13, v4
	v_lshlrev_b64 v[8:9], 3, v[8:9]
	s_delay_alu instid0(VALU_DEP_3) | instskip(NEXT) | instid1(VALU_DEP_1)
	s_and_b32 s0, s0, vcc_lo
	v_add_co_u32 v12, s1, s2, v8
	s_delay_alu instid0(VALU_DEP_1)
	v_add_co_ci_u32_e64 v14, s1, s3, v9, s1
	s_and_saveexec_b32 s1, s0
	s_cbranch_execz .LBB1033_5
; %bb.4:
	v_ashrrev_i32_e32 v5, 31, v4
	s_delay_alu instid0(VALU_DEP_1) | instskip(NEXT) | instid1(VALU_DEP_1)
	v_lshlrev_b64 v[8:9], 3, v[4:5]
	v_add_co_u32 v8, s0, v12, v8
	s_delay_alu instid0(VALU_DEP_1) | instskip(SKIP_3) | instid1(VALU_DEP_1)
	v_add_co_ci_u32_e64 v9, s0, v14, v9, s0
	global_load_b64 v[15:16], v[8:9], off
	s_waitcnt vmcnt(0)
	v_mul_f64 v[15:16], v[15:16], s[4:5]
	v_fma_f64 v[10:11], v[10:11], s[18:19], v[15:16]
	global_store_b64 v[8:9], v[10:11], off
.LBB1033_5:
	s_or_b32 exec_lo, exec_lo, s1
	v_add_nc_u32_e32 v8, 16, v4
	s_delay_alu instid0(VALU_DEP_1) | instskip(SKIP_1) | instid1(VALU_DEP_1)
	v_cmp_le_i32_e64 s1, v13, v8
	v_cmp_gt_i32_e64 s0, s13, v8
	s_and_b32 s1, s1, s0
	s_delay_alu instid0(SALU_CYCLE_1)
	s_and_saveexec_b32 s6, s1
	s_cbranch_execz .LBB1033_7
; %bb.6:
	v_ashrrev_i32_e32 v9, 31, v8
	s_delay_alu instid0(VALU_DEP_1) | instskip(NEXT) | instid1(VALU_DEP_1)
	v_lshlrev_b64 v[9:10], 3, v[8:9]
	v_add_co_u32 v9, s1, v12, v9
	s_delay_alu instid0(VALU_DEP_1) | instskip(SKIP_3) | instid1(VALU_DEP_1)
	v_add_co_ci_u32_e64 v10, s1, v14, v10, s1
	global_load_b64 v[11:12], v[9:10], off
	s_waitcnt vmcnt(0)
	v_mul_f64 v[11:12], v[11:12], s[4:5]
	v_fma_f64 v[5:6], v[6:7], s[18:19], v[11:12]
	global_store_b64 v[9:10], v[5:6], off
.LBB1033_7:
	s_or_b32 exec_lo, exec_lo, s6
	v_add_nc_u32_e32 v6, 16, v13
	s_delay_alu instid0(VALU_DEP_1) | instskip(SKIP_3) | instid1(VALU_DEP_4)
	v_ashrrev_i32_e32 v5, 31, v6
	v_mul_lo_u32 v7, v6, s9
	v_mad_u64_u32 v[9:10], null, v6, s8, 0
	v_cmp_le_i32_e64 s1, v6, v4
	v_mul_lo_u32 v5, v5, s8
	s_delay_alu instid0(VALU_DEP_1) | instskip(NEXT) | instid1(VALU_DEP_1)
	v_add3_u32 v10, v10, v7, v5
	v_lshlrev_b64 v[9:10], 3, v[9:10]
	s_delay_alu instid0(VALU_DEP_1) | instskip(NEXT) | instid1(VALU_DEP_1)
	v_add_co_u32 v7, s2, s2, v9
	v_add_co_ci_u32_e64 v10, s2, s3, v10, s2
	s_and_b32 s2, s1, vcc_lo
	s_delay_alu instid0(SALU_CYCLE_1)
	s_and_saveexec_b32 s1, s2
	s_cbranch_execz .LBB1033_9
; %bb.8:
	v_ashrrev_i32_e32 v5, 31, v4
	s_delay_alu instid0(VALU_DEP_1) | instskip(NEXT) | instid1(VALU_DEP_1)
	v_lshlrev_b64 v[4:5], 3, v[4:5]
	v_add_co_u32 v4, vcc_lo, v7, v4
	s_delay_alu instid0(VALU_DEP_2) | instskip(SKIP_3) | instid1(VALU_DEP_1)
	v_add_co_ci_u32_e32 v5, vcc_lo, v10, v5, vcc_lo
	global_load_b64 v[11:12], v[4:5], off
	s_waitcnt vmcnt(0)
	v_mul_f64 v[11:12], v[11:12], s[4:5]
	v_fma_f64 v[2:3], v[2:3], s[18:19], v[11:12]
	global_store_b64 v[4:5], v[2:3], off
.LBB1033_9:
	s_or_b32 exec_lo, exec_lo, s1
	v_cmp_le_i32_e32 vcc_lo, v6, v8
	s_and_b32 s0, vcc_lo, s0
	s_delay_alu instid0(SALU_CYCLE_1)
	s_and_saveexec_b32 s1, s0
	s_cbranch_execz .LBB1033_11
; %bb.10:
	v_ashrrev_i32_e32 v9, 31, v8
	s_delay_alu instid0(VALU_DEP_1) | instskip(NEXT) | instid1(VALU_DEP_1)
	v_lshlrev_b64 v[2:3], 3, v[8:9]
	v_add_co_u32 v2, vcc_lo, v7, v2
	s_delay_alu instid0(VALU_DEP_2) | instskip(SKIP_3) | instid1(VALU_DEP_1)
	v_add_co_ci_u32_e32 v3, vcc_lo, v10, v3, vcc_lo
	global_load_b64 v[4:5], v[2:3], off
	s_waitcnt vmcnt(0)
	v_mul_f64 v[4:5], v[4:5], s[4:5]
	v_fma_f64 v[0:1], v[0:1], s[18:19], v[4:5]
	global_store_b64 v[2:3], v[0:1], off
.LBB1033_11:
	s_nop 0
	s_sendmsg sendmsg(MSG_DEALLOC_VGPRS)
	s_endpgm
	.section	.rodata,"a",@progbits
	.p2align	6, 0x0
	.amdhsa_kernel _ZL37rocblas_syrkx_herkx_restricted_kernelIldLi16ELi32ELi8ELb0ELb0ELc84ELc76EKddEviT_T0_PT8_S1_lS4_S1_lS2_PT9_S1_li
		.amdhsa_group_segment_fixed_size 4096
		.amdhsa_private_segment_fixed_size 0
		.amdhsa_kernarg_size 108
		.amdhsa_user_sgpr_count 13
		.amdhsa_user_sgpr_dispatch_ptr 0
		.amdhsa_user_sgpr_queue_ptr 0
		.amdhsa_user_sgpr_kernarg_segment_ptr 1
		.amdhsa_user_sgpr_dispatch_id 0
		.amdhsa_user_sgpr_private_segment_size 0
		.amdhsa_wavefront_size32 1
		.amdhsa_uses_dynamic_stack 0
		.amdhsa_enable_private_segment 0
		.amdhsa_system_sgpr_workgroup_id_x 1
		.amdhsa_system_sgpr_workgroup_id_y 1
		.amdhsa_system_sgpr_workgroup_id_z 1
		.amdhsa_system_sgpr_workgroup_info 0
		.amdhsa_system_vgpr_workitem_id 1
		.amdhsa_next_free_vgpr 38
		.amdhsa_next_free_sgpr 32
		.amdhsa_reserve_vcc 1
		.amdhsa_float_round_mode_32 0
		.amdhsa_float_round_mode_16_64 0
		.amdhsa_float_denorm_mode_32 3
		.amdhsa_float_denorm_mode_16_64 3
		.amdhsa_dx10_clamp 1
		.amdhsa_ieee_mode 1
		.amdhsa_fp16_overflow 0
		.amdhsa_workgroup_processor_mode 1
		.amdhsa_memory_ordered 1
		.amdhsa_forward_progress 0
		.amdhsa_shared_vgpr_count 0
		.amdhsa_exception_fp_ieee_invalid_op 0
		.amdhsa_exception_fp_denorm_src 0
		.amdhsa_exception_fp_ieee_div_zero 0
		.amdhsa_exception_fp_ieee_overflow 0
		.amdhsa_exception_fp_ieee_underflow 0
		.amdhsa_exception_fp_ieee_inexact 0
		.amdhsa_exception_int_div_zero 0
	.end_amdhsa_kernel
	.section	.text._ZL37rocblas_syrkx_herkx_restricted_kernelIldLi16ELi32ELi8ELb0ELb0ELc84ELc76EKddEviT_T0_PT8_S1_lS4_S1_lS2_PT9_S1_li,"axG",@progbits,_ZL37rocblas_syrkx_herkx_restricted_kernelIldLi16ELi32ELi8ELb0ELb0ELc84ELc76EKddEviT_T0_PT8_S1_lS4_S1_lS2_PT9_S1_li,comdat
.Lfunc_end1033:
	.size	_ZL37rocblas_syrkx_herkx_restricted_kernelIldLi16ELi32ELi8ELb0ELb0ELc84ELc76EKddEviT_T0_PT8_S1_lS4_S1_lS2_PT9_S1_li, .Lfunc_end1033-_ZL37rocblas_syrkx_herkx_restricted_kernelIldLi16ELi32ELi8ELb0ELb0ELc84ELc76EKddEviT_T0_PT8_S1_lS4_S1_lS2_PT9_S1_li
                                        ; -- End function
	.section	.AMDGPU.csdata,"",@progbits
; Kernel info:
; codeLenInByte = 1568
; NumSgprs: 34
; NumVgprs: 38
; ScratchSize: 0
; MemoryBound: 0
; FloatMode: 240
; IeeeMode: 1
; LDSByteSize: 4096 bytes/workgroup (compile time only)
; SGPRBlocks: 4
; VGPRBlocks: 4
; NumSGPRsForWavesPerEU: 34
; NumVGPRsForWavesPerEU: 38
; Occupancy: 16
; WaveLimiterHint : 1
; COMPUTE_PGM_RSRC2:SCRATCH_EN: 0
; COMPUTE_PGM_RSRC2:USER_SGPR: 13
; COMPUTE_PGM_RSRC2:TRAP_HANDLER: 0
; COMPUTE_PGM_RSRC2:TGID_X_EN: 1
; COMPUTE_PGM_RSRC2:TGID_Y_EN: 1
; COMPUTE_PGM_RSRC2:TGID_Z_EN: 1
; COMPUTE_PGM_RSRC2:TIDIG_COMP_CNT: 1
	.section	.text._ZL37rocblas_syrkx_herkx_restricted_kernelIldLi16ELi32ELi8ELb0ELb0ELc67ELc76EKddEviT_T0_PT8_S1_lS4_S1_lS2_PT9_S1_li,"axG",@progbits,_ZL37rocblas_syrkx_herkx_restricted_kernelIldLi16ELi32ELi8ELb0ELb0ELc67ELc76EKddEviT_T0_PT8_S1_lS4_S1_lS2_PT9_S1_li,comdat
	.globl	_ZL37rocblas_syrkx_herkx_restricted_kernelIldLi16ELi32ELi8ELb0ELb0ELc67ELc76EKddEviT_T0_PT8_S1_lS4_S1_lS2_PT9_S1_li ; -- Begin function _ZL37rocblas_syrkx_herkx_restricted_kernelIldLi16ELi32ELi8ELb0ELb0ELc67ELc76EKddEviT_T0_PT8_S1_lS4_S1_lS2_PT9_S1_li
	.p2align	8
	.type	_ZL37rocblas_syrkx_herkx_restricted_kernelIldLi16ELi32ELi8ELb0ELb0ELc67ELc76EKddEviT_T0_PT8_S1_lS4_S1_lS2_PT9_S1_li,@function
_ZL37rocblas_syrkx_herkx_restricted_kernelIldLi16ELi32ELi8ELb0ELb0ELc67ELc76EKddEviT_T0_PT8_S1_lS4_S1_lS2_PT9_S1_li: ; @_ZL37rocblas_syrkx_herkx_restricted_kernelIldLi16ELi32ELi8ELb0ELb0ELc67ELc76EKddEviT_T0_PT8_S1_lS4_S1_lS2_PT9_S1_li
; %bb.0:
	s_load_b512 s[16:31], s[0:1], 0x8
	v_mov_b32_e32 v10, 0
	v_dual_mov_b32 v11, 0 :: v_dual_and_b32 v12, 0x3ff, v0
	v_bfe_u32 v13, v0, 10, 10
	s_delay_alu instid0(VALU_DEP_3) | instskip(NEXT) | instid1(VALU_DEP_3)
	v_mov_b32_e32 v6, v10
	v_dual_mov_b32 v2, v10 :: v_dual_mov_b32 v3, v11
	v_dual_mov_b32 v7, v11 :: v_dual_mov_b32 v0, v10
	v_mov_b32_e32 v1, v11
	s_lshl_b32 s12, s13, 5
	s_lshl_b32 s13, s14, 5
	s_waitcnt lgkmcnt(0)
	v_cmp_lt_i64_e64 s2, s[16:17], 1
	s_delay_alu instid0(VALU_DEP_1)
	s_and_b32 vcc_lo, exec_lo, s2
	s_cbranch_vccnz .LBB1034_3
; %bb.1:
	v_lshl_add_u32 v2, v13, 4, v12
	v_dual_mov_b32 v1, 0 :: v_dual_and_b32 v0, 7, v12
	v_lshlrev_b32_e32 v14, 3, v12
	s_mul_i32 s3, s31, s15
	s_delay_alu instid0(VALU_DEP_3)
	v_lshrrev_b32_e32 v6, 3, v2
	v_and_b32_e32 v8, 31, v2
	v_lshrrev_b32_e32 v2, 5, v2
	v_mov_b32_e32 v3, v1
	v_lshlrev_b32_e32 v9, 3, v0
	v_add_nc_u32_e32 v7, s13, v6
	v_add_nc_u32_e32 v11, s12, v8
	s_mul_hi_u32 s4, s30, s15
	s_mul_i32 s2, s30, s15
	v_lshl_or_b32 v6, v6, 6, v9
	v_ashrrev_i32_e32 v10, 31, v7
	v_mul_lo_u32 v15, v7, s29
	v_mad_u64_u32 v[4:5], null, v7, s28, v[0:1]
	v_mad_u64_u32 v[0:1], null, s22, v11, v[2:3]
	s_delay_alu instid0(VALU_DEP_4)
	v_mul_lo_u32 v7, v10, s28
	v_ashrrev_i32_e32 v10, 31, v11
	v_mul_lo_u32 v9, s23, v11
	v_add_nc_u32_e32 v16, 0x800, v6
	s_add_i32 s3, s4, s3
	v_lshl_add_u32 v17, v13, 6, 0x800
	v_mul_lo_u32 v10, s22, v10
	s_lshl_b64 s[2:3], s[2:3], 3
	v_add3_u32 v5, v7, v5, v15
	s_add_u32 s4, s26, s2
	s_addc_u32 s5, s27, s3
	s_mul_i32 s2, s25, s15
	s_mul_hi_u32 s3, s24, s15
	s_delay_alu instid0(VALU_DEP_2) | instskip(SKIP_2) | instid1(SALU_CYCLE_1)
	v_add3_u32 v1, v9, v1, v10
	s_add_i32 s3, s3, s2
	s_mul_i32 s2, s24, s15
	s_lshl_b64 s[2:3], s[2:3], 3
	s_delay_alu instid0(VALU_DEP_1) | instskip(SKIP_4) | instid1(VALU_DEP_1)
	v_lshlrev_b64 v[6:7], 3, v[0:1]
	v_mov_b32_e32 v0, 0
	v_dual_mov_b32 v1, 0 :: v_dual_lshlrev_b32 v8, 3, v8
	s_add_u32 s2, s20, s2
	s_addc_u32 s3, s21, s3
	v_dual_mov_b32 v11, v1 :: v_dual_mov_b32 v10, v0
	s_delay_alu instid0(VALU_DEP_2) | instskip(SKIP_1) | instid1(VALU_DEP_1)
	v_lshl_or_b32 v15, v2, 8, v8
	v_lshlrev_b64 v[2:3], 3, v[4:5]
	v_add_co_u32 v4, vcc_lo, s4, v2
	s_delay_alu instid0(VALU_DEP_2)
	v_add_co_ci_u32_e32 v5, vcc_lo, s5, v3, vcc_lo
	v_add_co_u32 v8, vcc_lo, s2, v6
	v_add_co_ci_u32_e32 v9, vcc_lo, s3, v7, vcc_lo
	v_mov_b32_e32 v3, v1
	v_dual_mov_b32 v7, v1 :: v_dual_mov_b32 v2, v0
	v_mov_b32_e32 v6, v0
	s_mov_b64 s[2:3], 0
.LBB1034_2:                             ; =>This Inner Loop Header: Depth=1
	global_load_b64 v[18:19], v[8:9], off
	global_load_b64 v[20:21], v[4:5], off
	s_add_u32 s2, s2, 8
	v_add_co_u32 v4, vcc_lo, v4, 64
	s_addc_u32 s3, s3, 0
	v_add_co_ci_u32_e32 v5, vcc_lo, 0, v5, vcc_lo
	v_cmp_ge_u64_e64 s4, s[2:3], s[16:17]
	v_add_co_u32 v8, vcc_lo, v8, 64
	v_add_co_ci_u32_e32 v9, vcc_lo, 0, v9, vcc_lo
	s_waitcnt vmcnt(1)
	ds_store_b64 v15, v[18:19]
	s_waitcnt vmcnt(0)
	ds_store_b64 v16, v[20:21]
	s_waitcnt lgkmcnt(0)
	s_barrier
	buffer_gl0_inv
	ds_load_2addr_b64 v[18:21], v14 offset1:16
	ds_load_b128 v[22:25], v17
	ds_load_b128 v[26:29], v17 offset:1024
	ds_load_b128 v[30:33], v17 offset:16
	;; [unrolled: 1-line block ×3, first 2 shown]
	s_and_b32 vcc_lo, exec_lo, s4
	s_waitcnt lgkmcnt(3)
	v_fma_f64 v[10:11], v[18:19], v[22:23], v[10:11]
	v_fma_f64 v[6:7], v[20:21], v[22:23], v[6:7]
	s_waitcnt lgkmcnt(2)
	v_fma_f64 v[18:19], v[18:19], v[26:27], v[2:3]
	v_fma_f64 v[20:21], v[20:21], v[26:27], v[0:1]
	ds_load_2addr_b64 v[0:3], v14 offset0:32 offset1:48
	s_waitcnt lgkmcnt(0)
	v_fma_f64 v[10:11], v[0:1], v[24:25], v[10:11]
	v_fma_f64 v[6:7], v[2:3], v[24:25], v[6:7]
	v_fma_f64 v[18:19], v[0:1], v[28:29], v[18:19]
	v_fma_f64 v[20:21], v[2:3], v[28:29], v[20:21]
	ds_load_2addr_b64 v[0:3], v14 offset0:64 offset1:80
	s_waitcnt lgkmcnt(0)
	v_fma_f64 v[10:11], v[0:1], v[30:31], v[10:11]
	v_fma_f64 v[6:7], v[2:3], v[30:31], v[6:7]
	;; [unrolled: 6-line block ×3, first 2 shown]
	v_fma_f64 v[34:35], v[0:1], v[36:37], v[18:19]
	v_fma_f64 v[36:37], v[2:3], v[36:37], v[20:21]
	ds_load_2addr_b64 v[0:3], v14 offset0:128 offset1:144
	ds_load_b128 v[18:21], v17 offset:32
	ds_load_b128 v[22:25], v17 offset:1056
	;; [unrolled: 1-line block ×4, first 2 shown]
	s_waitcnt lgkmcnt(3)
	v_fma_f64 v[10:11], v[0:1], v[18:19], v[10:11]
	v_fma_f64 v[6:7], v[2:3], v[18:19], v[6:7]
	s_waitcnt lgkmcnt(2)
	v_fma_f64 v[18:19], v[0:1], v[22:23], v[34:35]
	v_fma_f64 v[22:23], v[2:3], v[22:23], v[36:37]
	ds_load_2addr_b64 v[0:3], v14 offset0:160 offset1:176
	s_waitcnt lgkmcnt(0)
	v_fma_f64 v[10:11], v[0:1], v[20:21], v[10:11]
	v_fma_f64 v[6:7], v[2:3], v[20:21], v[6:7]
	;; [unrolled: 1-line block ×4, first 2 shown]
	ds_load_2addr_b64 v[0:3], v14 offset0:192 offset1:208
	s_waitcnt lgkmcnt(0)
	v_fma_f64 v[10:11], v[0:1], v[26:27], v[10:11]
	v_fma_f64 v[6:7], v[2:3], v[26:27], v[6:7]
	;; [unrolled: 1-line block ×4, first 2 shown]
	ds_load_2addr_b64 v[18:21], v14 offset0:224 offset1:240
	s_waitcnt lgkmcnt(0)
	s_barrier
	buffer_gl0_inv
	v_fma_f64 v[10:11], v[18:19], v[28:29], v[10:11]
	v_fma_f64 v[6:7], v[20:21], v[28:29], v[6:7]
	;; [unrolled: 1-line block ×4, first 2 shown]
	s_cbranch_vccz .LBB1034_2
.LBB1034_3:
	s_load_b256 s[4:11], s[0:1], 0x48
	v_add_nc_u32_e32 v13, s13, v13
	s_load_b32 s13, s[0:1], 0x0
	s_delay_alu instid0(VALU_DEP_1) | instskip(SKIP_1) | instid1(VALU_DEP_1)
	v_ashrrev_i32_e32 v4, 31, v13
	s_waitcnt lgkmcnt(0)
	v_mul_lo_u32 v5, v4, s8
	v_mul_lo_u32 v14, v13, s9
	v_mad_u64_u32 v[8:9], null, v13, s8, 0
	s_mul_i32 s1, s15, s11
	s_mul_hi_u32 s3, s15, s10
	s_mul_i32 s2, s15, s10
	s_add_i32 s3, s3, s1
	v_add_nc_u32_e32 v4, s12, v12
	s_lshl_b64 s[2:3], s[2:3], 3
	s_delay_alu instid0(VALU_DEP_2)
	v_add3_u32 v9, v9, v14, v5
	s_add_u32 s2, s6, s2
	s_addc_u32 s3, s7, s3
	v_cmp_le_i32_e64 s0, v13, v4
	v_cmp_gt_i32_e32 vcc_lo, s13, v4
	v_lshlrev_b64 v[8:9], 3, v[8:9]
	s_delay_alu instid0(VALU_DEP_3) | instskip(NEXT) | instid1(VALU_DEP_1)
	s_and_b32 s0, s0, vcc_lo
	v_add_co_u32 v12, s1, s2, v8
	s_delay_alu instid0(VALU_DEP_1)
	v_add_co_ci_u32_e64 v14, s1, s3, v9, s1
	s_and_saveexec_b32 s1, s0
	s_cbranch_execz .LBB1034_5
; %bb.4:
	v_ashrrev_i32_e32 v5, 31, v4
	s_delay_alu instid0(VALU_DEP_1) | instskip(NEXT) | instid1(VALU_DEP_1)
	v_lshlrev_b64 v[8:9], 3, v[4:5]
	v_add_co_u32 v8, s0, v12, v8
	s_delay_alu instid0(VALU_DEP_1) | instskip(SKIP_3) | instid1(VALU_DEP_1)
	v_add_co_ci_u32_e64 v9, s0, v14, v9, s0
	global_load_b64 v[15:16], v[8:9], off
	s_waitcnt vmcnt(0)
	v_mul_f64 v[15:16], v[15:16], s[4:5]
	v_fma_f64 v[10:11], v[10:11], s[18:19], v[15:16]
	global_store_b64 v[8:9], v[10:11], off
.LBB1034_5:
	s_or_b32 exec_lo, exec_lo, s1
	v_add_nc_u32_e32 v8, 16, v4
	s_delay_alu instid0(VALU_DEP_1) | instskip(SKIP_1) | instid1(VALU_DEP_1)
	v_cmp_le_i32_e64 s1, v13, v8
	v_cmp_gt_i32_e64 s0, s13, v8
	s_and_b32 s1, s1, s0
	s_delay_alu instid0(SALU_CYCLE_1)
	s_and_saveexec_b32 s6, s1
	s_cbranch_execz .LBB1034_7
; %bb.6:
	v_ashrrev_i32_e32 v9, 31, v8
	s_delay_alu instid0(VALU_DEP_1) | instskip(NEXT) | instid1(VALU_DEP_1)
	v_lshlrev_b64 v[9:10], 3, v[8:9]
	v_add_co_u32 v9, s1, v12, v9
	s_delay_alu instid0(VALU_DEP_1) | instskip(SKIP_3) | instid1(VALU_DEP_1)
	v_add_co_ci_u32_e64 v10, s1, v14, v10, s1
	global_load_b64 v[11:12], v[9:10], off
	s_waitcnt vmcnt(0)
	v_mul_f64 v[11:12], v[11:12], s[4:5]
	v_fma_f64 v[5:6], v[6:7], s[18:19], v[11:12]
	global_store_b64 v[9:10], v[5:6], off
.LBB1034_7:
	s_or_b32 exec_lo, exec_lo, s6
	v_add_nc_u32_e32 v6, 16, v13
	s_delay_alu instid0(VALU_DEP_1) | instskip(SKIP_3) | instid1(VALU_DEP_4)
	v_ashrrev_i32_e32 v5, 31, v6
	v_mul_lo_u32 v7, v6, s9
	v_mad_u64_u32 v[9:10], null, v6, s8, 0
	v_cmp_le_i32_e64 s1, v6, v4
	v_mul_lo_u32 v5, v5, s8
	s_delay_alu instid0(VALU_DEP_1) | instskip(NEXT) | instid1(VALU_DEP_1)
	v_add3_u32 v10, v10, v7, v5
	v_lshlrev_b64 v[9:10], 3, v[9:10]
	s_delay_alu instid0(VALU_DEP_1) | instskip(NEXT) | instid1(VALU_DEP_1)
	v_add_co_u32 v7, s2, s2, v9
	v_add_co_ci_u32_e64 v10, s2, s3, v10, s2
	s_and_b32 s2, s1, vcc_lo
	s_delay_alu instid0(SALU_CYCLE_1)
	s_and_saveexec_b32 s1, s2
	s_cbranch_execz .LBB1034_9
; %bb.8:
	v_ashrrev_i32_e32 v5, 31, v4
	s_delay_alu instid0(VALU_DEP_1) | instskip(NEXT) | instid1(VALU_DEP_1)
	v_lshlrev_b64 v[4:5], 3, v[4:5]
	v_add_co_u32 v4, vcc_lo, v7, v4
	s_delay_alu instid0(VALU_DEP_2) | instskip(SKIP_3) | instid1(VALU_DEP_1)
	v_add_co_ci_u32_e32 v5, vcc_lo, v10, v5, vcc_lo
	global_load_b64 v[11:12], v[4:5], off
	s_waitcnt vmcnt(0)
	v_mul_f64 v[11:12], v[11:12], s[4:5]
	v_fma_f64 v[2:3], v[2:3], s[18:19], v[11:12]
	global_store_b64 v[4:5], v[2:3], off
.LBB1034_9:
	s_or_b32 exec_lo, exec_lo, s1
	v_cmp_le_i32_e32 vcc_lo, v6, v8
	s_and_b32 s0, vcc_lo, s0
	s_delay_alu instid0(SALU_CYCLE_1)
	s_and_saveexec_b32 s1, s0
	s_cbranch_execz .LBB1034_11
; %bb.10:
	v_ashrrev_i32_e32 v9, 31, v8
	s_delay_alu instid0(VALU_DEP_1) | instskip(NEXT) | instid1(VALU_DEP_1)
	v_lshlrev_b64 v[2:3], 3, v[8:9]
	v_add_co_u32 v2, vcc_lo, v7, v2
	s_delay_alu instid0(VALU_DEP_2) | instskip(SKIP_3) | instid1(VALU_DEP_1)
	v_add_co_ci_u32_e32 v3, vcc_lo, v10, v3, vcc_lo
	global_load_b64 v[4:5], v[2:3], off
	s_waitcnt vmcnt(0)
	v_mul_f64 v[4:5], v[4:5], s[4:5]
	v_fma_f64 v[0:1], v[0:1], s[18:19], v[4:5]
	global_store_b64 v[2:3], v[0:1], off
.LBB1034_11:
	s_nop 0
	s_sendmsg sendmsg(MSG_DEALLOC_VGPRS)
	s_endpgm
	.section	.rodata,"a",@progbits
	.p2align	6, 0x0
	.amdhsa_kernel _ZL37rocblas_syrkx_herkx_restricted_kernelIldLi16ELi32ELi8ELb0ELb0ELc67ELc76EKddEviT_T0_PT8_S1_lS4_S1_lS2_PT9_S1_li
		.amdhsa_group_segment_fixed_size 4096
		.amdhsa_private_segment_fixed_size 0
		.amdhsa_kernarg_size 108
		.amdhsa_user_sgpr_count 13
		.amdhsa_user_sgpr_dispatch_ptr 0
		.amdhsa_user_sgpr_queue_ptr 0
		.amdhsa_user_sgpr_kernarg_segment_ptr 1
		.amdhsa_user_sgpr_dispatch_id 0
		.amdhsa_user_sgpr_private_segment_size 0
		.amdhsa_wavefront_size32 1
		.amdhsa_uses_dynamic_stack 0
		.amdhsa_enable_private_segment 0
		.amdhsa_system_sgpr_workgroup_id_x 1
		.amdhsa_system_sgpr_workgroup_id_y 1
		.amdhsa_system_sgpr_workgroup_id_z 1
		.amdhsa_system_sgpr_workgroup_info 0
		.amdhsa_system_vgpr_workitem_id 1
		.amdhsa_next_free_vgpr 38
		.amdhsa_next_free_sgpr 32
		.amdhsa_reserve_vcc 1
		.amdhsa_float_round_mode_32 0
		.amdhsa_float_round_mode_16_64 0
		.amdhsa_float_denorm_mode_32 3
		.amdhsa_float_denorm_mode_16_64 3
		.amdhsa_dx10_clamp 1
		.amdhsa_ieee_mode 1
		.amdhsa_fp16_overflow 0
		.amdhsa_workgroup_processor_mode 1
		.amdhsa_memory_ordered 1
		.amdhsa_forward_progress 0
		.amdhsa_shared_vgpr_count 0
		.amdhsa_exception_fp_ieee_invalid_op 0
		.amdhsa_exception_fp_denorm_src 0
		.amdhsa_exception_fp_ieee_div_zero 0
		.amdhsa_exception_fp_ieee_overflow 0
		.amdhsa_exception_fp_ieee_underflow 0
		.amdhsa_exception_fp_ieee_inexact 0
		.amdhsa_exception_int_div_zero 0
	.end_amdhsa_kernel
	.section	.text._ZL37rocblas_syrkx_herkx_restricted_kernelIldLi16ELi32ELi8ELb0ELb0ELc67ELc76EKddEviT_T0_PT8_S1_lS4_S1_lS2_PT9_S1_li,"axG",@progbits,_ZL37rocblas_syrkx_herkx_restricted_kernelIldLi16ELi32ELi8ELb0ELb0ELc67ELc76EKddEviT_T0_PT8_S1_lS4_S1_lS2_PT9_S1_li,comdat
.Lfunc_end1034:
	.size	_ZL37rocblas_syrkx_herkx_restricted_kernelIldLi16ELi32ELi8ELb0ELb0ELc67ELc76EKddEviT_T0_PT8_S1_lS4_S1_lS2_PT9_S1_li, .Lfunc_end1034-_ZL37rocblas_syrkx_herkx_restricted_kernelIldLi16ELi32ELi8ELb0ELb0ELc67ELc76EKddEviT_T0_PT8_S1_lS4_S1_lS2_PT9_S1_li
                                        ; -- End function
	.section	.AMDGPU.csdata,"",@progbits
; Kernel info:
; codeLenInByte = 1568
; NumSgprs: 34
; NumVgprs: 38
; ScratchSize: 0
; MemoryBound: 0
; FloatMode: 240
; IeeeMode: 1
; LDSByteSize: 4096 bytes/workgroup (compile time only)
; SGPRBlocks: 4
; VGPRBlocks: 4
; NumSGPRsForWavesPerEU: 34
; NumVGPRsForWavesPerEU: 38
; Occupancy: 16
; WaveLimiterHint : 1
; COMPUTE_PGM_RSRC2:SCRATCH_EN: 0
; COMPUTE_PGM_RSRC2:USER_SGPR: 13
; COMPUTE_PGM_RSRC2:TRAP_HANDLER: 0
; COMPUTE_PGM_RSRC2:TGID_X_EN: 1
; COMPUTE_PGM_RSRC2:TGID_Y_EN: 1
; COMPUTE_PGM_RSRC2:TGID_Z_EN: 1
; COMPUTE_PGM_RSRC2:TIDIG_COMP_CNT: 1
	.section	.text._ZL37rocblas_syrkx_herkx_restricted_kernelIldLi16ELi32ELi8ELb0ELb0ELc78ELc76EKddEviT_T0_PT8_S1_lS4_S1_lS2_PT9_S1_li,"axG",@progbits,_ZL37rocblas_syrkx_herkx_restricted_kernelIldLi16ELi32ELi8ELb0ELb0ELc78ELc76EKddEviT_T0_PT8_S1_lS4_S1_lS2_PT9_S1_li,comdat
	.globl	_ZL37rocblas_syrkx_herkx_restricted_kernelIldLi16ELi32ELi8ELb0ELb0ELc78ELc76EKddEviT_T0_PT8_S1_lS4_S1_lS2_PT9_S1_li ; -- Begin function _ZL37rocblas_syrkx_herkx_restricted_kernelIldLi16ELi32ELi8ELb0ELb0ELc78ELc76EKddEviT_T0_PT8_S1_lS4_S1_lS2_PT9_S1_li
	.p2align	8
	.type	_ZL37rocblas_syrkx_herkx_restricted_kernelIldLi16ELi32ELi8ELb0ELb0ELc78ELc76EKddEviT_T0_PT8_S1_lS4_S1_lS2_PT9_S1_li,@function
_ZL37rocblas_syrkx_herkx_restricted_kernelIldLi16ELi32ELi8ELb0ELb0ELc78ELc76EKddEviT_T0_PT8_S1_lS4_S1_lS2_PT9_S1_li: ; @_ZL37rocblas_syrkx_herkx_restricted_kernelIldLi16ELi32ELi8ELb0ELb0ELc78ELc76EKddEviT_T0_PT8_S1_lS4_S1_lS2_PT9_S1_li
; %bb.0:
	s_load_b512 s[16:31], s[0:1], 0x8
	v_mov_b32_e32 v10, 0
	v_dual_mov_b32 v11, 0 :: v_dual_and_b32 v12, 0x3ff, v0
	v_bfe_u32 v13, v0, 10, 10
	s_delay_alu instid0(VALU_DEP_3) | instskip(NEXT) | instid1(VALU_DEP_3)
	v_mov_b32_e32 v4, v10
	v_dual_mov_b32 v2, v10 :: v_dual_mov_b32 v3, v11
	v_dual_mov_b32 v5, v11 :: v_dual_mov_b32 v0, v10
	v_mov_b32_e32 v1, v11
	s_lshl_b32 s12, s13, 5
	s_lshl_b32 s13, s14, 5
	s_waitcnt lgkmcnt(0)
	v_cmp_lt_i64_e64 s2, s[16:17], 1
	s_delay_alu instid0(VALU_DEP_1)
	s_and_b32 vcc_lo, exec_lo, s2
	s_cbranch_vccnz .LBB1035_3
; %bb.1:
	v_lshl_add_u32 v3, v13, 4, v12
	v_and_b32_e32 v9, 7, v12
	v_lshlrev_b32_e32 v14, 3, v12
	s_mul_i32 s3, s31, s15
	s_mul_hi_u32 s5, s30, s15
	v_lshrrev_b32_e32 v10, 3, v3
	v_lshrrev_b32_e32 v16, 5, v3
	s_mul_i32 s2, s30, s15
	s_add_i32 s3, s5, s3
	s_mul_i32 s6, s25, s15
	v_add_nc_u32_e32 v0, s13, v10
	s_lshl_b64 s[2:3], s[2:3], 3
	s_mul_hi_u32 s7, s24, s15
	s_add_u32 s8, s26, s2
	s_mul_i32 s4, s24, s15
	v_ashrrev_i32_e32 v1, 31, v0
	s_addc_u32 s9, s27, s3
	s_add_i32 s5, s7, s6
	s_lshl_b64 s[2:3], s[28:29], 6
	s_lshl_b64 s[4:5], s[4:5], 3
	v_mad_u64_u32 v[4:5], null, v9, s28, v[0:1]
	v_dual_mov_b32 v0, 0 :: v_dual_and_b32 v11, 31, v3
	v_mov_b32_e32 v1, 0
	v_lshlrev_b32_e32 v17, 3, v9
	s_add_u32 s4, s20, s4
	s_delay_alu instid0(VALU_DEP_3) | instskip(SKIP_3) | instid1(VALU_DEP_2)
	v_add_nc_u32_e32 v2, s12, v11
	s_addc_u32 s5, s21, s5
	v_lshl_add_u32 v15, v13, 6, 0x800
	s_mov_b64 s[6:7], 0
	v_ashrrev_i32_e32 v3, 31, v2
	s_delay_alu instid0(VALU_DEP_1) | instskip(NEXT) | instid1(VALU_DEP_1)
	v_mad_u64_u32 v[6:7], null, v16, s22, v[2:3]
	v_dual_mov_b32 v2, v5 :: v_dual_mov_b32 v3, v7
	s_delay_alu instid0(VALU_DEP_1) | instskip(SKIP_2) | instid1(VALU_DEP_3)
	v_mad_u64_u32 v[7:8], null, v9, s29, v[2:3]
	v_mad_u64_u32 v[8:9], null, v16, s23, v[3:4]
	v_lshlrev_b32_e32 v9, 3, v11
	v_mov_b32_e32 v5, v7
	s_delay_alu instid0(VALU_DEP_2) | instskip(NEXT) | instid1(VALU_DEP_4)
	v_lshl_or_b32 v16, v16, 8, v9
	v_mov_b32_e32 v7, v8
	s_delay_alu instid0(VALU_DEP_3) | instskip(NEXT) | instid1(VALU_DEP_2)
	v_lshlrev_b64 v[2:3], 3, v[4:5]
	v_lshlrev_b64 v[4:5], 3, v[6:7]
	s_delay_alu instid0(VALU_DEP_2) | instskip(NEXT) | instid1(VALU_DEP_3)
	v_add_co_u32 v6, vcc_lo, s8, v2
	v_add_co_ci_u32_e32 v7, vcc_lo, s9, v3, vcc_lo
	v_dual_mov_b32 v3, v1 :: v_dual_mov_b32 v2, v0
	v_lshl_or_b32 v10, v10, 6, v17
	v_add_co_u32 v8, vcc_lo, s4, v4
	v_add_co_ci_u32_e32 v9, vcc_lo, s5, v5, vcc_lo
	s_delay_alu instid0(VALU_DEP_3)
	v_add_nc_u32_e32 v17, 0x800, v10
	v_mov_b32_e32 v5, v1
	v_dual_mov_b32 v11, v1 :: v_dual_mov_b32 v10, v0
	v_mov_b32_e32 v4, v0
	s_lshl_b64 s[4:5], s[22:23], 6
.LBB1035_2:                             ; =>This Inner Loop Header: Depth=1
	global_load_b64 v[18:19], v[8:9], off
	global_load_b64 v[20:21], v[6:7], off
	s_add_u32 s6, s6, 8
	v_add_co_u32 v6, vcc_lo, v6, s2
	s_addc_u32 s7, s7, 0
	v_add_co_ci_u32_e32 v7, vcc_lo, s3, v7, vcc_lo
	v_cmp_ge_u64_e64 s8, s[6:7], s[16:17]
	v_add_co_u32 v8, vcc_lo, v8, s4
	v_add_co_ci_u32_e32 v9, vcc_lo, s5, v9, vcc_lo
	s_waitcnt vmcnt(1)
	ds_store_b64 v16, v[18:19]
	s_waitcnt vmcnt(0)
	ds_store_b64 v17, v[20:21]
	s_waitcnt lgkmcnt(0)
	s_barrier
	buffer_gl0_inv
	ds_load_2addr_b64 v[18:21], v14 offset1:16
	ds_load_b128 v[22:25], v15
	ds_load_b128 v[26:29], v15 offset:1024
	ds_load_b128 v[30:33], v15 offset:16
	;; [unrolled: 1-line block ×3, first 2 shown]
	s_and_b32 vcc_lo, exec_lo, s8
	s_waitcnt lgkmcnt(3)
	v_fma_f64 v[10:11], v[18:19], v[22:23], v[10:11]
	v_fma_f64 v[4:5], v[20:21], v[22:23], v[4:5]
	s_waitcnt lgkmcnt(2)
	v_fma_f64 v[18:19], v[18:19], v[26:27], v[2:3]
	v_fma_f64 v[20:21], v[20:21], v[26:27], v[0:1]
	ds_load_2addr_b64 v[0:3], v14 offset0:32 offset1:48
	s_waitcnt lgkmcnt(0)
	v_fma_f64 v[10:11], v[0:1], v[24:25], v[10:11]
	v_fma_f64 v[4:5], v[2:3], v[24:25], v[4:5]
	v_fma_f64 v[18:19], v[0:1], v[28:29], v[18:19]
	v_fma_f64 v[20:21], v[2:3], v[28:29], v[20:21]
	ds_load_2addr_b64 v[0:3], v14 offset0:64 offset1:80
	s_waitcnt lgkmcnt(0)
	v_fma_f64 v[10:11], v[0:1], v[30:31], v[10:11]
	v_fma_f64 v[4:5], v[2:3], v[30:31], v[4:5]
	v_fma_f64 v[18:19], v[0:1], v[34:35], v[18:19]
	v_fma_f64 v[20:21], v[2:3], v[34:35], v[20:21]
	ds_load_2addr_b64 v[0:3], v14 offset0:96 offset1:112
	s_waitcnt lgkmcnt(0)
	v_fma_f64 v[10:11], v[0:1], v[32:33], v[10:11]
	v_fma_f64 v[4:5], v[2:3], v[32:33], v[4:5]
	v_fma_f64 v[34:35], v[0:1], v[36:37], v[18:19]
	v_fma_f64 v[36:37], v[2:3], v[36:37], v[20:21]
	ds_load_2addr_b64 v[0:3], v14 offset0:128 offset1:144
	ds_load_b128 v[18:21], v15 offset:32
	ds_load_b128 v[22:25], v15 offset:1056
	;; [unrolled: 1-line block ×4, first 2 shown]
	s_waitcnt lgkmcnt(3)
	v_fma_f64 v[10:11], v[0:1], v[18:19], v[10:11]
	v_fma_f64 v[4:5], v[2:3], v[18:19], v[4:5]
	s_waitcnt lgkmcnt(2)
	v_fma_f64 v[18:19], v[0:1], v[22:23], v[34:35]
	v_fma_f64 v[22:23], v[2:3], v[22:23], v[36:37]
	ds_load_2addr_b64 v[0:3], v14 offset0:160 offset1:176
	s_waitcnt lgkmcnt(0)
	v_fma_f64 v[10:11], v[0:1], v[20:21], v[10:11]
	v_fma_f64 v[4:5], v[2:3], v[20:21], v[4:5]
	;; [unrolled: 1-line block ×4, first 2 shown]
	ds_load_2addr_b64 v[0:3], v14 offset0:192 offset1:208
	s_waitcnt lgkmcnt(0)
	v_fma_f64 v[10:11], v[0:1], v[26:27], v[10:11]
	v_fma_f64 v[4:5], v[2:3], v[26:27], v[4:5]
	;; [unrolled: 1-line block ×4, first 2 shown]
	ds_load_2addr_b64 v[18:21], v14 offset0:224 offset1:240
	s_waitcnt lgkmcnt(0)
	s_barrier
	buffer_gl0_inv
	v_fma_f64 v[10:11], v[18:19], v[28:29], v[10:11]
	v_fma_f64 v[4:5], v[20:21], v[28:29], v[4:5]
	;; [unrolled: 1-line block ×4, first 2 shown]
	s_cbranch_vccz .LBB1035_2
.LBB1035_3:
	s_load_b256 s[4:11], s[0:1], 0x48
	v_add_nc_u32_e32 v13, s13, v13
	s_load_b32 s13, s[0:1], 0x0
	s_delay_alu instid0(VALU_DEP_1) | instskip(SKIP_1) | instid1(VALU_DEP_1)
	v_ashrrev_i32_e32 v6, 31, v13
	s_waitcnt lgkmcnt(0)
	v_mul_lo_u32 v9, v6, s8
	v_mul_lo_u32 v14, v13, s9
	v_mad_u64_u32 v[7:8], null, v13, s8, 0
	s_mul_i32 s1, s15, s11
	s_mul_hi_u32 s3, s15, s10
	s_mul_i32 s2, s15, s10
	s_add_i32 s3, s3, s1
	v_add_nc_u32_e32 v6, s12, v12
	s_lshl_b64 s[2:3], s[2:3], 3
	s_delay_alu instid0(VALU_DEP_2)
	v_add3_u32 v8, v8, v14, v9
	s_add_u32 s2, s6, s2
	s_addc_u32 s3, s7, s3
	v_cmp_le_i32_e64 s0, v13, v6
	v_cmp_gt_i32_e32 vcc_lo, s13, v6
	v_lshlrev_b64 v[7:8], 3, v[7:8]
	s_delay_alu instid0(VALU_DEP_3) | instskip(NEXT) | instid1(VALU_DEP_1)
	s_and_b32 s0, s0, vcc_lo
	v_add_co_u32 v12, s1, s2, v7
	s_delay_alu instid0(VALU_DEP_1)
	v_add_co_ci_u32_e64 v14, s1, s3, v8, s1
	s_and_saveexec_b32 s1, s0
	s_cbranch_execz .LBB1035_5
; %bb.4:
	v_ashrrev_i32_e32 v7, 31, v6
	s_delay_alu instid0(VALU_DEP_1) | instskip(NEXT) | instid1(VALU_DEP_1)
	v_lshlrev_b64 v[7:8], 3, v[6:7]
	v_add_co_u32 v7, s0, v12, v7
	s_delay_alu instid0(VALU_DEP_1) | instskip(SKIP_3) | instid1(VALU_DEP_1)
	v_add_co_ci_u32_e64 v8, s0, v14, v8, s0
	global_load_b64 v[15:16], v[7:8], off
	s_waitcnt vmcnt(0)
	v_mul_f64 v[15:16], v[15:16], s[4:5]
	v_fma_f64 v[9:10], v[10:11], s[18:19], v[15:16]
	global_store_b64 v[7:8], v[9:10], off
.LBB1035_5:
	s_or_b32 exec_lo, exec_lo, s1
	v_add_nc_u32_e32 v8, 16, v6
	s_delay_alu instid0(VALU_DEP_1) | instskip(SKIP_1) | instid1(VALU_DEP_1)
	v_cmp_le_i32_e64 s1, v13, v8
	v_cmp_gt_i32_e64 s0, s13, v8
	s_and_b32 s1, s1, s0
	s_delay_alu instid0(SALU_CYCLE_1)
	s_and_saveexec_b32 s6, s1
	s_cbranch_execz .LBB1035_7
; %bb.6:
	v_ashrrev_i32_e32 v9, 31, v8
	s_delay_alu instid0(VALU_DEP_1) | instskip(NEXT) | instid1(VALU_DEP_1)
	v_lshlrev_b64 v[9:10], 3, v[8:9]
	v_add_co_u32 v9, s1, v12, v9
	s_delay_alu instid0(VALU_DEP_1) | instskip(SKIP_3) | instid1(VALU_DEP_1)
	v_add_co_ci_u32_e64 v10, s1, v14, v10, s1
	global_load_b64 v[11:12], v[9:10], off
	s_waitcnt vmcnt(0)
	v_mul_f64 v[11:12], v[11:12], s[4:5]
	v_fma_f64 v[4:5], v[4:5], s[18:19], v[11:12]
	global_store_b64 v[9:10], v[4:5], off
.LBB1035_7:
	s_or_b32 exec_lo, exec_lo, s6
	v_add_nc_u32_e32 v4, 16, v13
	s_delay_alu instid0(VALU_DEP_1) | instskip(SKIP_3) | instid1(VALU_DEP_4)
	v_ashrrev_i32_e32 v5, 31, v4
	v_mul_lo_u32 v7, v4, s9
	v_mad_u64_u32 v[9:10], null, v4, s8, 0
	v_cmp_le_i32_e64 s1, v4, v6
	v_mul_lo_u32 v5, v5, s8
	s_delay_alu instid0(VALU_DEP_1) | instskip(NEXT) | instid1(VALU_DEP_1)
	v_add3_u32 v10, v10, v7, v5
	v_lshlrev_b64 v[9:10], 3, v[9:10]
	s_delay_alu instid0(VALU_DEP_1) | instskip(NEXT) | instid1(VALU_DEP_1)
	v_add_co_u32 v5, s2, s2, v9
	v_add_co_ci_u32_e64 v10, s2, s3, v10, s2
	s_and_b32 s2, s1, vcc_lo
	s_delay_alu instid0(SALU_CYCLE_1)
	s_and_saveexec_b32 s1, s2
	s_cbranch_execz .LBB1035_9
; %bb.8:
	v_ashrrev_i32_e32 v7, 31, v6
	s_delay_alu instid0(VALU_DEP_1) | instskip(NEXT) | instid1(VALU_DEP_1)
	v_lshlrev_b64 v[6:7], 3, v[6:7]
	v_add_co_u32 v6, vcc_lo, v5, v6
	s_delay_alu instid0(VALU_DEP_2) | instskip(SKIP_3) | instid1(VALU_DEP_1)
	v_add_co_ci_u32_e32 v7, vcc_lo, v10, v7, vcc_lo
	global_load_b64 v[11:12], v[6:7], off
	s_waitcnt vmcnt(0)
	v_mul_f64 v[11:12], v[11:12], s[4:5]
	v_fma_f64 v[2:3], v[2:3], s[18:19], v[11:12]
	global_store_b64 v[6:7], v[2:3], off
.LBB1035_9:
	s_or_b32 exec_lo, exec_lo, s1
	v_cmp_le_i32_e32 vcc_lo, v4, v8
	s_and_b32 s0, vcc_lo, s0
	s_delay_alu instid0(SALU_CYCLE_1)
	s_and_saveexec_b32 s1, s0
	s_cbranch_execz .LBB1035_11
; %bb.10:
	v_ashrrev_i32_e32 v9, 31, v8
	s_delay_alu instid0(VALU_DEP_1) | instskip(NEXT) | instid1(VALU_DEP_1)
	v_lshlrev_b64 v[2:3], 3, v[8:9]
	v_add_co_u32 v2, vcc_lo, v5, v2
	s_delay_alu instid0(VALU_DEP_2) | instskip(SKIP_3) | instid1(VALU_DEP_1)
	v_add_co_ci_u32_e32 v3, vcc_lo, v10, v3, vcc_lo
	global_load_b64 v[4:5], v[2:3], off
	s_waitcnt vmcnt(0)
	v_mul_f64 v[4:5], v[4:5], s[4:5]
	v_fma_f64 v[0:1], v[0:1], s[18:19], v[4:5]
	global_store_b64 v[2:3], v[0:1], off
.LBB1035_11:
	s_nop 0
	s_sendmsg sendmsg(MSG_DEALLOC_VGPRS)
	s_endpgm
	.section	.rodata,"a",@progbits
	.p2align	6, 0x0
	.amdhsa_kernel _ZL37rocblas_syrkx_herkx_restricted_kernelIldLi16ELi32ELi8ELb0ELb0ELc78ELc76EKddEviT_T0_PT8_S1_lS4_S1_lS2_PT9_S1_li
		.amdhsa_group_segment_fixed_size 4096
		.amdhsa_private_segment_fixed_size 0
		.amdhsa_kernarg_size 108
		.amdhsa_user_sgpr_count 13
		.amdhsa_user_sgpr_dispatch_ptr 0
		.amdhsa_user_sgpr_queue_ptr 0
		.amdhsa_user_sgpr_kernarg_segment_ptr 1
		.amdhsa_user_sgpr_dispatch_id 0
		.amdhsa_user_sgpr_private_segment_size 0
		.amdhsa_wavefront_size32 1
		.amdhsa_uses_dynamic_stack 0
		.amdhsa_enable_private_segment 0
		.amdhsa_system_sgpr_workgroup_id_x 1
		.amdhsa_system_sgpr_workgroup_id_y 1
		.amdhsa_system_sgpr_workgroup_id_z 1
		.amdhsa_system_sgpr_workgroup_info 0
		.amdhsa_system_vgpr_workitem_id 1
		.amdhsa_next_free_vgpr 38
		.amdhsa_next_free_sgpr 32
		.amdhsa_reserve_vcc 1
		.amdhsa_float_round_mode_32 0
		.amdhsa_float_round_mode_16_64 0
		.amdhsa_float_denorm_mode_32 3
		.amdhsa_float_denorm_mode_16_64 3
		.amdhsa_dx10_clamp 1
		.amdhsa_ieee_mode 1
		.amdhsa_fp16_overflow 0
		.amdhsa_workgroup_processor_mode 1
		.amdhsa_memory_ordered 1
		.amdhsa_forward_progress 0
		.amdhsa_shared_vgpr_count 0
		.amdhsa_exception_fp_ieee_invalid_op 0
		.amdhsa_exception_fp_denorm_src 0
		.amdhsa_exception_fp_ieee_div_zero 0
		.amdhsa_exception_fp_ieee_overflow 0
		.amdhsa_exception_fp_ieee_underflow 0
		.amdhsa_exception_fp_ieee_inexact 0
		.amdhsa_exception_int_div_zero 0
	.end_amdhsa_kernel
	.section	.text._ZL37rocblas_syrkx_herkx_restricted_kernelIldLi16ELi32ELi8ELb0ELb0ELc78ELc76EKddEviT_T0_PT8_S1_lS4_S1_lS2_PT9_S1_li,"axG",@progbits,_ZL37rocblas_syrkx_herkx_restricted_kernelIldLi16ELi32ELi8ELb0ELb0ELc78ELc76EKddEviT_T0_PT8_S1_lS4_S1_lS2_PT9_S1_li,comdat
.Lfunc_end1035:
	.size	_ZL37rocblas_syrkx_herkx_restricted_kernelIldLi16ELi32ELi8ELb0ELb0ELc78ELc76EKddEviT_T0_PT8_S1_lS4_S1_lS2_PT9_S1_li, .Lfunc_end1035-_ZL37rocblas_syrkx_herkx_restricted_kernelIldLi16ELi32ELi8ELb0ELb0ELc78ELc76EKddEviT_T0_PT8_S1_lS4_S1_lS2_PT9_S1_li
                                        ; -- End function
	.section	.AMDGPU.csdata,"",@progbits
; Kernel info:
; codeLenInByte = 1556
; NumSgprs: 34
; NumVgprs: 38
; ScratchSize: 0
; MemoryBound: 0
; FloatMode: 240
; IeeeMode: 1
; LDSByteSize: 4096 bytes/workgroup (compile time only)
; SGPRBlocks: 4
; VGPRBlocks: 4
; NumSGPRsForWavesPerEU: 34
; NumVGPRsForWavesPerEU: 38
; Occupancy: 16
; WaveLimiterHint : 1
; COMPUTE_PGM_RSRC2:SCRATCH_EN: 0
; COMPUTE_PGM_RSRC2:USER_SGPR: 13
; COMPUTE_PGM_RSRC2:TRAP_HANDLER: 0
; COMPUTE_PGM_RSRC2:TGID_X_EN: 1
; COMPUTE_PGM_RSRC2:TGID_Y_EN: 1
; COMPUTE_PGM_RSRC2:TGID_Z_EN: 1
; COMPUTE_PGM_RSRC2:TIDIG_COMP_CNT: 1
	.section	.text._ZL37rocblas_syrkx_herkx_restricted_kernelIldLi16ELi32ELi8ELb0ELb0ELc84ELc85EKddEviT_T0_PT8_S1_lS4_S1_lS2_PT9_S1_li,"axG",@progbits,_ZL37rocblas_syrkx_herkx_restricted_kernelIldLi16ELi32ELi8ELb0ELb0ELc84ELc85EKddEviT_T0_PT8_S1_lS4_S1_lS2_PT9_S1_li,comdat
	.globl	_ZL37rocblas_syrkx_herkx_restricted_kernelIldLi16ELi32ELi8ELb0ELb0ELc84ELc85EKddEviT_T0_PT8_S1_lS4_S1_lS2_PT9_S1_li ; -- Begin function _ZL37rocblas_syrkx_herkx_restricted_kernelIldLi16ELi32ELi8ELb0ELb0ELc84ELc85EKddEviT_T0_PT8_S1_lS4_S1_lS2_PT9_S1_li
	.p2align	8
	.type	_ZL37rocblas_syrkx_herkx_restricted_kernelIldLi16ELi32ELi8ELb0ELb0ELc84ELc85EKddEviT_T0_PT8_S1_lS4_S1_lS2_PT9_S1_li,@function
_ZL37rocblas_syrkx_herkx_restricted_kernelIldLi16ELi32ELi8ELb0ELb0ELc84ELc85EKddEviT_T0_PT8_S1_lS4_S1_lS2_PT9_S1_li: ; @_ZL37rocblas_syrkx_herkx_restricted_kernelIldLi16ELi32ELi8ELb0ELb0ELc84ELc85EKddEviT_T0_PT8_S1_lS4_S1_lS2_PT9_S1_li
; %bb.0:
	s_load_b512 s[16:31], s[0:1], 0x8
	v_mov_b32_e32 v10, 0
	v_dual_mov_b32 v11, 0 :: v_dual_and_b32 v12, 0x3ff, v0
	v_bfe_u32 v13, v0, 10, 10
	s_delay_alu instid0(VALU_DEP_3) | instskip(NEXT) | instid1(VALU_DEP_3)
	v_mov_b32_e32 v6, v10
	v_dual_mov_b32 v2, v10 :: v_dual_mov_b32 v3, v11
	v_dual_mov_b32 v7, v11 :: v_dual_mov_b32 v0, v10
	v_mov_b32_e32 v1, v11
	s_lshl_b32 s12, s13, 5
	s_lshl_b32 s13, s14, 5
	s_waitcnt lgkmcnt(0)
	v_cmp_lt_i64_e64 s2, s[16:17], 1
	s_delay_alu instid0(VALU_DEP_1)
	s_and_b32 vcc_lo, exec_lo, s2
	s_cbranch_vccnz .LBB1036_3
; %bb.1:
	v_lshl_add_u32 v2, v13, 4, v12
	v_dual_mov_b32 v1, 0 :: v_dual_and_b32 v0, 7, v12
	v_lshlrev_b32_e32 v14, 3, v12
	s_mul_i32 s3, s31, s15
	s_delay_alu instid0(VALU_DEP_3)
	v_lshrrev_b32_e32 v6, 3, v2
	v_and_b32_e32 v8, 31, v2
	v_lshrrev_b32_e32 v2, 5, v2
	v_mov_b32_e32 v3, v1
	v_lshlrev_b32_e32 v9, 3, v0
	v_add_nc_u32_e32 v7, s13, v6
	v_add_nc_u32_e32 v11, s12, v8
	s_mul_hi_u32 s4, s30, s15
	s_mul_i32 s2, s30, s15
	v_lshl_or_b32 v6, v6, 6, v9
	v_ashrrev_i32_e32 v10, 31, v7
	v_mul_lo_u32 v15, v7, s29
	v_mad_u64_u32 v[4:5], null, v7, s28, v[0:1]
	v_mad_u64_u32 v[0:1], null, s22, v11, v[2:3]
	s_delay_alu instid0(VALU_DEP_4)
	v_mul_lo_u32 v7, v10, s28
	v_ashrrev_i32_e32 v10, 31, v11
	v_mul_lo_u32 v9, s23, v11
	v_add_nc_u32_e32 v16, 0x800, v6
	s_add_i32 s3, s4, s3
	v_lshl_add_u32 v17, v13, 6, 0x800
	v_mul_lo_u32 v10, s22, v10
	s_lshl_b64 s[2:3], s[2:3], 3
	v_add3_u32 v5, v7, v5, v15
	s_add_u32 s4, s26, s2
	s_addc_u32 s5, s27, s3
	s_mul_i32 s2, s25, s15
	s_mul_hi_u32 s3, s24, s15
	s_delay_alu instid0(VALU_DEP_2) | instskip(SKIP_2) | instid1(SALU_CYCLE_1)
	v_add3_u32 v1, v9, v1, v10
	s_add_i32 s3, s3, s2
	s_mul_i32 s2, s24, s15
	s_lshl_b64 s[2:3], s[2:3], 3
	s_delay_alu instid0(VALU_DEP_1) | instskip(SKIP_4) | instid1(VALU_DEP_1)
	v_lshlrev_b64 v[6:7], 3, v[0:1]
	v_mov_b32_e32 v0, 0
	v_dual_mov_b32 v1, 0 :: v_dual_lshlrev_b32 v8, 3, v8
	s_add_u32 s2, s20, s2
	s_addc_u32 s3, s21, s3
	v_dual_mov_b32 v11, v1 :: v_dual_mov_b32 v10, v0
	s_delay_alu instid0(VALU_DEP_2) | instskip(SKIP_1) | instid1(VALU_DEP_1)
	v_lshl_or_b32 v15, v2, 8, v8
	v_lshlrev_b64 v[2:3], 3, v[4:5]
	v_add_co_u32 v4, vcc_lo, s4, v2
	s_delay_alu instid0(VALU_DEP_2)
	v_add_co_ci_u32_e32 v5, vcc_lo, s5, v3, vcc_lo
	v_add_co_u32 v8, vcc_lo, s2, v6
	v_add_co_ci_u32_e32 v9, vcc_lo, s3, v7, vcc_lo
	v_mov_b32_e32 v3, v1
	v_dual_mov_b32 v7, v1 :: v_dual_mov_b32 v2, v0
	v_mov_b32_e32 v6, v0
	s_mov_b64 s[2:3], 0
.LBB1036_2:                             ; =>This Inner Loop Header: Depth=1
	global_load_b64 v[18:19], v[8:9], off
	global_load_b64 v[20:21], v[4:5], off
	s_add_u32 s2, s2, 8
	v_add_co_u32 v4, vcc_lo, v4, 64
	s_addc_u32 s3, s3, 0
	v_add_co_ci_u32_e32 v5, vcc_lo, 0, v5, vcc_lo
	v_cmp_ge_u64_e64 s4, s[2:3], s[16:17]
	v_add_co_u32 v8, vcc_lo, v8, 64
	v_add_co_ci_u32_e32 v9, vcc_lo, 0, v9, vcc_lo
	s_waitcnt vmcnt(1)
	ds_store_b64 v15, v[18:19]
	s_waitcnt vmcnt(0)
	ds_store_b64 v16, v[20:21]
	s_waitcnt lgkmcnt(0)
	s_barrier
	buffer_gl0_inv
	ds_load_2addr_b64 v[18:21], v14 offset1:16
	ds_load_b128 v[22:25], v17
	ds_load_b128 v[26:29], v17 offset:1024
	ds_load_b128 v[30:33], v17 offset:16
	;; [unrolled: 1-line block ×3, first 2 shown]
	s_and_b32 vcc_lo, exec_lo, s4
	s_waitcnt lgkmcnt(3)
	v_fma_f64 v[10:11], v[18:19], v[22:23], v[10:11]
	v_fma_f64 v[6:7], v[20:21], v[22:23], v[6:7]
	s_waitcnt lgkmcnt(2)
	v_fma_f64 v[18:19], v[18:19], v[26:27], v[2:3]
	v_fma_f64 v[20:21], v[20:21], v[26:27], v[0:1]
	ds_load_2addr_b64 v[0:3], v14 offset0:32 offset1:48
	s_waitcnt lgkmcnt(0)
	v_fma_f64 v[10:11], v[0:1], v[24:25], v[10:11]
	v_fma_f64 v[6:7], v[2:3], v[24:25], v[6:7]
	v_fma_f64 v[18:19], v[0:1], v[28:29], v[18:19]
	v_fma_f64 v[20:21], v[2:3], v[28:29], v[20:21]
	ds_load_2addr_b64 v[0:3], v14 offset0:64 offset1:80
	s_waitcnt lgkmcnt(0)
	v_fma_f64 v[10:11], v[0:1], v[30:31], v[10:11]
	v_fma_f64 v[6:7], v[2:3], v[30:31], v[6:7]
	;; [unrolled: 6-line block ×3, first 2 shown]
	v_fma_f64 v[34:35], v[0:1], v[36:37], v[18:19]
	v_fma_f64 v[36:37], v[2:3], v[36:37], v[20:21]
	ds_load_2addr_b64 v[0:3], v14 offset0:128 offset1:144
	ds_load_b128 v[18:21], v17 offset:32
	ds_load_b128 v[22:25], v17 offset:1056
	;; [unrolled: 1-line block ×4, first 2 shown]
	s_waitcnt lgkmcnt(3)
	v_fma_f64 v[10:11], v[0:1], v[18:19], v[10:11]
	v_fma_f64 v[6:7], v[2:3], v[18:19], v[6:7]
	s_waitcnt lgkmcnt(2)
	v_fma_f64 v[18:19], v[0:1], v[22:23], v[34:35]
	v_fma_f64 v[22:23], v[2:3], v[22:23], v[36:37]
	ds_load_2addr_b64 v[0:3], v14 offset0:160 offset1:176
	s_waitcnt lgkmcnt(0)
	v_fma_f64 v[10:11], v[0:1], v[20:21], v[10:11]
	v_fma_f64 v[6:7], v[2:3], v[20:21], v[6:7]
	;; [unrolled: 1-line block ×4, first 2 shown]
	ds_load_2addr_b64 v[0:3], v14 offset0:192 offset1:208
	s_waitcnt lgkmcnt(0)
	v_fma_f64 v[10:11], v[0:1], v[26:27], v[10:11]
	v_fma_f64 v[6:7], v[2:3], v[26:27], v[6:7]
	;; [unrolled: 1-line block ×4, first 2 shown]
	ds_load_2addr_b64 v[18:21], v14 offset0:224 offset1:240
	s_waitcnt lgkmcnt(0)
	s_barrier
	buffer_gl0_inv
	v_fma_f64 v[10:11], v[18:19], v[28:29], v[10:11]
	v_fma_f64 v[6:7], v[20:21], v[28:29], v[6:7]
	;; [unrolled: 1-line block ×4, first 2 shown]
	s_cbranch_vccz .LBB1036_2
.LBB1036_3:
	s_load_b256 s[4:11], s[0:1], 0x48
	v_add_nc_u32_e32 v13, s13, v13
	s_load_b32 s2, s[0:1], 0x0
	s_delay_alu instid0(VALU_DEP_1) | instskip(SKIP_1) | instid1(VALU_DEP_1)
	v_ashrrev_i32_e32 v4, 31, v13
	s_waitcnt lgkmcnt(0)
	v_mul_lo_u32 v5, v4, s8
	v_mul_lo_u32 v14, v13, s9
	v_mad_u64_u32 v[8:9], null, v13, s8, 0
	s_mul_i32 s1, s15, s11
	s_mul_hi_u32 s3, s15, s10
	s_mul_i32 s10, s15, s10
	s_add_i32 s11, s3, s1
	v_add_nc_u32_e32 v4, s12, v12
	s_lshl_b64 s[10:11], s[10:11], 3
	s_delay_alu instid0(VALU_DEP_2)
	v_add3_u32 v9, v9, v14, v5
	s_add_u32 s3, s6, s10
	v_cmp_gt_i32_e32 vcc_lo, s2, v13
	v_cmp_le_i32_e64 s0, v4, v13
	s_addc_u32 s6, s7, s11
	v_lshlrev_b64 v[8:9], 3, v[8:9]
	s_delay_alu instid0(VALU_DEP_2) | instskip(NEXT) | instid1(VALU_DEP_1)
	s_and_b32 s0, vcc_lo, s0
	v_add_co_u32 v12, s1, s3, v8
	s_delay_alu instid0(VALU_DEP_1)
	v_add_co_ci_u32_e64 v14, s1, s6, v9, s1
	s_and_saveexec_b32 s1, s0
	s_cbranch_execz .LBB1036_5
; %bb.4:
	v_ashrrev_i32_e32 v5, 31, v4
	s_delay_alu instid0(VALU_DEP_1) | instskip(NEXT) | instid1(VALU_DEP_1)
	v_lshlrev_b64 v[8:9], 3, v[4:5]
	v_add_co_u32 v8, s0, v12, v8
	s_delay_alu instid0(VALU_DEP_1) | instskip(SKIP_3) | instid1(VALU_DEP_1)
	v_add_co_ci_u32_e64 v9, s0, v14, v9, s0
	global_load_b64 v[15:16], v[8:9], off
	s_waitcnt vmcnt(0)
	v_mul_f64 v[15:16], v[15:16], s[4:5]
	v_fma_f64 v[10:11], v[10:11], s[18:19], v[15:16]
	global_store_b64 v[8:9], v[10:11], off
.LBB1036_5:
	s_or_b32 exec_lo, exec_lo, s1
	v_add_nc_u32_e32 v8, 16, v4
	s_delay_alu instid0(VALU_DEP_1) | instskip(NEXT) | instid1(VALU_DEP_1)
	v_cmp_le_i32_e64 s0, v8, v13
	s_and_b32 s1, vcc_lo, s0
	s_delay_alu instid0(SALU_CYCLE_1)
	s_and_saveexec_b32 s0, s1
	s_cbranch_execz .LBB1036_7
; %bb.6:
	v_ashrrev_i32_e32 v9, 31, v8
	s_delay_alu instid0(VALU_DEP_1) | instskip(NEXT) | instid1(VALU_DEP_1)
	v_lshlrev_b64 v[9:10], 3, v[8:9]
	v_add_co_u32 v9, vcc_lo, v12, v9
	s_delay_alu instid0(VALU_DEP_2) | instskip(SKIP_3) | instid1(VALU_DEP_1)
	v_add_co_ci_u32_e32 v10, vcc_lo, v14, v10, vcc_lo
	global_load_b64 v[11:12], v[9:10], off
	s_waitcnt vmcnt(0)
	v_mul_f64 v[11:12], v[11:12], s[4:5]
	v_fma_f64 v[5:6], v[6:7], s[18:19], v[11:12]
	global_store_b64 v[9:10], v[5:6], off
.LBB1036_7:
	s_or_b32 exec_lo, exec_lo, s0
	v_add_nc_u32_e32 v6, 16, v13
	s_delay_alu instid0(VALU_DEP_1) | instskip(SKIP_3) | instid1(VALU_DEP_4)
	v_ashrrev_i32_e32 v5, 31, v6
	v_mul_lo_u32 v7, v6, s9
	v_mad_u64_u32 v[9:10], null, v6, s8, 0
	v_cmp_gt_i32_e32 vcc_lo, s2, v6
	v_mul_lo_u32 v5, v5, s8
	v_cmp_le_i32_e64 s0, v4, v6
	s_delay_alu instid0(VALU_DEP_1) | instskip(NEXT) | instid1(VALU_DEP_2)
	s_and_b32 s0, vcc_lo, s0
	v_add3_u32 v10, v10, v7, v5
	s_delay_alu instid0(VALU_DEP_1) | instskip(NEXT) | instid1(VALU_DEP_1)
	v_lshlrev_b64 v[9:10], 3, v[9:10]
	v_add_co_u32 v7, s1, s3, v9
	s_delay_alu instid0(VALU_DEP_1)
	v_add_co_ci_u32_e64 v10, s1, s6, v10, s1
	s_and_saveexec_b32 s1, s0
	s_cbranch_execz .LBB1036_9
; %bb.8:
	v_ashrrev_i32_e32 v5, 31, v4
	s_delay_alu instid0(VALU_DEP_1) | instskip(NEXT) | instid1(VALU_DEP_1)
	v_lshlrev_b64 v[4:5], 3, v[4:5]
	v_add_co_u32 v4, s0, v7, v4
	s_delay_alu instid0(VALU_DEP_1) | instskip(SKIP_3) | instid1(VALU_DEP_1)
	v_add_co_ci_u32_e64 v5, s0, v10, v5, s0
	global_load_b64 v[11:12], v[4:5], off
	s_waitcnt vmcnt(0)
	v_mul_f64 v[11:12], v[11:12], s[4:5]
	v_fma_f64 v[2:3], v[2:3], s[18:19], v[11:12]
	global_store_b64 v[4:5], v[2:3], off
.LBB1036_9:
	s_or_b32 exec_lo, exec_lo, s1
	v_cmp_le_i32_e64 s0, v8, v6
	s_delay_alu instid0(VALU_DEP_1) | instskip(NEXT) | instid1(SALU_CYCLE_1)
	s_and_b32 s0, vcc_lo, s0
	s_and_saveexec_b32 s1, s0
	s_cbranch_execz .LBB1036_11
; %bb.10:
	v_ashrrev_i32_e32 v9, 31, v8
	s_delay_alu instid0(VALU_DEP_1) | instskip(NEXT) | instid1(VALU_DEP_1)
	v_lshlrev_b64 v[2:3], 3, v[8:9]
	v_add_co_u32 v2, vcc_lo, v7, v2
	s_delay_alu instid0(VALU_DEP_2) | instskip(SKIP_3) | instid1(VALU_DEP_1)
	v_add_co_ci_u32_e32 v3, vcc_lo, v10, v3, vcc_lo
	global_load_b64 v[4:5], v[2:3], off
	s_waitcnt vmcnt(0)
	v_mul_f64 v[4:5], v[4:5], s[4:5]
	v_fma_f64 v[0:1], v[0:1], s[18:19], v[4:5]
	global_store_b64 v[2:3], v[0:1], off
.LBB1036_11:
	s_nop 0
	s_sendmsg sendmsg(MSG_DEALLOC_VGPRS)
	s_endpgm
	.section	.rodata,"a",@progbits
	.p2align	6, 0x0
	.amdhsa_kernel _ZL37rocblas_syrkx_herkx_restricted_kernelIldLi16ELi32ELi8ELb0ELb0ELc84ELc85EKddEviT_T0_PT8_S1_lS4_S1_lS2_PT9_S1_li
		.amdhsa_group_segment_fixed_size 4096
		.amdhsa_private_segment_fixed_size 0
		.amdhsa_kernarg_size 108
		.amdhsa_user_sgpr_count 13
		.amdhsa_user_sgpr_dispatch_ptr 0
		.amdhsa_user_sgpr_queue_ptr 0
		.amdhsa_user_sgpr_kernarg_segment_ptr 1
		.amdhsa_user_sgpr_dispatch_id 0
		.amdhsa_user_sgpr_private_segment_size 0
		.amdhsa_wavefront_size32 1
		.amdhsa_uses_dynamic_stack 0
		.amdhsa_enable_private_segment 0
		.amdhsa_system_sgpr_workgroup_id_x 1
		.amdhsa_system_sgpr_workgroup_id_y 1
		.amdhsa_system_sgpr_workgroup_id_z 1
		.amdhsa_system_sgpr_workgroup_info 0
		.amdhsa_system_vgpr_workitem_id 1
		.amdhsa_next_free_vgpr 38
		.amdhsa_next_free_sgpr 32
		.amdhsa_reserve_vcc 1
		.amdhsa_float_round_mode_32 0
		.amdhsa_float_round_mode_16_64 0
		.amdhsa_float_denorm_mode_32 3
		.amdhsa_float_denorm_mode_16_64 3
		.amdhsa_dx10_clamp 1
		.amdhsa_ieee_mode 1
		.amdhsa_fp16_overflow 0
		.amdhsa_workgroup_processor_mode 1
		.amdhsa_memory_ordered 1
		.amdhsa_forward_progress 0
		.amdhsa_shared_vgpr_count 0
		.amdhsa_exception_fp_ieee_invalid_op 0
		.amdhsa_exception_fp_denorm_src 0
		.amdhsa_exception_fp_ieee_div_zero 0
		.amdhsa_exception_fp_ieee_overflow 0
		.amdhsa_exception_fp_ieee_underflow 0
		.amdhsa_exception_fp_ieee_inexact 0
		.amdhsa_exception_int_div_zero 0
	.end_amdhsa_kernel
	.section	.text._ZL37rocblas_syrkx_herkx_restricted_kernelIldLi16ELi32ELi8ELb0ELb0ELc84ELc85EKddEviT_T0_PT8_S1_lS4_S1_lS2_PT9_S1_li,"axG",@progbits,_ZL37rocblas_syrkx_herkx_restricted_kernelIldLi16ELi32ELi8ELb0ELb0ELc84ELc85EKddEviT_T0_PT8_S1_lS4_S1_lS2_PT9_S1_li,comdat
.Lfunc_end1036:
	.size	_ZL37rocblas_syrkx_herkx_restricted_kernelIldLi16ELi32ELi8ELb0ELb0ELc84ELc85EKddEviT_T0_PT8_S1_lS4_S1_lS2_PT9_S1_li, .Lfunc_end1036-_ZL37rocblas_syrkx_herkx_restricted_kernelIldLi16ELi32ELi8ELb0ELb0ELc84ELc85EKddEviT_T0_PT8_S1_lS4_S1_lS2_PT9_S1_li
                                        ; -- End function
	.section	.AMDGPU.csdata,"",@progbits
; Kernel info:
; codeLenInByte = 1568
; NumSgprs: 34
; NumVgprs: 38
; ScratchSize: 0
; MemoryBound: 0
; FloatMode: 240
; IeeeMode: 1
; LDSByteSize: 4096 bytes/workgroup (compile time only)
; SGPRBlocks: 4
; VGPRBlocks: 4
; NumSGPRsForWavesPerEU: 34
; NumVGPRsForWavesPerEU: 38
; Occupancy: 16
; WaveLimiterHint : 1
; COMPUTE_PGM_RSRC2:SCRATCH_EN: 0
; COMPUTE_PGM_RSRC2:USER_SGPR: 13
; COMPUTE_PGM_RSRC2:TRAP_HANDLER: 0
; COMPUTE_PGM_RSRC2:TGID_X_EN: 1
; COMPUTE_PGM_RSRC2:TGID_Y_EN: 1
; COMPUTE_PGM_RSRC2:TGID_Z_EN: 1
; COMPUTE_PGM_RSRC2:TIDIG_COMP_CNT: 1
	.section	.text._ZL37rocblas_syrkx_herkx_restricted_kernelIldLi16ELi32ELi8ELb0ELb0ELc67ELc85EKddEviT_T0_PT8_S1_lS4_S1_lS2_PT9_S1_li,"axG",@progbits,_ZL37rocblas_syrkx_herkx_restricted_kernelIldLi16ELi32ELi8ELb0ELb0ELc67ELc85EKddEviT_T0_PT8_S1_lS4_S1_lS2_PT9_S1_li,comdat
	.globl	_ZL37rocblas_syrkx_herkx_restricted_kernelIldLi16ELi32ELi8ELb0ELb0ELc67ELc85EKddEviT_T0_PT8_S1_lS4_S1_lS2_PT9_S1_li ; -- Begin function _ZL37rocblas_syrkx_herkx_restricted_kernelIldLi16ELi32ELi8ELb0ELb0ELc67ELc85EKddEviT_T0_PT8_S1_lS4_S1_lS2_PT9_S1_li
	.p2align	8
	.type	_ZL37rocblas_syrkx_herkx_restricted_kernelIldLi16ELi32ELi8ELb0ELb0ELc67ELc85EKddEviT_T0_PT8_S1_lS4_S1_lS2_PT9_S1_li,@function
_ZL37rocblas_syrkx_herkx_restricted_kernelIldLi16ELi32ELi8ELb0ELb0ELc67ELc85EKddEviT_T0_PT8_S1_lS4_S1_lS2_PT9_S1_li: ; @_ZL37rocblas_syrkx_herkx_restricted_kernelIldLi16ELi32ELi8ELb0ELb0ELc67ELc85EKddEviT_T0_PT8_S1_lS4_S1_lS2_PT9_S1_li
; %bb.0:
	s_load_b512 s[16:31], s[0:1], 0x8
	v_mov_b32_e32 v10, 0
	v_dual_mov_b32 v11, 0 :: v_dual_and_b32 v12, 0x3ff, v0
	v_bfe_u32 v13, v0, 10, 10
	s_delay_alu instid0(VALU_DEP_3) | instskip(NEXT) | instid1(VALU_DEP_3)
	v_mov_b32_e32 v6, v10
	v_dual_mov_b32 v2, v10 :: v_dual_mov_b32 v3, v11
	v_dual_mov_b32 v7, v11 :: v_dual_mov_b32 v0, v10
	v_mov_b32_e32 v1, v11
	s_lshl_b32 s12, s13, 5
	s_lshl_b32 s13, s14, 5
	s_waitcnt lgkmcnt(0)
	v_cmp_lt_i64_e64 s2, s[16:17], 1
	s_delay_alu instid0(VALU_DEP_1)
	s_and_b32 vcc_lo, exec_lo, s2
	s_cbranch_vccnz .LBB1037_3
; %bb.1:
	v_lshl_add_u32 v2, v13, 4, v12
	v_dual_mov_b32 v1, 0 :: v_dual_and_b32 v0, 7, v12
	v_lshlrev_b32_e32 v14, 3, v12
	s_mul_i32 s3, s31, s15
	s_delay_alu instid0(VALU_DEP_3)
	v_lshrrev_b32_e32 v6, 3, v2
	v_and_b32_e32 v8, 31, v2
	v_lshrrev_b32_e32 v2, 5, v2
	v_mov_b32_e32 v3, v1
	v_lshlrev_b32_e32 v9, 3, v0
	v_add_nc_u32_e32 v7, s13, v6
	v_add_nc_u32_e32 v11, s12, v8
	s_mul_hi_u32 s4, s30, s15
	s_mul_i32 s2, s30, s15
	v_lshl_or_b32 v6, v6, 6, v9
	v_ashrrev_i32_e32 v10, 31, v7
	v_mul_lo_u32 v15, v7, s29
	v_mad_u64_u32 v[4:5], null, v7, s28, v[0:1]
	v_mad_u64_u32 v[0:1], null, s22, v11, v[2:3]
	s_delay_alu instid0(VALU_DEP_4)
	v_mul_lo_u32 v7, v10, s28
	v_ashrrev_i32_e32 v10, 31, v11
	v_mul_lo_u32 v9, s23, v11
	v_add_nc_u32_e32 v16, 0x800, v6
	s_add_i32 s3, s4, s3
	v_lshl_add_u32 v17, v13, 6, 0x800
	v_mul_lo_u32 v10, s22, v10
	s_lshl_b64 s[2:3], s[2:3], 3
	v_add3_u32 v5, v7, v5, v15
	s_add_u32 s4, s26, s2
	s_addc_u32 s5, s27, s3
	s_mul_i32 s2, s25, s15
	s_mul_hi_u32 s3, s24, s15
	s_delay_alu instid0(VALU_DEP_2) | instskip(SKIP_2) | instid1(SALU_CYCLE_1)
	v_add3_u32 v1, v9, v1, v10
	s_add_i32 s3, s3, s2
	s_mul_i32 s2, s24, s15
	s_lshl_b64 s[2:3], s[2:3], 3
	s_delay_alu instid0(VALU_DEP_1) | instskip(SKIP_4) | instid1(VALU_DEP_1)
	v_lshlrev_b64 v[6:7], 3, v[0:1]
	v_mov_b32_e32 v0, 0
	v_dual_mov_b32 v1, 0 :: v_dual_lshlrev_b32 v8, 3, v8
	s_add_u32 s2, s20, s2
	s_addc_u32 s3, s21, s3
	v_dual_mov_b32 v11, v1 :: v_dual_mov_b32 v10, v0
	s_delay_alu instid0(VALU_DEP_2) | instskip(SKIP_1) | instid1(VALU_DEP_1)
	v_lshl_or_b32 v15, v2, 8, v8
	v_lshlrev_b64 v[2:3], 3, v[4:5]
	v_add_co_u32 v4, vcc_lo, s4, v2
	s_delay_alu instid0(VALU_DEP_2)
	v_add_co_ci_u32_e32 v5, vcc_lo, s5, v3, vcc_lo
	v_add_co_u32 v8, vcc_lo, s2, v6
	v_add_co_ci_u32_e32 v9, vcc_lo, s3, v7, vcc_lo
	v_mov_b32_e32 v3, v1
	v_dual_mov_b32 v7, v1 :: v_dual_mov_b32 v2, v0
	v_mov_b32_e32 v6, v0
	s_mov_b64 s[2:3], 0
.LBB1037_2:                             ; =>This Inner Loop Header: Depth=1
	global_load_b64 v[18:19], v[8:9], off
	global_load_b64 v[20:21], v[4:5], off
	s_add_u32 s2, s2, 8
	v_add_co_u32 v4, vcc_lo, v4, 64
	s_addc_u32 s3, s3, 0
	v_add_co_ci_u32_e32 v5, vcc_lo, 0, v5, vcc_lo
	v_cmp_ge_u64_e64 s4, s[2:3], s[16:17]
	v_add_co_u32 v8, vcc_lo, v8, 64
	v_add_co_ci_u32_e32 v9, vcc_lo, 0, v9, vcc_lo
	s_waitcnt vmcnt(1)
	ds_store_b64 v15, v[18:19]
	s_waitcnt vmcnt(0)
	ds_store_b64 v16, v[20:21]
	s_waitcnt lgkmcnt(0)
	s_barrier
	buffer_gl0_inv
	ds_load_2addr_b64 v[18:21], v14 offset1:16
	ds_load_b128 v[22:25], v17
	ds_load_b128 v[26:29], v17 offset:1024
	ds_load_b128 v[30:33], v17 offset:16
	ds_load_b128 v[34:37], v17 offset:1040
	s_and_b32 vcc_lo, exec_lo, s4
	s_waitcnt lgkmcnt(3)
	v_fma_f64 v[10:11], v[18:19], v[22:23], v[10:11]
	v_fma_f64 v[6:7], v[20:21], v[22:23], v[6:7]
	s_waitcnt lgkmcnt(2)
	v_fma_f64 v[18:19], v[18:19], v[26:27], v[2:3]
	v_fma_f64 v[20:21], v[20:21], v[26:27], v[0:1]
	ds_load_2addr_b64 v[0:3], v14 offset0:32 offset1:48
	s_waitcnt lgkmcnt(0)
	v_fma_f64 v[10:11], v[0:1], v[24:25], v[10:11]
	v_fma_f64 v[6:7], v[2:3], v[24:25], v[6:7]
	v_fma_f64 v[18:19], v[0:1], v[28:29], v[18:19]
	v_fma_f64 v[20:21], v[2:3], v[28:29], v[20:21]
	ds_load_2addr_b64 v[0:3], v14 offset0:64 offset1:80
	s_waitcnt lgkmcnt(0)
	v_fma_f64 v[10:11], v[0:1], v[30:31], v[10:11]
	v_fma_f64 v[6:7], v[2:3], v[30:31], v[6:7]
	;; [unrolled: 6-line block ×3, first 2 shown]
	v_fma_f64 v[34:35], v[0:1], v[36:37], v[18:19]
	v_fma_f64 v[36:37], v[2:3], v[36:37], v[20:21]
	ds_load_2addr_b64 v[0:3], v14 offset0:128 offset1:144
	ds_load_b128 v[18:21], v17 offset:32
	ds_load_b128 v[22:25], v17 offset:1056
	;; [unrolled: 1-line block ×4, first 2 shown]
	s_waitcnt lgkmcnt(3)
	v_fma_f64 v[10:11], v[0:1], v[18:19], v[10:11]
	v_fma_f64 v[6:7], v[2:3], v[18:19], v[6:7]
	s_waitcnt lgkmcnt(2)
	v_fma_f64 v[18:19], v[0:1], v[22:23], v[34:35]
	v_fma_f64 v[22:23], v[2:3], v[22:23], v[36:37]
	ds_load_2addr_b64 v[0:3], v14 offset0:160 offset1:176
	s_waitcnt lgkmcnt(0)
	v_fma_f64 v[10:11], v[0:1], v[20:21], v[10:11]
	v_fma_f64 v[6:7], v[2:3], v[20:21], v[6:7]
	;; [unrolled: 1-line block ×4, first 2 shown]
	ds_load_2addr_b64 v[0:3], v14 offset0:192 offset1:208
	s_waitcnt lgkmcnt(0)
	v_fma_f64 v[10:11], v[0:1], v[26:27], v[10:11]
	v_fma_f64 v[6:7], v[2:3], v[26:27], v[6:7]
	;; [unrolled: 1-line block ×4, first 2 shown]
	ds_load_2addr_b64 v[18:21], v14 offset0:224 offset1:240
	s_waitcnt lgkmcnt(0)
	s_barrier
	buffer_gl0_inv
	v_fma_f64 v[10:11], v[18:19], v[28:29], v[10:11]
	v_fma_f64 v[6:7], v[20:21], v[28:29], v[6:7]
	;; [unrolled: 1-line block ×4, first 2 shown]
	s_cbranch_vccz .LBB1037_2
.LBB1037_3:
	s_load_b256 s[4:11], s[0:1], 0x48
	v_add_nc_u32_e32 v13, s13, v13
	s_load_b32 s2, s[0:1], 0x0
	s_delay_alu instid0(VALU_DEP_1) | instskip(SKIP_1) | instid1(VALU_DEP_1)
	v_ashrrev_i32_e32 v4, 31, v13
	s_waitcnt lgkmcnt(0)
	v_mul_lo_u32 v5, v4, s8
	v_mul_lo_u32 v14, v13, s9
	v_mad_u64_u32 v[8:9], null, v13, s8, 0
	s_mul_i32 s1, s15, s11
	s_mul_hi_u32 s3, s15, s10
	s_mul_i32 s10, s15, s10
	s_add_i32 s11, s3, s1
	v_add_nc_u32_e32 v4, s12, v12
	s_lshl_b64 s[10:11], s[10:11], 3
	s_delay_alu instid0(VALU_DEP_2)
	v_add3_u32 v9, v9, v14, v5
	s_add_u32 s3, s6, s10
	v_cmp_gt_i32_e32 vcc_lo, s2, v13
	v_cmp_le_i32_e64 s0, v4, v13
	s_addc_u32 s6, s7, s11
	v_lshlrev_b64 v[8:9], 3, v[8:9]
	s_delay_alu instid0(VALU_DEP_2) | instskip(NEXT) | instid1(VALU_DEP_1)
	s_and_b32 s0, vcc_lo, s0
	v_add_co_u32 v12, s1, s3, v8
	s_delay_alu instid0(VALU_DEP_1)
	v_add_co_ci_u32_e64 v14, s1, s6, v9, s1
	s_and_saveexec_b32 s1, s0
	s_cbranch_execz .LBB1037_5
; %bb.4:
	v_ashrrev_i32_e32 v5, 31, v4
	s_delay_alu instid0(VALU_DEP_1) | instskip(NEXT) | instid1(VALU_DEP_1)
	v_lshlrev_b64 v[8:9], 3, v[4:5]
	v_add_co_u32 v8, s0, v12, v8
	s_delay_alu instid0(VALU_DEP_1) | instskip(SKIP_3) | instid1(VALU_DEP_1)
	v_add_co_ci_u32_e64 v9, s0, v14, v9, s0
	global_load_b64 v[15:16], v[8:9], off
	s_waitcnt vmcnt(0)
	v_mul_f64 v[15:16], v[15:16], s[4:5]
	v_fma_f64 v[10:11], v[10:11], s[18:19], v[15:16]
	global_store_b64 v[8:9], v[10:11], off
.LBB1037_5:
	s_or_b32 exec_lo, exec_lo, s1
	v_add_nc_u32_e32 v8, 16, v4
	s_delay_alu instid0(VALU_DEP_1) | instskip(NEXT) | instid1(VALU_DEP_1)
	v_cmp_le_i32_e64 s0, v8, v13
	s_and_b32 s1, vcc_lo, s0
	s_delay_alu instid0(SALU_CYCLE_1)
	s_and_saveexec_b32 s0, s1
	s_cbranch_execz .LBB1037_7
; %bb.6:
	v_ashrrev_i32_e32 v9, 31, v8
	s_delay_alu instid0(VALU_DEP_1) | instskip(NEXT) | instid1(VALU_DEP_1)
	v_lshlrev_b64 v[9:10], 3, v[8:9]
	v_add_co_u32 v9, vcc_lo, v12, v9
	s_delay_alu instid0(VALU_DEP_2) | instskip(SKIP_3) | instid1(VALU_DEP_1)
	v_add_co_ci_u32_e32 v10, vcc_lo, v14, v10, vcc_lo
	global_load_b64 v[11:12], v[9:10], off
	s_waitcnt vmcnt(0)
	v_mul_f64 v[11:12], v[11:12], s[4:5]
	v_fma_f64 v[5:6], v[6:7], s[18:19], v[11:12]
	global_store_b64 v[9:10], v[5:6], off
.LBB1037_7:
	s_or_b32 exec_lo, exec_lo, s0
	v_add_nc_u32_e32 v6, 16, v13
	s_delay_alu instid0(VALU_DEP_1) | instskip(SKIP_3) | instid1(VALU_DEP_4)
	v_ashrrev_i32_e32 v5, 31, v6
	v_mul_lo_u32 v7, v6, s9
	v_mad_u64_u32 v[9:10], null, v6, s8, 0
	v_cmp_gt_i32_e32 vcc_lo, s2, v6
	v_mul_lo_u32 v5, v5, s8
	v_cmp_le_i32_e64 s0, v4, v6
	s_delay_alu instid0(VALU_DEP_1) | instskip(NEXT) | instid1(VALU_DEP_2)
	s_and_b32 s0, vcc_lo, s0
	v_add3_u32 v10, v10, v7, v5
	s_delay_alu instid0(VALU_DEP_1) | instskip(NEXT) | instid1(VALU_DEP_1)
	v_lshlrev_b64 v[9:10], 3, v[9:10]
	v_add_co_u32 v7, s1, s3, v9
	s_delay_alu instid0(VALU_DEP_1)
	v_add_co_ci_u32_e64 v10, s1, s6, v10, s1
	s_and_saveexec_b32 s1, s0
	s_cbranch_execz .LBB1037_9
; %bb.8:
	v_ashrrev_i32_e32 v5, 31, v4
	s_delay_alu instid0(VALU_DEP_1) | instskip(NEXT) | instid1(VALU_DEP_1)
	v_lshlrev_b64 v[4:5], 3, v[4:5]
	v_add_co_u32 v4, s0, v7, v4
	s_delay_alu instid0(VALU_DEP_1) | instskip(SKIP_3) | instid1(VALU_DEP_1)
	v_add_co_ci_u32_e64 v5, s0, v10, v5, s0
	global_load_b64 v[11:12], v[4:5], off
	s_waitcnt vmcnt(0)
	v_mul_f64 v[11:12], v[11:12], s[4:5]
	v_fma_f64 v[2:3], v[2:3], s[18:19], v[11:12]
	global_store_b64 v[4:5], v[2:3], off
.LBB1037_9:
	s_or_b32 exec_lo, exec_lo, s1
	v_cmp_le_i32_e64 s0, v8, v6
	s_delay_alu instid0(VALU_DEP_1) | instskip(NEXT) | instid1(SALU_CYCLE_1)
	s_and_b32 s0, vcc_lo, s0
	s_and_saveexec_b32 s1, s0
	s_cbranch_execz .LBB1037_11
; %bb.10:
	v_ashrrev_i32_e32 v9, 31, v8
	s_delay_alu instid0(VALU_DEP_1) | instskip(NEXT) | instid1(VALU_DEP_1)
	v_lshlrev_b64 v[2:3], 3, v[8:9]
	v_add_co_u32 v2, vcc_lo, v7, v2
	s_delay_alu instid0(VALU_DEP_2) | instskip(SKIP_3) | instid1(VALU_DEP_1)
	v_add_co_ci_u32_e32 v3, vcc_lo, v10, v3, vcc_lo
	global_load_b64 v[4:5], v[2:3], off
	s_waitcnt vmcnt(0)
	v_mul_f64 v[4:5], v[4:5], s[4:5]
	v_fma_f64 v[0:1], v[0:1], s[18:19], v[4:5]
	global_store_b64 v[2:3], v[0:1], off
.LBB1037_11:
	s_nop 0
	s_sendmsg sendmsg(MSG_DEALLOC_VGPRS)
	s_endpgm
	.section	.rodata,"a",@progbits
	.p2align	6, 0x0
	.amdhsa_kernel _ZL37rocblas_syrkx_herkx_restricted_kernelIldLi16ELi32ELi8ELb0ELb0ELc67ELc85EKddEviT_T0_PT8_S1_lS4_S1_lS2_PT9_S1_li
		.amdhsa_group_segment_fixed_size 4096
		.amdhsa_private_segment_fixed_size 0
		.amdhsa_kernarg_size 108
		.amdhsa_user_sgpr_count 13
		.amdhsa_user_sgpr_dispatch_ptr 0
		.amdhsa_user_sgpr_queue_ptr 0
		.amdhsa_user_sgpr_kernarg_segment_ptr 1
		.amdhsa_user_sgpr_dispatch_id 0
		.amdhsa_user_sgpr_private_segment_size 0
		.amdhsa_wavefront_size32 1
		.amdhsa_uses_dynamic_stack 0
		.amdhsa_enable_private_segment 0
		.amdhsa_system_sgpr_workgroup_id_x 1
		.amdhsa_system_sgpr_workgroup_id_y 1
		.amdhsa_system_sgpr_workgroup_id_z 1
		.amdhsa_system_sgpr_workgroup_info 0
		.amdhsa_system_vgpr_workitem_id 1
		.amdhsa_next_free_vgpr 38
		.amdhsa_next_free_sgpr 32
		.amdhsa_reserve_vcc 1
		.amdhsa_float_round_mode_32 0
		.amdhsa_float_round_mode_16_64 0
		.amdhsa_float_denorm_mode_32 3
		.amdhsa_float_denorm_mode_16_64 3
		.amdhsa_dx10_clamp 1
		.amdhsa_ieee_mode 1
		.amdhsa_fp16_overflow 0
		.amdhsa_workgroup_processor_mode 1
		.amdhsa_memory_ordered 1
		.amdhsa_forward_progress 0
		.amdhsa_shared_vgpr_count 0
		.amdhsa_exception_fp_ieee_invalid_op 0
		.amdhsa_exception_fp_denorm_src 0
		.amdhsa_exception_fp_ieee_div_zero 0
		.amdhsa_exception_fp_ieee_overflow 0
		.amdhsa_exception_fp_ieee_underflow 0
		.amdhsa_exception_fp_ieee_inexact 0
		.amdhsa_exception_int_div_zero 0
	.end_amdhsa_kernel
	.section	.text._ZL37rocblas_syrkx_herkx_restricted_kernelIldLi16ELi32ELi8ELb0ELb0ELc67ELc85EKddEviT_T0_PT8_S1_lS4_S1_lS2_PT9_S1_li,"axG",@progbits,_ZL37rocblas_syrkx_herkx_restricted_kernelIldLi16ELi32ELi8ELb0ELb0ELc67ELc85EKddEviT_T0_PT8_S1_lS4_S1_lS2_PT9_S1_li,comdat
.Lfunc_end1037:
	.size	_ZL37rocblas_syrkx_herkx_restricted_kernelIldLi16ELi32ELi8ELb0ELb0ELc67ELc85EKddEviT_T0_PT8_S1_lS4_S1_lS2_PT9_S1_li, .Lfunc_end1037-_ZL37rocblas_syrkx_herkx_restricted_kernelIldLi16ELi32ELi8ELb0ELb0ELc67ELc85EKddEviT_T0_PT8_S1_lS4_S1_lS2_PT9_S1_li
                                        ; -- End function
	.section	.AMDGPU.csdata,"",@progbits
; Kernel info:
; codeLenInByte = 1568
; NumSgprs: 34
; NumVgprs: 38
; ScratchSize: 0
; MemoryBound: 0
; FloatMode: 240
; IeeeMode: 1
; LDSByteSize: 4096 bytes/workgroup (compile time only)
; SGPRBlocks: 4
; VGPRBlocks: 4
; NumSGPRsForWavesPerEU: 34
; NumVGPRsForWavesPerEU: 38
; Occupancy: 16
; WaveLimiterHint : 1
; COMPUTE_PGM_RSRC2:SCRATCH_EN: 0
; COMPUTE_PGM_RSRC2:USER_SGPR: 13
; COMPUTE_PGM_RSRC2:TRAP_HANDLER: 0
; COMPUTE_PGM_RSRC2:TGID_X_EN: 1
; COMPUTE_PGM_RSRC2:TGID_Y_EN: 1
; COMPUTE_PGM_RSRC2:TGID_Z_EN: 1
; COMPUTE_PGM_RSRC2:TIDIG_COMP_CNT: 1
	.section	.text._ZL37rocblas_syrkx_herkx_restricted_kernelIldLi16ELi32ELi8ELb0ELb0ELc78ELc85EKddEviT_T0_PT8_S1_lS4_S1_lS2_PT9_S1_li,"axG",@progbits,_ZL37rocblas_syrkx_herkx_restricted_kernelIldLi16ELi32ELi8ELb0ELb0ELc78ELc85EKddEviT_T0_PT8_S1_lS4_S1_lS2_PT9_S1_li,comdat
	.globl	_ZL37rocblas_syrkx_herkx_restricted_kernelIldLi16ELi32ELi8ELb0ELb0ELc78ELc85EKddEviT_T0_PT8_S1_lS4_S1_lS2_PT9_S1_li ; -- Begin function _ZL37rocblas_syrkx_herkx_restricted_kernelIldLi16ELi32ELi8ELb0ELb0ELc78ELc85EKddEviT_T0_PT8_S1_lS4_S1_lS2_PT9_S1_li
	.p2align	8
	.type	_ZL37rocblas_syrkx_herkx_restricted_kernelIldLi16ELi32ELi8ELb0ELb0ELc78ELc85EKddEviT_T0_PT8_S1_lS4_S1_lS2_PT9_S1_li,@function
_ZL37rocblas_syrkx_herkx_restricted_kernelIldLi16ELi32ELi8ELb0ELb0ELc78ELc85EKddEviT_T0_PT8_S1_lS4_S1_lS2_PT9_S1_li: ; @_ZL37rocblas_syrkx_herkx_restricted_kernelIldLi16ELi32ELi8ELb0ELb0ELc78ELc85EKddEviT_T0_PT8_S1_lS4_S1_lS2_PT9_S1_li
; %bb.0:
	s_load_b512 s[16:31], s[0:1], 0x8
	v_mov_b32_e32 v10, 0
	v_dual_mov_b32 v11, 0 :: v_dual_and_b32 v12, 0x3ff, v0
	v_bfe_u32 v13, v0, 10, 10
	s_delay_alu instid0(VALU_DEP_3) | instskip(NEXT) | instid1(VALU_DEP_3)
	v_mov_b32_e32 v4, v10
	v_dual_mov_b32 v2, v10 :: v_dual_mov_b32 v3, v11
	v_dual_mov_b32 v5, v11 :: v_dual_mov_b32 v0, v10
	v_mov_b32_e32 v1, v11
	s_lshl_b32 s12, s13, 5
	s_lshl_b32 s13, s14, 5
	s_waitcnt lgkmcnt(0)
	v_cmp_lt_i64_e64 s2, s[16:17], 1
	s_delay_alu instid0(VALU_DEP_1)
	s_and_b32 vcc_lo, exec_lo, s2
	s_cbranch_vccnz .LBB1038_3
; %bb.1:
	v_lshl_add_u32 v3, v13, 4, v12
	v_and_b32_e32 v9, 7, v12
	v_lshlrev_b32_e32 v14, 3, v12
	s_mul_i32 s3, s31, s15
	s_mul_hi_u32 s5, s30, s15
	v_lshrrev_b32_e32 v10, 3, v3
	v_lshrrev_b32_e32 v16, 5, v3
	s_mul_i32 s2, s30, s15
	s_add_i32 s3, s5, s3
	s_mul_i32 s6, s25, s15
	v_add_nc_u32_e32 v0, s13, v10
	s_lshl_b64 s[2:3], s[2:3], 3
	s_mul_hi_u32 s7, s24, s15
	s_add_u32 s8, s26, s2
	s_mul_i32 s4, s24, s15
	v_ashrrev_i32_e32 v1, 31, v0
	s_addc_u32 s9, s27, s3
	s_add_i32 s5, s7, s6
	s_lshl_b64 s[2:3], s[28:29], 6
	s_lshl_b64 s[4:5], s[4:5], 3
	v_mad_u64_u32 v[4:5], null, v9, s28, v[0:1]
	v_dual_mov_b32 v0, 0 :: v_dual_and_b32 v11, 31, v3
	v_mov_b32_e32 v1, 0
	v_lshlrev_b32_e32 v17, 3, v9
	s_add_u32 s4, s20, s4
	s_delay_alu instid0(VALU_DEP_3) | instskip(SKIP_3) | instid1(VALU_DEP_2)
	v_add_nc_u32_e32 v2, s12, v11
	s_addc_u32 s5, s21, s5
	v_lshl_add_u32 v15, v13, 6, 0x800
	s_mov_b64 s[6:7], 0
	v_ashrrev_i32_e32 v3, 31, v2
	s_delay_alu instid0(VALU_DEP_1) | instskip(NEXT) | instid1(VALU_DEP_1)
	v_mad_u64_u32 v[6:7], null, v16, s22, v[2:3]
	v_dual_mov_b32 v2, v5 :: v_dual_mov_b32 v3, v7
	s_delay_alu instid0(VALU_DEP_1) | instskip(SKIP_2) | instid1(VALU_DEP_3)
	v_mad_u64_u32 v[7:8], null, v9, s29, v[2:3]
	v_mad_u64_u32 v[8:9], null, v16, s23, v[3:4]
	v_lshlrev_b32_e32 v9, 3, v11
	v_mov_b32_e32 v5, v7
	s_delay_alu instid0(VALU_DEP_2) | instskip(NEXT) | instid1(VALU_DEP_4)
	v_lshl_or_b32 v16, v16, 8, v9
	v_mov_b32_e32 v7, v8
	s_delay_alu instid0(VALU_DEP_3) | instskip(NEXT) | instid1(VALU_DEP_2)
	v_lshlrev_b64 v[2:3], 3, v[4:5]
	v_lshlrev_b64 v[4:5], 3, v[6:7]
	s_delay_alu instid0(VALU_DEP_2) | instskip(NEXT) | instid1(VALU_DEP_3)
	v_add_co_u32 v6, vcc_lo, s8, v2
	v_add_co_ci_u32_e32 v7, vcc_lo, s9, v3, vcc_lo
	v_dual_mov_b32 v3, v1 :: v_dual_mov_b32 v2, v0
	v_lshl_or_b32 v10, v10, 6, v17
	v_add_co_u32 v8, vcc_lo, s4, v4
	v_add_co_ci_u32_e32 v9, vcc_lo, s5, v5, vcc_lo
	s_delay_alu instid0(VALU_DEP_3)
	v_add_nc_u32_e32 v17, 0x800, v10
	v_mov_b32_e32 v5, v1
	v_dual_mov_b32 v11, v1 :: v_dual_mov_b32 v10, v0
	v_mov_b32_e32 v4, v0
	s_lshl_b64 s[4:5], s[22:23], 6
.LBB1038_2:                             ; =>This Inner Loop Header: Depth=1
	global_load_b64 v[18:19], v[8:9], off
	global_load_b64 v[20:21], v[6:7], off
	s_add_u32 s6, s6, 8
	v_add_co_u32 v6, vcc_lo, v6, s2
	s_addc_u32 s7, s7, 0
	v_add_co_ci_u32_e32 v7, vcc_lo, s3, v7, vcc_lo
	v_cmp_ge_u64_e64 s8, s[6:7], s[16:17]
	v_add_co_u32 v8, vcc_lo, v8, s4
	v_add_co_ci_u32_e32 v9, vcc_lo, s5, v9, vcc_lo
	s_waitcnt vmcnt(1)
	ds_store_b64 v16, v[18:19]
	s_waitcnt vmcnt(0)
	ds_store_b64 v17, v[20:21]
	s_waitcnt lgkmcnt(0)
	s_barrier
	buffer_gl0_inv
	ds_load_2addr_b64 v[18:21], v14 offset1:16
	ds_load_b128 v[22:25], v15
	ds_load_b128 v[26:29], v15 offset:1024
	ds_load_b128 v[30:33], v15 offset:16
	;; [unrolled: 1-line block ×3, first 2 shown]
	s_and_b32 vcc_lo, exec_lo, s8
	s_waitcnt lgkmcnt(3)
	v_fma_f64 v[10:11], v[18:19], v[22:23], v[10:11]
	v_fma_f64 v[4:5], v[20:21], v[22:23], v[4:5]
	s_waitcnt lgkmcnt(2)
	v_fma_f64 v[18:19], v[18:19], v[26:27], v[2:3]
	v_fma_f64 v[20:21], v[20:21], v[26:27], v[0:1]
	ds_load_2addr_b64 v[0:3], v14 offset0:32 offset1:48
	s_waitcnt lgkmcnt(0)
	v_fma_f64 v[10:11], v[0:1], v[24:25], v[10:11]
	v_fma_f64 v[4:5], v[2:3], v[24:25], v[4:5]
	v_fma_f64 v[18:19], v[0:1], v[28:29], v[18:19]
	v_fma_f64 v[20:21], v[2:3], v[28:29], v[20:21]
	ds_load_2addr_b64 v[0:3], v14 offset0:64 offset1:80
	s_waitcnt lgkmcnt(0)
	v_fma_f64 v[10:11], v[0:1], v[30:31], v[10:11]
	v_fma_f64 v[4:5], v[2:3], v[30:31], v[4:5]
	;; [unrolled: 6-line block ×3, first 2 shown]
	v_fma_f64 v[34:35], v[0:1], v[36:37], v[18:19]
	v_fma_f64 v[36:37], v[2:3], v[36:37], v[20:21]
	ds_load_2addr_b64 v[0:3], v14 offset0:128 offset1:144
	ds_load_b128 v[18:21], v15 offset:32
	ds_load_b128 v[22:25], v15 offset:1056
	;; [unrolled: 1-line block ×4, first 2 shown]
	s_waitcnt lgkmcnt(3)
	v_fma_f64 v[10:11], v[0:1], v[18:19], v[10:11]
	v_fma_f64 v[4:5], v[2:3], v[18:19], v[4:5]
	s_waitcnt lgkmcnt(2)
	v_fma_f64 v[18:19], v[0:1], v[22:23], v[34:35]
	v_fma_f64 v[22:23], v[2:3], v[22:23], v[36:37]
	ds_load_2addr_b64 v[0:3], v14 offset0:160 offset1:176
	s_waitcnt lgkmcnt(0)
	v_fma_f64 v[10:11], v[0:1], v[20:21], v[10:11]
	v_fma_f64 v[4:5], v[2:3], v[20:21], v[4:5]
	;; [unrolled: 1-line block ×4, first 2 shown]
	ds_load_2addr_b64 v[0:3], v14 offset0:192 offset1:208
	s_waitcnt lgkmcnt(0)
	v_fma_f64 v[10:11], v[0:1], v[26:27], v[10:11]
	v_fma_f64 v[4:5], v[2:3], v[26:27], v[4:5]
	;; [unrolled: 1-line block ×4, first 2 shown]
	ds_load_2addr_b64 v[18:21], v14 offset0:224 offset1:240
	s_waitcnt lgkmcnt(0)
	s_barrier
	buffer_gl0_inv
	v_fma_f64 v[10:11], v[18:19], v[28:29], v[10:11]
	v_fma_f64 v[4:5], v[20:21], v[28:29], v[4:5]
	;; [unrolled: 1-line block ×4, first 2 shown]
	s_cbranch_vccz .LBB1038_2
.LBB1038_3:
	s_load_b256 s[4:11], s[0:1], 0x48
	v_add_nc_u32_e32 v13, s13, v13
	s_load_b32 s2, s[0:1], 0x0
	s_delay_alu instid0(VALU_DEP_1) | instskip(SKIP_1) | instid1(VALU_DEP_1)
	v_ashrrev_i32_e32 v6, 31, v13
	s_waitcnt lgkmcnt(0)
	v_mul_lo_u32 v9, v6, s8
	v_mul_lo_u32 v14, v13, s9
	v_mad_u64_u32 v[7:8], null, v13, s8, 0
	s_mul_i32 s1, s15, s11
	s_mul_hi_u32 s3, s15, s10
	s_mul_i32 s10, s15, s10
	s_add_i32 s11, s3, s1
	v_add_nc_u32_e32 v6, s12, v12
	s_lshl_b64 s[10:11], s[10:11], 3
	s_delay_alu instid0(VALU_DEP_2)
	v_add3_u32 v8, v8, v14, v9
	s_add_u32 s3, s6, s10
	v_cmp_gt_i32_e32 vcc_lo, s2, v13
	v_cmp_le_i32_e64 s0, v6, v13
	s_addc_u32 s6, s7, s11
	v_lshlrev_b64 v[7:8], 3, v[7:8]
	s_delay_alu instid0(VALU_DEP_2) | instskip(NEXT) | instid1(VALU_DEP_1)
	s_and_b32 s0, vcc_lo, s0
	v_add_co_u32 v12, s1, s3, v7
	s_delay_alu instid0(VALU_DEP_1)
	v_add_co_ci_u32_e64 v14, s1, s6, v8, s1
	s_and_saveexec_b32 s1, s0
	s_cbranch_execz .LBB1038_5
; %bb.4:
	v_ashrrev_i32_e32 v7, 31, v6
	s_delay_alu instid0(VALU_DEP_1) | instskip(NEXT) | instid1(VALU_DEP_1)
	v_lshlrev_b64 v[7:8], 3, v[6:7]
	v_add_co_u32 v7, s0, v12, v7
	s_delay_alu instid0(VALU_DEP_1) | instskip(SKIP_3) | instid1(VALU_DEP_1)
	v_add_co_ci_u32_e64 v8, s0, v14, v8, s0
	global_load_b64 v[15:16], v[7:8], off
	s_waitcnt vmcnt(0)
	v_mul_f64 v[15:16], v[15:16], s[4:5]
	v_fma_f64 v[9:10], v[10:11], s[18:19], v[15:16]
	global_store_b64 v[7:8], v[9:10], off
.LBB1038_5:
	s_or_b32 exec_lo, exec_lo, s1
	v_add_nc_u32_e32 v8, 16, v6
	s_delay_alu instid0(VALU_DEP_1) | instskip(NEXT) | instid1(VALU_DEP_1)
	v_cmp_le_i32_e64 s0, v8, v13
	s_and_b32 s1, vcc_lo, s0
	s_delay_alu instid0(SALU_CYCLE_1)
	s_and_saveexec_b32 s0, s1
	s_cbranch_execz .LBB1038_7
; %bb.6:
	v_ashrrev_i32_e32 v9, 31, v8
	s_delay_alu instid0(VALU_DEP_1) | instskip(NEXT) | instid1(VALU_DEP_1)
	v_lshlrev_b64 v[9:10], 3, v[8:9]
	v_add_co_u32 v9, vcc_lo, v12, v9
	s_delay_alu instid0(VALU_DEP_2) | instskip(SKIP_3) | instid1(VALU_DEP_1)
	v_add_co_ci_u32_e32 v10, vcc_lo, v14, v10, vcc_lo
	global_load_b64 v[11:12], v[9:10], off
	s_waitcnt vmcnt(0)
	v_mul_f64 v[11:12], v[11:12], s[4:5]
	v_fma_f64 v[4:5], v[4:5], s[18:19], v[11:12]
	global_store_b64 v[9:10], v[4:5], off
.LBB1038_7:
	s_or_b32 exec_lo, exec_lo, s0
	v_add_nc_u32_e32 v4, 16, v13
	s_delay_alu instid0(VALU_DEP_1) | instskip(SKIP_3) | instid1(VALU_DEP_4)
	v_ashrrev_i32_e32 v5, 31, v4
	v_mul_lo_u32 v7, v4, s9
	v_mad_u64_u32 v[9:10], null, v4, s8, 0
	v_cmp_gt_i32_e32 vcc_lo, s2, v4
	v_mul_lo_u32 v5, v5, s8
	v_cmp_le_i32_e64 s0, v6, v4
	s_delay_alu instid0(VALU_DEP_1) | instskip(NEXT) | instid1(VALU_DEP_2)
	s_and_b32 s0, vcc_lo, s0
	v_add3_u32 v10, v10, v7, v5
	s_delay_alu instid0(VALU_DEP_1) | instskip(NEXT) | instid1(VALU_DEP_1)
	v_lshlrev_b64 v[9:10], 3, v[9:10]
	v_add_co_u32 v5, s1, s3, v9
	s_delay_alu instid0(VALU_DEP_1)
	v_add_co_ci_u32_e64 v10, s1, s6, v10, s1
	s_and_saveexec_b32 s1, s0
	s_cbranch_execz .LBB1038_9
; %bb.8:
	v_ashrrev_i32_e32 v7, 31, v6
	s_delay_alu instid0(VALU_DEP_1) | instskip(NEXT) | instid1(VALU_DEP_1)
	v_lshlrev_b64 v[6:7], 3, v[6:7]
	v_add_co_u32 v6, s0, v5, v6
	s_delay_alu instid0(VALU_DEP_1) | instskip(SKIP_3) | instid1(VALU_DEP_1)
	v_add_co_ci_u32_e64 v7, s0, v10, v7, s0
	global_load_b64 v[11:12], v[6:7], off
	s_waitcnt vmcnt(0)
	v_mul_f64 v[11:12], v[11:12], s[4:5]
	v_fma_f64 v[2:3], v[2:3], s[18:19], v[11:12]
	global_store_b64 v[6:7], v[2:3], off
.LBB1038_9:
	s_or_b32 exec_lo, exec_lo, s1
	v_cmp_le_i32_e64 s0, v8, v4
	s_delay_alu instid0(VALU_DEP_1) | instskip(NEXT) | instid1(SALU_CYCLE_1)
	s_and_b32 s0, vcc_lo, s0
	s_and_saveexec_b32 s1, s0
	s_cbranch_execz .LBB1038_11
; %bb.10:
	v_ashrrev_i32_e32 v9, 31, v8
	s_delay_alu instid0(VALU_DEP_1) | instskip(NEXT) | instid1(VALU_DEP_1)
	v_lshlrev_b64 v[2:3], 3, v[8:9]
	v_add_co_u32 v2, vcc_lo, v5, v2
	s_delay_alu instid0(VALU_DEP_2) | instskip(SKIP_3) | instid1(VALU_DEP_1)
	v_add_co_ci_u32_e32 v3, vcc_lo, v10, v3, vcc_lo
	global_load_b64 v[4:5], v[2:3], off
	s_waitcnt vmcnt(0)
	v_mul_f64 v[4:5], v[4:5], s[4:5]
	v_fma_f64 v[0:1], v[0:1], s[18:19], v[4:5]
	global_store_b64 v[2:3], v[0:1], off
.LBB1038_11:
	s_nop 0
	s_sendmsg sendmsg(MSG_DEALLOC_VGPRS)
	s_endpgm
	.section	.rodata,"a",@progbits
	.p2align	6, 0x0
	.amdhsa_kernel _ZL37rocblas_syrkx_herkx_restricted_kernelIldLi16ELi32ELi8ELb0ELb0ELc78ELc85EKddEviT_T0_PT8_S1_lS4_S1_lS2_PT9_S1_li
		.amdhsa_group_segment_fixed_size 4096
		.amdhsa_private_segment_fixed_size 0
		.amdhsa_kernarg_size 108
		.amdhsa_user_sgpr_count 13
		.amdhsa_user_sgpr_dispatch_ptr 0
		.amdhsa_user_sgpr_queue_ptr 0
		.amdhsa_user_sgpr_kernarg_segment_ptr 1
		.amdhsa_user_sgpr_dispatch_id 0
		.amdhsa_user_sgpr_private_segment_size 0
		.amdhsa_wavefront_size32 1
		.amdhsa_uses_dynamic_stack 0
		.amdhsa_enable_private_segment 0
		.amdhsa_system_sgpr_workgroup_id_x 1
		.amdhsa_system_sgpr_workgroup_id_y 1
		.amdhsa_system_sgpr_workgroup_id_z 1
		.amdhsa_system_sgpr_workgroup_info 0
		.amdhsa_system_vgpr_workitem_id 1
		.amdhsa_next_free_vgpr 38
		.amdhsa_next_free_sgpr 32
		.amdhsa_reserve_vcc 1
		.amdhsa_float_round_mode_32 0
		.amdhsa_float_round_mode_16_64 0
		.amdhsa_float_denorm_mode_32 3
		.amdhsa_float_denorm_mode_16_64 3
		.amdhsa_dx10_clamp 1
		.amdhsa_ieee_mode 1
		.amdhsa_fp16_overflow 0
		.amdhsa_workgroup_processor_mode 1
		.amdhsa_memory_ordered 1
		.amdhsa_forward_progress 0
		.amdhsa_shared_vgpr_count 0
		.amdhsa_exception_fp_ieee_invalid_op 0
		.amdhsa_exception_fp_denorm_src 0
		.amdhsa_exception_fp_ieee_div_zero 0
		.amdhsa_exception_fp_ieee_overflow 0
		.amdhsa_exception_fp_ieee_underflow 0
		.amdhsa_exception_fp_ieee_inexact 0
		.amdhsa_exception_int_div_zero 0
	.end_amdhsa_kernel
	.section	.text._ZL37rocblas_syrkx_herkx_restricted_kernelIldLi16ELi32ELi8ELb0ELb0ELc78ELc85EKddEviT_T0_PT8_S1_lS4_S1_lS2_PT9_S1_li,"axG",@progbits,_ZL37rocblas_syrkx_herkx_restricted_kernelIldLi16ELi32ELi8ELb0ELb0ELc78ELc85EKddEviT_T0_PT8_S1_lS4_S1_lS2_PT9_S1_li,comdat
.Lfunc_end1038:
	.size	_ZL37rocblas_syrkx_herkx_restricted_kernelIldLi16ELi32ELi8ELb0ELb0ELc78ELc85EKddEviT_T0_PT8_S1_lS4_S1_lS2_PT9_S1_li, .Lfunc_end1038-_ZL37rocblas_syrkx_herkx_restricted_kernelIldLi16ELi32ELi8ELb0ELb0ELc78ELc85EKddEviT_T0_PT8_S1_lS4_S1_lS2_PT9_S1_li
                                        ; -- End function
	.section	.AMDGPU.csdata,"",@progbits
; Kernel info:
; codeLenInByte = 1556
; NumSgprs: 34
; NumVgprs: 38
; ScratchSize: 0
; MemoryBound: 0
; FloatMode: 240
; IeeeMode: 1
; LDSByteSize: 4096 bytes/workgroup (compile time only)
; SGPRBlocks: 4
; VGPRBlocks: 4
; NumSGPRsForWavesPerEU: 34
; NumVGPRsForWavesPerEU: 38
; Occupancy: 16
; WaveLimiterHint : 1
; COMPUTE_PGM_RSRC2:SCRATCH_EN: 0
; COMPUTE_PGM_RSRC2:USER_SGPR: 13
; COMPUTE_PGM_RSRC2:TRAP_HANDLER: 0
; COMPUTE_PGM_RSRC2:TGID_X_EN: 1
; COMPUTE_PGM_RSRC2:TGID_Y_EN: 1
; COMPUTE_PGM_RSRC2:TGID_Z_EN: 1
; COMPUTE_PGM_RSRC2:TIDIG_COMP_CNT: 1
	.section	.text._ZL41rocblas_syrkx_herkx_small_restrict_kernelIldLi16ELb1ELb0ELc84ELc76EKddEviT_T0_PT6_S1_lS4_S1_lS2_PT7_S1_li,"axG",@progbits,_ZL41rocblas_syrkx_herkx_small_restrict_kernelIldLi16ELb1ELb0ELc84ELc76EKddEviT_T0_PT6_S1_lS4_S1_lS2_PT7_S1_li,comdat
	.globl	_ZL41rocblas_syrkx_herkx_small_restrict_kernelIldLi16ELb1ELb0ELc84ELc76EKddEviT_T0_PT6_S1_lS4_S1_lS2_PT7_S1_li ; -- Begin function _ZL41rocblas_syrkx_herkx_small_restrict_kernelIldLi16ELb1ELb0ELc84ELc76EKddEviT_T0_PT6_S1_lS4_S1_lS2_PT7_S1_li
	.p2align	8
	.type	_ZL41rocblas_syrkx_herkx_small_restrict_kernelIldLi16ELb1ELb0ELc84ELc76EKddEviT_T0_PT6_S1_lS4_S1_lS2_PT7_S1_li,@function
_ZL41rocblas_syrkx_herkx_small_restrict_kernelIldLi16ELb1ELb0ELc84ELc76EKddEviT_T0_PT6_S1_lS4_S1_lS2_PT7_S1_li: ; @_ZL41rocblas_syrkx_herkx_small_restrict_kernelIldLi16ELb1ELb0ELc84ELc76EKddEviT_T0_PT6_S1_lS4_S1_lS2_PT7_S1_li
; %bb.0:
	s_load_b512 s[16:31], s[0:1], 0x8
	v_and_b32_e32 v3, 0x3ff, v0
	v_bfe_u32 v2, v0, 10, 10
	s_delay_alu instid0(VALU_DEP_2) | instskip(NEXT) | instid1(VALU_DEP_2)
	v_lshl_add_u32 v0, s13, 4, v3
	v_lshl_add_u32 v8, s14, 4, v2
	s_delay_alu instid0(VALU_DEP_2) | instskip(NEXT) | instid1(VALU_DEP_2)
	v_ashrrev_i32_e32 v1, 31, v0
	v_ashrrev_i32_e32 v9, 31, v8
	s_waitcnt lgkmcnt(0)
	v_cmp_lt_i64_e64 s2, s[16:17], 1
	s_delay_alu instid0(VALU_DEP_1)
	s_and_b32 vcc_lo, exec_lo, s2
	s_cbranch_vccnz .LBB1039_6
; %bb.1:
	v_mul_lo_u32 v7, s29, v8
	v_mul_lo_u32 v13, s28, v9
	v_mad_u64_u32 v[4:5], null, s28, v8, 0
	v_lshlrev_b32_e32 v6, 7, v2
	v_lshlrev_b32_e32 v10, 3, v3
	v_mul_lo_u32 v14, s23, v0
	v_mul_lo_u32 v15, s22, v1
	s_mul_i32 s2, s31, s15
	v_add_nc_u32_e32 v12, 0x800, v6
	v_add_nc_u32_e32 v11, v10, v6
	v_add3_u32 v5, v5, v13, v7
	v_mad_u64_u32 v[6:7], null, s22, v0, 0
	s_mul_hi_u32 s3, s30, s15
	s_delay_alu instid0(VALU_DEP_2) | instskip(SKIP_2) | instid1(VALU_DEP_2)
	v_lshlrev_b64 v[3:4], 3, v[4:5]
	s_add_i32 s3, s3, s2
	s_mul_i32 s2, s30, s15
	v_add3_u32 v7, v7, v15, v14
	s_lshl_b64 s[2:3], s[2:3], 3
	s_delay_alu instid0(VALU_DEP_2) | instid1(SALU_CYCLE_1)
	v_add_co_u32 v5, vcc_lo, v3, s2
	v_add_co_ci_u32_e32 v14, vcc_lo, s3, v4, vcc_lo
	s_mul_i32 s2, s25, s15
	s_mul_hi_u32 s3, s24, s15
	v_lshlrev_b64 v[3:4], 3, v[6:7]
	s_add_i32 s3, s3, s2
	s_mul_i32 s2, s24, s15
	v_add_co_u32 v5, vcc_lo, v5, v10
	s_lshl_b64 s[2:3], s[2:3], 3
	v_add_co_ci_u32_e32 v6, vcc_lo, 0, v14, vcc_lo
	v_add_co_u32 v7, vcc_lo, v3, s2
	v_lshlrev_b32_e32 v14, 3, v2
	v_add_co_ci_u32_e32 v4, vcc_lo, s3, v4, vcc_lo
	v_add_co_u32 v2, vcc_lo, s26, v5
	v_add_co_ci_u32_e32 v3, vcc_lo, s27, v6, vcc_lo
	s_delay_alu instid0(VALU_DEP_4) | instskip(SKIP_2) | instid1(VALU_DEP_3)
	v_add_co_u32 v5, vcc_lo, v7, v14
	v_mov_b32_e32 v6, 0
	v_add_co_ci_u32_e32 v14, vcc_lo, 0, v4, vcc_lo
	v_add_co_u32 v4, vcc_lo, s20, v5
	v_mov_b32_e32 v7, 0
	v_add_nc_u32_e32 v13, v12, v10
	s_delay_alu instid0(VALU_DEP_4)
	v_add_co_ci_u32_e32 v5, vcc_lo, s21, v14, vcc_lo
	s_mov_b64 s[2:3], 0
.LBB1039_2:                             ; =>This Inner Loop Header: Depth=1
	global_load_b64 v[14:15], v[4:5], off
	global_load_b64 v[16:17], v[2:3], off
	s_add_u32 s2, s2, 16
	v_add_co_u32 v2, vcc_lo, 0x80, v2
	s_addc_u32 s3, s3, 0
	v_add_co_ci_u32_e32 v3, vcc_lo, 0, v3, vcc_lo
	v_cmp_lt_i64_e64 s4, s[2:3], s[16:17]
	v_add_co_u32 v4, vcc_lo, 0x80, v4
	v_add_co_ci_u32_e32 v5, vcc_lo, 0, v5, vcc_lo
	s_waitcnt vmcnt(1)
	ds_store_b64 v11, v[14:15]
	s_waitcnt vmcnt(0)
	ds_store_b64 v13, v[16:17]
	s_waitcnt lgkmcnt(0)
	s_barrier
	buffer_gl0_inv
	ds_load_2addr_b64 v[14:17], v10 offset1:16
	ds_load_b128 v[18:21], v12
	ds_load_b128 v[22:25], v12 offset:16
	s_and_b32 vcc_lo, exec_lo, s4
	s_waitcnt lgkmcnt(1)
	v_fma_f64 v[6:7], v[14:15], v[18:19], v[6:7]
	s_delay_alu instid0(VALU_DEP_1) | instskip(SKIP_3) | instid1(VALU_DEP_1)
	v_fma_f64 v[6:7], v[16:17], v[20:21], v[6:7]
	ds_load_2addr_b64 v[14:17], v10 offset0:32 offset1:48
	s_waitcnt lgkmcnt(0)
	v_fma_f64 v[6:7], v[14:15], v[22:23], v[6:7]
	v_fma_f64 v[6:7], v[16:17], v[24:25], v[6:7]
	ds_load_2addr_b64 v[14:17], v10 offset0:64 offset1:80
	ds_load_b128 v[18:21], v12 offset:32
	ds_load_b128 v[22:25], v12 offset:48
	s_waitcnt lgkmcnt(1)
	v_fma_f64 v[6:7], v[14:15], v[18:19], v[6:7]
	s_delay_alu instid0(VALU_DEP_1) | instskip(SKIP_3) | instid1(VALU_DEP_1)
	v_fma_f64 v[6:7], v[16:17], v[20:21], v[6:7]
	ds_load_2addr_b64 v[14:17], v10 offset0:96 offset1:112
	s_waitcnt lgkmcnt(0)
	v_fma_f64 v[6:7], v[14:15], v[22:23], v[6:7]
	v_fma_f64 v[6:7], v[16:17], v[24:25], v[6:7]
	ds_load_2addr_b64 v[14:17], v10 offset0:128 offset1:144
	ds_load_b128 v[18:21], v12 offset:64
	ds_load_b128 v[22:25], v12 offset:80
	;; [unrolled: 11-line block ×3, first 2 shown]
	s_waitcnt lgkmcnt(1)
	v_fma_f64 v[6:7], v[14:15], v[18:19], v[6:7]
	s_delay_alu instid0(VALU_DEP_1)
	v_fma_f64 v[6:7], v[16:17], v[20:21], v[6:7]
	ds_load_2addr_b64 v[14:17], v10 offset0:224 offset1:240
	s_waitcnt lgkmcnt(0)
	s_barrier
	buffer_gl0_inv
	v_fma_f64 v[6:7], v[14:15], v[22:23], v[6:7]
	s_delay_alu instid0(VALU_DEP_1)
	v_fma_f64 v[6:7], v[16:17], v[24:25], v[6:7]
	s_cbranch_vccnz .LBB1039_2
; %bb.3:
	s_mov_b32 s2, exec_lo
	v_cmpx_le_i32_e64 v8, v0
	s_cbranch_execz .LBB1039_5
.LBB1039_4:
	s_clause 0x1
	s_load_b128 s[4:7], s[0:1], 0x50
	s_load_b64 s[0:1], s[0:1], 0x60
	s_delay_alu instid0(VALU_DEP_2)
	v_mul_f64 v[2:3], v[6:7], s[18:19]
	v_lshlrev_b64 v[0:1], 3, v[0:1]
	s_waitcnt lgkmcnt(0)
	v_mul_lo_u32 v6, v8, s7
	v_mul_lo_u32 v7, v9, s6
	v_mad_u64_u32 v[4:5], null, v8, s6, 0
	s_mul_i32 s1, s15, s1
	s_mul_hi_u32 s2, s15, s0
	s_mul_i32 s0, s15, s0
	s_add_i32 s1, s2, s1
	s_delay_alu instid0(SALU_CYCLE_1) | instskip(NEXT) | instid1(VALU_DEP_1)
	s_lshl_b64 s[0:1], s[0:1], 3
	v_add3_u32 v5, v5, v6, v7
	s_add_u32 s0, s4, s0
	s_addc_u32 s1, s5, s1
	s_delay_alu instid0(VALU_DEP_1) | instskip(NEXT) | instid1(VALU_DEP_1)
	v_lshlrev_b64 v[4:5], 3, v[4:5]
	v_add_co_u32 v4, vcc_lo, s0, v4
	s_delay_alu instid0(VALU_DEP_2) | instskip(NEXT) | instid1(VALU_DEP_2)
	v_add_co_ci_u32_e32 v5, vcc_lo, s1, v5, vcc_lo
	v_add_co_u32 v0, vcc_lo, v4, v0
	s_delay_alu instid0(VALU_DEP_2)
	v_add_co_ci_u32_e32 v1, vcc_lo, v5, v1, vcc_lo
	global_store_b64 v[0:1], v[2:3], off
.LBB1039_5:
	s_nop 0
	s_sendmsg sendmsg(MSG_DEALLOC_VGPRS)
	s_endpgm
.LBB1039_6:
	v_mov_b32_e32 v6, 0
	v_mov_b32_e32 v7, 0
	s_mov_b32 s2, exec_lo
	v_cmpx_le_i32_e64 v8, v0
	s_cbranch_execnz .LBB1039_4
	s_branch .LBB1039_5
	.section	.rodata,"a",@progbits
	.p2align	6, 0x0
	.amdhsa_kernel _ZL41rocblas_syrkx_herkx_small_restrict_kernelIldLi16ELb1ELb0ELc84ELc76EKddEviT_T0_PT6_S1_lS4_S1_lS2_PT7_S1_li
		.amdhsa_group_segment_fixed_size 4096
		.amdhsa_private_segment_fixed_size 0
		.amdhsa_kernarg_size 108
		.amdhsa_user_sgpr_count 13
		.amdhsa_user_sgpr_dispatch_ptr 0
		.amdhsa_user_sgpr_queue_ptr 0
		.amdhsa_user_sgpr_kernarg_segment_ptr 1
		.amdhsa_user_sgpr_dispatch_id 0
		.amdhsa_user_sgpr_private_segment_size 0
		.amdhsa_wavefront_size32 1
		.amdhsa_uses_dynamic_stack 0
		.amdhsa_enable_private_segment 0
		.amdhsa_system_sgpr_workgroup_id_x 1
		.amdhsa_system_sgpr_workgroup_id_y 1
		.amdhsa_system_sgpr_workgroup_id_z 1
		.amdhsa_system_sgpr_workgroup_info 0
		.amdhsa_system_vgpr_workitem_id 1
		.amdhsa_next_free_vgpr 26
		.amdhsa_next_free_sgpr 32
		.amdhsa_reserve_vcc 1
		.amdhsa_float_round_mode_32 0
		.amdhsa_float_round_mode_16_64 0
		.amdhsa_float_denorm_mode_32 3
		.amdhsa_float_denorm_mode_16_64 3
		.amdhsa_dx10_clamp 1
		.amdhsa_ieee_mode 1
		.amdhsa_fp16_overflow 0
		.amdhsa_workgroup_processor_mode 1
		.amdhsa_memory_ordered 1
		.amdhsa_forward_progress 0
		.amdhsa_shared_vgpr_count 0
		.amdhsa_exception_fp_ieee_invalid_op 0
		.amdhsa_exception_fp_denorm_src 0
		.amdhsa_exception_fp_ieee_div_zero 0
		.amdhsa_exception_fp_ieee_overflow 0
		.amdhsa_exception_fp_ieee_underflow 0
		.amdhsa_exception_fp_ieee_inexact 0
		.amdhsa_exception_int_div_zero 0
	.end_amdhsa_kernel
	.section	.text._ZL41rocblas_syrkx_herkx_small_restrict_kernelIldLi16ELb1ELb0ELc84ELc76EKddEviT_T0_PT6_S1_lS4_S1_lS2_PT7_S1_li,"axG",@progbits,_ZL41rocblas_syrkx_herkx_small_restrict_kernelIldLi16ELb1ELb0ELc84ELc76EKddEviT_T0_PT6_S1_lS4_S1_lS2_PT7_S1_li,comdat
.Lfunc_end1039:
	.size	_ZL41rocblas_syrkx_herkx_small_restrict_kernelIldLi16ELb1ELb0ELc84ELc76EKddEviT_T0_PT6_S1_lS4_S1_lS2_PT7_S1_li, .Lfunc_end1039-_ZL41rocblas_syrkx_herkx_small_restrict_kernelIldLi16ELb1ELb0ELc84ELc76EKddEviT_T0_PT6_S1_lS4_S1_lS2_PT7_S1_li
                                        ; -- End function
	.section	.AMDGPU.csdata,"",@progbits
; Kernel info:
; codeLenInByte = 976
; NumSgprs: 34
; NumVgprs: 26
; ScratchSize: 0
; MemoryBound: 0
; FloatMode: 240
; IeeeMode: 1
; LDSByteSize: 4096 bytes/workgroup (compile time only)
; SGPRBlocks: 4
; VGPRBlocks: 3
; NumSGPRsForWavesPerEU: 34
; NumVGPRsForWavesPerEU: 26
; Occupancy: 16
; WaveLimiterHint : 0
; COMPUTE_PGM_RSRC2:SCRATCH_EN: 0
; COMPUTE_PGM_RSRC2:USER_SGPR: 13
; COMPUTE_PGM_RSRC2:TRAP_HANDLER: 0
; COMPUTE_PGM_RSRC2:TGID_X_EN: 1
; COMPUTE_PGM_RSRC2:TGID_Y_EN: 1
; COMPUTE_PGM_RSRC2:TGID_Z_EN: 1
; COMPUTE_PGM_RSRC2:TIDIG_COMP_CNT: 1
	.section	.text._ZL41rocblas_syrkx_herkx_small_restrict_kernelIldLi16ELb1ELb0ELc67ELc76EKddEviT_T0_PT6_S1_lS4_S1_lS2_PT7_S1_li,"axG",@progbits,_ZL41rocblas_syrkx_herkx_small_restrict_kernelIldLi16ELb1ELb0ELc67ELc76EKddEviT_T0_PT6_S1_lS4_S1_lS2_PT7_S1_li,comdat
	.globl	_ZL41rocblas_syrkx_herkx_small_restrict_kernelIldLi16ELb1ELb0ELc67ELc76EKddEviT_T0_PT6_S1_lS4_S1_lS2_PT7_S1_li ; -- Begin function _ZL41rocblas_syrkx_herkx_small_restrict_kernelIldLi16ELb1ELb0ELc67ELc76EKddEviT_T0_PT6_S1_lS4_S1_lS2_PT7_S1_li
	.p2align	8
	.type	_ZL41rocblas_syrkx_herkx_small_restrict_kernelIldLi16ELb1ELb0ELc67ELc76EKddEviT_T0_PT6_S1_lS4_S1_lS2_PT7_S1_li,@function
_ZL41rocblas_syrkx_herkx_small_restrict_kernelIldLi16ELb1ELb0ELc67ELc76EKddEviT_T0_PT6_S1_lS4_S1_lS2_PT7_S1_li: ; @_ZL41rocblas_syrkx_herkx_small_restrict_kernelIldLi16ELb1ELb0ELc67ELc76EKddEviT_T0_PT6_S1_lS4_S1_lS2_PT7_S1_li
; %bb.0:
	s_load_b512 s[16:31], s[0:1], 0x8
	v_and_b32_e32 v3, 0x3ff, v0
	v_bfe_u32 v2, v0, 10, 10
	s_delay_alu instid0(VALU_DEP_2) | instskip(NEXT) | instid1(VALU_DEP_2)
	v_lshl_add_u32 v0, s13, 4, v3
	v_lshl_add_u32 v8, s14, 4, v2
	s_delay_alu instid0(VALU_DEP_2) | instskip(NEXT) | instid1(VALU_DEP_2)
	v_ashrrev_i32_e32 v1, 31, v0
	v_ashrrev_i32_e32 v9, 31, v8
	s_waitcnt lgkmcnt(0)
	v_cmp_lt_i64_e64 s2, s[16:17], 1
	s_delay_alu instid0(VALU_DEP_1)
	s_and_b32 vcc_lo, exec_lo, s2
	s_cbranch_vccnz .LBB1040_6
; %bb.1:
	v_mul_lo_u32 v7, s29, v8
	v_mul_lo_u32 v13, s28, v9
	v_mad_u64_u32 v[4:5], null, s28, v8, 0
	v_lshlrev_b32_e32 v6, 7, v2
	v_lshlrev_b32_e32 v10, 3, v3
	v_mul_lo_u32 v14, s23, v0
	v_mul_lo_u32 v15, s22, v1
	s_mul_i32 s2, s31, s15
	v_add_nc_u32_e32 v12, 0x800, v6
	v_add_nc_u32_e32 v11, v10, v6
	v_add3_u32 v5, v5, v13, v7
	v_mad_u64_u32 v[6:7], null, s22, v0, 0
	s_mul_hi_u32 s3, s30, s15
	s_delay_alu instid0(VALU_DEP_2) | instskip(SKIP_2) | instid1(VALU_DEP_2)
	v_lshlrev_b64 v[3:4], 3, v[4:5]
	s_add_i32 s3, s3, s2
	s_mul_i32 s2, s30, s15
	v_add3_u32 v7, v7, v15, v14
	s_lshl_b64 s[2:3], s[2:3], 3
	s_delay_alu instid0(VALU_DEP_2) | instid1(SALU_CYCLE_1)
	v_add_co_u32 v5, vcc_lo, v3, s2
	v_add_co_ci_u32_e32 v14, vcc_lo, s3, v4, vcc_lo
	s_mul_i32 s2, s25, s15
	s_mul_hi_u32 s3, s24, s15
	v_lshlrev_b64 v[3:4], 3, v[6:7]
	s_add_i32 s3, s3, s2
	s_mul_i32 s2, s24, s15
	v_add_co_u32 v5, vcc_lo, v5, v10
	s_lshl_b64 s[2:3], s[2:3], 3
	v_add_co_ci_u32_e32 v6, vcc_lo, 0, v14, vcc_lo
	v_add_co_u32 v7, vcc_lo, v3, s2
	v_lshlrev_b32_e32 v14, 3, v2
	v_add_co_ci_u32_e32 v4, vcc_lo, s3, v4, vcc_lo
	v_add_co_u32 v2, vcc_lo, s26, v5
	v_add_co_ci_u32_e32 v3, vcc_lo, s27, v6, vcc_lo
	s_delay_alu instid0(VALU_DEP_4) | instskip(SKIP_2) | instid1(VALU_DEP_3)
	v_add_co_u32 v5, vcc_lo, v7, v14
	v_mov_b32_e32 v6, 0
	v_add_co_ci_u32_e32 v14, vcc_lo, 0, v4, vcc_lo
	v_add_co_u32 v4, vcc_lo, s20, v5
	v_mov_b32_e32 v7, 0
	v_add_nc_u32_e32 v13, v12, v10
	s_delay_alu instid0(VALU_DEP_4)
	v_add_co_ci_u32_e32 v5, vcc_lo, s21, v14, vcc_lo
	s_mov_b64 s[2:3], 0
.LBB1040_2:                             ; =>This Inner Loop Header: Depth=1
	global_load_b64 v[14:15], v[4:5], off
	global_load_b64 v[16:17], v[2:3], off
	s_add_u32 s2, s2, 16
	v_add_co_u32 v2, vcc_lo, 0x80, v2
	s_addc_u32 s3, s3, 0
	v_add_co_ci_u32_e32 v3, vcc_lo, 0, v3, vcc_lo
	v_cmp_lt_i64_e64 s4, s[2:3], s[16:17]
	v_add_co_u32 v4, vcc_lo, 0x80, v4
	v_add_co_ci_u32_e32 v5, vcc_lo, 0, v5, vcc_lo
	s_waitcnt vmcnt(1)
	ds_store_b64 v11, v[14:15]
	s_waitcnt vmcnt(0)
	ds_store_b64 v13, v[16:17]
	s_waitcnt lgkmcnt(0)
	s_barrier
	buffer_gl0_inv
	ds_load_2addr_b64 v[14:17], v10 offset1:16
	ds_load_b128 v[18:21], v12
	ds_load_b128 v[22:25], v12 offset:16
	s_and_b32 vcc_lo, exec_lo, s4
	s_waitcnt lgkmcnt(1)
	v_fma_f64 v[6:7], v[14:15], v[18:19], v[6:7]
	s_delay_alu instid0(VALU_DEP_1) | instskip(SKIP_3) | instid1(VALU_DEP_1)
	v_fma_f64 v[6:7], v[16:17], v[20:21], v[6:7]
	ds_load_2addr_b64 v[14:17], v10 offset0:32 offset1:48
	s_waitcnt lgkmcnt(0)
	v_fma_f64 v[6:7], v[14:15], v[22:23], v[6:7]
	v_fma_f64 v[6:7], v[16:17], v[24:25], v[6:7]
	ds_load_2addr_b64 v[14:17], v10 offset0:64 offset1:80
	ds_load_b128 v[18:21], v12 offset:32
	ds_load_b128 v[22:25], v12 offset:48
	s_waitcnt lgkmcnt(1)
	v_fma_f64 v[6:7], v[14:15], v[18:19], v[6:7]
	s_delay_alu instid0(VALU_DEP_1) | instskip(SKIP_3) | instid1(VALU_DEP_1)
	v_fma_f64 v[6:7], v[16:17], v[20:21], v[6:7]
	ds_load_2addr_b64 v[14:17], v10 offset0:96 offset1:112
	s_waitcnt lgkmcnt(0)
	v_fma_f64 v[6:7], v[14:15], v[22:23], v[6:7]
	v_fma_f64 v[6:7], v[16:17], v[24:25], v[6:7]
	ds_load_2addr_b64 v[14:17], v10 offset0:128 offset1:144
	ds_load_b128 v[18:21], v12 offset:64
	ds_load_b128 v[22:25], v12 offset:80
	;; [unrolled: 11-line block ×3, first 2 shown]
	s_waitcnt lgkmcnt(1)
	v_fma_f64 v[6:7], v[14:15], v[18:19], v[6:7]
	s_delay_alu instid0(VALU_DEP_1)
	v_fma_f64 v[6:7], v[16:17], v[20:21], v[6:7]
	ds_load_2addr_b64 v[14:17], v10 offset0:224 offset1:240
	s_waitcnt lgkmcnt(0)
	s_barrier
	buffer_gl0_inv
	v_fma_f64 v[6:7], v[14:15], v[22:23], v[6:7]
	s_delay_alu instid0(VALU_DEP_1)
	v_fma_f64 v[6:7], v[16:17], v[24:25], v[6:7]
	s_cbranch_vccnz .LBB1040_2
; %bb.3:
	s_mov_b32 s2, exec_lo
	v_cmpx_le_i32_e64 v8, v0
	s_cbranch_execz .LBB1040_5
.LBB1040_4:
	s_clause 0x1
	s_load_b128 s[4:7], s[0:1], 0x50
	s_load_b64 s[0:1], s[0:1], 0x60
	s_delay_alu instid0(VALU_DEP_2)
	v_mul_f64 v[2:3], v[6:7], s[18:19]
	v_lshlrev_b64 v[0:1], 3, v[0:1]
	s_waitcnt lgkmcnt(0)
	v_mul_lo_u32 v6, v8, s7
	v_mul_lo_u32 v7, v9, s6
	v_mad_u64_u32 v[4:5], null, v8, s6, 0
	s_mul_i32 s1, s15, s1
	s_mul_hi_u32 s2, s15, s0
	s_mul_i32 s0, s15, s0
	s_add_i32 s1, s2, s1
	s_delay_alu instid0(SALU_CYCLE_1) | instskip(NEXT) | instid1(VALU_DEP_1)
	s_lshl_b64 s[0:1], s[0:1], 3
	v_add3_u32 v5, v5, v6, v7
	s_add_u32 s0, s4, s0
	s_addc_u32 s1, s5, s1
	s_delay_alu instid0(VALU_DEP_1) | instskip(NEXT) | instid1(VALU_DEP_1)
	v_lshlrev_b64 v[4:5], 3, v[4:5]
	v_add_co_u32 v4, vcc_lo, s0, v4
	s_delay_alu instid0(VALU_DEP_2) | instskip(NEXT) | instid1(VALU_DEP_2)
	v_add_co_ci_u32_e32 v5, vcc_lo, s1, v5, vcc_lo
	v_add_co_u32 v0, vcc_lo, v4, v0
	s_delay_alu instid0(VALU_DEP_2)
	v_add_co_ci_u32_e32 v1, vcc_lo, v5, v1, vcc_lo
	global_store_b64 v[0:1], v[2:3], off
.LBB1040_5:
	s_nop 0
	s_sendmsg sendmsg(MSG_DEALLOC_VGPRS)
	s_endpgm
.LBB1040_6:
	v_mov_b32_e32 v6, 0
	v_mov_b32_e32 v7, 0
	s_mov_b32 s2, exec_lo
	v_cmpx_le_i32_e64 v8, v0
	s_cbranch_execnz .LBB1040_4
	s_branch .LBB1040_5
	.section	.rodata,"a",@progbits
	.p2align	6, 0x0
	.amdhsa_kernel _ZL41rocblas_syrkx_herkx_small_restrict_kernelIldLi16ELb1ELb0ELc67ELc76EKddEviT_T0_PT6_S1_lS4_S1_lS2_PT7_S1_li
		.amdhsa_group_segment_fixed_size 4096
		.amdhsa_private_segment_fixed_size 0
		.amdhsa_kernarg_size 108
		.amdhsa_user_sgpr_count 13
		.amdhsa_user_sgpr_dispatch_ptr 0
		.amdhsa_user_sgpr_queue_ptr 0
		.amdhsa_user_sgpr_kernarg_segment_ptr 1
		.amdhsa_user_sgpr_dispatch_id 0
		.amdhsa_user_sgpr_private_segment_size 0
		.amdhsa_wavefront_size32 1
		.amdhsa_uses_dynamic_stack 0
		.amdhsa_enable_private_segment 0
		.amdhsa_system_sgpr_workgroup_id_x 1
		.amdhsa_system_sgpr_workgroup_id_y 1
		.amdhsa_system_sgpr_workgroup_id_z 1
		.amdhsa_system_sgpr_workgroup_info 0
		.amdhsa_system_vgpr_workitem_id 1
		.amdhsa_next_free_vgpr 26
		.amdhsa_next_free_sgpr 32
		.amdhsa_reserve_vcc 1
		.amdhsa_float_round_mode_32 0
		.amdhsa_float_round_mode_16_64 0
		.amdhsa_float_denorm_mode_32 3
		.amdhsa_float_denorm_mode_16_64 3
		.amdhsa_dx10_clamp 1
		.amdhsa_ieee_mode 1
		.amdhsa_fp16_overflow 0
		.amdhsa_workgroup_processor_mode 1
		.amdhsa_memory_ordered 1
		.amdhsa_forward_progress 0
		.amdhsa_shared_vgpr_count 0
		.amdhsa_exception_fp_ieee_invalid_op 0
		.amdhsa_exception_fp_denorm_src 0
		.amdhsa_exception_fp_ieee_div_zero 0
		.amdhsa_exception_fp_ieee_overflow 0
		.amdhsa_exception_fp_ieee_underflow 0
		.amdhsa_exception_fp_ieee_inexact 0
		.amdhsa_exception_int_div_zero 0
	.end_amdhsa_kernel
	.section	.text._ZL41rocblas_syrkx_herkx_small_restrict_kernelIldLi16ELb1ELb0ELc67ELc76EKddEviT_T0_PT6_S1_lS4_S1_lS2_PT7_S1_li,"axG",@progbits,_ZL41rocblas_syrkx_herkx_small_restrict_kernelIldLi16ELb1ELb0ELc67ELc76EKddEviT_T0_PT6_S1_lS4_S1_lS2_PT7_S1_li,comdat
.Lfunc_end1040:
	.size	_ZL41rocblas_syrkx_herkx_small_restrict_kernelIldLi16ELb1ELb0ELc67ELc76EKddEviT_T0_PT6_S1_lS4_S1_lS2_PT7_S1_li, .Lfunc_end1040-_ZL41rocblas_syrkx_herkx_small_restrict_kernelIldLi16ELb1ELb0ELc67ELc76EKddEviT_T0_PT6_S1_lS4_S1_lS2_PT7_S1_li
                                        ; -- End function
	.section	.AMDGPU.csdata,"",@progbits
; Kernel info:
; codeLenInByte = 976
; NumSgprs: 34
; NumVgprs: 26
; ScratchSize: 0
; MemoryBound: 0
; FloatMode: 240
; IeeeMode: 1
; LDSByteSize: 4096 bytes/workgroup (compile time only)
; SGPRBlocks: 4
; VGPRBlocks: 3
; NumSGPRsForWavesPerEU: 34
; NumVGPRsForWavesPerEU: 26
; Occupancy: 16
; WaveLimiterHint : 0
; COMPUTE_PGM_RSRC2:SCRATCH_EN: 0
; COMPUTE_PGM_RSRC2:USER_SGPR: 13
; COMPUTE_PGM_RSRC2:TRAP_HANDLER: 0
; COMPUTE_PGM_RSRC2:TGID_X_EN: 1
; COMPUTE_PGM_RSRC2:TGID_Y_EN: 1
; COMPUTE_PGM_RSRC2:TGID_Z_EN: 1
; COMPUTE_PGM_RSRC2:TIDIG_COMP_CNT: 1
	.section	.text._ZL41rocblas_syrkx_herkx_small_restrict_kernelIldLi16ELb1ELb0ELc78ELc76EKddEviT_T0_PT6_S1_lS4_S1_lS2_PT7_S1_li,"axG",@progbits,_ZL41rocblas_syrkx_herkx_small_restrict_kernelIldLi16ELb1ELb0ELc78ELc76EKddEviT_T0_PT6_S1_lS4_S1_lS2_PT7_S1_li,comdat
	.globl	_ZL41rocblas_syrkx_herkx_small_restrict_kernelIldLi16ELb1ELb0ELc78ELc76EKddEviT_T0_PT6_S1_lS4_S1_lS2_PT7_S1_li ; -- Begin function _ZL41rocblas_syrkx_herkx_small_restrict_kernelIldLi16ELb1ELb0ELc78ELc76EKddEviT_T0_PT6_S1_lS4_S1_lS2_PT7_S1_li
	.p2align	8
	.type	_ZL41rocblas_syrkx_herkx_small_restrict_kernelIldLi16ELb1ELb0ELc78ELc76EKddEviT_T0_PT6_S1_lS4_S1_lS2_PT7_S1_li,@function
_ZL41rocblas_syrkx_herkx_small_restrict_kernelIldLi16ELb1ELb0ELc78ELc76EKddEviT_T0_PT6_S1_lS4_S1_lS2_PT7_S1_li: ; @_ZL41rocblas_syrkx_herkx_small_restrict_kernelIldLi16ELb1ELb0ELc78ELc76EKddEviT_T0_PT6_S1_lS4_S1_lS2_PT7_S1_li
; %bb.0:
	s_load_b512 s[16:31], s[0:1], 0x8
	v_and_b32_e32 v5, 0x3ff, v0
	v_bfe_u32 v4, v0, 10, 10
	s_delay_alu instid0(VALU_DEP_2) | instskip(NEXT) | instid1(VALU_DEP_2)
	v_lshl_add_u32 v0, s13, 4, v5
	v_lshl_add_u32 v2, s14, 4, v4
	s_delay_alu instid0(VALU_DEP_2) | instskip(NEXT) | instid1(VALU_DEP_2)
	v_ashrrev_i32_e32 v1, 31, v0
	v_ashrrev_i32_e32 v3, 31, v2
	s_waitcnt lgkmcnt(0)
	v_cmp_lt_i64_e64 s2, s[16:17], 1
	s_delay_alu instid0(VALU_DEP_1)
	s_and_b32 vcc_lo, exec_lo, s2
	s_cbranch_vccnz .LBB1041_6
; %bb.1:
	v_mad_u64_u32 v[6:7], null, s28, v5, 0
	v_mad_u64_u32 v[8:9], null, s22, v4, 0
	v_lshlrev_b32_e32 v10, 3, v5
	v_lshlrev_b32_e32 v13, 7, v4
	s_mul_i32 s3, s31, s15
	s_mul_hi_u32 s5, s30, s15
	s_mul_i32 s2, s30, s15
	s_add_i32 s3, s5, s3
	s_delay_alu instid0(VALU_DEP_3)
	v_mad_u64_u32 v[11:12], null, s29, v5, v[7:8]
	v_mov_b32_e32 v5, v9
	s_lshl_b64 s[2:3], s[2:3], 3
	v_lshlrev_b64 v[14:15], 3, v[2:3]
	s_mul_i32 s6, s25, s15
	s_mul_hi_u32 s7, s24, s15
	v_mad_u64_u32 v[16:17], null, s23, v4, v[5:6]
	s_delay_alu instid0(VALU_DEP_4)
	v_mov_b32_e32 v7, v11
	s_mul_i32 s4, s24, s15
	s_add_i32 s5, s7, s6
	s_mov_b64 s[6:7], 0
	s_lshl_b64 s[4:5], s[4:5], 3
	v_lshlrev_b64 v[4:5], 3, v[6:7]
	s_delay_alu instid0(VALU_DEP_3) | instskip(NEXT) | instid1(VALU_DEP_2)
	v_mov_b32_e32 v9, v16
	v_add_co_u32 v6, vcc_lo, s2, v4
	s_delay_alu instid0(VALU_DEP_3) | instskip(NEXT) | instid1(VALU_DEP_3)
	v_add_co_ci_u32_e32 v7, vcc_lo, s3, v5, vcc_lo
	v_lshlrev_b64 v[4:5], 3, v[8:9]
	s_delay_alu instid0(VALU_DEP_3) | instskip(NEXT) | instid1(VALU_DEP_3)
	v_add_co_u32 v8, vcc_lo, v6, v14
	v_add_co_ci_u32_e32 v9, vcc_lo, v7, v15, vcc_lo
	v_lshlrev_b64 v[6:7], 3, v[0:1]
	s_delay_alu instid0(VALU_DEP_4) | instskip(SKIP_3) | instid1(VALU_DEP_4)
	v_add_co_u32 v14, vcc_lo, s4, v4
	v_add_co_ci_u32_e32 v15, vcc_lo, s5, v5, vcc_lo
	v_add_co_u32 v4, vcc_lo, s26, v8
	v_add_co_ci_u32_e32 v5, vcc_lo, s27, v9, vcc_lo
	v_add_co_u32 v6, vcc_lo, v14, v6
	s_delay_alu instid0(VALU_DEP_4)
	v_add_co_ci_u32_e32 v7, vcc_lo, v15, v7, vcc_lo
	v_mov_b32_e32 v8, 0
	v_add_nc_u32_e32 v12, v10, v13
	v_add_nc_u32_e32 v11, 0x800, v13
	v_add_co_u32 v6, vcc_lo, s20, v6
	v_mov_b32_e32 v9, 0
	v_add_co_ci_u32_e32 v7, vcc_lo, s21, v7, vcc_lo
	s_delay_alu instid0(VALU_DEP_4)
	v_add_nc_u32_e32 v13, v11, v10
	s_lshl_b64 s[2:3], s[28:29], 7
	s_lshl_b64 s[4:5], s[22:23], 7
.LBB1041_2:                             ; =>This Inner Loop Header: Depth=1
	global_load_b64 v[14:15], v[6:7], off
	global_load_b64 v[16:17], v[4:5], off
	s_add_u32 s6, s6, 16
	v_add_co_u32 v4, vcc_lo, v4, s2
	s_addc_u32 s7, s7, 0
	v_add_co_ci_u32_e32 v5, vcc_lo, s3, v5, vcc_lo
	v_cmp_lt_i64_e64 s8, s[6:7], s[16:17]
	v_add_co_u32 v6, vcc_lo, v6, s4
	v_add_co_ci_u32_e32 v7, vcc_lo, s5, v7, vcc_lo
	s_waitcnt vmcnt(1)
	ds_store_b64 v12, v[14:15]
	s_waitcnt vmcnt(0)
	ds_store_b64 v13, v[16:17]
	s_waitcnt lgkmcnt(0)
	s_barrier
	buffer_gl0_inv
	ds_load_2addr_b64 v[14:17], v10 offset1:16
	ds_load_b128 v[18:21], v11
	ds_load_b128 v[22:25], v11 offset:16
	s_and_b32 vcc_lo, exec_lo, s8
	s_waitcnt lgkmcnt(1)
	v_fma_f64 v[8:9], v[14:15], v[18:19], v[8:9]
	s_delay_alu instid0(VALU_DEP_1) | instskip(SKIP_3) | instid1(VALU_DEP_1)
	v_fma_f64 v[8:9], v[16:17], v[20:21], v[8:9]
	ds_load_2addr_b64 v[14:17], v10 offset0:32 offset1:48
	s_waitcnt lgkmcnt(0)
	v_fma_f64 v[8:9], v[14:15], v[22:23], v[8:9]
	v_fma_f64 v[8:9], v[16:17], v[24:25], v[8:9]
	ds_load_2addr_b64 v[14:17], v10 offset0:64 offset1:80
	ds_load_b128 v[18:21], v11 offset:32
	ds_load_b128 v[22:25], v11 offset:48
	s_waitcnt lgkmcnt(1)
	v_fma_f64 v[8:9], v[14:15], v[18:19], v[8:9]
	s_delay_alu instid0(VALU_DEP_1) | instskip(SKIP_3) | instid1(VALU_DEP_1)
	v_fma_f64 v[8:9], v[16:17], v[20:21], v[8:9]
	ds_load_2addr_b64 v[14:17], v10 offset0:96 offset1:112
	s_waitcnt lgkmcnt(0)
	v_fma_f64 v[8:9], v[14:15], v[22:23], v[8:9]
	v_fma_f64 v[8:9], v[16:17], v[24:25], v[8:9]
	ds_load_2addr_b64 v[14:17], v10 offset0:128 offset1:144
	ds_load_b128 v[18:21], v11 offset:64
	ds_load_b128 v[22:25], v11 offset:80
	s_waitcnt lgkmcnt(1)
	v_fma_f64 v[8:9], v[14:15], v[18:19], v[8:9]
	s_delay_alu instid0(VALU_DEP_1) | instskip(SKIP_3) | instid1(VALU_DEP_1)
	v_fma_f64 v[8:9], v[16:17], v[20:21], v[8:9]
	ds_load_2addr_b64 v[14:17], v10 offset0:160 offset1:176
	s_waitcnt lgkmcnt(0)
	v_fma_f64 v[8:9], v[14:15], v[22:23], v[8:9]
	v_fma_f64 v[8:9], v[16:17], v[24:25], v[8:9]
	ds_load_2addr_b64 v[14:17], v10 offset0:192 offset1:208
	ds_load_b128 v[18:21], v11 offset:96
	ds_load_b128 v[22:25], v11 offset:112
	s_waitcnt lgkmcnt(1)
	v_fma_f64 v[8:9], v[14:15], v[18:19], v[8:9]
	s_delay_alu instid0(VALU_DEP_1)
	v_fma_f64 v[8:9], v[16:17], v[20:21], v[8:9]
	ds_load_2addr_b64 v[14:17], v10 offset0:224 offset1:240
	s_waitcnt lgkmcnt(0)
	s_barrier
	buffer_gl0_inv
	v_fma_f64 v[8:9], v[14:15], v[22:23], v[8:9]
	s_delay_alu instid0(VALU_DEP_1)
	v_fma_f64 v[8:9], v[16:17], v[24:25], v[8:9]
	s_cbranch_vccnz .LBB1041_2
; %bb.3:
	s_mov_b32 s2, exec_lo
	v_cmpx_le_i32_e64 v2, v0
	s_cbranch_execz .LBB1041_5
.LBB1041_4:
	s_clause 0x1
	s_load_b128 s[4:7], s[0:1], 0x50
	s_load_b64 s[0:1], s[0:1], 0x60
	s_delay_alu instid0(VALU_DEP_2)
	v_mul_f64 v[4:5], v[8:9], s[18:19]
	v_lshlrev_b64 v[0:1], 3, v[0:1]
	s_waitcnt lgkmcnt(0)
	v_mul_lo_u32 v8, v2, s7
	v_mul_lo_u32 v3, v3, s6
	v_mad_u64_u32 v[6:7], null, v2, s6, 0
	s_mul_i32 s1, s15, s1
	s_mul_hi_u32 s2, s15, s0
	s_mul_i32 s0, s15, s0
	s_add_i32 s1, s2, s1
	s_delay_alu instid0(SALU_CYCLE_1) | instskip(NEXT) | instid1(VALU_DEP_1)
	s_lshl_b64 s[0:1], s[0:1], 3
	v_add3_u32 v7, v7, v8, v3
	s_add_u32 s0, s4, s0
	s_addc_u32 s1, s5, s1
	s_delay_alu instid0(VALU_DEP_1) | instskip(NEXT) | instid1(VALU_DEP_1)
	v_lshlrev_b64 v[2:3], 3, v[6:7]
	v_add_co_u32 v2, vcc_lo, s0, v2
	s_delay_alu instid0(VALU_DEP_2) | instskip(NEXT) | instid1(VALU_DEP_2)
	v_add_co_ci_u32_e32 v3, vcc_lo, s1, v3, vcc_lo
	v_add_co_u32 v0, vcc_lo, v2, v0
	s_delay_alu instid0(VALU_DEP_2)
	v_add_co_ci_u32_e32 v1, vcc_lo, v3, v1, vcc_lo
	global_store_b64 v[0:1], v[4:5], off
.LBB1041_5:
	s_nop 0
	s_sendmsg sendmsg(MSG_DEALLOC_VGPRS)
	s_endpgm
.LBB1041_6:
	v_mov_b32_e32 v8, 0
	v_mov_b32_e32 v9, 0
	s_mov_b32 s2, exec_lo
	v_cmpx_le_i32_e64 v2, v0
	s_cbranch_execnz .LBB1041_4
	s_branch .LBB1041_5
	.section	.rodata,"a",@progbits
	.p2align	6, 0x0
	.amdhsa_kernel _ZL41rocblas_syrkx_herkx_small_restrict_kernelIldLi16ELb1ELb0ELc78ELc76EKddEviT_T0_PT6_S1_lS4_S1_lS2_PT7_S1_li
		.amdhsa_group_segment_fixed_size 4096
		.amdhsa_private_segment_fixed_size 0
		.amdhsa_kernarg_size 108
		.amdhsa_user_sgpr_count 13
		.amdhsa_user_sgpr_dispatch_ptr 0
		.amdhsa_user_sgpr_queue_ptr 0
		.amdhsa_user_sgpr_kernarg_segment_ptr 1
		.amdhsa_user_sgpr_dispatch_id 0
		.amdhsa_user_sgpr_private_segment_size 0
		.amdhsa_wavefront_size32 1
		.amdhsa_uses_dynamic_stack 0
		.amdhsa_enable_private_segment 0
		.amdhsa_system_sgpr_workgroup_id_x 1
		.amdhsa_system_sgpr_workgroup_id_y 1
		.amdhsa_system_sgpr_workgroup_id_z 1
		.amdhsa_system_sgpr_workgroup_info 0
		.amdhsa_system_vgpr_workitem_id 1
		.amdhsa_next_free_vgpr 26
		.amdhsa_next_free_sgpr 32
		.amdhsa_reserve_vcc 1
		.amdhsa_float_round_mode_32 0
		.amdhsa_float_round_mode_16_64 0
		.amdhsa_float_denorm_mode_32 3
		.amdhsa_float_denorm_mode_16_64 3
		.amdhsa_dx10_clamp 1
		.amdhsa_ieee_mode 1
		.amdhsa_fp16_overflow 0
		.amdhsa_workgroup_processor_mode 1
		.amdhsa_memory_ordered 1
		.amdhsa_forward_progress 0
		.amdhsa_shared_vgpr_count 0
		.amdhsa_exception_fp_ieee_invalid_op 0
		.amdhsa_exception_fp_denorm_src 0
		.amdhsa_exception_fp_ieee_div_zero 0
		.amdhsa_exception_fp_ieee_overflow 0
		.amdhsa_exception_fp_ieee_underflow 0
		.amdhsa_exception_fp_ieee_inexact 0
		.amdhsa_exception_int_div_zero 0
	.end_amdhsa_kernel
	.section	.text._ZL41rocblas_syrkx_herkx_small_restrict_kernelIldLi16ELb1ELb0ELc78ELc76EKddEviT_T0_PT6_S1_lS4_S1_lS2_PT7_S1_li,"axG",@progbits,_ZL41rocblas_syrkx_herkx_small_restrict_kernelIldLi16ELb1ELb0ELc78ELc76EKddEviT_T0_PT6_S1_lS4_S1_lS2_PT7_S1_li,comdat
.Lfunc_end1041:
	.size	_ZL41rocblas_syrkx_herkx_small_restrict_kernelIldLi16ELb1ELb0ELc78ELc76EKddEviT_T0_PT6_S1_lS4_S1_lS2_PT7_S1_li, .Lfunc_end1041-_ZL41rocblas_syrkx_herkx_small_restrict_kernelIldLi16ELb1ELb0ELc78ELc76EKddEviT_T0_PT6_S1_lS4_S1_lS2_PT7_S1_li
                                        ; -- End function
	.section	.AMDGPU.csdata,"",@progbits
; Kernel info:
; codeLenInByte = 984
; NumSgprs: 34
; NumVgprs: 26
; ScratchSize: 0
; MemoryBound: 0
; FloatMode: 240
; IeeeMode: 1
; LDSByteSize: 4096 bytes/workgroup (compile time only)
; SGPRBlocks: 4
; VGPRBlocks: 3
; NumSGPRsForWavesPerEU: 34
; NumVGPRsForWavesPerEU: 26
; Occupancy: 16
; WaveLimiterHint : 0
; COMPUTE_PGM_RSRC2:SCRATCH_EN: 0
; COMPUTE_PGM_RSRC2:USER_SGPR: 13
; COMPUTE_PGM_RSRC2:TRAP_HANDLER: 0
; COMPUTE_PGM_RSRC2:TGID_X_EN: 1
; COMPUTE_PGM_RSRC2:TGID_Y_EN: 1
; COMPUTE_PGM_RSRC2:TGID_Z_EN: 1
; COMPUTE_PGM_RSRC2:TIDIG_COMP_CNT: 1
	.section	.text._ZL41rocblas_syrkx_herkx_small_restrict_kernelIldLi16ELb1ELb0ELc84ELc85EKddEviT_T0_PT6_S1_lS4_S1_lS2_PT7_S1_li,"axG",@progbits,_ZL41rocblas_syrkx_herkx_small_restrict_kernelIldLi16ELb1ELb0ELc84ELc85EKddEviT_T0_PT6_S1_lS4_S1_lS2_PT7_S1_li,comdat
	.globl	_ZL41rocblas_syrkx_herkx_small_restrict_kernelIldLi16ELb1ELb0ELc84ELc85EKddEviT_T0_PT6_S1_lS4_S1_lS2_PT7_S1_li ; -- Begin function _ZL41rocblas_syrkx_herkx_small_restrict_kernelIldLi16ELb1ELb0ELc84ELc85EKddEviT_T0_PT6_S1_lS4_S1_lS2_PT7_S1_li
	.p2align	8
	.type	_ZL41rocblas_syrkx_herkx_small_restrict_kernelIldLi16ELb1ELb0ELc84ELc85EKddEviT_T0_PT6_S1_lS4_S1_lS2_PT7_S1_li,@function
_ZL41rocblas_syrkx_herkx_small_restrict_kernelIldLi16ELb1ELb0ELc84ELc85EKddEviT_T0_PT6_S1_lS4_S1_lS2_PT7_S1_li: ; @_ZL41rocblas_syrkx_herkx_small_restrict_kernelIldLi16ELb1ELb0ELc84ELc85EKddEviT_T0_PT6_S1_lS4_S1_lS2_PT7_S1_li
; %bb.0:
	s_load_b512 s[16:31], s[0:1], 0x8
	v_and_b32_e32 v3, 0x3ff, v0
	v_bfe_u32 v2, v0, 10, 10
	s_delay_alu instid0(VALU_DEP_2) | instskip(NEXT) | instid1(VALU_DEP_2)
	v_lshl_add_u32 v0, s13, 4, v3
	v_lshl_add_u32 v8, s14, 4, v2
	s_delay_alu instid0(VALU_DEP_2) | instskip(NEXT) | instid1(VALU_DEP_2)
	v_ashrrev_i32_e32 v1, 31, v0
	v_ashrrev_i32_e32 v9, 31, v8
	s_waitcnt lgkmcnt(0)
	v_cmp_lt_i64_e64 s2, s[16:17], 1
	s_delay_alu instid0(VALU_DEP_1)
	s_and_b32 vcc_lo, exec_lo, s2
	s_cbranch_vccnz .LBB1042_6
; %bb.1:
	v_mul_lo_u32 v7, s29, v8
	v_mul_lo_u32 v13, s28, v9
	v_mad_u64_u32 v[4:5], null, s28, v8, 0
	v_lshlrev_b32_e32 v6, 7, v2
	v_lshlrev_b32_e32 v10, 3, v3
	v_mul_lo_u32 v14, s23, v0
	v_mul_lo_u32 v15, s22, v1
	s_mul_i32 s2, s31, s15
	v_add_nc_u32_e32 v12, 0x800, v6
	v_add_nc_u32_e32 v11, v10, v6
	v_add3_u32 v5, v5, v13, v7
	v_mad_u64_u32 v[6:7], null, s22, v0, 0
	s_mul_hi_u32 s3, s30, s15
	s_delay_alu instid0(VALU_DEP_2) | instskip(SKIP_2) | instid1(VALU_DEP_2)
	v_lshlrev_b64 v[3:4], 3, v[4:5]
	s_add_i32 s3, s3, s2
	s_mul_i32 s2, s30, s15
	v_add3_u32 v7, v7, v15, v14
	s_lshl_b64 s[2:3], s[2:3], 3
	s_delay_alu instid0(VALU_DEP_2) | instid1(SALU_CYCLE_1)
	v_add_co_u32 v5, vcc_lo, v3, s2
	v_add_co_ci_u32_e32 v14, vcc_lo, s3, v4, vcc_lo
	s_mul_i32 s2, s25, s15
	s_mul_hi_u32 s3, s24, s15
	v_lshlrev_b64 v[3:4], 3, v[6:7]
	s_add_i32 s3, s3, s2
	s_mul_i32 s2, s24, s15
	v_add_co_u32 v5, vcc_lo, v5, v10
	s_lshl_b64 s[2:3], s[2:3], 3
	v_add_co_ci_u32_e32 v6, vcc_lo, 0, v14, vcc_lo
	v_add_co_u32 v7, vcc_lo, v3, s2
	v_lshlrev_b32_e32 v14, 3, v2
	v_add_co_ci_u32_e32 v4, vcc_lo, s3, v4, vcc_lo
	v_add_co_u32 v2, vcc_lo, s26, v5
	v_add_co_ci_u32_e32 v3, vcc_lo, s27, v6, vcc_lo
	s_delay_alu instid0(VALU_DEP_4) | instskip(SKIP_2) | instid1(VALU_DEP_3)
	v_add_co_u32 v5, vcc_lo, v7, v14
	v_mov_b32_e32 v6, 0
	v_add_co_ci_u32_e32 v14, vcc_lo, 0, v4, vcc_lo
	v_add_co_u32 v4, vcc_lo, s20, v5
	v_mov_b32_e32 v7, 0
	v_add_nc_u32_e32 v13, v12, v10
	s_delay_alu instid0(VALU_DEP_4)
	v_add_co_ci_u32_e32 v5, vcc_lo, s21, v14, vcc_lo
	s_mov_b64 s[2:3], 0
.LBB1042_2:                             ; =>This Inner Loop Header: Depth=1
	global_load_b64 v[14:15], v[4:5], off
	global_load_b64 v[16:17], v[2:3], off
	s_add_u32 s2, s2, 16
	v_add_co_u32 v2, vcc_lo, 0x80, v2
	s_addc_u32 s3, s3, 0
	v_add_co_ci_u32_e32 v3, vcc_lo, 0, v3, vcc_lo
	v_cmp_lt_i64_e64 s4, s[2:3], s[16:17]
	v_add_co_u32 v4, vcc_lo, 0x80, v4
	v_add_co_ci_u32_e32 v5, vcc_lo, 0, v5, vcc_lo
	s_waitcnt vmcnt(1)
	ds_store_b64 v11, v[14:15]
	s_waitcnt vmcnt(0)
	ds_store_b64 v13, v[16:17]
	s_waitcnt lgkmcnt(0)
	s_barrier
	buffer_gl0_inv
	ds_load_2addr_b64 v[14:17], v10 offset1:16
	ds_load_b128 v[18:21], v12
	ds_load_b128 v[22:25], v12 offset:16
	s_and_b32 vcc_lo, exec_lo, s4
	s_waitcnt lgkmcnt(1)
	v_fma_f64 v[6:7], v[14:15], v[18:19], v[6:7]
	s_delay_alu instid0(VALU_DEP_1) | instskip(SKIP_3) | instid1(VALU_DEP_1)
	v_fma_f64 v[6:7], v[16:17], v[20:21], v[6:7]
	ds_load_2addr_b64 v[14:17], v10 offset0:32 offset1:48
	s_waitcnt lgkmcnt(0)
	v_fma_f64 v[6:7], v[14:15], v[22:23], v[6:7]
	v_fma_f64 v[6:7], v[16:17], v[24:25], v[6:7]
	ds_load_2addr_b64 v[14:17], v10 offset0:64 offset1:80
	ds_load_b128 v[18:21], v12 offset:32
	ds_load_b128 v[22:25], v12 offset:48
	s_waitcnt lgkmcnt(1)
	v_fma_f64 v[6:7], v[14:15], v[18:19], v[6:7]
	s_delay_alu instid0(VALU_DEP_1) | instskip(SKIP_3) | instid1(VALU_DEP_1)
	v_fma_f64 v[6:7], v[16:17], v[20:21], v[6:7]
	ds_load_2addr_b64 v[14:17], v10 offset0:96 offset1:112
	s_waitcnt lgkmcnt(0)
	v_fma_f64 v[6:7], v[14:15], v[22:23], v[6:7]
	v_fma_f64 v[6:7], v[16:17], v[24:25], v[6:7]
	ds_load_2addr_b64 v[14:17], v10 offset0:128 offset1:144
	ds_load_b128 v[18:21], v12 offset:64
	ds_load_b128 v[22:25], v12 offset:80
	s_waitcnt lgkmcnt(1)
	v_fma_f64 v[6:7], v[14:15], v[18:19], v[6:7]
	s_delay_alu instid0(VALU_DEP_1) | instskip(SKIP_3) | instid1(VALU_DEP_1)
	v_fma_f64 v[6:7], v[16:17], v[20:21], v[6:7]
	ds_load_2addr_b64 v[14:17], v10 offset0:160 offset1:176
	s_waitcnt lgkmcnt(0)
	v_fma_f64 v[6:7], v[14:15], v[22:23], v[6:7]
	v_fma_f64 v[6:7], v[16:17], v[24:25], v[6:7]
	ds_load_2addr_b64 v[14:17], v10 offset0:192 offset1:208
	ds_load_b128 v[18:21], v12 offset:96
	ds_load_b128 v[22:25], v12 offset:112
	s_waitcnt lgkmcnt(1)
	v_fma_f64 v[6:7], v[14:15], v[18:19], v[6:7]
	s_delay_alu instid0(VALU_DEP_1)
	v_fma_f64 v[6:7], v[16:17], v[20:21], v[6:7]
	ds_load_2addr_b64 v[14:17], v10 offset0:224 offset1:240
	s_waitcnt lgkmcnt(0)
	s_barrier
	buffer_gl0_inv
	v_fma_f64 v[6:7], v[14:15], v[22:23], v[6:7]
	s_delay_alu instid0(VALU_DEP_1)
	v_fma_f64 v[6:7], v[16:17], v[24:25], v[6:7]
	s_cbranch_vccnz .LBB1042_2
; %bb.3:
	s_mov_b32 s2, exec_lo
	v_cmpx_le_i32_e64 v0, v8
	s_cbranch_execz .LBB1042_5
.LBB1042_4:
	s_clause 0x1
	s_load_b128 s[4:7], s[0:1], 0x50
	s_load_b64 s[0:1], s[0:1], 0x60
	s_delay_alu instid0(VALU_DEP_2)
	v_mul_f64 v[2:3], v[6:7], s[18:19]
	v_lshlrev_b64 v[0:1], 3, v[0:1]
	s_waitcnt lgkmcnt(0)
	v_mul_lo_u32 v6, v8, s7
	v_mul_lo_u32 v7, v9, s6
	v_mad_u64_u32 v[4:5], null, v8, s6, 0
	s_mul_i32 s1, s15, s1
	s_mul_hi_u32 s2, s15, s0
	s_mul_i32 s0, s15, s0
	s_add_i32 s1, s2, s1
	s_delay_alu instid0(SALU_CYCLE_1) | instskip(NEXT) | instid1(VALU_DEP_1)
	s_lshl_b64 s[0:1], s[0:1], 3
	v_add3_u32 v5, v5, v6, v7
	s_add_u32 s0, s4, s0
	s_addc_u32 s1, s5, s1
	s_delay_alu instid0(VALU_DEP_1) | instskip(NEXT) | instid1(VALU_DEP_1)
	v_lshlrev_b64 v[4:5], 3, v[4:5]
	v_add_co_u32 v4, vcc_lo, s0, v4
	s_delay_alu instid0(VALU_DEP_2) | instskip(NEXT) | instid1(VALU_DEP_2)
	v_add_co_ci_u32_e32 v5, vcc_lo, s1, v5, vcc_lo
	v_add_co_u32 v0, vcc_lo, v4, v0
	s_delay_alu instid0(VALU_DEP_2)
	v_add_co_ci_u32_e32 v1, vcc_lo, v5, v1, vcc_lo
	global_store_b64 v[0:1], v[2:3], off
.LBB1042_5:
	s_nop 0
	s_sendmsg sendmsg(MSG_DEALLOC_VGPRS)
	s_endpgm
.LBB1042_6:
	v_mov_b32_e32 v6, 0
	v_mov_b32_e32 v7, 0
	s_mov_b32 s2, exec_lo
	v_cmpx_le_i32_e64 v0, v8
	s_cbranch_execnz .LBB1042_4
	s_branch .LBB1042_5
	.section	.rodata,"a",@progbits
	.p2align	6, 0x0
	.amdhsa_kernel _ZL41rocblas_syrkx_herkx_small_restrict_kernelIldLi16ELb1ELb0ELc84ELc85EKddEviT_T0_PT6_S1_lS4_S1_lS2_PT7_S1_li
		.amdhsa_group_segment_fixed_size 4096
		.amdhsa_private_segment_fixed_size 0
		.amdhsa_kernarg_size 108
		.amdhsa_user_sgpr_count 13
		.amdhsa_user_sgpr_dispatch_ptr 0
		.amdhsa_user_sgpr_queue_ptr 0
		.amdhsa_user_sgpr_kernarg_segment_ptr 1
		.amdhsa_user_sgpr_dispatch_id 0
		.amdhsa_user_sgpr_private_segment_size 0
		.amdhsa_wavefront_size32 1
		.amdhsa_uses_dynamic_stack 0
		.amdhsa_enable_private_segment 0
		.amdhsa_system_sgpr_workgroup_id_x 1
		.amdhsa_system_sgpr_workgroup_id_y 1
		.amdhsa_system_sgpr_workgroup_id_z 1
		.amdhsa_system_sgpr_workgroup_info 0
		.amdhsa_system_vgpr_workitem_id 1
		.amdhsa_next_free_vgpr 26
		.amdhsa_next_free_sgpr 32
		.amdhsa_reserve_vcc 1
		.amdhsa_float_round_mode_32 0
		.amdhsa_float_round_mode_16_64 0
		.amdhsa_float_denorm_mode_32 3
		.amdhsa_float_denorm_mode_16_64 3
		.amdhsa_dx10_clamp 1
		.amdhsa_ieee_mode 1
		.amdhsa_fp16_overflow 0
		.amdhsa_workgroup_processor_mode 1
		.amdhsa_memory_ordered 1
		.amdhsa_forward_progress 0
		.amdhsa_shared_vgpr_count 0
		.amdhsa_exception_fp_ieee_invalid_op 0
		.amdhsa_exception_fp_denorm_src 0
		.amdhsa_exception_fp_ieee_div_zero 0
		.amdhsa_exception_fp_ieee_overflow 0
		.amdhsa_exception_fp_ieee_underflow 0
		.amdhsa_exception_fp_ieee_inexact 0
		.amdhsa_exception_int_div_zero 0
	.end_amdhsa_kernel
	.section	.text._ZL41rocblas_syrkx_herkx_small_restrict_kernelIldLi16ELb1ELb0ELc84ELc85EKddEviT_T0_PT6_S1_lS4_S1_lS2_PT7_S1_li,"axG",@progbits,_ZL41rocblas_syrkx_herkx_small_restrict_kernelIldLi16ELb1ELb0ELc84ELc85EKddEviT_T0_PT6_S1_lS4_S1_lS2_PT7_S1_li,comdat
.Lfunc_end1042:
	.size	_ZL41rocblas_syrkx_herkx_small_restrict_kernelIldLi16ELb1ELb0ELc84ELc85EKddEviT_T0_PT6_S1_lS4_S1_lS2_PT7_S1_li, .Lfunc_end1042-_ZL41rocblas_syrkx_herkx_small_restrict_kernelIldLi16ELb1ELb0ELc84ELc85EKddEviT_T0_PT6_S1_lS4_S1_lS2_PT7_S1_li
                                        ; -- End function
	.section	.AMDGPU.csdata,"",@progbits
; Kernel info:
; codeLenInByte = 976
; NumSgprs: 34
; NumVgprs: 26
; ScratchSize: 0
; MemoryBound: 0
; FloatMode: 240
; IeeeMode: 1
; LDSByteSize: 4096 bytes/workgroup (compile time only)
; SGPRBlocks: 4
; VGPRBlocks: 3
; NumSGPRsForWavesPerEU: 34
; NumVGPRsForWavesPerEU: 26
; Occupancy: 16
; WaveLimiterHint : 0
; COMPUTE_PGM_RSRC2:SCRATCH_EN: 0
; COMPUTE_PGM_RSRC2:USER_SGPR: 13
; COMPUTE_PGM_RSRC2:TRAP_HANDLER: 0
; COMPUTE_PGM_RSRC2:TGID_X_EN: 1
; COMPUTE_PGM_RSRC2:TGID_Y_EN: 1
; COMPUTE_PGM_RSRC2:TGID_Z_EN: 1
; COMPUTE_PGM_RSRC2:TIDIG_COMP_CNT: 1
	.section	.text._ZL41rocblas_syrkx_herkx_small_restrict_kernelIldLi16ELb1ELb0ELc67ELc85EKddEviT_T0_PT6_S1_lS4_S1_lS2_PT7_S1_li,"axG",@progbits,_ZL41rocblas_syrkx_herkx_small_restrict_kernelIldLi16ELb1ELb0ELc67ELc85EKddEviT_T0_PT6_S1_lS4_S1_lS2_PT7_S1_li,comdat
	.globl	_ZL41rocblas_syrkx_herkx_small_restrict_kernelIldLi16ELb1ELb0ELc67ELc85EKddEviT_T0_PT6_S1_lS4_S1_lS2_PT7_S1_li ; -- Begin function _ZL41rocblas_syrkx_herkx_small_restrict_kernelIldLi16ELb1ELb0ELc67ELc85EKddEviT_T0_PT6_S1_lS4_S1_lS2_PT7_S1_li
	.p2align	8
	.type	_ZL41rocblas_syrkx_herkx_small_restrict_kernelIldLi16ELb1ELb0ELc67ELc85EKddEviT_T0_PT6_S1_lS4_S1_lS2_PT7_S1_li,@function
_ZL41rocblas_syrkx_herkx_small_restrict_kernelIldLi16ELb1ELb0ELc67ELc85EKddEviT_T0_PT6_S1_lS4_S1_lS2_PT7_S1_li: ; @_ZL41rocblas_syrkx_herkx_small_restrict_kernelIldLi16ELb1ELb0ELc67ELc85EKddEviT_T0_PT6_S1_lS4_S1_lS2_PT7_S1_li
; %bb.0:
	s_load_b512 s[16:31], s[0:1], 0x8
	v_and_b32_e32 v3, 0x3ff, v0
	v_bfe_u32 v2, v0, 10, 10
	s_delay_alu instid0(VALU_DEP_2) | instskip(NEXT) | instid1(VALU_DEP_2)
	v_lshl_add_u32 v0, s13, 4, v3
	v_lshl_add_u32 v8, s14, 4, v2
	s_delay_alu instid0(VALU_DEP_2) | instskip(NEXT) | instid1(VALU_DEP_2)
	v_ashrrev_i32_e32 v1, 31, v0
	v_ashrrev_i32_e32 v9, 31, v8
	s_waitcnt lgkmcnt(0)
	v_cmp_lt_i64_e64 s2, s[16:17], 1
	s_delay_alu instid0(VALU_DEP_1)
	s_and_b32 vcc_lo, exec_lo, s2
	s_cbranch_vccnz .LBB1043_6
; %bb.1:
	v_mul_lo_u32 v7, s29, v8
	v_mul_lo_u32 v13, s28, v9
	v_mad_u64_u32 v[4:5], null, s28, v8, 0
	v_lshlrev_b32_e32 v6, 7, v2
	v_lshlrev_b32_e32 v10, 3, v3
	v_mul_lo_u32 v14, s23, v0
	v_mul_lo_u32 v15, s22, v1
	s_mul_i32 s2, s31, s15
	v_add_nc_u32_e32 v12, 0x800, v6
	v_add_nc_u32_e32 v11, v10, v6
	v_add3_u32 v5, v5, v13, v7
	v_mad_u64_u32 v[6:7], null, s22, v0, 0
	s_mul_hi_u32 s3, s30, s15
	s_delay_alu instid0(VALU_DEP_2) | instskip(SKIP_2) | instid1(VALU_DEP_2)
	v_lshlrev_b64 v[3:4], 3, v[4:5]
	s_add_i32 s3, s3, s2
	s_mul_i32 s2, s30, s15
	v_add3_u32 v7, v7, v15, v14
	s_lshl_b64 s[2:3], s[2:3], 3
	s_delay_alu instid0(VALU_DEP_2) | instid1(SALU_CYCLE_1)
	v_add_co_u32 v5, vcc_lo, v3, s2
	v_add_co_ci_u32_e32 v14, vcc_lo, s3, v4, vcc_lo
	s_mul_i32 s2, s25, s15
	s_mul_hi_u32 s3, s24, s15
	v_lshlrev_b64 v[3:4], 3, v[6:7]
	s_add_i32 s3, s3, s2
	s_mul_i32 s2, s24, s15
	v_add_co_u32 v5, vcc_lo, v5, v10
	s_lshl_b64 s[2:3], s[2:3], 3
	v_add_co_ci_u32_e32 v6, vcc_lo, 0, v14, vcc_lo
	v_add_co_u32 v7, vcc_lo, v3, s2
	v_lshlrev_b32_e32 v14, 3, v2
	v_add_co_ci_u32_e32 v4, vcc_lo, s3, v4, vcc_lo
	v_add_co_u32 v2, vcc_lo, s26, v5
	v_add_co_ci_u32_e32 v3, vcc_lo, s27, v6, vcc_lo
	s_delay_alu instid0(VALU_DEP_4) | instskip(SKIP_2) | instid1(VALU_DEP_3)
	v_add_co_u32 v5, vcc_lo, v7, v14
	v_mov_b32_e32 v6, 0
	v_add_co_ci_u32_e32 v14, vcc_lo, 0, v4, vcc_lo
	v_add_co_u32 v4, vcc_lo, s20, v5
	v_mov_b32_e32 v7, 0
	v_add_nc_u32_e32 v13, v12, v10
	s_delay_alu instid0(VALU_DEP_4)
	v_add_co_ci_u32_e32 v5, vcc_lo, s21, v14, vcc_lo
	s_mov_b64 s[2:3], 0
.LBB1043_2:                             ; =>This Inner Loop Header: Depth=1
	global_load_b64 v[14:15], v[4:5], off
	global_load_b64 v[16:17], v[2:3], off
	s_add_u32 s2, s2, 16
	v_add_co_u32 v2, vcc_lo, 0x80, v2
	s_addc_u32 s3, s3, 0
	v_add_co_ci_u32_e32 v3, vcc_lo, 0, v3, vcc_lo
	v_cmp_lt_i64_e64 s4, s[2:3], s[16:17]
	v_add_co_u32 v4, vcc_lo, 0x80, v4
	v_add_co_ci_u32_e32 v5, vcc_lo, 0, v5, vcc_lo
	s_waitcnt vmcnt(1)
	ds_store_b64 v11, v[14:15]
	s_waitcnt vmcnt(0)
	ds_store_b64 v13, v[16:17]
	s_waitcnt lgkmcnt(0)
	s_barrier
	buffer_gl0_inv
	ds_load_2addr_b64 v[14:17], v10 offset1:16
	ds_load_b128 v[18:21], v12
	ds_load_b128 v[22:25], v12 offset:16
	s_and_b32 vcc_lo, exec_lo, s4
	s_waitcnt lgkmcnt(1)
	v_fma_f64 v[6:7], v[14:15], v[18:19], v[6:7]
	s_delay_alu instid0(VALU_DEP_1) | instskip(SKIP_3) | instid1(VALU_DEP_1)
	v_fma_f64 v[6:7], v[16:17], v[20:21], v[6:7]
	ds_load_2addr_b64 v[14:17], v10 offset0:32 offset1:48
	s_waitcnt lgkmcnt(0)
	v_fma_f64 v[6:7], v[14:15], v[22:23], v[6:7]
	v_fma_f64 v[6:7], v[16:17], v[24:25], v[6:7]
	ds_load_2addr_b64 v[14:17], v10 offset0:64 offset1:80
	ds_load_b128 v[18:21], v12 offset:32
	ds_load_b128 v[22:25], v12 offset:48
	s_waitcnt lgkmcnt(1)
	v_fma_f64 v[6:7], v[14:15], v[18:19], v[6:7]
	s_delay_alu instid0(VALU_DEP_1) | instskip(SKIP_3) | instid1(VALU_DEP_1)
	v_fma_f64 v[6:7], v[16:17], v[20:21], v[6:7]
	ds_load_2addr_b64 v[14:17], v10 offset0:96 offset1:112
	s_waitcnt lgkmcnt(0)
	v_fma_f64 v[6:7], v[14:15], v[22:23], v[6:7]
	v_fma_f64 v[6:7], v[16:17], v[24:25], v[6:7]
	ds_load_2addr_b64 v[14:17], v10 offset0:128 offset1:144
	ds_load_b128 v[18:21], v12 offset:64
	ds_load_b128 v[22:25], v12 offset:80
	s_waitcnt lgkmcnt(1)
	v_fma_f64 v[6:7], v[14:15], v[18:19], v[6:7]
	s_delay_alu instid0(VALU_DEP_1) | instskip(SKIP_3) | instid1(VALU_DEP_1)
	v_fma_f64 v[6:7], v[16:17], v[20:21], v[6:7]
	ds_load_2addr_b64 v[14:17], v10 offset0:160 offset1:176
	s_waitcnt lgkmcnt(0)
	v_fma_f64 v[6:7], v[14:15], v[22:23], v[6:7]
	v_fma_f64 v[6:7], v[16:17], v[24:25], v[6:7]
	ds_load_2addr_b64 v[14:17], v10 offset0:192 offset1:208
	ds_load_b128 v[18:21], v12 offset:96
	ds_load_b128 v[22:25], v12 offset:112
	s_waitcnt lgkmcnt(1)
	v_fma_f64 v[6:7], v[14:15], v[18:19], v[6:7]
	s_delay_alu instid0(VALU_DEP_1)
	v_fma_f64 v[6:7], v[16:17], v[20:21], v[6:7]
	ds_load_2addr_b64 v[14:17], v10 offset0:224 offset1:240
	s_waitcnt lgkmcnt(0)
	s_barrier
	buffer_gl0_inv
	v_fma_f64 v[6:7], v[14:15], v[22:23], v[6:7]
	s_delay_alu instid0(VALU_DEP_1)
	v_fma_f64 v[6:7], v[16:17], v[24:25], v[6:7]
	s_cbranch_vccnz .LBB1043_2
; %bb.3:
	s_mov_b32 s2, exec_lo
	v_cmpx_le_i32_e64 v0, v8
	s_cbranch_execz .LBB1043_5
.LBB1043_4:
	s_clause 0x1
	s_load_b128 s[4:7], s[0:1], 0x50
	s_load_b64 s[0:1], s[0:1], 0x60
	s_delay_alu instid0(VALU_DEP_2)
	v_mul_f64 v[2:3], v[6:7], s[18:19]
	v_lshlrev_b64 v[0:1], 3, v[0:1]
	s_waitcnt lgkmcnt(0)
	v_mul_lo_u32 v6, v8, s7
	v_mul_lo_u32 v7, v9, s6
	v_mad_u64_u32 v[4:5], null, v8, s6, 0
	s_mul_i32 s1, s15, s1
	s_mul_hi_u32 s2, s15, s0
	s_mul_i32 s0, s15, s0
	s_add_i32 s1, s2, s1
	s_delay_alu instid0(SALU_CYCLE_1) | instskip(NEXT) | instid1(VALU_DEP_1)
	s_lshl_b64 s[0:1], s[0:1], 3
	v_add3_u32 v5, v5, v6, v7
	s_add_u32 s0, s4, s0
	s_addc_u32 s1, s5, s1
	s_delay_alu instid0(VALU_DEP_1) | instskip(NEXT) | instid1(VALU_DEP_1)
	v_lshlrev_b64 v[4:5], 3, v[4:5]
	v_add_co_u32 v4, vcc_lo, s0, v4
	s_delay_alu instid0(VALU_DEP_2) | instskip(NEXT) | instid1(VALU_DEP_2)
	v_add_co_ci_u32_e32 v5, vcc_lo, s1, v5, vcc_lo
	v_add_co_u32 v0, vcc_lo, v4, v0
	s_delay_alu instid0(VALU_DEP_2)
	v_add_co_ci_u32_e32 v1, vcc_lo, v5, v1, vcc_lo
	global_store_b64 v[0:1], v[2:3], off
.LBB1043_5:
	s_nop 0
	s_sendmsg sendmsg(MSG_DEALLOC_VGPRS)
	s_endpgm
.LBB1043_6:
	v_mov_b32_e32 v6, 0
	v_mov_b32_e32 v7, 0
	s_mov_b32 s2, exec_lo
	v_cmpx_le_i32_e64 v0, v8
	s_cbranch_execnz .LBB1043_4
	s_branch .LBB1043_5
	.section	.rodata,"a",@progbits
	.p2align	6, 0x0
	.amdhsa_kernel _ZL41rocblas_syrkx_herkx_small_restrict_kernelIldLi16ELb1ELb0ELc67ELc85EKddEviT_T0_PT6_S1_lS4_S1_lS2_PT7_S1_li
		.amdhsa_group_segment_fixed_size 4096
		.amdhsa_private_segment_fixed_size 0
		.amdhsa_kernarg_size 108
		.amdhsa_user_sgpr_count 13
		.amdhsa_user_sgpr_dispatch_ptr 0
		.amdhsa_user_sgpr_queue_ptr 0
		.amdhsa_user_sgpr_kernarg_segment_ptr 1
		.amdhsa_user_sgpr_dispatch_id 0
		.amdhsa_user_sgpr_private_segment_size 0
		.amdhsa_wavefront_size32 1
		.amdhsa_uses_dynamic_stack 0
		.amdhsa_enable_private_segment 0
		.amdhsa_system_sgpr_workgroup_id_x 1
		.amdhsa_system_sgpr_workgroup_id_y 1
		.amdhsa_system_sgpr_workgroup_id_z 1
		.amdhsa_system_sgpr_workgroup_info 0
		.amdhsa_system_vgpr_workitem_id 1
		.amdhsa_next_free_vgpr 26
		.amdhsa_next_free_sgpr 32
		.amdhsa_reserve_vcc 1
		.amdhsa_float_round_mode_32 0
		.amdhsa_float_round_mode_16_64 0
		.amdhsa_float_denorm_mode_32 3
		.amdhsa_float_denorm_mode_16_64 3
		.amdhsa_dx10_clamp 1
		.amdhsa_ieee_mode 1
		.amdhsa_fp16_overflow 0
		.amdhsa_workgroup_processor_mode 1
		.amdhsa_memory_ordered 1
		.amdhsa_forward_progress 0
		.amdhsa_shared_vgpr_count 0
		.amdhsa_exception_fp_ieee_invalid_op 0
		.amdhsa_exception_fp_denorm_src 0
		.amdhsa_exception_fp_ieee_div_zero 0
		.amdhsa_exception_fp_ieee_overflow 0
		.amdhsa_exception_fp_ieee_underflow 0
		.amdhsa_exception_fp_ieee_inexact 0
		.amdhsa_exception_int_div_zero 0
	.end_amdhsa_kernel
	.section	.text._ZL41rocblas_syrkx_herkx_small_restrict_kernelIldLi16ELb1ELb0ELc67ELc85EKddEviT_T0_PT6_S1_lS4_S1_lS2_PT7_S1_li,"axG",@progbits,_ZL41rocblas_syrkx_herkx_small_restrict_kernelIldLi16ELb1ELb0ELc67ELc85EKddEviT_T0_PT6_S1_lS4_S1_lS2_PT7_S1_li,comdat
.Lfunc_end1043:
	.size	_ZL41rocblas_syrkx_herkx_small_restrict_kernelIldLi16ELb1ELb0ELc67ELc85EKddEviT_T0_PT6_S1_lS4_S1_lS2_PT7_S1_li, .Lfunc_end1043-_ZL41rocblas_syrkx_herkx_small_restrict_kernelIldLi16ELb1ELb0ELc67ELc85EKddEviT_T0_PT6_S1_lS4_S1_lS2_PT7_S1_li
                                        ; -- End function
	.section	.AMDGPU.csdata,"",@progbits
; Kernel info:
; codeLenInByte = 976
; NumSgprs: 34
; NumVgprs: 26
; ScratchSize: 0
; MemoryBound: 0
; FloatMode: 240
; IeeeMode: 1
; LDSByteSize: 4096 bytes/workgroup (compile time only)
; SGPRBlocks: 4
; VGPRBlocks: 3
; NumSGPRsForWavesPerEU: 34
; NumVGPRsForWavesPerEU: 26
; Occupancy: 16
; WaveLimiterHint : 0
; COMPUTE_PGM_RSRC2:SCRATCH_EN: 0
; COMPUTE_PGM_RSRC2:USER_SGPR: 13
; COMPUTE_PGM_RSRC2:TRAP_HANDLER: 0
; COMPUTE_PGM_RSRC2:TGID_X_EN: 1
; COMPUTE_PGM_RSRC2:TGID_Y_EN: 1
; COMPUTE_PGM_RSRC2:TGID_Z_EN: 1
; COMPUTE_PGM_RSRC2:TIDIG_COMP_CNT: 1
	.section	.text._ZL41rocblas_syrkx_herkx_small_restrict_kernelIldLi16ELb1ELb0ELc78ELc85EKddEviT_T0_PT6_S1_lS4_S1_lS2_PT7_S1_li,"axG",@progbits,_ZL41rocblas_syrkx_herkx_small_restrict_kernelIldLi16ELb1ELb0ELc78ELc85EKddEviT_T0_PT6_S1_lS4_S1_lS2_PT7_S1_li,comdat
	.globl	_ZL41rocblas_syrkx_herkx_small_restrict_kernelIldLi16ELb1ELb0ELc78ELc85EKddEviT_T0_PT6_S1_lS4_S1_lS2_PT7_S1_li ; -- Begin function _ZL41rocblas_syrkx_herkx_small_restrict_kernelIldLi16ELb1ELb0ELc78ELc85EKddEviT_T0_PT6_S1_lS4_S1_lS2_PT7_S1_li
	.p2align	8
	.type	_ZL41rocblas_syrkx_herkx_small_restrict_kernelIldLi16ELb1ELb0ELc78ELc85EKddEviT_T0_PT6_S1_lS4_S1_lS2_PT7_S1_li,@function
_ZL41rocblas_syrkx_herkx_small_restrict_kernelIldLi16ELb1ELb0ELc78ELc85EKddEviT_T0_PT6_S1_lS4_S1_lS2_PT7_S1_li: ; @_ZL41rocblas_syrkx_herkx_small_restrict_kernelIldLi16ELb1ELb0ELc78ELc85EKddEviT_T0_PT6_S1_lS4_S1_lS2_PT7_S1_li
; %bb.0:
	s_load_b512 s[16:31], s[0:1], 0x8
	v_and_b32_e32 v5, 0x3ff, v0
	v_bfe_u32 v4, v0, 10, 10
	s_delay_alu instid0(VALU_DEP_2) | instskip(NEXT) | instid1(VALU_DEP_2)
	v_lshl_add_u32 v0, s13, 4, v5
	v_lshl_add_u32 v2, s14, 4, v4
	s_delay_alu instid0(VALU_DEP_2) | instskip(NEXT) | instid1(VALU_DEP_2)
	v_ashrrev_i32_e32 v1, 31, v0
	v_ashrrev_i32_e32 v3, 31, v2
	s_waitcnt lgkmcnt(0)
	v_cmp_lt_i64_e64 s2, s[16:17], 1
	s_delay_alu instid0(VALU_DEP_1)
	s_and_b32 vcc_lo, exec_lo, s2
	s_cbranch_vccnz .LBB1044_6
; %bb.1:
	v_mad_u64_u32 v[6:7], null, s28, v5, 0
	v_mad_u64_u32 v[8:9], null, s22, v4, 0
	v_lshlrev_b32_e32 v10, 3, v5
	v_lshlrev_b32_e32 v13, 7, v4
	s_mul_i32 s3, s31, s15
	s_mul_hi_u32 s5, s30, s15
	s_mul_i32 s2, s30, s15
	s_add_i32 s3, s5, s3
	s_delay_alu instid0(VALU_DEP_3)
	v_mad_u64_u32 v[11:12], null, s29, v5, v[7:8]
	v_mov_b32_e32 v5, v9
	s_lshl_b64 s[2:3], s[2:3], 3
	v_lshlrev_b64 v[14:15], 3, v[2:3]
	s_mul_i32 s6, s25, s15
	s_mul_hi_u32 s7, s24, s15
	v_mad_u64_u32 v[16:17], null, s23, v4, v[5:6]
	s_delay_alu instid0(VALU_DEP_4)
	v_mov_b32_e32 v7, v11
	s_mul_i32 s4, s24, s15
	s_add_i32 s5, s7, s6
	s_mov_b64 s[6:7], 0
	s_lshl_b64 s[4:5], s[4:5], 3
	v_lshlrev_b64 v[4:5], 3, v[6:7]
	s_delay_alu instid0(VALU_DEP_3) | instskip(NEXT) | instid1(VALU_DEP_2)
	v_mov_b32_e32 v9, v16
	v_add_co_u32 v6, vcc_lo, s2, v4
	s_delay_alu instid0(VALU_DEP_3) | instskip(NEXT) | instid1(VALU_DEP_3)
	v_add_co_ci_u32_e32 v7, vcc_lo, s3, v5, vcc_lo
	v_lshlrev_b64 v[4:5], 3, v[8:9]
	s_delay_alu instid0(VALU_DEP_3) | instskip(NEXT) | instid1(VALU_DEP_3)
	v_add_co_u32 v8, vcc_lo, v6, v14
	v_add_co_ci_u32_e32 v9, vcc_lo, v7, v15, vcc_lo
	v_lshlrev_b64 v[6:7], 3, v[0:1]
	s_delay_alu instid0(VALU_DEP_4) | instskip(SKIP_3) | instid1(VALU_DEP_4)
	v_add_co_u32 v14, vcc_lo, s4, v4
	v_add_co_ci_u32_e32 v15, vcc_lo, s5, v5, vcc_lo
	v_add_co_u32 v4, vcc_lo, s26, v8
	v_add_co_ci_u32_e32 v5, vcc_lo, s27, v9, vcc_lo
	v_add_co_u32 v6, vcc_lo, v14, v6
	s_delay_alu instid0(VALU_DEP_4)
	v_add_co_ci_u32_e32 v7, vcc_lo, v15, v7, vcc_lo
	v_mov_b32_e32 v8, 0
	v_add_nc_u32_e32 v12, v10, v13
	v_add_nc_u32_e32 v11, 0x800, v13
	v_add_co_u32 v6, vcc_lo, s20, v6
	v_mov_b32_e32 v9, 0
	v_add_co_ci_u32_e32 v7, vcc_lo, s21, v7, vcc_lo
	s_delay_alu instid0(VALU_DEP_4)
	v_add_nc_u32_e32 v13, v11, v10
	s_lshl_b64 s[2:3], s[28:29], 7
	s_lshl_b64 s[4:5], s[22:23], 7
.LBB1044_2:                             ; =>This Inner Loop Header: Depth=1
	global_load_b64 v[14:15], v[6:7], off
	global_load_b64 v[16:17], v[4:5], off
	s_add_u32 s6, s6, 16
	v_add_co_u32 v4, vcc_lo, v4, s2
	s_addc_u32 s7, s7, 0
	v_add_co_ci_u32_e32 v5, vcc_lo, s3, v5, vcc_lo
	v_cmp_lt_i64_e64 s8, s[6:7], s[16:17]
	v_add_co_u32 v6, vcc_lo, v6, s4
	v_add_co_ci_u32_e32 v7, vcc_lo, s5, v7, vcc_lo
	s_waitcnt vmcnt(1)
	ds_store_b64 v12, v[14:15]
	s_waitcnt vmcnt(0)
	ds_store_b64 v13, v[16:17]
	s_waitcnt lgkmcnt(0)
	s_barrier
	buffer_gl0_inv
	ds_load_2addr_b64 v[14:17], v10 offset1:16
	ds_load_b128 v[18:21], v11
	ds_load_b128 v[22:25], v11 offset:16
	s_and_b32 vcc_lo, exec_lo, s8
	s_waitcnt lgkmcnt(1)
	v_fma_f64 v[8:9], v[14:15], v[18:19], v[8:9]
	s_delay_alu instid0(VALU_DEP_1) | instskip(SKIP_3) | instid1(VALU_DEP_1)
	v_fma_f64 v[8:9], v[16:17], v[20:21], v[8:9]
	ds_load_2addr_b64 v[14:17], v10 offset0:32 offset1:48
	s_waitcnt lgkmcnt(0)
	v_fma_f64 v[8:9], v[14:15], v[22:23], v[8:9]
	v_fma_f64 v[8:9], v[16:17], v[24:25], v[8:9]
	ds_load_2addr_b64 v[14:17], v10 offset0:64 offset1:80
	ds_load_b128 v[18:21], v11 offset:32
	ds_load_b128 v[22:25], v11 offset:48
	s_waitcnt lgkmcnt(1)
	v_fma_f64 v[8:9], v[14:15], v[18:19], v[8:9]
	s_delay_alu instid0(VALU_DEP_1) | instskip(SKIP_3) | instid1(VALU_DEP_1)
	v_fma_f64 v[8:9], v[16:17], v[20:21], v[8:9]
	ds_load_2addr_b64 v[14:17], v10 offset0:96 offset1:112
	s_waitcnt lgkmcnt(0)
	v_fma_f64 v[8:9], v[14:15], v[22:23], v[8:9]
	v_fma_f64 v[8:9], v[16:17], v[24:25], v[8:9]
	ds_load_2addr_b64 v[14:17], v10 offset0:128 offset1:144
	ds_load_b128 v[18:21], v11 offset:64
	ds_load_b128 v[22:25], v11 offset:80
	;; [unrolled: 11-line block ×3, first 2 shown]
	s_waitcnt lgkmcnt(1)
	v_fma_f64 v[8:9], v[14:15], v[18:19], v[8:9]
	s_delay_alu instid0(VALU_DEP_1)
	v_fma_f64 v[8:9], v[16:17], v[20:21], v[8:9]
	ds_load_2addr_b64 v[14:17], v10 offset0:224 offset1:240
	s_waitcnt lgkmcnt(0)
	s_barrier
	buffer_gl0_inv
	v_fma_f64 v[8:9], v[14:15], v[22:23], v[8:9]
	s_delay_alu instid0(VALU_DEP_1)
	v_fma_f64 v[8:9], v[16:17], v[24:25], v[8:9]
	s_cbranch_vccnz .LBB1044_2
; %bb.3:
	s_mov_b32 s2, exec_lo
	v_cmpx_le_i32_e64 v0, v2
	s_cbranch_execz .LBB1044_5
.LBB1044_4:
	s_clause 0x1
	s_load_b128 s[4:7], s[0:1], 0x50
	s_load_b64 s[0:1], s[0:1], 0x60
	s_delay_alu instid0(VALU_DEP_2)
	v_mul_f64 v[4:5], v[8:9], s[18:19]
	v_lshlrev_b64 v[0:1], 3, v[0:1]
	s_waitcnt lgkmcnt(0)
	v_mul_lo_u32 v8, v2, s7
	v_mul_lo_u32 v3, v3, s6
	v_mad_u64_u32 v[6:7], null, v2, s6, 0
	s_mul_i32 s1, s15, s1
	s_mul_hi_u32 s2, s15, s0
	s_mul_i32 s0, s15, s0
	s_add_i32 s1, s2, s1
	s_delay_alu instid0(SALU_CYCLE_1) | instskip(NEXT) | instid1(VALU_DEP_1)
	s_lshl_b64 s[0:1], s[0:1], 3
	v_add3_u32 v7, v7, v8, v3
	s_add_u32 s0, s4, s0
	s_addc_u32 s1, s5, s1
	s_delay_alu instid0(VALU_DEP_1) | instskip(NEXT) | instid1(VALU_DEP_1)
	v_lshlrev_b64 v[2:3], 3, v[6:7]
	v_add_co_u32 v2, vcc_lo, s0, v2
	s_delay_alu instid0(VALU_DEP_2) | instskip(NEXT) | instid1(VALU_DEP_2)
	v_add_co_ci_u32_e32 v3, vcc_lo, s1, v3, vcc_lo
	v_add_co_u32 v0, vcc_lo, v2, v0
	s_delay_alu instid0(VALU_DEP_2)
	v_add_co_ci_u32_e32 v1, vcc_lo, v3, v1, vcc_lo
	global_store_b64 v[0:1], v[4:5], off
.LBB1044_5:
	s_nop 0
	s_sendmsg sendmsg(MSG_DEALLOC_VGPRS)
	s_endpgm
.LBB1044_6:
	v_mov_b32_e32 v8, 0
	v_mov_b32_e32 v9, 0
	s_mov_b32 s2, exec_lo
	v_cmpx_le_i32_e64 v0, v2
	s_cbranch_execnz .LBB1044_4
	s_branch .LBB1044_5
	.section	.rodata,"a",@progbits
	.p2align	6, 0x0
	.amdhsa_kernel _ZL41rocblas_syrkx_herkx_small_restrict_kernelIldLi16ELb1ELb0ELc78ELc85EKddEviT_T0_PT6_S1_lS4_S1_lS2_PT7_S1_li
		.amdhsa_group_segment_fixed_size 4096
		.amdhsa_private_segment_fixed_size 0
		.amdhsa_kernarg_size 108
		.amdhsa_user_sgpr_count 13
		.amdhsa_user_sgpr_dispatch_ptr 0
		.amdhsa_user_sgpr_queue_ptr 0
		.amdhsa_user_sgpr_kernarg_segment_ptr 1
		.amdhsa_user_sgpr_dispatch_id 0
		.amdhsa_user_sgpr_private_segment_size 0
		.amdhsa_wavefront_size32 1
		.amdhsa_uses_dynamic_stack 0
		.amdhsa_enable_private_segment 0
		.amdhsa_system_sgpr_workgroup_id_x 1
		.amdhsa_system_sgpr_workgroup_id_y 1
		.amdhsa_system_sgpr_workgroup_id_z 1
		.amdhsa_system_sgpr_workgroup_info 0
		.amdhsa_system_vgpr_workitem_id 1
		.amdhsa_next_free_vgpr 26
		.amdhsa_next_free_sgpr 32
		.amdhsa_reserve_vcc 1
		.amdhsa_float_round_mode_32 0
		.amdhsa_float_round_mode_16_64 0
		.amdhsa_float_denorm_mode_32 3
		.amdhsa_float_denorm_mode_16_64 3
		.amdhsa_dx10_clamp 1
		.amdhsa_ieee_mode 1
		.amdhsa_fp16_overflow 0
		.amdhsa_workgroup_processor_mode 1
		.amdhsa_memory_ordered 1
		.amdhsa_forward_progress 0
		.amdhsa_shared_vgpr_count 0
		.amdhsa_exception_fp_ieee_invalid_op 0
		.amdhsa_exception_fp_denorm_src 0
		.amdhsa_exception_fp_ieee_div_zero 0
		.amdhsa_exception_fp_ieee_overflow 0
		.amdhsa_exception_fp_ieee_underflow 0
		.amdhsa_exception_fp_ieee_inexact 0
		.amdhsa_exception_int_div_zero 0
	.end_amdhsa_kernel
	.section	.text._ZL41rocblas_syrkx_herkx_small_restrict_kernelIldLi16ELb1ELb0ELc78ELc85EKddEviT_T0_PT6_S1_lS4_S1_lS2_PT7_S1_li,"axG",@progbits,_ZL41rocblas_syrkx_herkx_small_restrict_kernelIldLi16ELb1ELb0ELc78ELc85EKddEviT_T0_PT6_S1_lS4_S1_lS2_PT7_S1_li,comdat
.Lfunc_end1044:
	.size	_ZL41rocblas_syrkx_herkx_small_restrict_kernelIldLi16ELb1ELb0ELc78ELc85EKddEviT_T0_PT6_S1_lS4_S1_lS2_PT7_S1_li, .Lfunc_end1044-_ZL41rocblas_syrkx_herkx_small_restrict_kernelIldLi16ELb1ELb0ELc78ELc85EKddEviT_T0_PT6_S1_lS4_S1_lS2_PT7_S1_li
                                        ; -- End function
	.section	.AMDGPU.csdata,"",@progbits
; Kernel info:
; codeLenInByte = 984
; NumSgprs: 34
; NumVgprs: 26
; ScratchSize: 0
; MemoryBound: 0
; FloatMode: 240
; IeeeMode: 1
; LDSByteSize: 4096 bytes/workgroup (compile time only)
; SGPRBlocks: 4
; VGPRBlocks: 3
; NumSGPRsForWavesPerEU: 34
; NumVGPRsForWavesPerEU: 26
; Occupancy: 16
; WaveLimiterHint : 0
; COMPUTE_PGM_RSRC2:SCRATCH_EN: 0
; COMPUTE_PGM_RSRC2:USER_SGPR: 13
; COMPUTE_PGM_RSRC2:TRAP_HANDLER: 0
; COMPUTE_PGM_RSRC2:TGID_X_EN: 1
; COMPUTE_PGM_RSRC2:TGID_Y_EN: 1
; COMPUTE_PGM_RSRC2:TGID_Z_EN: 1
; COMPUTE_PGM_RSRC2:TIDIG_COMP_CNT: 1
	.section	.text._ZL41rocblas_syrkx_herkx_small_restrict_kernelIldLi16ELb0ELb0ELc84ELc76EKddEviT_T0_PT6_S1_lS4_S1_lS2_PT7_S1_li,"axG",@progbits,_ZL41rocblas_syrkx_herkx_small_restrict_kernelIldLi16ELb0ELb0ELc84ELc76EKddEviT_T0_PT6_S1_lS4_S1_lS2_PT7_S1_li,comdat
	.globl	_ZL41rocblas_syrkx_herkx_small_restrict_kernelIldLi16ELb0ELb0ELc84ELc76EKddEviT_T0_PT6_S1_lS4_S1_lS2_PT7_S1_li ; -- Begin function _ZL41rocblas_syrkx_herkx_small_restrict_kernelIldLi16ELb0ELb0ELc84ELc76EKddEviT_T0_PT6_S1_lS4_S1_lS2_PT7_S1_li
	.p2align	8
	.type	_ZL41rocblas_syrkx_herkx_small_restrict_kernelIldLi16ELb0ELb0ELc84ELc76EKddEviT_T0_PT6_S1_lS4_S1_lS2_PT7_S1_li,@function
_ZL41rocblas_syrkx_herkx_small_restrict_kernelIldLi16ELb0ELb0ELc84ELc76EKddEviT_T0_PT6_S1_lS4_S1_lS2_PT7_S1_li: ; @_ZL41rocblas_syrkx_herkx_small_restrict_kernelIldLi16ELb0ELb0ELc84ELc76EKddEviT_T0_PT6_S1_lS4_S1_lS2_PT7_S1_li
; %bb.0:
	s_load_b512 s[16:31], s[0:1], 0x8
	v_and_b32_e32 v3, 0x3ff, v0
	v_bfe_u32 v2, v0, 10, 10
	s_delay_alu instid0(VALU_DEP_2) | instskip(NEXT) | instid1(VALU_DEP_2)
	v_lshl_add_u32 v0, s13, 4, v3
	v_lshl_add_u32 v8, s14, 4, v2
	s_delay_alu instid0(VALU_DEP_2) | instskip(NEXT) | instid1(VALU_DEP_2)
	v_ashrrev_i32_e32 v1, 31, v0
	v_ashrrev_i32_e32 v9, 31, v8
	s_waitcnt lgkmcnt(0)
	v_cmp_lt_i64_e64 s2, s[16:17], 1
	s_delay_alu instid0(VALU_DEP_1)
	s_and_b32 vcc_lo, exec_lo, s2
	s_cbranch_vccnz .LBB1045_6
; %bb.1:
	v_mul_lo_u32 v7, s29, v8
	v_mul_lo_u32 v13, s28, v9
	v_mad_u64_u32 v[4:5], null, s28, v8, 0
	v_lshlrev_b32_e32 v6, 7, v2
	v_lshlrev_b32_e32 v10, 3, v3
	v_mul_lo_u32 v14, s23, v0
	v_mul_lo_u32 v15, s22, v1
	s_mul_i32 s2, s31, s15
	v_add_nc_u32_e32 v12, 0x800, v6
	v_add_nc_u32_e32 v11, v10, v6
	v_add3_u32 v5, v5, v13, v7
	v_mad_u64_u32 v[6:7], null, s22, v0, 0
	s_mul_hi_u32 s3, s30, s15
	s_delay_alu instid0(VALU_DEP_2) | instskip(SKIP_2) | instid1(VALU_DEP_2)
	v_lshlrev_b64 v[3:4], 3, v[4:5]
	s_add_i32 s3, s3, s2
	s_mul_i32 s2, s30, s15
	v_add3_u32 v7, v7, v15, v14
	s_lshl_b64 s[2:3], s[2:3], 3
	s_delay_alu instid0(VALU_DEP_2) | instid1(SALU_CYCLE_1)
	v_add_co_u32 v5, vcc_lo, v3, s2
	v_add_co_ci_u32_e32 v14, vcc_lo, s3, v4, vcc_lo
	s_mul_i32 s2, s25, s15
	s_mul_hi_u32 s3, s24, s15
	v_lshlrev_b64 v[3:4], 3, v[6:7]
	s_add_i32 s3, s3, s2
	s_mul_i32 s2, s24, s15
	v_add_co_u32 v5, vcc_lo, v5, v10
	s_lshl_b64 s[2:3], s[2:3], 3
	v_add_co_ci_u32_e32 v6, vcc_lo, 0, v14, vcc_lo
	v_add_co_u32 v7, vcc_lo, v3, s2
	v_lshlrev_b32_e32 v14, 3, v2
	v_add_co_ci_u32_e32 v4, vcc_lo, s3, v4, vcc_lo
	v_add_co_u32 v2, vcc_lo, s26, v5
	v_add_co_ci_u32_e32 v3, vcc_lo, s27, v6, vcc_lo
	s_delay_alu instid0(VALU_DEP_4) | instskip(SKIP_2) | instid1(VALU_DEP_3)
	v_add_co_u32 v5, vcc_lo, v7, v14
	v_mov_b32_e32 v6, 0
	v_add_co_ci_u32_e32 v14, vcc_lo, 0, v4, vcc_lo
	v_add_co_u32 v4, vcc_lo, s20, v5
	v_mov_b32_e32 v7, 0
	v_add_nc_u32_e32 v13, v12, v10
	s_delay_alu instid0(VALU_DEP_4)
	v_add_co_ci_u32_e32 v5, vcc_lo, s21, v14, vcc_lo
	s_mov_b64 s[2:3], 0
.LBB1045_2:                             ; =>This Inner Loop Header: Depth=1
	global_load_b64 v[14:15], v[4:5], off
	global_load_b64 v[16:17], v[2:3], off
	s_add_u32 s2, s2, 16
	v_add_co_u32 v2, vcc_lo, 0x80, v2
	s_addc_u32 s3, s3, 0
	v_add_co_ci_u32_e32 v3, vcc_lo, 0, v3, vcc_lo
	v_cmp_lt_i64_e64 s4, s[2:3], s[16:17]
	v_add_co_u32 v4, vcc_lo, 0x80, v4
	v_add_co_ci_u32_e32 v5, vcc_lo, 0, v5, vcc_lo
	s_waitcnt vmcnt(1)
	ds_store_b64 v11, v[14:15]
	s_waitcnt vmcnt(0)
	ds_store_b64 v13, v[16:17]
	s_waitcnt lgkmcnt(0)
	s_barrier
	buffer_gl0_inv
	ds_load_2addr_b64 v[14:17], v10 offset1:16
	ds_load_b128 v[18:21], v12
	ds_load_b128 v[22:25], v12 offset:16
	s_and_b32 vcc_lo, exec_lo, s4
	s_waitcnt lgkmcnt(1)
	v_fma_f64 v[6:7], v[14:15], v[18:19], v[6:7]
	s_delay_alu instid0(VALU_DEP_1) | instskip(SKIP_3) | instid1(VALU_DEP_1)
	v_fma_f64 v[6:7], v[16:17], v[20:21], v[6:7]
	ds_load_2addr_b64 v[14:17], v10 offset0:32 offset1:48
	s_waitcnt lgkmcnt(0)
	v_fma_f64 v[6:7], v[14:15], v[22:23], v[6:7]
	v_fma_f64 v[6:7], v[16:17], v[24:25], v[6:7]
	ds_load_2addr_b64 v[14:17], v10 offset0:64 offset1:80
	ds_load_b128 v[18:21], v12 offset:32
	ds_load_b128 v[22:25], v12 offset:48
	s_waitcnt lgkmcnt(1)
	v_fma_f64 v[6:7], v[14:15], v[18:19], v[6:7]
	s_delay_alu instid0(VALU_DEP_1) | instskip(SKIP_3) | instid1(VALU_DEP_1)
	v_fma_f64 v[6:7], v[16:17], v[20:21], v[6:7]
	ds_load_2addr_b64 v[14:17], v10 offset0:96 offset1:112
	s_waitcnt lgkmcnt(0)
	v_fma_f64 v[6:7], v[14:15], v[22:23], v[6:7]
	v_fma_f64 v[6:7], v[16:17], v[24:25], v[6:7]
	ds_load_2addr_b64 v[14:17], v10 offset0:128 offset1:144
	ds_load_b128 v[18:21], v12 offset:64
	ds_load_b128 v[22:25], v12 offset:80
	;; [unrolled: 11-line block ×3, first 2 shown]
	s_waitcnt lgkmcnt(1)
	v_fma_f64 v[6:7], v[14:15], v[18:19], v[6:7]
	s_delay_alu instid0(VALU_DEP_1)
	v_fma_f64 v[6:7], v[16:17], v[20:21], v[6:7]
	ds_load_2addr_b64 v[14:17], v10 offset0:224 offset1:240
	s_waitcnt lgkmcnt(0)
	s_barrier
	buffer_gl0_inv
	v_fma_f64 v[6:7], v[14:15], v[22:23], v[6:7]
	s_delay_alu instid0(VALU_DEP_1)
	v_fma_f64 v[6:7], v[16:17], v[24:25], v[6:7]
	s_cbranch_vccnz .LBB1045_2
; %bb.3:
	s_mov_b32 s2, exec_lo
	v_cmpx_le_i32_e64 v8, v0
	s_cbranch_execz .LBB1045_5
.LBB1045_4:
	s_load_b256 s[0:7], s[0:1], 0x48
	v_lshlrev_b64 v[0:1], 3, v[0:1]
	s_waitcnt lgkmcnt(0)
	v_mul_lo_u32 v4, v8, s5
	v_mul_lo_u32 v5, v9, s4
	v_mad_u64_u32 v[2:3], null, v8, s4, 0
	s_mul_i32 s5, s15, s7
	s_mul_hi_u32 s7, s15, s6
	s_mul_i32 s4, s15, s6
	s_add_i32 s5, s7, s5
	s_delay_alu instid0(SALU_CYCLE_1) | instskip(NEXT) | instid1(VALU_DEP_1)
	s_lshl_b64 s[4:5], s[4:5], 3
	v_add3_u32 v3, v3, v4, v5
	s_add_u32 s2, s2, s4
	s_addc_u32 s3, s3, s5
	s_delay_alu instid0(VALU_DEP_1) | instskip(NEXT) | instid1(VALU_DEP_1)
	v_lshlrev_b64 v[2:3], 3, v[2:3]
	v_add_co_u32 v2, vcc_lo, s2, v2
	s_delay_alu instid0(VALU_DEP_2) | instskip(NEXT) | instid1(VALU_DEP_2)
	v_add_co_ci_u32_e32 v3, vcc_lo, s3, v3, vcc_lo
	v_add_co_u32 v0, vcc_lo, v2, v0
	s_delay_alu instid0(VALU_DEP_2) | instskip(SKIP_3) | instid1(VALU_DEP_1)
	v_add_co_ci_u32_e32 v1, vcc_lo, v3, v1, vcc_lo
	global_load_b64 v[2:3], v[0:1], off
	s_waitcnt vmcnt(0)
	v_mul_f64 v[2:3], v[2:3], s[0:1]
	v_fma_f64 v[2:3], v[6:7], s[18:19], v[2:3]
	global_store_b64 v[0:1], v[2:3], off
.LBB1045_5:
	s_nop 0
	s_sendmsg sendmsg(MSG_DEALLOC_VGPRS)
	s_endpgm
.LBB1045_6:
	v_mov_b32_e32 v6, 0
	v_mov_b32_e32 v7, 0
	s_mov_b32 s2, exec_lo
	v_cmpx_le_i32_e64 v8, v0
	s_cbranch_execnz .LBB1045_4
	s_branch .LBB1045_5
	.section	.rodata,"a",@progbits
	.p2align	6, 0x0
	.amdhsa_kernel _ZL41rocblas_syrkx_herkx_small_restrict_kernelIldLi16ELb0ELb0ELc84ELc76EKddEviT_T0_PT6_S1_lS4_S1_lS2_PT7_S1_li
		.amdhsa_group_segment_fixed_size 4096
		.amdhsa_private_segment_fixed_size 0
		.amdhsa_kernarg_size 108
		.amdhsa_user_sgpr_count 13
		.amdhsa_user_sgpr_dispatch_ptr 0
		.amdhsa_user_sgpr_queue_ptr 0
		.amdhsa_user_sgpr_kernarg_segment_ptr 1
		.amdhsa_user_sgpr_dispatch_id 0
		.amdhsa_user_sgpr_private_segment_size 0
		.amdhsa_wavefront_size32 1
		.amdhsa_uses_dynamic_stack 0
		.amdhsa_enable_private_segment 0
		.amdhsa_system_sgpr_workgroup_id_x 1
		.amdhsa_system_sgpr_workgroup_id_y 1
		.amdhsa_system_sgpr_workgroup_id_z 1
		.amdhsa_system_sgpr_workgroup_info 0
		.amdhsa_system_vgpr_workitem_id 1
		.amdhsa_next_free_vgpr 26
		.amdhsa_next_free_sgpr 32
		.amdhsa_reserve_vcc 1
		.amdhsa_float_round_mode_32 0
		.amdhsa_float_round_mode_16_64 0
		.amdhsa_float_denorm_mode_32 3
		.amdhsa_float_denorm_mode_16_64 3
		.amdhsa_dx10_clamp 1
		.amdhsa_ieee_mode 1
		.amdhsa_fp16_overflow 0
		.amdhsa_workgroup_processor_mode 1
		.amdhsa_memory_ordered 1
		.amdhsa_forward_progress 0
		.amdhsa_shared_vgpr_count 0
		.amdhsa_exception_fp_ieee_invalid_op 0
		.amdhsa_exception_fp_denorm_src 0
		.amdhsa_exception_fp_ieee_div_zero 0
		.amdhsa_exception_fp_ieee_overflow 0
		.amdhsa_exception_fp_ieee_underflow 0
		.amdhsa_exception_fp_ieee_inexact 0
		.amdhsa_exception_int_div_zero 0
	.end_amdhsa_kernel
	.section	.text._ZL41rocblas_syrkx_herkx_small_restrict_kernelIldLi16ELb0ELb0ELc84ELc76EKddEviT_T0_PT6_S1_lS4_S1_lS2_PT7_S1_li,"axG",@progbits,_ZL41rocblas_syrkx_herkx_small_restrict_kernelIldLi16ELb0ELb0ELc84ELc76EKddEviT_T0_PT6_S1_lS4_S1_lS2_PT7_S1_li,comdat
.Lfunc_end1045:
	.size	_ZL41rocblas_syrkx_herkx_small_restrict_kernelIldLi16ELb0ELb0ELc84ELc76EKddEviT_T0_PT6_S1_lS4_S1_lS2_PT7_S1_li, .Lfunc_end1045-_ZL41rocblas_syrkx_herkx_small_restrict_kernelIldLi16ELb0ELb0ELc84ELc76EKddEviT_T0_PT6_S1_lS4_S1_lS2_PT7_S1_li
                                        ; -- End function
	.section	.AMDGPU.csdata,"",@progbits
; Kernel info:
; codeLenInByte = 980
; NumSgprs: 34
; NumVgprs: 26
; ScratchSize: 0
; MemoryBound: 0
; FloatMode: 240
; IeeeMode: 1
; LDSByteSize: 4096 bytes/workgroup (compile time only)
; SGPRBlocks: 4
; VGPRBlocks: 3
; NumSGPRsForWavesPerEU: 34
; NumVGPRsForWavesPerEU: 26
; Occupancy: 16
; WaveLimiterHint : 0
; COMPUTE_PGM_RSRC2:SCRATCH_EN: 0
; COMPUTE_PGM_RSRC2:USER_SGPR: 13
; COMPUTE_PGM_RSRC2:TRAP_HANDLER: 0
; COMPUTE_PGM_RSRC2:TGID_X_EN: 1
; COMPUTE_PGM_RSRC2:TGID_Y_EN: 1
; COMPUTE_PGM_RSRC2:TGID_Z_EN: 1
; COMPUTE_PGM_RSRC2:TIDIG_COMP_CNT: 1
	.section	.text._ZL41rocblas_syrkx_herkx_small_restrict_kernelIldLi16ELb0ELb0ELc67ELc76EKddEviT_T0_PT6_S1_lS4_S1_lS2_PT7_S1_li,"axG",@progbits,_ZL41rocblas_syrkx_herkx_small_restrict_kernelIldLi16ELb0ELb0ELc67ELc76EKddEviT_T0_PT6_S1_lS4_S1_lS2_PT7_S1_li,comdat
	.globl	_ZL41rocblas_syrkx_herkx_small_restrict_kernelIldLi16ELb0ELb0ELc67ELc76EKddEviT_T0_PT6_S1_lS4_S1_lS2_PT7_S1_li ; -- Begin function _ZL41rocblas_syrkx_herkx_small_restrict_kernelIldLi16ELb0ELb0ELc67ELc76EKddEviT_T0_PT6_S1_lS4_S1_lS2_PT7_S1_li
	.p2align	8
	.type	_ZL41rocblas_syrkx_herkx_small_restrict_kernelIldLi16ELb0ELb0ELc67ELc76EKddEviT_T0_PT6_S1_lS4_S1_lS2_PT7_S1_li,@function
_ZL41rocblas_syrkx_herkx_small_restrict_kernelIldLi16ELb0ELb0ELc67ELc76EKddEviT_T0_PT6_S1_lS4_S1_lS2_PT7_S1_li: ; @_ZL41rocblas_syrkx_herkx_small_restrict_kernelIldLi16ELb0ELb0ELc67ELc76EKddEviT_T0_PT6_S1_lS4_S1_lS2_PT7_S1_li
; %bb.0:
	s_load_b512 s[16:31], s[0:1], 0x8
	v_and_b32_e32 v3, 0x3ff, v0
	v_bfe_u32 v2, v0, 10, 10
	s_delay_alu instid0(VALU_DEP_2) | instskip(NEXT) | instid1(VALU_DEP_2)
	v_lshl_add_u32 v0, s13, 4, v3
	v_lshl_add_u32 v8, s14, 4, v2
	s_delay_alu instid0(VALU_DEP_2) | instskip(NEXT) | instid1(VALU_DEP_2)
	v_ashrrev_i32_e32 v1, 31, v0
	v_ashrrev_i32_e32 v9, 31, v8
	s_waitcnt lgkmcnt(0)
	v_cmp_lt_i64_e64 s2, s[16:17], 1
	s_delay_alu instid0(VALU_DEP_1)
	s_and_b32 vcc_lo, exec_lo, s2
	s_cbranch_vccnz .LBB1046_6
; %bb.1:
	v_mul_lo_u32 v7, s29, v8
	v_mul_lo_u32 v13, s28, v9
	v_mad_u64_u32 v[4:5], null, s28, v8, 0
	v_lshlrev_b32_e32 v6, 7, v2
	v_lshlrev_b32_e32 v10, 3, v3
	v_mul_lo_u32 v14, s23, v0
	v_mul_lo_u32 v15, s22, v1
	s_mul_i32 s2, s31, s15
	v_add_nc_u32_e32 v12, 0x800, v6
	v_add_nc_u32_e32 v11, v10, v6
	v_add3_u32 v5, v5, v13, v7
	v_mad_u64_u32 v[6:7], null, s22, v0, 0
	s_mul_hi_u32 s3, s30, s15
	s_delay_alu instid0(VALU_DEP_2) | instskip(SKIP_2) | instid1(VALU_DEP_2)
	v_lshlrev_b64 v[3:4], 3, v[4:5]
	s_add_i32 s3, s3, s2
	s_mul_i32 s2, s30, s15
	v_add3_u32 v7, v7, v15, v14
	s_lshl_b64 s[2:3], s[2:3], 3
	s_delay_alu instid0(VALU_DEP_2) | instid1(SALU_CYCLE_1)
	v_add_co_u32 v5, vcc_lo, v3, s2
	v_add_co_ci_u32_e32 v14, vcc_lo, s3, v4, vcc_lo
	s_mul_i32 s2, s25, s15
	s_mul_hi_u32 s3, s24, s15
	v_lshlrev_b64 v[3:4], 3, v[6:7]
	s_add_i32 s3, s3, s2
	s_mul_i32 s2, s24, s15
	v_add_co_u32 v5, vcc_lo, v5, v10
	s_lshl_b64 s[2:3], s[2:3], 3
	v_add_co_ci_u32_e32 v6, vcc_lo, 0, v14, vcc_lo
	v_add_co_u32 v7, vcc_lo, v3, s2
	v_lshlrev_b32_e32 v14, 3, v2
	v_add_co_ci_u32_e32 v4, vcc_lo, s3, v4, vcc_lo
	v_add_co_u32 v2, vcc_lo, s26, v5
	v_add_co_ci_u32_e32 v3, vcc_lo, s27, v6, vcc_lo
	s_delay_alu instid0(VALU_DEP_4) | instskip(SKIP_2) | instid1(VALU_DEP_3)
	v_add_co_u32 v5, vcc_lo, v7, v14
	v_mov_b32_e32 v6, 0
	v_add_co_ci_u32_e32 v14, vcc_lo, 0, v4, vcc_lo
	v_add_co_u32 v4, vcc_lo, s20, v5
	v_mov_b32_e32 v7, 0
	v_add_nc_u32_e32 v13, v12, v10
	s_delay_alu instid0(VALU_DEP_4)
	v_add_co_ci_u32_e32 v5, vcc_lo, s21, v14, vcc_lo
	s_mov_b64 s[2:3], 0
.LBB1046_2:                             ; =>This Inner Loop Header: Depth=1
	global_load_b64 v[14:15], v[4:5], off
	global_load_b64 v[16:17], v[2:3], off
	s_add_u32 s2, s2, 16
	v_add_co_u32 v2, vcc_lo, 0x80, v2
	s_addc_u32 s3, s3, 0
	v_add_co_ci_u32_e32 v3, vcc_lo, 0, v3, vcc_lo
	v_cmp_lt_i64_e64 s4, s[2:3], s[16:17]
	v_add_co_u32 v4, vcc_lo, 0x80, v4
	v_add_co_ci_u32_e32 v5, vcc_lo, 0, v5, vcc_lo
	s_waitcnt vmcnt(1)
	ds_store_b64 v11, v[14:15]
	s_waitcnt vmcnt(0)
	ds_store_b64 v13, v[16:17]
	s_waitcnt lgkmcnt(0)
	s_barrier
	buffer_gl0_inv
	ds_load_2addr_b64 v[14:17], v10 offset1:16
	ds_load_b128 v[18:21], v12
	ds_load_b128 v[22:25], v12 offset:16
	s_and_b32 vcc_lo, exec_lo, s4
	s_waitcnt lgkmcnt(1)
	v_fma_f64 v[6:7], v[14:15], v[18:19], v[6:7]
	s_delay_alu instid0(VALU_DEP_1) | instskip(SKIP_3) | instid1(VALU_DEP_1)
	v_fma_f64 v[6:7], v[16:17], v[20:21], v[6:7]
	ds_load_2addr_b64 v[14:17], v10 offset0:32 offset1:48
	s_waitcnt lgkmcnt(0)
	v_fma_f64 v[6:7], v[14:15], v[22:23], v[6:7]
	v_fma_f64 v[6:7], v[16:17], v[24:25], v[6:7]
	ds_load_2addr_b64 v[14:17], v10 offset0:64 offset1:80
	ds_load_b128 v[18:21], v12 offset:32
	ds_load_b128 v[22:25], v12 offset:48
	s_waitcnt lgkmcnt(1)
	v_fma_f64 v[6:7], v[14:15], v[18:19], v[6:7]
	s_delay_alu instid0(VALU_DEP_1) | instskip(SKIP_3) | instid1(VALU_DEP_1)
	v_fma_f64 v[6:7], v[16:17], v[20:21], v[6:7]
	ds_load_2addr_b64 v[14:17], v10 offset0:96 offset1:112
	s_waitcnt lgkmcnt(0)
	v_fma_f64 v[6:7], v[14:15], v[22:23], v[6:7]
	v_fma_f64 v[6:7], v[16:17], v[24:25], v[6:7]
	ds_load_2addr_b64 v[14:17], v10 offset0:128 offset1:144
	ds_load_b128 v[18:21], v12 offset:64
	ds_load_b128 v[22:25], v12 offset:80
	;; [unrolled: 11-line block ×3, first 2 shown]
	s_waitcnt lgkmcnt(1)
	v_fma_f64 v[6:7], v[14:15], v[18:19], v[6:7]
	s_delay_alu instid0(VALU_DEP_1)
	v_fma_f64 v[6:7], v[16:17], v[20:21], v[6:7]
	ds_load_2addr_b64 v[14:17], v10 offset0:224 offset1:240
	s_waitcnt lgkmcnt(0)
	s_barrier
	buffer_gl0_inv
	v_fma_f64 v[6:7], v[14:15], v[22:23], v[6:7]
	s_delay_alu instid0(VALU_DEP_1)
	v_fma_f64 v[6:7], v[16:17], v[24:25], v[6:7]
	s_cbranch_vccnz .LBB1046_2
; %bb.3:
	s_mov_b32 s2, exec_lo
	v_cmpx_le_i32_e64 v8, v0
	s_cbranch_execz .LBB1046_5
.LBB1046_4:
	s_load_b256 s[0:7], s[0:1], 0x48
	v_lshlrev_b64 v[0:1], 3, v[0:1]
	s_waitcnt lgkmcnt(0)
	v_mul_lo_u32 v4, v8, s5
	v_mul_lo_u32 v5, v9, s4
	v_mad_u64_u32 v[2:3], null, v8, s4, 0
	s_mul_i32 s5, s15, s7
	s_mul_hi_u32 s7, s15, s6
	s_mul_i32 s4, s15, s6
	s_add_i32 s5, s7, s5
	s_delay_alu instid0(SALU_CYCLE_1) | instskip(NEXT) | instid1(VALU_DEP_1)
	s_lshl_b64 s[4:5], s[4:5], 3
	v_add3_u32 v3, v3, v4, v5
	s_add_u32 s2, s2, s4
	s_addc_u32 s3, s3, s5
	s_delay_alu instid0(VALU_DEP_1) | instskip(NEXT) | instid1(VALU_DEP_1)
	v_lshlrev_b64 v[2:3], 3, v[2:3]
	v_add_co_u32 v2, vcc_lo, s2, v2
	s_delay_alu instid0(VALU_DEP_2) | instskip(NEXT) | instid1(VALU_DEP_2)
	v_add_co_ci_u32_e32 v3, vcc_lo, s3, v3, vcc_lo
	v_add_co_u32 v0, vcc_lo, v2, v0
	s_delay_alu instid0(VALU_DEP_2) | instskip(SKIP_3) | instid1(VALU_DEP_1)
	v_add_co_ci_u32_e32 v1, vcc_lo, v3, v1, vcc_lo
	global_load_b64 v[2:3], v[0:1], off
	s_waitcnt vmcnt(0)
	v_mul_f64 v[2:3], v[2:3], s[0:1]
	v_fma_f64 v[2:3], v[6:7], s[18:19], v[2:3]
	global_store_b64 v[0:1], v[2:3], off
.LBB1046_5:
	s_nop 0
	s_sendmsg sendmsg(MSG_DEALLOC_VGPRS)
	s_endpgm
.LBB1046_6:
	v_mov_b32_e32 v6, 0
	v_mov_b32_e32 v7, 0
	s_mov_b32 s2, exec_lo
	v_cmpx_le_i32_e64 v8, v0
	s_cbranch_execnz .LBB1046_4
	s_branch .LBB1046_5
	.section	.rodata,"a",@progbits
	.p2align	6, 0x0
	.amdhsa_kernel _ZL41rocblas_syrkx_herkx_small_restrict_kernelIldLi16ELb0ELb0ELc67ELc76EKddEviT_T0_PT6_S1_lS4_S1_lS2_PT7_S1_li
		.amdhsa_group_segment_fixed_size 4096
		.amdhsa_private_segment_fixed_size 0
		.amdhsa_kernarg_size 108
		.amdhsa_user_sgpr_count 13
		.amdhsa_user_sgpr_dispatch_ptr 0
		.amdhsa_user_sgpr_queue_ptr 0
		.amdhsa_user_sgpr_kernarg_segment_ptr 1
		.amdhsa_user_sgpr_dispatch_id 0
		.amdhsa_user_sgpr_private_segment_size 0
		.amdhsa_wavefront_size32 1
		.amdhsa_uses_dynamic_stack 0
		.amdhsa_enable_private_segment 0
		.amdhsa_system_sgpr_workgroup_id_x 1
		.amdhsa_system_sgpr_workgroup_id_y 1
		.amdhsa_system_sgpr_workgroup_id_z 1
		.amdhsa_system_sgpr_workgroup_info 0
		.amdhsa_system_vgpr_workitem_id 1
		.amdhsa_next_free_vgpr 26
		.amdhsa_next_free_sgpr 32
		.amdhsa_reserve_vcc 1
		.amdhsa_float_round_mode_32 0
		.amdhsa_float_round_mode_16_64 0
		.amdhsa_float_denorm_mode_32 3
		.amdhsa_float_denorm_mode_16_64 3
		.amdhsa_dx10_clamp 1
		.amdhsa_ieee_mode 1
		.amdhsa_fp16_overflow 0
		.amdhsa_workgroup_processor_mode 1
		.amdhsa_memory_ordered 1
		.amdhsa_forward_progress 0
		.amdhsa_shared_vgpr_count 0
		.amdhsa_exception_fp_ieee_invalid_op 0
		.amdhsa_exception_fp_denorm_src 0
		.amdhsa_exception_fp_ieee_div_zero 0
		.amdhsa_exception_fp_ieee_overflow 0
		.amdhsa_exception_fp_ieee_underflow 0
		.amdhsa_exception_fp_ieee_inexact 0
		.amdhsa_exception_int_div_zero 0
	.end_amdhsa_kernel
	.section	.text._ZL41rocblas_syrkx_herkx_small_restrict_kernelIldLi16ELb0ELb0ELc67ELc76EKddEviT_T0_PT6_S1_lS4_S1_lS2_PT7_S1_li,"axG",@progbits,_ZL41rocblas_syrkx_herkx_small_restrict_kernelIldLi16ELb0ELb0ELc67ELc76EKddEviT_T0_PT6_S1_lS4_S1_lS2_PT7_S1_li,comdat
.Lfunc_end1046:
	.size	_ZL41rocblas_syrkx_herkx_small_restrict_kernelIldLi16ELb0ELb0ELc67ELc76EKddEviT_T0_PT6_S1_lS4_S1_lS2_PT7_S1_li, .Lfunc_end1046-_ZL41rocblas_syrkx_herkx_small_restrict_kernelIldLi16ELb0ELb0ELc67ELc76EKddEviT_T0_PT6_S1_lS4_S1_lS2_PT7_S1_li
                                        ; -- End function
	.section	.AMDGPU.csdata,"",@progbits
; Kernel info:
; codeLenInByte = 980
; NumSgprs: 34
; NumVgprs: 26
; ScratchSize: 0
; MemoryBound: 0
; FloatMode: 240
; IeeeMode: 1
; LDSByteSize: 4096 bytes/workgroup (compile time only)
; SGPRBlocks: 4
; VGPRBlocks: 3
; NumSGPRsForWavesPerEU: 34
; NumVGPRsForWavesPerEU: 26
; Occupancy: 16
; WaveLimiterHint : 0
; COMPUTE_PGM_RSRC2:SCRATCH_EN: 0
; COMPUTE_PGM_RSRC2:USER_SGPR: 13
; COMPUTE_PGM_RSRC2:TRAP_HANDLER: 0
; COMPUTE_PGM_RSRC2:TGID_X_EN: 1
; COMPUTE_PGM_RSRC2:TGID_Y_EN: 1
; COMPUTE_PGM_RSRC2:TGID_Z_EN: 1
; COMPUTE_PGM_RSRC2:TIDIG_COMP_CNT: 1
	.section	.text._ZL41rocblas_syrkx_herkx_small_restrict_kernelIldLi16ELb0ELb0ELc78ELc76EKddEviT_T0_PT6_S1_lS4_S1_lS2_PT7_S1_li,"axG",@progbits,_ZL41rocblas_syrkx_herkx_small_restrict_kernelIldLi16ELb0ELb0ELc78ELc76EKddEviT_T0_PT6_S1_lS4_S1_lS2_PT7_S1_li,comdat
	.globl	_ZL41rocblas_syrkx_herkx_small_restrict_kernelIldLi16ELb0ELb0ELc78ELc76EKddEviT_T0_PT6_S1_lS4_S1_lS2_PT7_S1_li ; -- Begin function _ZL41rocblas_syrkx_herkx_small_restrict_kernelIldLi16ELb0ELb0ELc78ELc76EKddEviT_T0_PT6_S1_lS4_S1_lS2_PT7_S1_li
	.p2align	8
	.type	_ZL41rocblas_syrkx_herkx_small_restrict_kernelIldLi16ELb0ELb0ELc78ELc76EKddEviT_T0_PT6_S1_lS4_S1_lS2_PT7_S1_li,@function
_ZL41rocblas_syrkx_herkx_small_restrict_kernelIldLi16ELb0ELb0ELc78ELc76EKddEviT_T0_PT6_S1_lS4_S1_lS2_PT7_S1_li: ; @_ZL41rocblas_syrkx_herkx_small_restrict_kernelIldLi16ELb0ELb0ELc78ELc76EKddEviT_T0_PT6_S1_lS4_S1_lS2_PT7_S1_li
; %bb.0:
	s_load_b512 s[16:31], s[0:1], 0x8
	v_and_b32_e32 v5, 0x3ff, v0
	v_bfe_u32 v4, v0, 10, 10
	s_delay_alu instid0(VALU_DEP_2) | instskip(NEXT) | instid1(VALU_DEP_2)
	v_lshl_add_u32 v0, s13, 4, v5
	v_lshl_add_u32 v2, s14, 4, v4
	s_delay_alu instid0(VALU_DEP_2) | instskip(NEXT) | instid1(VALU_DEP_2)
	v_ashrrev_i32_e32 v1, 31, v0
	v_ashrrev_i32_e32 v3, 31, v2
	s_waitcnt lgkmcnt(0)
	v_cmp_lt_i64_e64 s2, s[16:17], 1
	s_delay_alu instid0(VALU_DEP_1)
	s_and_b32 vcc_lo, exec_lo, s2
	s_cbranch_vccnz .LBB1047_6
; %bb.1:
	v_mad_u64_u32 v[6:7], null, s28, v5, 0
	v_mad_u64_u32 v[8:9], null, s22, v4, 0
	v_lshlrev_b32_e32 v10, 3, v5
	v_lshlrev_b32_e32 v13, 7, v4
	s_mul_i32 s3, s31, s15
	s_mul_hi_u32 s5, s30, s15
	s_mul_i32 s2, s30, s15
	s_add_i32 s3, s5, s3
	s_delay_alu instid0(VALU_DEP_3)
	v_mad_u64_u32 v[11:12], null, s29, v5, v[7:8]
	v_mov_b32_e32 v5, v9
	s_lshl_b64 s[2:3], s[2:3], 3
	v_lshlrev_b64 v[14:15], 3, v[2:3]
	s_mul_i32 s6, s25, s15
	s_mul_hi_u32 s7, s24, s15
	v_mad_u64_u32 v[16:17], null, s23, v4, v[5:6]
	s_delay_alu instid0(VALU_DEP_4)
	v_mov_b32_e32 v7, v11
	s_mul_i32 s4, s24, s15
	s_add_i32 s5, s7, s6
	s_mov_b64 s[6:7], 0
	s_lshl_b64 s[4:5], s[4:5], 3
	v_lshlrev_b64 v[4:5], 3, v[6:7]
	s_delay_alu instid0(VALU_DEP_3) | instskip(NEXT) | instid1(VALU_DEP_2)
	v_mov_b32_e32 v9, v16
	v_add_co_u32 v6, vcc_lo, s2, v4
	s_delay_alu instid0(VALU_DEP_3) | instskip(NEXT) | instid1(VALU_DEP_3)
	v_add_co_ci_u32_e32 v7, vcc_lo, s3, v5, vcc_lo
	v_lshlrev_b64 v[4:5], 3, v[8:9]
	s_delay_alu instid0(VALU_DEP_3) | instskip(NEXT) | instid1(VALU_DEP_3)
	v_add_co_u32 v8, vcc_lo, v6, v14
	v_add_co_ci_u32_e32 v9, vcc_lo, v7, v15, vcc_lo
	v_lshlrev_b64 v[6:7], 3, v[0:1]
	s_delay_alu instid0(VALU_DEP_4) | instskip(SKIP_3) | instid1(VALU_DEP_4)
	v_add_co_u32 v14, vcc_lo, s4, v4
	v_add_co_ci_u32_e32 v15, vcc_lo, s5, v5, vcc_lo
	v_add_co_u32 v4, vcc_lo, s26, v8
	v_add_co_ci_u32_e32 v5, vcc_lo, s27, v9, vcc_lo
	v_add_co_u32 v6, vcc_lo, v14, v6
	s_delay_alu instid0(VALU_DEP_4)
	v_add_co_ci_u32_e32 v7, vcc_lo, v15, v7, vcc_lo
	v_mov_b32_e32 v8, 0
	v_add_nc_u32_e32 v12, v10, v13
	v_add_nc_u32_e32 v11, 0x800, v13
	v_add_co_u32 v6, vcc_lo, s20, v6
	v_mov_b32_e32 v9, 0
	v_add_co_ci_u32_e32 v7, vcc_lo, s21, v7, vcc_lo
	s_delay_alu instid0(VALU_DEP_4)
	v_add_nc_u32_e32 v13, v11, v10
	s_lshl_b64 s[2:3], s[28:29], 7
	s_lshl_b64 s[4:5], s[22:23], 7
.LBB1047_2:                             ; =>This Inner Loop Header: Depth=1
	global_load_b64 v[14:15], v[6:7], off
	global_load_b64 v[16:17], v[4:5], off
	s_add_u32 s6, s6, 16
	v_add_co_u32 v4, vcc_lo, v4, s2
	s_addc_u32 s7, s7, 0
	v_add_co_ci_u32_e32 v5, vcc_lo, s3, v5, vcc_lo
	v_cmp_lt_i64_e64 s8, s[6:7], s[16:17]
	v_add_co_u32 v6, vcc_lo, v6, s4
	v_add_co_ci_u32_e32 v7, vcc_lo, s5, v7, vcc_lo
	s_waitcnt vmcnt(1)
	ds_store_b64 v12, v[14:15]
	s_waitcnt vmcnt(0)
	ds_store_b64 v13, v[16:17]
	s_waitcnt lgkmcnt(0)
	s_barrier
	buffer_gl0_inv
	ds_load_2addr_b64 v[14:17], v10 offset1:16
	ds_load_b128 v[18:21], v11
	ds_load_b128 v[22:25], v11 offset:16
	s_and_b32 vcc_lo, exec_lo, s8
	s_waitcnt lgkmcnt(1)
	v_fma_f64 v[8:9], v[14:15], v[18:19], v[8:9]
	s_delay_alu instid0(VALU_DEP_1) | instskip(SKIP_3) | instid1(VALU_DEP_1)
	v_fma_f64 v[8:9], v[16:17], v[20:21], v[8:9]
	ds_load_2addr_b64 v[14:17], v10 offset0:32 offset1:48
	s_waitcnt lgkmcnt(0)
	v_fma_f64 v[8:9], v[14:15], v[22:23], v[8:9]
	v_fma_f64 v[8:9], v[16:17], v[24:25], v[8:9]
	ds_load_2addr_b64 v[14:17], v10 offset0:64 offset1:80
	ds_load_b128 v[18:21], v11 offset:32
	ds_load_b128 v[22:25], v11 offset:48
	s_waitcnt lgkmcnt(1)
	v_fma_f64 v[8:9], v[14:15], v[18:19], v[8:9]
	s_delay_alu instid0(VALU_DEP_1) | instskip(SKIP_3) | instid1(VALU_DEP_1)
	v_fma_f64 v[8:9], v[16:17], v[20:21], v[8:9]
	ds_load_2addr_b64 v[14:17], v10 offset0:96 offset1:112
	s_waitcnt lgkmcnt(0)
	v_fma_f64 v[8:9], v[14:15], v[22:23], v[8:9]
	v_fma_f64 v[8:9], v[16:17], v[24:25], v[8:9]
	ds_load_2addr_b64 v[14:17], v10 offset0:128 offset1:144
	ds_load_b128 v[18:21], v11 offset:64
	ds_load_b128 v[22:25], v11 offset:80
	s_waitcnt lgkmcnt(1)
	v_fma_f64 v[8:9], v[14:15], v[18:19], v[8:9]
	s_delay_alu instid0(VALU_DEP_1) | instskip(SKIP_3) | instid1(VALU_DEP_1)
	v_fma_f64 v[8:9], v[16:17], v[20:21], v[8:9]
	ds_load_2addr_b64 v[14:17], v10 offset0:160 offset1:176
	s_waitcnt lgkmcnt(0)
	v_fma_f64 v[8:9], v[14:15], v[22:23], v[8:9]
	v_fma_f64 v[8:9], v[16:17], v[24:25], v[8:9]
	ds_load_2addr_b64 v[14:17], v10 offset0:192 offset1:208
	ds_load_b128 v[18:21], v11 offset:96
	ds_load_b128 v[22:25], v11 offset:112
	s_waitcnt lgkmcnt(1)
	v_fma_f64 v[8:9], v[14:15], v[18:19], v[8:9]
	s_delay_alu instid0(VALU_DEP_1)
	v_fma_f64 v[8:9], v[16:17], v[20:21], v[8:9]
	ds_load_2addr_b64 v[14:17], v10 offset0:224 offset1:240
	s_waitcnt lgkmcnt(0)
	s_barrier
	buffer_gl0_inv
	v_fma_f64 v[8:9], v[14:15], v[22:23], v[8:9]
	s_delay_alu instid0(VALU_DEP_1)
	v_fma_f64 v[8:9], v[16:17], v[24:25], v[8:9]
	s_cbranch_vccnz .LBB1047_2
; %bb.3:
	s_mov_b32 s2, exec_lo
	v_cmpx_le_i32_e64 v2, v0
	s_cbranch_execz .LBB1047_5
.LBB1047_4:
	s_load_b256 s[0:7], s[0:1], 0x48
	v_lshlrev_b64 v[0:1], 3, v[0:1]
	s_waitcnt lgkmcnt(0)
	v_mul_lo_u32 v5, v2, s5
	v_mul_lo_u32 v6, v3, s4
	v_mad_u64_u32 v[3:4], null, v2, s4, 0
	s_mul_i32 s5, s15, s7
	s_mul_hi_u32 s7, s15, s6
	s_mul_i32 s4, s15, s6
	s_add_i32 s5, s7, s5
	s_delay_alu instid0(SALU_CYCLE_1) | instskip(NEXT) | instid1(VALU_DEP_1)
	s_lshl_b64 s[4:5], s[4:5], 3
	v_add3_u32 v4, v4, v5, v6
	s_add_u32 s2, s2, s4
	s_addc_u32 s3, s3, s5
	s_delay_alu instid0(VALU_DEP_1) | instskip(NEXT) | instid1(VALU_DEP_1)
	v_lshlrev_b64 v[2:3], 3, v[3:4]
	v_add_co_u32 v2, vcc_lo, s2, v2
	s_delay_alu instid0(VALU_DEP_2) | instskip(NEXT) | instid1(VALU_DEP_2)
	v_add_co_ci_u32_e32 v3, vcc_lo, s3, v3, vcc_lo
	v_add_co_u32 v0, vcc_lo, v2, v0
	s_delay_alu instid0(VALU_DEP_2) | instskip(SKIP_3) | instid1(VALU_DEP_1)
	v_add_co_ci_u32_e32 v1, vcc_lo, v3, v1, vcc_lo
	global_load_b64 v[2:3], v[0:1], off
	s_waitcnt vmcnt(0)
	v_mul_f64 v[2:3], v[2:3], s[0:1]
	v_fma_f64 v[2:3], v[8:9], s[18:19], v[2:3]
	global_store_b64 v[0:1], v[2:3], off
.LBB1047_5:
	s_nop 0
	s_sendmsg sendmsg(MSG_DEALLOC_VGPRS)
	s_endpgm
.LBB1047_6:
	v_mov_b32_e32 v8, 0
	v_mov_b32_e32 v9, 0
	s_mov_b32 s2, exec_lo
	v_cmpx_le_i32_e64 v2, v0
	s_cbranch_execnz .LBB1047_4
	s_branch .LBB1047_5
	.section	.rodata,"a",@progbits
	.p2align	6, 0x0
	.amdhsa_kernel _ZL41rocblas_syrkx_herkx_small_restrict_kernelIldLi16ELb0ELb0ELc78ELc76EKddEviT_T0_PT6_S1_lS4_S1_lS2_PT7_S1_li
		.amdhsa_group_segment_fixed_size 4096
		.amdhsa_private_segment_fixed_size 0
		.amdhsa_kernarg_size 108
		.amdhsa_user_sgpr_count 13
		.amdhsa_user_sgpr_dispatch_ptr 0
		.amdhsa_user_sgpr_queue_ptr 0
		.amdhsa_user_sgpr_kernarg_segment_ptr 1
		.amdhsa_user_sgpr_dispatch_id 0
		.amdhsa_user_sgpr_private_segment_size 0
		.amdhsa_wavefront_size32 1
		.amdhsa_uses_dynamic_stack 0
		.amdhsa_enable_private_segment 0
		.amdhsa_system_sgpr_workgroup_id_x 1
		.amdhsa_system_sgpr_workgroup_id_y 1
		.amdhsa_system_sgpr_workgroup_id_z 1
		.amdhsa_system_sgpr_workgroup_info 0
		.amdhsa_system_vgpr_workitem_id 1
		.amdhsa_next_free_vgpr 26
		.amdhsa_next_free_sgpr 32
		.amdhsa_reserve_vcc 1
		.amdhsa_float_round_mode_32 0
		.amdhsa_float_round_mode_16_64 0
		.amdhsa_float_denorm_mode_32 3
		.amdhsa_float_denorm_mode_16_64 3
		.amdhsa_dx10_clamp 1
		.amdhsa_ieee_mode 1
		.amdhsa_fp16_overflow 0
		.amdhsa_workgroup_processor_mode 1
		.amdhsa_memory_ordered 1
		.amdhsa_forward_progress 0
		.amdhsa_shared_vgpr_count 0
		.amdhsa_exception_fp_ieee_invalid_op 0
		.amdhsa_exception_fp_denorm_src 0
		.amdhsa_exception_fp_ieee_div_zero 0
		.amdhsa_exception_fp_ieee_overflow 0
		.amdhsa_exception_fp_ieee_underflow 0
		.amdhsa_exception_fp_ieee_inexact 0
		.amdhsa_exception_int_div_zero 0
	.end_amdhsa_kernel
	.section	.text._ZL41rocblas_syrkx_herkx_small_restrict_kernelIldLi16ELb0ELb0ELc78ELc76EKddEviT_T0_PT6_S1_lS4_S1_lS2_PT7_S1_li,"axG",@progbits,_ZL41rocblas_syrkx_herkx_small_restrict_kernelIldLi16ELb0ELb0ELc78ELc76EKddEviT_T0_PT6_S1_lS4_S1_lS2_PT7_S1_li,comdat
.Lfunc_end1047:
	.size	_ZL41rocblas_syrkx_herkx_small_restrict_kernelIldLi16ELb0ELb0ELc78ELc76EKddEviT_T0_PT6_S1_lS4_S1_lS2_PT7_S1_li, .Lfunc_end1047-_ZL41rocblas_syrkx_herkx_small_restrict_kernelIldLi16ELb0ELb0ELc78ELc76EKddEviT_T0_PT6_S1_lS4_S1_lS2_PT7_S1_li
                                        ; -- End function
	.section	.AMDGPU.csdata,"",@progbits
; Kernel info:
; codeLenInByte = 988
; NumSgprs: 34
; NumVgprs: 26
; ScratchSize: 0
; MemoryBound: 0
; FloatMode: 240
; IeeeMode: 1
; LDSByteSize: 4096 bytes/workgroup (compile time only)
; SGPRBlocks: 4
; VGPRBlocks: 3
; NumSGPRsForWavesPerEU: 34
; NumVGPRsForWavesPerEU: 26
; Occupancy: 16
; WaveLimiterHint : 0
; COMPUTE_PGM_RSRC2:SCRATCH_EN: 0
; COMPUTE_PGM_RSRC2:USER_SGPR: 13
; COMPUTE_PGM_RSRC2:TRAP_HANDLER: 0
; COMPUTE_PGM_RSRC2:TGID_X_EN: 1
; COMPUTE_PGM_RSRC2:TGID_Y_EN: 1
; COMPUTE_PGM_RSRC2:TGID_Z_EN: 1
; COMPUTE_PGM_RSRC2:TIDIG_COMP_CNT: 1
	.section	.text._ZL41rocblas_syrkx_herkx_small_restrict_kernelIldLi16ELb0ELb0ELc84ELc85EKddEviT_T0_PT6_S1_lS4_S1_lS2_PT7_S1_li,"axG",@progbits,_ZL41rocblas_syrkx_herkx_small_restrict_kernelIldLi16ELb0ELb0ELc84ELc85EKddEviT_T0_PT6_S1_lS4_S1_lS2_PT7_S1_li,comdat
	.globl	_ZL41rocblas_syrkx_herkx_small_restrict_kernelIldLi16ELb0ELb0ELc84ELc85EKddEviT_T0_PT6_S1_lS4_S1_lS2_PT7_S1_li ; -- Begin function _ZL41rocblas_syrkx_herkx_small_restrict_kernelIldLi16ELb0ELb0ELc84ELc85EKddEviT_T0_PT6_S1_lS4_S1_lS2_PT7_S1_li
	.p2align	8
	.type	_ZL41rocblas_syrkx_herkx_small_restrict_kernelIldLi16ELb0ELb0ELc84ELc85EKddEviT_T0_PT6_S1_lS4_S1_lS2_PT7_S1_li,@function
_ZL41rocblas_syrkx_herkx_small_restrict_kernelIldLi16ELb0ELb0ELc84ELc85EKddEviT_T0_PT6_S1_lS4_S1_lS2_PT7_S1_li: ; @_ZL41rocblas_syrkx_herkx_small_restrict_kernelIldLi16ELb0ELb0ELc84ELc85EKddEviT_T0_PT6_S1_lS4_S1_lS2_PT7_S1_li
; %bb.0:
	s_load_b512 s[16:31], s[0:1], 0x8
	v_and_b32_e32 v3, 0x3ff, v0
	v_bfe_u32 v2, v0, 10, 10
	s_delay_alu instid0(VALU_DEP_2) | instskip(NEXT) | instid1(VALU_DEP_2)
	v_lshl_add_u32 v0, s13, 4, v3
	v_lshl_add_u32 v8, s14, 4, v2
	s_delay_alu instid0(VALU_DEP_2) | instskip(NEXT) | instid1(VALU_DEP_2)
	v_ashrrev_i32_e32 v1, 31, v0
	v_ashrrev_i32_e32 v9, 31, v8
	s_waitcnt lgkmcnt(0)
	v_cmp_lt_i64_e64 s2, s[16:17], 1
	s_delay_alu instid0(VALU_DEP_1)
	s_and_b32 vcc_lo, exec_lo, s2
	s_cbranch_vccnz .LBB1048_6
; %bb.1:
	v_mul_lo_u32 v7, s29, v8
	v_mul_lo_u32 v13, s28, v9
	v_mad_u64_u32 v[4:5], null, s28, v8, 0
	v_lshlrev_b32_e32 v6, 7, v2
	v_lshlrev_b32_e32 v10, 3, v3
	v_mul_lo_u32 v14, s23, v0
	v_mul_lo_u32 v15, s22, v1
	s_mul_i32 s2, s31, s15
	v_add_nc_u32_e32 v12, 0x800, v6
	v_add_nc_u32_e32 v11, v10, v6
	v_add3_u32 v5, v5, v13, v7
	v_mad_u64_u32 v[6:7], null, s22, v0, 0
	s_mul_hi_u32 s3, s30, s15
	s_delay_alu instid0(VALU_DEP_2) | instskip(SKIP_2) | instid1(VALU_DEP_2)
	v_lshlrev_b64 v[3:4], 3, v[4:5]
	s_add_i32 s3, s3, s2
	s_mul_i32 s2, s30, s15
	v_add3_u32 v7, v7, v15, v14
	s_lshl_b64 s[2:3], s[2:3], 3
	s_delay_alu instid0(VALU_DEP_2) | instid1(SALU_CYCLE_1)
	v_add_co_u32 v5, vcc_lo, v3, s2
	v_add_co_ci_u32_e32 v14, vcc_lo, s3, v4, vcc_lo
	s_mul_i32 s2, s25, s15
	s_mul_hi_u32 s3, s24, s15
	v_lshlrev_b64 v[3:4], 3, v[6:7]
	s_add_i32 s3, s3, s2
	s_mul_i32 s2, s24, s15
	v_add_co_u32 v5, vcc_lo, v5, v10
	s_lshl_b64 s[2:3], s[2:3], 3
	v_add_co_ci_u32_e32 v6, vcc_lo, 0, v14, vcc_lo
	v_add_co_u32 v7, vcc_lo, v3, s2
	v_lshlrev_b32_e32 v14, 3, v2
	v_add_co_ci_u32_e32 v4, vcc_lo, s3, v4, vcc_lo
	v_add_co_u32 v2, vcc_lo, s26, v5
	v_add_co_ci_u32_e32 v3, vcc_lo, s27, v6, vcc_lo
	s_delay_alu instid0(VALU_DEP_4) | instskip(SKIP_2) | instid1(VALU_DEP_3)
	v_add_co_u32 v5, vcc_lo, v7, v14
	v_mov_b32_e32 v6, 0
	v_add_co_ci_u32_e32 v14, vcc_lo, 0, v4, vcc_lo
	v_add_co_u32 v4, vcc_lo, s20, v5
	v_mov_b32_e32 v7, 0
	v_add_nc_u32_e32 v13, v12, v10
	s_delay_alu instid0(VALU_DEP_4)
	v_add_co_ci_u32_e32 v5, vcc_lo, s21, v14, vcc_lo
	s_mov_b64 s[2:3], 0
.LBB1048_2:                             ; =>This Inner Loop Header: Depth=1
	global_load_b64 v[14:15], v[4:5], off
	global_load_b64 v[16:17], v[2:3], off
	s_add_u32 s2, s2, 16
	v_add_co_u32 v2, vcc_lo, 0x80, v2
	s_addc_u32 s3, s3, 0
	v_add_co_ci_u32_e32 v3, vcc_lo, 0, v3, vcc_lo
	v_cmp_lt_i64_e64 s4, s[2:3], s[16:17]
	v_add_co_u32 v4, vcc_lo, 0x80, v4
	v_add_co_ci_u32_e32 v5, vcc_lo, 0, v5, vcc_lo
	s_waitcnt vmcnt(1)
	ds_store_b64 v11, v[14:15]
	s_waitcnt vmcnt(0)
	ds_store_b64 v13, v[16:17]
	s_waitcnt lgkmcnt(0)
	s_barrier
	buffer_gl0_inv
	ds_load_2addr_b64 v[14:17], v10 offset1:16
	ds_load_b128 v[18:21], v12
	ds_load_b128 v[22:25], v12 offset:16
	s_and_b32 vcc_lo, exec_lo, s4
	s_waitcnt lgkmcnt(1)
	v_fma_f64 v[6:7], v[14:15], v[18:19], v[6:7]
	s_delay_alu instid0(VALU_DEP_1) | instskip(SKIP_3) | instid1(VALU_DEP_1)
	v_fma_f64 v[6:7], v[16:17], v[20:21], v[6:7]
	ds_load_2addr_b64 v[14:17], v10 offset0:32 offset1:48
	s_waitcnt lgkmcnt(0)
	v_fma_f64 v[6:7], v[14:15], v[22:23], v[6:7]
	v_fma_f64 v[6:7], v[16:17], v[24:25], v[6:7]
	ds_load_2addr_b64 v[14:17], v10 offset0:64 offset1:80
	ds_load_b128 v[18:21], v12 offset:32
	ds_load_b128 v[22:25], v12 offset:48
	s_waitcnt lgkmcnt(1)
	v_fma_f64 v[6:7], v[14:15], v[18:19], v[6:7]
	s_delay_alu instid0(VALU_DEP_1) | instskip(SKIP_3) | instid1(VALU_DEP_1)
	v_fma_f64 v[6:7], v[16:17], v[20:21], v[6:7]
	ds_load_2addr_b64 v[14:17], v10 offset0:96 offset1:112
	s_waitcnt lgkmcnt(0)
	v_fma_f64 v[6:7], v[14:15], v[22:23], v[6:7]
	v_fma_f64 v[6:7], v[16:17], v[24:25], v[6:7]
	ds_load_2addr_b64 v[14:17], v10 offset0:128 offset1:144
	ds_load_b128 v[18:21], v12 offset:64
	ds_load_b128 v[22:25], v12 offset:80
	;; [unrolled: 11-line block ×3, first 2 shown]
	s_waitcnt lgkmcnt(1)
	v_fma_f64 v[6:7], v[14:15], v[18:19], v[6:7]
	s_delay_alu instid0(VALU_DEP_1)
	v_fma_f64 v[6:7], v[16:17], v[20:21], v[6:7]
	ds_load_2addr_b64 v[14:17], v10 offset0:224 offset1:240
	s_waitcnt lgkmcnt(0)
	s_barrier
	buffer_gl0_inv
	v_fma_f64 v[6:7], v[14:15], v[22:23], v[6:7]
	s_delay_alu instid0(VALU_DEP_1)
	v_fma_f64 v[6:7], v[16:17], v[24:25], v[6:7]
	s_cbranch_vccnz .LBB1048_2
; %bb.3:
	s_mov_b32 s2, exec_lo
	v_cmpx_le_i32_e64 v0, v8
	s_cbranch_execz .LBB1048_5
.LBB1048_4:
	s_load_b256 s[0:7], s[0:1], 0x48
	v_lshlrev_b64 v[0:1], 3, v[0:1]
	s_waitcnt lgkmcnt(0)
	v_mul_lo_u32 v4, v8, s5
	v_mul_lo_u32 v5, v9, s4
	v_mad_u64_u32 v[2:3], null, v8, s4, 0
	s_mul_i32 s5, s15, s7
	s_mul_hi_u32 s7, s15, s6
	s_mul_i32 s4, s15, s6
	s_add_i32 s5, s7, s5
	s_delay_alu instid0(SALU_CYCLE_1) | instskip(NEXT) | instid1(VALU_DEP_1)
	s_lshl_b64 s[4:5], s[4:5], 3
	v_add3_u32 v3, v3, v4, v5
	s_add_u32 s2, s2, s4
	s_addc_u32 s3, s3, s5
	s_delay_alu instid0(VALU_DEP_1) | instskip(NEXT) | instid1(VALU_DEP_1)
	v_lshlrev_b64 v[2:3], 3, v[2:3]
	v_add_co_u32 v2, vcc_lo, s2, v2
	s_delay_alu instid0(VALU_DEP_2) | instskip(NEXT) | instid1(VALU_DEP_2)
	v_add_co_ci_u32_e32 v3, vcc_lo, s3, v3, vcc_lo
	v_add_co_u32 v0, vcc_lo, v2, v0
	s_delay_alu instid0(VALU_DEP_2) | instskip(SKIP_3) | instid1(VALU_DEP_1)
	v_add_co_ci_u32_e32 v1, vcc_lo, v3, v1, vcc_lo
	global_load_b64 v[2:3], v[0:1], off
	s_waitcnt vmcnt(0)
	v_mul_f64 v[2:3], v[2:3], s[0:1]
	v_fma_f64 v[2:3], v[6:7], s[18:19], v[2:3]
	global_store_b64 v[0:1], v[2:3], off
.LBB1048_5:
	s_nop 0
	s_sendmsg sendmsg(MSG_DEALLOC_VGPRS)
	s_endpgm
.LBB1048_6:
	v_mov_b32_e32 v6, 0
	v_mov_b32_e32 v7, 0
	s_mov_b32 s2, exec_lo
	v_cmpx_le_i32_e64 v0, v8
	s_cbranch_execnz .LBB1048_4
	s_branch .LBB1048_5
	.section	.rodata,"a",@progbits
	.p2align	6, 0x0
	.amdhsa_kernel _ZL41rocblas_syrkx_herkx_small_restrict_kernelIldLi16ELb0ELb0ELc84ELc85EKddEviT_T0_PT6_S1_lS4_S1_lS2_PT7_S1_li
		.amdhsa_group_segment_fixed_size 4096
		.amdhsa_private_segment_fixed_size 0
		.amdhsa_kernarg_size 108
		.amdhsa_user_sgpr_count 13
		.amdhsa_user_sgpr_dispatch_ptr 0
		.amdhsa_user_sgpr_queue_ptr 0
		.amdhsa_user_sgpr_kernarg_segment_ptr 1
		.amdhsa_user_sgpr_dispatch_id 0
		.amdhsa_user_sgpr_private_segment_size 0
		.amdhsa_wavefront_size32 1
		.amdhsa_uses_dynamic_stack 0
		.amdhsa_enable_private_segment 0
		.amdhsa_system_sgpr_workgroup_id_x 1
		.amdhsa_system_sgpr_workgroup_id_y 1
		.amdhsa_system_sgpr_workgroup_id_z 1
		.amdhsa_system_sgpr_workgroup_info 0
		.amdhsa_system_vgpr_workitem_id 1
		.amdhsa_next_free_vgpr 26
		.amdhsa_next_free_sgpr 32
		.amdhsa_reserve_vcc 1
		.amdhsa_float_round_mode_32 0
		.amdhsa_float_round_mode_16_64 0
		.amdhsa_float_denorm_mode_32 3
		.amdhsa_float_denorm_mode_16_64 3
		.amdhsa_dx10_clamp 1
		.amdhsa_ieee_mode 1
		.amdhsa_fp16_overflow 0
		.amdhsa_workgroup_processor_mode 1
		.amdhsa_memory_ordered 1
		.amdhsa_forward_progress 0
		.amdhsa_shared_vgpr_count 0
		.amdhsa_exception_fp_ieee_invalid_op 0
		.amdhsa_exception_fp_denorm_src 0
		.amdhsa_exception_fp_ieee_div_zero 0
		.amdhsa_exception_fp_ieee_overflow 0
		.amdhsa_exception_fp_ieee_underflow 0
		.amdhsa_exception_fp_ieee_inexact 0
		.amdhsa_exception_int_div_zero 0
	.end_amdhsa_kernel
	.section	.text._ZL41rocblas_syrkx_herkx_small_restrict_kernelIldLi16ELb0ELb0ELc84ELc85EKddEviT_T0_PT6_S1_lS4_S1_lS2_PT7_S1_li,"axG",@progbits,_ZL41rocblas_syrkx_herkx_small_restrict_kernelIldLi16ELb0ELb0ELc84ELc85EKddEviT_T0_PT6_S1_lS4_S1_lS2_PT7_S1_li,comdat
.Lfunc_end1048:
	.size	_ZL41rocblas_syrkx_herkx_small_restrict_kernelIldLi16ELb0ELb0ELc84ELc85EKddEviT_T0_PT6_S1_lS4_S1_lS2_PT7_S1_li, .Lfunc_end1048-_ZL41rocblas_syrkx_herkx_small_restrict_kernelIldLi16ELb0ELb0ELc84ELc85EKddEviT_T0_PT6_S1_lS4_S1_lS2_PT7_S1_li
                                        ; -- End function
	.section	.AMDGPU.csdata,"",@progbits
; Kernel info:
; codeLenInByte = 980
; NumSgprs: 34
; NumVgprs: 26
; ScratchSize: 0
; MemoryBound: 0
; FloatMode: 240
; IeeeMode: 1
; LDSByteSize: 4096 bytes/workgroup (compile time only)
; SGPRBlocks: 4
; VGPRBlocks: 3
; NumSGPRsForWavesPerEU: 34
; NumVGPRsForWavesPerEU: 26
; Occupancy: 16
; WaveLimiterHint : 0
; COMPUTE_PGM_RSRC2:SCRATCH_EN: 0
; COMPUTE_PGM_RSRC2:USER_SGPR: 13
; COMPUTE_PGM_RSRC2:TRAP_HANDLER: 0
; COMPUTE_PGM_RSRC2:TGID_X_EN: 1
; COMPUTE_PGM_RSRC2:TGID_Y_EN: 1
; COMPUTE_PGM_RSRC2:TGID_Z_EN: 1
; COMPUTE_PGM_RSRC2:TIDIG_COMP_CNT: 1
	.section	.text._ZL41rocblas_syrkx_herkx_small_restrict_kernelIldLi16ELb0ELb0ELc67ELc85EKddEviT_T0_PT6_S1_lS4_S1_lS2_PT7_S1_li,"axG",@progbits,_ZL41rocblas_syrkx_herkx_small_restrict_kernelIldLi16ELb0ELb0ELc67ELc85EKddEviT_T0_PT6_S1_lS4_S1_lS2_PT7_S1_li,comdat
	.globl	_ZL41rocblas_syrkx_herkx_small_restrict_kernelIldLi16ELb0ELb0ELc67ELc85EKddEviT_T0_PT6_S1_lS4_S1_lS2_PT7_S1_li ; -- Begin function _ZL41rocblas_syrkx_herkx_small_restrict_kernelIldLi16ELb0ELb0ELc67ELc85EKddEviT_T0_PT6_S1_lS4_S1_lS2_PT7_S1_li
	.p2align	8
	.type	_ZL41rocblas_syrkx_herkx_small_restrict_kernelIldLi16ELb0ELb0ELc67ELc85EKddEviT_T0_PT6_S1_lS4_S1_lS2_PT7_S1_li,@function
_ZL41rocblas_syrkx_herkx_small_restrict_kernelIldLi16ELb0ELb0ELc67ELc85EKddEviT_T0_PT6_S1_lS4_S1_lS2_PT7_S1_li: ; @_ZL41rocblas_syrkx_herkx_small_restrict_kernelIldLi16ELb0ELb0ELc67ELc85EKddEviT_T0_PT6_S1_lS4_S1_lS2_PT7_S1_li
; %bb.0:
	s_load_b512 s[16:31], s[0:1], 0x8
	v_and_b32_e32 v3, 0x3ff, v0
	v_bfe_u32 v2, v0, 10, 10
	s_delay_alu instid0(VALU_DEP_2) | instskip(NEXT) | instid1(VALU_DEP_2)
	v_lshl_add_u32 v0, s13, 4, v3
	v_lshl_add_u32 v8, s14, 4, v2
	s_delay_alu instid0(VALU_DEP_2) | instskip(NEXT) | instid1(VALU_DEP_2)
	v_ashrrev_i32_e32 v1, 31, v0
	v_ashrrev_i32_e32 v9, 31, v8
	s_waitcnt lgkmcnt(0)
	v_cmp_lt_i64_e64 s2, s[16:17], 1
	s_delay_alu instid0(VALU_DEP_1)
	s_and_b32 vcc_lo, exec_lo, s2
	s_cbranch_vccnz .LBB1049_6
; %bb.1:
	v_mul_lo_u32 v7, s29, v8
	v_mul_lo_u32 v13, s28, v9
	v_mad_u64_u32 v[4:5], null, s28, v8, 0
	v_lshlrev_b32_e32 v6, 7, v2
	v_lshlrev_b32_e32 v10, 3, v3
	v_mul_lo_u32 v14, s23, v0
	v_mul_lo_u32 v15, s22, v1
	s_mul_i32 s2, s31, s15
	v_add_nc_u32_e32 v12, 0x800, v6
	v_add_nc_u32_e32 v11, v10, v6
	v_add3_u32 v5, v5, v13, v7
	v_mad_u64_u32 v[6:7], null, s22, v0, 0
	s_mul_hi_u32 s3, s30, s15
	s_delay_alu instid0(VALU_DEP_2) | instskip(SKIP_2) | instid1(VALU_DEP_2)
	v_lshlrev_b64 v[3:4], 3, v[4:5]
	s_add_i32 s3, s3, s2
	s_mul_i32 s2, s30, s15
	v_add3_u32 v7, v7, v15, v14
	s_lshl_b64 s[2:3], s[2:3], 3
	s_delay_alu instid0(VALU_DEP_2) | instid1(SALU_CYCLE_1)
	v_add_co_u32 v5, vcc_lo, v3, s2
	v_add_co_ci_u32_e32 v14, vcc_lo, s3, v4, vcc_lo
	s_mul_i32 s2, s25, s15
	s_mul_hi_u32 s3, s24, s15
	v_lshlrev_b64 v[3:4], 3, v[6:7]
	s_add_i32 s3, s3, s2
	s_mul_i32 s2, s24, s15
	v_add_co_u32 v5, vcc_lo, v5, v10
	s_lshl_b64 s[2:3], s[2:3], 3
	v_add_co_ci_u32_e32 v6, vcc_lo, 0, v14, vcc_lo
	v_add_co_u32 v7, vcc_lo, v3, s2
	v_lshlrev_b32_e32 v14, 3, v2
	v_add_co_ci_u32_e32 v4, vcc_lo, s3, v4, vcc_lo
	v_add_co_u32 v2, vcc_lo, s26, v5
	v_add_co_ci_u32_e32 v3, vcc_lo, s27, v6, vcc_lo
	s_delay_alu instid0(VALU_DEP_4) | instskip(SKIP_2) | instid1(VALU_DEP_3)
	v_add_co_u32 v5, vcc_lo, v7, v14
	v_mov_b32_e32 v6, 0
	v_add_co_ci_u32_e32 v14, vcc_lo, 0, v4, vcc_lo
	v_add_co_u32 v4, vcc_lo, s20, v5
	v_mov_b32_e32 v7, 0
	v_add_nc_u32_e32 v13, v12, v10
	s_delay_alu instid0(VALU_DEP_4)
	v_add_co_ci_u32_e32 v5, vcc_lo, s21, v14, vcc_lo
	s_mov_b64 s[2:3], 0
.LBB1049_2:                             ; =>This Inner Loop Header: Depth=1
	global_load_b64 v[14:15], v[4:5], off
	global_load_b64 v[16:17], v[2:3], off
	s_add_u32 s2, s2, 16
	v_add_co_u32 v2, vcc_lo, 0x80, v2
	s_addc_u32 s3, s3, 0
	v_add_co_ci_u32_e32 v3, vcc_lo, 0, v3, vcc_lo
	v_cmp_lt_i64_e64 s4, s[2:3], s[16:17]
	v_add_co_u32 v4, vcc_lo, 0x80, v4
	v_add_co_ci_u32_e32 v5, vcc_lo, 0, v5, vcc_lo
	s_waitcnt vmcnt(1)
	ds_store_b64 v11, v[14:15]
	s_waitcnt vmcnt(0)
	ds_store_b64 v13, v[16:17]
	s_waitcnt lgkmcnt(0)
	s_barrier
	buffer_gl0_inv
	ds_load_2addr_b64 v[14:17], v10 offset1:16
	ds_load_b128 v[18:21], v12
	ds_load_b128 v[22:25], v12 offset:16
	s_and_b32 vcc_lo, exec_lo, s4
	s_waitcnt lgkmcnt(1)
	v_fma_f64 v[6:7], v[14:15], v[18:19], v[6:7]
	s_delay_alu instid0(VALU_DEP_1) | instskip(SKIP_3) | instid1(VALU_DEP_1)
	v_fma_f64 v[6:7], v[16:17], v[20:21], v[6:7]
	ds_load_2addr_b64 v[14:17], v10 offset0:32 offset1:48
	s_waitcnt lgkmcnt(0)
	v_fma_f64 v[6:7], v[14:15], v[22:23], v[6:7]
	v_fma_f64 v[6:7], v[16:17], v[24:25], v[6:7]
	ds_load_2addr_b64 v[14:17], v10 offset0:64 offset1:80
	ds_load_b128 v[18:21], v12 offset:32
	ds_load_b128 v[22:25], v12 offset:48
	s_waitcnt lgkmcnt(1)
	v_fma_f64 v[6:7], v[14:15], v[18:19], v[6:7]
	s_delay_alu instid0(VALU_DEP_1) | instskip(SKIP_3) | instid1(VALU_DEP_1)
	v_fma_f64 v[6:7], v[16:17], v[20:21], v[6:7]
	ds_load_2addr_b64 v[14:17], v10 offset0:96 offset1:112
	s_waitcnt lgkmcnt(0)
	v_fma_f64 v[6:7], v[14:15], v[22:23], v[6:7]
	v_fma_f64 v[6:7], v[16:17], v[24:25], v[6:7]
	ds_load_2addr_b64 v[14:17], v10 offset0:128 offset1:144
	ds_load_b128 v[18:21], v12 offset:64
	ds_load_b128 v[22:25], v12 offset:80
	;; [unrolled: 11-line block ×3, first 2 shown]
	s_waitcnt lgkmcnt(1)
	v_fma_f64 v[6:7], v[14:15], v[18:19], v[6:7]
	s_delay_alu instid0(VALU_DEP_1)
	v_fma_f64 v[6:7], v[16:17], v[20:21], v[6:7]
	ds_load_2addr_b64 v[14:17], v10 offset0:224 offset1:240
	s_waitcnt lgkmcnt(0)
	s_barrier
	buffer_gl0_inv
	v_fma_f64 v[6:7], v[14:15], v[22:23], v[6:7]
	s_delay_alu instid0(VALU_DEP_1)
	v_fma_f64 v[6:7], v[16:17], v[24:25], v[6:7]
	s_cbranch_vccnz .LBB1049_2
; %bb.3:
	s_mov_b32 s2, exec_lo
	v_cmpx_le_i32_e64 v0, v8
	s_cbranch_execz .LBB1049_5
.LBB1049_4:
	s_load_b256 s[0:7], s[0:1], 0x48
	v_lshlrev_b64 v[0:1], 3, v[0:1]
	s_waitcnt lgkmcnt(0)
	v_mul_lo_u32 v4, v8, s5
	v_mul_lo_u32 v5, v9, s4
	v_mad_u64_u32 v[2:3], null, v8, s4, 0
	s_mul_i32 s5, s15, s7
	s_mul_hi_u32 s7, s15, s6
	s_mul_i32 s4, s15, s6
	s_add_i32 s5, s7, s5
	s_delay_alu instid0(SALU_CYCLE_1) | instskip(NEXT) | instid1(VALU_DEP_1)
	s_lshl_b64 s[4:5], s[4:5], 3
	v_add3_u32 v3, v3, v4, v5
	s_add_u32 s2, s2, s4
	s_addc_u32 s3, s3, s5
	s_delay_alu instid0(VALU_DEP_1) | instskip(NEXT) | instid1(VALU_DEP_1)
	v_lshlrev_b64 v[2:3], 3, v[2:3]
	v_add_co_u32 v2, vcc_lo, s2, v2
	s_delay_alu instid0(VALU_DEP_2) | instskip(NEXT) | instid1(VALU_DEP_2)
	v_add_co_ci_u32_e32 v3, vcc_lo, s3, v3, vcc_lo
	v_add_co_u32 v0, vcc_lo, v2, v0
	s_delay_alu instid0(VALU_DEP_2) | instskip(SKIP_3) | instid1(VALU_DEP_1)
	v_add_co_ci_u32_e32 v1, vcc_lo, v3, v1, vcc_lo
	global_load_b64 v[2:3], v[0:1], off
	s_waitcnt vmcnt(0)
	v_mul_f64 v[2:3], v[2:3], s[0:1]
	v_fma_f64 v[2:3], v[6:7], s[18:19], v[2:3]
	global_store_b64 v[0:1], v[2:3], off
.LBB1049_5:
	s_nop 0
	s_sendmsg sendmsg(MSG_DEALLOC_VGPRS)
	s_endpgm
.LBB1049_6:
	v_mov_b32_e32 v6, 0
	v_mov_b32_e32 v7, 0
	s_mov_b32 s2, exec_lo
	v_cmpx_le_i32_e64 v0, v8
	s_cbranch_execnz .LBB1049_4
	s_branch .LBB1049_5
	.section	.rodata,"a",@progbits
	.p2align	6, 0x0
	.amdhsa_kernel _ZL41rocblas_syrkx_herkx_small_restrict_kernelIldLi16ELb0ELb0ELc67ELc85EKddEviT_T0_PT6_S1_lS4_S1_lS2_PT7_S1_li
		.amdhsa_group_segment_fixed_size 4096
		.amdhsa_private_segment_fixed_size 0
		.amdhsa_kernarg_size 108
		.amdhsa_user_sgpr_count 13
		.amdhsa_user_sgpr_dispatch_ptr 0
		.amdhsa_user_sgpr_queue_ptr 0
		.amdhsa_user_sgpr_kernarg_segment_ptr 1
		.amdhsa_user_sgpr_dispatch_id 0
		.amdhsa_user_sgpr_private_segment_size 0
		.amdhsa_wavefront_size32 1
		.amdhsa_uses_dynamic_stack 0
		.amdhsa_enable_private_segment 0
		.amdhsa_system_sgpr_workgroup_id_x 1
		.amdhsa_system_sgpr_workgroup_id_y 1
		.amdhsa_system_sgpr_workgroup_id_z 1
		.amdhsa_system_sgpr_workgroup_info 0
		.amdhsa_system_vgpr_workitem_id 1
		.amdhsa_next_free_vgpr 26
		.amdhsa_next_free_sgpr 32
		.amdhsa_reserve_vcc 1
		.amdhsa_float_round_mode_32 0
		.amdhsa_float_round_mode_16_64 0
		.amdhsa_float_denorm_mode_32 3
		.amdhsa_float_denorm_mode_16_64 3
		.amdhsa_dx10_clamp 1
		.amdhsa_ieee_mode 1
		.amdhsa_fp16_overflow 0
		.amdhsa_workgroup_processor_mode 1
		.amdhsa_memory_ordered 1
		.amdhsa_forward_progress 0
		.amdhsa_shared_vgpr_count 0
		.amdhsa_exception_fp_ieee_invalid_op 0
		.amdhsa_exception_fp_denorm_src 0
		.amdhsa_exception_fp_ieee_div_zero 0
		.amdhsa_exception_fp_ieee_overflow 0
		.amdhsa_exception_fp_ieee_underflow 0
		.amdhsa_exception_fp_ieee_inexact 0
		.amdhsa_exception_int_div_zero 0
	.end_amdhsa_kernel
	.section	.text._ZL41rocblas_syrkx_herkx_small_restrict_kernelIldLi16ELb0ELb0ELc67ELc85EKddEviT_T0_PT6_S1_lS4_S1_lS2_PT7_S1_li,"axG",@progbits,_ZL41rocblas_syrkx_herkx_small_restrict_kernelIldLi16ELb0ELb0ELc67ELc85EKddEviT_T0_PT6_S1_lS4_S1_lS2_PT7_S1_li,comdat
.Lfunc_end1049:
	.size	_ZL41rocblas_syrkx_herkx_small_restrict_kernelIldLi16ELb0ELb0ELc67ELc85EKddEviT_T0_PT6_S1_lS4_S1_lS2_PT7_S1_li, .Lfunc_end1049-_ZL41rocblas_syrkx_herkx_small_restrict_kernelIldLi16ELb0ELb0ELc67ELc85EKddEviT_T0_PT6_S1_lS4_S1_lS2_PT7_S1_li
                                        ; -- End function
	.section	.AMDGPU.csdata,"",@progbits
; Kernel info:
; codeLenInByte = 980
; NumSgprs: 34
; NumVgprs: 26
; ScratchSize: 0
; MemoryBound: 0
; FloatMode: 240
; IeeeMode: 1
; LDSByteSize: 4096 bytes/workgroup (compile time only)
; SGPRBlocks: 4
; VGPRBlocks: 3
; NumSGPRsForWavesPerEU: 34
; NumVGPRsForWavesPerEU: 26
; Occupancy: 16
; WaveLimiterHint : 0
; COMPUTE_PGM_RSRC2:SCRATCH_EN: 0
; COMPUTE_PGM_RSRC2:USER_SGPR: 13
; COMPUTE_PGM_RSRC2:TRAP_HANDLER: 0
; COMPUTE_PGM_RSRC2:TGID_X_EN: 1
; COMPUTE_PGM_RSRC2:TGID_Y_EN: 1
; COMPUTE_PGM_RSRC2:TGID_Z_EN: 1
; COMPUTE_PGM_RSRC2:TIDIG_COMP_CNT: 1
	.section	.text._ZL41rocblas_syrkx_herkx_small_restrict_kernelIldLi16ELb0ELb0ELc78ELc85EKddEviT_T0_PT6_S1_lS4_S1_lS2_PT7_S1_li,"axG",@progbits,_ZL41rocblas_syrkx_herkx_small_restrict_kernelIldLi16ELb0ELb0ELc78ELc85EKddEviT_T0_PT6_S1_lS4_S1_lS2_PT7_S1_li,comdat
	.globl	_ZL41rocblas_syrkx_herkx_small_restrict_kernelIldLi16ELb0ELb0ELc78ELc85EKddEviT_T0_PT6_S1_lS4_S1_lS2_PT7_S1_li ; -- Begin function _ZL41rocblas_syrkx_herkx_small_restrict_kernelIldLi16ELb0ELb0ELc78ELc85EKddEviT_T0_PT6_S1_lS4_S1_lS2_PT7_S1_li
	.p2align	8
	.type	_ZL41rocblas_syrkx_herkx_small_restrict_kernelIldLi16ELb0ELb0ELc78ELc85EKddEviT_T0_PT6_S1_lS4_S1_lS2_PT7_S1_li,@function
_ZL41rocblas_syrkx_herkx_small_restrict_kernelIldLi16ELb0ELb0ELc78ELc85EKddEviT_T0_PT6_S1_lS4_S1_lS2_PT7_S1_li: ; @_ZL41rocblas_syrkx_herkx_small_restrict_kernelIldLi16ELb0ELb0ELc78ELc85EKddEviT_T0_PT6_S1_lS4_S1_lS2_PT7_S1_li
; %bb.0:
	s_load_b512 s[16:31], s[0:1], 0x8
	v_and_b32_e32 v5, 0x3ff, v0
	v_bfe_u32 v4, v0, 10, 10
	s_delay_alu instid0(VALU_DEP_2) | instskip(NEXT) | instid1(VALU_DEP_2)
	v_lshl_add_u32 v0, s13, 4, v5
	v_lshl_add_u32 v2, s14, 4, v4
	s_delay_alu instid0(VALU_DEP_2) | instskip(NEXT) | instid1(VALU_DEP_2)
	v_ashrrev_i32_e32 v1, 31, v0
	v_ashrrev_i32_e32 v3, 31, v2
	s_waitcnt lgkmcnt(0)
	v_cmp_lt_i64_e64 s2, s[16:17], 1
	s_delay_alu instid0(VALU_DEP_1)
	s_and_b32 vcc_lo, exec_lo, s2
	s_cbranch_vccnz .LBB1050_6
; %bb.1:
	v_mad_u64_u32 v[6:7], null, s28, v5, 0
	v_mad_u64_u32 v[8:9], null, s22, v4, 0
	v_lshlrev_b32_e32 v10, 3, v5
	v_lshlrev_b32_e32 v13, 7, v4
	s_mul_i32 s3, s31, s15
	s_mul_hi_u32 s5, s30, s15
	s_mul_i32 s2, s30, s15
	s_add_i32 s3, s5, s3
	s_delay_alu instid0(VALU_DEP_3)
	v_mad_u64_u32 v[11:12], null, s29, v5, v[7:8]
	v_mov_b32_e32 v5, v9
	s_lshl_b64 s[2:3], s[2:3], 3
	v_lshlrev_b64 v[14:15], 3, v[2:3]
	s_mul_i32 s6, s25, s15
	s_mul_hi_u32 s7, s24, s15
	v_mad_u64_u32 v[16:17], null, s23, v4, v[5:6]
	s_delay_alu instid0(VALU_DEP_4)
	v_mov_b32_e32 v7, v11
	s_mul_i32 s4, s24, s15
	s_add_i32 s5, s7, s6
	s_mov_b64 s[6:7], 0
	s_lshl_b64 s[4:5], s[4:5], 3
	v_lshlrev_b64 v[4:5], 3, v[6:7]
	s_delay_alu instid0(VALU_DEP_3) | instskip(NEXT) | instid1(VALU_DEP_2)
	v_mov_b32_e32 v9, v16
	v_add_co_u32 v6, vcc_lo, s2, v4
	s_delay_alu instid0(VALU_DEP_3) | instskip(NEXT) | instid1(VALU_DEP_3)
	v_add_co_ci_u32_e32 v7, vcc_lo, s3, v5, vcc_lo
	v_lshlrev_b64 v[4:5], 3, v[8:9]
	s_delay_alu instid0(VALU_DEP_3) | instskip(NEXT) | instid1(VALU_DEP_3)
	v_add_co_u32 v8, vcc_lo, v6, v14
	v_add_co_ci_u32_e32 v9, vcc_lo, v7, v15, vcc_lo
	v_lshlrev_b64 v[6:7], 3, v[0:1]
	s_delay_alu instid0(VALU_DEP_4) | instskip(SKIP_3) | instid1(VALU_DEP_4)
	v_add_co_u32 v14, vcc_lo, s4, v4
	v_add_co_ci_u32_e32 v15, vcc_lo, s5, v5, vcc_lo
	v_add_co_u32 v4, vcc_lo, s26, v8
	v_add_co_ci_u32_e32 v5, vcc_lo, s27, v9, vcc_lo
	v_add_co_u32 v6, vcc_lo, v14, v6
	s_delay_alu instid0(VALU_DEP_4)
	v_add_co_ci_u32_e32 v7, vcc_lo, v15, v7, vcc_lo
	v_mov_b32_e32 v8, 0
	v_add_nc_u32_e32 v12, v10, v13
	v_add_nc_u32_e32 v11, 0x800, v13
	v_add_co_u32 v6, vcc_lo, s20, v6
	v_mov_b32_e32 v9, 0
	v_add_co_ci_u32_e32 v7, vcc_lo, s21, v7, vcc_lo
	s_delay_alu instid0(VALU_DEP_4)
	v_add_nc_u32_e32 v13, v11, v10
	s_lshl_b64 s[2:3], s[28:29], 7
	s_lshl_b64 s[4:5], s[22:23], 7
.LBB1050_2:                             ; =>This Inner Loop Header: Depth=1
	global_load_b64 v[14:15], v[6:7], off
	global_load_b64 v[16:17], v[4:5], off
	s_add_u32 s6, s6, 16
	v_add_co_u32 v4, vcc_lo, v4, s2
	s_addc_u32 s7, s7, 0
	v_add_co_ci_u32_e32 v5, vcc_lo, s3, v5, vcc_lo
	v_cmp_lt_i64_e64 s8, s[6:7], s[16:17]
	v_add_co_u32 v6, vcc_lo, v6, s4
	v_add_co_ci_u32_e32 v7, vcc_lo, s5, v7, vcc_lo
	s_waitcnt vmcnt(1)
	ds_store_b64 v12, v[14:15]
	s_waitcnt vmcnt(0)
	ds_store_b64 v13, v[16:17]
	s_waitcnt lgkmcnt(0)
	s_barrier
	buffer_gl0_inv
	ds_load_2addr_b64 v[14:17], v10 offset1:16
	ds_load_b128 v[18:21], v11
	ds_load_b128 v[22:25], v11 offset:16
	s_and_b32 vcc_lo, exec_lo, s8
	s_waitcnt lgkmcnt(1)
	v_fma_f64 v[8:9], v[14:15], v[18:19], v[8:9]
	s_delay_alu instid0(VALU_DEP_1) | instskip(SKIP_3) | instid1(VALU_DEP_1)
	v_fma_f64 v[8:9], v[16:17], v[20:21], v[8:9]
	ds_load_2addr_b64 v[14:17], v10 offset0:32 offset1:48
	s_waitcnt lgkmcnt(0)
	v_fma_f64 v[8:9], v[14:15], v[22:23], v[8:9]
	v_fma_f64 v[8:9], v[16:17], v[24:25], v[8:9]
	ds_load_2addr_b64 v[14:17], v10 offset0:64 offset1:80
	ds_load_b128 v[18:21], v11 offset:32
	ds_load_b128 v[22:25], v11 offset:48
	s_waitcnt lgkmcnt(1)
	v_fma_f64 v[8:9], v[14:15], v[18:19], v[8:9]
	s_delay_alu instid0(VALU_DEP_1) | instskip(SKIP_3) | instid1(VALU_DEP_1)
	v_fma_f64 v[8:9], v[16:17], v[20:21], v[8:9]
	ds_load_2addr_b64 v[14:17], v10 offset0:96 offset1:112
	s_waitcnt lgkmcnt(0)
	v_fma_f64 v[8:9], v[14:15], v[22:23], v[8:9]
	v_fma_f64 v[8:9], v[16:17], v[24:25], v[8:9]
	ds_load_2addr_b64 v[14:17], v10 offset0:128 offset1:144
	ds_load_b128 v[18:21], v11 offset:64
	ds_load_b128 v[22:25], v11 offset:80
	;; [unrolled: 11-line block ×3, first 2 shown]
	s_waitcnt lgkmcnt(1)
	v_fma_f64 v[8:9], v[14:15], v[18:19], v[8:9]
	s_delay_alu instid0(VALU_DEP_1)
	v_fma_f64 v[8:9], v[16:17], v[20:21], v[8:9]
	ds_load_2addr_b64 v[14:17], v10 offset0:224 offset1:240
	s_waitcnt lgkmcnt(0)
	s_barrier
	buffer_gl0_inv
	v_fma_f64 v[8:9], v[14:15], v[22:23], v[8:9]
	s_delay_alu instid0(VALU_DEP_1)
	v_fma_f64 v[8:9], v[16:17], v[24:25], v[8:9]
	s_cbranch_vccnz .LBB1050_2
; %bb.3:
	s_mov_b32 s2, exec_lo
	v_cmpx_le_i32_e64 v0, v2
	s_cbranch_execz .LBB1050_5
.LBB1050_4:
	s_load_b256 s[0:7], s[0:1], 0x48
	v_lshlrev_b64 v[0:1], 3, v[0:1]
	s_waitcnt lgkmcnt(0)
	v_mul_lo_u32 v5, v2, s5
	v_mul_lo_u32 v6, v3, s4
	v_mad_u64_u32 v[3:4], null, v2, s4, 0
	s_mul_i32 s5, s15, s7
	s_mul_hi_u32 s7, s15, s6
	s_mul_i32 s4, s15, s6
	s_add_i32 s5, s7, s5
	s_delay_alu instid0(SALU_CYCLE_1) | instskip(NEXT) | instid1(VALU_DEP_1)
	s_lshl_b64 s[4:5], s[4:5], 3
	v_add3_u32 v4, v4, v5, v6
	s_add_u32 s2, s2, s4
	s_addc_u32 s3, s3, s5
	s_delay_alu instid0(VALU_DEP_1) | instskip(NEXT) | instid1(VALU_DEP_1)
	v_lshlrev_b64 v[2:3], 3, v[3:4]
	v_add_co_u32 v2, vcc_lo, s2, v2
	s_delay_alu instid0(VALU_DEP_2) | instskip(NEXT) | instid1(VALU_DEP_2)
	v_add_co_ci_u32_e32 v3, vcc_lo, s3, v3, vcc_lo
	v_add_co_u32 v0, vcc_lo, v2, v0
	s_delay_alu instid0(VALU_DEP_2) | instskip(SKIP_3) | instid1(VALU_DEP_1)
	v_add_co_ci_u32_e32 v1, vcc_lo, v3, v1, vcc_lo
	global_load_b64 v[2:3], v[0:1], off
	s_waitcnt vmcnt(0)
	v_mul_f64 v[2:3], v[2:3], s[0:1]
	v_fma_f64 v[2:3], v[8:9], s[18:19], v[2:3]
	global_store_b64 v[0:1], v[2:3], off
.LBB1050_5:
	s_nop 0
	s_sendmsg sendmsg(MSG_DEALLOC_VGPRS)
	s_endpgm
.LBB1050_6:
	v_mov_b32_e32 v8, 0
	v_mov_b32_e32 v9, 0
	s_mov_b32 s2, exec_lo
	v_cmpx_le_i32_e64 v0, v2
	s_cbranch_execnz .LBB1050_4
	s_branch .LBB1050_5
	.section	.rodata,"a",@progbits
	.p2align	6, 0x0
	.amdhsa_kernel _ZL41rocblas_syrkx_herkx_small_restrict_kernelIldLi16ELb0ELb0ELc78ELc85EKddEviT_T0_PT6_S1_lS4_S1_lS2_PT7_S1_li
		.amdhsa_group_segment_fixed_size 4096
		.amdhsa_private_segment_fixed_size 0
		.amdhsa_kernarg_size 108
		.amdhsa_user_sgpr_count 13
		.amdhsa_user_sgpr_dispatch_ptr 0
		.amdhsa_user_sgpr_queue_ptr 0
		.amdhsa_user_sgpr_kernarg_segment_ptr 1
		.amdhsa_user_sgpr_dispatch_id 0
		.amdhsa_user_sgpr_private_segment_size 0
		.amdhsa_wavefront_size32 1
		.amdhsa_uses_dynamic_stack 0
		.amdhsa_enable_private_segment 0
		.amdhsa_system_sgpr_workgroup_id_x 1
		.amdhsa_system_sgpr_workgroup_id_y 1
		.amdhsa_system_sgpr_workgroup_id_z 1
		.amdhsa_system_sgpr_workgroup_info 0
		.amdhsa_system_vgpr_workitem_id 1
		.amdhsa_next_free_vgpr 26
		.amdhsa_next_free_sgpr 32
		.amdhsa_reserve_vcc 1
		.amdhsa_float_round_mode_32 0
		.amdhsa_float_round_mode_16_64 0
		.amdhsa_float_denorm_mode_32 3
		.amdhsa_float_denorm_mode_16_64 3
		.amdhsa_dx10_clamp 1
		.amdhsa_ieee_mode 1
		.amdhsa_fp16_overflow 0
		.amdhsa_workgroup_processor_mode 1
		.amdhsa_memory_ordered 1
		.amdhsa_forward_progress 0
		.amdhsa_shared_vgpr_count 0
		.amdhsa_exception_fp_ieee_invalid_op 0
		.amdhsa_exception_fp_denorm_src 0
		.amdhsa_exception_fp_ieee_div_zero 0
		.amdhsa_exception_fp_ieee_overflow 0
		.amdhsa_exception_fp_ieee_underflow 0
		.amdhsa_exception_fp_ieee_inexact 0
		.amdhsa_exception_int_div_zero 0
	.end_amdhsa_kernel
	.section	.text._ZL41rocblas_syrkx_herkx_small_restrict_kernelIldLi16ELb0ELb0ELc78ELc85EKddEviT_T0_PT6_S1_lS4_S1_lS2_PT7_S1_li,"axG",@progbits,_ZL41rocblas_syrkx_herkx_small_restrict_kernelIldLi16ELb0ELb0ELc78ELc85EKddEviT_T0_PT6_S1_lS4_S1_lS2_PT7_S1_li,comdat
.Lfunc_end1050:
	.size	_ZL41rocblas_syrkx_herkx_small_restrict_kernelIldLi16ELb0ELb0ELc78ELc85EKddEviT_T0_PT6_S1_lS4_S1_lS2_PT7_S1_li, .Lfunc_end1050-_ZL41rocblas_syrkx_herkx_small_restrict_kernelIldLi16ELb0ELb0ELc78ELc85EKddEviT_T0_PT6_S1_lS4_S1_lS2_PT7_S1_li
                                        ; -- End function
	.section	.AMDGPU.csdata,"",@progbits
; Kernel info:
; codeLenInByte = 988
; NumSgprs: 34
; NumVgprs: 26
; ScratchSize: 0
; MemoryBound: 0
; FloatMode: 240
; IeeeMode: 1
; LDSByteSize: 4096 bytes/workgroup (compile time only)
; SGPRBlocks: 4
; VGPRBlocks: 3
; NumSGPRsForWavesPerEU: 34
; NumVGPRsForWavesPerEU: 26
; Occupancy: 16
; WaveLimiterHint : 0
; COMPUTE_PGM_RSRC2:SCRATCH_EN: 0
; COMPUTE_PGM_RSRC2:USER_SGPR: 13
; COMPUTE_PGM_RSRC2:TRAP_HANDLER: 0
; COMPUTE_PGM_RSRC2:TGID_X_EN: 1
; COMPUTE_PGM_RSRC2:TGID_Y_EN: 1
; COMPUTE_PGM_RSRC2:TGID_Z_EN: 1
; COMPUTE_PGM_RSRC2:TIDIG_COMP_CNT: 1
	.section	.text._ZL32rocblas_syrkx_herkx_small_kernelIldLi16ELb1ELb0ELc84ELc76EKddEviT_T0_PT6_S1_lS4_S1_lS2_PT7_S1_li,"axG",@progbits,_ZL32rocblas_syrkx_herkx_small_kernelIldLi16ELb1ELb0ELc84ELc76EKddEviT_T0_PT6_S1_lS4_S1_lS2_PT7_S1_li,comdat
	.globl	_ZL32rocblas_syrkx_herkx_small_kernelIldLi16ELb1ELb0ELc84ELc76EKddEviT_T0_PT6_S1_lS4_S1_lS2_PT7_S1_li ; -- Begin function _ZL32rocblas_syrkx_herkx_small_kernelIldLi16ELb1ELb0ELc84ELc76EKddEviT_T0_PT6_S1_lS4_S1_lS2_PT7_S1_li
	.p2align	8
	.type	_ZL32rocblas_syrkx_herkx_small_kernelIldLi16ELb1ELb0ELc84ELc76EKddEviT_T0_PT6_S1_lS4_S1_lS2_PT7_S1_li,@function
_ZL32rocblas_syrkx_herkx_small_kernelIldLi16ELb1ELb0ELc84ELc76EKddEviT_T0_PT6_S1_lS4_S1_lS2_PT7_S1_li: ; @_ZL32rocblas_syrkx_herkx_small_kernelIldLi16ELb1ELb0ELc84ELc76EKddEviT_T0_PT6_S1_lS4_S1_lS2_PT7_S1_li
; %bb.0:
	s_clause 0x1
	s_load_b512 s[16:31], s[0:1], 0x8
	s_load_b32 s6, s[0:1], 0x0
	v_and_b32_e32 v16, 0x3ff, v0
	v_bfe_u32 v17, v0, 10, 10
	s_delay_alu instid0(VALU_DEP_2) | instskip(NEXT) | instid1(VALU_DEP_2)
	v_lshl_add_u32 v0, s13, 4, v16
	v_lshl_add_u32 v14, s14, 4, v17
	s_delay_alu instid0(VALU_DEP_2) | instskip(NEXT) | instid1(VALU_DEP_2)
	v_ashrrev_i32_e32 v1, 31, v0
	v_ashrrev_i32_e32 v15, 31, v14
	s_waitcnt lgkmcnt(0)
	v_cmp_lt_i64_e64 s3, s[16:17], 1
	v_cmp_gt_i32_e64 s2, s6, v0
	s_delay_alu instid0(VALU_DEP_2)
	s_and_b32 vcc_lo, exec_lo, s3
	s_cbranch_vccnz .LBB1051_7
; %bb.1:
	v_lshlrev_b32_e32 v4, 7, v17
	v_lshlrev_b32_e32 v18, 3, v16
	v_mul_lo_u32 v6, s29, v14
	v_mul_lo_u32 v7, s28, v15
	v_mad_u64_u32 v[2:3], null, s28, v14, 0
	s_delay_alu instid0(VALU_DEP_4)
	v_add_nc_u32_e32 v19, v18, v4
	v_add_nc_u32_e32 v20, 0x800, v4
	v_mul_lo_u32 v8, s23, v0
	v_mul_lo_u32 v9, s22, v1
	v_mad_u64_u32 v[4:5], null, s22, v0, 0
	v_add3_u32 v3, v3, v7, v6
	s_mul_i32 s4, s31, s15
	s_mul_hi_u32 s5, s30, s15
	s_mul_i32 s7, s25, s15
	s_add_i32 s5, s5, s4
	v_lshlrev_b64 v[2:3], 3, v[2:3]
	s_delay_alu instid0(VALU_DEP_3)
	v_add3_u32 v5, v5, v9, v8
	s_mul_i32 s4, s30, s15
	s_mul_hi_u32 s8, s24, s15
	s_lshl_b64 s[4:5], s[4:5], 3
	s_add_i32 s9, s8, s7
	v_lshlrev_b64 v[4:5], 3, v[4:5]
	s_mul_i32 s8, s24, s15
	v_add_co_u32 v2, vcc_lo, v2, s4
	v_add_co_ci_u32_e32 v3, vcc_lo, s5, v3, vcc_lo
	s_lshl_b64 s[4:5], s[8:9], 3
	v_lshlrev_b32_e32 v6, 3, v17
	v_add_co_u32 v4, vcc_lo, v4, s4
	v_add_co_ci_u32_e32 v5, vcc_lo, s5, v5, vcc_lo
	v_add_co_u32 v7, vcc_lo, v2, v18
	v_add_co_ci_u32_e32 v8, vcc_lo, 0, v3, vcc_lo
	v_mov_b32_e32 v2, 0
	v_add_co_u32 v6, vcc_lo, v4, v6
	v_add_co_ci_u32_e32 v9, vcc_lo, 0, v5, vcc_lo
	v_mov_b32_e32 v3, 0
	v_add_co_u32 v4, vcc_lo, s26, v7
	v_add_co_ci_u32_e32 v5, vcc_lo, s27, v8, vcc_lo
	v_add_co_u32 v6, vcc_lo, s20, v6
	v_add_co_ci_u32_e32 v7, vcc_lo, s21, v9, vcc_lo
	v_mov_b32_e32 v9, v3
	v_cmp_gt_i32_e64 s3, s6, v14
	v_dual_mov_b32 v8, v2 :: v_dual_add_nc_u32 v21, v20, v18
	s_mov_b64 s[4:5], 0
	s_branch .LBB1051_3
.LBB1051_2:                             ;   in Loop: Header=BB1051_3 Depth=1
	s_or_b32 exec_lo, exec_lo, s7
	s_waitcnt vmcnt(0)
	ds_store_b64 v21, v[12:13]
	s_waitcnt lgkmcnt(0)
	s_barrier
	buffer_gl0_inv
	ds_load_2addr_b64 v[10:13], v18 offset1:16
	ds_load_b128 v[22:25], v20
	ds_load_b128 v[26:29], v20 offset:16
	s_add_u32 s4, s4, 16
	s_addc_u32 s5, s5, 0
	v_add_co_u32 v4, vcc_lo, 0x80, v4
	v_cmp_ge_i64_e64 s7, s[4:5], s[16:17]
	v_add_co_ci_u32_e32 v5, vcc_lo, 0, v5, vcc_lo
	v_add_co_u32 v6, vcc_lo, 0x80, v6
	v_add_co_ci_u32_e32 v7, vcc_lo, 0, v7, vcc_lo
	s_delay_alu instid0(VALU_DEP_4) | instskip(SKIP_2) | instid1(VALU_DEP_1)
	s_and_b32 vcc_lo, exec_lo, s7
	s_waitcnt lgkmcnt(1)
	v_fma_f64 v[8:9], v[10:11], v[22:23], v[8:9]
	v_fma_f64 v[12:13], v[12:13], v[24:25], v[8:9]
	ds_load_2addr_b64 v[8:11], v18 offset0:32 offset1:48
	s_waitcnt lgkmcnt(0)
	v_fma_f64 v[8:9], v[8:9], v[26:27], v[12:13]
	s_delay_alu instid0(VALU_DEP_1)
	v_fma_f64 v[12:13], v[10:11], v[28:29], v[8:9]
	ds_load_2addr_b64 v[8:11], v18 offset0:64 offset1:80
	ds_load_b128 v[22:25], v20 offset:32
	ds_load_b128 v[26:29], v20 offset:48
	s_waitcnt lgkmcnt(1)
	v_fma_f64 v[8:9], v[8:9], v[22:23], v[12:13]
	s_delay_alu instid0(VALU_DEP_1) | instskip(SKIP_3) | instid1(VALU_DEP_1)
	v_fma_f64 v[12:13], v[10:11], v[24:25], v[8:9]
	ds_load_2addr_b64 v[8:11], v18 offset0:96 offset1:112
	s_waitcnt lgkmcnt(0)
	v_fma_f64 v[8:9], v[8:9], v[26:27], v[12:13]
	v_fma_f64 v[12:13], v[10:11], v[28:29], v[8:9]
	ds_load_2addr_b64 v[8:11], v18 offset0:128 offset1:144
	ds_load_b128 v[22:25], v20 offset:64
	ds_load_b128 v[26:29], v20 offset:80
	s_waitcnt lgkmcnt(1)
	v_fma_f64 v[8:9], v[8:9], v[22:23], v[12:13]
	s_delay_alu instid0(VALU_DEP_1) | instskip(SKIP_3) | instid1(VALU_DEP_1)
	v_fma_f64 v[12:13], v[10:11], v[24:25], v[8:9]
	ds_load_2addr_b64 v[8:11], v18 offset0:160 offset1:176
	s_waitcnt lgkmcnt(0)
	v_fma_f64 v[8:9], v[8:9], v[26:27], v[12:13]
	v_fma_f64 v[12:13], v[10:11], v[28:29], v[8:9]
	ds_load_2addr_b64 v[8:11], v18 offset0:192 offset1:208
	ds_load_b128 v[22:25], v20 offset:96
	ds_load_b128 v[26:29], v20 offset:112
	s_waitcnt lgkmcnt(1)
	v_fma_f64 v[8:9], v[8:9], v[22:23], v[12:13]
	s_delay_alu instid0(VALU_DEP_1)
	v_fma_f64 v[12:13], v[10:11], v[24:25], v[8:9]
	ds_load_2addr_b64 v[8:11], v18 offset0:224 offset1:240
	s_waitcnt lgkmcnt(0)
	s_barrier
	buffer_gl0_inv
	v_fma_f64 v[8:9], v[8:9], v[26:27], v[12:13]
	s_delay_alu instid0(VALU_DEP_1)
	v_fma_f64 v[8:9], v[10:11], v[28:29], v[8:9]
	s_cbranch_vccnz .LBB1051_8
.LBB1051_3:                             ; =>This Inner Loop Header: Depth=1
	v_add_co_u32 v10, s7, v17, s4
	s_delay_alu instid0(VALU_DEP_1) | instskip(NEXT) | instid1(VALU_DEP_1)
	v_add_co_ci_u32_e64 v11, null, 0, s5, s7
	v_cmp_gt_i64_e32 vcc_lo, s[16:17], v[10:11]
	v_dual_mov_b32 v11, v3 :: v_dual_mov_b32 v10, v2
	s_and_b32 s8, s2, vcc_lo
	s_delay_alu instid0(SALU_CYCLE_1)
	s_and_saveexec_b32 s7, s8
	s_cbranch_execz .LBB1051_5
; %bb.4:                                ;   in Loop: Header=BB1051_3 Depth=1
	global_load_b64 v[10:11], v[6:7], off
.LBB1051_5:                             ;   in Loop: Header=BB1051_3 Depth=1
	s_or_b32 exec_lo, exec_lo, s7
	v_add_co_u32 v12, s7, v16, s4
	s_delay_alu instid0(VALU_DEP_1)
	v_add_co_ci_u32_e64 v13, null, 0, s5, s7
	s_waitcnt vmcnt(0)
	ds_store_b64 v19, v[10:11]
	v_cmp_gt_i64_e32 vcc_lo, s[16:17], v[12:13]
	v_mov_b32_e32 v12, 0
	v_mov_b32_e32 v13, 0
	s_and_b32 s8, s3, vcc_lo
	s_delay_alu instid0(SALU_CYCLE_1)
	s_and_saveexec_b32 s7, s8
	s_cbranch_execz .LBB1051_2
; %bb.6:                                ;   in Loop: Header=BB1051_3 Depth=1
	global_load_b64 v[12:13], v[4:5], off
	s_branch .LBB1051_2
.LBB1051_7:
	v_mov_b32_e32 v8, 0
	v_mov_b32_e32 v9, 0
.LBB1051_8:
	v_cmp_le_i32_e32 vcc_lo, v14, v0
	v_cmp_gt_i32_e64 s2, s6, v0
	s_delay_alu instid0(VALU_DEP_1) | instskip(NEXT) | instid1(SALU_CYCLE_1)
	s_and_b32 s2, vcc_lo, s2
	s_and_saveexec_b32 s3, s2
	s_cbranch_execz .LBB1051_10
; %bb.9:
	s_clause 0x1
	s_load_b128 s[4:7], s[0:1], 0x50
	s_load_b64 s[0:1], s[0:1], 0x60
	s_delay_alu instid0(VALU_DEP_3)
	v_mul_f64 v[2:3], v[8:9], s[18:19]
	v_lshlrev_b64 v[0:1], 3, v[0:1]
	s_waitcnt lgkmcnt(0)
	v_mul_lo_u32 v6, v14, s7
	v_mul_lo_u32 v7, v15, s6
	v_mad_u64_u32 v[4:5], null, v14, s6, 0
	s_mul_i32 s1, s15, s1
	s_mul_hi_u32 s2, s15, s0
	s_mul_i32 s0, s15, s0
	s_add_i32 s1, s2, s1
	s_delay_alu instid0(SALU_CYCLE_1) | instskip(NEXT) | instid1(VALU_DEP_1)
	s_lshl_b64 s[0:1], s[0:1], 3
	v_add3_u32 v5, v5, v6, v7
	s_add_u32 s0, s4, s0
	s_addc_u32 s1, s5, s1
	s_delay_alu instid0(VALU_DEP_1) | instskip(NEXT) | instid1(VALU_DEP_1)
	v_lshlrev_b64 v[4:5], 3, v[4:5]
	v_add_co_u32 v4, vcc_lo, s0, v4
	s_delay_alu instid0(VALU_DEP_2) | instskip(NEXT) | instid1(VALU_DEP_2)
	v_add_co_ci_u32_e32 v5, vcc_lo, s1, v5, vcc_lo
	v_add_co_u32 v0, vcc_lo, v4, v0
	s_delay_alu instid0(VALU_DEP_2)
	v_add_co_ci_u32_e32 v1, vcc_lo, v5, v1, vcc_lo
	global_store_b64 v[0:1], v[2:3], off
.LBB1051_10:
	s_nop 0
	s_sendmsg sendmsg(MSG_DEALLOC_VGPRS)
	s_endpgm
	.section	.rodata,"a",@progbits
	.p2align	6, 0x0
	.amdhsa_kernel _ZL32rocblas_syrkx_herkx_small_kernelIldLi16ELb1ELb0ELc84ELc76EKddEviT_T0_PT6_S1_lS4_S1_lS2_PT7_S1_li
		.amdhsa_group_segment_fixed_size 4096
		.amdhsa_private_segment_fixed_size 0
		.amdhsa_kernarg_size 108
		.amdhsa_user_sgpr_count 13
		.amdhsa_user_sgpr_dispatch_ptr 0
		.amdhsa_user_sgpr_queue_ptr 0
		.amdhsa_user_sgpr_kernarg_segment_ptr 1
		.amdhsa_user_sgpr_dispatch_id 0
		.amdhsa_user_sgpr_private_segment_size 0
		.amdhsa_wavefront_size32 1
		.amdhsa_uses_dynamic_stack 0
		.amdhsa_enable_private_segment 0
		.amdhsa_system_sgpr_workgroup_id_x 1
		.amdhsa_system_sgpr_workgroup_id_y 1
		.amdhsa_system_sgpr_workgroup_id_z 1
		.amdhsa_system_sgpr_workgroup_info 0
		.amdhsa_system_vgpr_workitem_id 1
		.amdhsa_next_free_vgpr 30
		.amdhsa_next_free_sgpr 32
		.amdhsa_reserve_vcc 1
		.amdhsa_float_round_mode_32 0
		.amdhsa_float_round_mode_16_64 0
		.amdhsa_float_denorm_mode_32 3
		.amdhsa_float_denorm_mode_16_64 3
		.amdhsa_dx10_clamp 1
		.amdhsa_ieee_mode 1
		.amdhsa_fp16_overflow 0
		.amdhsa_workgroup_processor_mode 1
		.amdhsa_memory_ordered 1
		.amdhsa_forward_progress 0
		.amdhsa_shared_vgpr_count 0
		.amdhsa_exception_fp_ieee_invalid_op 0
		.amdhsa_exception_fp_denorm_src 0
		.amdhsa_exception_fp_ieee_div_zero 0
		.amdhsa_exception_fp_ieee_overflow 0
		.amdhsa_exception_fp_ieee_underflow 0
		.amdhsa_exception_fp_ieee_inexact 0
		.amdhsa_exception_int_div_zero 0
	.end_amdhsa_kernel
	.section	.text._ZL32rocblas_syrkx_herkx_small_kernelIldLi16ELb1ELb0ELc84ELc76EKddEviT_T0_PT6_S1_lS4_S1_lS2_PT7_S1_li,"axG",@progbits,_ZL32rocblas_syrkx_herkx_small_kernelIldLi16ELb1ELb0ELc84ELc76EKddEviT_T0_PT6_S1_lS4_S1_lS2_PT7_S1_li,comdat
.Lfunc_end1051:
	.size	_ZL32rocblas_syrkx_herkx_small_kernelIldLi16ELb1ELb0ELc84ELc76EKddEviT_T0_PT6_S1_lS4_S1_lS2_PT7_S1_li, .Lfunc_end1051-_ZL32rocblas_syrkx_herkx_small_kernelIldLi16ELb1ELb0ELc84ELc76EKddEviT_T0_PT6_S1_lS4_S1_lS2_PT7_S1_li
                                        ; -- End function
	.section	.AMDGPU.csdata,"",@progbits
; Kernel info:
; codeLenInByte = 1112
; NumSgprs: 34
; NumVgprs: 30
; ScratchSize: 0
; MemoryBound: 0
; FloatMode: 240
; IeeeMode: 1
; LDSByteSize: 4096 bytes/workgroup (compile time only)
; SGPRBlocks: 4
; VGPRBlocks: 3
; NumSGPRsForWavesPerEU: 34
; NumVGPRsForWavesPerEU: 30
; Occupancy: 16
; WaveLimiterHint : 0
; COMPUTE_PGM_RSRC2:SCRATCH_EN: 0
; COMPUTE_PGM_RSRC2:USER_SGPR: 13
; COMPUTE_PGM_RSRC2:TRAP_HANDLER: 0
; COMPUTE_PGM_RSRC2:TGID_X_EN: 1
; COMPUTE_PGM_RSRC2:TGID_Y_EN: 1
; COMPUTE_PGM_RSRC2:TGID_Z_EN: 1
; COMPUTE_PGM_RSRC2:TIDIG_COMP_CNT: 1
	.section	.text._ZL32rocblas_syrkx_herkx_small_kernelIldLi16ELb1ELb0ELc67ELc76EKddEviT_T0_PT6_S1_lS4_S1_lS2_PT7_S1_li,"axG",@progbits,_ZL32rocblas_syrkx_herkx_small_kernelIldLi16ELb1ELb0ELc67ELc76EKddEviT_T0_PT6_S1_lS4_S1_lS2_PT7_S1_li,comdat
	.globl	_ZL32rocblas_syrkx_herkx_small_kernelIldLi16ELb1ELb0ELc67ELc76EKddEviT_T0_PT6_S1_lS4_S1_lS2_PT7_S1_li ; -- Begin function _ZL32rocblas_syrkx_herkx_small_kernelIldLi16ELb1ELb0ELc67ELc76EKddEviT_T0_PT6_S1_lS4_S1_lS2_PT7_S1_li
	.p2align	8
	.type	_ZL32rocblas_syrkx_herkx_small_kernelIldLi16ELb1ELb0ELc67ELc76EKddEviT_T0_PT6_S1_lS4_S1_lS2_PT7_S1_li,@function
_ZL32rocblas_syrkx_herkx_small_kernelIldLi16ELb1ELb0ELc67ELc76EKddEviT_T0_PT6_S1_lS4_S1_lS2_PT7_S1_li: ; @_ZL32rocblas_syrkx_herkx_small_kernelIldLi16ELb1ELb0ELc67ELc76EKddEviT_T0_PT6_S1_lS4_S1_lS2_PT7_S1_li
; %bb.0:
	s_clause 0x1
	s_load_b512 s[16:31], s[0:1], 0x8
	s_load_b32 s6, s[0:1], 0x0
	v_and_b32_e32 v16, 0x3ff, v0
	v_bfe_u32 v17, v0, 10, 10
	s_delay_alu instid0(VALU_DEP_2) | instskip(NEXT) | instid1(VALU_DEP_2)
	v_lshl_add_u32 v0, s13, 4, v16
	v_lshl_add_u32 v14, s14, 4, v17
	s_delay_alu instid0(VALU_DEP_2) | instskip(NEXT) | instid1(VALU_DEP_2)
	v_ashrrev_i32_e32 v1, 31, v0
	v_ashrrev_i32_e32 v15, 31, v14
	s_waitcnt lgkmcnt(0)
	v_cmp_lt_i64_e64 s3, s[16:17], 1
	v_cmp_gt_i32_e64 s2, s6, v0
	s_delay_alu instid0(VALU_DEP_2)
	s_and_b32 vcc_lo, exec_lo, s3
	s_cbranch_vccnz .LBB1052_7
; %bb.1:
	v_lshlrev_b32_e32 v4, 7, v17
	v_lshlrev_b32_e32 v18, 3, v16
	v_mul_lo_u32 v6, s29, v14
	v_mul_lo_u32 v7, s28, v15
	v_mad_u64_u32 v[2:3], null, s28, v14, 0
	s_delay_alu instid0(VALU_DEP_4)
	v_add_nc_u32_e32 v19, v18, v4
	v_add_nc_u32_e32 v20, 0x800, v4
	v_mul_lo_u32 v8, s23, v0
	v_mul_lo_u32 v9, s22, v1
	v_mad_u64_u32 v[4:5], null, s22, v0, 0
	v_add3_u32 v3, v3, v7, v6
	s_mul_i32 s4, s31, s15
	s_mul_hi_u32 s5, s30, s15
	s_mul_i32 s7, s25, s15
	s_add_i32 s5, s5, s4
	v_lshlrev_b64 v[2:3], 3, v[2:3]
	s_delay_alu instid0(VALU_DEP_3)
	v_add3_u32 v5, v5, v9, v8
	s_mul_i32 s4, s30, s15
	s_mul_hi_u32 s8, s24, s15
	s_lshl_b64 s[4:5], s[4:5], 3
	s_add_i32 s9, s8, s7
	v_lshlrev_b64 v[4:5], 3, v[4:5]
	s_mul_i32 s8, s24, s15
	v_add_co_u32 v2, vcc_lo, v2, s4
	v_add_co_ci_u32_e32 v3, vcc_lo, s5, v3, vcc_lo
	s_lshl_b64 s[4:5], s[8:9], 3
	v_lshlrev_b32_e32 v6, 3, v17
	v_add_co_u32 v4, vcc_lo, v4, s4
	v_add_co_ci_u32_e32 v5, vcc_lo, s5, v5, vcc_lo
	v_add_co_u32 v7, vcc_lo, v2, v18
	v_add_co_ci_u32_e32 v8, vcc_lo, 0, v3, vcc_lo
	v_mov_b32_e32 v2, 0
	v_add_co_u32 v6, vcc_lo, v4, v6
	v_add_co_ci_u32_e32 v9, vcc_lo, 0, v5, vcc_lo
	v_mov_b32_e32 v3, 0
	v_add_co_u32 v4, vcc_lo, s26, v7
	v_add_co_ci_u32_e32 v5, vcc_lo, s27, v8, vcc_lo
	v_add_co_u32 v6, vcc_lo, s20, v6
	v_add_co_ci_u32_e32 v7, vcc_lo, s21, v9, vcc_lo
	v_mov_b32_e32 v9, v3
	v_cmp_gt_i32_e64 s3, s6, v14
	v_dual_mov_b32 v8, v2 :: v_dual_add_nc_u32 v21, v20, v18
	s_mov_b64 s[4:5], 0
	s_branch .LBB1052_3
.LBB1052_2:                             ;   in Loop: Header=BB1052_3 Depth=1
	s_or_b32 exec_lo, exec_lo, s7
	s_waitcnt vmcnt(0)
	ds_store_b64 v21, v[12:13]
	s_waitcnt lgkmcnt(0)
	s_barrier
	buffer_gl0_inv
	ds_load_2addr_b64 v[10:13], v18 offset1:16
	ds_load_b128 v[22:25], v20
	ds_load_b128 v[26:29], v20 offset:16
	s_add_u32 s4, s4, 16
	s_addc_u32 s5, s5, 0
	v_add_co_u32 v4, vcc_lo, 0x80, v4
	v_cmp_ge_i64_e64 s7, s[4:5], s[16:17]
	v_add_co_ci_u32_e32 v5, vcc_lo, 0, v5, vcc_lo
	v_add_co_u32 v6, vcc_lo, 0x80, v6
	v_add_co_ci_u32_e32 v7, vcc_lo, 0, v7, vcc_lo
	s_delay_alu instid0(VALU_DEP_4) | instskip(SKIP_2) | instid1(VALU_DEP_1)
	s_and_b32 vcc_lo, exec_lo, s7
	s_waitcnt lgkmcnt(1)
	v_fma_f64 v[8:9], v[10:11], v[22:23], v[8:9]
	v_fma_f64 v[12:13], v[12:13], v[24:25], v[8:9]
	ds_load_2addr_b64 v[8:11], v18 offset0:32 offset1:48
	s_waitcnt lgkmcnt(0)
	v_fma_f64 v[8:9], v[8:9], v[26:27], v[12:13]
	s_delay_alu instid0(VALU_DEP_1)
	v_fma_f64 v[12:13], v[10:11], v[28:29], v[8:9]
	ds_load_2addr_b64 v[8:11], v18 offset0:64 offset1:80
	ds_load_b128 v[22:25], v20 offset:32
	ds_load_b128 v[26:29], v20 offset:48
	s_waitcnt lgkmcnt(1)
	v_fma_f64 v[8:9], v[8:9], v[22:23], v[12:13]
	s_delay_alu instid0(VALU_DEP_1) | instskip(SKIP_3) | instid1(VALU_DEP_1)
	v_fma_f64 v[12:13], v[10:11], v[24:25], v[8:9]
	ds_load_2addr_b64 v[8:11], v18 offset0:96 offset1:112
	s_waitcnt lgkmcnt(0)
	v_fma_f64 v[8:9], v[8:9], v[26:27], v[12:13]
	v_fma_f64 v[12:13], v[10:11], v[28:29], v[8:9]
	ds_load_2addr_b64 v[8:11], v18 offset0:128 offset1:144
	ds_load_b128 v[22:25], v20 offset:64
	ds_load_b128 v[26:29], v20 offset:80
	s_waitcnt lgkmcnt(1)
	v_fma_f64 v[8:9], v[8:9], v[22:23], v[12:13]
	s_delay_alu instid0(VALU_DEP_1) | instskip(SKIP_3) | instid1(VALU_DEP_1)
	v_fma_f64 v[12:13], v[10:11], v[24:25], v[8:9]
	ds_load_2addr_b64 v[8:11], v18 offset0:160 offset1:176
	s_waitcnt lgkmcnt(0)
	v_fma_f64 v[8:9], v[8:9], v[26:27], v[12:13]
	v_fma_f64 v[12:13], v[10:11], v[28:29], v[8:9]
	ds_load_2addr_b64 v[8:11], v18 offset0:192 offset1:208
	ds_load_b128 v[22:25], v20 offset:96
	ds_load_b128 v[26:29], v20 offset:112
	s_waitcnt lgkmcnt(1)
	v_fma_f64 v[8:9], v[8:9], v[22:23], v[12:13]
	s_delay_alu instid0(VALU_DEP_1)
	v_fma_f64 v[12:13], v[10:11], v[24:25], v[8:9]
	ds_load_2addr_b64 v[8:11], v18 offset0:224 offset1:240
	s_waitcnt lgkmcnt(0)
	s_barrier
	buffer_gl0_inv
	v_fma_f64 v[8:9], v[8:9], v[26:27], v[12:13]
	s_delay_alu instid0(VALU_DEP_1)
	v_fma_f64 v[8:9], v[10:11], v[28:29], v[8:9]
	s_cbranch_vccnz .LBB1052_8
.LBB1052_3:                             ; =>This Inner Loop Header: Depth=1
	v_add_co_u32 v10, s7, v17, s4
	s_delay_alu instid0(VALU_DEP_1) | instskip(NEXT) | instid1(VALU_DEP_1)
	v_add_co_ci_u32_e64 v11, null, 0, s5, s7
	v_cmp_gt_i64_e32 vcc_lo, s[16:17], v[10:11]
	v_dual_mov_b32 v11, v3 :: v_dual_mov_b32 v10, v2
	s_and_b32 s8, s2, vcc_lo
	s_delay_alu instid0(SALU_CYCLE_1)
	s_and_saveexec_b32 s7, s8
	s_cbranch_execz .LBB1052_5
; %bb.4:                                ;   in Loop: Header=BB1052_3 Depth=1
	global_load_b64 v[10:11], v[6:7], off
.LBB1052_5:                             ;   in Loop: Header=BB1052_3 Depth=1
	s_or_b32 exec_lo, exec_lo, s7
	v_add_co_u32 v12, s7, v16, s4
	s_delay_alu instid0(VALU_DEP_1)
	v_add_co_ci_u32_e64 v13, null, 0, s5, s7
	s_waitcnt vmcnt(0)
	ds_store_b64 v19, v[10:11]
	v_cmp_gt_i64_e32 vcc_lo, s[16:17], v[12:13]
	v_mov_b32_e32 v12, 0
	v_mov_b32_e32 v13, 0
	s_and_b32 s8, s3, vcc_lo
	s_delay_alu instid0(SALU_CYCLE_1)
	s_and_saveexec_b32 s7, s8
	s_cbranch_execz .LBB1052_2
; %bb.6:                                ;   in Loop: Header=BB1052_3 Depth=1
	global_load_b64 v[12:13], v[4:5], off
	s_branch .LBB1052_2
.LBB1052_7:
	v_mov_b32_e32 v8, 0
	v_mov_b32_e32 v9, 0
.LBB1052_8:
	v_cmp_le_i32_e32 vcc_lo, v14, v0
	v_cmp_gt_i32_e64 s2, s6, v0
	s_delay_alu instid0(VALU_DEP_1) | instskip(NEXT) | instid1(SALU_CYCLE_1)
	s_and_b32 s2, vcc_lo, s2
	s_and_saveexec_b32 s3, s2
	s_cbranch_execz .LBB1052_10
; %bb.9:
	s_clause 0x1
	s_load_b128 s[4:7], s[0:1], 0x50
	s_load_b64 s[0:1], s[0:1], 0x60
	s_delay_alu instid0(VALU_DEP_3)
	v_mul_f64 v[2:3], v[8:9], s[18:19]
	v_lshlrev_b64 v[0:1], 3, v[0:1]
	s_waitcnt lgkmcnt(0)
	v_mul_lo_u32 v6, v14, s7
	v_mul_lo_u32 v7, v15, s6
	v_mad_u64_u32 v[4:5], null, v14, s6, 0
	s_mul_i32 s1, s15, s1
	s_mul_hi_u32 s2, s15, s0
	s_mul_i32 s0, s15, s0
	s_add_i32 s1, s2, s1
	s_delay_alu instid0(SALU_CYCLE_1) | instskip(NEXT) | instid1(VALU_DEP_1)
	s_lshl_b64 s[0:1], s[0:1], 3
	v_add3_u32 v5, v5, v6, v7
	s_add_u32 s0, s4, s0
	s_addc_u32 s1, s5, s1
	s_delay_alu instid0(VALU_DEP_1) | instskip(NEXT) | instid1(VALU_DEP_1)
	v_lshlrev_b64 v[4:5], 3, v[4:5]
	v_add_co_u32 v4, vcc_lo, s0, v4
	s_delay_alu instid0(VALU_DEP_2) | instskip(NEXT) | instid1(VALU_DEP_2)
	v_add_co_ci_u32_e32 v5, vcc_lo, s1, v5, vcc_lo
	v_add_co_u32 v0, vcc_lo, v4, v0
	s_delay_alu instid0(VALU_DEP_2)
	v_add_co_ci_u32_e32 v1, vcc_lo, v5, v1, vcc_lo
	global_store_b64 v[0:1], v[2:3], off
.LBB1052_10:
	s_nop 0
	s_sendmsg sendmsg(MSG_DEALLOC_VGPRS)
	s_endpgm
	.section	.rodata,"a",@progbits
	.p2align	6, 0x0
	.amdhsa_kernel _ZL32rocblas_syrkx_herkx_small_kernelIldLi16ELb1ELb0ELc67ELc76EKddEviT_T0_PT6_S1_lS4_S1_lS2_PT7_S1_li
		.amdhsa_group_segment_fixed_size 4096
		.amdhsa_private_segment_fixed_size 0
		.amdhsa_kernarg_size 108
		.amdhsa_user_sgpr_count 13
		.amdhsa_user_sgpr_dispatch_ptr 0
		.amdhsa_user_sgpr_queue_ptr 0
		.amdhsa_user_sgpr_kernarg_segment_ptr 1
		.amdhsa_user_sgpr_dispatch_id 0
		.amdhsa_user_sgpr_private_segment_size 0
		.amdhsa_wavefront_size32 1
		.amdhsa_uses_dynamic_stack 0
		.amdhsa_enable_private_segment 0
		.amdhsa_system_sgpr_workgroup_id_x 1
		.amdhsa_system_sgpr_workgroup_id_y 1
		.amdhsa_system_sgpr_workgroup_id_z 1
		.amdhsa_system_sgpr_workgroup_info 0
		.amdhsa_system_vgpr_workitem_id 1
		.amdhsa_next_free_vgpr 30
		.amdhsa_next_free_sgpr 32
		.amdhsa_reserve_vcc 1
		.amdhsa_float_round_mode_32 0
		.amdhsa_float_round_mode_16_64 0
		.amdhsa_float_denorm_mode_32 3
		.amdhsa_float_denorm_mode_16_64 3
		.amdhsa_dx10_clamp 1
		.amdhsa_ieee_mode 1
		.amdhsa_fp16_overflow 0
		.amdhsa_workgroup_processor_mode 1
		.amdhsa_memory_ordered 1
		.amdhsa_forward_progress 0
		.amdhsa_shared_vgpr_count 0
		.amdhsa_exception_fp_ieee_invalid_op 0
		.amdhsa_exception_fp_denorm_src 0
		.amdhsa_exception_fp_ieee_div_zero 0
		.amdhsa_exception_fp_ieee_overflow 0
		.amdhsa_exception_fp_ieee_underflow 0
		.amdhsa_exception_fp_ieee_inexact 0
		.amdhsa_exception_int_div_zero 0
	.end_amdhsa_kernel
	.section	.text._ZL32rocblas_syrkx_herkx_small_kernelIldLi16ELb1ELb0ELc67ELc76EKddEviT_T0_PT6_S1_lS4_S1_lS2_PT7_S1_li,"axG",@progbits,_ZL32rocblas_syrkx_herkx_small_kernelIldLi16ELb1ELb0ELc67ELc76EKddEviT_T0_PT6_S1_lS4_S1_lS2_PT7_S1_li,comdat
.Lfunc_end1052:
	.size	_ZL32rocblas_syrkx_herkx_small_kernelIldLi16ELb1ELb0ELc67ELc76EKddEviT_T0_PT6_S1_lS4_S1_lS2_PT7_S1_li, .Lfunc_end1052-_ZL32rocblas_syrkx_herkx_small_kernelIldLi16ELb1ELb0ELc67ELc76EKddEviT_T0_PT6_S1_lS4_S1_lS2_PT7_S1_li
                                        ; -- End function
	.section	.AMDGPU.csdata,"",@progbits
; Kernel info:
; codeLenInByte = 1112
; NumSgprs: 34
; NumVgprs: 30
; ScratchSize: 0
; MemoryBound: 0
; FloatMode: 240
; IeeeMode: 1
; LDSByteSize: 4096 bytes/workgroup (compile time only)
; SGPRBlocks: 4
; VGPRBlocks: 3
; NumSGPRsForWavesPerEU: 34
; NumVGPRsForWavesPerEU: 30
; Occupancy: 16
; WaveLimiterHint : 0
; COMPUTE_PGM_RSRC2:SCRATCH_EN: 0
; COMPUTE_PGM_RSRC2:USER_SGPR: 13
; COMPUTE_PGM_RSRC2:TRAP_HANDLER: 0
; COMPUTE_PGM_RSRC2:TGID_X_EN: 1
; COMPUTE_PGM_RSRC2:TGID_Y_EN: 1
; COMPUTE_PGM_RSRC2:TGID_Z_EN: 1
; COMPUTE_PGM_RSRC2:TIDIG_COMP_CNT: 1
	.section	.text._ZL32rocblas_syrkx_herkx_small_kernelIldLi16ELb1ELb0ELc78ELc76EKddEviT_T0_PT6_S1_lS4_S1_lS2_PT7_S1_li,"axG",@progbits,_ZL32rocblas_syrkx_herkx_small_kernelIldLi16ELb1ELb0ELc78ELc76EKddEviT_T0_PT6_S1_lS4_S1_lS2_PT7_S1_li,comdat
	.globl	_ZL32rocblas_syrkx_herkx_small_kernelIldLi16ELb1ELb0ELc78ELc76EKddEviT_T0_PT6_S1_lS4_S1_lS2_PT7_S1_li ; -- Begin function _ZL32rocblas_syrkx_herkx_small_kernelIldLi16ELb1ELb0ELc78ELc76EKddEviT_T0_PT6_S1_lS4_S1_lS2_PT7_S1_li
	.p2align	8
	.type	_ZL32rocblas_syrkx_herkx_small_kernelIldLi16ELb1ELb0ELc78ELc76EKddEviT_T0_PT6_S1_lS4_S1_lS2_PT7_S1_li,@function
_ZL32rocblas_syrkx_herkx_small_kernelIldLi16ELb1ELb0ELc78ELc76EKddEviT_T0_PT6_S1_lS4_S1_lS2_PT7_S1_li: ; @_ZL32rocblas_syrkx_herkx_small_kernelIldLi16ELb1ELb0ELc78ELc76EKddEviT_T0_PT6_S1_lS4_S1_lS2_PT7_S1_li
; %bb.0:
	s_clause 0x1
	s_load_b512 s[16:31], s[0:1], 0x8
	s_load_b32 s10, s[0:1], 0x0
	v_and_b32_e32 v16, 0x3ff, v0
	v_bfe_u32 v17, v0, 10, 10
	s_delay_alu instid0(VALU_DEP_2) | instskip(NEXT) | instid1(VALU_DEP_2)
	v_lshl_add_u32 v0, s13, 4, v16
	v_lshl_add_u32 v2, s14, 4, v17
	s_delay_alu instid0(VALU_DEP_2) | instskip(NEXT) | instid1(VALU_DEP_2)
	v_ashrrev_i32_e32 v1, 31, v0
	v_ashrrev_i32_e32 v3, 31, v2
	s_waitcnt lgkmcnt(0)
	v_cmp_lt_i64_e64 s3, s[16:17], 1
	v_cmp_gt_i32_e64 s2, s10, v0
	s_delay_alu instid0(VALU_DEP_2)
	s_and_b32 vcc_lo, exec_lo, s3
	s_cbranch_vccnz .LBB1053_7
; %bb.1:
	v_mad_u64_u32 v[4:5], null, s28, v16, 0
	v_mad_u64_u32 v[6:7], null, s22, v17, 0
	v_lshlrev_b32_e32 v11, 7, v17
	s_mul_i32 s5, s31, s15
	s_mul_hi_u32 s7, s30, s15
	s_mul_i32 s4, s30, s15
	s_add_i32 s5, s7, s5
	s_mul_i32 s8, s25, s15
	s_delay_alu instid0(VALU_DEP_2)
	v_mad_u64_u32 v[8:9], null, s29, v16, v[5:6]
	v_lshlrev_b32_e32 v18, 3, v16
	s_mul_hi_u32 s9, s24, s15
	s_lshl_b64 s[4:5], s[4:5], 3
	s_mul_i32 s6, s24, s15
	s_add_i32 s7, s9, s8
	v_add_nc_u32_e32 v19, 0x800, v11
	s_delay_alu instid0(VALU_DEP_3) | instskip(SKIP_4) | instid1(VALU_DEP_3)
	v_mad_u64_u32 v[9:10], null, s23, v17, v[7:8]
	v_mov_b32_e32 v5, v8
	v_cmp_gt_i32_e64 s3, s10, v2
	s_mov_b64 s[8:9], 0
	v_add_nc_u32_e32 v20, v18, v11
	v_lshlrev_b64 v[4:5], 3, v[4:5]
	v_mov_b32_e32 v7, v9
	s_delay_alu instid0(VALU_DEP_2) | instskip(NEXT) | instid1(VALU_DEP_2)
	v_add_co_u32 v8, vcc_lo, s4, v4
	v_lshlrev_b64 v[6:7], 3, v[6:7]
	s_delay_alu instid0(VALU_DEP_4) | instskip(SKIP_3) | instid1(VALU_DEP_3)
	v_add_co_ci_u32_e32 v9, vcc_lo, s5, v5, vcc_lo
	s_lshl_b64 s[4:5], s[6:7], 3
	v_lshlrev_b64 v[4:5], 3, v[2:3]
	s_lshl_b64 s[6:7], s[22:23], 7
	v_add_co_u32 v10, vcc_lo, s4, v6
	v_add_co_ci_u32_e32 v11, vcc_lo, s5, v7, vcc_lo
	v_lshlrev_b64 v[6:7], 3, v[0:1]
	s_delay_alu instid0(VALU_DEP_4) | instskip(SKIP_2) | instid1(VALU_DEP_4)
	v_add_co_u32 v8, vcc_lo, v8, v4
	v_add_co_ci_u32_e32 v9, vcc_lo, v9, v5, vcc_lo
	v_mov_b32_e32 v4, 0
	v_add_co_u32 v10, vcc_lo, v10, v6
	v_add_co_ci_u32_e32 v11, vcc_lo, v11, v7, vcc_lo
	v_mov_b32_e32 v5, 0
	v_add_co_u32 v6, vcc_lo, s26, v8
	v_add_co_ci_u32_e32 v7, vcc_lo, s27, v9, vcc_lo
	v_add_co_u32 v8, vcc_lo, s20, v10
	v_add_co_ci_u32_e32 v9, vcc_lo, s21, v11, vcc_lo
	v_dual_mov_b32 v11, v5 :: v_dual_mov_b32 v10, v4
	v_add_nc_u32_e32 v21, v19, v18
	s_lshl_b64 s[4:5], s[28:29], 7
	s_branch .LBB1053_3
.LBB1053_2:                             ;   in Loop: Header=BB1053_3 Depth=1
	s_or_b32 exec_lo, exec_lo, s11
	s_waitcnt vmcnt(0)
	ds_store_b64 v21, v[14:15]
	s_waitcnt lgkmcnt(0)
	s_barrier
	buffer_gl0_inv
	ds_load_2addr_b64 v[12:15], v18 offset1:16
	ds_load_b128 v[22:25], v19
	ds_load_b128 v[26:29], v19 offset:16
	s_add_u32 s8, s8, 16
	s_addc_u32 s9, s9, 0
	v_add_co_u32 v6, vcc_lo, v6, s4
	v_cmp_ge_i64_e64 s11, s[8:9], s[16:17]
	v_add_co_ci_u32_e32 v7, vcc_lo, s5, v7, vcc_lo
	v_add_co_u32 v8, vcc_lo, v8, s6
	v_add_co_ci_u32_e32 v9, vcc_lo, s7, v9, vcc_lo
	s_delay_alu instid0(VALU_DEP_4) | instskip(SKIP_2) | instid1(VALU_DEP_1)
	s_and_b32 vcc_lo, exec_lo, s11
	s_waitcnt lgkmcnt(1)
	v_fma_f64 v[10:11], v[12:13], v[22:23], v[10:11]
	v_fma_f64 v[14:15], v[14:15], v[24:25], v[10:11]
	ds_load_2addr_b64 v[10:13], v18 offset0:32 offset1:48
	s_waitcnt lgkmcnt(0)
	v_fma_f64 v[10:11], v[10:11], v[26:27], v[14:15]
	s_delay_alu instid0(VALU_DEP_1)
	v_fma_f64 v[14:15], v[12:13], v[28:29], v[10:11]
	ds_load_2addr_b64 v[10:13], v18 offset0:64 offset1:80
	ds_load_b128 v[22:25], v19 offset:32
	ds_load_b128 v[26:29], v19 offset:48
	s_waitcnt lgkmcnt(1)
	v_fma_f64 v[10:11], v[10:11], v[22:23], v[14:15]
	s_delay_alu instid0(VALU_DEP_1) | instskip(SKIP_3) | instid1(VALU_DEP_1)
	v_fma_f64 v[14:15], v[12:13], v[24:25], v[10:11]
	ds_load_2addr_b64 v[10:13], v18 offset0:96 offset1:112
	s_waitcnt lgkmcnt(0)
	v_fma_f64 v[10:11], v[10:11], v[26:27], v[14:15]
	v_fma_f64 v[14:15], v[12:13], v[28:29], v[10:11]
	ds_load_2addr_b64 v[10:13], v18 offset0:128 offset1:144
	ds_load_b128 v[22:25], v19 offset:64
	ds_load_b128 v[26:29], v19 offset:80
	s_waitcnt lgkmcnt(1)
	v_fma_f64 v[10:11], v[10:11], v[22:23], v[14:15]
	s_delay_alu instid0(VALU_DEP_1) | instskip(SKIP_3) | instid1(VALU_DEP_1)
	v_fma_f64 v[14:15], v[12:13], v[24:25], v[10:11]
	ds_load_2addr_b64 v[10:13], v18 offset0:160 offset1:176
	s_waitcnt lgkmcnt(0)
	v_fma_f64 v[10:11], v[10:11], v[26:27], v[14:15]
	v_fma_f64 v[14:15], v[12:13], v[28:29], v[10:11]
	ds_load_2addr_b64 v[10:13], v18 offset0:192 offset1:208
	ds_load_b128 v[22:25], v19 offset:96
	ds_load_b128 v[26:29], v19 offset:112
	s_waitcnt lgkmcnt(1)
	v_fma_f64 v[10:11], v[10:11], v[22:23], v[14:15]
	s_delay_alu instid0(VALU_DEP_1)
	v_fma_f64 v[14:15], v[12:13], v[24:25], v[10:11]
	ds_load_2addr_b64 v[10:13], v18 offset0:224 offset1:240
	s_waitcnt lgkmcnt(0)
	s_barrier
	buffer_gl0_inv
	v_fma_f64 v[10:11], v[10:11], v[26:27], v[14:15]
	s_delay_alu instid0(VALU_DEP_1)
	v_fma_f64 v[10:11], v[12:13], v[28:29], v[10:11]
	s_cbranch_vccnz .LBB1053_8
.LBB1053_3:                             ; =>This Inner Loop Header: Depth=1
	v_add_co_u32 v12, s11, v17, s8
	s_delay_alu instid0(VALU_DEP_1) | instskip(NEXT) | instid1(VALU_DEP_1)
	v_add_co_ci_u32_e64 v13, null, 0, s9, s11
	v_cmp_gt_i64_e32 vcc_lo, s[16:17], v[12:13]
	v_dual_mov_b32 v13, v5 :: v_dual_mov_b32 v12, v4
	s_and_b32 s12, s2, vcc_lo
	s_delay_alu instid0(SALU_CYCLE_1)
	s_and_saveexec_b32 s11, s12
	s_cbranch_execz .LBB1053_5
; %bb.4:                                ;   in Loop: Header=BB1053_3 Depth=1
	global_load_b64 v[12:13], v[8:9], off
.LBB1053_5:                             ;   in Loop: Header=BB1053_3 Depth=1
	s_or_b32 exec_lo, exec_lo, s11
	v_add_co_u32 v14, s11, v16, s8
	s_delay_alu instid0(VALU_DEP_1)
	v_add_co_ci_u32_e64 v15, null, 0, s9, s11
	s_waitcnt vmcnt(0)
	ds_store_b64 v20, v[12:13]
	v_cmp_gt_i64_e32 vcc_lo, s[16:17], v[14:15]
	v_mov_b32_e32 v14, 0
	v_mov_b32_e32 v15, 0
	s_and_b32 s12, s3, vcc_lo
	s_delay_alu instid0(SALU_CYCLE_1)
	s_and_saveexec_b32 s11, s12
	s_cbranch_execz .LBB1053_2
; %bb.6:                                ;   in Loop: Header=BB1053_3 Depth=1
	global_load_b64 v[14:15], v[6:7], off
	s_branch .LBB1053_2
.LBB1053_7:
	v_mov_b32_e32 v10, 0
	v_mov_b32_e32 v11, 0
.LBB1053_8:
	v_cmp_le_i32_e32 vcc_lo, v2, v0
	v_cmp_gt_i32_e64 s2, s10, v0
	s_delay_alu instid0(VALU_DEP_1) | instskip(NEXT) | instid1(SALU_CYCLE_1)
	s_and_b32 s2, vcc_lo, s2
	s_and_saveexec_b32 s3, s2
	s_cbranch_execz .LBB1053_10
; %bb.9:
	s_clause 0x1
	s_load_b128 s[4:7], s[0:1], 0x50
	s_load_b64 s[0:1], s[0:1], 0x60
	s_delay_alu instid0(VALU_DEP_3)
	v_mul_f64 v[4:5], v[10:11], s[18:19]
	v_lshlrev_b64 v[0:1], 3, v[0:1]
	s_waitcnt lgkmcnt(0)
	v_mul_lo_u32 v8, v2, s7
	v_mul_lo_u32 v3, v3, s6
	v_mad_u64_u32 v[6:7], null, v2, s6, 0
	s_mul_i32 s1, s15, s1
	s_mul_hi_u32 s2, s15, s0
	s_mul_i32 s0, s15, s0
	s_add_i32 s1, s2, s1
	s_delay_alu instid0(SALU_CYCLE_1) | instskip(NEXT) | instid1(VALU_DEP_1)
	s_lshl_b64 s[0:1], s[0:1], 3
	v_add3_u32 v7, v7, v8, v3
	s_add_u32 s0, s4, s0
	s_addc_u32 s1, s5, s1
	s_delay_alu instid0(VALU_DEP_1) | instskip(NEXT) | instid1(VALU_DEP_1)
	v_lshlrev_b64 v[2:3], 3, v[6:7]
	v_add_co_u32 v2, vcc_lo, s0, v2
	s_delay_alu instid0(VALU_DEP_2) | instskip(NEXT) | instid1(VALU_DEP_2)
	v_add_co_ci_u32_e32 v3, vcc_lo, s1, v3, vcc_lo
	v_add_co_u32 v0, vcc_lo, v2, v0
	s_delay_alu instid0(VALU_DEP_2)
	v_add_co_ci_u32_e32 v1, vcc_lo, v3, v1, vcc_lo
	global_store_b64 v[0:1], v[4:5], off
.LBB1053_10:
	s_nop 0
	s_sendmsg sendmsg(MSG_DEALLOC_VGPRS)
	s_endpgm
	.section	.rodata,"a",@progbits
	.p2align	6, 0x0
	.amdhsa_kernel _ZL32rocblas_syrkx_herkx_small_kernelIldLi16ELb1ELb0ELc78ELc76EKddEviT_T0_PT6_S1_lS4_S1_lS2_PT7_S1_li
		.amdhsa_group_segment_fixed_size 4096
		.amdhsa_private_segment_fixed_size 0
		.amdhsa_kernarg_size 108
		.amdhsa_user_sgpr_count 13
		.amdhsa_user_sgpr_dispatch_ptr 0
		.amdhsa_user_sgpr_queue_ptr 0
		.amdhsa_user_sgpr_kernarg_segment_ptr 1
		.amdhsa_user_sgpr_dispatch_id 0
		.amdhsa_user_sgpr_private_segment_size 0
		.amdhsa_wavefront_size32 1
		.amdhsa_uses_dynamic_stack 0
		.amdhsa_enable_private_segment 0
		.amdhsa_system_sgpr_workgroup_id_x 1
		.amdhsa_system_sgpr_workgroup_id_y 1
		.amdhsa_system_sgpr_workgroup_id_z 1
		.amdhsa_system_sgpr_workgroup_info 0
		.amdhsa_system_vgpr_workitem_id 1
		.amdhsa_next_free_vgpr 30
		.amdhsa_next_free_sgpr 32
		.amdhsa_reserve_vcc 1
		.amdhsa_float_round_mode_32 0
		.amdhsa_float_round_mode_16_64 0
		.amdhsa_float_denorm_mode_32 3
		.amdhsa_float_denorm_mode_16_64 3
		.amdhsa_dx10_clamp 1
		.amdhsa_ieee_mode 1
		.amdhsa_fp16_overflow 0
		.amdhsa_workgroup_processor_mode 1
		.amdhsa_memory_ordered 1
		.amdhsa_forward_progress 0
		.amdhsa_shared_vgpr_count 0
		.amdhsa_exception_fp_ieee_invalid_op 0
		.amdhsa_exception_fp_denorm_src 0
		.amdhsa_exception_fp_ieee_div_zero 0
		.amdhsa_exception_fp_ieee_overflow 0
		.amdhsa_exception_fp_ieee_underflow 0
		.amdhsa_exception_fp_ieee_inexact 0
		.amdhsa_exception_int_div_zero 0
	.end_amdhsa_kernel
	.section	.text._ZL32rocblas_syrkx_herkx_small_kernelIldLi16ELb1ELb0ELc78ELc76EKddEviT_T0_PT6_S1_lS4_S1_lS2_PT7_S1_li,"axG",@progbits,_ZL32rocblas_syrkx_herkx_small_kernelIldLi16ELb1ELb0ELc78ELc76EKddEviT_T0_PT6_S1_lS4_S1_lS2_PT7_S1_li,comdat
.Lfunc_end1053:
	.size	_ZL32rocblas_syrkx_herkx_small_kernelIldLi16ELb1ELb0ELc78ELc76EKddEviT_T0_PT6_S1_lS4_S1_lS2_PT7_S1_li, .Lfunc_end1053-_ZL32rocblas_syrkx_herkx_small_kernelIldLi16ELb1ELb0ELc78ELc76EKddEviT_T0_PT6_S1_lS4_S1_lS2_PT7_S1_li
                                        ; -- End function
	.section	.AMDGPU.csdata,"",@progbits
; Kernel info:
; codeLenInByte = 1112
; NumSgprs: 34
; NumVgprs: 30
; ScratchSize: 0
; MemoryBound: 0
; FloatMode: 240
; IeeeMode: 1
; LDSByteSize: 4096 bytes/workgroup (compile time only)
; SGPRBlocks: 4
; VGPRBlocks: 3
; NumSGPRsForWavesPerEU: 34
; NumVGPRsForWavesPerEU: 30
; Occupancy: 16
; WaveLimiterHint : 0
; COMPUTE_PGM_RSRC2:SCRATCH_EN: 0
; COMPUTE_PGM_RSRC2:USER_SGPR: 13
; COMPUTE_PGM_RSRC2:TRAP_HANDLER: 0
; COMPUTE_PGM_RSRC2:TGID_X_EN: 1
; COMPUTE_PGM_RSRC2:TGID_Y_EN: 1
; COMPUTE_PGM_RSRC2:TGID_Z_EN: 1
; COMPUTE_PGM_RSRC2:TIDIG_COMP_CNT: 1
	.section	.text._ZL32rocblas_syrkx_herkx_small_kernelIldLi16ELb1ELb0ELc84ELc85EKddEviT_T0_PT6_S1_lS4_S1_lS2_PT7_S1_li,"axG",@progbits,_ZL32rocblas_syrkx_herkx_small_kernelIldLi16ELb1ELb0ELc84ELc85EKddEviT_T0_PT6_S1_lS4_S1_lS2_PT7_S1_li,comdat
	.globl	_ZL32rocblas_syrkx_herkx_small_kernelIldLi16ELb1ELb0ELc84ELc85EKddEviT_T0_PT6_S1_lS4_S1_lS2_PT7_S1_li ; -- Begin function _ZL32rocblas_syrkx_herkx_small_kernelIldLi16ELb1ELb0ELc84ELc85EKddEviT_T0_PT6_S1_lS4_S1_lS2_PT7_S1_li
	.p2align	8
	.type	_ZL32rocblas_syrkx_herkx_small_kernelIldLi16ELb1ELb0ELc84ELc85EKddEviT_T0_PT6_S1_lS4_S1_lS2_PT7_S1_li,@function
_ZL32rocblas_syrkx_herkx_small_kernelIldLi16ELb1ELb0ELc84ELc85EKddEviT_T0_PT6_S1_lS4_S1_lS2_PT7_S1_li: ; @_ZL32rocblas_syrkx_herkx_small_kernelIldLi16ELb1ELb0ELc84ELc85EKddEviT_T0_PT6_S1_lS4_S1_lS2_PT7_S1_li
; %bb.0:
	s_clause 0x1
	s_load_b512 s[16:31], s[0:1], 0x8
	s_load_b32 s6, s[0:1], 0x0
	v_and_b32_e32 v16, 0x3ff, v0
	v_bfe_u32 v17, v0, 10, 10
	s_delay_alu instid0(VALU_DEP_2) | instskip(NEXT) | instid1(VALU_DEP_2)
	v_lshl_add_u32 v0, s13, 4, v16
	v_lshl_add_u32 v14, s14, 4, v17
	s_delay_alu instid0(VALU_DEP_2) | instskip(NEXT) | instid1(VALU_DEP_2)
	v_ashrrev_i32_e32 v1, 31, v0
	v_ashrrev_i32_e32 v15, 31, v14
	s_waitcnt lgkmcnt(0)
	v_cmp_lt_i64_e64 s3, s[16:17], 1
	v_cmp_gt_i32_e64 s2, s6, v14
	s_delay_alu instid0(VALU_DEP_2)
	s_and_b32 vcc_lo, exec_lo, s3
	s_cbranch_vccnz .LBB1054_7
; %bb.1:
	v_mul_lo_u32 v7, s29, v14
	v_mul_lo_u32 v8, s28, v15
	v_mad_u64_u32 v[2:3], null, s28, v14, 0
	v_mul_lo_u32 v9, s23, v0
	v_mul_lo_u32 v10, s22, v1
	v_mad_u64_u32 v[4:5], null, s22, v0, 0
	s_mul_i32 s4, s31, s15
	s_mul_hi_u32 s5, s30, s15
	s_delay_alu instid0(VALU_DEP_4) | instskip(SKIP_3) | instid1(VALU_DEP_2)
	v_add3_u32 v3, v3, v8, v7
	s_add_i32 s5, s5, s4
	s_mul_i32 s4, s30, s15
	s_mul_i32 s7, s25, s15
	v_add3_u32 v5, v5, v10, v9
	v_lshlrev_b64 v[2:3], 3, v[2:3]
	s_lshl_b64 s[4:5], s[4:5], 3
	s_mul_hi_u32 s8, s24, s15
	v_lshlrev_b32_e32 v18, 3, v16
	v_lshlrev_b64 v[4:5], 3, v[4:5]
	s_add_i32 s9, s8, s7
	s_mul_i32 s8, s24, s15
	v_add_co_u32 v2, vcc_lo, v2, s4
	v_add_co_ci_u32_e32 v3, vcc_lo, s5, v3, vcc_lo
	s_lshl_b64 s[4:5], s[8:9], 3
	v_lshlrev_b32_e32 v6, 7, v17
	v_add_co_u32 v4, vcc_lo, v4, s4
	v_add_co_ci_u32_e32 v5, vcc_lo, s5, v5, vcc_lo
	v_add_co_u32 v7, vcc_lo, v2, v18
	v_add_co_ci_u32_e32 v8, vcc_lo, 0, v3, vcc_lo
	v_mov_b32_e32 v2, 0
	v_mov_b32_e32 v3, 0
	v_add_nc_u32_e32 v19, 0x800, v6
	v_add_nc_u32_e32 v20, v18, v6
	v_lshlrev_b32_e32 v6, 3, v17
	v_cmp_gt_i32_e64 s3, s6, v0
	s_mov_b64 s[4:5], 0
	s_delay_alu instid0(VALU_DEP_2) | instskip(SKIP_3) | instid1(VALU_DEP_4)
	v_add_co_u32 v6, vcc_lo, v4, v6
	v_add_co_ci_u32_e32 v9, vcc_lo, 0, v5, vcc_lo
	v_add_co_u32 v4, vcc_lo, s26, v7
	v_add_co_ci_u32_e32 v5, vcc_lo, s27, v8, vcc_lo
	v_add_co_u32 v6, vcc_lo, s20, v6
	s_delay_alu instid0(VALU_DEP_4)
	v_add_co_ci_u32_e32 v7, vcc_lo, s21, v9, vcc_lo
	v_dual_mov_b32 v9, v3 :: v_dual_mov_b32 v8, v2
	v_add_nc_u32_e32 v21, v19, v18
	s_branch .LBB1054_3
.LBB1054_2:                             ;   in Loop: Header=BB1054_3 Depth=1
	s_or_b32 exec_lo, exec_lo, s7
	s_waitcnt vmcnt(0)
	ds_store_b64 v21, v[12:13]
	s_waitcnt lgkmcnt(0)
	s_barrier
	buffer_gl0_inv
	ds_load_2addr_b64 v[10:13], v18 offset1:16
	ds_load_b128 v[22:25], v19
	ds_load_b128 v[26:29], v19 offset:16
	s_add_u32 s4, s4, 16
	s_addc_u32 s5, s5, 0
	v_add_co_u32 v4, vcc_lo, 0x80, v4
	v_cmp_ge_i64_e64 s7, s[4:5], s[16:17]
	v_add_co_ci_u32_e32 v5, vcc_lo, 0, v5, vcc_lo
	v_add_co_u32 v6, vcc_lo, 0x80, v6
	v_add_co_ci_u32_e32 v7, vcc_lo, 0, v7, vcc_lo
	s_delay_alu instid0(VALU_DEP_4) | instskip(SKIP_2) | instid1(VALU_DEP_1)
	s_and_b32 vcc_lo, exec_lo, s7
	s_waitcnt lgkmcnt(1)
	v_fma_f64 v[8:9], v[10:11], v[22:23], v[8:9]
	v_fma_f64 v[12:13], v[12:13], v[24:25], v[8:9]
	ds_load_2addr_b64 v[8:11], v18 offset0:32 offset1:48
	s_waitcnt lgkmcnt(0)
	v_fma_f64 v[8:9], v[8:9], v[26:27], v[12:13]
	s_delay_alu instid0(VALU_DEP_1)
	v_fma_f64 v[12:13], v[10:11], v[28:29], v[8:9]
	ds_load_2addr_b64 v[8:11], v18 offset0:64 offset1:80
	ds_load_b128 v[22:25], v19 offset:32
	ds_load_b128 v[26:29], v19 offset:48
	s_waitcnt lgkmcnt(1)
	v_fma_f64 v[8:9], v[8:9], v[22:23], v[12:13]
	s_delay_alu instid0(VALU_DEP_1) | instskip(SKIP_3) | instid1(VALU_DEP_1)
	v_fma_f64 v[12:13], v[10:11], v[24:25], v[8:9]
	ds_load_2addr_b64 v[8:11], v18 offset0:96 offset1:112
	s_waitcnt lgkmcnt(0)
	v_fma_f64 v[8:9], v[8:9], v[26:27], v[12:13]
	v_fma_f64 v[12:13], v[10:11], v[28:29], v[8:9]
	ds_load_2addr_b64 v[8:11], v18 offset0:128 offset1:144
	ds_load_b128 v[22:25], v19 offset:64
	ds_load_b128 v[26:29], v19 offset:80
	s_waitcnt lgkmcnt(1)
	v_fma_f64 v[8:9], v[8:9], v[22:23], v[12:13]
	s_delay_alu instid0(VALU_DEP_1) | instskip(SKIP_3) | instid1(VALU_DEP_1)
	v_fma_f64 v[12:13], v[10:11], v[24:25], v[8:9]
	ds_load_2addr_b64 v[8:11], v18 offset0:160 offset1:176
	s_waitcnt lgkmcnt(0)
	v_fma_f64 v[8:9], v[8:9], v[26:27], v[12:13]
	v_fma_f64 v[12:13], v[10:11], v[28:29], v[8:9]
	ds_load_2addr_b64 v[8:11], v18 offset0:192 offset1:208
	ds_load_b128 v[22:25], v19 offset:96
	ds_load_b128 v[26:29], v19 offset:112
	s_waitcnt lgkmcnt(1)
	v_fma_f64 v[8:9], v[8:9], v[22:23], v[12:13]
	s_delay_alu instid0(VALU_DEP_1)
	v_fma_f64 v[12:13], v[10:11], v[24:25], v[8:9]
	ds_load_2addr_b64 v[8:11], v18 offset0:224 offset1:240
	s_waitcnt lgkmcnt(0)
	s_barrier
	buffer_gl0_inv
	v_fma_f64 v[8:9], v[8:9], v[26:27], v[12:13]
	s_delay_alu instid0(VALU_DEP_1)
	v_fma_f64 v[8:9], v[10:11], v[28:29], v[8:9]
	s_cbranch_vccnz .LBB1054_8
.LBB1054_3:                             ; =>This Inner Loop Header: Depth=1
	v_add_co_u32 v10, s7, v17, s4
	s_delay_alu instid0(VALU_DEP_1) | instskip(NEXT) | instid1(VALU_DEP_1)
	v_add_co_ci_u32_e64 v11, null, 0, s5, s7
	v_cmp_gt_i64_e32 vcc_lo, s[16:17], v[10:11]
	v_dual_mov_b32 v11, v3 :: v_dual_mov_b32 v10, v2
	s_and_b32 s8, s3, vcc_lo
	s_delay_alu instid0(SALU_CYCLE_1)
	s_and_saveexec_b32 s7, s8
	s_cbranch_execz .LBB1054_5
; %bb.4:                                ;   in Loop: Header=BB1054_3 Depth=1
	global_load_b64 v[10:11], v[6:7], off
.LBB1054_5:                             ;   in Loop: Header=BB1054_3 Depth=1
	s_or_b32 exec_lo, exec_lo, s7
	v_add_co_u32 v12, s7, v16, s4
	s_delay_alu instid0(VALU_DEP_1)
	v_add_co_ci_u32_e64 v13, null, 0, s5, s7
	s_waitcnt vmcnt(0)
	ds_store_b64 v20, v[10:11]
	v_cmp_gt_i64_e32 vcc_lo, s[16:17], v[12:13]
	v_mov_b32_e32 v12, 0
	v_mov_b32_e32 v13, 0
	s_and_b32 s8, s2, vcc_lo
	s_delay_alu instid0(SALU_CYCLE_1)
	s_and_saveexec_b32 s7, s8
	s_cbranch_execz .LBB1054_2
; %bb.6:                                ;   in Loop: Header=BB1054_3 Depth=1
	global_load_b64 v[12:13], v[4:5], off
	s_branch .LBB1054_2
.LBB1054_7:
	v_mov_b32_e32 v8, 0
	v_mov_b32_e32 v9, 0
.LBB1054_8:
	v_cmp_le_i32_e32 vcc_lo, v0, v14
	v_cmp_gt_i32_e64 s2, s6, v14
	s_delay_alu instid0(VALU_DEP_1) | instskip(NEXT) | instid1(SALU_CYCLE_1)
	s_and_b32 s2, vcc_lo, s2
	s_and_saveexec_b32 s3, s2
	s_cbranch_execz .LBB1054_10
; %bb.9:
	s_clause 0x1
	s_load_b128 s[4:7], s[0:1], 0x50
	s_load_b64 s[0:1], s[0:1], 0x60
	s_delay_alu instid0(VALU_DEP_3)
	v_mul_f64 v[2:3], v[8:9], s[18:19]
	v_lshlrev_b64 v[0:1], 3, v[0:1]
	s_waitcnt lgkmcnt(0)
	v_mul_lo_u32 v6, v14, s7
	v_mul_lo_u32 v7, v15, s6
	v_mad_u64_u32 v[4:5], null, v14, s6, 0
	s_mul_i32 s1, s15, s1
	s_mul_hi_u32 s2, s15, s0
	s_mul_i32 s0, s15, s0
	s_add_i32 s1, s2, s1
	s_delay_alu instid0(SALU_CYCLE_1) | instskip(NEXT) | instid1(VALU_DEP_1)
	s_lshl_b64 s[0:1], s[0:1], 3
	v_add3_u32 v5, v5, v6, v7
	s_add_u32 s0, s4, s0
	s_addc_u32 s1, s5, s1
	s_delay_alu instid0(VALU_DEP_1) | instskip(NEXT) | instid1(VALU_DEP_1)
	v_lshlrev_b64 v[4:5], 3, v[4:5]
	v_add_co_u32 v4, vcc_lo, s0, v4
	s_delay_alu instid0(VALU_DEP_2) | instskip(NEXT) | instid1(VALU_DEP_2)
	v_add_co_ci_u32_e32 v5, vcc_lo, s1, v5, vcc_lo
	v_add_co_u32 v0, vcc_lo, v4, v0
	s_delay_alu instid0(VALU_DEP_2)
	v_add_co_ci_u32_e32 v1, vcc_lo, v5, v1, vcc_lo
	global_store_b64 v[0:1], v[2:3], off
.LBB1054_10:
	s_nop 0
	s_sendmsg sendmsg(MSG_DEALLOC_VGPRS)
	s_endpgm
	.section	.rodata,"a",@progbits
	.p2align	6, 0x0
	.amdhsa_kernel _ZL32rocblas_syrkx_herkx_small_kernelIldLi16ELb1ELb0ELc84ELc85EKddEviT_T0_PT6_S1_lS4_S1_lS2_PT7_S1_li
		.amdhsa_group_segment_fixed_size 4096
		.amdhsa_private_segment_fixed_size 0
		.amdhsa_kernarg_size 108
		.amdhsa_user_sgpr_count 13
		.amdhsa_user_sgpr_dispatch_ptr 0
		.amdhsa_user_sgpr_queue_ptr 0
		.amdhsa_user_sgpr_kernarg_segment_ptr 1
		.amdhsa_user_sgpr_dispatch_id 0
		.amdhsa_user_sgpr_private_segment_size 0
		.amdhsa_wavefront_size32 1
		.amdhsa_uses_dynamic_stack 0
		.amdhsa_enable_private_segment 0
		.amdhsa_system_sgpr_workgroup_id_x 1
		.amdhsa_system_sgpr_workgroup_id_y 1
		.amdhsa_system_sgpr_workgroup_id_z 1
		.amdhsa_system_sgpr_workgroup_info 0
		.amdhsa_system_vgpr_workitem_id 1
		.amdhsa_next_free_vgpr 30
		.amdhsa_next_free_sgpr 32
		.amdhsa_reserve_vcc 1
		.amdhsa_float_round_mode_32 0
		.amdhsa_float_round_mode_16_64 0
		.amdhsa_float_denorm_mode_32 3
		.amdhsa_float_denorm_mode_16_64 3
		.amdhsa_dx10_clamp 1
		.amdhsa_ieee_mode 1
		.amdhsa_fp16_overflow 0
		.amdhsa_workgroup_processor_mode 1
		.amdhsa_memory_ordered 1
		.amdhsa_forward_progress 0
		.amdhsa_shared_vgpr_count 0
		.amdhsa_exception_fp_ieee_invalid_op 0
		.amdhsa_exception_fp_denorm_src 0
		.amdhsa_exception_fp_ieee_div_zero 0
		.amdhsa_exception_fp_ieee_overflow 0
		.amdhsa_exception_fp_ieee_underflow 0
		.amdhsa_exception_fp_ieee_inexact 0
		.amdhsa_exception_int_div_zero 0
	.end_amdhsa_kernel
	.section	.text._ZL32rocblas_syrkx_herkx_small_kernelIldLi16ELb1ELb0ELc84ELc85EKddEviT_T0_PT6_S1_lS4_S1_lS2_PT7_S1_li,"axG",@progbits,_ZL32rocblas_syrkx_herkx_small_kernelIldLi16ELb1ELb0ELc84ELc85EKddEviT_T0_PT6_S1_lS4_S1_lS2_PT7_S1_li,comdat
.Lfunc_end1054:
	.size	_ZL32rocblas_syrkx_herkx_small_kernelIldLi16ELb1ELb0ELc84ELc85EKddEviT_T0_PT6_S1_lS4_S1_lS2_PT7_S1_li, .Lfunc_end1054-_ZL32rocblas_syrkx_herkx_small_kernelIldLi16ELb1ELb0ELc84ELc85EKddEviT_T0_PT6_S1_lS4_S1_lS2_PT7_S1_li
                                        ; -- End function
	.section	.AMDGPU.csdata,"",@progbits
; Kernel info:
; codeLenInByte = 1116
; NumSgprs: 34
; NumVgprs: 30
; ScratchSize: 0
; MemoryBound: 0
; FloatMode: 240
; IeeeMode: 1
; LDSByteSize: 4096 bytes/workgroup (compile time only)
; SGPRBlocks: 4
; VGPRBlocks: 3
; NumSGPRsForWavesPerEU: 34
; NumVGPRsForWavesPerEU: 30
; Occupancy: 16
; WaveLimiterHint : 0
; COMPUTE_PGM_RSRC2:SCRATCH_EN: 0
; COMPUTE_PGM_RSRC2:USER_SGPR: 13
; COMPUTE_PGM_RSRC2:TRAP_HANDLER: 0
; COMPUTE_PGM_RSRC2:TGID_X_EN: 1
; COMPUTE_PGM_RSRC2:TGID_Y_EN: 1
; COMPUTE_PGM_RSRC2:TGID_Z_EN: 1
; COMPUTE_PGM_RSRC2:TIDIG_COMP_CNT: 1
	.section	.text._ZL32rocblas_syrkx_herkx_small_kernelIldLi16ELb1ELb0ELc67ELc85EKddEviT_T0_PT6_S1_lS4_S1_lS2_PT7_S1_li,"axG",@progbits,_ZL32rocblas_syrkx_herkx_small_kernelIldLi16ELb1ELb0ELc67ELc85EKddEviT_T0_PT6_S1_lS4_S1_lS2_PT7_S1_li,comdat
	.globl	_ZL32rocblas_syrkx_herkx_small_kernelIldLi16ELb1ELb0ELc67ELc85EKddEviT_T0_PT6_S1_lS4_S1_lS2_PT7_S1_li ; -- Begin function _ZL32rocblas_syrkx_herkx_small_kernelIldLi16ELb1ELb0ELc67ELc85EKddEviT_T0_PT6_S1_lS4_S1_lS2_PT7_S1_li
	.p2align	8
	.type	_ZL32rocblas_syrkx_herkx_small_kernelIldLi16ELb1ELb0ELc67ELc85EKddEviT_T0_PT6_S1_lS4_S1_lS2_PT7_S1_li,@function
_ZL32rocblas_syrkx_herkx_small_kernelIldLi16ELb1ELb0ELc67ELc85EKddEviT_T0_PT6_S1_lS4_S1_lS2_PT7_S1_li: ; @_ZL32rocblas_syrkx_herkx_small_kernelIldLi16ELb1ELb0ELc67ELc85EKddEviT_T0_PT6_S1_lS4_S1_lS2_PT7_S1_li
; %bb.0:
	s_clause 0x1
	s_load_b512 s[16:31], s[0:1], 0x8
	s_load_b32 s6, s[0:1], 0x0
	v_and_b32_e32 v16, 0x3ff, v0
	v_bfe_u32 v17, v0, 10, 10
	s_delay_alu instid0(VALU_DEP_2) | instskip(NEXT) | instid1(VALU_DEP_2)
	v_lshl_add_u32 v0, s13, 4, v16
	v_lshl_add_u32 v14, s14, 4, v17
	s_delay_alu instid0(VALU_DEP_2) | instskip(NEXT) | instid1(VALU_DEP_2)
	v_ashrrev_i32_e32 v1, 31, v0
	v_ashrrev_i32_e32 v15, 31, v14
	s_waitcnt lgkmcnt(0)
	v_cmp_lt_i64_e64 s3, s[16:17], 1
	v_cmp_gt_i32_e64 s2, s6, v14
	s_delay_alu instid0(VALU_DEP_2)
	s_and_b32 vcc_lo, exec_lo, s3
	s_cbranch_vccnz .LBB1055_7
; %bb.1:
	v_mul_lo_u32 v7, s29, v14
	v_mul_lo_u32 v8, s28, v15
	v_mad_u64_u32 v[2:3], null, s28, v14, 0
	v_mul_lo_u32 v9, s23, v0
	v_mul_lo_u32 v10, s22, v1
	v_mad_u64_u32 v[4:5], null, s22, v0, 0
	s_mul_i32 s4, s31, s15
	s_mul_hi_u32 s5, s30, s15
	s_delay_alu instid0(VALU_DEP_4) | instskip(SKIP_3) | instid1(VALU_DEP_2)
	v_add3_u32 v3, v3, v8, v7
	s_add_i32 s5, s5, s4
	s_mul_i32 s4, s30, s15
	s_mul_i32 s7, s25, s15
	v_add3_u32 v5, v5, v10, v9
	v_lshlrev_b64 v[2:3], 3, v[2:3]
	s_lshl_b64 s[4:5], s[4:5], 3
	s_mul_hi_u32 s8, s24, s15
	v_lshlrev_b32_e32 v18, 3, v16
	v_lshlrev_b64 v[4:5], 3, v[4:5]
	s_add_i32 s9, s8, s7
	s_mul_i32 s8, s24, s15
	v_add_co_u32 v2, vcc_lo, v2, s4
	v_add_co_ci_u32_e32 v3, vcc_lo, s5, v3, vcc_lo
	s_lshl_b64 s[4:5], s[8:9], 3
	v_lshlrev_b32_e32 v6, 7, v17
	v_add_co_u32 v4, vcc_lo, v4, s4
	v_add_co_ci_u32_e32 v5, vcc_lo, s5, v5, vcc_lo
	v_add_co_u32 v7, vcc_lo, v2, v18
	v_add_co_ci_u32_e32 v8, vcc_lo, 0, v3, vcc_lo
	v_mov_b32_e32 v2, 0
	v_mov_b32_e32 v3, 0
	v_add_nc_u32_e32 v19, 0x800, v6
	v_add_nc_u32_e32 v20, v18, v6
	v_lshlrev_b32_e32 v6, 3, v17
	v_cmp_gt_i32_e64 s3, s6, v0
	s_mov_b64 s[4:5], 0
	s_delay_alu instid0(VALU_DEP_2) | instskip(SKIP_3) | instid1(VALU_DEP_4)
	v_add_co_u32 v6, vcc_lo, v4, v6
	v_add_co_ci_u32_e32 v9, vcc_lo, 0, v5, vcc_lo
	v_add_co_u32 v4, vcc_lo, s26, v7
	v_add_co_ci_u32_e32 v5, vcc_lo, s27, v8, vcc_lo
	v_add_co_u32 v6, vcc_lo, s20, v6
	s_delay_alu instid0(VALU_DEP_4)
	v_add_co_ci_u32_e32 v7, vcc_lo, s21, v9, vcc_lo
	v_dual_mov_b32 v9, v3 :: v_dual_mov_b32 v8, v2
	v_add_nc_u32_e32 v21, v19, v18
	s_branch .LBB1055_3
.LBB1055_2:                             ;   in Loop: Header=BB1055_3 Depth=1
	s_or_b32 exec_lo, exec_lo, s7
	s_waitcnt vmcnt(0)
	ds_store_b64 v21, v[12:13]
	s_waitcnt lgkmcnt(0)
	s_barrier
	buffer_gl0_inv
	ds_load_2addr_b64 v[10:13], v18 offset1:16
	ds_load_b128 v[22:25], v19
	ds_load_b128 v[26:29], v19 offset:16
	s_add_u32 s4, s4, 16
	s_addc_u32 s5, s5, 0
	v_add_co_u32 v4, vcc_lo, 0x80, v4
	v_cmp_ge_i64_e64 s7, s[4:5], s[16:17]
	v_add_co_ci_u32_e32 v5, vcc_lo, 0, v5, vcc_lo
	v_add_co_u32 v6, vcc_lo, 0x80, v6
	v_add_co_ci_u32_e32 v7, vcc_lo, 0, v7, vcc_lo
	s_delay_alu instid0(VALU_DEP_4) | instskip(SKIP_2) | instid1(VALU_DEP_1)
	s_and_b32 vcc_lo, exec_lo, s7
	s_waitcnt lgkmcnt(1)
	v_fma_f64 v[8:9], v[10:11], v[22:23], v[8:9]
	v_fma_f64 v[12:13], v[12:13], v[24:25], v[8:9]
	ds_load_2addr_b64 v[8:11], v18 offset0:32 offset1:48
	s_waitcnt lgkmcnt(0)
	v_fma_f64 v[8:9], v[8:9], v[26:27], v[12:13]
	s_delay_alu instid0(VALU_DEP_1)
	v_fma_f64 v[12:13], v[10:11], v[28:29], v[8:9]
	ds_load_2addr_b64 v[8:11], v18 offset0:64 offset1:80
	ds_load_b128 v[22:25], v19 offset:32
	ds_load_b128 v[26:29], v19 offset:48
	s_waitcnt lgkmcnt(1)
	v_fma_f64 v[8:9], v[8:9], v[22:23], v[12:13]
	s_delay_alu instid0(VALU_DEP_1) | instskip(SKIP_3) | instid1(VALU_DEP_1)
	v_fma_f64 v[12:13], v[10:11], v[24:25], v[8:9]
	ds_load_2addr_b64 v[8:11], v18 offset0:96 offset1:112
	s_waitcnt lgkmcnt(0)
	v_fma_f64 v[8:9], v[8:9], v[26:27], v[12:13]
	v_fma_f64 v[12:13], v[10:11], v[28:29], v[8:9]
	ds_load_2addr_b64 v[8:11], v18 offset0:128 offset1:144
	ds_load_b128 v[22:25], v19 offset:64
	ds_load_b128 v[26:29], v19 offset:80
	s_waitcnt lgkmcnt(1)
	v_fma_f64 v[8:9], v[8:9], v[22:23], v[12:13]
	s_delay_alu instid0(VALU_DEP_1) | instskip(SKIP_3) | instid1(VALU_DEP_1)
	v_fma_f64 v[12:13], v[10:11], v[24:25], v[8:9]
	ds_load_2addr_b64 v[8:11], v18 offset0:160 offset1:176
	s_waitcnt lgkmcnt(0)
	v_fma_f64 v[8:9], v[8:9], v[26:27], v[12:13]
	v_fma_f64 v[12:13], v[10:11], v[28:29], v[8:9]
	ds_load_2addr_b64 v[8:11], v18 offset0:192 offset1:208
	ds_load_b128 v[22:25], v19 offset:96
	ds_load_b128 v[26:29], v19 offset:112
	s_waitcnt lgkmcnt(1)
	v_fma_f64 v[8:9], v[8:9], v[22:23], v[12:13]
	s_delay_alu instid0(VALU_DEP_1)
	v_fma_f64 v[12:13], v[10:11], v[24:25], v[8:9]
	ds_load_2addr_b64 v[8:11], v18 offset0:224 offset1:240
	s_waitcnt lgkmcnt(0)
	s_barrier
	buffer_gl0_inv
	v_fma_f64 v[8:9], v[8:9], v[26:27], v[12:13]
	s_delay_alu instid0(VALU_DEP_1)
	v_fma_f64 v[8:9], v[10:11], v[28:29], v[8:9]
	s_cbranch_vccnz .LBB1055_8
.LBB1055_3:                             ; =>This Inner Loop Header: Depth=1
	v_add_co_u32 v10, s7, v17, s4
	s_delay_alu instid0(VALU_DEP_1) | instskip(NEXT) | instid1(VALU_DEP_1)
	v_add_co_ci_u32_e64 v11, null, 0, s5, s7
	v_cmp_gt_i64_e32 vcc_lo, s[16:17], v[10:11]
	v_dual_mov_b32 v11, v3 :: v_dual_mov_b32 v10, v2
	s_and_b32 s8, s3, vcc_lo
	s_delay_alu instid0(SALU_CYCLE_1)
	s_and_saveexec_b32 s7, s8
	s_cbranch_execz .LBB1055_5
; %bb.4:                                ;   in Loop: Header=BB1055_3 Depth=1
	global_load_b64 v[10:11], v[6:7], off
.LBB1055_5:                             ;   in Loop: Header=BB1055_3 Depth=1
	s_or_b32 exec_lo, exec_lo, s7
	v_add_co_u32 v12, s7, v16, s4
	s_delay_alu instid0(VALU_DEP_1)
	v_add_co_ci_u32_e64 v13, null, 0, s5, s7
	s_waitcnt vmcnt(0)
	ds_store_b64 v20, v[10:11]
	v_cmp_gt_i64_e32 vcc_lo, s[16:17], v[12:13]
	v_mov_b32_e32 v12, 0
	v_mov_b32_e32 v13, 0
	s_and_b32 s8, s2, vcc_lo
	s_delay_alu instid0(SALU_CYCLE_1)
	s_and_saveexec_b32 s7, s8
	s_cbranch_execz .LBB1055_2
; %bb.6:                                ;   in Loop: Header=BB1055_3 Depth=1
	global_load_b64 v[12:13], v[4:5], off
	s_branch .LBB1055_2
.LBB1055_7:
	v_mov_b32_e32 v8, 0
	v_mov_b32_e32 v9, 0
.LBB1055_8:
	v_cmp_le_i32_e32 vcc_lo, v0, v14
	v_cmp_gt_i32_e64 s2, s6, v14
	s_delay_alu instid0(VALU_DEP_1) | instskip(NEXT) | instid1(SALU_CYCLE_1)
	s_and_b32 s2, vcc_lo, s2
	s_and_saveexec_b32 s3, s2
	s_cbranch_execz .LBB1055_10
; %bb.9:
	s_clause 0x1
	s_load_b128 s[4:7], s[0:1], 0x50
	s_load_b64 s[0:1], s[0:1], 0x60
	s_delay_alu instid0(VALU_DEP_3)
	v_mul_f64 v[2:3], v[8:9], s[18:19]
	v_lshlrev_b64 v[0:1], 3, v[0:1]
	s_waitcnt lgkmcnt(0)
	v_mul_lo_u32 v6, v14, s7
	v_mul_lo_u32 v7, v15, s6
	v_mad_u64_u32 v[4:5], null, v14, s6, 0
	s_mul_i32 s1, s15, s1
	s_mul_hi_u32 s2, s15, s0
	s_mul_i32 s0, s15, s0
	s_add_i32 s1, s2, s1
	s_delay_alu instid0(SALU_CYCLE_1) | instskip(NEXT) | instid1(VALU_DEP_1)
	s_lshl_b64 s[0:1], s[0:1], 3
	v_add3_u32 v5, v5, v6, v7
	s_add_u32 s0, s4, s0
	s_addc_u32 s1, s5, s1
	s_delay_alu instid0(VALU_DEP_1) | instskip(NEXT) | instid1(VALU_DEP_1)
	v_lshlrev_b64 v[4:5], 3, v[4:5]
	v_add_co_u32 v4, vcc_lo, s0, v4
	s_delay_alu instid0(VALU_DEP_2) | instskip(NEXT) | instid1(VALU_DEP_2)
	v_add_co_ci_u32_e32 v5, vcc_lo, s1, v5, vcc_lo
	v_add_co_u32 v0, vcc_lo, v4, v0
	s_delay_alu instid0(VALU_DEP_2)
	v_add_co_ci_u32_e32 v1, vcc_lo, v5, v1, vcc_lo
	global_store_b64 v[0:1], v[2:3], off
.LBB1055_10:
	s_nop 0
	s_sendmsg sendmsg(MSG_DEALLOC_VGPRS)
	s_endpgm
	.section	.rodata,"a",@progbits
	.p2align	6, 0x0
	.amdhsa_kernel _ZL32rocblas_syrkx_herkx_small_kernelIldLi16ELb1ELb0ELc67ELc85EKddEviT_T0_PT6_S1_lS4_S1_lS2_PT7_S1_li
		.amdhsa_group_segment_fixed_size 4096
		.amdhsa_private_segment_fixed_size 0
		.amdhsa_kernarg_size 108
		.amdhsa_user_sgpr_count 13
		.amdhsa_user_sgpr_dispatch_ptr 0
		.amdhsa_user_sgpr_queue_ptr 0
		.amdhsa_user_sgpr_kernarg_segment_ptr 1
		.amdhsa_user_sgpr_dispatch_id 0
		.amdhsa_user_sgpr_private_segment_size 0
		.amdhsa_wavefront_size32 1
		.amdhsa_uses_dynamic_stack 0
		.amdhsa_enable_private_segment 0
		.amdhsa_system_sgpr_workgroup_id_x 1
		.amdhsa_system_sgpr_workgroup_id_y 1
		.amdhsa_system_sgpr_workgroup_id_z 1
		.amdhsa_system_sgpr_workgroup_info 0
		.amdhsa_system_vgpr_workitem_id 1
		.amdhsa_next_free_vgpr 30
		.amdhsa_next_free_sgpr 32
		.amdhsa_reserve_vcc 1
		.amdhsa_float_round_mode_32 0
		.amdhsa_float_round_mode_16_64 0
		.amdhsa_float_denorm_mode_32 3
		.amdhsa_float_denorm_mode_16_64 3
		.amdhsa_dx10_clamp 1
		.amdhsa_ieee_mode 1
		.amdhsa_fp16_overflow 0
		.amdhsa_workgroup_processor_mode 1
		.amdhsa_memory_ordered 1
		.amdhsa_forward_progress 0
		.amdhsa_shared_vgpr_count 0
		.amdhsa_exception_fp_ieee_invalid_op 0
		.amdhsa_exception_fp_denorm_src 0
		.amdhsa_exception_fp_ieee_div_zero 0
		.amdhsa_exception_fp_ieee_overflow 0
		.amdhsa_exception_fp_ieee_underflow 0
		.amdhsa_exception_fp_ieee_inexact 0
		.amdhsa_exception_int_div_zero 0
	.end_amdhsa_kernel
	.section	.text._ZL32rocblas_syrkx_herkx_small_kernelIldLi16ELb1ELb0ELc67ELc85EKddEviT_T0_PT6_S1_lS4_S1_lS2_PT7_S1_li,"axG",@progbits,_ZL32rocblas_syrkx_herkx_small_kernelIldLi16ELb1ELb0ELc67ELc85EKddEviT_T0_PT6_S1_lS4_S1_lS2_PT7_S1_li,comdat
.Lfunc_end1055:
	.size	_ZL32rocblas_syrkx_herkx_small_kernelIldLi16ELb1ELb0ELc67ELc85EKddEviT_T0_PT6_S1_lS4_S1_lS2_PT7_S1_li, .Lfunc_end1055-_ZL32rocblas_syrkx_herkx_small_kernelIldLi16ELb1ELb0ELc67ELc85EKddEviT_T0_PT6_S1_lS4_S1_lS2_PT7_S1_li
                                        ; -- End function
	.section	.AMDGPU.csdata,"",@progbits
; Kernel info:
; codeLenInByte = 1116
; NumSgprs: 34
; NumVgprs: 30
; ScratchSize: 0
; MemoryBound: 0
; FloatMode: 240
; IeeeMode: 1
; LDSByteSize: 4096 bytes/workgroup (compile time only)
; SGPRBlocks: 4
; VGPRBlocks: 3
; NumSGPRsForWavesPerEU: 34
; NumVGPRsForWavesPerEU: 30
; Occupancy: 16
; WaveLimiterHint : 0
; COMPUTE_PGM_RSRC2:SCRATCH_EN: 0
; COMPUTE_PGM_RSRC2:USER_SGPR: 13
; COMPUTE_PGM_RSRC2:TRAP_HANDLER: 0
; COMPUTE_PGM_RSRC2:TGID_X_EN: 1
; COMPUTE_PGM_RSRC2:TGID_Y_EN: 1
; COMPUTE_PGM_RSRC2:TGID_Z_EN: 1
; COMPUTE_PGM_RSRC2:TIDIG_COMP_CNT: 1
	.section	.text._ZL32rocblas_syrkx_herkx_small_kernelIldLi16ELb1ELb0ELc78ELc85EKddEviT_T0_PT6_S1_lS4_S1_lS2_PT7_S1_li,"axG",@progbits,_ZL32rocblas_syrkx_herkx_small_kernelIldLi16ELb1ELb0ELc78ELc85EKddEviT_T0_PT6_S1_lS4_S1_lS2_PT7_S1_li,comdat
	.globl	_ZL32rocblas_syrkx_herkx_small_kernelIldLi16ELb1ELb0ELc78ELc85EKddEviT_T0_PT6_S1_lS4_S1_lS2_PT7_S1_li ; -- Begin function _ZL32rocblas_syrkx_herkx_small_kernelIldLi16ELb1ELb0ELc78ELc85EKddEviT_T0_PT6_S1_lS4_S1_lS2_PT7_S1_li
	.p2align	8
	.type	_ZL32rocblas_syrkx_herkx_small_kernelIldLi16ELb1ELb0ELc78ELc85EKddEviT_T0_PT6_S1_lS4_S1_lS2_PT7_S1_li,@function
_ZL32rocblas_syrkx_herkx_small_kernelIldLi16ELb1ELb0ELc78ELc85EKddEviT_T0_PT6_S1_lS4_S1_lS2_PT7_S1_li: ; @_ZL32rocblas_syrkx_herkx_small_kernelIldLi16ELb1ELb0ELc78ELc85EKddEviT_T0_PT6_S1_lS4_S1_lS2_PT7_S1_li
; %bb.0:
	s_clause 0x1
	s_load_b512 s[16:31], s[0:1], 0x8
	s_load_b32 s10, s[0:1], 0x0
	v_and_b32_e32 v16, 0x3ff, v0
	v_bfe_u32 v17, v0, 10, 10
	s_delay_alu instid0(VALU_DEP_2) | instskip(NEXT) | instid1(VALU_DEP_2)
	v_lshl_add_u32 v0, s13, 4, v16
	v_lshl_add_u32 v2, s14, 4, v17
	s_delay_alu instid0(VALU_DEP_2) | instskip(NEXT) | instid1(VALU_DEP_2)
	v_ashrrev_i32_e32 v1, 31, v0
	v_ashrrev_i32_e32 v3, 31, v2
	s_waitcnt lgkmcnt(0)
	v_cmp_lt_i64_e64 s3, s[16:17], 1
	v_cmp_gt_i32_e64 s2, s10, v2
	s_delay_alu instid0(VALU_DEP_2)
	s_and_b32 vcc_lo, exec_lo, s3
	s_cbranch_vccnz .LBB1056_7
; %bb.1:
	v_mad_u64_u32 v[4:5], null, s28, v16, 0
	v_mad_u64_u32 v[6:7], null, s22, v17, 0
	v_lshlrev_b32_e32 v11, 7, v17
	s_mul_i32 s5, s31, s15
	s_mul_hi_u32 s7, s30, s15
	s_mul_i32 s4, s30, s15
	s_add_i32 s5, s7, s5
	s_mul_i32 s8, s25, s15
	s_delay_alu instid0(VALU_DEP_2)
	v_mad_u64_u32 v[8:9], null, s29, v16, v[5:6]
	v_lshlrev_b32_e32 v18, 3, v16
	s_mul_hi_u32 s9, s24, s15
	s_lshl_b64 s[4:5], s[4:5], 3
	s_mul_i32 s6, s24, s15
	s_add_i32 s7, s9, s8
	v_add_nc_u32_e32 v19, 0x800, v11
	s_delay_alu instid0(VALU_DEP_3) | instskip(SKIP_4) | instid1(VALU_DEP_3)
	v_mad_u64_u32 v[9:10], null, s23, v17, v[7:8]
	v_mov_b32_e32 v5, v8
	v_cmp_gt_i32_e64 s3, s10, v0
	s_mov_b64 s[8:9], 0
	v_add_nc_u32_e32 v20, v18, v11
	v_lshlrev_b64 v[4:5], 3, v[4:5]
	v_mov_b32_e32 v7, v9
	s_delay_alu instid0(VALU_DEP_2) | instskip(NEXT) | instid1(VALU_DEP_2)
	v_add_co_u32 v8, vcc_lo, s4, v4
	v_lshlrev_b64 v[6:7], 3, v[6:7]
	s_delay_alu instid0(VALU_DEP_4) | instskip(SKIP_3) | instid1(VALU_DEP_3)
	v_add_co_ci_u32_e32 v9, vcc_lo, s5, v5, vcc_lo
	s_lshl_b64 s[4:5], s[6:7], 3
	v_lshlrev_b64 v[4:5], 3, v[2:3]
	s_lshl_b64 s[6:7], s[22:23], 7
	v_add_co_u32 v10, vcc_lo, s4, v6
	v_add_co_ci_u32_e32 v11, vcc_lo, s5, v7, vcc_lo
	v_lshlrev_b64 v[6:7], 3, v[0:1]
	s_delay_alu instid0(VALU_DEP_4) | instskip(SKIP_2) | instid1(VALU_DEP_4)
	v_add_co_u32 v8, vcc_lo, v8, v4
	v_add_co_ci_u32_e32 v9, vcc_lo, v9, v5, vcc_lo
	v_mov_b32_e32 v4, 0
	v_add_co_u32 v10, vcc_lo, v10, v6
	v_add_co_ci_u32_e32 v11, vcc_lo, v11, v7, vcc_lo
	v_mov_b32_e32 v5, 0
	v_add_co_u32 v6, vcc_lo, s26, v8
	v_add_co_ci_u32_e32 v7, vcc_lo, s27, v9, vcc_lo
	v_add_co_u32 v8, vcc_lo, s20, v10
	v_add_co_ci_u32_e32 v9, vcc_lo, s21, v11, vcc_lo
	v_dual_mov_b32 v11, v5 :: v_dual_mov_b32 v10, v4
	v_add_nc_u32_e32 v21, v19, v18
	s_lshl_b64 s[4:5], s[28:29], 7
	s_branch .LBB1056_3
.LBB1056_2:                             ;   in Loop: Header=BB1056_3 Depth=1
	s_or_b32 exec_lo, exec_lo, s11
	s_waitcnt vmcnt(0)
	ds_store_b64 v21, v[14:15]
	s_waitcnt lgkmcnt(0)
	s_barrier
	buffer_gl0_inv
	ds_load_2addr_b64 v[12:15], v18 offset1:16
	ds_load_b128 v[22:25], v19
	ds_load_b128 v[26:29], v19 offset:16
	s_add_u32 s8, s8, 16
	s_addc_u32 s9, s9, 0
	v_add_co_u32 v6, vcc_lo, v6, s4
	v_cmp_ge_i64_e64 s11, s[8:9], s[16:17]
	v_add_co_ci_u32_e32 v7, vcc_lo, s5, v7, vcc_lo
	v_add_co_u32 v8, vcc_lo, v8, s6
	v_add_co_ci_u32_e32 v9, vcc_lo, s7, v9, vcc_lo
	s_delay_alu instid0(VALU_DEP_4) | instskip(SKIP_2) | instid1(VALU_DEP_1)
	s_and_b32 vcc_lo, exec_lo, s11
	s_waitcnt lgkmcnt(1)
	v_fma_f64 v[10:11], v[12:13], v[22:23], v[10:11]
	v_fma_f64 v[14:15], v[14:15], v[24:25], v[10:11]
	ds_load_2addr_b64 v[10:13], v18 offset0:32 offset1:48
	s_waitcnt lgkmcnt(0)
	v_fma_f64 v[10:11], v[10:11], v[26:27], v[14:15]
	s_delay_alu instid0(VALU_DEP_1)
	v_fma_f64 v[14:15], v[12:13], v[28:29], v[10:11]
	ds_load_2addr_b64 v[10:13], v18 offset0:64 offset1:80
	ds_load_b128 v[22:25], v19 offset:32
	ds_load_b128 v[26:29], v19 offset:48
	s_waitcnt lgkmcnt(1)
	v_fma_f64 v[10:11], v[10:11], v[22:23], v[14:15]
	s_delay_alu instid0(VALU_DEP_1) | instskip(SKIP_3) | instid1(VALU_DEP_1)
	v_fma_f64 v[14:15], v[12:13], v[24:25], v[10:11]
	ds_load_2addr_b64 v[10:13], v18 offset0:96 offset1:112
	s_waitcnt lgkmcnt(0)
	v_fma_f64 v[10:11], v[10:11], v[26:27], v[14:15]
	v_fma_f64 v[14:15], v[12:13], v[28:29], v[10:11]
	ds_load_2addr_b64 v[10:13], v18 offset0:128 offset1:144
	ds_load_b128 v[22:25], v19 offset:64
	ds_load_b128 v[26:29], v19 offset:80
	s_waitcnt lgkmcnt(1)
	v_fma_f64 v[10:11], v[10:11], v[22:23], v[14:15]
	s_delay_alu instid0(VALU_DEP_1) | instskip(SKIP_3) | instid1(VALU_DEP_1)
	v_fma_f64 v[14:15], v[12:13], v[24:25], v[10:11]
	ds_load_2addr_b64 v[10:13], v18 offset0:160 offset1:176
	s_waitcnt lgkmcnt(0)
	v_fma_f64 v[10:11], v[10:11], v[26:27], v[14:15]
	v_fma_f64 v[14:15], v[12:13], v[28:29], v[10:11]
	ds_load_2addr_b64 v[10:13], v18 offset0:192 offset1:208
	ds_load_b128 v[22:25], v19 offset:96
	ds_load_b128 v[26:29], v19 offset:112
	s_waitcnt lgkmcnt(1)
	v_fma_f64 v[10:11], v[10:11], v[22:23], v[14:15]
	s_delay_alu instid0(VALU_DEP_1)
	v_fma_f64 v[14:15], v[12:13], v[24:25], v[10:11]
	ds_load_2addr_b64 v[10:13], v18 offset0:224 offset1:240
	s_waitcnt lgkmcnt(0)
	s_barrier
	buffer_gl0_inv
	v_fma_f64 v[10:11], v[10:11], v[26:27], v[14:15]
	s_delay_alu instid0(VALU_DEP_1)
	v_fma_f64 v[10:11], v[12:13], v[28:29], v[10:11]
	s_cbranch_vccnz .LBB1056_8
.LBB1056_3:                             ; =>This Inner Loop Header: Depth=1
	v_add_co_u32 v12, s11, v17, s8
	s_delay_alu instid0(VALU_DEP_1) | instskip(NEXT) | instid1(VALU_DEP_1)
	v_add_co_ci_u32_e64 v13, null, 0, s9, s11
	v_cmp_gt_i64_e32 vcc_lo, s[16:17], v[12:13]
	v_dual_mov_b32 v13, v5 :: v_dual_mov_b32 v12, v4
	s_and_b32 s12, s3, vcc_lo
	s_delay_alu instid0(SALU_CYCLE_1)
	s_and_saveexec_b32 s11, s12
	s_cbranch_execz .LBB1056_5
; %bb.4:                                ;   in Loop: Header=BB1056_3 Depth=1
	global_load_b64 v[12:13], v[8:9], off
.LBB1056_5:                             ;   in Loop: Header=BB1056_3 Depth=1
	s_or_b32 exec_lo, exec_lo, s11
	v_add_co_u32 v14, s11, v16, s8
	s_delay_alu instid0(VALU_DEP_1)
	v_add_co_ci_u32_e64 v15, null, 0, s9, s11
	s_waitcnt vmcnt(0)
	ds_store_b64 v20, v[12:13]
	v_cmp_gt_i64_e32 vcc_lo, s[16:17], v[14:15]
	v_mov_b32_e32 v14, 0
	v_mov_b32_e32 v15, 0
	s_and_b32 s12, s2, vcc_lo
	s_delay_alu instid0(SALU_CYCLE_1)
	s_and_saveexec_b32 s11, s12
	s_cbranch_execz .LBB1056_2
; %bb.6:                                ;   in Loop: Header=BB1056_3 Depth=1
	global_load_b64 v[14:15], v[6:7], off
	s_branch .LBB1056_2
.LBB1056_7:
	v_mov_b32_e32 v10, 0
	v_mov_b32_e32 v11, 0
.LBB1056_8:
	v_cmp_le_i32_e32 vcc_lo, v0, v2
	v_cmp_gt_i32_e64 s2, s10, v2
	s_delay_alu instid0(VALU_DEP_1) | instskip(NEXT) | instid1(SALU_CYCLE_1)
	s_and_b32 s2, vcc_lo, s2
	s_and_saveexec_b32 s3, s2
	s_cbranch_execz .LBB1056_10
; %bb.9:
	s_clause 0x1
	s_load_b128 s[4:7], s[0:1], 0x50
	s_load_b64 s[0:1], s[0:1], 0x60
	s_delay_alu instid0(VALU_DEP_3)
	v_mul_f64 v[4:5], v[10:11], s[18:19]
	v_lshlrev_b64 v[0:1], 3, v[0:1]
	s_waitcnt lgkmcnt(0)
	v_mul_lo_u32 v8, v2, s7
	v_mul_lo_u32 v3, v3, s6
	v_mad_u64_u32 v[6:7], null, v2, s6, 0
	s_mul_i32 s1, s15, s1
	s_mul_hi_u32 s2, s15, s0
	s_mul_i32 s0, s15, s0
	s_add_i32 s1, s2, s1
	s_delay_alu instid0(SALU_CYCLE_1) | instskip(NEXT) | instid1(VALU_DEP_1)
	s_lshl_b64 s[0:1], s[0:1], 3
	v_add3_u32 v7, v7, v8, v3
	s_add_u32 s0, s4, s0
	s_addc_u32 s1, s5, s1
	s_delay_alu instid0(VALU_DEP_1) | instskip(NEXT) | instid1(VALU_DEP_1)
	v_lshlrev_b64 v[2:3], 3, v[6:7]
	v_add_co_u32 v2, vcc_lo, s0, v2
	s_delay_alu instid0(VALU_DEP_2) | instskip(NEXT) | instid1(VALU_DEP_2)
	v_add_co_ci_u32_e32 v3, vcc_lo, s1, v3, vcc_lo
	v_add_co_u32 v0, vcc_lo, v2, v0
	s_delay_alu instid0(VALU_DEP_2)
	v_add_co_ci_u32_e32 v1, vcc_lo, v3, v1, vcc_lo
	global_store_b64 v[0:1], v[4:5], off
.LBB1056_10:
	s_nop 0
	s_sendmsg sendmsg(MSG_DEALLOC_VGPRS)
	s_endpgm
	.section	.rodata,"a",@progbits
	.p2align	6, 0x0
	.amdhsa_kernel _ZL32rocblas_syrkx_herkx_small_kernelIldLi16ELb1ELb0ELc78ELc85EKddEviT_T0_PT6_S1_lS4_S1_lS2_PT7_S1_li
		.amdhsa_group_segment_fixed_size 4096
		.amdhsa_private_segment_fixed_size 0
		.amdhsa_kernarg_size 108
		.amdhsa_user_sgpr_count 13
		.amdhsa_user_sgpr_dispatch_ptr 0
		.amdhsa_user_sgpr_queue_ptr 0
		.amdhsa_user_sgpr_kernarg_segment_ptr 1
		.amdhsa_user_sgpr_dispatch_id 0
		.amdhsa_user_sgpr_private_segment_size 0
		.amdhsa_wavefront_size32 1
		.amdhsa_uses_dynamic_stack 0
		.amdhsa_enable_private_segment 0
		.amdhsa_system_sgpr_workgroup_id_x 1
		.amdhsa_system_sgpr_workgroup_id_y 1
		.amdhsa_system_sgpr_workgroup_id_z 1
		.amdhsa_system_sgpr_workgroup_info 0
		.amdhsa_system_vgpr_workitem_id 1
		.amdhsa_next_free_vgpr 30
		.amdhsa_next_free_sgpr 32
		.amdhsa_reserve_vcc 1
		.amdhsa_float_round_mode_32 0
		.amdhsa_float_round_mode_16_64 0
		.amdhsa_float_denorm_mode_32 3
		.amdhsa_float_denorm_mode_16_64 3
		.amdhsa_dx10_clamp 1
		.amdhsa_ieee_mode 1
		.amdhsa_fp16_overflow 0
		.amdhsa_workgroup_processor_mode 1
		.amdhsa_memory_ordered 1
		.amdhsa_forward_progress 0
		.amdhsa_shared_vgpr_count 0
		.amdhsa_exception_fp_ieee_invalid_op 0
		.amdhsa_exception_fp_denorm_src 0
		.amdhsa_exception_fp_ieee_div_zero 0
		.amdhsa_exception_fp_ieee_overflow 0
		.amdhsa_exception_fp_ieee_underflow 0
		.amdhsa_exception_fp_ieee_inexact 0
		.amdhsa_exception_int_div_zero 0
	.end_amdhsa_kernel
	.section	.text._ZL32rocblas_syrkx_herkx_small_kernelIldLi16ELb1ELb0ELc78ELc85EKddEviT_T0_PT6_S1_lS4_S1_lS2_PT7_S1_li,"axG",@progbits,_ZL32rocblas_syrkx_herkx_small_kernelIldLi16ELb1ELb0ELc78ELc85EKddEviT_T0_PT6_S1_lS4_S1_lS2_PT7_S1_li,comdat
.Lfunc_end1056:
	.size	_ZL32rocblas_syrkx_herkx_small_kernelIldLi16ELb1ELb0ELc78ELc85EKddEviT_T0_PT6_S1_lS4_S1_lS2_PT7_S1_li, .Lfunc_end1056-_ZL32rocblas_syrkx_herkx_small_kernelIldLi16ELb1ELb0ELc78ELc85EKddEviT_T0_PT6_S1_lS4_S1_lS2_PT7_S1_li
                                        ; -- End function
	.section	.AMDGPU.csdata,"",@progbits
; Kernel info:
; codeLenInByte = 1112
; NumSgprs: 34
; NumVgprs: 30
; ScratchSize: 0
; MemoryBound: 0
; FloatMode: 240
; IeeeMode: 1
; LDSByteSize: 4096 bytes/workgroup (compile time only)
; SGPRBlocks: 4
; VGPRBlocks: 3
; NumSGPRsForWavesPerEU: 34
; NumVGPRsForWavesPerEU: 30
; Occupancy: 16
; WaveLimiterHint : 0
; COMPUTE_PGM_RSRC2:SCRATCH_EN: 0
; COMPUTE_PGM_RSRC2:USER_SGPR: 13
; COMPUTE_PGM_RSRC2:TRAP_HANDLER: 0
; COMPUTE_PGM_RSRC2:TGID_X_EN: 1
; COMPUTE_PGM_RSRC2:TGID_Y_EN: 1
; COMPUTE_PGM_RSRC2:TGID_Z_EN: 1
; COMPUTE_PGM_RSRC2:TIDIG_COMP_CNT: 1
	.section	.text._ZL32rocblas_syrkx_herkx_small_kernelIldLi16ELb0ELb0ELc84ELc76EKddEviT_T0_PT6_S1_lS4_S1_lS2_PT7_S1_li,"axG",@progbits,_ZL32rocblas_syrkx_herkx_small_kernelIldLi16ELb0ELb0ELc84ELc76EKddEviT_T0_PT6_S1_lS4_S1_lS2_PT7_S1_li,comdat
	.globl	_ZL32rocblas_syrkx_herkx_small_kernelIldLi16ELb0ELb0ELc84ELc76EKddEviT_T0_PT6_S1_lS4_S1_lS2_PT7_S1_li ; -- Begin function _ZL32rocblas_syrkx_herkx_small_kernelIldLi16ELb0ELb0ELc84ELc76EKddEviT_T0_PT6_S1_lS4_S1_lS2_PT7_S1_li
	.p2align	8
	.type	_ZL32rocblas_syrkx_herkx_small_kernelIldLi16ELb0ELb0ELc84ELc76EKddEviT_T0_PT6_S1_lS4_S1_lS2_PT7_S1_li,@function
_ZL32rocblas_syrkx_herkx_small_kernelIldLi16ELb0ELb0ELc84ELc76EKddEviT_T0_PT6_S1_lS4_S1_lS2_PT7_S1_li: ; @_ZL32rocblas_syrkx_herkx_small_kernelIldLi16ELb0ELb0ELc84ELc76EKddEviT_T0_PT6_S1_lS4_S1_lS2_PT7_S1_li
; %bb.0:
	s_clause 0x1
	s_load_b512 s[16:31], s[0:1], 0x8
	s_load_b32 s6, s[0:1], 0x0
	v_and_b32_e32 v16, 0x3ff, v0
	v_bfe_u32 v17, v0, 10, 10
	s_delay_alu instid0(VALU_DEP_2) | instskip(NEXT) | instid1(VALU_DEP_2)
	v_lshl_add_u32 v0, s13, 4, v16
	v_lshl_add_u32 v14, s14, 4, v17
	s_delay_alu instid0(VALU_DEP_2) | instskip(NEXT) | instid1(VALU_DEP_2)
	v_ashrrev_i32_e32 v1, 31, v0
	v_ashrrev_i32_e32 v15, 31, v14
	s_waitcnt lgkmcnt(0)
	v_cmp_lt_i64_e64 s3, s[16:17], 1
	v_cmp_gt_i32_e64 s2, s6, v0
	s_delay_alu instid0(VALU_DEP_2)
	s_and_b32 vcc_lo, exec_lo, s3
	s_cbranch_vccnz .LBB1057_7
; %bb.1:
	v_lshlrev_b32_e32 v4, 7, v17
	v_lshlrev_b32_e32 v18, 3, v16
	v_mul_lo_u32 v6, s29, v14
	v_mul_lo_u32 v7, s28, v15
	v_mad_u64_u32 v[2:3], null, s28, v14, 0
	s_delay_alu instid0(VALU_DEP_4)
	v_add_nc_u32_e32 v19, v18, v4
	v_add_nc_u32_e32 v20, 0x800, v4
	v_mul_lo_u32 v8, s23, v0
	v_mul_lo_u32 v9, s22, v1
	v_mad_u64_u32 v[4:5], null, s22, v0, 0
	v_add3_u32 v3, v3, v7, v6
	s_mul_i32 s4, s31, s15
	s_mul_hi_u32 s5, s30, s15
	s_mul_i32 s7, s25, s15
	s_add_i32 s5, s5, s4
	v_lshlrev_b64 v[2:3], 3, v[2:3]
	s_delay_alu instid0(VALU_DEP_3)
	v_add3_u32 v5, v5, v9, v8
	s_mul_i32 s4, s30, s15
	s_mul_hi_u32 s8, s24, s15
	s_lshl_b64 s[4:5], s[4:5], 3
	s_add_i32 s9, s8, s7
	v_lshlrev_b64 v[4:5], 3, v[4:5]
	s_mul_i32 s8, s24, s15
	v_add_co_u32 v2, vcc_lo, v2, s4
	v_add_co_ci_u32_e32 v3, vcc_lo, s5, v3, vcc_lo
	s_lshl_b64 s[4:5], s[8:9], 3
	v_lshlrev_b32_e32 v6, 3, v17
	v_add_co_u32 v4, vcc_lo, v4, s4
	v_add_co_ci_u32_e32 v5, vcc_lo, s5, v5, vcc_lo
	v_add_co_u32 v7, vcc_lo, v2, v18
	v_add_co_ci_u32_e32 v8, vcc_lo, 0, v3, vcc_lo
	v_mov_b32_e32 v2, 0
	v_add_co_u32 v6, vcc_lo, v4, v6
	v_add_co_ci_u32_e32 v9, vcc_lo, 0, v5, vcc_lo
	v_mov_b32_e32 v3, 0
	v_add_co_u32 v4, vcc_lo, s26, v7
	v_add_co_ci_u32_e32 v5, vcc_lo, s27, v8, vcc_lo
	v_add_co_u32 v6, vcc_lo, s20, v6
	v_add_co_ci_u32_e32 v7, vcc_lo, s21, v9, vcc_lo
	v_mov_b32_e32 v9, v3
	v_cmp_gt_i32_e64 s3, s6, v14
	v_dual_mov_b32 v8, v2 :: v_dual_add_nc_u32 v21, v20, v18
	s_mov_b64 s[4:5], 0
	s_branch .LBB1057_3
.LBB1057_2:                             ;   in Loop: Header=BB1057_3 Depth=1
	s_or_b32 exec_lo, exec_lo, s7
	s_waitcnt vmcnt(0)
	ds_store_b64 v21, v[12:13]
	s_waitcnt lgkmcnt(0)
	s_barrier
	buffer_gl0_inv
	ds_load_2addr_b64 v[10:13], v18 offset1:16
	ds_load_b128 v[22:25], v20
	ds_load_b128 v[26:29], v20 offset:16
	s_add_u32 s4, s4, 16
	s_addc_u32 s5, s5, 0
	v_add_co_u32 v4, vcc_lo, 0x80, v4
	v_cmp_ge_i64_e64 s7, s[4:5], s[16:17]
	v_add_co_ci_u32_e32 v5, vcc_lo, 0, v5, vcc_lo
	v_add_co_u32 v6, vcc_lo, 0x80, v6
	v_add_co_ci_u32_e32 v7, vcc_lo, 0, v7, vcc_lo
	s_delay_alu instid0(VALU_DEP_4) | instskip(SKIP_2) | instid1(VALU_DEP_1)
	s_and_b32 vcc_lo, exec_lo, s7
	s_waitcnt lgkmcnt(1)
	v_fma_f64 v[8:9], v[10:11], v[22:23], v[8:9]
	v_fma_f64 v[12:13], v[12:13], v[24:25], v[8:9]
	ds_load_2addr_b64 v[8:11], v18 offset0:32 offset1:48
	s_waitcnt lgkmcnt(0)
	v_fma_f64 v[8:9], v[8:9], v[26:27], v[12:13]
	s_delay_alu instid0(VALU_DEP_1)
	v_fma_f64 v[12:13], v[10:11], v[28:29], v[8:9]
	ds_load_2addr_b64 v[8:11], v18 offset0:64 offset1:80
	ds_load_b128 v[22:25], v20 offset:32
	ds_load_b128 v[26:29], v20 offset:48
	s_waitcnt lgkmcnt(1)
	v_fma_f64 v[8:9], v[8:9], v[22:23], v[12:13]
	s_delay_alu instid0(VALU_DEP_1) | instskip(SKIP_3) | instid1(VALU_DEP_1)
	v_fma_f64 v[12:13], v[10:11], v[24:25], v[8:9]
	ds_load_2addr_b64 v[8:11], v18 offset0:96 offset1:112
	s_waitcnt lgkmcnt(0)
	v_fma_f64 v[8:9], v[8:9], v[26:27], v[12:13]
	v_fma_f64 v[12:13], v[10:11], v[28:29], v[8:9]
	ds_load_2addr_b64 v[8:11], v18 offset0:128 offset1:144
	ds_load_b128 v[22:25], v20 offset:64
	ds_load_b128 v[26:29], v20 offset:80
	s_waitcnt lgkmcnt(1)
	v_fma_f64 v[8:9], v[8:9], v[22:23], v[12:13]
	s_delay_alu instid0(VALU_DEP_1) | instskip(SKIP_3) | instid1(VALU_DEP_1)
	v_fma_f64 v[12:13], v[10:11], v[24:25], v[8:9]
	ds_load_2addr_b64 v[8:11], v18 offset0:160 offset1:176
	s_waitcnt lgkmcnt(0)
	v_fma_f64 v[8:9], v[8:9], v[26:27], v[12:13]
	v_fma_f64 v[12:13], v[10:11], v[28:29], v[8:9]
	ds_load_2addr_b64 v[8:11], v18 offset0:192 offset1:208
	ds_load_b128 v[22:25], v20 offset:96
	ds_load_b128 v[26:29], v20 offset:112
	s_waitcnt lgkmcnt(1)
	v_fma_f64 v[8:9], v[8:9], v[22:23], v[12:13]
	s_delay_alu instid0(VALU_DEP_1)
	v_fma_f64 v[12:13], v[10:11], v[24:25], v[8:9]
	ds_load_2addr_b64 v[8:11], v18 offset0:224 offset1:240
	s_waitcnt lgkmcnt(0)
	s_barrier
	buffer_gl0_inv
	v_fma_f64 v[8:9], v[8:9], v[26:27], v[12:13]
	s_delay_alu instid0(VALU_DEP_1)
	v_fma_f64 v[8:9], v[10:11], v[28:29], v[8:9]
	s_cbranch_vccnz .LBB1057_8
.LBB1057_3:                             ; =>This Inner Loop Header: Depth=1
	v_add_co_u32 v10, s7, v17, s4
	s_delay_alu instid0(VALU_DEP_1) | instskip(NEXT) | instid1(VALU_DEP_1)
	v_add_co_ci_u32_e64 v11, null, 0, s5, s7
	v_cmp_gt_i64_e32 vcc_lo, s[16:17], v[10:11]
	v_dual_mov_b32 v11, v3 :: v_dual_mov_b32 v10, v2
	s_and_b32 s8, s2, vcc_lo
	s_delay_alu instid0(SALU_CYCLE_1)
	s_and_saveexec_b32 s7, s8
	s_cbranch_execz .LBB1057_5
; %bb.4:                                ;   in Loop: Header=BB1057_3 Depth=1
	global_load_b64 v[10:11], v[6:7], off
.LBB1057_5:                             ;   in Loop: Header=BB1057_3 Depth=1
	s_or_b32 exec_lo, exec_lo, s7
	v_add_co_u32 v12, s7, v16, s4
	s_delay_alu instid0(VALU_DEP_1)
	v_add_co_ci_u32_e64 v13, null, 0, s5, s7
	s_waitcnt vmcnt(0)
	ds_store_b64 v19, v[10:11]
	v_cmp_gt_i64_e32 vcc_lo, s[16:17], v[12:13]
	v_mov_b32_e32 v12, 0
	v_mov_b32_e32 v13, 0
	s_and_b32 s8, s3, vcc_lo
	s_delay_alu instid0(SALU_CYCLE_1)
	s_and_saveexec_b32 s7, s8
	s_cbranch_execz .LBB1057_2
; %bb.6:                                ;   in Loop: Header=BB1057_3 Depth=1
	global_load_b64 v[12:13], v[4:5], off
	s_branch .LBB1057_2
.LBB1057_7:
	v_mov_b32_e32 v8, 0
	v_mov_b32_e32 v9, 0
.LBB1057_8:
	v_cmp_le_i32_e32 vcc_lo, v14, v0
	v_cmp_gt_i32_e64 s2, s6, v0
	s_delay_alu instid0(VALU_DEP_1) | instskip(NEXT) | instid1(SALU_CYCLE_1)
	s_and_b32 s2, vcc_lo, s2
	s_and_saveexec_b32 s3, s2
	s_cbranch_execz .LBB1057_10
; %bb.9:
	s_load_b256 s[0:7], s[0:1], 0x48
	v_lshlrev_b64 v[0:1], 3, v[0:1]
	s_waitcnt lgkmcnt(0)
	v_mul_lo_u32 v4, v14, s5
	v_mul_lo_u32 v5, v15, s4
	v_mad_u64_u32 v[2:3], null, v14, s4, 0
	s_mul_i32 s5, s15, s7
	s_mul_hi_u32 s7, s15, s6
	s_mul_i32 s4, s15, s6
	s_add_i32 s5, s7, s5
	s_delay_alu instid0(SALU_CYCLE_1) | instskip(NEXT) | instid1(VALU_DEP_1)
	s_lshl_b64 s[4:5], s[4:5], 3
	v_add3_u32 v3, v3, v4, v5
	s_add_u32 s2, s2, s4
	s_addc_u32 s3, s3, s5
	s_delay_alu instid0(VALU_DEP_1) | instskip(NEXT) | instid1(VALU_DEP_1)
	v_lshlrev_b64 v[2:3], 3, v[2:3]
	v_add_co_u32 v2, vcc_lo, s2, v2
	s_delay_alu instid0(VALU_DEP_2) | instskip(NEXT) | instid1(VALU_DEP_2)
	v_add_co_ci_u32_e32 v3, vcc_lo, s3, v3, vcc_lo
	v_add_co_u32 v0, vcc_lo, v2, v0
	s_delay_alu instid0(VALU_DEP_2) | instskip(SKIP_3) | instid1(VALU_DEP_1)
	v_add_co_ci_u32_e32 v1, vcc_lo, v3, v1, vcc_lo
	global_load_b64 v[2:3], v[0:1], off
	s_waitcnt vmcnt(0)
	v_mul_f64 v[2:3], v[2:3], s[0:1]
	v_fma_f64 v[2:3], v[8:9], s[18:19], v[2:3]
	global_store_b64 v[0:1], v[2:3], off
.LBB1057_10:
	s_nop 0
	s_sendmsg sendmsg(MSG_DEALLOC_VGPRS)
	s_endpgm
	.section	.rodata,"a",@progbits
	.p2align	6, 0x0
	.amdhsa_kernel _ZL32rocblas_syrkx_herkx_small_kernelIldLi16ELb0ELb0ELc84ELc76EKddEviT_T0_PT6_S1_lS4_S1_lS2_PT7_S1_li
		.amdhsa_group_segment_fixed_size 4096
		.amdhsa_private_segment_fixed_size 0
		.amdhsa_kernarg_size 108
		.amdhsa_user_sgpr_count 13
		.amdhsa_user_sgpr_dispatch_ptr 0
		.amdhsa_user_sgpr_queue_ptr 0
		.amdhsa_user_sgpr_kernarg_segment_ptr 1
		.amdhsa_user_sgpr_dispatch_id 0
		.amdhsa_user_sgpr_private_segment_size 0
		.amdhsa_wavefront_size32 1
		.amdhsa_uses_dynamic_stack 0
		.amdhsa_enable_private_segment 0
		.amdhsa_system_sgpr_workgroup_id_x 1
		.amdhsa_system_sgpr_workgroup_id_y 1
		.amdhsa_system_sgpr_workgroup_id_z 1
		.amdhsa_system_sgpr_workgroup_info 0
		.amdhsa_system_vgpr_workitem_id 1
		.amdhsa_next_free_vgpr 30
		.amdhsa_next_free_sgpr 32
		.amdhsa_reserve_vcc 1
		.amdhsa_float_round_mode_32 0
		.amdhsa_float_round_mode_16_64 0
		.amdhsa_float_denorm_mode_32 3
		.amdhsa_float_denorm_mode_16_64 3
		.amdhsa_dx10_clamp 1
		.amdhsa_ieee_mode 1
		.amdhsa_fp16_overflow 0
		.amdhsa_workgroup_processor_mode 1
		.amdhsa_memory_ordered 1
		.amdhsa_forward_progress 0
		.amdhsa_shared_vgpr_count 0
		.amdhsa_exception_fp_ieee_invalid_op 0
		.amdhsa_exception_fp_denorm_src 0
		.amdhsa_exception_fp_ieee_div_zero 0
		.amdhsa_exception_fp_ieee_overflow 0
		.amdhsa_exception_fp_ieee_underflow 0
		.amdhsa_exception_fp_ieee_inexact 0
		.amdhsa_exception_int_div_zero 0
	.end_amdhsa_kernel
	.section	.text._ZL32rocblas_syrkx_herkx_small_kernelIldLi16ELb0ELb0ELc84ELc76EKddEviT_T0_PT6_S1_lS4_S1_lS2_PT7_S1_li,"axG",@progbits,_ZL32rocblas_syrkx_herkx_small_kernelIldLi16ELb0ELb0ELc84ELc76EKddEviT_T0_PT6_S1_lS4_S1_lS2_PT7_S1_li,comdat
.Lfunc_end1057:
	.size	_ZL32rocblas_syrkx_herkx_small_kernelIldLi16ELb0ELb0ELc84ELc76EKddEviT_T0_PT6_S1_lS4_S1_lS2_PT7_S1_li, .Lfunc_end1057-_ZL32rocblas_syrkx_herkx_small_kernelIldLi16ELb0ELb0ELc84ELc76EKddEviT_T0_PT6_S1_lS4_S1_lS2_PT7_S1_li
                                        ; -- End function
	.section	.AMDGPU.csdata,"",@progbits
; Kernel info:
; codeLenInByte = 1116
; NumSgprs: 34
; NumVgprs: 30
; ScratchSize: 0
; MemoryBound: 0
; FloatMode: 240
; IeeeMode: 1
; LDSByteSize: 4096 bytes/workgroup (compile time only)
; SGPRBlocks: 4
; VGPRBlocks: 3
; NumSGPRsForWavesPerEU: 34
; NumVGPRsForWavesPerEU: 30
; Occupancy: 16
; WaveLimiterHint : 0
; COMPUTE_PGM_RSRC2:SCRATCH_EN: 0
; COMPUTE_PGM_RSRC2:USER_SGPR: 13
; COMPUTE_PGM_RSRC2:TRAP_HANDLER: 0
; COMPUTE_PGM_RSRC2:TGID_X_EN: 1
; COMPUTE_PGM_RSRC2:TGID_Y_EN: 1
; COMPUTE_PGM_RSRC2:TGID_Z_EN: 1
; COMPUTE_PGM_RSRC2:TIDIG_COMP_CNT: 1
	.section	.text._ZL32rocblas_syrkx_herkx_small_kernelIldLi16ELb0ELb0ELc67ELc76EKddEviT_T0_PT6_S1_lS4_S1_lS2_PT7_S1_li,"axG",@progbits,_ZL32rocblas_syrkx_herkx_small_kernelIldLi16ELb0ELb0ELc67ELc76EKddEviT_T0_PT6_S1_lS4_S1_lS2_PT7_S1_li,comdat
	.globl	_ZL32rocblas_syrkx_herkx_small_kernelIldLi16ELb0ELb0ELc67ELc76EKddEviT_T0_PT6_S1_lS4_S1_lS2_PT7_S1_li ; -- Begin function _ZL32rocblas_syrkx_herkx_small_kernelIldLi16ELb0ELb0ELc67ELc76EKddEviT_T0_PT6_S1_lS4_S1_lS2_PT7_S1_li
	.p2align	8
	.type	_ZL32rocblas_syrkx_herkx_small_kernelIldLi16ELb0ELb0ELc67ELc76EKddEviT_T0_PT6_S1_lS4_S1_lS2_PT7_S1_li,@function
_ZL32rocblas_syrkx_herkx_small_kernelIldLi16ELb0ELb0ELc67ELc76EKddEviT_T0_PT6_S1_lS4_S1_lS2_PT7_S1_li: ; @_ZL32rocblas_syrkx_herkx_small_kernelIldLi16ELb0ELb0ELc67ELc76EKddEviT_T0_PT6_S1_lS4_S1_lS2_PT7_S1_li
; %bb.0:
	s_clause 0x1
	s_load_b512 s[16:31], s[0:1], 0x8
	s_load_b32 s6, s[0:1], 0x0
	v_and_b32_e32 v16, 0x3ff, v0
	v_bfe_u32 v17, v0, 10, 10
	s_delay_alu instid0(VALU_DEP_2) | instskip(NEXT) | instid1(VALU_DEP_2)
	v_lshl_add_u32 v0, s13, 4, v16
	v_lshl_add_u32 v14, s14, 4, v17
	s_delay_alu instid0(VALU_DEP_2) | instskip(NEXT) | instid1(VALU_DEP_2)
	v_ashrrev_i32_e32 v1, 31, v0
	v_ashrrev_i32_e32 v15, 31, v14
	s_waitcnt lgkmcnt(0)
	v_cmp_lt_i64_e64 s3, s[16:17], 1
	v_cmp_gt_i32_e64 s2, s6, v0
	s_delay_alu instid0(VALU_DEP_2)
	s_and_b32 vcc_lo, exec_lo, s3
	s_cbranch_vccnz .LBB1058_7
; %bb.1:
	v_lshlrev_b32_e32 v4, 7, v17
	v_lshlrev_b32_e32 v18, 3, v16
	v_mul_lo_u32 v6, s29, v14
	v_mul_lo_u32 v7, s28, v15
	v_mad_u64_u32 v[2:3], null, s28, v14, 0
	s_delay_alu instid0(VALU_DEP_4)
	v_add_nc_u32_e32 v19, v18, v4
	v_add_nc_u32_e32 v20, 0x800, v4
	v_mul_lo_u32 v8, s23, v0
	v_mul_lo_u32 v9, s22, v1
	v_mad_u64_u32 v[4:5], null, s22, v0, 0
	v_add3_u32 v3, v3, v7, v6
	s_mul_i32 s4, s31, s15
	s_mul_hi_u32 s5, s30, s15
	s_mul_i32 s7, s25, s15
	s_add_i32 s5, s5, s4
	v_lshlrev_b64 v[2:3], 3, v[2:3]
	s_delay_alu instid0(VALU_DEP_3)
	v_add3_u32 v5, v5, v9, v8
	s_mul_i32 s4, s30, s15
	s_mul_hi_u32 s8, s24, s15
	s_lshl_b64 s[4:5], s[4:5], 3
	s_add_i32 s9, s8, s7
	v_lshlrev_b64 v[4:5], 3, v[4:5]
	s_mul_i32 s8, s24, s15
	v_add_co_u32 v2, vcc_lo, v2, s4
	v_add_co_ci_u32_e32 v3, vcc_lo, s5, v3, vcc_lo
	s_lshl_b64 s[4:5], s[8:9], 3
	v_lshlrev_b32_e32 v6, 3, v17
	v_add_co_u32 v4, vcc_lo, v4, s4
	v_add_co_ci_u32_e32 v5, vcc_lo, s5, v5, vcc_lo
	v_add_co_u32 v7, vcc_lo, v2, v18
	v_add_co_ci_u32_e32 v8, vcc_lo, 0, v3, vcc_lo
	v_mov_b32_e32 v2, 0
	v_add_co_u32 v6, vcc_lo, v4, v6
	v_add_co_ci_u32_e32 v9, vcc_lo, 0, v5, vcc_lo
	v_mov_b32_e32 v3, 0
	v_add_co_u32 v4, vcc_lo, s26, v7
	v_add_co_ci_u32_e32 v5, vcc_lo, s27, v8, vcc_lo
	v_add_co_u32 v6, vcc_lo, s20, v6
	v_add_co_ci_u32_e32 v7, vcc_lo, s21, v9, vcc_lo
	v_mov_b32_e32 v9, v3
	v_cmp_gt_i32_e64 s3, s6, v14
	v_dual_mov_b32 v8, v2 :: v_dual_add_nc_u32 v21, v20, v18
	s_mov_b64 s[4:5], 0
	s_branch .LBB1058_3
.LBB1058_2:                             ;   in Loop: Header=BB1058_3 Depth=1
	s_or_b32 exec_lo, exec_lo, s7
	s_waitcnt vmcnt(0)
	ds_store_b64 v21, v[12:13]
	s_waitcnt lgkmcnt(0)
	s_barrier
	buffer_gl0_inv
	ds_load_2addr_b64 v[10:13], v18 offset1:16
	ds_load_b128 v[22:25], v20
	ds_load_b128 v[26:29], v20 offset:16
	s_add_u32 s4, s4, 16
	s_addc_u32 s5, s5, 0
	v_add_co_u32 v4, vcc_lo, 0x80, v4
	v_cmp_ge_i64_e64 s7, s[4:5], s[16:17]
	v_add_co_ci_u32_e32 v5, vcc_lo, 0, v5, vcc_lo
	v_add_co_u32 v6, vcc_lo, 0x80, v6
	v_add_co_ci_u32_e32 v7, vcc_lo, 0, v7, vcc_lo
	s_delay_alu instid0(VALU_DEP_4) | instskip(SKIP_2) | instid1(VALU_DEP_1)
	s_and_b32 vcc_lo, exec_lo, s7
	s_waitcnt lgkmcnt(1)
	v_fma_f64 v[8:9], v[10:11], v[22:23], v[8:9]
	v_fma_f64 v[12:13], v[12:13], v[24:25], v[8:9]
	ds_load_2addr_b64 v[8:11], v18 offset0:32 offset1:48
	s_waitcnt lgkmcnt(0)
	v_fma_f64 v[8:9], v[8:9], v[26:27], v[12:13]
	s_delay_alu instid0(VALU_DEP_1)
	v_fma_f64 v[12:13], v[10:11], v[28:29], v[8:9]
	ds_load_2addr_b64 v[8:11], v18 offset0:64 offset1:80
	ds_load_b128 v[22:25], v20 offset:32
	ds_load_b128 v[26:29], v20 offset:48
	s_waitcnt lgkmcnt(1)
	v_fma_f64 v[8:9], v[8:9], v[22:23], v[12:13]
	s_delay_alu instid0(VALU_DEP_1) | instskip(SKIP_3) | instid1(VALU_DEP_1)
	v_fma_f64 v[12:13], v[10:11], v[24:25], v[8:9]
	ds_load_2addr_b64 v[8:11], v18 offset0:96 offset1:112
	s_waitcnt lgkmcnt(0)
	v_fma_f64 v[8:9], v[8:9], v[26:27], v[12:13]
	v_fma_f64 v[12:13], v[10:11], v[28:29], v[8:9]
	ds_load_2addr_b64 v[8:11], v18 offset0:128 offset1:144
	ds_load_b128 v[22:25], v20 offset:64
	ds_load_b128 v[26:29], v20 offset:80
	s_waitcnt lgkmcnt(1)
	v_fma_f64 v[8:9], v[8:9], v[22:23], v[12:13]
	s_delay_alu instid0(VALU_DEP_1) | instskip(SKIP_3) | instid1(VALU_DEP_1)
	v_fma_f64 v[12:13], v[10:11], v[24:25], v[8:9]
	ds_load_2addr_b64 v[8:11], v18 offset0:160 offset1:176
	s_waitcnt lgkmcnt(0)
	v_fma_f64 v[8:9], v[8:9], v[26:27], v[12:13]
	v_fma_f64 v[12:13], v[10:11], v[28:29], v[8:9]
	ds_load_2addr_b64 v[8:11], v18 offset0:192 offset1:208
	ds_load_b128 v[22:25], v20 offset:96
	ds_load_b128 v[26:29], v20 offset:112
	s_waitcnt lgkmcnt(1)
	v_fma_f64 v[8:9], v[8:9], v[22:23], v[12:13]
	s_delay_alu instid0(VALU_DEP_1)
	v_fma_f64 v[12:13], v[10:11], v[24:25], v[8:9]
	ds_load_2addr_b64 v[8:11], v18 offset0:224 offset1:240
	s_waitcnt lgkmcnt(0)
	s_barrier
	buffer_gl0_inv
	v_fma_f64 v[8:9], v[8:9], v[26:27], v[12:13]
	s_delay_alu instid0(VALU_DEP_1)
	v_fma_f64 v[8:9], v[10:11], v[28:29], v[8:9]
	s_cbranch_vccnz .LBB1058_8
.LBB1058_3:                             ; =>This Inner Loop Header: Depth=1
	v_add_co_u32 v10, s7, v17, s4
	s_delay_alu instid0(VALU_DEP_1) | instskip(NEXT) | instid1(VALU_DEP_1)
	v_add_co_ci_u32_e64 v11, null, 0, s5, s7
	v_cmp_gt_i64_e32 vcc_lo, s[16:17], v[10:11]
	v_dual_mov_b32 v11, v3 :: v_dual_mov_b32 v10, v2
	s_and_b32 s8, s2, vcc_lo
	s_delay_alu instid0(SALU_CYCLE_1)
	s_and_saveexec_b32 s7, s8
	s_cbranch_execz .LBB1058_5
; %bb.4:                                ;   in Loop: Header=BB1058_3 Depth=1
	global_load_b64 v[10:11], v[6:7], off
.LBB1058_5:                             ;   in Loop: Header=BB1058_3 Depth=1
	s_or_b32 exec_lo, exec_lo, s7
	v_add_co_u32 v12, s7, v16, s4
	s_delay_alu instid0(VALU_DEP_1)
	v_add_co_ci_u32_e64 v13, null, 0, s5, s7
	s_waitcnt vmcnt(0)
	ds_store_b64 v19, v[10:11]
	v_cmp_gt_i64_e32 vcc_lo, s[16:17], v[12:13]
	v_mov_b32_e32 v12, 0
	v_mov_b32_e32 v13, 0
	s_and_b32 s8, s3, vcc_lo
	s_delay_alu instid0(SALU_CYCLE_1)
	s_and_saveexec_b32 s7, s8
	s_cbranch_execz .LBB1058_2
; %bb.6:                                ;   in Loop: Header=BB1058_3 Depth=1
	global_load_b64 v[12:13], v[4:5], off
	s_branch .LBB1058_2
.LBB1058_7:
	v_mov_b32_e32 v8, 0
	v_mov_b32_e32 v9, 0
.LBB1058_8:
	v_cmp_le_i32_e32 vcc_lo, v14, v0
	v_cmp_gt_i32_e64 s2, s6, v0
	s_delay_alu instid0(VALU_DEP_1) | instskip(NEXT) | instid1(SALU_CYCLE_1)
	s_and_b32 s2, vcc_lo, s2
	s_and_saveexec_b32 s3, s2
	s_cbranch_execz .LBB1058_10
; %bb.9:
	s_load_b256 s[0:7], s[0:1], 0x48
	v_lshlrev_b64 v[0:1], 3, v[0:1]
	s_waitcnt lgkmcnt(0)
	v_mul_lo_u32 v4, v14, s5
	v_mul_lo_u32 v5, v15, s4
	v_mad_u64_u32 v[2:3], null, v14, s4, 0
	s_mul_i32 s5, s15, s7
	s_mul_hi_u32 s7, s15, s6
	s_mul_i32 s4, s15, s6
	s_add_i32 s5, s7, s5
	s_delay_alu instid0(SALU_CYCLE_1) | instskip(NEXT) | instid1(VALU_DEP_1)
	s_lshl_b64 s[4:5], s[4:5], 3
	v_add3_u32 v3, v3, v4, v5
	s_add_u32 s2, s2, s4
	s_addc_u32 s3, s3, s5
	s_delay_alu instid0(VALU_DEP_1) | instskip(NEXT) | instid1(VALU_DEP_1)
	v_lshlrev_b64 v[2:3], 3, v[2:3]
	v_add_co_u32 v2, vcc_lo, s2, v2
	s_delay_alu instid0(VALU_DEP_2) | instskip(NEXT) | instid1(VALU_DEP_2)
	v_add_co_ci_u32_e32 v3, vcc_lo, s3, v3, vcc_lo
	v_add_co_u32 v0, vcc_lo, v2, v0
	s_delay_alu instid0(VALU_DEP_2) | instskip(SKIP_3) | instid1(VALU_DEP_1)
	v_add_co_ci_u32_e32 v1, vcc_lo, v3, v1, vcc_lo
	global_load_b64 v[2:3], v[0:1], off
	s_waitcnt vmcnt(0)
	v_mul_f64 v[2:3], v[2:3], s[0:1]
	v_fma_f64 v[2:3], v[8:9], s[18:19], v[2:3]
	global_store_b64 v[0:1], v[2:3], off
.LBB1058_10:
	s_nop 0
	s_sendmsg sendmsg(MSG_DEALLOC_VGPRS)
	s_endpgm
	.section	.rodata,"a",@progbits
	.p2align	6, 0x0
	.amdhsa_kernel _ZL32rocblas_syrkx_herkx_small_kernelIldLi16ELb0ELb0ELc67ELc76EKddEviT_T0_PT6_S1_lS4_S1_lS2_PT7_S1_li
		.amdhsa_group_segment_fixed_size 4096
		.amdhsa_private_segment_fixed_size 0
		.amdhsa_kernarg_size 108
		.amdhsa_user_sgpr_count 13
		.amdhsa_user_sgpr_dispatch_ptr 0
		.amdhsa_user_sgpr_queue_ptr 0
		.amdhsa_user_sgpr_kernarg_segment_ptr 1
		.amdhsa_user_sgpr_dispatch_id 0
		.amdhsa_user_sgpr_private_segment_size 0
		.amdhsa_wavefront_size32 1
		.amdhsa_uses_dynamic_stack 0
		.amdhsa_enable_private_segment 0
		.amdhsa_system_sgpr_workgroup_id_x 1
		.amdhsa_system_sgpr_workgroup_id_y 1
		.amdhsa_system_sgpr_workgroup_id_z 1
		.amdhsa_system_sgpr_workgroup_info 0
		.amdhsa_system_vgpr_workitem_id 1
		.amdhsa_next_free_vgpr 30
		.amdhsa_next_free_sgpr 32
		.amdhsa_reserve_vcc 1
		.amdhsa_float_round_mode_32 0
		.amdhsa_float_round_mode_16_64 0
		.amdhsa_float_denorm_mode_32 3
		.amdhsa_float_denorm_mode_16_64 3
		.amdhsa_dx10_clamp 1
		.amdhsa_ieee_mode 1
		.amdhsa_fp16_overflow 0
		.amdhsa_workgroup_processor_mode 1
		.amdhsa_memory_ordered 1
		.amdhsa_forward_progress 0
		.amdhsa_shared_vgpr_count 0
		.amdhsa_exception_fp_ieee_invalid_op 0
		.amdhsa_exception_fp_denorm_src 0
		.amdhsa_exception_fp_ieee_div_zero 0
		.amdhsa_exception_fp_ieee_overflow 0
		.amdhsa_exception_fp_ieee_underflow 0
		.amdhsa_exception_fp_ieee_inexact 0
		.amdhsa_exception_int_div_zero 0
	.end_amdhsa_kernel
	.section	.text._ZL32rocblas_syrkx_herkx_small_kernelIldLi16ELb0ELb0ELc67ELc76EKddEviT_T0_PT6_S1_lS4_S1_lS2_PT7_S1_li,"axG",@progbits,_ZL32rocblas_syrkx_herkx_small_kernelIldLi16ELb0ELb0ELc67ELc76EKddEviT_T0_PT6_S1_lS4_S1_lS2_PT7_S1_li,comdat
.Lfunc_end1058:
	.size	_ZL32rocblas_syrkx_herkx_small_kernelIldLi16ELb0ELb0ELc67ELc76EKddEviT_T0_PT6_S1_lS4_S1_lS2_PT7_S1_li, .Lfunc_end1058-_ZL32rocblas_syrkx_herkx_small_kernelIldLi16ELb0ELb0ELc67ELc76EKddEviT_T0_PT6_S1_lS4_S1_lS2_PT7_S1_li
                                        ; -- End function
	.section	.AMDGPU.csdata,"",@progbits
; Kernel info:
; codeLenInByte = 1116
; NumSgprs: 34
; NumVgprs: 30
; ScratchSize: 0
; MemoryBound: 0
; FloatMode: 240
; IeeeMode: 1
; LDSByteSize: 4096 bytes/workgroup (compile time only)
; SGPRBlocks: 4
; VGPRBlocks: 3
; NumSGPRsForWavesPerEU: 34
; NumVGPRsForWavesPerEU: 30
; Occupancy: 16
; WaveLimiterHint : 0
; COMPUTE_PGM_RSRC2:SCRATCH_EN: 0
; COMPUTE_PGM_RSRC2:USER_SGPR: 13
; COMPUTE_PGM_RSRC2:TRAP_HANDLER: 0
; COMPUTE_PGM_RSRC2:TGID_X_EN: 1
; COMPUTE_PGM_RSRC2:TGID_Y_EN: 1
; COMPUTE_PGM_RSRC2:TGID_Z_EN: 1
; COMPUTE_PGM_RSRC2:TIDIG_COMP_CNT: 1
	.section	.text._ZL32rocblas_syrkx_herkx_small_kernelIldLi16ELb0ELb0ELc78ELc76EKddEviT_T0_PT6_S1_lS4_S1_lS2_PT7_S1_li,"axG",@progbits,_ZL32rocblas_syrkx_herkx_small_kernelIldLi16ELb0ELb0ELc78ELc76EKddEviT_T0_PT6_S1_lS4_S1_lS2_PT7_S1_li,comdat
	.globl	_ZL32rocblas_syrkx_herkx_small_kernelIldLi16ELb0ELb0ELc78ELc76EKddEviT_T0_PT6_S1_lS4_S1_lS2_PT7_S1_li ; -- Begin function _ZL32rocblas_syrkx_herkx_small_kernelIldLi16ELb0ELb0ELc78ELc76EKddEviT_T0_PT6_S1_lS4_S1_lS2_PT7_S1_li
	.p2align	8
	.type	_ZL32rocblas_syrkx_herkx_small_kernelIldLi16ELb0ELb0ELc78ELc76EKddEviT_T0_PT6_S1_lS4_S1_lS2_PT7_S1_li,@function
_ZL32rocblas_syrkx_herkx_small_kernelIldLi16ELb0ELb0ELc78ELc76EKddEviT_T0_PT6_S1_lS4_S1_lS2_PT7_S1_li: ; @_ZL32rocblas_syrkx_herkx_small_kernelIldLi16ELb0ELb0ELc78ELc76EKddEviT_T0_PT6_S1_lS4_S1_lS2_PT7_S1_li
; %bb.0:
	s_clause 0x1
	s_load_b512 s[16:31], s[0:1], 0x8
	s_load_b32 s10, s[0:1], 0x0
	v_and_b32_e32 v16, 0x3ff, v0
	v_bfe_u32 v17, v0, 10, 10
	s_delay_alu instid0(VALU_DEP_2) | instskip(NEXT) | instid1(VALU_DEP_2)
	v_lshl_add_u32 v0, s13, 4, v16
	v_lshl_add_u32 v2, s14, 4, v17
	s_delay_alu instid0(VALU_DEP_2) | instskip(NEXT) | instid1(VALU_DEP_2)
	v_ashrrev_i32_e32 v1, 31, v0
	v_ashrrev_i32_e32 v3, 31, v2
	s_waitcnt lgkmcnt(0)
	v_cmp_lt_i64_e64 s3, s[16:17], 1
	v_cmp_gt_i32_e64 s2, s10, v0
	s_delay_alu instid0(VALU_DEP_2)
	s_and_b32 vcc_lo, exec_lo, s3
	s_cbranch_vccnz .LBB1059_7
; %bb.1:
	v_mad_u64_u32 v[4:5], null, s28, v16, 0
	v_mad_u64_u32 v[6:7], null, s22, v17, 0
	v_lshlrev_b32_e32 v11, 7, v17
	s_mul_i32 s5, s31, s15
	s_mul_hi_u32 s7, s30, s15
	s_mul_i32 s4, s30, s15
	s_add_i32 s5, s7, s5
	s_mul_i32 s8, s25, s15
	s_delay_alu instid0(VALU_DEP_2)
	v_mad_u64_u32 v[8:9], null, s29, v16, v[5:6]
	v_lshlrev_b32_e32 v18, 3, v16
	s_mul_hi_u32 s9, s24, s15
	s_lshl_b64 s[4:5], s[4:5], 3
	s_mul_i32 s6, s24, s15
	s_add_i32 s7, s9, s8
	v_add_nc_u32_e32 v19, 0x800, v11
	s_delay_alu instid0(VALU_DEP_3) | instskip(SKIP_4) | instid1(VALU_DEP_3)
	v_mad_u64_u32 v[9:10], null, s23, v17, v[7:8]
	v_mov_b32_e32 v5, v8
	v_cmp_gt_i32_e64 s3, s10, v2
	s_mov_b64 s[8:9], 0
	v_add_nc_u32_e32 v20, v18, v11
	v_lshlrev_b64 v[4:5], 3, v[4:5]
	v_mov_b32_e32 v7, v9
	s_delay_alu instid0(VALU_DEP_2) | instskip(NEXT) | instid1(VALU_DEP_2)
	v_add_co_u32 v8, vcc_lo, s4, v4
	v_lshlrev_b64 v[6:7], 3, v[6:7]
	s_delay_alu instid0(VALU_DEP_4) | instskip(SKIP_3) | instid1(VALU_DEP_3)
	v_add_co_ci_u32_e32 v9, vcc_lo, s5, v5, vcc_lo
	s_lshl_b64 s[4:5], s[6:7], 3
	v_lshlrev_b64 v[4:5], 3, v[2:3]
	s_lshl_b64 s[6:7], s[22:23], 7
	v_add_co_u32 v10, vcc_lo, s4, v6
	v_add_co_ci_u32_e32 v11, vcc_lo, s5, v7, vcc_lo
	v_lshlrev_b64 v[6:7], 3, v[0:1]
	s_delay_alu instid0(VALU_DEP_4) | instskip(SKIP_2) | instid1(VALU_DEP_4)
	v_add_co_u32 v8, vcc_lo, v8, v4
	v_add_co_ci_u32_e32 v9, vcc_lo, v9, v5, vcc_lo
	v_mov_b32_e32 v4, 0
	v_add_co_u32 v10, vcc_lo, v10, v6
	v_add_co_ci_u32_e32 v11, vcc_lo, v11, v7, vcc_lo
	v_mov_b32_e32 v5, 0
	v_add_co_u32 v6, vcc_lo, s26, v8
	v_add_co_ci_u32_e32 v7, vcc_lo, s27, v9, vcc_lo
	v_add_co_u32 v8, vcc_lo, s20, v10
	v_add_co_ci_u32_e32 v9, vcc_lo, s21, v11, vcc_lo
	v_dual_mov_b32 v11, v5 :: v_dual_mov_b32 v10, v4
	v_add_nc_u32_e32 v21, v19, v18
	s_lshl_b64 s[4:5], s[28:29], 7
	s_branch .LBB1059_3
.LBB1059_2:                             ;   in Loop: Header=BB1059_3 Depth=1
	s_or_b32 exec_lo, exec_lo, s11
	s_waitcnt vmcnt(0)
	ds_store_b64 v21, v[14:15]
	s_waitcnt lgkmcnt(0)
	s_barrier
	buffer_gl0_inv
	ds_load_2addr_b64 v[12:15], v18 offset1:16
	ds_load_b128 v[22:25], v19
	ds_load_b128 v[26:29], v19 offset:16
	s_add_u32 s8, s8, 16
	s_addc_u32 s9, s9, 0
	v_add_co_u32 v6, vcc_lo, v6, s4
	v_cmp_ge_i64_e64 s11, s[8:9], s[16:17]
	v_add_co_ci_u32_e32 v7, vcc_lo, s5, v7, vcc_lo
	v_add_co_u32 v8, vcc_lo, v8, s6
	v_add_co_ci_u32_e32 v9, vcc_lo, s7, v9, vcc_lo
	s_delay_alu instid0(VALU_DEP_4) | instskip(SKIP_2) | instid1(VALU_DEP_1)
	s_and_b32 vcc_lo, exec_lo, s11
	s_waitcnt lgkmcnt(1)
	v_fma_f64 v[10:11], v[12:13], v[22:23], v[10:11]
	v_fma_f64 v[14:15], v[14:15], v[24:25], v[10:11]
	ds_load_2addr_b64 v[10:13], v18 offset0:32 offset1:48
	s_waitcnt lgkmcnt(0)
	v_fma_f64 v[10:11], v[10:11], v[26:27], v[14:15]
	s_delay_alu instid0(VALU_DEP_1)
	v_fma_f64 v[14:15], v[12:13], v[28:29], v[10:11]
	ds_load_2addr_b64 v[10:13], v18 offset0:64 offset1:80
	ds_load_b128 v[22:25], v19 offset:32
	ds_load_b128 v[26:29], v19 offset:48
	s_waitcnt lgkmcnt(1)
	v_fma_f64 v[10:11], v[10:11], v[22:23], v[14:15]
	s_delay_alu instid0(VALU_DEP_1) | instskip(SKIP_3) | instid1(VALU_DEP_1)
	v_fma_f64 v[14:15], v[12:13], v[24:25], v[10:11]
	ds_load_2addr_b64 v[10:13], v18 offset0:96 offset1:112
	s_waitcnt lgkmcnt(0)
	v_fma_f64 v[10:11], v[10:11], v[26:27], v[14:15]
	v_fma_f64 v[14:15], v[12:13], v[28:29], v[10:11]
	ds_load_2addr_b64 v[10:13], v18 offset0:128 offset1:144
	ds_load_b128 v[22:25], v19 offset:64
	ds_load_b128 v[26:29], v19 offset:80
	s_waitcnt lgkmcnt(1)
	v_fma_f64 v[10:11], v[10:11], v[22:23], v[14:15]
	s_delay_alu instid0(VALU_DEP_1) | instskip(SKIP_3) | instid1(VALU_DEP_1)
	v_fma_f64 v[14:15], v[12:13], v[24:25], v[10:11]
	ds_load_2addr_b64 v[10:13], v18 offset0:160 offset1:176
	s_waitcnt lgkmcnt(0)
	v_fma_f64 v[10:11], v[10:11], v[26:27], v[14:15]
	v_fma_f64 v[14:15], v[12:13], v[28:29], v[10:11]
	ds_load_2addr_b64 v[10:13], v18 offset0:192 offset1:208
	ds_load_b128 v[22:25], v19 offset:96
	ds_load_b128 v[26:29], v19 offset:112
	s_waitcnt lgkmcnt(1)
	v_fma_f64 v[10:11], v[10:11], v[22:23], v[14:15]
	s_delay_alu instid0(VALU_DEP_1)
	v_fma_f64 v[14:15], v[12:13], v[24:25], v[10:11]
	ds_load_2addr_b64 v[10:13], v18 offset0:224 offset1:240
	s_waitcnt lgkmcnt(0)
	s_barrier
	buffer_gl0_inv
	v_fma_f64 v[10:11], v[10:11], v[26:27], v[14:15]
	s_delay_alu instid0(VALU_DEP_1)
	v_fma_f64 v[10:11], v[12:13], v[28:29], v[10:11]
	s_cbranch_vccnz .LBB1059_8
.LBB1059_3:                             ; =>This Inner Loop Header: Depth=1
	v_add_co_u32 v12, s11, v17, s8
	s_delay_alu instid0(VALU_DEP_1) | instskip(NEXT) | instid1(VALU_DEP_1)
	v_add_co_ci_u32_e64 v13, null, 0, s9, s11
	v_cmp_gt_i64_e32 vcc_lo, s[16:17], v[12:13]
	v_dual_mov_b32 v13, v5 :: v_dual_mov_b32 v12, v4
	s_and_b32 s12, s2, vcc_lo
	s_delay_alu instid0(SALU_CYCLE_1)
	s_and_saveexec_b32 s11, s12
	s_cbranch_execz .LBB1059_5
; %bb.4:                                ;   in Loop: Header=BB1059_3 Depth=1
	global_load_b64 v[12:13], v[8:9], off
.LBB1059_5:                             ;   in Loop: Header=BB1059_3 Depth=1
	s_or_b32 exec_lo, exec_lo, s11
	v_add_co_u32 v14, s11, v16, s8
	s_delay_alu instid0(VALU_DEP_1)
	v_add_co_ci_u32_e64 v15, null, 0, s9, s11
	s_waitcnt vmcnt(0)
	ds_store_b64 v20, v[12:13]
	v_cmp_gt_i64_e32 vcc_lo, s[16:17], v[14:15]
	v_mov_b32_e32 v14, 0
	v_mov_b32_e32 v15, 0
	s_and_b32 s12, s3, vcc_lo
	s_delay_alu instid0(SALU_CYCLE_1)
	s_and_saveexec_b32 s11, s12
	s_cbranch_execz .LBB1059_2
; %bb.6:                                ;   in Loop: Header=BB1059_3 Depth=1
	global_load_b64 v[14:15], v[6:7], off
	s_branch .LBB1059_2
.LBB1059_7:
	v_mov_b32_e32 v10, 0
	v_mov_b32_e32 v11, 0
.LBB1059_8:
	v_cmp_le_i32_e32 vcc_lo, v2, v0
	v_cmp_gt_i32_e64 s2, s10, v0
	s_delay_alu instid0(VALU_DEP_1) | instskip(NEXT) | instid1(SALU_CYCLE_1)
	s_and_b32 s2, vcc_lo, s2
	s_and_saveexec_b32 s3, s2
	s_cbranch_execz .LBB1059_10
; %bb.9:
	s_load_b256 s[0:7], s[0:1], 0x48
	v_lshlrev_b64 v[0:1], 3, v[0:1]
	s_waitcnt lgkmcnt(0)
	v_mul_lo_u32 v5, v2, s5
	v_mul_lo_u32 v6, v3, s4
	v_mad_u64_u32 v[3:4], null, v2, s4, 0
	s_mul_i32 s5, s15, s7
	s_mul_hi_u32 s7, s15, s6
	s_mul_i32 s4, s15, s6
	s_add_i32 s5, s7, s5
	s_delay_alu instid0(SALU_CYCLE_1) | instskip(NEXT) | instid1(VALU_DEP_1)
	s_lshl_b64 s[4:5], s[4:5], 3
	v_add3_u32 v4, v4, v5, v6
	s_add_u32 s2, s2, s4
	s_addc_u32 s3, s3, s5
	s_delay_alu instid0(VALU_DEP_1) | instskip(NEXT) | instid1(VALU_DEP_1)
	v_lshlrev_b64 v[2:3], 3, v[3:4]
	v_add_co_u32 v2, vcc_lo, s2, v2
	s_delay_alu instid0(VALU_DEP_2) | instskip(NEXT) | instid1(VALU_DEP_2)
	v_add_co_ci_u32_e32 v3, vcc_lo, s3, v3, vcc_lo
	v_add_co_u32 v0, vcc_lo, v2, v0
	s_delay_alu instid0(VALU_DEP_2) | instskip(SKIP_3) | instid1(VALU_DEP_1)
	v_add_co_ci_u32_e32 v1, vcc_lo, v3, v1, vcc_lo
	global_load_b64 v[2:3], v[0:1], off
	s_waitcnt vmcnt(0)
	v_mul_f64 v[2:3], v[2:3], s[0:1]
	v_fma_f64 v[2:3], v[10:11], s[18:19], v[2:3]
	global_store_b64 v[0:1], v[2:3], off
.LBB1059_10:
	s_nop 0
	s_sendmsg sendmsg(MSG_DEALLOC_VGPRS)
	s_endpgm
	.section	.rodata,"a",@progbits
	.p2align	6, 0x0
	.amdhsa_kernel _ZL32rocblas_syrkx_herkx_small_kernelIldLi16ELb0ELb0ELc78ELc76EKddEviT_T0_PT6_S1_lS4_S1_lS2_PT7_S1_li
		.amdhsa_group_segment_fixed_size 4096
		.amdhsa_private_segment_fixed_size 0
		.amdhsa_kernarg_size 108
		.amdhsa_user_sgpr_count 13
		.amdhsa_user_sgpr_dispatch_ptr 0
		.amdhsa_user_sgpr_queue_ptr 0
		.amdhsa_user_sgpr_kernarg_segment_ptr 1
		.amdhsa_user_sgpr_dispatch_id 0
		.amdhsa_user_sgpr_private_segment_size 0
		.amdhsa_wavefront_size32 1
		.amdhsa_uses_dynamic_stack 0
		.amdhsa_enable_private_segment 0
		.amdhsa_system_sgpr_workgroup_id_x 1
		.amdhsa_system_sgpr_workgroup_id_y 1
		.amdhsa_system_sgpr_workgroup_id_z 1
		.amdhsa_system_sgpr_workgroup_info 0
		.amdhsa_system_vgpr_workitem_id 1
		.amdhsa_next_free_vgpr 30
		.amdhsa_next_free_sgpr 32
		.amdhsa_reserve_vcc 1
		.amdhsa_float_round_mode_32 0
		.amdhsa_float_round_mode_16_64 0
		.amdhsa_float_denorm_mode_32 3
		.amdhsa_float_denorm_mode_16_64 3
		.amdhsa_dx10_clamp 1
		.amdhsa_ieee_mode 1
		.amdhsa_fp16_overflow 0
		.amdhsa_workgroup_processor_mode 1
		.amdhsa_memory_ordered 1
		.amdhsa_forward_progress 0
		.amdhsa_shared_vgpr_count 0
		.amdhsa_exception_fp_ieee_invalid_op 0
		.amdhsa_exception_fp_denorm_src 0
		.amdhsa_exception_fp_ieee_div_zero 0
		.amdhsa_exception_fp_ieee_overflow 0
		.amdhsa_exception_fp_ieee_underflow 0
		.amdhsa_exception_fp_ieee_inexact 0
		.amdhsa_exception_int_div_zero 0
	.end_amdhsa_kernel
	.section	.text._ZL32rocblas_syrkx_herkx_small_kernelIldLi16ELb0ELb0ELc78ELc76EKddEviT_T0_PT6_S1_lS4_S1_lS2_PT7_S1_li,"axG",@progbits,_ZL32rocblas_syrkx_herkx_small_kernelIldLi16ELb0ELb0ELc78ELc76EKddEviT_T0_PT6_S1_lS4_S1_lS2_PT7_S1_li,comdat
.Lfunc_end1059:
	.size	_ZL32rocblas_syrkx_herkx_small_kernelIldLi16ELb0ELb0ELc78ELc76EKddEviT_T0_PT6_S1_lS4_S1_lS2_PT7_S1_li, .Lfunc_end1059-_ZL32rocblas_syrkx_herkx_small_kernelIldLi16ELb0ELb0ELc78ELc76EKddEviT_T0_PT6_S1_lS4_S1_lS2_PT7_S1_li
                                        ; -- End function
	.section	.AMDGPU.csdata,"",@progbits
; Kernel info:
; codeLenInByte = 1116
; NumSgprs: 34
; NumVgprs: 30
; ScratchSize: 0
; MemoryBound: 0
; FloatMode: 240
; IeeeMode: 1
; LDSByteSize: 4096 bytes/workgroup (compile time only)
; SGPRBlocks: 4
; VGPRBlocks: 3
; NumSGPRsForWavesPerEU: 34
; NumVGPRsForWavesPerEU: 30
; Occupancy: 16
; WaveLimiterHint : 0
; COMPUTE_PGM_RSRC2:SCRATCH_EN: 0
; COMPUTE_PGM_RSRC2:USER_SGPR: 13
; COMPUTE_PGM_RSRC2:TRAP_HANDLER: 0
; COMPUTE_PGM_RSRC2:TGID_X_EN: 1
; COMPUTE_PGM_RSRC2:TGID_Y_EN: 1
; COMPUTE_PGM_RSRC2:TGID_Z_EN: 1
; COMPUTE_PGM_RSRC2:TIDIG_COMP_CNT: 1
	.section	.text._ZL32rocblas_syrkx_herkx_small_kernelIldLi16ELb0ELb0ELc84ELc85EKddEviT_T0_PT6_S1_lS4_S1_lS2_PT7_S1_li,"axG",@progbits,_ZL32rocblas_syrkx_herkx_small_kernelIldLi16ELb0ELb0ELc84ELc85EKddEviT_T0_PT6_S1_lS4_S1_lS2_PT7_S1_li,comdat
	.globl	_ZL32rocblas_syrkx_herkx_small_kernelIldLi16ELb0ELb0ELc84ELc85EKddEviT_T0_PT6_S1_lS4_S1_lS2_PT7_S1_li ; -- Begin function _ZL32rocblas_syrkx_herkx_small_kernelIldLi16ELb0ELb0ELc84ELc85EKddEviT_T0_PT6_S1_lS4_S1_lS2_PT7_S1_li
	.p2align	8
	.type	_ZL32rocblas_syrkx_herkx_small_kernelIldLi16ELb0ELb0ELc84ELc85EKddEviT_T0_PT6_S1_lS4_S1_lS2_PT7_S1_li,@function
_ZL32rocblas_syrkx_herkx_small_kernelIldLi16ELb0ELb0ELc84ELc85EKddEviT_T0_PT6_S1_lS4_S1_lS2_PT7_S1_li: ; @_ZL32rocblas_syrkx_herkx_small_kernelIldLi16ELb0ELb0ELc84ELc85EKddEviT_T0_PT6_S1_lS4_S1_lS2_PT7_S1_li
; %bb.0:
	s_clause 0x1
	s_load_b512 s[16:31], s[0:1], 0x8
	s_load_b32 s6, s[0:1], 0x0
	v_and_b32_e32 v16, 0x3ff, v0
	v_bfe_u32 v17, v0, 10, 10
	s_delay_alu instid0(VALU_DEP_2) | instskip(NEXT) | instid1(VALU_DEP_2)
	v_lshl_add_u32 v0, s13, 4, v16
	v_lshl_add_u32 v14, s14, 4, v17
	s_delay_alu instid0(VALU_DEP_2) | instskip(NEXT) | instid1(VALU_DEP_2)
	v_ashrrev_i32_e32 v1, 31, v0
	v_ashrrev_i32_e32 v15, 31, v14
	s_waitcnt lgkmcnt(0)
	v_cmp_lt_i64_e64 s3, s[16:17], 1
	v_cmp_gt_i32_e64 s2, s6, v14
	s_delay_alu instid0(VALU_DEP_2)
	s_and_b32 vcc_lo, exec_lo, s3
	s_cbranch_vccnz .LBB1060_7
; %bb.1:
	v_mul_lo_u32 v7, s29, v14
	v_mul_lo_u32 v8, s28, v15
	v_mad_u64_u32 v[2:3], null, s28, v14, 0
	v_mul_lo_u32 v9, s23, v0
	v_mul_lo_u32 v10, s22, v1
	v_mad_u64_u32 v[4:5], null, s22, v0, 0
	s_mul_i32 s4, s31, s15
	s_mul_hi_u32 s5, s30, s15
	s_delay_alu instid0(VALU_DEP_4) | instskip(SKIP_3) | instid1(VALU_DEP_2)
	v_add3_u32 v3, v3, v8, v7
	s_add_i32 s5, s5, s4
	s_mul_i32 s4, s30, s15
	s_mul_i32 s7, s25, s15
	v_add3_u32 v5, v5, v10, v9
	v_lshlrev_b64 v[2:3], 3, v[2:3]
	s_lshl_b64 s[4:5], s[4:5], 3
	s_mul_hi_u32 s8, s24, s15
	v_lshlrev_b32_e32 v18, 3, v16
	v_lshlrev_b64 v[4:5], 3, v[4:5]
	s_add_i32 s9, s8, s7
	s_mul_i32 s8, s24, s15
	v_add_co_u32 v2, vcc_lo, v2, s4
	v_add_co_ci_u32_e32 v3, vcc_lo, s5, v3, vcc_lo
	s_lshl_b64 s[4:5], s[8:9], 3
	v_lshlrev_b32_e32 v6, 7, v17
	v_add_co_u32 v4, vcc_lo, v4, s4
	v_add_co_ci_u32_e32 v5, vcc_lo, s5, v5, vcc_lo
	v_add_co_u32 v7, vcc_lo, v2, v18
	v_add_co_ci_u32_e32 v8, vcc_lo, 0, v3, vcc_lo
	v_mov_b32_e32 v2, 0
	v_mov_b32_e32 v3, 0
	v_add_nc_u32_e32 v19, 0x800, v6
	v_add_nc_u32_e32 v20, v18, v6
	v_lshlrev_b32_e32 v6, 3, v17
	v_cmp_gt_i32_e64 s3, s6, v0
	s_mov_b64 s[4:5], 0
	s_delay_alu instid0(VALU_DEP_2) | instskip(SKIP_3) | instid1(VALU_DEP_4)
	v_add_co_u32 v6, vcc_lo, v4, v6
	v_add_co_ci_u32_e32 v9, vcc_lo, 0, v5, vcc_lo
	v_add_co_u32 v4, vcc_lo, s26, v7
	v_add_co_ci_u32_e32 v5, vcc_lo, s27, v8, vcc_lo
	v_add_co_u32 v6, vcc_lo, s20, v6
	s_delay_alu instid0(VALU_DEP_4)
	v_add_co_ci_u32_e32 v7, vcc_lo, s21, v9, vcc_lo
	v_dual_mov_b32 v9, v3 :: v_dual_mov_b32 v8, v2
	v_add_nc_u32_e32 v21, v19, v18
	s_branch .LBB1060_3
.LBB1060_2:                             ;   in Loop: Header=BB1060_3 Depth=1
	s_or_b32 exec_lo, exec_lo, s7
	s_waitcnt vmcnt(0)
	ds_store_b64 v21, v[12:13]
	s_waitcnt lgkmcnt(0)
	s_barrier
	buffer_gl0_inv
	ds_load_2addr_b64 v[10:13], v18 offset1:16
	ds_load_b128 v[22:25], v19
	ds_load_b128 v[26:29], v19 offset:16
	s_add_u32 s4, s4, 16
	s_addc_u32 s5, s5, 0
	v_add_co_u32 v4, vcc_lo, 0x80, v4
	v_cmp_ge_i64_e64 s7, s[4:5], s[16:17]
	v_add_co_ci_u32_e32 v5, vcc_lo, 0, v5, vcc_lo
	v_add_co_u32 v6, vcc_lo, 0x80, v6
	v_add_co_ci_u32_e32 v7, vcc_lo, 0, v7, vcc_lo
	s_delay_alu instid0(VALU_DEP_4) | instskip(SKIP_2) | instid1(VALU_DEP_1)
	s_and_b32 vcc_lo, exec_lo, s7
	s_waitcnt lgkmcnt(1)
	v_fma_f64 v[8:9], v[10:11], v[22:23], v[8:9]
	v_fma_f64 v[12:13], v[12:13], v[24:25], v[8:9]
	ds_load_2addr_b64 v[8:11], v18 offset0:32 offset1:48
	s_waitcnt lgkmcnt(0)
	v_fma_f64 v[8:9], v[8:9], v[26:27], v[12:13]
	s_delay_alu instid0(VALU_DEP_1)
	v_fma_f64 v[12:13], v[10:11], v[28:29], v[8:9]
	ds_load_2addr_b64 v[8:11], v18 offset0:64 offset1:80
	ds_load_b128 v[22:25], v19 offset:32
	ds_load_b128 v[26:29], v19 offset:48
	s_waitcnt lgkmcnt(1)
	v_fma_f64 v[8:9], v[8:9], v[22:23], v[12:13]
	s_delay_alu instid0(VALU_DEP_1) | instskip(SKIP_3) | instid1(VALU_DEP_1)
	v_fma_f64 v[12:13], v[10:11], v[24:25], v[8:9]
	ds_load_2addr_b64 v[8:11], v18 offset0:96 offset1:112
	s_waitcnt lgkmcnt(0)
	v_fma_f64 v[8:9], v[8:9], v[26:27], v[12:13]
	v_fma_f64 v[12:13], v[10:11], v[28:29], v[8:9]
	ds_load_2addr_b64 v[8:11], v18 offset0:128 offset1:144
	ds_load_b128 v[22:25], v19 offset:64
	ds_load_b128 v[26:29], v19 offset:80
	s_waitcnt lgkmcnt(1)
	v_fma_f64 v[8:9], v[8:9], v[22:23], v[12:13]
	s_delay_alu instid0(VALU_DEP_1) | instskip(SKIP_3) | instid1(VALU_DEP_1)
	v_fma_f64 v[12:13], v[10:11], v[24:25], v[8:9]
	ds_load_2addr_b64 v[8:11], v18 offset0:160 offset1:176
	s_waitcnt lgkmcnt(0)
	v_fma_f64 v[8:9], v[8:9], v[26:27], v[12:13]
	v_fma_f64 v[12:13], v[10:11], v[28:29], v[8:9]
	ds_load_2addr_b64 v[8:11], v18 offset0:192 offset1:208
	ds_load_b128 v[22:25], v19 offset:96
	ds_load_b128 v[26:29], v19 offset:112
	s_waitcnt lgkmcnt(1)
	v_fma_f64 v[8:9], v[8:9], v[22:23], v[12:13]
	s_delay_alu instid0(VALU_DEP_1)
	v_fma_f64 v[12:13], v[10:11], v[24:25], v[8:9]
	ds_load_2addr_b64 v[8:11], v18 offset0:224 offset1:240
	s_waitcnt lgkmcnt(0)
	s_barrier
	buffer_gl0_inv
	v_fma_f64 v[8:9], v[8:9], v[26:27], v[12:13]
	s_delay_alu instid0(VALU_DEP_1)
	v_fma_f64 v[8:9], v[10:11], v[28:29], v[8:9]
	s_cbranch_vccnz .LBB1060_8
.LBB1060_3:                             ; =>This Inner Loop Header: Depth=1
	v_add_co_u32 v10, s7, v17, s4
	s_delay_alu instid0(VALU_DEP_1) | instskip(NEXT) | instid1(VALU_DEP_1)
	v_add_co_ci_u32_e64 v11, null, 0, s5, s7
	v_cmp_gt_i64_e32 vcc_lo, s[16:17], v[10:11]
	v_dual_mov_b32 v11, v3 :: v_dual_mov_b32 v10, v2
	s_and_b32 s8, s3, vcc_lo
	s_delay_alu instid0(SALU_CYCLE_1)
	s_and_saveexec_b32 s7, s8
	s_cbranch_execz .LBB1060_5
; %bb.4:                                ;   in Loop: Header=BB1060_3 Depth=1
	global_load_b64 v[10:11], v[6:7], off
.LBB1060_5:                             ;   in Loop: Header=BB1060_3 Depth=1
	s_or_b32 exec_lo, exec_lo, s7
	v_add_co_u32 v12, s7, v16, s4
	s_delay_alu instid0(VALU_DEP_1)
	v_add_co_ci_u32_e64 v13, null, 0, s5, s7
	s_waitcnt vmcnt(0)
	ds_store_b64 v20, v[10:11]
	v_cmp_gt_i64_e32 vcc_lo, s[16:17], v[12:13]
	v_mov_b32_e32 v12, 0
	v_mov_b32_e32 v13, 0
	s_and_b32 s8, s2, vcc_lo
	s_delay_alu instid0(SALU_CYCLE_1)
	s_and_saveexec_b32 s7, s8
	s_cbranch_execz .LBB1060_2
; %bb.6:                                ;   in Loop: Header=BB1060_3 Depth=1
	global_load_b64 v[12:13], v[4:5], off
	s_branch .LBB1060_2
.LBB1060_7:
	v_mov_b32_e32 v8, 0
	v_mov_b32_e32 v9, 0
.LBB1060_8:
	v_cmp_le_i32_e32 vcc_lo, v0, v14
	v_cmp_gt_i32_e64 s2, s6, v14
	s_delay_alu instid0(VALU_DEP_1) | instskip(NEXT) | instid1(SALU_CYCLE_1)
	s_and_b32 s2, vcc_lo, s2
	s_and_saveexec_b32 s3, s2
	s_cbranch_execz .LBB1060_10
; %bb.9:
	s_load_b256 s[0:7], s[0:1], 0x48
	v_lshlrev_b64 v[0:1], 3, v[0:1]
	s_waitcnt lgkmcnt(0)
	v_mul_lo_u32 v4, v14, s5
	v_mul_lo_u32 v5, v15, s4
	v_mad_u64_u32 v[2:3], null, v14, s4, 0
	s_mul_i32 s5, s15, s7
	s_mul_hi_u32 s7, s15, s6
	s_mul_i32 s4, s15, s6
	s_add_i32 s5, s7, s5
	s_delay_alu instid0(SALU_CYCLE_1) | instskip(NEXT) | instid1(VALU_DEP_1)
	s_lshl_b64 s[4:5], s[4:5], 3
	v_add3_u32 v3, v3, v4, v5
	s_add_u32 s2, s2, s4
	s_addc_u32 s3, s3, s5
	s_delay_alu instid0(VALU_DEP_1) | instskip(NEXT) | instid1(VALU_DEP_1)
	v_lshlrev_b64 v[2:3], 3, v[2:3]
	v_add_co_u32 v2, vcc_lo, s2, v2
	s_delay_alu instid0(VALU_DEP_2) | instskip(NEXT) | instid1(VALU_DEP_2)
	v_add_co_ci_u32_e32 v3, vcc_lo, s3, v3, vcc_lo
	v_add_co_u32 v0, vcc_lo, v2, v0
	s_delay_alu instid0(VALU_DEP_2) | instskip(SKIP_3) | instid1(VALU_DEP_1)
	v_add_co_ci_u32_e32 v1, vcc_lo, v3, v1, vcc_lo
	global_load_b64 v[2:3], v[0:1], off
	s_waitcnt vmcnt(0)
	v_mul_f64 v[2:3], v[2:3], s[0:1]
	v_fma_f64 v[2:3], v[8:9], s[18:19], v[2:3]
	global_store_b64 v[0:1], v[2:3], off
.LBB1060_10:
	s_nop 0
	s_sendmsg sendmsg(MSG_DEALLOC_VGPRS)
	s_endpgm
	.section	.rodata,"a",@progbits
	.p2align	6, 0x0
	.amdhsa_kernel _ZL32rocblas_syrkx_herkx_small_kernelIldLi16ELb0ELb0ELc84ELc85EKddEviT_T0_PT6_S1_lS4_S1_lS2_PT7_S1_li
		.amdhsa_group_segment_fixed_size 4096
		.amdhsa_private_segment_fixed_size 0
		.amdhsa_kernarg_size 108
		.amdhsa_user_sgpr_count 13
		.amdhsa_user_sgpr_dispatch_ptr 0
		.amdhsa_user_sgpr_queue_ptr 0
		.amdhsa_user_sgpr_kernarg_segment_ptr 1
		.amdhsa_user_sgpr_dispatch_id 0
		.amdhsa_user_sgpr_private_segment_size 0
		.amdhsa_wavefront_size32 1
		.amdhsa_uses_dynamic_stack 0
		.amdhsa_enable_private_segment 0
		.amdhsa_system_sgpr_workgroup_id_x 1
		.amdhsa_system_sgpr_workgroup_id_y 1
		.amdhsa_system_sgpr_workgroup_id_z 1
		.amdhsa_system_sgpr_workgroup_info 0
		.amdhsa_system_vgpr_workitem_id 1
		.amdhsa_next_free_vgpr 30
		.amdhsa_next_free_sgpr 32
		.amdhsa_reserve_vcc 1
		.amdhsa_float_round_mode_32 0
		.amdhsa_float_round_mode_16_64 0
		.amdhsa_float_denorm_mode_32 3
		.amdhsa_float_denorm_mode_16_64 3
		.amdhsa_dx10_clamp 1
		.amdhsa_ieee_mode 1
		.amdhsa_fp16_overflow 0
		.amdhsa_workgroup_processor_mode 1
		.amdhsa_memory_ordered 1
		.amdhsa_forward_progress 0
		.amdhsa_shared_vgpr_count 0
		.amdhsa_exception_fp_ieee_invalid_op 0
		.amdhsa_exception_fp_denorm_src 0
		.amdhsa_exception_fp_ieee_div_zero 0
		.amdhsa_exception_fp_ieee_overflow 0
		.amdhsa_exception_fp_ieee_underflow 0
		.amdhsa_exception_fp_ieee_inexact 0
		.amdhsa_exception_int_div_zero 0
	.end_amdhsa_kernel
	.section	.text._ZL32rocblas_syrkx_herkx_small_kernelIldLi16ELb0ELb0ELc84ELc85EKddEviT_T0_PT6_S1_lS4_S1_lS2_PT7_S1_li,"axG",@progbits,_ZL32rocblas_syrkx_herkx_small_kernelIldLi16ELb0ELb0ELc84ELc85EKddEviT_T0_PT6_S1_lS4_S1_lS2_PT7_S1_li,comdat
.Lfunc_end1060:
	.size	_ZL32rocblas_syrkx_herkx_small_kernelIldLi16ELb0ELb0ELc84ELc85EKddEviT_T0_PT6_S1_lS4_S1_lS2_PT7_S1_li, .Lfunc_end1060-_ZL32rocblas_syrkx_herkx_small_kernelIldLi16ELb0ELb0ELc84ELc85EKddEviT_T0_PT6_S1_lS4_S1_lS2_PT7_S1_li
                                        ; -- End function
	.section	.AMDGPU.csdata,"",@progbits
; Kernel info:
; codeLenInByte = 1120
; NumSgprs: 34
; NumVgprs: 30
; ScratchSize: 0
; MemoryBound: 0
; FloatMode: 240
; IeeeMode: 1
; LDSByteSize: 4096 bytes/workgroup (compile time only)
; SGPRBlocks: 4
; VGPRBlocks: 3
; NumSGPRsForWavesPerEU: 34
; NumVGPRsForWavesPerEU: 30
; Occupancy: 16
; WaveLimiterHint : 0
; COMPUTE_PGM_RSRC2:SCRATCH_EN: 0
; COMPUTE_PGM_RSRC2:USER_SGPR: 13
; COMPUTE_PGM_RSRC2:TRAP_HANDLER: 0
; COMPUTE_PGM_RSRC2:TGID_X_EN: 1
; COMPUTE_PGM_RSRC2:TGID_Y_EN: 1
; COMPUTE_PGM_RSRC2:TGID_Z_EN: 1
; COMPUTE_PGM_RSRC2:TIDIG_COMP_CNT: 1
	.section	.text._ZL32rocblas_syrkx_herkx_small_kernelIldLi16ELb0ELb0ELc67ELc85EKddEviT_T0_PT6_S1_lS4_S1_lS2_PT7_S1_li,"axG",@progbits,_ZL32rocblas_syrkx_herkx_small_kernelIldLi16ELb0ELb0ELc67ELc85EKddEviT_T0_PT6_S1_lS4_S1_lS2_PT7_S1_li,comdat
	.globl	_ZL32rocblas_syrkx_herkx_small_kernelIldLi16ELb0ELb0ELc67ELc85EKddEviT_T0_PT6_S1_lS4_S1_lS2_PT7_S1_li ; -- Begin function _ZL32rocblas_syrkx_herkx_small_kernelIldLi16ELb0ELb0ELc67ELc85EKddEviT_T0_PT6_S1_lS4_S1_lS2_PT7_S1_li
	.p2align	8
	.type	_ZL32rocblas_syrkx_herkx_small_kernelIldLi16ELb0ELb0ELc67ELc85EKddEviT_T0_PT6_S1_lS4_S1_lS2_PT7_S1_li,@function
_ZL32rocblas_syrkx_herkx_small_kernelIldLi16ELb0ELb0ELc67ELc85EKddEviT_T0_PT6_S1_lS4_S1_lS2_PT7_S1_li: ; @_ZL32rocblas_syrkx_herkx_small_kernelIldLi16ELb0ELb0ELc67ELc85EKddEviT_T0_PT6_S1_lS4_S1_lS2_PT7_S1_li
; %bb.0:
	s_clause 0x1
	s_load_b512 s[16:31], s[0:1], 0x8
	s_load_b32 s6, s[0:1], 0x0
	v_and_b32_e32 v16, 0x3ff, v0
	v_bfe_u32 v17, v0, 10, 10
	s_delay_alu instid0(VALU_DEP_2) | instskip(NEXT) | instid1(VALU_DEP_2)
	v_lshl_add_u32 v0, s13, 4, v16
	v_lshl_add_u32 v14, s14, 4, v17
	s_delay_alu instid0(VALU_DEP_2) | instskip(NEXT) | instid1(VALU_DEP_2)
	v_ashrrev_i32_e32 v1, 31, v0
	v_ashrrev_i32_e32 v15, 31, v14
	s_waitcnt lgkmcnt(0)
	v_cmp_lt_i64_e64 s3, s[16:17], 1
	v_cmp_gt_i32_e64 s2, s6, v14
	s_delay_alu instid0(VALU_DEP_2)
	s_and_b32 vcc_lo, exec_lo, s3
	s_cbranch_vccnz .LBB1061_7
; %bb.1:
	v_mul_lo_u32 v7, s29, v14
	v_mul_lo_u32 v8, s28, v15
	v_mad_u64_u32 v[2:3], null, s28, v14, 0
	v_mul_lo_u32 v9, s23, v0
	v_mul_lo_u32 v10, s22, v1
	v_mad_u64_u32 v[4:5], null, s22, v0, 0
	s_mul_i32 s4, s31, s15
	s_mul_hi_u32 s5, s30, s15
	s_delay_alu instid0(VALU_DEP_4) | instskip(SKIP_3) | instid1(VALU_DEP_2)
	v_add3_u32 v3, v3, v8, v7
	s_add_i32 s5, s5, s4
	s_mul_i32 s4, s30, s15
	s_mul_i32 s7, s25, s15
	v_add3_u32 v5, v5, v10, v9
	v_lshlrev_b64 v[2:3], 3, v[2:3]
	s_lshl_b64 s[4:5], s[4:5], 3
	s_mul_hi_u32 s8, s24, s15
	v_lshlrev_b32_e32 v18, 3, v16
	v_lshlrev_b64 v[4:5], 3, v[4:5]
	s_add_i32 s9, s8, s7
	s_mul_i32 s8, s24, s15
	v_add_co_u32 v2, vcc_lo, v2, s4
	v_add_co_ci_u32_e32 v3, vcc_lo, s5, v3, vcc_lo
	s_lshl_b64 s[4:5], s[8:9], 3
	v_lshlrev_b32_e32 v6, 7, v17
	v_add_co_u32 v4, vcc_lo, v4, s4
	v_add_co_ci_u32_e32 v5, vcc_lo, s5, v5, vcc_lo
	v_add_co_u32 v7, vcc_lo, v2, v18
	v_add_co_ci_u32_e32 v8, vcc_lo, 0, v3, vcc_lo
	v_mov_b32_e32 v2, 0
	v_mov_b32_e32 v3, 0
	v_add_nc_u32_e32 v19, 0x800, v6
	v_add_nc_u32_e32 v20, v18, v6
	v_lshlrev_b32_e32 v6, 3, v17
	v_cmp_gt_i32_e64 s3, s6, v0
	s_mov_b64 s[4:5], 0
	s_delay_alu instid0(VALU_DEP_2) | instskip(SKIP_3) | instid1(VALU_DEP_4)
	v_add_co_u32 v6, vcc_lo, v4, v6
	v_add_co_ci_u32_e32 v9, vcc_lo, 0, v5, vcc_lo
	v_add_co_u32 v4, vcc_lo, s26, v7
	v_add_co_ci_u32_e32 v5, vcc_lo, s27, v8, vcc_lo
	v_add_co_u32 v6, vcc_lo, s20, v6
	s_delay_alu instid0(VALU_DEP_4)
	v_add_co_ci_u32_e32 v7, vcc_lo, s21, v9, vcc_lo
	v_dual_mov_b32 v9, v3 :: v_dual_mov_b32 v8, v2
	v_add_nc_u32_e32 v21, v19, v18
	s_branch .LBB1061_3
.LBB1061_2:                             ;   in Loop: Header=BB1061_3 Depth=1
	s_or_b32 exec_lo, exec_lo, s7
	s_waitcnt vmcnt(0)
	ds_store_b64 v21, v[12:13]
	s_waitcnt lgkmcnt(0)
	s_barrier
	buffer_gl0_inv
	ds_load_2addr_b64 v[10:13], v18 offset1:16
	ds_load_b128 v[22:25], v19
	ds_load_b128 v[26:29], v19 offset:16
	s_add_u32 s4, s4, 16
	s_addc_u32 s5, s5, 0
	v_add_co_u32 v4, vcc_lo, 0x80, v4
	v_cmp_ge_i64_e64 s7, s[4:5], s[16:17]
	v_add_co_ci_u32_e32 v5, vcc_lo, 0, v5, vcc_lo
	v_add_co_u32 v6, vcc_lo, 0x80, v6
	v_add_co_ci_u32_e32 v7, vcc_lo, 0, v7, vcc_lo
	s_delay_alu instid0(VALU_DEP_4) | instskip(SKIP_2) | instid1(VALU_DEP_1)
	s_and_b32 vcc_lo, exec_lo, s7
	s_waitcnt lgkmcnt(1)
	v_fma_f64 v[8:9], v[10:11], v[22:23], v[8:9]
	v_fma_f64 v[12:13], v[12:13], v[24:25], v[8:9]
	ds_load_2addr_b64 v[8:11], v18 offset0:32 offset1:48
	s_waitcnt lgkmcnt(0)
	v_fma_f64 v[8:9], v[8:9], v[26:27], v[12:13]
	s_delay_alu instid0(VALU_DEP_1)
	v_fma_f64 v[12:13], v[10:11], v[28:29], v[8:9]
	ds_load_2addr_b64 v[8:11], v18 offset0:64 offset1:80
	ds_load_b128 v[22:25], v19 offset:32
	ds_load_b128 v[26:29], v19 offset:48
	s_waitcnt lgkmcnt(1)
	v_fma_f64 v[8:9], v[8:9], v[22:23], v[12:13]
	s_delay_alu instid0(VALU_DEP_1) | instskip(SKIP_3) | instid1(VALU_DEP_1)
	v_fma_f64 v[12:13], v[10:11], v[24:25], v[8:9]
	ds_load_2addr_b64 v[8:11], v18 offset0:96 offset1:112
	s_waitcnt lgkmcnt(0)
	v_fma_f64 v[8:9], v[8:9], v[26:27], v[12:13]
	v_fma_f64 v[12:13], v[10:11], v[28:29], v[8:9]
	ds_load_2addr_b64 v[8:11], v18 offset0:128 offset1:144
	ds_load_b128 v[22:25], v19 offset:64
	ds_load_b128 v[26:29], v19 offset:80
	s_waitcnt lgkmcnt(1)
	v_fma_f64 v[8:9], v[8:9], v[22:23], v[12:13]
	s_delay_alu instid0(VALU_DEP_1) | instskip(SKIP_3) | instid1(VALU_DEP_1)
	v_fma_f64 v[12:13], v[10:11], v[24:25], v[8:9]
	ds_load_2addr_b64 v[8:11], v18 offset0:160 offset1:176
	s_waitcnt lgkmcnt(0)
	v_fma_f64 v[8:9], v[8:9], v[26:27], v[12:13]
	v_fma_f64 v[12:13], v[10:11], v[28:29], v[8:9]
	ds_load_2addr_b64 v[8:11], v18 offset0:192 offset1:208
	ds_load_b128 v[22:25], v19 offset:96
	ds_load_b128 v[26:29], v19 offset:112
	s_waitcnt lgkmcnt(1)
	v_fma_f64 v[8:9], v[8:9], v[22:23], v[12:13]
	s_delay_alu instid0(VALU_DEP_1)
	v_fma_f64 v[12:13], v[10:11], v[24:25], v[8:9]
	ds_load_2addr_b64 v[8:11], v18 offset0:224 offset1:240
	s_waitcnt lgkmcnt(0)
	s_barrier
	buffer_gl0_inv
	v_fma_f64 v[8:9], v[8:9], v[26:27], v[12:13]
	s_delay_alu instid0(VALU_DEP_1)
	v_fma_f64 v[8:9], v[10:11], v[28:29], v[8:9]
	s_cbranch_vccnz .LBB1061_8
.LBB1061_3:                             ; =>This Inner Loop Header: Depth=1
	v_add_co_u32 v10, s7, v17, s4
	s_delay_alu instid0(VALU_DEP_1) | instskip(NEXT) | instid1(VALU_DEP_1)
	v_add_co_ci_u32_e64 v11, null, 0, s5, s7
	v_cmp_gt_i64_e32 vcc_lo, s[16:17], v[10:11]
	v_dual_mov_b32 v11, v3 :: v_dual_mov_b32 v10, v2
	s_and_b32 s8, s3, vcc_lo
	s_delay_alu instid0(SALU_CYCLE_1)
	s_and_saveexec_b32 s7, s8
	s_cbranch_execz .LBB1061_5
; %bb.4:                                ;   in Loop: Header=BB1061_3 Depth=1
	global_load_b64 v[10:11], v[6:7], off
.LBB1061_5:                             ;   in Loop: Header=BB1061_3 Depth=1
	s_or_b32 exec_lo, exec_lo, s7
	v_add_co_u32 v12, s7, v16, s4
	s_delay_alu instid0(VALU_DEP_1)
	v_add_co_ci_u32_e64 v13, null, 0, s5, s7
	s_waitcnt vmcnt(0)
	ds_store_b64 v20, v[10:11]
	v_cmp_gt_i64_e32 vcc_lo, s[16:17], v[12:13]
	v_mov_b32_e32 v12, 0
	v_mov_b32_e32 v13, 0
	s_and_b32 s8, s2, vcc_lo
	s_delay_alu instid0(SALU_CYCLE_1)
	s_and_saveexec_b32 s7, s8
	s_cbranch_execz .LBB1061_2
; %bb.6:                                ;   in Loop: Header=BB1061_3 Depth=1
	global_load_b64 v[12:13], v[4:5], off
	s_branch .LBB1061_2
.LBB1061_7:
	v_mov_b32_e32 v8, 0
	v_mov_b32_e32 v9, 0
.LBB1061_8:
	v_cmp_le_i32_e32 vcc_lo, v0, v14
	v_cmp_gt_i32_e64 s2, s6, v14
	s_delay_alu instid0(VALU_DEP_1) | instskip(NEXT) | instid1(SALU_CYCLE_1)
	s_and_b32 s2, vcc_lo, s2
	s_and_saveexec_b32 s3, s2
	s_cbranch_execz .LBB1061_10
; %bb.9:
	s_load_b256 s[0:7], s[0:1], 0x48
	v_lshlrev_b64 v[0:1], 3, v[0:1]
	s_waitcnt lgkmcnt(0)
	v_mul_lo_u32 v4, v14, s5
	v_mul_lo_u32 v5, v15, s4
	v_mad_u64_u32 v[2:3], null, v14, s4, 0
	s_mul_i32 s5, s15, s7
	s_mul_hi_u32 s7, s15, s6
	s_mul_i32 s4, s15, s6
	s_add_i32 s5, s7, s5
	s_delay_alu instid0(SALU_CYCLE_1) | instskip(NEXT) | instid1(VALU_DEP_1)
	s_lshl_b64 s[4:5], s[4:5], 3
	v_add3_u32 v3, v3, v4, v5
	s_add_u32 s2, s2, s4
	s_addc_u32 s3, s3, s5
	s_delay_alu instid0(VALU_DEP_1) | instskip(NEXT) | instid1(VALU_DEP_1)
	v_lshlrev_b64 v[2:3], 3, v[2:3]
	v_add_co_u32 v2, vcc_lo, s2, v2
	s_delay_alu instid0(VALU_DEP_2) | instskip(NEXT) | instid1(VALU_DEP_2)
	v_add_co_ci_u32_e32 v3, vcc_lo, s3, v3, vcc_lo
	v_add_co_u32 v0, vcc_lo, v2, v0
	s_delay_alu instid0(VALU_DEP_2) | instskip(SKIP_3) | instid1(VALU_DEP_1)
	v_add_co_ci_u32_e32 v1, vcc_lo, v3, v1, vcc_lo
	global_load_b64 v[2:3], v[0:1], off
	s_waitcnt vmcnt(0)
	v_mul_f64 v[2:3], v[2:3], s[0:1]
	v_fma_f64 v[2:3], v[8:9], s[18:19], v[2:3]
	global_store_b64 v[0:1], v[2:3], off
.LBB1061_10:
	s_nop 0
	s_sendmsg sendmsg(MSG_DEALLOC_VGPRS)
	s_endpgm
	.section	.rodata,"a",@progbits
	.p2align	6, 0x0
	.amdhsa_kernel _ZL32rocblas_syrkx_herkx_small_kernelIldLi16ELb0ELb0ELc67ELc85EKddEviT_T0_PT6_S1_lS4_S1_lS2_PT7_S1_li
		.amdhsa_group_segment_fixed_size 4096
		.amdhsa_private_segment_fixed_size 0
		.amdhsa_kernarg_size 108
		.amdhsa_user_sgpr_count 13
		.amdhsa_user_sgpr_dispatch_ptr 0
		.amdhsa_user_sgpr_queue_ptr 0
		.amdhsa_user_sgpr_kernarg_segment_ptr 1
		.amdhsa_user_sgpr_dispatch_id 0
		.amdhsa_user_sgpr_private_segment_size 0
		.amdhsa_wavefront_size32 1
		.amdhsa_uses_dynamic_stack 0
		.amdhsa_enable_private_segment 0
		.amdhsa_system_sgpr_workgroup_id_x 1
		.amdhsa_system_sgpr_workgroup_id_y 1
		.amdhsa_system_sgpr_workgroup_id_z 1
		.amdhsa_system_sgpr_workgroup_info 0
		.amdhsa_system_vgpr_workitem_id 1
		.amdhsa_next_free_vgpr 30
		.amdhsa_next_free_sgpr 32
		.amdhsa_reserve_vcc 1
		.amdhsa_float_round_mode_32 0
		.amdhsa_float_round_mode_16_64 0
		.amdhsa_float_denorm_mode_32 3
		.amdhsa_float_denorm_mode_16_64 3
		.amdhsa_dx10_clamp 1
		.amdhsa_ieee_mode 1
		.amdhsa_fp16_overflow 0
		.amdhsa_workgroup_processor_mode 1
		.amdhsa_memory_ordered 1
		.amdhsa_forward_progress 0
		.amdhsa_shared_vgpr_count 0
		.amdhsa_exception_fp_ieee_invalid_op 0
		.amdhsa_exception_fp_denorm_src 0
		.amdhsa_exception_fp_ieee_div_zero 0
		.amdhsa_exception_fp_ieee_overflow 0
		.amdhsa_exception_fp_ieee_underflow 0
		.amdhsa_exception_fp_ieee_inexact 0
		.amdhsa_exception_int_div_zero 0
	.end_amdhsa_kernel
	.section	.text._ZL32rocblas_syrkx_herkx_small_kernelIldLi16ELb0ELb0ELc67ELc85EKddEviT_T0_PT6_S1_lS4_S1_lS2_PT7_S1_li,"axG",@progbits,_ZL32rocblas_syrkx_herkx_small_kernelIldLi16ELb0ELb0ELc67ELc85EKddEviT_T0_PT6_S1_lS4_S1_lS2_PT7_S1_li,comdat
.Lfunc_end1061:
	.size	_ZL32rocblas_syrkx_herkx_small_kernelIldLi16ELb0ELb0ELc67ELc85EKddEviT_T0_PT6_S1_lS4_S1_lS2_PT7_S1_li, .Lfunc_end1061-_ZL32rocblas_syrkx_herkx_small_kernelIldLi16ELb0ELb0ELc67ELc85EKddEviT_T0_PT6_S1_lS4_S1_lS2_PT7_S1_li
                                        ; -- End function
	.section	.AMDGPU.csdata,"",@progbits
; Kernel info:
; codeLenInByte = 1120
; NumSgprs: 34
; NumVgprs: 30
; ScratchSize: 0
; MemoryBound: 0
; FloatMode: 240
; IeeeMode: 1
; LDSByteSize: 4096 bytes/workgroup (compile time only)
; SGPRBlocks: 4
; VGPRBlocks: 3
; NumSGPRsForWavesPerEU: 34
; NumVGPRsForWavesPerEU: 30
; Occupancy: 16
; WaveLimiterHint : 0
; COMPUTE_PGM_RSRC2:SCRATCH_EN: 0
; COMPUTE_PGM_RSRC2:USER_SGPR: 13
; COMPUTE_PGM_RSRC2:TRAP_HANDLER: 0
; COMPUTE_PGM_RSRC2:TGID_X_EN: 1
; COMPUTE_PGM_RSRC2:TGID_Y_EN: 1
; COMPUTE_PGM_RSRC2:TGID_Z_EN: 1
; COMPUTE_PGM_RSRC2:TIDIG_COMP_CNT: 1
	.section	.text._ZL32rocblas_syrkx_herkx_small_kernelIldLi16ELb0ELb0ELc78ELc85EKddEviT_T0_PT6_S1_lS4_S1_lS2_PT7_S1_li,"axG",@progbits,_ZL32rocblas_syrkx_herkx_small_kernelIldLi16ELb0ELb0ELc78ELc85EKddEviT_T0_PT6_S1_lS4_S1_lS2_PT7_S1_li,comdat
	.globl	_ZL32rocblas_syrkx_herkx_small_kernelIldLi16ELb0ELb0ELc78ELc85EKddEviT_T0_PT6_S1_lS4_S1_lS2_PT7_S1_li ; -- Begin function _ZL32rocblas_syrkx_herkx_small_kernelIldLi16ELb0ELb0ELc78ELc85EKddEviT_T0_PT6_S1_lS4_S1_lS2_PT7_S1_li
	.p2align	8
	.type	_ZL32rocblas_syrkx_herkx_small_kernelIldLi16ELb0ELb0ELc78ELc85EKddEviT_T0_PT6_S1_lS4_S1_lS2_PT7_S1_li,@function
_ZL32rocblas_syrkx_herkx_small_kernelIldLi16ELb0ELb0ELc78ELc85EKddEviT_T0_PT6_S1_lS4_S1_lS2_PT7_S1_li: ; @_ZL32rocblas_syrkx_herkx_small_kernelIldLi16ELb0ELb0ELc78ELc85EKddEviT_T0_PT6_S1_lS4_S1_lS2_PT7_S1_li
; %bb.0:
	s_clause 0x1
	s_load_b512 s[16:31], s[0:1], 0x8
	s_load_b32 s10, s[0:1], 0x0
	v_and_b32_e32 v16, 0x3ff, v0
	v_bfe_u32 v17, v0, 10, 10
	s_delay_alu instid0(VALU_DEP_2) | instskip(NEXT) | instid1(VALU_DEP_2)
	v_lshl_add_u32 v0, s13, 4, v16
	v_lshl_add_u32 v2, s14, 4, v17
	s_delay_alu instid0(VALU_DEP_2) | instskip(NEXT) | instid1(VALU_DEP_2)
	v_ashrrev_i32_e32 v1, 31, v0
	v_ashrrev_i32_e32 v3, 31, v2
	s_waitcnt lgkmcnt(0)
	v_cmp_lt_i64_e64 s3, s[16:17], 1
	v_cmp_gt_i32_e64 s2, s10, v2
	s_delay_alu instid0(VALU_DEP_2)
	s_and_b32 vcc_lo, exec_lo, s3
	s_cbranch_vccnz .LBB1062_7
; %bb.1:
	v_mad_u64_u32 v[4:5], null, s28, v16, 0
	v_mad_u64_u32 v[6:7], null, s22, v17, 0
	v_lshlrev_b32_e32 v11, 7, v17
	s_mul_i32 s5, s31, s15
	s_mul_hi_u32 s7, s30, s15
	s_mul_i32 s4, s30, s15
	s_add_i32 s5, s7, s5
	s_mul_i32 s8, s25, s15
	s_delay_alu instid0(VALU_DEP_2)
	v_mad_u64_u32 v[8:9], null, s29, v16, v[5:6]
	v_lshlrev_b32_e32 v18, 3, v16
	s_mul_hi_u32 s9, s24, s15
	s_lshl_b64 s[4:5], s[4:5], 3
	s_mul_i32 s6, s24, s15
	s_add_i32 s7, s9, s8
	v_add_nc_u32_e32 v19, 0x800, v11
	s_delay_alu instid0(VALU_DEP_3) | instskip(SKIP_4) | instid1(VALU_DEP_3)
	v_mad_u64_u32 v[9:10], null, s23, v17, v[7:8]
	v_mov_b32_e32 v5, v8
	v_cmp_gt_i32_e64 s3, s10, v0
	s_mov_b64 s[8:9], 0
	v_add_nc_u32_e32 v20, v18, v11
	v_lshlrev_b64 v[4:5], 3, v[4:5]
	v_mov_b32_e32 v7, v9
	s_delay_alu instid0(VALU_DEP_2) | instskip(NEXT) | instid1(VALU_DEP_2)
	v_add_co_u32 v8, vcc_lo, s4, v4
	v_lshlrev_b64 v[6:7], 3, v[6:7]
	s_delay_alu instid0(VALU_DEP_4) | instskip(SKIP_3) | instid1(VALU_DEP_3)
	v_add_co_ci_u32_e32 v9, vcc_lo, s5, v5, vcc_lo
	s_lshl_b64 s[4:5], s[6:7], 3
	v_lshlrev_b64 v[4:5], 3, v[2:3]
	s_lshl_b64 s[6:7], s[22:23], 7
	v_add_co_u32 v10, vcc_lo, s4, v6
	v_add_co_ci_u32_e32 v11, vcc_lo, s5, v7, vcc_lo
	v_lshlrev_b64 v[6:7], 3, v[0:1]
	s_delay_alu instid0(VALU_DEP_4) | instskip(SKIP_2) | instid1(VALU_DEP_4)
	v_add_co_u32 v8, vcc_lo, v8, v4
	v_add_co_ci_u32_e32 v9, vcc_lo, v9, v5, vcc_lo
	v_mov_b32_e32 v4, 0
	v_add_co_u32 v10, vcc_lo, v10, v6
	v_add_co_ci_u32_e32 v11, vcc_lo, v11, v7, vcc_lo
	v_mov_b32_e32 v5, 0
	v_add_co_u32 v6, vcc_lo, s26, v8
	v_add_co_ci_u32_e32 v7, vcc_lo, s27, v9, vcc_lo
	v_add_co_u32 v8, vcc_lo, s20, v10
	v_add_co_ci_u32_e32 v9, vcc_lo, s21, v11, vcc_lo
	v_dual_mov_b32 v11, v5 :: v_dual_mov_b32 v10, v4
	v_add_nc_u32_e32 v21, v19, v18
	s_lshl_b64 s[4:5], s[28:29], 7
	s_branch .LBB1062_3
.LBB1062_2:                             ;   in Loop: Header=BB1062_3 Depth=1
	s_or_b32 exec_lo, exec_lo, s11
	s_waitcnt vmcnt(0)
	ds_store_b64 v21, v[14:15]
	s_waitcnt lgkmcnt(0)
	s_barrier
	buffer_gl0_inv
	ds_load_2addr_b64 v[12:15], v18 offset1:16
	ds_load_b128 v[22:25], v19
	ds_load_b128 v[26:29], v19 offset:16
	s_add_u32 s8, s8, 16
	s_addc_u32 s9, s9, 0
	v_add_co_u32 v6, vcc_lo, v6, s4
	v_cmp_ge_i64_e64 s11, s[8:9], s[16:17]
	v_add_co_ci_u32_e32 v7, vcc_lo, s5, v7, vcc_lo
	v_add_co_u32 v8, vcc_lo, v8, s6
	v_add_co_ci_u32_e32 v9, vcc_lo, s7, v9, vcc_lo
	s_delay_alu instid0(VALU_DEP_4) | instskip(SKIP_2) | instid1(VALU_DEP_1)
	s_and_b32 vcc_lo, exec_lo, s11
	s_waitcnt lgkmcnt(1)
	v_fma_f64 v[10:11], v[12:13], v[22:23], v[10:11]
	v_fma_f64 v[14:15], v[14:15], v[24:25], v[10:11]
	ds_load_2addr_b64 v[10:13], v18 offset0:32 offset1:48
	s_waitcnt lgkmcnt(0)
	v_fma_f64 v[10:11], v[10:11], v[26:27], v[14:15]
	s_delay_alu instid0(VALU_DEP_1)
	v_fma_f64 v[14:15], v[12:13], v[28:29], v[10:11]
	ds_load_2addr_b64 v[10:13], v18 offset0:64 offset1:80
	ds_load_b128 v[22:25], v19 offset:32
	ds_load_b128 v[26:29], v19 offset:48
	s_waitcnt lgkmcnt(1)
	v_fma_f64 v[10:11], v[10:11], v[22:23], v[14:15]
	s_delay_alu instid0(VALU_DEP_1) | instskip(SKIP_3) | instid1(VALU_DEP_1)
	v_fma_f64 v[14:15], v[12:13], v[24:25], v[10:11]
	ds_load_2addr_b64 v[10:13], v18 offset0:96 offset1:112
	s_waitcnt lgkmcnt(0)
	v_fma_f64 v[10:11], v[10:11], v[26:27], v[14:15]
	v_fma_f64 v[14:15], v[12:13], v[28:29], v[10:11]
	ds_load_2addr_b64 v[10:13], v18 offset0:128 offset1:144
	ds_load_b128 v[22:25], v19 offset:64
	ds_load_b128 v[26:29], v19 offset:80
	s_waitcnt lgkmcnt(1)
	v_fma_f64 v[10:11], v[10:11], v[22:23], v[14:15]
	s_delay_alu instid0(VALU_DEP_1) | instskip(SKIP_3) | instid1(VALU_DEP_1)
	v_fma_f64 v[14:15], v[12:13], v[24:25], v[10:11]
	ds_load_2addr_b64 v[10:13], v18 offset0:160 offset1:176
	s_waitcnt lgkmcnt(0)
	v_fma_f64 v[10:11], v[10:11], v[26:27], v[14:15]
	v_fma_f64 v[14:15], v[12:13], v[28:29], v[10:11]
	ds_load_2addr_b64 v[10:13], v18 offset0:192 offset1:208
	ds_load_b128 v[22:25], v19 offset:96
	ds_load_b128 v[26:29], v19 offset:112
	s_waitcnt lgkmcnt(1)
	v_fma_f64 v[10:11], v[10:11], v[22:23], v[14:15]
	s_delay_alu instid0(VALU_DEP_1)
	v_fma_f64 v[14:15], v[12:13], v[24:25], v[10:11]
	ds_load_2addr_b64 v[10:13], v18 offset0:224 offset1:240
	s_waitcnt lgkmcnt(0)
	s_barrier
	buffer_gl0_inv
	v_fma_f64 v[10:11], v[10:11], v[26:27], v[14:15]
	s_delay_alu instid0(VALU_DEP_1)
	v_fma_f64 v[10:11], v[12:13], v[28:29], v[10:11]
	s_cbranch_vccnz .LBB1062_8
.LBB1062_3:                             ; =>This Inner Loop Header: Depth=1
	v_add_co_u32 v12, s11, v17, s8
	s_delay_alu instid0(VALU_DEP_1) | instskip(NEXT) | instid1(VALU_DEP_1)
	v_add_co_ci_u32_e64 v13, null, 0, s9, s11
	v_cmp_gt_i64_e32 vcc_lo, s[16:17], v[12:13]
	v_dual_mov_b32 v13, v5 :: v_dual_mov_b32 v12, v4
	s_and_b32 s12, s3, vcc_lo
	s_delay_alu instid0(SALU_CYCLE_1)
	s_and_saveexec_b32 s11, s12
	s_cbranch_execz .LBB1062_5
; %bb.4:                                ;   in Loop: Header=BB1062_3 Depth=1
	global_load_b64 v[12:13], v[8:9], off
.LBB1062_5:                             ;   in Loop: Header=BB1062_3 Depth=1
	s_or_b32 exec_lo, exec_lo, s11
	v_add_co_u32 v14, s11, v16, s8
	s_delay_alu instid0(VALU_DEP_1)
	v_add_co_ci_u32_e64 v15, null, 0, s9, s11
	s_waitcnt vmcnt(0)
	ds_store_b64 v20, v[12:13]
	v_cmp_gt_i64_e32 vcc_lo, s[16:17], v[14:15]
	v_mov_b32_e32 v14, 0
	v_mov_b32_e32 v15, 0
	s_and_b32 s12, s2, vcc_lo
	s_delay_alu instid0(SALU_CYCLE_1)
	s_and_saveexec_b32 s11, s12
	s_cbranch_execz .LBB1062_2
; %bb.6:                                ;   in Loop: Header=BB1062_3 Depth=1
	global_load_b64 v[14:15], v[6:7], off
	s_branch .LBB1062_2
.LBB1062_7:
	v_mov_b32_e32 v10, 0
	v_mov_b32_e32 v11, 0
.LBB1062_8:
	v_cmp_le_i32_e32 vcc_lo, v0, v2
	v_cmp_gt_i32_e64 s2, s10, v2
	s_delay_alu instid0(VALU_DEP_1) | instskip(NEXT) | instid1(SALU_CYCLE_1)
	s_and_b32 s2, vcc_lo, s2
	s_and_saveexec_b32 s3, s2
	s_cbranch_execz .LBB1062_10
; %bb.9:
	s_load_b256 s[0:7], s[0:1], 0x48
	v_lshlrev_b64 v[0:1], 3, v[0:1]
	s_waitcnt lgkmcnt(0)
	v_mul_lo_u32 v5, v2, s5
	v_mul_lo_u32 v6, v3, s4
	v_mad_u64_u32 v[3:4], null, v2, s4, 0
	s_mul_i32 s5, s15, s7
	s_mul_hi_u32 s7, s15, s6
	s_mul_i32 s4, s15, s6
	s_add_i32 s5, s7, s5
	s_delay_alu instid0(SALU_CYCLE_1) | instskip(NEXT) | instid1(VALU_DEP_1)
	s_lshl_b64 s[4:5], s[4:5], 3
	v_add3_u32 v4, v4, v5, v6
	s_add_u32 s2, s2, s4
	s_addc_u32 s3, s3, s5
	s_delay_alu instid0(VALU_DEP_1) | instskip(NEXT) | instid1(VALU_DEP_1)
	v_lshlrev_b64 v[2:3], 3, v[3:4]
	v_add_co_u32 v2, vcc_lo, s2, v2
	s_delay_alu instid0(VALU_DEP_2) | instskip(NEXT) | instid1(VALU_DEP_2)
	v_add_co_ci_u32_e32 v3, vcc_lo, s3, v3, vcc_lo
	v_add_co_u32 v0, vcc_lo, v2, v0
	s_delay_alu instid0(VALU_DEP_2) | instskip(SKIP_3) | instid1(VALU_DEP_1)
	v_add_co_ci_u32_e32 v1, vcc_lo, v3, v1, vcc_lo
	global_load_b64 v[2:3], v[0:1], off
	s_waitcnt vmcnt(0)
	v_mul_f64 v[2:3], v[2:3], s[0:1]
	v_fma_f64 v[2:3], v[10:11], s[18:19], v[2:3]
	global_store_b64 v[0:1], v[2:3], off
.LBB1062_10:
	s_nop 0
	s_sendmsg sendmsg(MSG_DEALLOC_VGPRS)
	s_endpgm
	.section	.rodata,"a",@progbits
	.p2align	6, 0x0
	.amdhsa_kernel _ZL32rocblas_syrkx_herkx_small_kernelIldLi16ELb0ELb0ELc78ELc85EKddEviT_T0_PT6_S1_lS4_S1_lS2_PT7_S1_li
		.amdhsa_group_segment_fixed_size 4096
		.amdhsa_private_segment_fixed_size 0
		.amdhsa_kernarg_size 108
		.amdhsa_user_sgpr_count 13
		.amdhsa_user_sgpr_dispatch_ptr 0
		.amdhsa_user_sgpr_queue_ptr 0
		.amdhsa_user_sgpr_kernarg_segment_ptr 1
		.amdhsa_user_sgpr_dispatch_id 0
		.amdhsa_user_sgpr_private_segment_size 0
		.amdhsa_wavefront_size32 1
		.amdhsa_uses_dynamic_stack 0
		.amdhsa_enable_private_segment 0
		.amdhsa_system_sgpr_workgroup_id_x 1
		.amdhsa_system_sgpr_workgroup_id_y 1
		.amdhsa_system_sgpr_workgroup_id_z 1
		.amdhsa_system_sgpr_workgroup_info 0
		.amdhsa_system_vgpr_workitem_id 1
		.amdhsa_next_free_vgpr 30
		.amdhsa_next_free_sgpr 32
		.amdhsa_reserve_vcc 1
		.amdhsa_float_round_mode_32 0
		.amdhsa_float_round_mode_16_64 0
		.amdhsa_float_denorm_mode_32 3
		.amdhsa_float_denorm_mode_16_64 3
		.amdhsa_dx10_clamp 1
		.amdhsa_ieee_mode 1
		.amdhsa_fp16_overflow 0
		.amdhsa_workgroup_processor_mode 1
		.amdhsa_memory_ordered 1
		.amdhsa_forward_progress 0
		.amdhsa_shared_vgpr_count 0
		.amdhsa_exception_fp_ieee_invalid_op 0
		.amdhsa_exception_fp_denorm_src 0
		.amdhsa_exception_fp_ieee_div_zero 0
		.amdhsa_exception_fp_ieee_overflow 0
		.amdhsa_exception_fp_ieee_underflow 0
		.amdhsa_exception_fp_ieee_inexact 0
		.amdhsa_exception_int_div_zero 0
	.end_amdhsa_kernel
	.section	.text._ZL32rocblas_syrkx_herkx_small_kernelIldLi16ELb0ELb0ELc78ELc85EKddEviT_T0_PT6_S1_lS4_S1_lS2_PT7_S1_li,"axG",@progbits,_ZL32rocblas_syrkx_herkx_small_kernelIldLi16ELb0ELb0ELc78ELc85EKddEviT_T0_PT6_S1_lS4_S1_lS2_PT7_S1_li,comdat
.Lfunc_end1062:
	.size	_ZL32rocblas_syrkx_herkx_small_kernelIldLi16ELb0ELb0ELc78ELc85EKddEviT_T0_PT6_S1_lS4_S1_lS2_PT7_S1_li, .Lfunc_end1062-_ZL32rocblas_syrkx_herkx_small_kernelIldLi16ELb0ELb0ELc78ELc85EKddEviT_T0_PT6_S1_lS4_S1_lS2_PT7_S1_li
                                        ; -- End function
	.section	.AMDGPU.csdata,"",@progbits
; Kernel info:
; codeLenInByte = 1116
; NumSgprs: 34
; NumVgprs: 30
; ScratchSize: 0
; MemoryBound: 0
; FloatMode: 240
; IeeeMode: 1
; LDSByteSize: 4096 bytes/workgroup (compile time only)
; SGPRBlocks: 4
; VGPRBlocks: 3
; NumSGPRsForWavesPerEU: 34
; NumVGPRsForWavesPerEU: 30
; Occupancy: 16
; WaveLimiterHint : 0
; COMPUTE_PGM_RSRC2:SCRATCH_EN: 0
; COMPUTE_PGM_RSRC2:USER_SGPR: 13
; COMPUTE_PGM_RSRC2:TRAP_HANDLER: 0
; COMPUTE_PGM_RSRC2:TGID_X_EN: 1
; COMPUTE_PGM_RSRC2:TGID_Y_EN: 1
; COMPUTE_PGM_RSRC2:TGID_Z_EN: 1
; COMPUTE_PGM_RSRC2:TIDIG_COMP_CNT: 1
	.section	.text._ZL34rocblas_syrkx_herkx_general_kernelIldLi16ELi32ELi8ELb1ELb0ELc84ELc76EKddEviT_T0_PT8_S1_lS4_S1_lS2_PT9_S1_li,"axG",@progbits,_ZL34rocblas_syrkx_herkx_general_kernelIldLi16ELi32ELi8ELb1ELb0ELc84ELc76EKddEviT_T0_PT8_S1_lS4_S1_lS2_PT9_S1_li,comdat
	.globl	_ZL34rocblas_syrkx_herkx_general_kernelIldLi16ELi32ELi8ELb1ELb0ELc84ELc76EKddEviT_T0_PT8_S1_lS4_S1_lS2_PT9_S1_li ; -- Begin function _ZL34rocblas_syrkx_herkx_general_kernelIldLi16ELi32ELi8ELb1ELb0ELc84ELc76EKddEviT_T0_PT8_S1_lS4_S1_lS2_PT9_S1_li
	.p2align	8
	.type	_ZL34rocblas_syrkx_herkx_general_kernelIldLi16ELi32ELi8ELb1ELb0ELc84ELc76EKddEviT_T0_PT8_S1_lS4_S1_lS2_PT9_S1_li,@function
_ZL34rocblas_syrkx_herkx_general_kernelIldLi16ELi32ELi8ELb1ELb0ELc84ELc76EKddEviT_T0_PT8_S1_lS4_S1_lS2_PT9_S1_li: ; @_ZL34rocblas_syrkx_herkx_general_kernelIldLi16ELi32ELi8ELb1ELb0ELc84ELc76EKddEviT_T0_PT8_S1_lS4_S1_lS2_PT9_S1_li
; %bb.0:
	s_clause 0x1
	s_load_b512 s[16:31], s[0:1], 0x8
	s_load_b32 s8, s[0:1], 0x0
	v_mov_b32_e32 v12, 0
	v_dual_mov_b32 v13, 0 :: v_dual_and_b32 v18, 0x3ff, v0
	v_bfe_u32 v19, v0, 10, 10
	s_delay_alu instid0(VALU_DEP_3) | instskip(NEXT) | instid1(VALU_DEP_3)
	v_mov_b32_e32 v10, v12
	v_dual_mov_b32 v2, v12 :: v_dual_mov_b32 v3, v13
	v_dual_mov_b32 v11, v13 :: v_dual_mov_b32 v0, v12
	v_mov_b32_e32 v1, v13
	s_lshl_b32 s9, s13, 5
	s_lshl_b32 s10, s14, 5
	s_mov_b64 s[4:5], 0
	s_waitcnt lgkmcnt(0)
	v_cmp_lt_i64_e64 s2, s[16:17], 1
	s_delay_alu instid0(VALU_DEP_1)
	s_and_b32 vcc_lo, exec_lo, s2
	s_cbranch_vccnz .LBB1063_7
; %bb.1:
	v_lshl_add_u32 v0, v19, 4, v18
	v_and_b32_e32 v20, 7, v18
	s_mul_i32 s3, s25, s15
	s_mul_hi_u32 s6, s24, s15
	s_mul_i32 s2, s24, s15
	v_and_b32_e32 v2, 31, v0
	v_lshrrev_b32_e32 v4, 3, v0
	v_lshrrev_b32_e32 v23, 5, v0
	v_lshlrev_b32_e32 v8, 3, v20
	s_add_i32 s3, s6, s3
	v_add_nc_u32_e32 v3, s9, v2
	v_add_nc_u32_e32 v6, s10, v4
	v_or_b32_e32 v9, s9, v2
	v_lshlrev_b32_e32 v10, 3, v2
	v_lshl_or_b32 v4, v4, 6, v8
	v_ashrrev_i32_e32 v5, 31, v3
	v_mul_lo_u32 v7, s23, v3
	v_mad_u64_u32 v[0:1], null, s22, v3, 0
	v_ashrrev_i32_e32 v11, 31, v6
	s_delay_alu instid0(VALU_DEP_4)
	v_mul_lo_u32 v5, s22, v5
	v_mul_lo_u32 v12, s29, v6
	v_mad_u64_u32 v[2:3], null, s28, v6, 0
	s_lshl_b64 s[6:7], s[2:3], 3
	v_add_nc_u32_e32 v25, 0x800, v4
	s_mul_i32 s11, s31, s15
	v_lshlrev_b32_e32 v21, 3, v18
	v_add3_u32 v1, v1, v5, v7
	v_mul_lo_u32 v5, s28, v11
	v_cmp_gt_i32_e64 s3, s8, v6
	v_cmp_gt_i32_e64 s2, s8, v9
	v_lshl_add_u32 v22, v19, 6, 0x800
	v_lshlrev_b64 v[0:1], 3, v[0:1]
	v_add3_u32 v3, v3, v5, v12
	s_delay_alu instid0(VALU_DEP_2) | instskip(NEXT) | instid1(VALU_DEP_3)
	v_add_co_u32 v4, vcc_lo, v0, s6
	v_add_co_ci_u32_e32 v5, vcc_lo, s7, v1, vcc_lo
	s_mul_hi_u32 s6, s30, s15
	s_delay_alu instid0(VALU_DEP_3)
	v_lshlrev_b64 v[0:1], 3, v[2:3]
	s_add_i32 s7, s6, s11
	s_mul_i32 s6, s30, s15
	v_lshlrev_b32_e32 v2, 3, v23
	s_lshl_b64 s[6:7], s[6:7], 3
	s_delay_alu instid0(VALU_DEP_2) | instid1(SALU_CYCLE_1)
	v_add_co_u32 v0, vcc_lo, v0, s6
	v_add_co_ci_u32_e32 v1, vcc_lo, s7, v1, vcc_lo
	s_delay_alu instid0(VALU_DEP_3) | instskip(SKIP_3) | instid1(VALU_DEP_1)
	v_add_co_u32 v2, vcc_lo, v4, v2
	v_add_co_ci_u32_e32 v3, vcc_lo, 0, v5, vcc_lo
	v_mov_b32_e32 v4, 0
	v_mov_b32_e32 v5, 0
	;; [unrolled: 1-line block ×3, first 2 shown]
	v_lshl_or_b32 v24, v23, 8, v10
	v_mov_b32_e32 v11, v5
	v_add_co_u32 v0, vcc_lo, v0, v8
	v_add_co_ci_u32_e32 v1, vcc_lo, 0, v1, vcc_lo
	v_add_co_u32 v6, vcc_lo, s20, v2
	v_add_co_ci_u32_e32 v7, vcc_lo, s21, v3, vcc_lo
	s_delay_alu instid0(VALU_DEP_4) | instskip(NEXT) | instid1(VALU_DEP_4)
	v_add_co_u32 v8, vcc_lo, s26, v0
	v_add_co_ci_u32_e32 v9, vcc_lo, s27, v1, vcc_lo
	v_mov_b32_e32 v0, v4
	v_dual_mov_b32 v2, v4 :: v_dual_mov_b32 v1, v5
	v_dual_mov_b32 v3, v5 :: v_dual_mov_b32 v10, v4
	v_mov_b32_e32 v12, v4
	s_branch .LBB1063_3
.LBB1063_2:                             ;   in Loop: Header=BB1063_3 Depth=1
	s_or_b32 exec_lo, exec_lo, s6
	s_waitcnt vmcnt(0)
	ds_store_b64 v25, v[16:17]
	s_waitcnt lgkmcnt(0)
	s_barrier
	buffer_gl0_inv
	ds_load_2addr_b64 v[14:17], v21 offset1:16
	ds_load_b128 v[26:29], v22
	ds_load_b128 v[30:33], v22 offset:1024
	ds_load_b128 v[34:37], v22 offset:16
	;; [unrolled: 1-line block ×3, first 2 shown]
	s_add_u32 s4, s4, 8
	s_addc_u32 s5, s5, 0
	v_add_co_u32 v6, vcc_lo, v6, 64
	v_cmp_ge_i64_e64 s6, s[4:5], s[16:17]
	v_add_co_ci_u32_e32 v7, vcc_lo, 0, v7, vcc_lo
	v_add_co_u32 v8, vcc_lo, v8, 64
	v_add_co_ci_u32_e32 v9, vcc_lo, 0, v9, vcc_lo
	s_delay_alu instid0(VALU_DEP_4)
	s_and_b32 vcc_lo, exec_lo, s6
	s_waitcnt lgkmcnt(3)
	v_fma_f64 v[12:13], v[14:15], v[26:27], v[12:13]
	v_fma_f64 v[10:11], v[16:17], v[26:27], v[10:11]
	s_waitcnt lgkmcnt(2)
	v_fma_f64 v[14:15], v[14:15], v[30:31], v[2:3]
	v_fma_f64 v[16:17], v[16:17], v[30:31], v[0:1]
	ds_load_2addr_b64 v[0:3], v21 offset0:32 offset1:48
	s_waitcnt lgkmcnt(0)
	v_fma_f64 v[12:13], v[0:1], v[28:29], v[12:13]
	v_fma_f64 v[10:11], v[2:3], v[28:29], v[10:11]
	v_fma_f64 v[14:15], v[0:1], v[32:33], v[14:15]
	v_fma_f64 v[16:17], v[2:3], v[32:33], v[16:17]
	ds_load_2addr_b64 v[0:3], v21 offset0:64 offset1:80
	s_waitcnt lgkmcnt(0)
	v_fma_f64 v[12:13], v[0:1], v[34:35], v[12:13]
	v_fma_f64 v[10:11], v[2:3], v[34:35], v[10:11]
	;; [unrolled: 6-line block ×3, first 2 shown]
	v_fma_f64 v[38:39], v[0:1], v[40:41], v[14:15]
	v_fma_f64 v[40:41], v[2:3], v[40:41], v[16:17]
	ds_load_2addr_b64 v[0:3], v21 offset0:128 offset1:144
	ds_load_b128 v[10:13], v22 offset:32
	ds_load_b128 v[14:17], v22 offset:1056
	ds_load_b128 v[26:29], v22 offset:48
	ds_load_b128 v[30:33], v22 offset:1072
	s_waitcnt lgkmcnt(3)
	v_fma_f64 v[34:35], v[0:1], v[10:11], v[34:35]
	v_fma_f64 v[10:11], v[2:3], v[10:11], v[36:37]
	s_waitcnt lgkmcnt(2)
	v_fma_f64 v[36:37], v[0:1], v[14:15], v[38:39]
	v_fma_f64 v[14:15], v[2:3], v[14:15], v[40:41]
	ds_load_2addr_b64 v[0:3], v21 offset0:160 offset1:176
	s_waitcnt lgkmcnt(0)
	v_fma_f64 v[34:35], v[0:1], v[12:13], v[34:35]
	v_fma_f64 v[10:11], v[2:3], v[12:13], v[10:11]
	;; [unrolled: 1-line block ×4, first 2 shown]
	ds_load_2addr_b64 v[0:3], v21 offset0:192 offset1:208
	s_waitcnt lgkmcnt(0)
	v_fma_f64 v[34:35], v[0:1], v[26:27], v[34:35]
	v_fma_f64 v[10:11], v[2:3], v[26:27], v[10:11]
	;; [unrolled: 1-line block ×4, first 2 shown]
	ds_load_2addr_b64 v[14:17], v21 offset0:224 offset1:240
	s_waitcnt lgkmcnt(0)
	s_barrier
	buffer_gl0_inv
	v_fma_f64 v[12:13], v[14:15], v[28:29], v[34:35]
	v_fma_f64 v[10:11], v[16:17], v[28:29], v[10:11]
	v_fma_f64 v[2:3], v[14:15], v[32:33], v[0:1]
	v_fma_f64 v[0:1], v[16:17], v[32:33], v[26:27]
	s_cbranch_vccnz .LBB1063_7
.LBB1063_3:                             ; =>This Inner Loop Header: Depth=1
	v_add_co_u32 v14, s6, v23, s4
	s_delay_alu instid0(VALU_DEP_1) | instskip(NEXT) | instid1(VALU_DEP_1)
	v_add_co_ci_u32_e64 v15, null, 0, s5, s6
	v_cmp_gt_i64_e32 vcc_lo, s[16:17], v[14:15]
	v_dual_mov_b32 v15, v5 :: v_dual_mov_b32 v14, v4
	s_and_b32 s7, s2, vcc_lo
	s_delay_alu instid0(SALU_CYCLE_1)
	s_and_saveexec_b32 s6, s7
	s_cbranch_execz .LBB1063_5
; %bb.4:                                ;   in Loop: Header=BB1063_3 Depth=1
	global_load_b64 v[14:15], v[6:7], off
.LBB1063_5:                             ;   in Loop: Header=BB1063_3 Depth=1
	s_or_b32 exec_lo, exec_lo, s6
	v_add_co_u32 v16, s6, v20, s4
	s_delay_alu instid0(VALU_DEP_1)
	v_add_co_ci_u32_e64 v17, null, 0, s5, s6
	s_waitcnt vmcnt(0)
	ds_store_b64 v24, v[14:15]
	v_cmp_gt_i64_e32 vcc_lo, s[16:17], v[16:17]
	v_dual_mov_b32 v17, v5 :: v_dual_mov_b32 v16, v4
	s_and_b32 s7, vcc_lo, s3
	s_delay_alu instid0(SALU_CYCLE_1)
	s_and_saveexec_b32 s6, s7
	s_cbranch_execz .LBB1063_2
; %bb.6:                                ;   in Loop: Header=BB1063_3 Depth=1
	global_load_b64 v[16:17], v[8:9], off
	s_branch .LBB1063_2
.LBB1063_7:
	s_clause 0x1
	s_load_b128 s[4:7], s[0:1], 0x50
	s_load_b64 s[2:3], s[0:1], 0x60
	v_add_nc_u32_e32 v8, s10, v19
	s_delay_alu instid0(VALU_DEP_1) | instskip(SKIP_1) | instid1(VALU_DEP_1)
	v_ashrrev_i32_e32 v4, 31, v8
	s_waitcnt lgkmcnt(0)
	v_mul_lo_u32 v7, v4, s6
	v_mul_lo_u32 v9, v8, s7
	v_mad_u64_u32 v[5:6], null, v8, s6, 0
	s_mul_i32 s1, s15, s3
	s_mul_hi_u32 s3, s15, s2
	s_mul_i32 s2, s15, s2
	s_add_i32 s3, s3, s1
	v_add_nc_u32_e32 v4, s9, v18
	s_lshl_b64 s[2:3], s[2:3], 3
	s_delay_alu instid0(VALU_DEP_2)
	v_add3_u32 v6, v6, v9, v7
	s_add_u32 s2, s4, s2
	s_addc_u32 s3, s5, s3
	v_cmp_le_i32_e64 s0, v8, v4
	v_cmp_gt_i32_e32 vcc_lo, s8, v4
	v_lshlrev_b64 v[5:6], 3, v[5:6]
	s_delay_alu instid0(VALU_DEP_3) | instskip(NEXT) | instid1(VALU_DEP_1)
	s_and_b32 s0, s0, vcc_lo
	v_add_co_u32 v9, s1, s2, v5
	s_delay_alu instid0(VALU_DEP_1)
	v_add_co_ci_u32_e64 v14, s1, s3, v6, s1
	s_and_saveexec_b32 s1, s0
	s_cbranch_execz .LBB1063_9
; %bb.8:
	v_mul_f64 v[6:7], v[12:13], s[18:19]
	v_ashrrev_i32_e32 v5, 31, v4
	s_delay_alu instid0(VALU_DEP_1) | instskip(NEXT) | instid1(VALU_DEP_1)
	v_lshlrev_b64 v[12:13], 3, v[4:5]
	v_add_co_u32 v12, s0, v9, v12
	s_delay_alu instid0(VALU_DEP_1)
	v_add_co_ci_u32_e64 v13, s0, v14, v13, s0
	global_store_b64 v[12:13], v[6:7], off
.LBB1063_9:
	s_or_b32 exec_lo, exec_lo, s1
	v_add_nc_u32_e32 v6, 16, v4
	s_delay_alu instid0(VALU_DEP_1) | instskip(SKIP_1) | instid1(VALU_DEP_1)
	v_cmp_le_i32_e64 s1, v8, v6
	v_cmp_gt_i32_e64 s0, s8, v6
	s_and_b32 s1, s1, s0
	s_delay_alu instid0(SALU_CYCLE_1)
	s_and_saveexec_b32 s4, s1
	s_cbranch_execz .LBB1063_11
; %bb.10:
	v_mul_f64 v[10:11], v[10:11], s[18:19]
	v_ashrrev_i32_e32 v7, 31, v6
	s_delay_alu instid0(VALU_DEP_1) | instskip(NEXT) | instid1(VALU_DEP_1)
	v_lshlrev_b64 v[12:13], 3, v[6:7]
	v_add_co_u32 v12, s1, v9, v12
	s_delay_alu instid0(VALU_DEP_1)
	v_add_co_ci_u32_e64 v13, s1, v14, v13, s1
	global_store_b64 v[12:13], v[10:11], off
.LBB1063_11:
	s_or_b32 exec_lo, exec_lo, s4
	v_add_nc_u32_e32 v7, 16, v8
	s_delay_alu instid0(VALU_DEP_1) | instskip(SKIP_3) | instid1(VALU_DEP_4)
	v_ashrrev_i32_e32 v5, 31, v7
	v_mul_lo_u32 v10, v7, s7
	v_mad_u64_u32 v[8:9], null, v7, s6, 0
	v_cmp_le_i32_e64 s1, v7, v4
	v_mul_lo_u32 v5, v5, s6
	s_delay_alu instid0(VALU_DEP_1) | instskip(NEXT) | instid1(VALU_DEP_1)
	v_add3_u32 v9, v9, v10, v5
	v_lshlrev_b64 v[8:9], 3, v[8:9]
	s_delay_alu instid0(VALU_DEP_1) | instskip(NEXT) | instid1(VALU_DEP_1)
	v_add_co_u32 v8, s2, s2, v8
	v_add_co_ci_u32_e64 v9, s2, s3, v9, s2
	s_and_b32 s2, s1, vcc_lo
	s_delay_alu instid0(SALU_CYCLE_1)
	s_and_saveexec_b32 s1, s2
	s_cbranch_execz .LBB1063_13
; %bb.12:
	v_mul_f64 v[2:3], v[2:3], s[18:19]
	v_ashrrev_i32_e32 v5, 31, v4
	s_delay_alu instid0(VALU_DEP_1) | instskip(NEXT) | instid1(VALU_DEP_1)
	v_lshlrev_b64 v[4:5], 3, v[4:5]
	v_add_co_u32 v4, vcc_lo, v8, v4
	s_delay_alu instid0(VALU_DEP_2)
	v_add_co_ci_u32_e32 v5, vcc_lo, v9, v5, vcc_lo
	global_store_b64 v[4:5], v[2:3], off
.LBB1063_13:
	s_or_b32 exec_lo, exec_lo, s1
	v_cmp_le_i32_e32 vcc_lo, v7, v6
	s_and_b32 s0, vcc_lo, s0
	s_delay_alu instid0(SALU_CYCLE_1)
	s_and_saveexec_b32 s1, s0
	s_cbranch_execz .LBB1063_15
; %bb.14:
	v_mul_f64 v[0:1], v[0:1], s[18:19]
	v_ashrrev_i32_e32 v7, 31, v6
	s_delay_alu instid0(VALU_DEP_1) | instskip(NEXT) | instid1(VALU_DEP_1)
	v_lshlrev_b64 v[2:3], 3, v[6:7]
	v_add_co_u32 v2, vcc_lo, v8, v2
	s_delay_alu instid0(VALU_DEP_2)
	v_add_co_ci_u32_e32 v3, vcc_lo, v9, v3, vcc_lo
	global_store_b64 v[2:3], v[0:1], off
.LBB1063_15:
	s_nop 0
	s_sendmsg sendmsg(MSG_DEALLOC_VGPRS)
	s_endpgm
	.section	.rodata,"a",@progbits
	.p2align	6, 0x0
	.amdhsa_kernel _ZL34rocblas_syrkx_herkx_general_kernelIldLi16ELi32ELi8ELb1ELb0ELc84ELc76EKddEviT_T0_PT8_S1_lS4_S1_lS2_PT9_S1_li
		.amdhsa_group_segment_fixed_size 4096
		.amdhsa_private_segment_fixed_size 0
		.amdhsa_kernarg_size 108
		.amdhsa_user_sgpr_count 13
		.amdhsa_user_sgpr_dispatch_ptr 0
		.amdhsa_user_sgpr_queue_ptr 0
		.amdhsa_user_sgpr_kernarg_segment_ptr 1
		.amdhsa_user_sgpr_dispatch_id 0
		.amdhsa_user_sgpr_private_segment_size 0
		.amdhsa_wavefront_size32 1
		.amdhsa_uses_dynamic_stack 0
		.amdhsa_enable_private_segment 0
		.amdhsa_system_sgpr_workgroup_id_x 1
		.amdhsa_system_sgpr_workgroup_id_y 1
		.amdhsa_system_sgpr_workgroup_id_z 1
		.amdhsa_system_sgpr_workgroup_info 0
		.amdhsa_system_vgpr_workitem_id 1
		.amdhsa_next_free_vgpr 42
		.amdhsa_next_free_sgpr 32
		.amdhsa_reserve_vcc 1
		.amdhsa_float_round_mode_32 0
		.amdhsa_float_round_mode_16_64 0
		.amdhsa_float_denorm_mode_32 3
		.amdhsa_float_denorm_mode_16_64 3
		.amdhsa_dx10_clamp 1
		.amdhsa_ieee_mode 1
		.amdhsa_fp16_overflow 0
		.amdhsa_workgroup_processor_mode 1
		.amdhsa_memory_ordered 1
		.amdhsa_forward_progress 0
		.amdhsa_shared_vgpr_count 0
		.amdhsa_exception_fp_ieee_invalid_op 0
		.amdhsa_exception_fp_denorm_src 0
		.amdhsa_exception_fp_ieee_div_zero 0
		.amdhsa_exception_fp_ieee_overflow 0
		.amdhsa_exception_fp_ieee_underflow 0
		.amdhsa_exception_fp_ieee_inexact 0
		.amdhsa_exception_int_div_zero 0
	.end_amdhsa_kernel
	.section	.text._ZL34rocblas_syrkx_herkx_general_kernelIldLi16ELi32ELi8ELb1ELb0ELc84ELc76EKddEviT_T0_PT8_S1_lS4_S1_lS2_PT9_S1_li,"axG",@progbits,_ZL34rocblas_syrkx_herkx_general_kernelIldLi16ELi32ELi8ELb1ELb0ELc84ELc76EKddEviT_T0_PT8_S1_lS4_S1_lS2_PT9_S1_li,comdat
.Lfunc_end1063:
	.size	_ZL34rocblas_syrkx_herkx_general_kernelIldLi16ELi32ELi8ELb1ELb0ELc84ELc76EKddEviT_T0_PT8_S1_lS4_S1_lS2_PT9_S1_li, .Lfunc_end1063-_ZL34rocblas_syrkx_herkx_general_kernelIldLi16ELi32ELi8ELb1ELb0ELc84ELc76EKddEviT_T0_PT8_S1_lS4_S1_lS2_PT9_S1_li
                                        ; -- End function
	.section	.AMDGPU.csdata,"",@progbits
; Kernel info:
; codeLenInByte = 1676
; NumSgprs: 34
; NumVgprs: 42
; ScratchSize: 0
; MemoryBound: 0
; FloatMode: 240
; IeeeMode: 1
; LDSByteSize: 4096 bytes/workgroup (compile time only)
; SGPRBlocks: 4
; VGPRBlocks: 5
; NumSGPRsForWavesPerEU: 34
; NumVGPRsForWavesPerEU: 42
; Occupancy: 16
; WaveLimiterHint : 0
; COMPUTE_PGM_RSRC2:SCRATCH_EN: 0
; COMPUTE_PGM_RSRC2:USER_SGPR: 13
; COMPUTE_PGM_RSRC2:TRAP_HANDLER: 0
; COMPUTE_PGM_RSRC2:TGID_X_EN: 1
; COMPUTE_PGM_RSRC2:TGID_Y_EN: 1
; COMPUTE_PGM_RSRC2:TGID_Z_EN: 1
; COMPUTE_PGM_RSRC2:TIDIG_COMP_CNT: 1
	.section	.text._ZL34rocblas_syrkx_herkx_general_kernelIldLi16ELi32ELi8ELb1ELb0ELc67ELc76EKddEviT_T0_PT8_S1_lS4_S1_lS2_PT9_S1_li,"axG",@progbits,_ZL34rocblas_syrkx_herkx_general_kernelIldLi16ELi32ELi8ELb1ELb0ELc67ELc76EKddEviT_T0_PT8_S1_lS4_S1_lS2_PT9_S1_li,comdat
	.globl	_ZL34rocblas_syrkx_herkx_general_kernelIldLi16ELi32ELi8ELb1ELb0ELc67ELc76EKddEviT_T0_PT8_S1_lS4_S1_lS2_PT9_S1_li ; -- Begin function _ZL34rocblas_syrkx_herkx_general_kernelIldLi16ELi32ELi8ELb1ELb0ELc67ELc76EKddEviT_T0_PT8_S1_lS4_S1_lS2_PT9_S1_li
	.p2align	8
	.type	_ZL34rocblas_syrkx_herkx_general_kernelIldLi16ELi32ELi8ELb1ELb0ELc67ELc76EKddEviT_T0_PT8_S1_lS4_S1_lS2_PT9_S1_li,@function
_ZL34rocblas_syrkx_herkx_general_kernelIldLi16ELi32ELi8ELb1ELb0ELc67ELc76EKddEviT_T0_PT8_S1_lS4_S1_lS2_PT9_S1_li: ; @_ZL34rocblas_syrkx_herkx_general_kernelIldLi16ELi32ELi8ELb1ELb0ELc67ELc76EKddEviT_T0_PT8_S1_lS4_S1_lS2_PT9_S1_li
; %bb.0:
	s_clause 0x1
	s_load_b512 s[16:31], s[0:1], 0x8
	s_load_b32 s8, s[0:1], 0x0
	v_mov_b32_e32 v12, 0
	v_dual_mov_b32 v13, 0 :: v_dual_and_b32 v18, 0x3ff, v0
	v_bfe_u32 v19, v0, 10, 10
	s_delay_alu instid0(VALU_DEP_3) | instskip(NEXT) | instid1(VALU_DEP_3)
	v_mov_b32_e32 v10, v12
	v_dual_mov_b32 v2, v12 :: v_dual_mov_b32 v3, v13
	v_dual_mov_b32 v11, v13 :: v_dual_mov_b32 v0, v12
	v_mov_b32_e32 v1, v13
	s_lshl_b32 s9, s13, 5
	s_lshl_b32 s10, s14, 5
	s_mov_b64 s[4:5], 0
	s_waitcnt lgkmcnt(0)
	v_cmp_lt_i64_e64 s2, s[16:17], 1
	s_delay_alu instid0(VALU_DEP_1)
	s_and_b32 vcc_lo, exec_lo, s2
	s_cbranch_vccnz .LBB1064_7
; %bb.1:
	v_lshl_add_u32 v0, v19, 4, v18
	v_and_b32_e32 v20, 7, v18
	s_mul_i32 s3, s25, s15
	s_mul_hi_u32 s6, s24, s15
	s_mul_i32 s2, s24, s15
	v_and_b32_e32 v2, 31, v0
	v_lshrrev_b32_e32 v4, 3, v0
	v_lshrrev_b32_e32 v23, 5, v0
	v_lshlrev_b32_e32 v8, 3, v20
	s_add_i32 s3, s6, s3
	v_add_nc_u32_e32 v3, s9, v2
	v_add_nc_u32_e32 v6, s10, v4
	v_or_b32_e32 v9, s9, v2
	v_lshlrev_b32_e32 v10, 3, v2
	v_lshl_or_b32 v4, v4, 6, v8
	v_ashrrev_i32_e32 v5, 31, v3
	v_mul_lo_u32 v7, s23, v3
	v_mad_u64_u32 v[0:1], null, s22, v3, 0
	v_ashrrev_i32_e32 v11, 31, v6
	s_delay_alu instid0(VALU_DEP_4)
	v_mul_lo_u32 v5, s22, v5
	v_mul_lo_u32 v12, s29, v6
	v_mad_u64_u32 v[2:3], null, s28, v6, 0
	s_lshl_b64 s[6:7], s[2:3], 3
	v_add_nc_u32_e32 v25, 0x800, v4
	s_mul_i32 s11, s31, s15
	v_lshlrev_b32_e32 v21, 3, v18
	v_add3_u32 v1, v1, v5, v7
	v_mul_lo_u32 v5, s28, v11
	v_cmp_gt_i32_e64 s3, s8, v6
	v_cmp_gt_i32_e64 s2, s8, v9
	v_lshl_add_u32 v22, v19, 6, 0x800
	v_lshlrev_b64 v[0:1], 3, v[0:1]
	v_add3_u32 v3, v3, v5, v12
	s_delay_alu instid0(VALU_DEP_2) | instskip(NEXT) | instid1(VALU_DEP_3)
	v_add_co_u32 v4, vcc_lo, v0, s6
	v_add_co_ci_u32_e32 v5, vcc_lo, s7, v1, vcc_lo
	s_mul_hi_u32 s6, s30, s15
	s_delay_alu instid0(VALU_DEP_3)
	v_lshlrev_b64 v[0:1], 3, v[2:3]
	s_add_i32 s7, s6, s11
	s_mul_i32 s6, s30, s15
	v_lshlrev_b32_e32 v2, 3, v23
	s_lshl_b64 s[6:7], s[6:7], 3
	s_delay_alu instid0(VALU_DEP_2) | instid1(SALU_CYCLE_1)
	v_add_co_u32 v0, vcc_lo, v0, s6
	v_add_co_ci_u32_e32 v1, vcc_lo, s7, v1, vcc_lo
	s_delay_alu instid0(VALU_DEP_3) | instskip(SKIP_3) | instid1(VALU_DEP_1)
	v_add_co_u32 v2, vcc_lo, v4, v2
	v_add_co_ci_u32_e32 v3, vcc_lo, 0, v5, vcc_lo
	v_mov_b32_e32 v4, 0
	v_mov_b32_e32 v5, 0
	;; [unrolled: 1-line block ×3, first 2 shown]
	v_lshl_or_b32 v24, v23, 8, v10
	v_mov_b32_e32 v11, v5
	v_add_co_u32 v0, vcc_lo, v0, v8
	v_add_co_ci_u32_e32 v1, vcc_lo, 0, v1, vcc_lo
	v_add_co_u32 v6, vcc_lo, s20, v2
	v_add_co_ci_u32_e32 v7, vcc_lo, s21, v3, vcc_lo
	s_delay_alu instid0(VALU_DEP_4) | instskip(NEXT) | instid1(VALU_DEP_4)
	v_add_co_u32 v8, vcc_lo, s26, v0
	v_add_co_ci_u32_e32 v9, vcc_lo, s27, v1, vcc_lo
	v_mov_b32_e32 v0, v4
	v_dual_mov_b32 v2, v4 :: v_dual_mov_b32 v1, v5
	v_dual_mov_b32 v3, v5 :: v_dual_mov_b32 v10, v4
	v_mov_b32_e32 v12, v4
	s_branch .LBB1064_3
.LBB1064_2:                             ;   in Loop: Header=BB1064_3 Depth=1
	s_or_b32 exec_lo, exec_lo, s6
	s_waitcnt vmcnt(0)
	ds_store_b64 v25, v[16:17]
	s_waitcnt lgkmcnt(0)
	s_barrier
	buffer_gl0_inv
	ds_load_2addr_b64 v[14:17], v21 offset1:16
	ds_load_b128 v[26:29], v22
	ds_load_b128 v[30:33], v22 offset:1024
	ds_load_b128 v[34:37], v22 offset:16
	;; [unrolled: 1-line block ×3, first 2 shown]
	s_add_u32 s4, s4, 8
	s_addc_u32 s5, s5, 0
	v_add_co_u32 v6, vcc_lo, v6, 64
	v_cmp_ge_i64_e64 s6, s[4:5], s[16:17]
	v_add_co_ci_u32_e32 v7, vcc_lo, 0, v7, vcc_lo
	v_add_co_u32 v8, vcc_lo, v8, 64
	v_add_co_ci_u32_e32 v9, vcc_lo, 0, v9, vcc_lo
	s_delay_alu instid0(VALU_DEP_4)
	s_and_b32 vcc_lo, exec_lo, s6
	s_waitcnt lgkmcnt(3)
	v_fma_f64 v[12:13], v[14:15], v[26:27], v[12:13]
	v_fma_f64 v[10:11], v[16:17], v[26:27], v[10:11]
	s_waitcnt lgkmcnt(2)
	v_fma_f64 v[14:15], v[14:15], v[30:31], v[2:3]
	v_fma_f64 v[16:17], v[16:17], v[30:31], v[0:1]
	ds_load_2addr_b64 v[0:3], v21 offset0:32 offset1:48
	s_waitcnt lgkmcnt(0)
	v_fma_f64 v[12:13], v[0:1], v[28:29], v[12:13]
	v_fma_f64 v[10:11], v[2:3], v[28:29], v[10:11]
	v_fma_f64 v[14:15], v[0:1], v[32:33], v[14:15]
	v_fma_f64 v[16:17], v[2:3], v[32:33], v[16:17]
	ds_load_2addr_b64 v[0:3], v21 offset0:64 offset1:80
	s_waitcnt lgkmcnt(0)
	v_fma_f64 v[12:13], v[0:1], v[34:35], v[12:13]
	v_fma_f64 v[10:11], v[2:3], v[34:35], v[10:11]
	;; [unrolled: 6-line block ×3, first 2 shown]
	v_fma_f64 v[38:39], v[0:1], v[40:41], v[14:15]
	v_fma_f64 v[40:41], v[2:3], v[40:41], v[16:17]
	ds_load_2addr_b64 v[0:3], v21 offset0:128 offset1:144
	ds_load_b128 v[10:13], v22 offset:32
	ds_load_b128 v[14:17], v22 offset:1056
	;; [unrolled: 1-line block ×4, first 2 shown]
	s_waitcnt lgkmcnt(3)
	v_fma_f64 v[34:35], v[0:1], v[10:11], v[34:35]
	v_fma_f64 v[10:11], v[2:3], v[10:11], v[36:37]
	s_waitcnt lgkmcnt(2)
	v_fma_f64 v[36:37], v[0:1], v[14:15], v[38:39]
	v_fma_f64 v[14:15], v[2:3], v[14:15], v[40:41]
	ds_load_2addr_b64 v[0:3], v21 offset0:160 offset1:176
	s_waitcnt lgkmcnt(0)
	v_fma_f64 v[34:35], v[0:1], v[12:13], v[34:35]
	v_fma_f64 v[10:11], v[2:3], v[12:13], v[10:11]
	;; [unrolled: 1-line block ×4, first 2 shown]
	ds_load_2addr_b64 v[0:3], v21 offset0:192 offset1:208
	s_waitcnt lgkmcnt(0)
	v_fma_f64 v[34:35], v[0:1], v[26:27], v[34:35]
	v_fma_f64 v[10:11], v[2:3], v[26:27], v[10:11]
	;; [unrolled: 1-line block ×4, first 2 shown]
	ds_load_2addr_b64 v[14:17], v21 offset0:224 offset1:240
	s_waitcnt lgkmcnt(0)
	s_barrier
	buffer_gl0_inv
	v_fma_f64 v[12:13], v[14:15], v[28:29], v[34:35]
	v_fma_f64 v[10:11], v[16:17], v[28:29], v[10:11]
	;; [unrolled: 1-line block ×4, first 2 shown]
	s_cbranch_vccnz .LBB1064_7
.LBB1064_3:                             ; =>This Inner Loop Header: Depth=1
	v_add_co_u32 v14, s6, v23, s4
	s_delay_alu instid0(VALU_DEP_1) | instskip(NEXT) | instid1(VALU_DEP_1)
	v_add_co_ci_u32_e64 v15, null, 0, s5, s6
	v_cmp_gt_i64_e32 vcc_lo, s[16:17], v[14:15]
	v_dual_mov_b32 v15, v5 :: v_dual_mov_b32 v14, v4
	s_and_b32 s7, s2, vcc_lo
	s_delay_alu instid0(SALU_CYCLE_1)
	s_and_saveexec_b32 s6, s7
	s_cbranch_execz .LBB1064_5
; %bb.4:                                ;   in Loop: Header=BB1064_3 Depth=1
	global_load_b64 v[14:15], v[6:7], off
.LBB1064_5:                             ;   in Loop: Header=BB1064_3 Depth=1
	s_or_b32 exec_lo, exec_lo, s6
	v_add_co_u32 v16, s6, v20, s4
	s_delay_alu instid0(VALU_DEP_1)
	v_add_co_ci_u32_e64 v17, null, 0, s5, s6
	s_waitcnt vmcnt(0)
	ds_store_b64 v24, v[14:15]
	v_cmp_gt_i64_e32 vcc_lo, s[16:17], v[16:17]
	v_dual_mov_b32 v17, v5 :: v_dual_mov_b32 v16, v4
	s_and_b32 s7, vcc_lo, s3
	s_delay_alu instid0(SALU_CYCLE_1)
	s_and_saveexec_b32 s6, s7
	s_cbranch_execz .LBB1064_2
; %bb.6:                                ;   in Loop: Header=BB1064_3 Depth=1
	global_load_b64 v[16:17], v[8:9], off
	s_branch .LBB1064_2
.LBB1064_7:
	s_clause 0x1
	s_load_b128 s[4:7], s[0:1], 0x50
	s_load_b64 s[2:3], s[0:1], 0x60
	v_add_nc_u32_e32 v8, s10, v19
	s_delay_alu instid0(VALU_DEP_1) | instskip(SKIP_1) | instid1(VALU_DEP_1)
	v_ashrrev_i32_e32 v4, 31, v8
	s_waitcnt lgkmcnt(0)
	v_mul_lo_u32 v7, v4, s6
	v_mul_lo_u32 v9, v8, s7
	v_mad_u64_u32 v[5:6], null, v8, s6, 0
	s_mul_i32 s1, s15, s3
	s_mul_hi_u32 s3, s15, s2
	s_mul_i32 s2, s15, s2
	s_add_i32 s3, s3, s1
	v_add_nc_u32_e32 v4, s9, v18
	s_lshl_b64 s[2:3], s[2:3], 3
	s_delay_alu instid0(VALU_DEP_2)
	v_add3_u32 v6, v6, v9, v7
	s_add_u32 s2, s4, s2
	s_addc_u32 s3, s5, s3
	v_cmp_le_i32_e64 s0, v8, v4
	v_cmp_gt_i32_e32 vcc_lo, s8, v4
	v_lshlrev_b64 v[5:6], 3, v[5:6]
	s_delay_alu instid0(VALU_DEP_3) | instskip(NEXT) | instid1(VALU_DEP_1)
	s_and_b32 s0, s0, vcc_lo
	v_add_co_u32 v9, s1, s2, v5
	s_delay_alu instid0(VALU_DEP_1)
	v_add_co_ci_u32_e64 v14, s1, s3, v6, s1
	s_and_saveexec_b32 s1, s0
	s_cbranch_execz .LBB1064_9
; %bb.8:
	v_mul_f64 v[6:7], v[12:13], s[18:19]
	v_ashrrev_i32_e32 v5, 31, v4
	s_delay_alu instid0(VALU_DEP_1) | instskip(NEXT) | instid1(VALU_DEP_1)
	v_lshlrev_b64 v[12:13], 3, v[4:5]
	v_add_co_u32 v12, s0, v9, v12
	s_delay_alu instid0(VALU_DEP_1)
	v_add_co_ci_u32_e64 v13, s0, v14, v13, s0
	global_store_b64 v[12:13], v[6:7], off
.LBB1064_9:
	s_or_b32 exec_lo, exec_lo, s1
	v_add_nc_u32_e32 v6, 16, v4
	s_delay_alu instid0(VALU_DEP_1) | instskip(SKIP_1) | instid1(VALU_DEP_1)
	v_cmp_le_i32_e64 s1, v8, v6
	v_cmp_gt_i32_e64 s0, s8, v6
	s_and_b32 s1, s1, s0
	s_delay_alu instid0(SALU_CYCLE_1)
	s_and_saveexec_b32 s4, s1
	s_cbranch_execz .LBB1064_11
; %bb.10:
	v_mul_f64 v[10:11], v[10:11], s[18:19]
	v_ashrrev_i32_e32 v7, 31, v6
	s_delay_alu instid0(VALU_DEP_1) | instskip(NEXT) | instid1(VALU_DEP_1)
	v_lshlrev_b64 v[12:13], 3, v[6:7]
	v_add_co_u32 v12, s1, v9, v12
	s_delay_alu instid0(VALU_DEP_1)
	v_add_co_ci_u32_e64 v13, s1, v14, v13, s1
	global_store_b64 v[12:13], v[10:11], off
.LBB1064_11:
	s_or_b32 exec_lo, exec_lo, s4
	v_add_nc_u32_e32 v7, 16, v8
	s_delay_alu instid0(VALU_DEP_1) | instskip(SKIP_3) | instid1(VALU_DEP_4)
	v_ashrrev_i32_e32 v5, 31, v7
	v_mul_lo_u32 v10, v7, s7
	v_mad_u64_u32 v[8:9], null, v7, s6, 0
	v_cmp_le_i32_e64 s1, v7, v4
	v_mul_lo_u32 v5, v5, s6
	s_delay_alu instid0(VALU_DEP_1) | instskip(NEXT) | instid1(VALU_DEP_1)
	v_add3_u32 v9, v9, v10, v5
	v_lshlrev_b64 v[8:9], 3, v[8:9]
	s_delay_alu instid0(VALU_DEP_1) | instskip(NEXT) | instid1(VALU_DEP_1)
	v_add_co_u32 v8, s2, s2, v8
	v_add_co_ci_u32_e64 v9, s2, s3, v9, s2
	s_and_b32 s2, s1, vcc_lo
	s_delay_alu instid0(SALU_CYCLE_1)
	s_and_saveexec_b32 s1, s2
	s_cbranch_execz .LBB1064_13
; %bb.12:
	v_mul_f64 v[2:3], v[2:3], s[18:19]
	v_ashrrev_i32_e32 v5, 31, v4
	s_delay_alu instid0(VALU_DEP_1) | instskip(NEXT) | instid1(VALU_DEP_1)
	v_lshlrev_b64 v[4:5], 3, v[4:5]
	v_add_co_u32 v4, vcc_lo, v8, v4
	s_delay_alu instid0(VALU_DEP_2)
	v_add_co_ci_u32_e32 v5, vcc_lo, v9, v5, vcc_lo
	global_store_b64 v[4:5], v[2:3], off
.LBB1064_13:
	s_or_b32 exec_lo, exec_lo, s1
	v_cmp_le_i32_e32 vcc_lo, v7, v6
	s_and_b32 s0, vcc_lo, s0
	s_delay_alu instid0(SALU_CYCLE_1)
	s_and_saveexec_b32 s1, s0
	s_cbranch_execz .LBB1064_15
; %bb.14:
	v_mul_f64 v[0:1], v[0:1], s[18:19]
	v_ashrrev_i32_e32 v7, 31, v6
	s_delay_alu instid0(VALU_DEP_1) | instskip(NEXT) | instid1(VALU_DEP_1)
	v_lshlrev_b64 v[2:3], 3, v[6:7]
	v_add_co_u32 v2, vcc_lo, v8, v2
	s_delay_alu instid0(VALU_DEP_2)
	v_add_co_ci_u32_e32 v3, vcc_lo, v9, v3, vcc_lo
	global_store_b64 v[2:3], v[0:1], off
.LBB1064_15:
	s_nop 0
	s_sendmsg sendmsg(MSG_DEALLOC_VGPRS)
	s_endpgm
	.section	.rodata,"a",@progbits
	.p2align	6, 0x0
	.amdhsa_kernel _ZL34rocblas_syrkx_herkx_general_kernelIldLi16ELi32ELi8ELb1ELb0ELc67ELc76EKddEviT_T0_PT8_S1_lS4_S1_lS2_PT9_S1_li
		.amdhsa_group_segment_fixed_size 4096
		.amdhsa_private_segment_fixed_size 0
		.amdhsa_kernarg_size 108
		.amdhsa_user_sgpr_count 13
		.amdhsa_user_sgpr_dispatch_ptr 0
		.amdhsa_user_sgpr_queue_ptr 0
		.amdhsa_user_sgpr_kernarg_segment_ptr 1
		.amdhsa_user_sgpr_dispatch_id 0
		.amdhsa_user_sgpr_private_segment_size 0
		.amdhsa_wavefront_size32 1
		.amdhsa_uses_dynamic_stack 0
		.amdhsa_enable_private_segment 0
		.amdhsa_system_sgpr_workgroup_id_x 1
		.amdhsa_system_sgpr_workgroup_id_y 1
		.amdhsa_system_sgpr_workgroup_id_z 1
		.amdhsa_system_sgpr_workgroup_info 0
		.amdhsa_system_vgpr_workitem_id 1
		.amdhsa_next_free_vgpr 42
		.amdhsa_next_free_sgpr 32
		.amdhsa_reserve_vcc 1
		.amdhsa_float_round_mode_32 0
		.amdhsa_float_round_mode_16_64 0
		.amdhsa_float_denorm_mode_32 3
		.amdhsa_float_denorm_mode_16_64 3
		.amdhsa_dx10_clamp 1
		.amdhsa_ieee_mode 1
		.amdhsa_fp16_overflow 0
		.amdhsa_workgroup_processor_mode 1
		.amdhsa_memory_ordered 1
		.amdhsa_forward_progress 0
		.amdhsa_shared_vgpr_count 0
		.amdhsa_exception_fp_ieee_invalid_op 0
		.amdhsa_exception_fp_denorm_src 0
		.amdhsa_exception_fp_ieee_div_zero 0
		.amdhsa_exception_fp_ieee_overflow 0
		.amdhsa_exception_fp_ieee_underflow 0
		.amdhsa_exception_fp_ieee_inexact 0
		.amdhsa_exception_int_div_zero 0
	.end_amdhsa_kernel
	.section	.text._ZL34rocblas_syrkx_herkx_general_kernelIldLi16ELi32ELi8ELb1ELb0ELc67ELc76EKddEviT_T0_PT8_S1_lS4_S1_lS2_PT9_S1_li,"axG",@progbits,_ZL34rocblas_syrkx_herkx_general_kernelIldLi16ELi32ELi8ELb1ELb0ELc67ELc76EKddEviT_T0_PT8_S1_lS4_S1_lS2_PT9_S1_li,comdat
.Lfunc_end1064:
	.size	_ZL34rocblas_syrkx_herkx_general_kernelIldLi16ELi32ELi8ELb1ELb0ELc67ELc76EKddEviT_T0_PT8_S1_lS4_S1_lS2_PT9_S1_li, .Lfunc_end1064-_ZL34rocblas_syrkx_herkx_general_kernelIldLi16ELi32ELi8ELb1ELb0ELc67ELc76EKddEviT_T0_PT8_S1_lS4_S1_lS2_PT9_S1_li
                                        ; -- End function
	.section	.AMDGPU.csdata,"",@progbits
; Kernel info:
; codeLenInByte = 1676
; NumSgprs: 34
; NumVgprs: 42
; ScratchSize: 0
; MemoryBound: 0
; FloatMode: 240
; IeeeMode: 1
; LDSByteSize: 4096 bytes/workgroup (compile time only)
; SGPRBlocks: 4
; VGPRBlocks: 5
; NumSGPRsForWavesPerEU: 34
; NumVGPRsForWavesPerEU: 42
; Occupancy: 16
; WaveLimiterHint : 0
; COMPUTE_PGM_RSRC2:SCRATCH_EN: 0
; COMPUTE_PGM_RSRC2:USER_SGPR: 13
; COMPUTE_PGM_RSRC2:TRAP_HANDLER: 0
; COMPUTE_PGM_RSRC2:TGID_X_EN: 1
; COMPUTE_PGM_RSRC2:TGID_Y_EN: 1
; COMPUTE_PGM_RSRC2:TGID_Z_EN: 1
; COMPUTE_PGM_RSRC2:TIDIG_COMP_CNT: 1
	.section	.text._ZL34rocblas_syrkx_herkx_general_kernelIldLi16ELi32ELi8ELb1ELb0ELc78ELc76EKddEviT_T0_PT8_S1_lS4_S1_lS2_PT9_S1_li,"axG",@progbits,_ZL34rocblas_syrkx_herkx_general_kernelIldLi16ELi32ELi8ELb1ELb0ELc78ELc76EKddEviT_T0_PT8_S1_lS4_S1_lS2_PT9_S1_li,comdat
	.globl	_ZL34rocblas_syrkx_herkx_general_kernelIldLi16ELi32ELi8ELb1ELb0ELc78ELc76EKddEviT_T0_PT8_S1_lS4_S1_lS2_PT9_S1_li ; -- Begin function _ZL34rocblas_syrkx_herkx_general_kernelIldLi16ELi32ELi8ELb1ELb0ELc78ELc76EKddEviT_T0_PT8_S1_lS4_S1_lS2_PT9_S1_li
	.p2align	8
	.type	_ZL34rocblas_syrkx_herkx_general_kernelIldLi16ELi32ELi8ELb1ELb0ELc78ELc76EKddEviT_T0_PT8_S1_lS4_S1_lS2_PT9_S1_li,@function
_ZL34rocblas_syrkx_herkx_general_kernelIldLi16ELi32ELi8ELb1ELb0ELc78ELc76EKddEviT_T0_PT8_S1_lS4_S1_lS2_PT9_S1_li: ; @_ZL34rocblas_syrkx_herkx_general_kernelIldLi16ELi32ELi8ELb1ELb0ELc78ELc76EKddEviT_T0_PT8_S1_lS4_S1_lS2_PT9_S1_li
; %bb.0:
	s_clause 0x1
	s_load_b512 s[16:31], s[0:1], 0x8
	s_load_b32 s10, s[0:1], 0x0
	v_mov_b32_e32 v12, 0
	v_dual_mov_b32 v13, 0 :: v_dual_and_b32 v18, 0x3ff, v0
	v_bfe_u32 v19, v0, 10, 10
	s_delay_alu instid0(VALU_DEP_3) | instskip(NEXT) | instid1(VALU_DEP_3)
	v_mov_b32_e32 v10, v12
	v_dual_mov_b32 v2, v12 :: v_dual_mov_b32 v3, v13
	v_dual_mov_b32 v11, v13 :: v_dual_mov_b32 v0, v12
	v_mov_b32_e32 v1, v13
	s_lshl_b32 s11, s13, 5
	s_lshl_b32 s12, s14, 5
	s_mov_b64 s[4:5], 0
	s_waitcnt lgkmcnt(0)
	v_cmp_lt_i64_e64 s2, s[16:17], 1
	s_delay_alu instid0(VALU_DEP_1)
	s_and_b32 vcc_lo, exec_lo, s2
	s_cbranch_vccnz .LBB1065_7
; %bb.1:
	v_lshl_add_u32 v4, v19, 4, v18
	v_and_b32_e32 v20, 7, v18
	s_mul_i32 s3, s25, s15
	s_mul_hi_u32 s6, s24, s15
	s_mul_i32 s2, s24, s15
	v_lshrrev_b32_e32 v21, 5, v4
	v_mad_u64_u32 v[2:3], null, s28, v20, 0
	v_lshrrev_b32_e32 v6, 3, v4
	v_and_b32_e32 v7, 31, v4
	s_delay_alu instid0(VALU_DEP_4) | instskip(SKIP_2) | instid1(VALU_DEP_2)
	v_mad_u64_u32 v[0:1], null, s22, v21, 0
	s_add_i32 s3, s6, s3
	s_mul_i32 s8, s31, s15
	v_or_b32_e32 v8, s11, v7
	v_lshlrev_b32_e32 v11, 3, v7
	v_add_nc_u32_e32 v7, s11, v7
	s_lshl_b64 s[6:7], s[2:3], 3
	s_delay_alu instid0(VALU_DEP_4)
	v_mad_u64_u32 v[4:5], null, s23, v21, v[1:2]
	v_lshlrev_b32_e32 v1, 3, v20
	v_add_nc_u32_e32 v5, s12, v6
	s_mul_hi_u32 s9, s30, s15
	v_cmp_gt_i32_e64 s2, s10, v8
	v_ashrrev_i32_e32 v8, 31, v7
	v_lshl_or_b32 v6, v6, 6, v1
	v_mov_b32_e32 v1, v4
	v_mad_u64_u32 v[9:10], null, s29, v20, v[3:4]
	v_lshlrev_b32_e32 v22, 3, v18
	s_delay_alu instid0(VALU_DEP_4) | instskip(NEXT) | instid1(VALU_DEP_4)
	v_add_nc_u32_e32 v25, 0x800, v6
	v_lshlrev_b64 v[0:1], 3, v[0:1]
	v_ashrrev_i32_e32 v6, 31, v5
	v_cmp_gt_i32_e64 s3, s10, v5
	v_lshl_add_u32 v23, v19, 6, 0x800
	v_mov_b32_e32 v3, v9
	v_add_co_u32 v4, vcc_lo, v0, s6
	v_add_co_ci_u32_e32 v9, vcc_lo, s7, v1, vcc_lo
	s_delay_alu instid0(VALU_DEP_3)
	v_lshlrev_b64 v[0:1], 3, v[2:3]
	s_add_i32 s7, s9, s8
	s_mul_i32 s6, s30, s15
	v_lshlrev_b64 v[2:3], 3, v[7:8]
	s_lshl_b64 s[6:7], s[6:7], 3
	s_lshl_b64 s[8:9], s[28:29], 6
	v_add_co_u32 v7, vcc_lo, s6, v0
	v_add_co_ci_u32_e32 v8, vcc_lo, s7, v1, vcc_lo
	v_lshlrev_b64 v[0:1], 3, v[5:6]
	v_add_co_u32 v2, vcc_lo, v4, v2
	v_add_co_ci_u32_e32 v3, vcc_lo, v9, v3, vcc_lo
	v_mov_b32_e32 v4, 0
	s_delay_alu instid0(VALU_DEP_4)
	v_add_co_u32 v0, vcc_lo, v7, v0
	v_add_co_ci_u32_e32 v1, vcc_lo, v8, v1, vcc_lo
	v_mov_b32_e32 v5, 0
	v_add_co_u32 v6, vcc_lo, s20, v2
	v_add_co_ci_u32_e32 v7, vcc_lo, s21, v3, vcc_lo
	v_add_co_u32 v8, vcc_lo, s26, v0
	v_add_co_ci_u32_e32 v9, vcc_lo, s27, v1, vcc_lo
	v_mov_b32_e32 v0, v4
	v_lshl_or_b32 v24, v21, 8, v11
	v_dual_mov_b32 v2, v4 :: v_dual_mov_b32 v11, v5
	v_dual_mov_b32 v13, v5 :: v_dual_mov_b32 v12, v4
	v_mov_b32_e32 v1, v5
	v_dual_mov_b32 v3, v5 :: v_dual_mov_b32 v10, v4
	s_lshl_b64 s[6:7], s[22:23], 6
	s_branch .LBB1065_3
.LBB1065_2:                             ;   in Loop: Header=BB1065_3 Depth=1
	s_or_b32 exec_lo, exec_lo, s13
	s_waitcnt vmcnt(0)
	ds_store_b64 v25, v[16:17]
	s_waitcnt lgkmcnt(0)
	s_barrier
	buffer_gl0_inv
	ds_load_2addr_b64 v[14:17], v22 offset1:16
	ds_load_b128 v[26:29], v23
	ds_load_b128 v[30:33], v23 offset:1024
	ds_load_b128 v[34:37], v23 offset:16
	;; [unrolled: 1-line block ×3, first 2 shown]
	s_add_u32 s4, s4, 8
	s_addc_u32 s5, s5, 0
	v_add_co_u32 v6, vcc_lo, v6, s6
	v_cmp_ge_i64_e64 s13, s[4:5], s[16:17]
	v_add_co_ci_u32_e32 v7, vcc_lo, s7, v7, vcc_lo
	v_add_co_u32 v8, vcc_lo, v8, s8
	v_add_co_ci_u32_e32 v9, vcc_lo, s9, v9, vcc_lo
	s_delay_alu instid0(VALU_DEP_4)
	s_and_b32 vcc_lo, exec_lo, s13
	s_waitcnt lgkmcnt(3)
	v_fma_f64 v[12:13], v[14:15], v[26:27], v[12:13]
	v_fma_f64 v[10:11], v[16:17], v[26:27], v[10:11]
	s_waitcnt lgkmcnt(2)
	v_fma_f64 v[14:15], v[14:15], v[30:31], v[2:3]
	v_fma_f64 v[16:17], v[16:17], v[30:31], v[0:1]
	ds_load_2addr_b64 v[0:3], v22 offset0:32 offset1:48
	s_waitcnt lgkmcnt(0)
	v_fma_f64 v[12:13], v[0:1], v[28:29], v[12:13]
	v_fma_f64 v[10:11], v[2:3], v[28:29], v[10:11]
	v_fma_f64 v[14:15], v[0:1], v[32:33], v[14:15]
	v_fma_f64 v[16:17], v[2:3], v[32:33], v[16:17]
	ds_load_2addr_b64 v[0:3], v22 offset0:64 offset1:80
	s_waitcnt lgkmcnt(0)
	v_fma_f64 v[12:13], v[0:1], v[34:35], v[12:13]
	v_fma_f64 v[10:11], v[2:3], v[34:35], v[10:11]
	;; [unrolled: 6-line block ×3, first 2 shown]
	v_fma_f64 v[38:39], v[0:1], v[40:41], v[14:15]
	v_fma_f64 v[40:41], v[2:3], v[40:41], v[16:17]
	ds_load_2addr_b64 v[0:3], v22 offset0:128 offset1:144
	ds_load_b128 v[10:13], v23 offset:32
	ds_load_b128 v[14:17], v23 offset:1056
	;; [unrolled: 1-line block ×4, first 2 shown]
	s_waitcnt lgkmcnt(3)
	v_fma_f64 v[34:35], v[0:1], v[10:11], v[34:35]
	v_fma_f64 v[10:11], v[2:3], v[10:11], v[36:37]
	s_waitcnt lgkmcnt(2)
	v_fma_f64 v[36:37], v[0:1], v[14:15], v[38:39]
	v_fma_f64 v[14:15], v[2:3], v[14:15], v[40:41]
	ds_load_2addr_b64 v[0:3], v22 offset0:160 offset1:176
	s_waitcnt lgkmcnt(0)
	v_fma_f64 v[34:35], v[0:1], v[12:13], v[34:35]
	v_fma_f64 v[10:11], v[2:3], v[12:13], v[10:11]
	;; [unrolled: 1-line block ×4, first 2 shown]
	ds_load_2addr_b64 v[0:3], v22 offset0:192 offset1:208
	s_waitcnt lgkmcnt(0)
	v_fma_f64 v[34:35], v[0:1], v[26:27], v[34:35]
	v_fma_f64 v[10:11], v[2:3], v[26:27], v[10:11]
	;; [unrolled: 1-line block ×4, first 2 shown]
	ds_load_2addr_b64 v[14:17], v22 offset0:224 offset1:240
	s_waitcnt lgkmcnt(0)
	s_barrier
	buffer_gl0_inv
	v_fma_f64 v[12:13], v[14:15], v[28:29], v[34:35]
	v_fma_f64 v[10:11], v[16:17], v[28:29], v[10:11]
	;; [unrolled: 1-line block ×4, first 2 shown]
	s_cbranch_vccnz .LBB1065_7
.LBB1065_3:                             ; =>This Inner Loop Header: Depth=1
	v_add_co_u32 v14, s13, v21, s4
	s_delay_alu instid0(VALU_DEP_1) | instskip(NEXT) | instid1(VALU_DEP_1)
	v_add_co_ci_u32_e64 v15, null, 0, s5, s13
	v_cmp_gt_i64_e32 vcc_lo, s[16:17], v[14:15]
	v_dual_mov_b32 v15, v5 :: v_dual_mov_b32 v14, v4
	s_and_b32 s14, s2, vcc_lo
	s_delay_alu instid0(SALU_CYCLE_1)
	s_and_saveexec_b32 s13, s14
	s_cbranch_execz .LBB1065_5
; %bb.4:                                ;   in Loop: Header=BB1065_3 Depth=1
	global_load_b64 v[14:15], v[6:7], off
.LBB1065_5:                             ;   in Loop: Header=BB1065_3 Depth=1
	s_or_b32 exec_lo, exec_lo, s13
	v_add_co_u32 v16, s13, v20, s4
	s_delay_alu instid0(VALU_DEP_1)
	v_add_co_ci_u32_e64 v17, null, 0, s5, s13
	s_waitcnt vmcnt(0)
	ds_store_b64 v24, v[14:15]
	v_cmp_gt_i64_e32 vcc_lo, s[16:17], v[16:17]
	v_dual_mov_b32 v17, v5 :: v_dual_mov_b32 v16, v4
	s_and_b32 s14, vcc_lo, s3
	s_delay_alu instid0(SALU_CYCLE_1)
	s_and_saveexec_b32 s13, s14
	s_cbranch_execz .LBB1065_2
; %bb.6:                                ;   in Loop: Header=BB1065_3 Depth=1
	global_load_b64 v[16:17], v[8:9], off
	s_branch .LBB1065_2
.LBB1065_7:
	s_clause 0x1
	s_load_b128 s[4:7], s[0:1], 0x50
	s_load_b64 s[2:3], s[0:1], 0x60
	v_add_nc_u32_e32 v8, s12, v19
	s_delay_alu instid0(VALU_DEP_1) | instskip(SKIP_1) | instid1(VALU_DEP_1)
	v_ashrrev_i32_e32 v4, 31, v8
	s_waitcnt lgkmcnt(0)
	v_mul_lo_u32 v7, v4, s6
	v_mul_lo_u32 v9, v8, s7
	v_mad_u64_u32 v[5:6], null, v8, s6, 0
	s_mul_i32 s1, s15, s3
	s_mul_hi_u32 s3, s15, s2
	s_mul_i32 s2, s15, s2
	s_add_i32 s3, s3, s1
	v_add_nc_u32_e32 v4, s11, v18
	s_lshl_b64 s[2:3], s[2:3], 3
	s_delay_alu instid0(VALU_DEP_2)
	v_add3_u32 v6, v6, v9, v7
	s_add_u32 s2, s4, s2
	s_addc_u32 s3, s5, s3
	v_cmp_le_i32_e64 s0, v8, v4
	v_cmp_gt_i32_e32 vcc_lo, s10, v4
	v_lshlrev_b64 v[5:6], 3, v[5:6]
	s_delay_alu instid0(VALU_DEP_3) | instskip(NEXT) | instid1(VALU_DEP_1)
	s_and_b32 s0, s0, vcc_lo
	v_add_co_u32 v9, s1, s2, v5
	s_delay_alu instid0(VALU_DEP_1)
	v_add_co_ci_u32_e64 v14, s1, s3, v6, s1
	s_and_saveexec_b32 s1, s0
	s_cbranch_execz .LBB1065_9
; %bb.8:
	v_mul_f64 v[6:7], v[12:13], s[18:19]
	v_ashrrev_i32_e32 v5, 31, v4
	s_delay_alu instid0(VALU_DEP_1) | instskip(NEXT) | instid1(VALU_DEP_1)
	v_lshlrev_b64 v[12:13], 3, v[4:5]
	v_add_co_u32 v12, s0, v9, v12
	s_delay_alu instid0(VALU_DEP_1)
	v_add_co_ci_u32_e64 v13, s0, v14, v13, s0
	global_store_b64 v[12:13], v[6:7], off
.LBB1065_9:
	s_or_b32 exec_lo, exec_lo, s1
	v_add_nc_u32_e32 v6, 16, v4
	s_delay_alu instid0(VALU_DEP_1) | instskip(SKIP_1) | instid1(VALU_DEP_1)
	v_cmp_le_i32_e64 s1, v8, v6
	v_cmp_gt_i32_e64 s0, s10, v6
	s_and_b32 s1, s1, s0
	s_delay_alu instid0(SALU_CYCLE_1)
	s_and_saveexec_b32 s4, s1
	s_cbranch_execz .LBB1065_11
; %bb.10:
	v_mul_f64 v[10:11], v[10:11], s[18:19]
	v_ashrrev_i32_e32 v7, 31, v6
	s_delay_alu instid0(VALU_DEP_1) | instskip(NEXT) | instid1(VALU_DEP_1)
	v_lshlrev_b64 v[12:13], 3, v[6:7]
	v_add_co_u32 v12, s1, v9, v12
	s_delay_alu instid0(VALU_DEP_1)
	v_add_co_ci_u32_e64 v13, s1, v14, v13, s1
	global_store_b64 v[12:13], v[10:11], off
.LBB1065_11:
	s_or_b32 exec_lo, exec_lo, s4
	v_add_nc_u32_e32 v7, 16, v8
	s_delay_alu instid0(VALU_DEP_1) | instskip(SKIP_3) | instid1(VALU_DEP_4)
	v_ashrrev_i32_e32 v5, 31, v7
	v_mul_lo_u32 v10, v7, s7
	v_mad_u64_u32 v[8:9], null, v7, s6, 0
	v_cmp_le_i32_e64 s1, v7, v4
	v_mul_lo_u32 v5, v5, s6
	s_delay_alu instid0(VALU_DEP_1) | instskip(NEXT) | instid1(VALU_DEP_1)
	v_add3_u32 v9, v9, v10, v5
	v_lshlrev_b64 v[8:9], 3, v[8:9]
	s_delay_alu instid0(VALU_DEP_1) | instskip(NEXT) | instid1(VALU_DEP_1)
	v_add_co_u32 v8, s2, s2, v8
	v_add_co_ci_u32_e64 v9, s2, s3, v9, s2
	s_and_b32 s2, s1, vcc_lo
	s_delay_alu instid0(SALU_CYCLE_1)
	s_and_saveexec_b32 s1, s2
	s_cbranch_execz .LBB1065_13
; %bb.12:
	v_mul_f64 v[2:3], v[2:3], s[18:19]
	v_ashrrev_i32_e32 v5, 31, v4
	s_delay_alu instid0(VALU_DEP_1) | instskip(NEXT) | instid1(VALU_DEP_1)
	v_lshlrev_b64 v[4:5], 3, v[4:5]
	v_add_co_u32 v4, vcc_lo, v8, v4
	s_delay_alu instid0(VALU_DEP_2)
	v_add_co_ci_u32_e32 v5, vcc_lo, v9, v5, vcc_lo
	global_store_b64 v[4:5], v[2:3], off
.LBB1065_13:
	s_or_b32 exec_lo, exec_lo, s1
	v_cmp_le_i32_e32 vcc_lo, v7, v6
	s_and_b32 s0, vcc_lo, s0
	s_delay_alu instid0(SALU_CYCLE_1)
	s_and_saveexec_b32 s1, s0
	s_cbranch_execz .LBB1065_15
; %bb.14:
	v_mul_f64 v[0:1], v[0:1], s[18:19]
	v_ashrrev_i32_e32 v7, 31, v6
	s_delay_alu instid0(VALU_DEP_1) | instskip(NEXT) | instid1(VALU_DEP_1)
	v_lshlrev_b64 v[2:3], 3, v[6:7]
	v_add_co_u32 v2, vcc_lo, v8, v2
	s_delay_alu instid0(VALU_DEP_2)
	v_add_co_ci_u32_e32 v3, vcc_lo, v9, v3, vcc_lo
	global_store_b64 v[2:3], v[0:1], off
.LBB1065_15:
	s_nop 0
	s_sendmsg sendmsg(MSG_DEALLOC_VGPRS)
	s_endpgm
	.section	.rodata,"a",@progbits
	.p2align	6, 0x0
	.amdhsa_kernel _ZL34rocblas_syrkx_herkx_general_kernelIldLi16ELi32ELi8ELb1ELb0ELc78ELc76EKddEviT_T0_PT8_S1_lS4_S1_lS2_PT9_S1_li
		.amdhsa_group_segment_fixed_size 4096
		.amdhsa_private_segment_fixed_size 0
		.amdhsa_kernarg_size 108
		.amdhsa_user_sgpr_count 13
		.amdhsa_user_sgpr_dispatch_ptr 0
		.amdhsa_user_sgpr_queue_ptr 0
		.amdhsa_user_sgpr_kernarg_segment_ptr 1
		.amdhsa_user_sgpr_dispatch_id 0
		.amdhsa_user_sgpr_private_segment_size 0
		.amdhsa_wavefront_size32 1
		.amdhsa_uses_dynamic_stack 0
		.amdhsa_enable_private_segment 0
		.amdhsa_system_sgpr_workgroup_id_x 1
		.amdhsa_system_sgpr_workgroup_id_y 1
		.amdhsa_system_sgpr_workgroup_id_z 1
		.amdhsa_system_sgpr_workgroup_info 0
		.amdhsa_system_vgpr_workitem_id 1
		.amdhsa_next_free_vgpr 42
		.amdhsa_next_free_sgpr 32
		.amdhsa_reserve_vcc 1
		.amdhsa_float_round_mode_32 0
		.amdhsa_float_round_mode_16_64 0
		.amdhsa_float_denorm_mode_32 3
		.amdhsa_float_denorm_mode_16_64 3
		.amdhsa_dx10_clamp 1
		.amdhsa_ieee_mode 1
		.amdhsa_fp16_overflow 0
		.amdhsa_workgroup_processor_mode 1
		.amdhsa_memory_ordered 1
		.amdhsa_forward_progress 0
		.amdhsa_shared_vgpr_count 0
		.amdhsa_exception_fp_ieee_invalid_op 0
		.amdhsa_exception_fp_denorm_src 0
		.amdhsa_exception_fp_ieee_div_zero 0
		.amdhsa_exception_fp_ieee_overflow 0
		.amdhsa_exception_fp_ieee_underflow 0
		.amdhsa_exception_fp_ieee_inexact 0
		.amdhsa_exception_int_div_zero 0
	.end_amdhsa_kernel
	.section	.text._ZL34rocblas_syrkx_herkx_general_kernelIldLi16ELi32ELi8ELb1ELb0ELc78ELc76EKddEviT_T0_PT8_S1_lS4_S1_lS2_PT9_S1_li,"axG",@progbits,_ZL34rocblas_syrkx_herkx_general_kernelIldLi16ELi32ELi8ELb1ELb0ELc78ELc76EKddEviT_T0_PT8_S1_lS4_S1_lS2_PT9_S1_li,comdat
.Lfunc_end1065:
	.size	_ZL34rocblas_syrkx_herkx_general_kernelIldLi16ELi32ELi8ELb1ELb0ELc78ELc76EKddEviT_T0_PT8_S1_lS4_S1_lS2_PT9_S1_li, .Lfunc_end1065-_ZL34rocblas_syrkx_herkx_general_kernelIldLi16ELi32ELi8ELb1ELb0ELc78ELc76EKddEviT_T0_PT8_S1_lS4_S1_lS2_PT9_S1_li
                                        ; -- End function
	.section	.AMDGPU.csdata,"",@progbits
; Kernel info:
; codeLenInByte = 1668
; NumSgprs: 34
; NumVgprs: 42
; ScratchSize: 0
; MemoryBound: 0
; FloatMode: 240
; IeeeMode: 1
; LDSByteSize: 4096 bytes/workgroup (compile time only)
; SGPRBlocks: 4
; VGPRBlocks: 5
; NumSGPRsForWavesPerEU: 34
; NumVGPRsForWavesPerEU: 42
; Occupancy: 16
; WaveLimiterHint : 0
; COMPUTE_PGM_RSRC2:SCRATCH_EN: 0
; COMPUTE_PGM_RSRC2:USER_SGPR: 13
; COMPUTE_PGM_RSRC2:TRAP_HANDLER: 0
; COMPUTE_PGM_RSRC2:TGID_X_EN: 1
; COMPUTE_PGM_RSRC2:TGID_Y_EN: 1
; COMPUTE_PGM_RSRC2:TGID_Z_EN: 1
; COMPUTE_PGM_RSRC2:TIDIG_COMP_CNT: 1
	.section	.text._ZL34rocblas_syrkx_herkx_general_kernelIldLi16ELi32ELi8ELb1ELb0ELc84ELc85EKddEviT_T0_PT8_S1_lS4_S1_lS2_PT9_S1_li,"axG",@progbits,_ZL34rocblas_syrkx_herkx_general_kernelIldLi16ELi32ELi8ELb1ELb0ELc84ELc85EKddEviT_T0_PT8_S1_lS4_S1_lS2_PT9_S1_li,comdat
	.globl	_ZL34rocblas_syrkx_herkx_general_kernelIldLi16ELi32ELi8ELb1ELb0ELc84ELc85EKddEviT_T0_PT8_S1_lS4_S1_lS2_PT9_S1_li ; -- Begin function _ZL34rocblas_syrkx_herkx_general_kernelIldLi16ELi32ELi8ELb1ELb0ELc84ELc85EKddEviT_T0_PT8_S1_lS4_S1_lS2_PT9_S1_li
	.p2align	8
	.type	_ZL34rocblas_syrkx_herkx_general_kernelIldLi16ELi32ELi8ELb1ELb0ELc84ELc85EKddEviT_T0_PT8_S1_lS4_S1_lS2_PT9_S1_li,@function
_ZL34rocblas_syrkx_herkx_general_kernelIldLi16ELi32ELi8ELb1ELb0ELc84ELc85EKddEviT_T0_PT8_S1_lS4_S1_lS2_PT9_S1_li: ; @_ZL34rocblas_syrkx_herkx_general_kernelIldLi16ELi32ELi8ELb1ELb0ELc84ELc85EKddEviT_T0_PT8_S1_lS4_S1_lS2_PT9_S1_li
; %bb.0:
	s_clause 0x1
	s_load_b512 s[16:31], s[0:1], 0x8
	s_load_b32 s8, s[0:1], 0x0
	v_mov_b32_e32 v12, 0
	v_dual_mov_b32 v13, 0 :: v_dual_and_b32 v18, 0x3ff, v0
	v_bfe_u32 v19, v0, 10, 10
	s_delay_alu instid0(VALU_DEP_3) | instskip(NEXT) | instid1(VALU_DEP_3)
	v_mov_b32_e32 v10, v12
	v_dual_mov_b32 v2, v12 :: v_dual_mov_b32 v3, v13
	v_dual_mov_b32 v11, v13 :: v_dual_mov_b32 v0, v12
	v_mov_b32_e32 v1, v13
	s_lshl_b32 s9, s13, 5
	s_lshl_b32 s10, s14, 5
	s_mov_b64 s[4:5], 0
	s_waitcnt lgkmcnt(0)
	v_cmp_lt_i64_e64 s2, s[16:17], 1
	s_delay_alu instid0(VALU_DEP_1)
	s_and_b32 vcc_lo, exec_lo, s2
	s_cbranch_vccnz .LBB1066_7
; %bb.1:
	v_lshl_add_u32 v0, v19, 4, v18
	v_and_b32_e32 v20, 7, v18
	s_mul_i32 s3, s25, s15
	s_mul_hi_u32 s6, s24, s15
	s_mul_i32 s2, s24, s15
	v_and_b32_e32 v2, 31, v0
	v_lshrrev_b32_e32 v4, 3, v0
	v_lshrrev_b32_e32 v23, 5, v0
	v_lshlrev_b32_e32 v8, 3, v20
	s_add_i32 s3, s6, s3
	v_add_nc_u32_e32 v3, s9, v2
	v_add_nc_u32_e32 v6, s10, v4
	v_or_b32_e32 v9, s9, v2
	v_lshlrev_b32_e32 v10, 3, v2
	v_lshl_or_b32 v4, v4, 6, v8
	v_ashrrev_i32_e32 v5, 31, v3
	v_mul_lo_u32 v7, s23, v3
	v_mad_u64_u32 v[0:1], null, s22, v3, 0
	v_ashrrev_i32_e32 v11, 31, v6
	s_delay_alu instid0(VALU_DEP_4)
	v_mul_lo_u32 v5, s22, v5
	v_mul_lo_u32 v12, s29, v6
	v_mad_u64_u32 v[2:3], null, s28, v6, 0
	s_lshl_b64 s[6:7], s[2:3], 3
	v_add_nc_u32_e32 v25, 0x800, v4
	s_mul_i32 s11, s31, s15
	v_lshlrev_b32_e32 v21, 3, v18
	v_add3_u32 v1, v1, v5, v7
	v_mul_lo_u32 v5, s28, v11
	v_cmp_gt_i32_e64 s3, s8, v6
	v_cmp_gt_i32_e64 s2, s8, v9
	v_lshl_add_u32 v22, v19, 6, 0x800
	v_lshlrev_b64 v[0:1], 3, v[0:1]
	v_add3_u32 v3, v3, v5, v12
	s_delay_alu instid0(VALU_DEP_2) | instskip(NEXT) | instid1(VALU_DEP_3)
	v_add_co_u32 v4, vcc_lo, v0, s6
	v_add_co_ci_u32_e32 v5, vcc_lo, s7, v1, vcc_lo
	s_mul_hi_u32 s6, s30, s15
	s_delay_alu instid0(VALU_DEP_3)
	v_lshlrev_b64 v[0:1], 3, v[2:3]
	s_add_i32 s7, s6, s11
	s_mul_i32 s6, s30, s15
	v_lshlrev_b32_e32 v2, 3, v23
	s_lshl_b64 s[6:7], s[6:7], 3
	s_delay_alu instid0(VALU_DEP_2) | instid1(SALU_CYCLE_1)
	v_add_co_u32 v0, vcc_lo, v0, s6
	v_add_co_ci_u32_e32 v1, vcc_lo, s7, v1, vcc_lo
	s_delay_alu instid0(VALU_DEP_3) | instskip(SKIP_3) | instid1(VALU_DEP_1)
	v_add_co_u32 v2, vcc_lo, v4, v2
	v_add_co_ci_u32_e32 v3, vcc_lo, 0, v5, vcc_lo
	v_mov_b32_e32 v4, 0
	v_mov_b32_e32 v5, 0
	;; [unrolled: 1-line block ×3, first 2 shown]
	v_lshl_or_b32 v24, v23, 8, v10
	v_mov_b32_e32 v11, v5
	v_add_co_u32 v0, vcc_lo, v0, v8
	v_add_co_ci_u32_e32 v1, vcc_lo, 0, v1, vcc_lo
	v_add_co_u32 v6, vcc_lo, s20, v2
	v_add_co_ci_u32_e32 v7, vcc_lo, s21, v3, vcc_lo
	s_delay_alu instid0(VALU_DEP_4) | instskip(NEXT) | instid1(VALU_DEP_4)
	v_add_co_u32 v8, vcc_lo, s26, v0
	v_add_co_ci_u32_e32 v9, vcc_lo, s27, v1, vcc_lo
	v_mov_b32_e32 v0, v4
	v_dual_mov_b32 v2, v4 :: v_dual_mov_b32 v1, v5
	v_dual_mov_b32 v3, v5 :: v_dual_mov_b32 v10, v4
	v_mov_b32_e32 v12, v4
	s_branch .LBB1066_3
.LBB1066_2:                             ;   in Loop: Header=BB1066_3 Depth=1
	s_or_b32 exec_lo, exec_lo, s6
	s_waitcnt vmcnt(0)
	ds_store_b64 v25, v[16:17]
	s_waitcnt lgkmcnt(0)
	s_barrier
	buffer_gl0_inv
	ds_load_2addr_b64 v[14:17], v21 offset1:16
	ds_load_b128 v[26:29], v22
	ds_load_b128 v[30:33], v22 offset:1024
	ds_load_b128 v[34:37], v22 offset:16
	;; [unrolled: 1-line block ×3, first 2 shown]
	s_add_u32 s4, s4, 8
	s_addc_u32 s5, s5, 0
	v_add_co_u32 v6, vcc_lo, v6, 64
	v_cmp_ge_i64_e64 s6, s[4:5], s[16:17]
	v_add_co_ci_u32_e32 v7, vcc_lo, 0, v7, vcc_lo
	v_add_co_u32 v8, vcc_lo, v8, 64
	v_add_co_ci_u32_e32 v9, vcc_lo, 0, v9, vcc_lo
	s_delay_alu instid0(VALU_DEP_4)
	s_and_b32 vcc_lo, exec_lo, s6
	s_waitcnt lgkmcnt(3)
	v_fma_f64 v[12:13], v[14:15], v[26:27], v[12:13]
	v_fma_f64 v[10:11], v[16:17], v[26:27], v[10:11]
	s_waitcnt lgkmcnt(2)
	v_fma_f64 v[14:15], v[14:15], v[30:31], v[2:3]
	v_fma_f64 v[16:17], v[16:17], v[30:31], v[0:1]
	ds_load_2addr_b64 v[0:3], v21 offset0:32 offset1:48
	s_waitcnt lgkmcnt(0)
	v_fma_f64 v[12:13], v[0:1], v[28:29], v[12:13]
	v_fma_f64 v[10:11], v[2:3], v[28:29], v[10:11]
	v_fma_f64 v[14:15], v[0:1], v[32:33], v[14:15]
	v_fma_f64 v[16:17], v[2:3], v[32:33], v[16:17]
	ds_load_2addr_b64 v[0:3], v21 offset0:64 offset1:80
	s_waitcnt lgkmcnt(0)
	v_fma_f64 v[12:13], v[0:1], v[34:35], v[12:13]
	v_fma_f64 v[10:11], v[2:3], v[34:35], v[10:11]
	;; [unrolled: 6-line block ×3, first 2 shown]
	v_fma_f64 v[38:39], v[0:1], v[40:41], v[14:15]
	v_fma_f64 v[40:41], v[2:3], v[40:41], v[16:17]
	ds_load_2addr_b64 v[0:3], v21 offset0:128 offset1:144
	ds_load_b128 v[10:13], v22 offset:32
	ds_load_b128 v[14:17], v22 offset:1056
	;; [unrolled: 1-line block ×4, first 2 shown]
	s_waitcnt lgkmcnt(3)
	v_fma_f64 v[34:35], v[0:1], v[10:11], v[34:35]
	v_fma_f64 v[10:11], v[2:3], v[10:11], v[36:37]
	s_waitcnt lgkmcnt(2)
	v_fma_f64 v[36:37], v[0:1], v[14:15], v[38:39]
	v_fma_f64 v[14:15], v[2:3], v[14:15], v[40:41]
	ds_load_2addr_b64 v[0:3], v21 offset0:160 offset1:176
	s_waitcnt lgkmcnt(0)
	v_fma_f64 v[34:35], v[0:1], v[12:13], v[34:35]
	v_fma_f64 v[10:11], v[2:3], v[12:13], v[10:11]
	;; [unrolled: 1-line block ×4, first 2 shown]
	ds_load_2addr_b64 v[0:3], v21 offset0:192 offset1:208
	s_waitcnt lgkmcnt(0)
	v_fma_f64 v[34:35], v[0:1], v[26:27], v[34:35]
	v_fma_f64 v[10:11], v[2:3], v[26:27], v[10:11]
	;; [unrolled: 1-line block ×4, first 2 shown]
	ds_load_2addr_b64 v[14:17], v21 offset0:224 offset1:240
	s_waitcnt lgkmcnt(0)
	s_barrier
	buffer_gl0_inv
	v_fma_f64 v[12:13], v[14:15], v[28:29], v[34:35]
	v_fma_f64 v[10:11], v[16:17], v[28:29], v[10:11]
	;; [unrolled: 1-line block ×4, first 2 shown]
	s_cbranch_vccnz .LBB1066_7
.LBB1066_3:                             ; =>This Inner Loop Header: Depth=1
	v_add_co_u32 v14, s6, v23, s4
	s_delay_alu instid0(VALU_DEP_1) | instskip(NEXT) | instid1(VALU_DEP_1)
	v_add_co_ci_u32_e64 v15, null, 0, s5, s6
	v_cmp_gt_i64_e32 vcc_lo, s[16:17], v[14:15]
	v_dual_mov_b32 v15, v5 :: v_dual_mov_b32 v14, v4
	s_and_b32 s7, s2, vcc_lo
	s_delay_alu instid0(SALU_CYCLE_1)
	s_and_saveexec_b32 s6, s7
	s_cbranch_execz .LBB1066_5
; %bb.4:                                ;   in Loop: Header=BB1066_3 Depth=1
	global_load_b64 v[14:15], v[6:7], off
.LBB1066_5:                             ;   in Loop: Header=BB1066_3 Depth=1
	s_or_b32 exec_lo, exec_lo, s6
	v_add_co_u32 v16, s6, v20, s4
	s_delay_alu instid0(VALU_DEP_1)
	v_add_co_ci_u32_e64 v17, null, 0, s5, s6
	s_waitcnt vmcnt(0)
	ds_store_b64 v24, v[14:15]
	v_cmp_gt_i64_e32 vcc_lo, s[16:17], v[16:17]
	v_dual_mov_b32 v17, v5 :: v_dual_mov_b32 v16, v4
	s_and_b32 s7, vcc_lo, s3
	s_delay_alu instid0(SALU_CYCLE_1)
	s_and_saveexec_b32 s6, s7
	s_cbranch_execz .LBB1066_2
; %bb.6:                                ;   in Loop: Header=BB1066_3 Depth=1
	global_load_b64 v[16:17], v[8:9], off
	s_branch .LBB1066_2
.LBB1066_7:
	s_load_b128 s[4:7], s[0:1], 0x50
	v_add_nc_u32_e32 v8, s10, v19
	s_load_b64 s[0:1], s[0:1], 0x60
	s_delay_alu instid0(VALU_DEP_1) | instskip(SKIP_2) | instid1(VALU_DEP_2)
	v_ashrrev_i32_e32 v4, 31, v8
	v_cmp_gt_i32_e32 vcc_lo, s8, v8
	s_waitcnt lgkmcnt(0)
	v_mul_lo_u32 v7, v4, s6
	v_mul_lo_u32 v9, v8, s7
	v_mad_u64_u32 v[5:6], null, v8, s6, 0
	s_mul_i32 s1, s15, s1
	s_mul_hi_u32 s2, s15, s0
	s_mul_i32 s0, s15, s0
	s_add_i32 s1, s2, s1
	v_add_nc_u32_e32 v4, s9, v18
	s_lshl_b64 s[2:3], s[0:1], 3
	s_delay_alu instid0(VALU_DEP_2) | instskip(SKIP_3) | instid1(VALU_DEP_2)
	v_add3_u32 v6, v6, v9, v7
	s_add_u32 s2, s4, s2
	s_addc_u32 s3, s5, s3
	v_cmp_le_i32_e64 s0, v4, v8
	v_lshlrev_b64 v[5:6], 3, v[5:6]
	s_delay_alu instid0(VALU_DEP_2) | instskip(NEXT) | instid1(VALU_DEP_1)
	s_and_b32 s0, vcc_lo, s0
	v_add_co_u32 v9, s1, s2, v5
	s_delay_alu instid0(VALU_DEP_1)
	v_add_co_ci_u32_e64 v14, s1, s3, v6, s1
	s_and_saveexec_b32 s1, s0
	s_cbranch_execz .LBB1066_9
; %bb.8:
	v_mul_f64 v[6:7], v[12:13], s[18:19]
	v_ashrrev_i32_e32 v5, 31, v4
	s_delay_alu instid0(VALU_DEP_1) | instskip(NEXT) | instid1(VALU_DEP_1)
	v_lshlrev_b64 v[12:13], 3, v[4:5]
	v_add_co_u32 v12, s0, v9, v12
	s_delay_alu instid0(VALU_DEP_1)
	v_add_co_ci_u32_e64 v13, s0, v14, v13, s0
	global_store_b64 v[12:13], v[6:7], off
.LBB1066_9:
	s_or_b32 exec_lo, exec_lo, s1
	v_add_nc_u32_e32 v6, 16, v4
	s_delay_alu instid0(VALU_DEP_1) | instskip(NEXT) | instid1(VALU_DEP_1)
	v_cmp_le_i32_e64 s0, v6, v8
	s_and_b32 s1, vcc_lo, s0
	s_delay_alu instid0(SALU_CYCLE_1)
	s_and_saveexec_b32 s0, s1
	s_cbranch_execz .LBB1066_11
; %bb.10:
	v_mul_f64 v[10:11], v[10:11], s[18:19]
	v_ashrrev_i32_e32 v7, 31, v6
	s_delay_alu instid0(VALU_DEP_1) | instskip(NEXT) | instid1(VALU_DEP_1)
	v_lshlrev_b64 v[12:13], 3, v[6:7]
	v_add_co_u32 v12, vcc_lo, v9, v12
	s_delay_alu instid0(VALU_DEP_2)
	v_add_co_ci_u32_e32 v13, vcc_lo, v14, v13, vcc_lo
	global_store_b64 v[12:13], v[10:11], off
.LBB1066_11:
	s_or_b32 exec_lo, exec_lo, s0
	v_add_nc_u32_e32 v7, 16, v8
	s_delay_alu instid0(VALU_DEP_1) | instskip(SKIP_3) | instid1(VALU_DEP_4)
	v_ashrrev_i32_e32 v5, 31, v7
	v_mul_lo_u32 v10, v7, s7
	v_mad_u64_u32 v[8:9], null, v7, s6, 0
	v_cmp_gt_i32_e32 vcc_lo, s8, v7
	v_mul_lo_u32 v5, v5, s6
	v_cmp_le_i32_e64 s0, v4, v7
	s_delay_alu instid0(VALU_DEP_1) | instskip(NEXT) | instid1(VALU_DEP_2)
	s_and_b32 s0, vcc_lo, s0
	v_add3_u32 v9, v9, v10, v5
	s_delay_alu instid0(VALU_DEP_1) | instskip(NEXT) | instid1(VALU_DEP_1)
	v_lshlrev_b64 v[8:9], 3, v[8:9]
	v_add_co_u32 v8, s1, s2, v8
	s_delay_alu instid0(VALU_DEP_1)
	v_add_co_ci_u32_e64 v9, s1, s3, v9, s1
	s_and_saveexec_b32 s1, s0
	s_cbranch_execz .LBB1066_13
; %bb.12:
	v_mul_f64 v[2:3], v[2:3], s[18:19]
	v_ashrrev_i32_e32 v5, 31, v4
	s_delay_alu instid0(VALU_DEP_1) | instskip(NEXT) | instid1(VALU_DEP_1)
	v_lshlrev_b64 v[4:5], 3, v[4:5]
	v_add_co_u32 v4, s0, v8, v4
	s_delay_alu instid0(VALU_DEP_1)
	v_add_co_ci_u32_e64 v5, s0, v9, v5, s0
	global_store_b64 v[4:5], v[2:3], off
.LBB1066_13:
	s_or_b32 exec_lo, exec_lo, s1
	v_cmp_le_i32_e64 s0, v6, v7
	s_delay_alu instid0(VALU_DEP_1) | instskip(NEXT) | instid1(SALU_CYCLE_1)
	s_and_b32 s0, vcc_lo, s0
	s_and_saveexec_b32 s1, s0
	s_cbranch_execz .LBB1066_15
; %bb.14:
	v_mul_f64 v[0:1], v[0:1], s[18:19]
	v_ashrrev_i32_e32 v7, 31, v6
	s_delay_alu instid0(VALU_DEP_1) | instskip(NEXT) | instid1(VALU_DEP_1)
	v_lshlrev_b64 v[2:3], 3, v[6:7]
	v_add_co_u32 v2, vcc_lo, v8, v2
	s_delay_alu instid0(VALU_DEP_2)
	v_add_co_ci_u32_e32 v3, vcc_lo, v9, v3, vcc_lo
	global_store_b64 v[2:3], v[0:1], off
.LBB1066_15:
	s_nop 0
	s_sendmsg sendmsg(MSG_DEALLOC_VGPRS)
	s_endpgm
	.section	.rodata,"a",@progbits
	.p2align	6, 0x0
	.amdhsa_kernel _ZL34rocblas_syrkx_herkx_general_kernelIldLi16ELi32ELi8ELb1ELb0ELc84ELc85EKddEviT_T0_PT8_S1_lS4_S1_lS2_PT9_S1_li
		.amdhsa_group_segment_fixed_size 4096
		.amdhsa_private_segment_fixed_size 0
		.amdhsa_kernarg_size 108
		.amdhsa_user_sgpr_count 13
		.amdhsa_user_sgpr_dispatch_ptr 0
		.amdhsa_user_sgpr_queue_ptr 0
		.amdhsa_user_sgpr_kernarg_segment_ptr 1
		.amdhsa_user_sgpr_dispatch_id 0
		.amdhsa_user_sgpr_private_segment_size 0
		.amdhsa_wavefront_size32 1
		.amdhsa_uses_dynamic_stack 0
		.amdhsa_enable_private_segment 0
		.amdhsa_system_sgpr_workgroup_id_x 1
		.amdhsa_system_sgpr_workgroup_id_y 1
		.amdhsa_system_sgpr_workgroup_id_z 1
		.amdhsa_system_sgpr_workgroup_info 0
		.amdhsa_system_vgpr_workitem_id 1
		.amdhsa_next_free_vgpr 42
		.amdhsa_next_free_sgpr 32
		.amdhsa_reserve_vcc 1
		.amdhsa_float_round_mode_32 0
		.amdhsa_float_round_mode_16_64 0
		.amdhsa_float_denorm_mode_32 3
		.amdhsa_float_denorm_mode_16_64 3
		.amdhsa_dx10_clamp 1
		.amdhsa_ieee_mode 1
		.amdhsa_fp16_overflow 0
		.amdhsa_workgroup_processor_mode 1
		.amdhsa_memory_ordered 1
		.amdhsa_forward_progress 0
		.amdhsa_shared_vgpr_count 0
		.amdhsa_exception_fp_ieee_invalid_op 0
		.amdhsa_exception_fp_denorm_src 0
		.amdhsa_exception_fp_ieee_div_zero 0
		.amdhsa_exception_fp_ieee_overflow 0
		.amdhsa_exception_fp_ieee_underflow 0
		.amdhsa_exception_fp_ieee_inexact 0
		.amdhsa_exception_int_div_zero 0
	.end_amdhsa_kernel
	.section	.text._ZL34rocblas_syrkx_herkx_general_kernelIldLi16ELi32ELi8ELb1ELb0ELc84ELc85EKddEviT_T0_PT8_S1_lS4_S1_lS2_PT9_S1_li,"axG",@progbits,_ZL34rocblas_syrkx_herkx_general_kernelIldLi16ELi32ELi8ELb1ELb0ELc84ELc85EKddEviT_T0_PT8_S1_lS4_S1_lS2_PT9_S1_li,comdat
.Lfunc_end1066:
	.size	_ZL34rocblas_syrkx_herkx_general_kernelIldLi16ELi32ELi8ELb1ELb0ELc84ELc85EKddEviT_T0_PT8_S1_lS4_S1_lS2_PT9_S1_li, .Lfunc_end1066-_ZL34rocblas_syrkx_herkx_general_kernelIldLi16ELi32ELi8ELb1ELb0ELc84ELc85EKddEviT_T0_PT8_S1_lS4_S1_lS2_PT9_S1_li
                                        ; -- End function
	.section	.AMDGPU.csdata,"",@progbits
; Kernel info:
; codeLenInByte = 1672
; NumSgprs: 34
; NumVgprs: 42
; ScratchSize: 0
; MemoryBound: 0
; FloatMode: 240
; IeeeMode: 1
; LDSByteSize: 4096 bytes/workgroup (compile time only)
; SGPRBlocks: 4
; VGPRBlocks: 5
; NumSGPRsForWavesPerEU: 34
; NumVGPRsForWavesPerEU: 42
; Occupancy: 16
; WaveLimiterHint : 0
; COMPUTE_PGM_RSRC2:SCRATCH_EN: 0
; COMPUTE_PGM_RSRC2:USER_SGPR: 13
; COMPUTE_PGM_RSRC2:TRAP_HANDLER: 0
; COMPUTE_PGM_RSRC2:TGID_X_EN: 1
; COMPUTE_PGM_RSRC2:TGID_Y_EN: 1
; COMPUTE_PGM_RSRC2:TGID_Z_EN: 1
; COMPUTE_PGM_RSRC2:TIDIG_COMP_CNT: 1
	.section	.text._ZL34rocblas_syrkx_herkx_general_kernelIldLi16ELi32ELi8ELb1ELb0ELc67ELc85EKddEviT_T0_PT8_S1_lS4_S1_lS2_PT9_S1_li,"axG",@progbits,_ZL34rocblas_syrkx_herkx_general_kernelIldLi16ELi32ELi8ELb1ELb0ELc67ELc85EKddEviT_T0_PT8_S1_lS4_S1_lS2_PT9_S1_li,comdat
	.globl	_ZL34rocblas_syrkx_herkx_general_kernelIldLi16ELi32ELi8ELb1ELb0ELc67ELc85EKddEviT_T0_PT8_S1_lS4_S1_lS2_PT9_S1_li ; -- Begin function _ZL34rocblas_syrkx_herkx_general_kernelIldLi16ELi32ELi8ELb1ELb0ELc67ELc85EKddEviT_T0_PT8_S1_lS4_S1_lS2_PT9_S1_li
	.p2align	8
	.type	_ZL34rocblas_syrkx_herkx_general_kernelIldLi16ELi32ELi8ELb1ELb0ELc67ELc85EKddEviT_T0_PT8_S1_lS4_S1_lS2_PT9_S1_li,@function
_ZL34rocblas_syrkx_herkx_general_kernelIldLi16ELi32ELi8ELb1ELb0ELc67ELc85EKddEviT_T0_PT8_S1_lS4_S1_lS2_PT9_S1_li: ; @_ZL34rocblas_syrkx_herkx_general_kernelIldLi16ELi32ELi8ELb1ELb0ELc67ELc85EKddEviT_T0_PT8_S1_lS4_S1_lS2_PT9_S1_li
; %bb.0:
	s_clause 0x1
	s_load_b512 s[16:31], s[0:1], 0x8
	s_load_b32 s8, s[0:1], 0x0
	v_mov_b32_e32 v12, 0
	v_dual_mov_b32 v13, 0 :: v_dual_and_b32 v18, 0x3ff, v0
	v_bfe_u32 v19, v0, 10, 10
	s_delay_alu instid0(VALU_DEP_3) | instskip(NEXT) | instid1(VALU_DEP_3)
	v_mov_b32_e32 v10, v12
	v_dual_mov_b32 v2, v12 :: v_dual_mov_b32 v3, v13
	v_dual_mov_b32 v11, v13 :: v_dual_mov_b32 v0, v12
	v_mov_b32_e32 v1, v13
	s_lshl_b32 s9, s13, 5
	s_lshl_b32 s10, s14, 5
	s_mov_b64 s[4:5], 0
	s_waitcnt lgkmcnt(0)
	v_cmp_lt_i64_e64 s2, s[16:17], 1
	s_delay_alu instid0(VALU_DEP_1)
	s_and_b32 vcc_lo, exec_lo, s2
	s_cbranch_vccnz .LBB1067_7
; %bb.1:
	v_lshl_add_u32 v0, v19, 4, v18
	v_and_b32_e32 v20, 7, v18
	s_mul_i32 s3, s25, s15
	s_mul_hi_u32 s6, s24, s15
	s_mul_i32 s2, s24, s15
	v_and_b32_e32 v2, 31, v0
	v_lshrrev_b32_e32 v4, 3, v0
	v_lshrrev_b32_e32 v23, 5, v0
	v_lshlrev_b32_e32 v8, 3, v20
	s_add_i32 s3, s6, s3
	v_add_nc_u32_e32 v3, s9, v2
	v_add_nc_u32_e32 v6, s10, v4
	v_or_b32_e32 v9, s9, v2
	v_lshlrev_b32_e32 v10, 3, v2
	v_lshl_or_b32 v4, v4, 6, v8
	v_ashrrev_i32_e32 v5, 31, v3
	v_mul_lo_u32 v7, s23, v3
	v_mad_u64_u32 v[0:1], null, s22, v3, 0
	v_ashrrev_i32_e32 v11, 31, v6
	s_delay_alu instid0(VALU_DEP_4)
	v_mul_lo_u32 v5, s22, v5
	v_mul_lo_u32 v12, s29, v6
	v_mad_u64_u32 v[2:3], null, s28, v6, 0
	s_lshl_b64 s[6:7], s[2:3], 3
	v_add_nc_u32_e32 v25, 0x800, v4
	s_mul_i32 s11, s31, s15
	v_lshlrev_b32_e32 v21, 3, v18
	v_add3_u32 v1, v1, v5, v7
	v_mul_lo_u32 v5, s28, v11
	v_cmp_gt_i32_e64 s3, s8, v6
	v_cmp_gt_i32_e64 s2, s8, v9
	v_lshl_add_u32 v22, v19, 6, 0x800
	v_lshlrev_b64 v[0:1], 3, v[0:1]
	v_add3_u32 v3, v3, v5, v12
	s_delay_alu instid0(VALU_DEP_2) | instskip(NEXT) | instid1(VALU_DEP_3)
	v_add_co_u32 v4, vcc_lo, v0, s6
	v_add_co_ci_u32_e32 v5, vcc_lo, s7, v1, vcc_lo
	s_mul_hi_u32 s6, s30, s15
	s_delay_alu instid0(VALU_DEP_3)
	v_lshlrev_b64 v[0:1], 3, v[2:3]
	s_add_i32 s7, s6, s11
	s_mul_i32 s6, s30, s15
	v_lshlrev_b32_e32 v2, 3, v23
	s_lshl_b64 s[6:7], s[6:7], 3
	s_delay_alu instid0(VALU_DEP_2) | instid1(SALU_CYCLE_1)
	v_add_co_u32 v0, vcc_lo, v0, s6
	v_add_co_ci_u32_e32 v1, vcc_lo, s7, v1, vcc_lo
	s_delay_alu instid0(VALU_DEP_3) | instskip(SKIP_3) | instid1(VALU_DEP_1)
	v_add_co_u32 v2, vcc_lo, v4, v2
	v_add_co_ci_u32_e32 v3, vcc_lo, 0, v5, vcc_lo
	v_mov_b32_e32 v4, 0
	v_mov_b32_e32 v5, 0
	;; [unrolled: 1-line block ×3, first 2 shown]
	v_lshl_or_b32 v24, v23, 8, v10
	v_mov_b32_e32 v11, v5
	v_add_co_u32 v0, vcc_lo, v0, v8
	v_add_co_ci_u32_e32 v1, vcc_lo, 0, v1, vcc_lo
	v_add_co_u32 v6, vcc_lo, s20, v2
	v_add_co_ci_u32_e32 v7, vcc_lo, s21, v3, vcc_lo
	s_delay_alu instid0(VALU_DEP_4) | instskip(NEXT) | instid1(VALU_DEP_4)
	v_add_co_u32 v8, vcc_lo, s26, v0
	v_add_co_ci_u32_e32 v9, vcc_lo, s27, v1, vcc_lo
	v_mov_b32_e32 v0, v4
	v_dual_mov_b32 v2, v4 :: v_dual_mov_b32 v1, v5
	v_dual_mov_b32 v3, v5 :: v_dual_mov_b32 v10, v4
	v_mov_b32_e32 v12, v4
	s_branch .LBB1067_3
.LBB1067_2:                             ;   in Loop: Header=BB1067_3 Depth=1
	s_or_b32 exec_lo, exec_lo, s6
	s_waitcnt vmcnt(0)
	ds_store_b64 v25, v[16:17]
	s_waitcnt lgkmcnt(0)
	s_barrier
	buffer_gl0_inv
	ds_load_2addr_b64 v[14:17], v21 offset1:16
	ds_load_b128 v[26:29], v22
	ds_load_b128 v[30:33], v22 offset:1024
	ds_load_b128 v[34:37], v22 offset:16
	ds_load_b128 v[38:41], v22 offset:1040
	s_add_u32 s4, s4, 8
	s_addc_u32 s5, s5, 0
	v_add_co_u32 v6, vcc_lo, v6, 64
	v_cmp_ge_i64_e64 s6, s[4:5], s[16:17]
	v_add_co_ci_u32_e32 v7, vcc_lo, 0, v7, vcc_lo
	v_add_co_u32 v8, vcc_lo, v8, 64
	v_add_co_ci_u32_e32 v9, vcc_lo, 0, v9, vcc_lo
	s_delay_alu instid0(VALU_DEP_4)
	s_and_b32 vcc_lo, exec_lo, s6
	s_waitcnt lgkmcnt(3)
	v_fma_f64 v[12:13], v[14:15], v[26:27], v[12:13]
	v_fma_f64 v[10:11], v[16:17], v[26:27], v[10:11]
	s_waitcnt lgkmcnt(2)
	v_fma_f64 v[14:15], v[14:15], v[30:31], v[2:3]
	v_fma_f64 v[16:17], v[16:17], v[30:31], v[0:1]
	ds_load_2addr_b64 v[0:3], v21 offset0:32 offset1:48
	s_waitcnt lgkmcnt(0)
	v_fma_f64 v[12:13], v[0:1], v[28:29], v[12:13]
	v_fma_f64 v[10:11], v[2:3], v[28:29], v[10:11]
	v_fma_f64 v[14:15], v[0:1], v[32:33], v[14:15]
	v_fma_f64 v[16:17], v[2:3], v[32:33], v[16:17]
	ds_load_2addr_b64 v[0:3], v21 offset0:64 offset1:80
	s_waitcnt lgkmcnt(0)
	v_fma_f64 v[12:13], v[0:1], v[34:35], v[12:13]
	v_fma_f64 v[10:11], v[2:3], v[34:35], v[10:11]
	;; [unrolled: 6-line block ×3, first 2 shown]
	v_fma_f64 v[38:39], v[0:1], v[40:41], v[14:15]
	v_fma_f64 v[40:41], v[2:3], v[40:41], v[16:17]
	ds_load_2addr_b64 v[0:3], v21 offset0:128 offset1:144
	ds_load_b128 v[10:13], v22 offset:32
	ds_load_b128 v[14:17], v22 offset:1056
	;; [unrolled: 1-line block ×4, first 2 shown]
	s_waitcnt lgkmcnt(3)
	v_fma_f64 v[34:35], v[0:1], v[10:11], v[34:35]
	v_fma_f64 v[10:11], v[2:3], v[10:11], v[36:37]
	s_waitcnt lgkmcnt(2)
	v_fma_f64 v[36:37], v[0:1], v[14:15], v[38:39]
	v_fma_f64 v[14:15], v[2:3], v[14:15], v[40:41]
	ds_load_2addr_b64 v[0:3], v21 offset0:160 offset1:176
	s_waitcnt lgkmcnt(0)
	v_fma_f64 v[34:35], v[0:1], v[12:13], v[34:35]
	v_fma_f64 v[10:11], v[2:3], v[12:13], v[10:11]
	;; [unrolled: 1-line block ×4, first 2 shown]
	ds_load_2addr_b64 v[0:3], v21 offset0:192 offset1:208
	s_waitcnt lgkmcnt(0)
	v_fma_f64 v[34:35], v[0:1], v[26:27], v[34:35]
	v_fma_f64 v[10:11], v[2:3], v[26:27], v[10:11]
	;; [unrolled: 1-line block ×4, first 2 shown]
	ds_load_2addr_b64 v[14:17], v21 offset0:224 offset1:240
	s_waitcnt lgkmcnt(0)
	s_barrier
	buffer_gl0_inv
	v_fma_f64 v[12:13], v[14:15], v[28:29], v[34:35]
	v_fma_f64 v[10:11], v[16:17], v[28:29], v[10:11]
	;; [unrolled: 1-line block ×4, first 2 shown]
	s_cbranch_vccnz .LBB1067_7
.LBB1067_3:                             ; =>This Inner Loop Header: Depth=1
	v_add_co_u32 v14, s6, v23, s4
	s_delay_alu instid0(VALU_DEP_1) | instskip(NEXT) | instid1(VALU_DEP_1)
	v_add_co_ci_u32_e64 v15, null, 0, s5, s6
	v_cmp_gt_i64_e32 vcc_lo, s[16:17], v[14:15]
	v_dual_mov_b32 v15, v5 :: v_dual_mov_b32 v14, v4
	s_and_b32 s7, s2, vcc_lo
	s_delay_alu instid0(SALU_CYCLE_1)
	s_and_saveexec_b32 s6, s7
	s_cbranch_execz .LBB1067_5
; %bb.4:                                ;   in Loop: Header=BB1067_3 Depth=1
	global_load_b64 v[14:15], v[6:7], off
.LBB1067_5:                             ;   in Loop: Header=BB1067_3 Depth=1
	s_or_b32 exec_lo, exec_lo, s6
	v_add_co_u32 v16, s6, v20, s4
	s_delay_alu instid0(VALU_DEP_1)
	v_add_co_ci_u32_e64 v17, null, 0, s5, s6
	s_waitcnt vmcnt(0)
	ds_store_b64 v24, v[14:15]
	v_cmp_gt_i64_e32 vcc_lo, s[16:17], v[16:17]
	v_dual_mov_b32 v17, v5 :: v_dual_mov_b32 v16, v4
	s_and_b32 s7, vcc_lo, s3
	s_delay_alu instid0(SALU_CYCLE_1)
	s_and_saveexec_b32 s6, s7
	s_cbranch_execz .LBB1067_2
; %bb.6:                                ;   in Loop: Header=BB1067_3 Depth=1
	global_load_b64 v[16:17], v[8:9], off
	s_branch .LBB1067_2
.LBB1067_7:
	s_load_b128 s[4:7], s[0:1], 0x50
	v_add_nc_u32_e32 v8, s10, v19
	s_load_b64 s[0:1], s[0:1], 0x60
	s_delay_alu instid0(VALU_DEP_1) | instskip(SKIP_2) | instid1(VALU_DEP_2)
	v_ashrrev_i32_e32 v4, 31, v8
	v_cmp_gt_i32_e32 vcc_lo, s8, v8
	s_waitcnt lgkmcnt(0)
	v_mul_lo_u32 v7, v4, s6
	v_mul_lo_u32 v9, v8, s7
	v_mad_u64_u32 v[5:6], null, v8, s6, 0
	s_mul_i32 s1, s15, s1
	s_mul_hi_u32 s2, s15, s0
	s_mul_i32 s0, s15, s0
	s_add_i32 s1, s2, s1
	v_add_nc_u32_e32 v4, s9, v18
	s_lshl_b64 s[2:3], s[0:1], 3
	s_delay_alu instid0(VALU_DEP_2) | instskip(SKIP_3) | instid1(VALU_DEP_2)
	v_add3_u32 v6, v6, v9, v7
	s_add_u32 s2, s4, s2
	s_addc_u32 s3, s5, s3
	v_cmp_le_i32_e64 s0, v4, v8
	v_lshlrev_b64 v[5:6], 3, v[5:6]
	s_delay_alu instid0(VALU_DEP_2) | instskip(NEXT) | instid1(VALU_DEP_1)
	s_and_b32 s0, vcc_lo, s0
	v_add_co_u32 v9, s1, s2, v5
	s_delay_alu instid0(VALU_DEP_1)
	v_add_co_ci_u32_e64 v14, s1, s3, v6, s1
	s_and_saveexec_b32 s1, s0
	s_cbranch_execz .LBB1067_9
; %bb.8:
	v_mul_f64 v[6:7], v[12:13], s[18:19]
	v_ashrrev_i32_e32 v5, 31, v4
	s_delay_alu instid0(VALU_DEP_1) | instskip(NEXT) | instid1(VALU_DEP_1)
	v_lshlrev_b64 v[12:13], 3, v[4:5]
	v_add_co_u32 v12, s0, v9, v12
	s_delay_alu instid0(VALU_DEP_1)
	v_add_co_ci_u32_e64 v13, s0, v14, v13, s0
	global_store_b64 v[12:13], v[6:7], off
.LBB1067_9:
	s_or_b32 exec_lo, exec_lo, s1
	v_add_nc_u32_e32 v6, 16, v4
	s_delay_alu instid0(VALU_DEP_1) | instskip(NEXT) | instid1(VALU_DEP_1)
	v_cmp_le_i32_e64 s0, v6, v8
	s_and_b32 s1, vcc_lo, s0
	s_delay_alu instid0(SALU_CYCLE_1)
	s_and_saveexec_b32 s0, s1
	s_cbranch_execz .LBB1067_11
; %bb.10:
	v_mul_f64 v[10:11], v[10:11], s[18:19]
	v_ashrrev_i32_e32 v7, 31, v6
	s_delay_alu instid0(VALU_DEP_1) | instskip(NEXT) | instid1(VALU_DEP_1)
	v_lshlrev_b64 v[12:13], 3, v[6:7]
	v_add_co_u32 v12, vcc_lo, v9, v12
	s_delay_alu instid0(VALU_DEP_2)
	v_add_co_ci_u32_e32 v13, vcc_lo, v14, v13, vcc_lo
	global_store_b64 v[12:13], v[10:11], off
.LBB1067_11:
	s_or_b32 exec_lo, exec_lo, s0
	v_add_nc_u32_e32 v7, 16, v8
	s_delay_alu instid0(VALU_DEP_1) | instskip(SKIP_3) | instid1(VALU_DEP_4)
	v_ashrrev_i32_e32 v5, 31, v7
	v_mul_lo_u32 v10, v7, s7
	v_mad_u64_u32 v[8:9], null, v7, s6, 0
	v_cmp_gt_i32_e32 vcc_lo, s8, v7
	v_mul_lo_u32 v5, v5, s6
	v_cmp_le_i32_e64 s0, v4, v7
	s_delay_alu instid0(VALU_DEP_1) | instskip(NEXT) | instid1(VALU_DEP_2)
	s_and_b32 s0, vcc_lo, s0
	v_add3_u32 v9, v9, v10, v5
	s_delay_alu instid0(VALU_DEP_1) | instskip(NEXT) | instid1(VALU_DEP_1)
	v_lshlrev_b64 v[8:9], 3, v[8:9]
	v_add_co_u32 v8, s1, s2, v8
	s_delay_alu instid0(VALU_DEP_1)
	v_add_co_ci_u32_e64 v9, s1, s3, v9, s1
	s_and_saveexec_b32 s1, s0
	s_cbranch_execz .LBB1067_13
; %bb.12:
	v_mul_f64 v[2:3], v[2:3], s[18:19]
	v_ashrrev_i32_e32 v5, 31, v4
	s_delay_alu instid0(VALU_DEP_1) | instskip(NEXT) | instid1(VALU_DEP_1)
	v_lshlrev_b64 v[4:5], 3, v[4:5]
	v_add_co_u32 v4, s0, v8, v4
	s_delay_alu instid0(VALU_DEP_1)
	v_add_co_ci_u32_e64 v5, s0, v9, v5, s0
	global_store_b64 v[4:5], v[2:3], off
.LBB1067_13:
	s_or_b32 exec_lo, exec_lo, s1
	v_cmp_le_i32_e64 s0, v6, v7
	s_delay_alu instid0(VALU_DEP_1) | instskip(NEXT) | instid1(SALU_CYCLE_1)
	s_and_b32 s0, vcc_lo, s0
	s_and_saveexec_b32 s1, s0
	s_cbranch_execz .LBB1067_15
; %bb.14:
	v_mul_f64 v[0:1], v[0:1], s[18:19]
	v_ashrrev_i32_e32 v7, 31, v6
	s_delay_alu instid0(VALU_DEP_1) | instskip(NEXT) | instid1(VALU_DEP_1)
	v_lshlrev_b64 v[2:3], 3, v[6:7]
	v_add_co_u32 v2, vcc_lo, v8, v2
	s_delay_alu instid0(VALU_DEP_2)
	v_add_co_ci_u32_e32 v3, vcc_lo, v9, v3, vcc_lo
	global_store_b64 v[2:3], v[0:1], off
.LBB1067_15:
	s_nop 0
	s_sendmsg sendmsg(MSG_DEALLOC_VGPRS)
	s_endpgm
	.section	.rodata,"a",@progbits
	.p2align	6, 0x0
	.amdhsa_kernel _ZL34rocblas_syrkx_herkx_general_kernelIldLi16ELi32ELi8ELb1ELb0ELc67ELc85EKddEviT_T0_PT8_S1_lS4_S1_lS2_PT9_S1_li
		.amdhsa_group_segment_fixed_size 4096
		.amdhsa_private_segment_fixed_size 0
		.amdhsa_kernarg_size 108
		.amdhsa_user_sgpr_count 13
		.amdhsa_user_sgpr_dispatch_ptr 0
		.amdhsa_user_sgpr_queue_ptr 0
		.amdhsa_user_sgpr_kernarg_segment_ptr 1
		.amdhsa_user_sgpr_dispatch_id 0
		.amdhsa_user_sgpr_private_segment_size 0
		.amdhsa_wavefront_size32 1
		.amdhsa_uses_dynamic_stack 0
		.amdhsa_enable_private_segment 0
		.amdhsa_system_sgpr_workgroup_id_x 1
		.amdhsa_system_sgpr_workgroup_id_y 1
		.amdhsa_system_sgpr_workgroup_id_z 1
		.amdhsa_system_sgpr_workgroup_info 0
		.amdhsa_system_vgpr_workitem_id 1
		.amdhsa_next_free_vgpr 42
		.amdhsa_next_free_sgpr 32
		.amdhsa_reserve_vcc 1
		.amdhsa_float_round_mode_32 0
		.amdhsa_float_round_mode_16_64 0
		.amdhsa_float_denorm_mode_32 3
		.amdhsa_float_denorm_mode_16_64 3
		.amdhsa_dx10_clamp 1
		.amdhsa_ieee_mode 1
		.amdhsa_fp16_overflow 0
		.amdhsa_workgroup_processor_mode 1
		.amdhsa_memory_ordered 1
		.amdhsa_forward_progress 0
		.amdhsa_shared_vgpr_count 0
		.amdhsa_exception_fp_ieee_invalid_op 0
		.amdhsa_exception_fp_denorm_src 0
		.amdhsa_exception_fp_ieee_div_zero 0
		.amdhsa_exception_fp_ieee_overflow 0
		.amdhsa_exception_fp_ieee_underflow 0
		.amdhsa_exception_fp_ieee_inexact 0
		.amdhsa_exception_int_div_zero 0
	.end_amdhsa_kernel
	.section	.text._ZL34rocblas_syrkx_herkx_general_kernelIldLi16ELi32ELi8ELb1ELb0ELc67ELc85EKddEviT_T0_PT8_S1_lS4_S1_lS2_PT9_S1_li,"axG",@progbits,_ZL34rocblas_syrkx_herkx_general_kernelIldLi16ELi32ELi8ELb1ELb0ELc67ELc85EKddEviT_T0_PT8_S1_lS4_S1_lS2_PT9_S1_li,comdat
.Lfunc_end1067:
	.size	_ZL34rocblas_syrkx_herkx_general_kernelIldLi16ELi32ELi8ELb1ELb0ELc67ELc85EKddEviT_T0_PT8_S1_lS4_S1_lS2_PT9_S1_li, .Lfunc_end1067-_ZL34rocblas_syrkx_herkx_general_kernelIldLi16ELi32ELi8ELb1ELb0ELc67ELc85EKddEviT_T0_PT8_S1_lS4_S1_lS2_PT9_S1_li
                                        ; -- End function
	.section	.AMDGPU.csdata,"",@progbits
; Kernel info:
; codeLenInByte = 1672
; NumSgprs: 34
; NumVgprs: 42
; ScratchSize: 0
; MemoryBound: 0
; FloatMode: 240
; IeeeMode: 1
; LDSByteSize: 4096 bytes/workgroup (compile time only)
; SGPRBlocks: 4
; VGPRBlocks: 5
; NumSGPRsForWavesPerEU: 34
; NumVGPRsForWavesPerEU: 42
; Occupancy: 16
; WaveLimiterHint : 0
; COMPUTE_PGM_RSRC2:SCRATCH_EN: 0
; COMPUTE_PGM_RSRC2:USER_SGPR: 13
; COMPUTE_PGM_RSRC2:TRAP_HANDLER: 0
; COMPUTE_PGM_RSRC2:TGID_X_EN: 1
; COMPUTE_PGM_RSRC2:TGID_Y_EN: 1
; COMPUTE_PGM_RSRC2:TGID_Z_EN: 1
; COMPUTE_PGM_RSRC2:TIDIG_COMP_CNT: 1
	.section	.text._ZL34rocblas_syrkx_herkx_general_kernelIldLi16ELi32ELi8ELb1ELb0ELc78ELc85EKddEviT_T0_PT8_S1_lS4_S1_lS2_PT9_S1_li,"axG",@progbits,_ZL34rocblas_syrkx_herkx_general_kernelIldLi16ELi32ELi8ELb1ELb0ELc78ELc85EKddEviT_T0_PT8_S1_lS4_S1_lS2_PT9_S1_li,comdat
	.globl	_ZL34rocblas_syrkx_herkx_general_kernelIldLi16ELi32ELi8ELb1ELb0ELc78ELc85EKddEviT_T0_PT8_S1_lS4_S1_lS2_PT9_S1_li ; -- Begin function _ZL34rocblas_syrkx_herkx_general_kernelIldLi16ELi32ELi8ELb1ELb0ELc78ELc85EKddEviT_T0_PT8_S1_lS4_S1_lS2_PT9_S1_li
	.p2align	8
	.type	_ZL34rocblas_syrkx_herkx_general_kernelIldLi16ELi32ELi8ELb1ELb0ELc78ELc85EKddEviT_T0_PT8_S1_lS4_S1_lS2_PT9_S1_li,@function
_ZL34rocblas_syrkx_herkx_general_kernelIldLi16ELi32ELi8ELb1ELb0ELc78ELc85EKddEviT_T0_PT8_S1_lS4_S1_lS2_PT9_S1_li: ; @_ZL34rocblas_syrkx_herkx_general_kernelIldLi16ELi32ELi8ELb1ELb0ELc78ELc85EKddEviT_T0_PT8_S1_lS4_S1_lS2_PT9_S1_li
; %bb.0:
	s_clause 0x1
	s_load_b512 s[16:31], s[0:1], 0x8
	s_load_b32 s10, s[0:1], 0x0
	v_mov_b32_e32 v12, 0
	v_dual_mov_b32 v13, 0 :: v_dual_and_b32 v18, 0x3ff, v0
	v_bfe_u32 v19, v0, 10, 10
	s_delay_alu instid0(VALU_DEP_3) | instskip(NEXT) | instid1(VALU_DEP_3)
	v_mov_b32_e32 v10, v12
	v_dual_mov_b32 v2, v12 :: v_dual_mov_b32 v3, v13
	v_dual_mov_b32 v11, v13 :: v_dual_mov_b32 v0, v12
	v_mov_b32_e32 v1, v13
	s_lshl_b32 s11, s13, 5
	s_lshl_b32 s12, s14, 5
	s_mov_b64 s[4:5], 0
	s_waitcnt lgkmcnt(0)
	v_cmp_lt_i64_e64 s2, s[16:17], 1
	s_delay_alu instid0(VALU_DEP_1)
	s_and_b32 vcc_lo, exec_lo, s2
	s_cbranch_vccnz .LBB1068_7
; %bb.1:
	v_lshl_add_u32 v4, v19, 4, v18
	v_and_b32_e32 v20, 7, v18
	s_mul_i32 s3, s25, s15
	s_mul_hi_u32 s6, s24, s15
	s_mul_i32 s2, s24, s15
	v_lshrrev_b32_e32 v21, 5, v4
	v_mad_u64_u32 v[2:3], null, s28, v20, 0
	v_lshrrev_b32_e32 v6, 3, v4
	v_and_b32_e32 v7, 31, v4
	s_delay_alu instid0(VALU_DEP_4) | instskip(SKIP_2) | instid1(VALU_DEP_2)
	v_mad_u64_u32 v[0:1], null, s22, v21, 0
	s_add_i32 s3, s6, s3
	s_mul_i32 s8, s31, s15
	v_or_b32_e32 v8, s11, v7
	v_lshlrev_b32_e32 v11, 3, v7
	v_add_nc_u32_e32 v7, s11, v7
	s_lshl_b64 s[6:7], s[2:3], 3
	s_delay_alu instid0(VALU_DEP_4)
	v_mad_u64_u32 v[4:5], null, s23, v21, v[1:2]
	v_lshlrev_b32_e32 v1, 3, v20
	v_add_nc_u32_e32 v5, s12, v6
	s_mul_hi_u32 s9, s30, s15
	v_cmp_gt_i32_e64 s2, s10, v8
	v_ashrrev_i32_e32 v8, 31, v7
	v_lshl_or_b32 v6, v6, 6, v1
	v_mov_b32_e32 v1, v4
	v_mad_u64_u32 v[9:10], null, s29, v20, v[3:4]
	v_lshlrev_b32_e32 v22, 3, v18
	s_delay_alu instid0(VALU_DEP_4) | instskip(NEXT) | instid1(VALU_DEP_4)
	v_add_nc_u32_e32 v25, 0x800, v6
	v_lshlrev_b64 v[0:1], 3, v[0:1]
	v_ashrrev_i32_e32 v6, 31, v5
	v_cmp_gt_i32_e64 s3, s10, v5
	v_lshl_add_u32 v23, v19, 6, 0x800
	v_mov_b32_e32 v3, v9
	v_add_co_u32 v4, vcc_lo, v0, s6
	v_add_co_ci_u32_e32 v9, vcc_lo, s7, v1, vcc_lo
	s_delay_alu instid0(VALU_DEP_3)
	v_lshlrev_b64 v[0:1], 3, v[2:3]
	s_add_i32 s7, s9, s8
	s_mul_i32 s6, s30, s15
	v_lshlrev_b64 v[2:3], 3, v[7:8]
	s_lshl_b64 s[6:7], s[6:7], 3
	s_lshl_b64 s[8:9], s[28:29], 6
	v_add_co_u32 v7, vcc_lo, s6, v0
	v_add_co_ci_u32_e32 v8, vcc_lo, s7, v1, vcc_lo
	v_lshlrev_b64 v[0:1], 3, v[5:6]
	v_add_co_u32 v2, vcc_lo, v4, v2
	v_add_co_ci_u32_e32 v3, vcc_lo, v9, v3, vcc_lo
	v_mov_b32_e32 v4, 0
	s_delay_alu instid0(VALU_DEP_4)
	v_add_co_u32 v0, vcc_lo, v7, v0
	v_add_co_ci_u32_e32 v1, vcc_lo, v8, v1, vcc_lo
	v_mov_b32_e32 v5, 0
	v_add_co_u32 v6, vcc_lo, s20, v2
	v_add_co_ci_u32_e32 v7, vcc_lo, s21, v3, vcc_lo
	v_add_co_u32 v8, vcc_lo, s26, v0
	v_add_co_ci_u32_e32 v9, vcc_lo, s27, v1, vcc_lo
	v_mov_b32_e32 v0, v4
	v_lshl_or_b32 v24, v21, 8, v11
	v_dual_mov_b32 v2, v4 :: v_dual_mov_b32 v11, v5
	v_dual_mov_b32 v13, v5 :: v_dual_mov_b32 v12, v4
	v_mov_b32_e32 v1, v5
	v_dual_mov_b32 v3, v5 :: v_dual_mov_b32 v10, v4
	s_lshl_b64 s[6:7], s[22:23], 6
	s_branch .LBB1068_3
.LBB1068_2:                             ;   in Loop: Header=BB1068_3 Depth=1
	s_or_b32 exec_lo, exec_lo, s13
	s_waitcnt vmcnt(0)
	ds_store_b64 v25, v[16:17]
	s_waitcnt lgkmcnt(0)
	s_barrier
	buffer_gl0_inv
	ds_load_2addr_b64 v[14:17], v22 offset1:16
	ds_load_b128 v[26:29], v23
	ds_load_b128 v[30:33], v23 offset:1024
	ds_load_b128 v[34:37], v23 offset:16
	;; [unrolled: 1-line block ×3, first 2 shown]
	s_add_u32 s4, s4, 8
	s_addc_u32 s5, s5, 0
	v_add_co_u32 v6, vcc_lo, v6, s6
	v_cmp_ge_i64_e64 s13, s[4:5], s[16:17]
	v_add_co_ci_u32_e32 v7, vcc_lo, s7, v7, vcc_lo
	v_add_co_u32 v8, vcc_lo, v8, s8
	v_add_co_ci_u32_e32 v9, vcc_lo, s9, v9, vcc_lo
	s_delay_alu instid0(VALU_DEP_4)
	s_and_b32 vcc_lo, exec_lo, s13
	s_waitcnt lgkmcnt(3)
	v_fma_f64 v[12:13], v[14:15], v[26:27], v[12:13]
	v_fma_f64 v[10:11], v[16:17], v[26:27], v[10:11]
	s_waitcnt lgkmcnt(2)
	v_fma_f64 v[14:15], v[14:15], v[30:31], v[2:3]
	v_fma_f64 v[16:17], v[16:17], v[30:31], v[0:1]
	ds_load_2addr_b64 v[0:3], v22 offset0:32 offset1:48
	s_waitcnt lgkmcnt(0)
	v_fma_f64 v[12:13], v[0:1], v[28:29], v[12:13]
	v_fma_f64 v[10:11], v[2:3], v[28:29], v[10:11]
	v_fma_f64 v[14:15], v[0:1], v[32:33], v[14:15]
	v_fma_f64 v[16:17], v[2:3], v[32:33], v[16:17]
	ds_load_2addr_b64 v[0:3], v22 offset0:64 offset1:80
	s_waitcnt lgkmcnt(0)
	v_fma_f64 v[12:13], v[0:1], v[34:35], v[12:13]
	v_fma_f64 v[10:11], v[2:3], v[34:35], v[10:11]
	;; [unrolled: 6-line block ×3, first 2 shown]
	v_fma_f64 v[38:39], v[0:1], v[40:41], v[14:15]
	v_fma_f64 v[40:41], v[2:3], v[40:41], v[16:17]
	ds_load_2addr_b64 v[0:3], v22 offset0:128 offset1:144
	ds_load_b128 v[10:13], v23 offset:32
	ds_load_b128 v[14:17], v23 offset:1056
	;; [unrolled: 1-line block ×4, first 2 shown]
	s_waitcnt lgkmcnt(3)
	v_fma_f64 v[34:35], v[0:1], v[10:11], v[34:35]
	v_fma_f64 v[10:11], v[2:3], v[10:11], v[36:37]
	s_waitcnt lgkmcnt(2)
	v_fma_f64 v[36:37], v[0:1], v[14:15], v[38:39]
	v_fma_f64 v[14:15], v[2:3], v[14:15], v[40:41]
	ds_load_2addr_b64 v[0:3], v22 offset0:160 offset1:176
	s_waitcnt lgkmcnt(0)
	v_fma_f64 v[34:35], v[0:1], v[12:13], v[34:35]
	v_fma_f64 v[10:11], v[2:3], v[12:13], v[10:11]
	;; [unrolled: 1-line block ×4, first 2 shown]
	ds_load_2addr_b64 v[0:3], v22 offset0:192 offset1:208
	s_waitcnt lgkmcnt(0)
	v_fma_f64 v[34:35], v[0:1], v[26:27], v[34:35]
	v_fma_f64 v[10:11], v[2:3], v[26:27], v[10:11]
	;; [unrolled: 1-line block ×4, first 2 shown]
	ds_load_2addr_b64 v[14:17], v22 offset0:224 offset1:240
	s_waitcnt lgkmcnt(0)
	s_barrier
	buffer_gl0_inv
	v_fma_f64 v[12:13], v[14:15], v[28:29], v[34:35]
	v_fma_f64 v[10:11], v[16:17], v[28:29], v[10:11]
	;; [unrolled: 1-line block ×4, first 2 shown]
	s_cbranch_vccnz .LBB1068_7
.LBB1068_3:                             ; =>This Inner Loop Header: Depth=1
	v_add_co_u32 v14, s13, v21, s4
	s_delay_alu instid0(VALU_DEP_1) | instskip(NEXT) | instid1(VALU_DEP_1)
	v_add_co_ci_u32_e64 v15, null, 0, s5, s13
	v_cmp_gt_i64_e32 vcc_lo, s[16:17], v[14:15]
	v_dual_mov_b32 v15, v5 :: v_dual_mov_b32 v14, v4
	s_and_b32 s14, s2, vcc_lo
	s_delay_alu instid0(SALU_CYCLE_1)
	s_and_saveexec_b32 s13, s14
	s_cbranch_execz .LBB1068_5
; %bb.4:                                ;   in Loop: Header=BB1068_3 Depth=1
	global_load_b64 v[14:15], v[6:7], off
.LBB1068_5:                             ;   in Loop: Header=BB1068_3 Depth=1
	s_or_b32 exec_lo, exec_lo, s13
	v_add_co_u32 v16, s13, v20, s4
	s_delay_alu instid0(VALU_DEP_1)
	v_add_co_ci_u32_e64 v17, null, 0, s5, s13
	s_waitcnt vmcnt(0)
	ds_store_b64 v24, v[14:15]
	v_cmp_gt_i64_e32 vcc_lo, s[16:17], v[16:17]
	v_dual_mov_b32 v17, v5 :: v_dual_mov_b32 v16, v4
	s_and_b32 s14, vcc_lo, s3
	s_delay_alu instid0(SALU_CYCLE_1)
	s_and_saveexec_b32 s13, s14
	s_cbranch_execz .LBB1068_2
; %bb.6:                                ;   in Loop: Header=BB1068_3 Depth=1
	global_load_b64 v[16:17], v[8:9], off
	s_branch .LBB1068_2
.LBB1068_7:
	s_load_b128 s[4:7], s[0:1], 0x50
	v_add_nc_u32_e32 v8, s12, v19
	s_load_b64 s[0:1], s[0:1], 0x60
	s_delay_alu instid0(VALU_DEP_1) | instskip(SKIP_2) | instid1(VALU_DEP_2)
	v_ashrrev_i32_e32 v4, 31, v8
	v_cmp_gt_i32_e32 vcc_lo, s10, v8
	s_waitcnt lgkmcnt(0)
	v_mul_lo_u32 v7, v4, s6
	v_mul_lo_u32 v9, v8, s7
	v_mad_u64_u32 v[5:6], null, v8, s6, 0
	s_mul_i32 s1, s15, s1
	s_mul_hi_u32 s2, s15, s0
	s_mul_i32 s0, s15, s0
	s_add_i32 s1, s2, s1
	v_add_nc_u32_e32 v4, s11, v18
	s_lshl_b64 s[2:3], s[0:1], 3
	s_delay_alu instid0(VALU_DEP_2) | instskip(SKIP_3) | instid1(VALU_DEP_2)
	v_add3_u32 v6, v6, v9, v7
	s_add_u32 s2, s4, s2
	s_addc_u32 s3, s5, s3
	v_cmp_le_i32_e64 s0, v4, v8
	v_lshlrev_b64 v[5:6], 3, v[5:6]
	s_delay_alu instid0(VALU_DEP_2) | instskip(NEXT) | instid1(VALU_DEP_1)
	s_and_b32 s0, vcc_lo, s0
	v_add_co_u32 v9, s1, s2, v5
	s_delay_alu instid0(VALU_DEP_1)
	v_add_co_ci_u32_e64 v14, s1, s3, v6, s1
	s_and_saveexec_b32 s1, s0
	s_cbranch_execz .LBB1068_9
; %bb.8:
	v_mul_f64 v[6:7], v[12:13], s[18:19]
	v_ashrrev_i32_e32 v5, 31, v4
	s_delay_alu instid0(VALU_DEP_1) | instskip(NEXT) | instid1(VALU_DEP_1)
	v_lshlrev_b64 v[12:13], 3, v[4:5]
	v_add_co_u32 v12, s0, v9, v12
	s_delay_alu instid0(VALU_DEP_1)
	v_add_co_ci_u32_e64 v13, s0, v14, v13, s0
	global_store_b64 v[12:13], v[6:7], off
.LBB1068_9:
	s_or_b32 exec_lo, exec_lo, s1
	v_add_nc_u32_e32 v6, 16, v4
	s_delay_alu instid0(VALU_DEP_1) | instskip(NEXT) | instid1(VALU_DEP_1)
	v_cmp_le_i32_e64 s0, v6, v8
	s_and_b32 s1, vcc_lo, s0
	s_delay_alu instid0(SALU_CYCLE_1)
	s_and_saveexec_b32 s0, s1
	s_cbranch_execz .LBB1068_11
; %bb.10:
	v_mul_f64 v[10:11], v[10:11], s[18:19]
	v_ashrrev_i32_e32 v7, 31, v6
	s_delay_alu instid0(VALU_DEP_1) | instskip(NEXT) | instid1(VALU_DEP_1)
	v_lshlrev_b64 v[12:13], 3, v[6:7]
	v_add_co_u32 v12, vcc_lo, v9, v12
	s_delay_alu instid0(VALU_DEP_2)
	v_add_co_ci_u32_e32 v13, vcc_lo, v14, v13, vcc_lo
	global_store_b64 v[12:13], v[10:11], off
.LBB1068_11:
	s_or_b32 exec_lo, exec_lo, s0
	v_add_nc_u32_e32 v7, 16, v8
	s_delay_alu instid0(VALU_DEP_1) | instskip(SKIP_3) | instid1(VALU_DEP_4)
	v_ashrrev_i32_e32 v5, 31, v7
	v_mul_lo_u32 v10, v7, s7
	v_mad_u64_u32 v[8:9], null, v7, s6, 0
	v_cmp_gt_i32_e32 vcc_lo, s10, v7
	v_mul_lo_u32 v5, v5, s6
	v_cmp_le_i32_e64 s0, v4, v7
	s_delay_alu instid0(VALU_DEP_1) | instskip(NEXT) | instid1(VALU_DEP_2)
	s_and_b32 s0, vcc_lo, s0
	v_add3_u32 v9, v9, v10, v5
	s_delay_alu instid0(VALU_DEP_1) | instskip(NEXT) | instid1(VALU_DEP_1)
	v_lshlrev_b64 v[8:9], 3, v[8:9]
	v_add_co_u32 v8, s1, s2, v8
	s_delay_alu instid0(VALU_DEP_1)
	v_add_co_ci_u32_e64 v9, s1, s3, v9, s1
	s_and_saveexec_b32 s1, s0
	s_cbranch_execz .LBB1068_13
; %bb.12:
	v_mul_f64 v[2:3], v[2:3], s[18:19]
	v_ashrrev_i32_e32 v5, 31, v4
	s_delay_alu instid0(VALU_DEP_1) | instskip(NEXT) | instid1(VALU_DEP_1)
	v_lshlrev_b64 v[4:5], 3, v[4:5]
	v_add_co_u32 v4, s0, v8, v4
	s_delay_alu instid0(VALU_DEP_1)
	v_add_co_ci_u32_e64 v5, s0, v9, v5, s0
	global_store_b64 v[4:5], v[2:3], off
.LBB1068_13:
	s_or_b32 exec_lo, exec_lo, s1
	v_cmp_le_i32_e64 s0, v6, v7
	s_delay_alu instid0(VALU_DEP_1) | instskip(NEXT) | instid1(SALU_CYCLE_1)
	s_and_b32 s0, vcc_lo, s0
	s_and_saveexec_b32 s1, s0
	s_cbranch_execz .LBB1068_15
; %bb.14:
	v_mul_f64 v[0:1], v[0:1], s[18:19]
	v_ashrrev_i32_e32 v7, 31, v6
	s_delay_alu instid0(VALU_DEP_1) | instskip(NEXT) | instid1(VALU_DEP_1)
	v_lshlrev_b64 v[2:3], 3, v[6:7]
	v_add_co_u32 v2, vcc_lo, v8, v2
	s_delay_alu instid0(VALU_DEP_2)
	v_add_co_ci_u32_e32 v3, vcc_lo, v9, v3, vcc_lo
	global_store_b64 v[2:3], v[0:1], off
.LBB1068_15:
	s_nop 0
	s_sendmsg sendmsg(MSG_DEALLOC_VGPRS)
	s_endpgm
	.section	.rodata,"a",@progbits
	.p2align	6, 0x0
	.amdhsa_kernel _ZL34rocblas_syrkx_herkx_general_kernelIldLi16ELi32ELi8ELb1ELb0ELc78ELc85EKddEviT_T0_PT8_S1_lS4_S1_lS2_PT9_S1_li
		.amdhsa_group_segment_fixed_size 4096
		.amdhsa_private_segment_fixed_size 0
		.amdhsa_kernarg_size 108
		.amdhsa_user_sgpr_count 13
		.amdhsa_user_sgpr_dispatch_ptr 0
		.amdhsa_user_sgpr_queue_ptr 0
		.amdhsa_user_sgpr_kernarg_segment_ptr 1
		.amdhsa_user_sgpr_dispatch_id 0
		.amdhsa_user_sgpr_private_segment_size 0
		.amdhsa_wavefront_size32 1
		.amdhsa_uses_dynamic_stack 0
		.amdhsa_enable_private_segment 0
		.amdhsa_system_sgpr_workgroup_id_x 1
		.amdhsa_system_sgpr_workgroup_id_y 1
		.amdhsa_system_sgpr_workgroup_id_z 1
		.amdhsa_system_sgpr_workgroup_info 0
		.amdhsa_system_vgpr_workitem_id 1
		.amdhsa_next_free_vgpr 42
		.amdhsa_next_free_sgpr 32
		.amdhsa_reserve_vcc 1
		.amdhsa_float_round_mode_32 0
		.amdhsa_float_round_mode_16_64 0
		.amdhsa_float_denorm_mode_32 3
		.amdhsa_float_denorm_mode_16_64 3
		.amdhsa_dx10_clamp 1
		.amdhsa_ieee_mode 1
		.amdhsa_fp16_overflow 0
		.amdhsa_workgroup_processor_mode 1
		.amdhsa_memory_ordered 1
		.amdhsa_forward_progress 0
		.amdhsa_shared_vgpr_count 0
		.amdhsa_exception_fp_ieee_invalid_op 0
		.amdhsa_exception_fp_denorm_src 0
		.amdhsa_exception_fp_ieee_div_zero 0
		.amdhsa_exception_fp_ieee_overflow 0
		.amdhsa_exception_fp_ieee_underflow 0
		.amdhsa_exception_fp_ieee_inexact 0
		.amdhsa_exception_int_div_zero 0
	.end_amdhsa_kernel
	.section	.text._ZL34rocblas_syrkx_herkx_general_kernelIldLi16ELi32ELi8ELb1ELb0ELc78ELc85EKddEviT_T0_PT8_S1_lS4_S1_lS2_PT9_S1_li,"axG",@progbits,_ZL34rocblas_syrkx_herkx_general_kernelIldLi16ELi32ELi8ELb1ELb0ELc78ELc85EKddEviT_T0_PT8_S1_lS4_S1_lS2_PT9_S1_li,comdat
.Lfunc_end1068:
	.size	_ZL34rocblas_syrkx_herkx_general_kernelIldLi16ELi32ELi8ELb1ELb0ELc78ELc85EKddEviT_T0_PT8_S1_lS4_S1_lS2_PT9_S1_li, .Lfunc_end1068-_ZL34rocblas_syrkx_herkx_general_kernelIldLi16ELi32ELi8ELb1ELb0ELc78ELc85EKddEviT_T0_PT8_S1_lS4_S1_lS2_PT9_S1_li
                                        ; -- End function
	.section	.AMDGPU.csdata,"",@progbits
; Kernel info:
; codeLenInByte = 1664
; NumSgprs: 34
; NumVgprs: 42
; ScratchSize: 0
; MemoryBound: 0
; FloatMode: 240
; IeeeMode: 1
; LDSByteSize: 4096 bytes/workgroup (compile time only)
; SGPRBlocks: 4
; VGPRBlocks: 5
; NumSGPRsForWavesPerEU: 34
; NumVGPRsForWavesPerEU: 42
; Occupancy: 16
; WaveLimiterHint : 0
; COMPUTE_PGM_RSRC2:SCRATCH_EN: 0
; COMPUTE_PGM_RSRC2:USER_SGPR: 13
; COMPUTE_PGM_RSRC2:TRAP_HANDLER: 0
; COMPUTE_PGM_RSRC2:TGID_X_EN: 1
; COMPUTE_PGM_RSRC2:TGID_Y_EN: 1
; COMPUTE_PGM_RSRC2:TGID_Z_EN: 1
; COMPUTE_PGM_RSRC2:TIDIG_COMP_CNT: 1
	.section	.text._ZL34rocblas_syrkx_herkx_general_kernelIldLi16ELi32ELi8ELb0ELb0ELc84ELc76EKddEviT_T0_PT8_S1_lS4_S1_lS2_PT9_S1_li,"axG",@progbits,_ZL34rocblas_syrkx_herkx_general_kernelIldLi16ELi32ELi8ELb0ELb0ELc84ELc76EKddEviT_T0_PT8_S1_lS4_S1_lS2_PT9_S1_li,comdat
	.globl	_ZL34rocblas_syrkx_herkx_general_kernelIldLi16ELi32ELi8ELb0ELb0ELc84ELc76EKddEviT_T0_PT8_S1_lS4_S1_lS2_PT9_S1_li ; -- Begin function _ZL34rocblas_syrkx_herkx_general_kernelIldLi16ELi32ELi8ELb0ELb0ELc84ELc76EKddEviT_T0_PT8_S1_lS4_S1_lS2_PT9_S1_li
	.p2align	8
	.type	_ZL34rocblas_syrkx_herkx_general_kernelIldLi16ELi32ELi8ELb0ELb0ELc84ELc76EKddEviT_T0_PT8_S1_lS4_S1_lS2_PT9_S1_li,@function
_ZL34rocblas_syrkx_herkx_general_kernelIldLi16ELi32ELi8ELb0ELb0ELc84ELc76EKddEviT_T0_PT8_S1_lS4_S1_lS2_PT9_S1_li: ; @_ZL34rocblas_syrkx_herkx_general_kernelIldLi16ELi32ELi8ELb0ELb0ELc84ELc76EKddEviT_T0_PT8_S1_lS4_S1_lS2_PT9_S1_li
; %bb.0:
	s_clause 0x1
	s_load_b512 s[16:31], s[0:1], 0x8
	s_load_b32 s12, s[0:1], 0x0
	v_mov_b32_e32 v12, 0
	v_dual_mov_b32 v13, 0 :: v_dual_and_b32 v18, 0x3ff, v0
	v_bfe_u32 v19, v0, 10, 10
	s_delay_alu instid0(VALU_DEP_3) | instskip(NEXT) | instid1(VALU_DEP_3)
	v_mov_b32_e32 v4, v12
	v_dual_mov_b32 v2, v12 :: v_dual_mov_b32 v3, v13
	v_dual_mov_b32 v5, v13 :: v_dual_mov_b32 v0, v12
	v_mov_b32_e32 v1, v13
	s_lshl_b32 s13, s13, 5
	s_lshl_b32 s14, s14, 5
	s_mov_b64 s[4:5], 0
	s_waitcnt lgkmcnt(0)
	v_cmp_lt_i64_e64 s2, s[16:17], 1
	s_delay_alu instid0(VALU_DEP_1)
	s_and_b32 vcc_lo, exec_lo, s2
	s_cbranch_vccnz .LBB1069_7
; %bb.1:
	v_lshl_add_u32 v0, v19, 4, v18
	v_and_b32_e32 v20, 7, v18
	s_mul_i32 s3, s25, s15
	s_mul_hi_u32 s6, s24, s15
	s_mul_i32 s2, s24, s15
	v_and_b32_e32 v2, 31, v0
	v_lshrrev_b32_e32 v4, 3, v0
	v_lshrrev_b32_e32 v23, 5, v0
	s_add_i32 s3, s6, s3
	v_lshlrev_b32_e32 v21, 3, v18
	v_add_nc_u32_e32 v3, s13, v2
	v_add_nc_u32_e32 v6, s14, v4
	v_or_b32_e32 v9, s13, v2
	v_lshlrev_b32_e32 v10, 3, v2
	s_lshl_b64 s[6:7], s[2:3], 3
	v_ashrrev_i32_e32 v5, 31, v3
	v_mul_lo_u32 v7, s23, v3
	v_mad_u64_u32 v[0:1], null, s22, v3, 0
	v_ashrrev_i32_e32 v11, 31, v6
	s_delay_alu instid0(VALU_DEP_4)
	v_mul_lo_u32 v5, s22, v5
	v_mul_lo_u32 v12, s29, v6
	v_mad_u64_u32 v[2:3], null, s28, v6, 0
	v_cmp_gt_i32_e64 s3, s12, v6
	s_mul_i32 s8, s31, s15
	v_cmp_gt_i32_e64 s2, s12, v9
	v_lshl_add_u32 v22, v19, 6, 0x800
	v_add3_u32 v1, v1, v5, v7
	v_mul_lo_u32 v5, s28, v11
	v_mov_b32_e32 v6, 0
	v_dual_mov_b32 v7, 0 :: v_dual_lshlrev_b32 v8, 3, v20
	s_delay_alu instid0(VALU_DEP_4) | instskip(NEXT) | instid1(VALU_DEP_2)
	v_lshlrev_b64 v[0:1], 3, v[0:1]
	v_lshl_or_b32 v4, v4, 6, v8
	v_add3_u32 v3, v3, v5, v12
	s_delay_alu instid0(VALU_DEP_4) | instskip(NEXT) | instid1(VALU_DEP_3)
	v_dual_mov_b32 v13, v7 :: v_dual_mov_b32 v12, v6
	v_add_nc_u32_e32 v25, 0x800, v4
	v_add_co_u32 v4, vcc_lo, v0, s6
	v_add_co_ci_u32_e32 v5, vcc_lo, s7, v1, vcc_lo
	s_mul_hi_u32 s6, s30, s15
	v_lshlrev_b64 v[0:1], 3, v[2:3]
	s_add_i32 s7, s6, s8
	s_mul_i32 s6, s30, s15
	v_lshlrev_b32_e32 v2, 3, v23
	s_lshl_b64 s[6:7], s[6:7], 3
	s_delay_alu instid0(VALU_DEP_2) | instid1(SALU_CYCLE_1)
	v_add_co_u32 v0, vcc_lo, v0, s6
	v_add_co_ci_u32_e32 v1, vcc_lo, s7, v1, vcc_lo
	s_delay_alu instid0(VALU_DEP_3) | instskip(SKIP_1) | instid1(VALU_DEP_4)
	v_add_co_u32 v2, vcc_lo, v4, v2
	v_add_co_ci_u32_e32 v3, vcc_lo, 0, v5, vcc_lo
	v_add_co_u32 v0, vcc_lo, v0, v8
	s_delay_alu instid0(VALU_DEP_4) | instskip(NEXT) | instid1(VALU_DEP_4)
	v_add_co_ci_u32_e32 v1, vcc_lo, 0, v1, vcc_lo
	v_add_co_u32 v8, vcc_lo, s20, v2
	s_delay_alu instid0(VALU_DEP_4)
	v_add_co_ci_u32_e32 v9, vcc_lo, s21, v3, vcc_lo
	v_dual_mov_b32 v4, v6 :: v_dual_mov_b32 v5, v7
	v_lshl_or_b32 v24, v23, 8, v10
	v_add_co_u32 v10, vcc_lo, s26, v0
	v_add_co_ci_u32_e32 v11, vcc_lo, s27, v1, vcc_lo
	v_mov_b32_e32 v0, v6
	v_dual_mov_b32 v2, v6 :: v_dual_mov_b32 v1, v7
	v_mov_b32_e32 v3, v7
	s_branch .LBB1069_3
.LBB1069_2:                             ;   in Loop: Header=BB1069_3 Depth=1
	s_or_b32 exec_lo, exec_lo, s6
	s_waitcnt vmcnt(0)
	ds_store_b64 v25, v[16:17]
	s_waitcnt lgkmcnt(0)
	s_barrier
	buffer_gl0_inv
	ds_load_2addr_b64 v[14:17], v21 offset1:16
	ds_load_b128 v[26:29], v22
	ds_load_b128 v[30:33], v22 offset:1024
	ds_load_b128 v[34:37], v22 offset:16
	;; [unrolled: 1-line block ×3, first 2 shown]
	s_add_u32 s4, s4, 8
	s_addc_u32 s5, s5, 0
	v_add_co_u32 v8, vcc_lo, v8, 64
	v_cmp_ge_i64_e64 s6, s[4:5], s[16:17]
	v_add_co_ci_u32_e32 v9, vcc_lo, 0, v9, vcc_lo
	v_add_co_u32 v10, vcc_lo, v10, 64
	v_add_co_ci_u32_e32 v11, vcc_lo, 0, v11, vcc_lo
	s_delay_alu instid0(VALU_DEP_4)
	s_and_b32 vcc_lo, exec_lo, s6
	s_waitcnt lgkmcnt(3)
	v_fma_f64 v[12:13], v[14:15], v[26:27], v[12:13]
	v_fma_f64 v[4:5], v[16:17], v[26:27], v[4:5]
	s_waitcnt lgkmcnt(2)
	v_fma_f64 v[14:15], v[14:15], v[30:31], v[2:3]
	v_fma_f64 v[16:17], v[16:17], v[30:31], v[0:1]
	ds_load_2addr_b64 v[0:3], v21 offset0:32 offset1:48
	s_waitcnt lgkmcnt(0)
	v_fma_f64 v[12:13], v[0:1], v[28:29], v[12:13]
	v_fma_f64 v[4:5], v[2:3], v[28:29], v[4:5]
	v_fma_f64 v[14:15], v[0:1], v[32:33], v[14:15]
	v_fma_f64 v[16:17], v[2:3], v[32:33], v[16:17]
	ds_load_2addr_b64 v[0:3], v21 offset0:64 offset1:80
	s_waitcnt lgkmcnt(0)
	v_fma_f64 v[12:13], v[0:1], v[34:35], v[12:13]
	v_fma_f64 v[4:5], v[2:3], v[34:35], v[4:5]
	;; [unrolled: 6-line block ×3, first 2 shown]
	v_fma_f64 v[42:43], v[0:1], v[40:41], v[14:15]
	v_fma_f64 v[16:17], v[2:3], v[40:41], v[16:17]
	ds_load_2addr_b64 v[0:3], v21 offset0:128 offset1:144
	ds_load_b128 v[12:15], v22 offset:32
	ds_load_b128 v[26:29], v22 offset:1056
	;; [unrolled: 1-line block ×4, first 2 shown]
	s_waitcnt lgkmcnt(3)
	v_fma_f64 v[38:39], v[0:1], v[12:13], v[38:39]
	v_fma_f64 v[4:5], v[2:3], v[12:13], v[4:5]
	s_waitcnt lgkmcnt(2)
	v_fma_f64 v[12:13], v[0:1], v[26:27], v[42:43]
	v_fma_f64 v[16:17], v[2:3], v[26:27], v[16:17]
	ds_load_2addr_b64 v[0:3], v21 offset0:160 offset1:176
	s_waitcnt lgkmcnt(0)
	v_fma_f64 v[26:27], v[0:1], v[14:15], v[38:39]
	v_fma_f64 v[4:5], v[2:3], v[14:15], v[4:5]
	;; [unrolled: 1-line block ×4, first 2 shown]
	ds_load_2addr_b64 v[0:3], v21 offset0:192 offset1:208
	s_waitcnt lgkmcnt(0)
	v_fma_f64 v[26:27], v[0:1], v[30:31], v[26:27]
	v_fma_f64 v[4:5], v[2:3], v[30:31], v[4:5]
	;; [unrolled: 1-line block ×4, first 2 shown]
	ds_load_2addr_b64 v[14:17], v21 offset0:224 offset1:240
	s_waitcnt lgkmcnt(0)
	s_barrier
	buffer_gl0_inv
	v_fma_f64 v[12:13], v[14:15], v[32:33], v[26:27]
	v_fma_f64 v[4:5], v[16:17], v[32:33], v[4:5]
	;; [unrolled: 1-line block ×4, first 2 shown]
	s_cbranch_vccnz .LBB1069_7
.LBB1069_3:                             ; =>This Inner Loop Header: Depth=1
	v_add_co_u32 v14, s6, v23, s4
	s_delay_alu instid0(VALU_DEP_1) | instskip(NEXT) | instid1(VALU_DEP_1)
	v_add_co_ci_u32_e64 v15, null, 0, s5, s6
	v_cmp_gt_i64_e32 vcc_lo, s[16:17], v[14:15]
	v_dual_mov_b32 v15, v7 :: v_dual_mov_b32 v14, v6
	s_and_b32 s7, s2, vcc_lo
	s_delay_alu instid0(SALU_CYCLE_1)
	s_and_saveexec_b32 s6, s7
	s_cbranch_execz .LBB1069_5
; %bb.4:                                ;   in Loop: Header=BB1069_3 Depth=1
	global_load_b64 v[14:15], v[8:9], off
.LBB1069_5:                             ;   in Loop: Header=BB1069_3 Depth=1
	s_or_b32 exec_lo, exec_lo, s6
	v_add_co_u32 v16, s6, v20, s4
	s_delay_alu instid0(VALU_DEP_1)
	v_add_co_ci_u32_e64 v17, null, 0, s5, s6
	s_waitcnt vmcnt(0)
	ds_store_b64 v24, v[14:15]
	v_cmp_gt_i64_e32 vcc_lo, s[16:17], v[16:17]
	v_dual_mov_b32 v17, v7 :: v_dual_mov_b32 v16, v6
	s_and_b32 s7, vcc_lo, s3
	s_delay_alu instid0(SALU_CYCLE_1)
	s_and_saveexec_b32 s6, s7
	s_cbranch_execz .LBB1069_2
; %bb.6:                                ;   in Loop: Header=BB1069_3 Depth=1
	global_load_b64 v[16:17], v[10:11], off
	s_branch .LBB1069_2
.LBB1069_7:
	s_load_b256 s[4:11], s[0:1], 0x48
	v_add_nc_u32_e32 v10, s14, v19
	s_delay_alu instid0(VALU_DEP_1) | instskip(SKIP_1) | instid1(VALU_DEP_1)
	v_ashrrev_i32_e32 v6, 31, v10
	s_waitcnt lgkmcnt(0)
	v_mul_lo_u32 v9, v6, s8
	v_mul_lo_u32 v11, v10, s9
	v_mad_u64_u32 v[7:8], null, v10, s8, 0
	s_mul_i32 s1, s15, s11
	s_mul_hi_u32 s3, s15, s10
	s_mul_i32 s2, s15, s10
	s_add_i32 s3, s3, s1
	v_add_nc_u32_e32 v6, s13, v18
	s_lshl_b64 s[2:3], s[2:3], 3
	s_delay_alu instid0(VALU_DEP_2)
	v_add3_u32 v8, v8, v11, v9
	s_add_u32 s2, s6, s2
	s_addc_u32 s3, s7, s3
	v_cmp_le_i32_e64 s0, v10, v6
	v_cmp_gt_i32_e32 vcc_lo, s12, v6
	v_lshlrev_b64 v[7:8], 3, v[7:8]
	s_delay_alu instid0(VALU_DEP_3) | instskip(NEXT) | instid1(VALU_DEP_1)
	s_and_b32 s0, s0, vcc_lo
	v_add_co_u32 v11, s1, s2, v7
	s_delay_alu instid0(VALU_DEP_1)
	v_add_co_ci_u32_e64 v14, s1, s3, v8, s1
	s_and_saveexec_b32 s1, s0
	s_cbranch_execz .LBB1069_9
; %bb.8:
	v_ashrrev_i32_e32 v7, 31, v6
	s_delay_alu instid0(VALU_DEP_1) | instskip(NEXT) | instid1(VALU_DEP_1)
	v_lshlrev_b64 v[7:8], 3, v[6:7]
	v_add_co_u32 v7, s0, v11, v7
	s_delay_alu instid0(VALU_DEP_1) | instskip(SKIP_3) | instid1(VALU_DEP_1)
	v_add_co_ci_u32_e64 v8, s0, v14, v8, s0
	global_load_b64 v[15:16], v[7:8], off
	s_waitcnt vmcnt(0)
	v_mul_f64 v[15:16], v[15:16], s[4:5]
	v_fma_f64 v[12:13], v[12:13], s[18:19], v[15:16]
	global_store_b64 v[7:8], v[12:13], off
.LBB1069_9:
	s_or_b32 exec_lo, exec_lo, s1
	v_add_nc_u32_e32 v8, 16, v6
	s_delay_alu instid0(VALU_DEP_1) | instskip(SKIP_1) | instid1(VALU_DEP_1)
	v_cmp_le_i32_e64 s1, v10, v8
	v_cmp_gt_i32_e64 s0, s12, v8
	s_and_b32 s1, s1, s0
	s_delay_alu instid0(SALU_CYCLE_1)
	s_and_saveexec_b32 s6, s1
	s_cbranch_execz .LBB1069_11
; %bb.10:
	v_ashrrev_i32_e32 v9, 31, v8
	s_delay_alu instid0(VALU_DEP_1) | instskip(NEXT) | instid1(VALU_DEP_1)
	v_lshlrev_b64 v[12:13], 3, v[8:9]
	v_add_co_u32 v11, s1, v11, v12
	s_delay_alu instid0(VALU_DEP_1) | instskip(SKIP_3) | instid1(VALU_DEP_1)
	v_add_co_ci_u32_e64 v12, s1, v14, v13, s1
	global_load_b64 v[13:14], v[11:12], off
	s_waitcnt vmcnt(0)
	v_mul_f64 v[13:14], v[13:14], s[4:5]
	v_fma_f64 v[4:5], v[4:5], s[18:19], v[13:14]
	global_store_b64 v[11:12], v[4:5], off
.LBB1069_11:
	s_or_b32 exec_lo, exec_lo, s6
	v_add_nc_u32_e32 v4, 16, v10
	s_delay_alu instid0(VALU_DEP_1) | instskip(SKIP_3) | instid1(VALU_DEP_4)
	v_ashrrev_i32_e32 v5, 31, v4
	v_mul_lo_u32 v7, v4, s9
	v_mad_u64_u32 v[9:10], null, v4, s8, 0
	v_cmp_le_i32_e64 s1, v4, v6
	v_mul_lo_u32 v5, v5, s8
	s_delay_alu instid0(VALU_DEP_1) | instskip(NEXT) | instid1(VALU_DEP_1)
	v_add3_u32 v10, v10, v7, v5
	v_lshlrev_b64 v[9:10], 3, v[9:10]
	s_delay_alu instid0(VALU_DEP_1) | instskip(NEXT) | instid1(VALU_DEP_1)
	v_add_co_u32 v5, s2, s2, v9
	v_add_co_ci_u32_e64 v10, s2, s3, v10, s2
	s_and_b32 s2, s1, vcc_lo
	s_delay_alu instid0(SALU_CYCLE_1)
	s_and_saveexec_b32 s1, s2
	s_cbranch_execz .LBB1069_13
; %bb.12:
	v_ashrrev_i32_e32 v7, 31, v6
	s_delay_alu instid0(VALU_DEP_1) | instskip(NEXT) | instid1(VALU_DEP_1)
	v_lshlrev_b64 v[6:7], 3, v[6:7]
	v_add_co_u32 v6, vcc_lo, v5, v6
	s_delay_alu instid0(VALU_DEP_2) | instskip(SKIP_3) | instid1(VALU_DEP_1)
	v_add_co_ci_u32_e32 v7, vcc_lo, v10, v7, vcc_lo
	global_load_b64 v[11:12], v[6:7], off
	s_waitcnt vmcnt(0)
	v_mul_f64 v[11:12], v[11:12], s[4:5]
	v_fma_f64 v[2:3], v[2:3], s[18:19], v[11:12]
	global_store_b64 v[6:7], v[2:3], off
.LBB1069_13:
	s_or_b32 exec_lo, exec_lo, s1
	v_cmp_le_i32_e32 vcc_lo, v4, v8
	s_and_b32 s0, vcc_lo, s0
	s_delay_alu instid0(SALU_CYCLE_1)
	s_and_saveexec_b32 s1, s0
	s_cbranch_execz .LBB1069_15
; %bb.14:
	v_ashrrev_i32_e32 v9, 31, v8
	s_delay_alu instid0(VALU_DEP_1) | instskip(NEXT) | instid1(VALU_DEP_1)
	v_lshlrev_b64 v[2:3], 3, v[8:9]
	v_add_co_u32 v2, vcc_lo, v5, v2
	s_delay_alu instid0(VALU_DEP_2) | instskip(SKIP_3) | instid1(VALU_DEP_1)
	v_add_co_ci_u32_e32 v3, vcc_lo, v10, v3, vcc_lo
	global_load_b64 v[4:5], v[2:3], off
	s_waitcnt vmcnt(0)
	v_mul_f64 v[4:5], v[4:5], s[4:5]
	v_fma_f64 v[0:1], v[0:1], s[18:19], v[4:5]
	global_store_b64 v[2:3], v[0:1], off
.LBB1069_15:
	s_nop 0
	s_sendmsg sendmsg(MSG_DEALLOC_VGPRS)
	s_endpgm
	.section	.rodata,"a",@progbits
	.p2align	6, 0x0
	.amdhsa_kernel _ZL34rocblas_syrkx_herkx_general_kernelIldLi16ELi32ELi8ELb0ELb0ELc84ELc76EKddEviT_T0_PT8_S1_lS4_S1_lS2_PT9_S1_li
		.amdhsa_group_segment_fixed_size 4096
		.amdhsa_private_segment_fixed_size 0
		.amdhsa_kernarg_size 108
		.amdhsa_user_sgpr_count 13
		.amdhsa_user_sgpr_dispatch_ptr 0
		.amdhsa_user_sgpr_queue_ptr 0
		.amdhsa_user_sgpr_kernarg_segment_ptr 1
		.amdhsa_user_sgpr_dispatch_id 0
		.amdhsa_user_sgpr_private_segment_size 0
		.amdhsa_wavefront_size32 1
		.amdhsa_uses_dynamic_stack 0
		.amdhsa_enable_private_segment 0
		.amdhsa_system_sgpr_workgroup_id_x 1
		.amdhsa_system_sgpr_workgroup_id_y 1
		.amdhsa_system_sgpr_workgroup_id_z 1
		.amdhsa_system_sgpr_workgroup_info 0
		.amdhsa_system_vgpr_workitem_id 1
		.amdhsa_next_free_vgpr 44
		.amdhsa_next_free_sgpr 32
		.amdhsa_reserve_vcc 1
		.amdhsa_float_round_mode_32 0
		.amdhsa_float_round_mode_16_64 0
		.amdhsa_float_denorm_mode_32 3
		.amdhsa_float_denorm_mode_16_64 3
		.amdhsa_dx10_clamp 1
		.amdhsa_ieee_mode 1
		.amdhsa_fp16_overflow 0
		.amdhsa_workgroup_processor_mode 1
		.amdhsa_memory_ordered 1
		.amdhsa_forward_progress 0
		.amdhsa_shared_vgpr_count 0
		.amdhsa_exception_fp_ieee_invalid_op 0
		.amdhsa_exception_fp_denorm_src 0
		.amdhsa_exception_fp_ieee_div_zero 0
		.amdhsa_exception_fp_ieee_overflow 0
		.amdhsa_exception_fp_ieee_underflow 0
		.amdhsa_exception_fp_ieee_inexact 0
		.amdhsa_exception_int_div_zero 0
	.end_amdhsa_kernel
	.section	.text._ZL34rocblas_syrkx_herkx_general_kernelIldLi16ELi32ELi8ELb0ELb0ELc84ELc76EKddEviT_T0_PT8_S1_lS4_S1_lS2_PT9_S1_li,"axG",@progbits,_ZL34rocblas_syrkx_herkx_general_kernelIldLi16ELi32ELi8ELb0ELb0ELc84ELc76EKddEviT_T0_PT8_S1_lS4_S1_lS2_PT9_S1_li,comdat
.Lfunc_end1069:
	.size	_ZL34rocblas_syrkx_herkx_general_kernelIldLi16ELi32ELi8ELb0ELb0ELc84ELc76EKddEviT_T0_PT8_S1_lS4_S1_lS2_PT9_S1_li, .Lfunc_end1069-_ZL34rocblas_syrkx_herkx_general_kernelIldLi16ELi32ELi8ELb0ELb0ELc84ELc76EKddEviT_T0_PT8_S1_lS4_S1_lS2_PT9_S1_li
                                        ; -- End function
	.section	.AMDGPU.csdata,"",@progbits
; Kernel info:
; codeLenInByte = 1748
; NumSgprs: 34
; NumVgprs: 44
; ScratchSize: 0
; MemoryBound: 0
; FloatMode: 240
; IeeeMode: 1
; LDSByteSize: 4096 bytes/workgroup (compile time only)
; SGPRBlocks: 4
; VGPRBlocks: 5
; NumSGPRsForWavesPerEU: 34
; NumVGPRsForWavesPerEU: 44
; Occupancy: 16
; WaveLimiterHint : 0
; COMPUTE_PGM_RSRC2:SCRATCH_EN: 0
; COMPUTE_PGM_RSRC2:USER_SGPR: 13
; COMPUTE_PGM_RSRC2:TRAP_HANDLER: 0
; COMPUTE_PGM_RSRC2:TGID_X_EN: 1
; COMPUTE_PGM_RSRC2:TGID_Y_EN: 1
; COMPUTE_PGM_RSRC2:TGID_Z_EN: 1
; COMPUTE_PGM_RSRC2:TIDIG_COMP_CNT: 1
	.section	.text._ZL34rocblas_syrkx_herkx_general_kernelIldLi16ELi32ELi8ELb0ELb0ELc67ELc76EKddEviT_T0_PT8_S1_lS4_S1_lS2_PT9_S1_li,"axG",@progbits,_ZL34rocblas_syrkx_herkx_general_kernelIldLi16ELi32ELi8ELb0ELb0ELc67ELc76EKddEviT_T0_PT8_S1_lS4_S1_lS2_PT9_S1_li,comdat
	.globl	_ZL34rocblas_syrkx_herkx_general_kernelIldLi16ELi32ELi8ELb0ELb0ELc67ELc76EKddEviT_T0_PT8_S1_lS4_S1_lS2_PT9_S1_li ; -- Begin function _ZL34rocblas_syrkx_herkx_general_kernelIldLi16ELi32ELi8ELb0ELb0ELc67ELc76EKddEviT_T0_PT8_S1_lS4_S1_lS2_PT9_S1_li
	.p2align	8
	.type	_ZL34rocblas_syrkx_herkx_general_kernelIldLi16ELi32ELi8ELb0ELb0ELc67ELc76EKddEviT_T0_PT8_S1_lS4_S1_lS2_PT9_S1_li,@function
_ZL34rocblas_syrkx_herkx_general_kernelIldLi16ELi32ELi8ELb0ELb0ELc67ELc76EKddEviT_T0_PT8_S1_lS4_S1_lS2_PT9_S1_li: ; @_ZL34rocblas_syrkx_herkx_general_kernelIldLi16ELi32ELi8ELb0ELb0ELc67ELc76EKddEviT_T0_PT8_S1_lS4_S1_lS2_PT9_S1_li
; %bb.0:
	s_clause 0x1
	s_load_b512 s[16:31], s[0:1], 0x8
	s_load_b32 s12, s[0:1], 0x0
	v_mov_b32_e32 v12, 0
	v_dual_mov_b32 v13, 0 :: v_dual_and_b32 v18, 0x3ff, v0
	v_bfe_u32 v19, v0, 10, 10
	s_delay_alu instid0(VALU_DEP_3) | instskip(NEXT) | instid1(VALU_DEP_3)
	v_mov_b32_e32 v4, v12
	v_dual_mov_b32 v2, v12 :: v_dual_mov_b32 v3, v13
	v_dual_mov_b32 v5, v13 :: v_dual_mov_b32 v0, v12
	v_mov_b32_e32 v1, v13
	s_lshl_b32 s13, s13, 5
	s_lshl_b32 s14, s14, 5
	s_mov_b64 s[4:5], 0
	s_waitcnt lgkmcnt(0)
	v_cmp_lt_i64_e64 s2, s[16:17], 1
	s_delay_alu instid0(VALU_DEP_1)
	s_and_b32 vcc_lo, exec_lo, s2
	s_cbranch_vccnz .LBB1070_7
; %bb.1:
	v_lshl_add_u32 v0, v19, 4, v18
	v_and_b32_e32 v20, 7, v18
	s_mul_i32 s3, s25, s15
	s_mul_hi_u32 s6, s24, s15
	s_mul_i32 s2, s24, s15
	v_and_b32_e32 v2, 31, v0
	v_lshrrev_b32_e32 v4, 3, v0
	v_lshrrev_b32_e32 v23, 5, v0
	s_add_i32 s3, s6, s3
	v_lshlrev_b32_e32 v21, 3, v18
	v_add_nc_u32_e32 v3, s13, v2
	v_add_nc_u32_e32 v6, s14, v4
	v_or_b32_e32 v9, s13, v2
	v_lshlrev_b32_e32 v10, 3, v2
	s_lshl_b64 s[6:7], s[2:3], 3
	v_ashrrev_i32_e32 v5, 31, v3
	v_mul_lo_u32 v7, s23, v3
	v_mad_u64_u32 v[0:1], null, s22, v3, 0
	v_ashrrev_i32_e32 v11, 31, v6
	s_delay_alu instid0(VALU_DEP_4)
	v_mul_lo_u32 v5, s22, v5
	v_mul_lo_u32 v12, s29, v6
	v_mad_u64_u32 v[2:3], null, s28, v6, 0
	v_cmp_gt_i32_e64 s3, s12, v6
	s_mul_i32 s8, s31, s15
	v_cmp_gt_i32_e64 s2, s12, v9
	v_lshl_add_u32 v22, v19, 6, 0x800
	v_add3_u32 v1, v1, v5, v7
	v_mul_lo_u32 v5, s28, v11
	v_mov_b32_e32 v6, 0
	v_dual_mov_b32 v7, 0 :: v_dual_lshlrev_b32 v8, 3, v20
	s_delay_alu instid0(VALU_DEP_4) | instskip(NEXT) | instid1(VALU_DEP_2)
	v_lshlrev_b64 v[0:1], 3, v[0:1]
	v_lshl_or_b32 v4, v4, 6, v8
	v_add3_u32 v3, v3, v5, v12
	s_delay_alu instid0(VALU_DEP_4) | instskip(NEXT) | instid1(VALU_DEP_3)
	v_dual_mov_b32 v13, v7 :: v_dual_mov_b32 v12, v6
	v_add_nc_u32_e32 v25, 0x800, v4
	v_add_co_u32 v4, vcc_lo, v0, s6
	v_add_co_ci_u32_e32 v5, vcc_lo, s7, v1, vcc_lo
	s_mul_hi_u32 s6, s30, s15
	v_lshlrev_b64 v[0:1], 3, v[2:3]
	s_add_i32 s7, s6, s8
	s_mul_i32 s6, s30, s15
	v_lshlrev_b32_e32 v2, 3, v23
	s_lshl_b64 s[6:7], s[6:7], 3
	s_delay_alu instid0(VALU_DEP_2) | instid1(SALU_CYCLE_1)
	v_add_co_u32 v0, vcc_lo, v0, s6
	v_add_co_ci_u32_e32 v1, vcc_lo, s7, v1, vcc_lo
	s_delay_alu instid0(VALU_DEP_3) | instskip(SKIP_1) | instid1(VALU_DEP_4)
	v_add_co_u32 v2, vcc_lo, v4, v2
	v_add_co_ci_u32_e32 v3, vcc_lo, 0, v5, vcc_lo
	v_add_co_u32 v0, vcc_lo, v0, v8
	s_delay_alu instid0(VALU_DEP_4) | instskip(NEXT) | instid1(VALU_DEP_4)
	v_add_co_ci_u32_e32 v1, vcc_lo, 0, v1, vcc_lo
	v_add_co_u32 v8, vcc_lo, s20, v2
	s_delay_alu instid0(VALU_DEP_4)
	v_add_co_ci_u32_e32 v9, vcc_lo, s21, v3, vcc_lo
	v_dual_mov_b32 v4, v6 :: v_dual_mov_b32 v5, v7
	v_lshl_or_b32 v24, v23, 8, v10
	v_add_co_u32 v10, vcc_lo, s26, v0
	v_add_co_ci_u32_e32 v11, vcc_lo, s27, v1, vcc_lo
	v_mov_b32_e32 v0, v6
	v_dual_mov_b32 v2, v6 :: v_dual_mov_b32 v1, v7
	v_mov_b32_e32 v3, v7
	s_branch .LBB1070_3
.LBB1070_2:                             ;   in Loop: Header=BB1070_3 Depth=1
	s_or_b32 exec_lo, exec_lo, s6
	s_waitcnt vmcnt(0)
	ds_store_b64 v25, v[16:17]
	s_waitcnt lgkmcnt(0)
	s_barrier
	buffer_gl0_inv
	ds_load_2addr_b64 v[14:17], v21 offset1:16
	ds_load_b128 v[26:29], v22
	ds_load_b128 v[30:33], v22 offset:1024
	ds_load_b128 v[34:37], v22 offset:16
	;; [unrolled: 1-line block ×3, first 2 shown]
	s_add_u32 s4, s4, 8
	s_addc_u32 s5, s5, 0
	v_add_co_u32 v8, vcc_lo, v8, 64
	v_cmp_ge_i64_e64 s6, s[4:5], s[16:17]
	v_add_co_ci_u32_e32 v9, vcc_lo, 0, v9, vcc_lo
	v_add_co_u32 v10, vcc_lo, v10, 64
	v_add_co_ci_u32_e32 v11, vcc_lo, 0, v11, vcc_lo
	s_delay_alu instid0(VALU_DEP_4)
	s_and_b32 vcc_lo, exec_lo, s6
	s_waitcnt lgkmcnt(3)
	v_fma_f64 v[12:13], v[14:15], v[26:27], v[12:13]
	v_fma_f64 v[4:5], v[16:17], v[26:27], v[4:5]
	s_waitcnt lgkmcnt(2)
	v_fma_f64 v[14:15], v[14:15], v[30:31], v[2:3]
	v_fma_f64 v[16:17], v[16:17], v[30:31], v[0:1]
	ds_load_2addr_b64 v[0:3], v21 offset0:32 offset1:48
	s_waitcnt lgkmcnt(0)
	v_fma_f64 v[12:13], v[0:1], v[28:29], v[12:13]
	v_fma_f64 v[4:5], v[2:3], v[28:29], v[4:5]
	v_fma_f64 v[14:15], v[0:1], v[32:33], v[14:15]
	v_fma_f64 v[16:17], v[2:3], v[32:33], v[16:17]
	ds_load_2addr_b64 v[0:3], v21 offset0:64 offset1:80
	s_waitcnt lgkmcnt(0)
	v_fma_f64 v[12:13], v[0:1], v[34:35], v[12:13]
	v_fma_f64 v[4:5], v[2:3], v[34:35], v[4:5]
	;; [unrolled: 6-line block ×3, first 2 shown]
	v_fma_f64 v[42:43], v[0:1], v[40:41], v[14:15]
	v_fma_f64 v[16:17], v[2:3], v[40:41], v[16:17]
	ds_load_2addr_b64 v[0:3], v21 offset0:128 offset1:144
	ds_load_b128 v[12:15], v22 offset:32
	ds_load_b128 v[26:29], v22 offset:1056
	;; [unrolled: 1-line block ×4, first 2 shown]
	s_waitcnt lgkmcnt(3)
	v_fma_f64 v[38:39], v[0:1], v[12:13], v[38:39]
	v_fma_f64 v[4:5], v[2:3], v[12:13], v[4:5]
	s_waitcnt lgkmcnt(2)
	v_fma_f64 v[12:13], v[0:1], v[26:27], v[42:43]
	v_fma_f64 v[16:17], v[2:3], v[26:27], v[16:17]
	ds_load_2addr_b64 v[0:3], v21 offset0:160 offset1:176
	s_waitcnt lgkmcnt(0)
	v_fma_f64 v[26:27], v[0:1], v[14:15], v[38:39]
	v_fma_f64 v[4:5], v[2:3], v[14:15], v[4:5]
	;; [unrolled: 1-line block ×4, first 2 shown]
	ds_load_2addr_b64 v[0:3], v21 offset0:192 offset1:208
	s_waitcnt lgkmcnt(0)
	v_fma_f64 v[26:27], v[0:1], v[30:31], v[26:27]
	v_fma_f64 v[4:5], v[2:3], v[30:31], v[4:5]
	;; [unrolled: 1-line block ×4, first 2 shown]
	ds_load_2addr_b64 v[14:17], v21 offset0:224 offset1:240
	s_waitcnt lgkmcnt(0)
	s_barrier
	buffer_gl0_inv
	v_fma_f64 v[12:13], v[14:15], v[32:33], v[26:27]
	v_fma_f64 v[4:5], v[16:17], v[32:33], v[4:5]
	;; [unrolled: 1-line block ×4, first 2 shown]
	s_cbranch_vccnz .LBB1070_7
.LBB1070_3:                             ; =>This Inner Loop Header: Depth=1
	v_add_co_u32 v14, s6, v23, s4
	s_delay_alu instid0(VALU_DEP_1) | instskip(NEXT) | instid1(VALU_DEP_1)
	v_add_co_ci_u32_e64 v15, null, 0, s5, s6
	v_cmp_gt_i64_e32 vcc_lo, s[16:17], v[14:15]
	v_dual_mov_b32 v15, v7 :: v_dual_mov_b32 v14, v6
	s_and_b32 s7, s2, vcc_lo
	s_delay_alu instid0(SALU_CYCLE_1)
	s_and_saveexec_b32 s6, s7
	s_cbranch_execz .LBB1070_5
; %bb.4:                                ;   in Loop: Header=BB1070_3 Depth=1
	global_load_b64 v[14:15], v[8:9], off
.LBB1070_5:                             ;   in Loop: Header=BB1070_3 Depth=1
	s_or_b32 exec_lo, exec_lo, s6
	v_add_co_u32 v16, s6, v20, s4
	s_delay_alu instid0(VALU_DEP_1)
	v_add_co_ci_u32_e64 v17, null, 0, s5, s6
	s_waitcnt vmcnt(0)
	ds_store_b64 v24, v[14:15]
	v_cmp_gt_i64_e32 vcc_lo, s[16:17], v[16:17]
	v_dual_mov_b32 v17, v7 :: v_dual_mov_b32 v16, v6
	s_and_b32 s7, vcc_lo, s3
	s_delay_alu instid0(SALU_CYCLE_1)
	s_and_saveexec_b32 s6, s7
	s_cbranch_execz .LBB1070_2
; %bb.6:                                ;   in Loop: Header=BB1070_3 Depth=1
	global_load_b64 v[16:17], v[10:11], off
	s_branch .LBB1070_2
.LBB1070_7:
	s_load_b256 s[4:11], s[0:1], 0x48
	v_add_nc_u32_e32 v10, s14, v19
	s_delay_alu instid0(VALU_DEP_1) | instskip(SKIP_1) | instid1(VALU_DEP_1)
	v_ashrrev_i32_e32 v6, 31, v10
	s_waitcnt lgkmcnt(0)
	v_mul_lo_u32 v9, v6, s8
	v_mul_lo_u32 v11, v10, s9
	v_mad_u64_u32 v[7:8], null, v10, s8, 0
	s_mul_i32 s1, s15, s11
	s_mul_hi_u32 s3, s15, s10
	s_mul_i32 s2, s15, s10
	s_add_i32 s3, s3, s1
	v_add_nc_u32_e32 v6, s13, v18
	s_lshl_b64 s[2:3], s[2:3], 3
	s_delay_alu instid0(VALU_DEP_2)
	v_add3_u32 v8, v8, v11, v9
	s_add_u32 s2, s6, s2
	s_addc_u32 s3, s7, s3
	v_cmp_le_i32_e64 s0, v10, v6
	v_cmp_gt_i32_e32 vcc_lo, s12, v6
	v_lshlrev_b64 v[7:8], 3, v[7:8]
	s_delay_alu instid0(VALU_DEP_3) | instskip(NEXT) | instid1(VALU_DEP_1)
	s_and_b32 s0, s0, vcc_lo
	v_add_co_u32 v11, s1, s2, v7
	s_delay_alu instid0(VALU_DEP_1)
	v_add_co_ci_u32_e64 v14, s1, s3, v8, s1
	s_and_saveexec_b32 s1, s0
	s_cbranch_execz .LBB1070_9
; %bb.8:
	v_ashrrev_i32_e32 v7, 31, v6
	s_delay_alu instid0(VALU_DEP_1) | instskip(NEXT) | instid1(VALU_DEP_1)
	v_lshlrev_b64 v[7:8], 3, v[6:7]
	v_add_co_u32 v7, s0, v11, v7
	s_delay_alu instid0(VALU_DEP_1) | instskip(SKIP_3) | instid1(VALU_DEP_1)
	v_add_co_ci_u32_e64 v8, s0, v14, v8, s0
	global_load_b64 v[15:16], v[7:8], off
	s_waitcnt vmcnt(0)
	v_mul_f64 v[15:16], v[15:16], s[4:5]
	v_fma_f64 v[12:13], v[12:13], s[18:19], v[15:16]
	global_store_b64 v[7:8], v[12:13], off
.LBB1070_9:
	s_or_b32 exec_lo, exec_lo, s1
	v_add_nc_u32_e32 v8, 16, v6
	s_delay_alu instid0(VALU_DEP_1) | instskip(SKIP_1) | instid1(VALU_DEP_1)
	v_cmp_le_i32_e64 s1, v10, v8
	v_cmp_gt_i32_e64 s0, s12, v8
	s_and_b32 s1, s1, s0
	s_delay_alu instid0(SALU_CYCLE_1)
	s_and_saveexec_b32 s6, s1
	s_cbranch_execz .LBB1070_11
; %bb.10:
	v_ashrrev_i32_e32 v9, 31, v8
	s_delay_alu instid0(VALU_DEP_1) | instskip(NEXT) | instid1(VALU_DEP_1)
	v_lshlrev_b64 v[12:13], 3, v[8:9]
	v_add_co_u32 v11, s1, v11, v12
	s_delay_alu instid0(VALU_DEP_1) | instskip(SKIP_3) | instid1(VALU_DEP_1)
	v_add_co_ci_u32_e64 v12, s1, v14, v13, s1
	global_load_b64 v[13:14], v[11:12], off
	s_waitcnt vmcnt(0)
	v_mul_f64 v[13:14], v[13:14], s[4:5]
	v_fma_f64 v[4:5], v[4:5], s[18:19], v[13:14]
	global_store_b64 v[11:12], v[4:5], off
.LBB1070_11:
	s_or_b32 exec_lo, exec_lo, s6
	v_add_nc_u32_e32 v4, 16, v10
	s_delay_alu instid0(VALU_DEP_1) | instskip(SKIP_3) | instid1(VALU_DEP_4)
	v_ashrrev_i32_e32 v5, 31, v4
	v_mul_lo_u32 v7, v4, s9
	v_mad_u64_u32 v[9:10], null, v4, s8, 0
	v_cmp_le_i32_e64 s1, v4, v6
	v_mul_lo_u32 v5, v5, s8
	s_delay_alu instid0(VALU_DEP_1) | instskip(NEXT) | instid1(VALU_DEP_1)
	v_add3_u32 v10, v10, v7, v5
	v_lshlrev_b64 v[9:10], 3, v[9:10]
	s_delay_alu instid0(VALU_DEP_1) | instskip(NEXT) | instid1(VALU_DEP_1)
	v_add_co_u32 v5, s2, s2, v9
	v_add_co_ci_u32_e64 v10, s2, s3, v10, s2
	s_and_b32 s2, s1, vcc_lo
	s_delay_alu instid0(SALU_CYCLE_1)
	s_and_saveexec_b32 s1, s2
	s_cbranch_execz .LBB1070_13
; %bb.12:
	v_ashrrev_i32_e32 v7, 31, v6
	s_delay_alu instid0(VALU_DEP_1) | instskip(NEXT) | instid1(VALU_DEP_1)
	v_lshlrev_b64 v[6:7], 3, v[6:7]
	v_add_co_u32 v6, vcc_lo, v5, v6
	s_delay_alu instid0(VALU_DEP_2) | instskip(SKIP_3) | instid1(VALU_DEP_1)
	v_add_co_ci_u32_e32 v7, vcc_lo, v10, v7, vcc_lo
	global_load_b64 v[11:12], v[6:7], off
	s_waitcnt vmcnt(0)
	v_mul_f64 v[11:12], v[11:12], s[4:5]
	v_fma_f64 v[2:3], v[2:3], s[18:19], v[11:12]
	global_store_b64 v[6:7], v[2:3], off
.LBB1070_13:
	s_or_b32 exec_lo, exec_lo, s1
	v_cmp_le_i32_e32 vcc_lo, v4, v8
	s_and_b32 s0, vcc_lo, s0
	s_delay_alu instid0(SALU_CYCLE_1)
	s_and_saveexec_b32 s1, s0
	s_cbranch_execz .LBB1070_15
; %bb.14:
	v_ashrrev_i32_e32 v9, 31, v8
	s_delay_alu instid0(VALU_DEP_1) | instskip(NEXT) | instid1(VALU_DEP_1)
	v_lshlrev_b64 v[2:3], 3, v[8:9]
	v_add_co_u32 v2, vcc_lo, v5, v2
	s_delay_alu instid0(VALU_DEP_2) | instskip(SKIP_3) | instid1(VALU_DEP_1)
	v_add_co_ci_u32_e32 v3, vcc_lo, v10, v3, vcc_lo
	global_load_b64 v[4:5], v[2:3], off
	s_waitcnt vmcnt(0)
	v_mul_f64 v[4:5], v[4:5], s[4:5]
	v_fma_f64 v[0:1], v[0:1], s[18:19], v[4:5]
	global_store_b64 v[2:3], v[0:1], off
.LBB1070_15:
	s_nop 0
	s_sendmsg sendmsg(MSG_DEALLOC_VGPRS)
	s_endpgm
	.section	.rodata,"a",@progbits
	.p2align	6, 0x0
	.amdhsa_kernel _ZL34rocblas_syrkx_herkx_general_kernelIldLi16ELi32ELi8ELb0ELb0ELc67ELc76EKddEviT_T0_PT8_S1_lS4_S1_lS2_PT9_S1_li
		.amdhsa_group_segment_fixed_size 4096
		.amdhsa_private_segment_fixed_size 0
		.amdhsa_kernarg_size 108
		.amdhsa_user_sgpr_count 13
		.amdhsa_user_sgpr_dispatch_ptr 0
		.amdhsa_user_sgpr_queue_ptr 0
		.amdhsa_user_sgpr_kernarg_segment_ptr 1
		.amdhsa_user_sgpr_dispatch_id 0
		.amdhsa_user_sgpr_private_segment_size 0
		.amdhsa_wavefront_size32 1
		.amdhsa_uses_dynamic_stack 0
		.amdhsa_enable_private_segment 0
		.amdhsa_system_sgpr_workgroup_id_x 1
		.amdhsa_system_sgpr_workgroup_id_y 1
		.amdhsa_system_sgpr_workgroup_id_z 1
		.amdhsa_system_sgpr_workgroup_info 0
		.amdhsa_system_vgpr_workitem_id 1
		.amdhsa_next_free_vgpr 44
		.amdhsa_next_free_sgpr 32
		.amdhsa_reserve_vcc 1
		.amdhsa_float_round_mode_32 0
		.amdhsa_float_round_mode_16_64 0
		.amdhsa_float_denorm_mode_32 3
		.amdhsa_float_denorm_mode_16_64 3
		.amdhsa_dx10_clamp 1
		.amdhsa_ieee_mode 1
		.amdhsa_fp16_overflow 0
		.amdhsa_workgroup_processor_mode 1
		.amdhsa_memory_ordered 1
		.amdhsa_forward_progress 0
		.amdhsa_shared_vgpr_count 0
		.amdhsa_exception_fp_ieee_invalid_op 0
		.amdhsa_exception_fp_denorm_src 0
		.amdhsa_exception_fp_ieee_div_zero 0
		.amdhsa_exception_fp_ieee_overflow 0
		.amdhsa_exception_fp_ieee_underflow 0
		.amdhsa_exception_fp_ieee_inexact 0
		.amdhsa_exception_int_div_zero 0
	.end_amdhsa_kernel
	.section	.text._ZL34rocblas_syrkx_herkx_general_kernelIldLi16ELi32ELi8ELb0ELb0ELc67ELc76EKddEviT_T0_PT8_S1_lS4_S1_lS2_PT9_S1_li,"axG",@progbits,_ZL34rocblas_syrkx_herkx_general_kernelIldLi16ELi32ELi8ELb0ELb0ELc67ELc76EKddEviT_T0_PT8_S1_lS4_S1_lS2_PT9_S1_li,comdat
.Lfunc_end1070:
	.size	_ZL34rocblas_syrkx_herkx_general_kernelIldLi16ELi32ELi8ELb0ELb0ELc67ELc76EKddEviT_T0_PT8_S1_lS4_S1_lS2_PT9_S1_li, .Lfunc_end1070-_ZL34rocblas_syrkx_herkx_general_kernelIldLi16ELi32ELi8ELb0ELb0ELc67ELc76EKddEviT_T0_PT8_S1_lS4_S1_lS2_PT9_S1_li
                                        ; -- End function
	.section	.AMDGPU.csdata,"",@progbits
; Kernel info:
; codeLenInByte = 1748
; NumSgprs: 34
; NumVgprs: 44
; ScratchSize: 0
; MemoryBound: 0
; FloatMode: 240
; IeeeMode: 1
; LDSByteSize: 4096 bytes/workgroup (compile time only)
; SGPRBlocks: 4
; VGPRBlocks: 5
; NumSGPRsForWavesPerEU: 34
; NumVGPRsForWavesPerEU: 44
; Occupancy: 16
; WaveLimiterHint : 0
; COMPUTE_PGM_RSRC2:SCRATCH_EN: 0
; COMPUTE_PGM_RSRC2:USER_SGPR: 13
; COMPUTE_PGM_RSRC2:TRAP_HANDLER: 0
; COMPUTE_PGM_RSRC2:TGID_X_EN: 1
; COMPUTE_PGM_RSRC2:TGID_Y_EN: 1
; COMPUTE_PGM_RSRC2:TGID_Z_EN: 1
; COMPUTE_PGM_RSRC2:TIDIG_COMP_CNT: 1
	.section	.text._ZL34rocblas_syrkx_herkx_general_kernelIldLi16ELi32ELi8ELb0ELb0ELc78ELc76EKddEviT_T0_PT8_S1_lS4_S1_lS2_PT9_S1_li,"axG",@progbits,_ZL34rocblas_syrkx_herkx_general_kernelIldLi16ELi32ELi8ELb0ELb0ELc78ELc76EKddEviT_T0_PT8_S1_lS4_S1_lS2_PT9_S1_li,comdat
	.globl	_ZL34rocblas_syrkx_herkx_general_kernelIldLi16ELi32ELi8ELb0ELb0ELc78ELc76EKddEviT_T0_PT8_S1_lS4_S1_lS2_PT9_S1_li ; -- Begin function _ZL34rocblas_syrkx_herkx_general_kernelIldLi16ELi32ELi8ELb0ELb0ELc78ELc76EKddEviT_T0_PT8_S1_lS4_S1_lS2_PT9_S1_li
	.p2align	8
	.type	_ZL34rocblas_syrkx_herkx_general_kernelIldLi16ELi32ELi8ELb0ELb0ELc78ELc76EKddEviT_T0_PT8_S1_lS4_S1_lS2_PT9_S1_li,@function
_ZL34rocblas_syrkx_herkx_general_kernelIldLi16ELi32ELi8ELb0ELb0ELc78ELc76EKddEviT_T0_PT8_S1_lS4_S1_lS2_PT9_S1_li: ; @_ZL34rocblas_syrkx_herkx_general_kernelIldLi16ELi32ELi8ELb0ELb0ELc78ELc76EKddEviT_T0_PT8_S1_lS4_S1_lS2_PT9_S1_li
; %bb.0:
	s_clause 0x1
	s_load_b512 s[16:31], s[0:1], 0x8
	s_load_b32 s12, s[0:1], 0x0
	v_mov_b32_e32 v12, 0
	v_dual_mov_b32 v13, 0 :: v_dual_and_b32 v18, 0x3ff, v0
	v_bfe_u32 v19, v0, 10, 10
	s_delay_alu instid0(VALU_DEP_3) | instskip(NEXT) | instid1(VALU_DEP_3)
	v_mov_b32_e32 v4, v12
	v_dual_mov_b32 v2, v12 :: v_dual_mov_b32 v3, v13
	v_dual_mov_b32 v5, v13 :: v_dual_mov_b32 v0, v12
	v_mov_b32_e32 v1, v13
	s_lshl_b32 s13, s13, 5
	s_lshl_b32 s14, s14, 5
	s_mov_b64 s[4:5], 0
	s_waitcnt lgkmcnt(0)
	v_cmp_lt_i64_e64 s2, s[16:17], 1
	s_delay_alu instid0(VALU_DEP_1)
	s_and_b32 vcc_lo, exec_lo, s2
	s_cbranch_vccnz .LBB1071_7
; %bb.1:
	v_lshl_add_u32 v4, v19, 4, v18
	v_and_b32_e32 v20, 7, v18
	s_mul_i32 s3, s25, s15
	s_mul_hi_u32 s6, s24, s15
	s_mul_i32 s2, s24, s15
	v_lshrrev_b32_e32 v21, 5, v4
	v_mad_u64_u32 v[2:3], null, s28, v20, 0
	v_lshrrev_b32_e32 v6, 3, v4
	v_and_b32_e32 v7, 31, v4
	s_delay_alu instid0(VALU_DEP_4) | instskip(SKIP_2) | instid1(VALU_DEP_2)
	v_mad_u64_u32 v[0:1], null, s22, v21, 0
	s_add_i32 s3, s6, s3
	s_mul_i32 s8, s31, s15
	v_or_b32_e32 v8, s13, v7
	v_lshlrev_b32_e32 v11, 3, v7
	v_add_nc_u32_e32 v7, s13, v7
	s_lshl_b64 s[6:7], s[2:3], 3
	s_delay_alu instid0(VALU_DEP_4)
	v_mad_u64_u32 v[4:5], null, s23, v21, v[1:2]
	v_lshlrev_b32_e32 v1, 3, v20
	v_add_nc_u32_e32 v5, s14, v6
	s_mul_hi_u32 s9, s30, s15
	v_cmp_gt_i32_e64 s2, s12, v8
	v_ashrrev_i32_e32 v8, 31, v7
	v_lshl_or_b32 v6, v6, 6, v1
	v_mov_b32_e32 v1, v4
	v_mad_u64_u32 v[9:10], null, s29, v20, v[3:4]
	v_lshlrev_b32_e32 v22, 3, v18
	s_delay_alu instid0(VALU_DEP_4) | instskip(NEXT) | instid1(VALU_DEP_4)
	v_add_nc_u32_e32 v25, 0x800, v6
	v_lshlrev_b64 v[0:1], 3, v[0:1]
	v_ashrrev_i32_e32 v6, 31, v5
	v_lshl_add_u32 v23, v19, 6, 0x800
	v_mov_b32_e32 v3, v9
	s_delay_alu instid0(VALU_DEP_4) | instskip(SKIP_1) | instid1(VALU_DEP_3)
	v_add_co_u32 v4, vcc_lo, v0, s6
	v_add_co_ci_u32_e32 v9, vcc_lo, s7, v1, vcc_lo
	v_lshlrev_b64 v[0:1], 3, v[2:3]
	s_add_i32 s7, s9, s8
	s_mul_i32 s6, s30, s15
	v_lshlrev_b64 v[2:3], 3, v[7:8]
	s_lshl_b64 s[6:7], s[6:7], 3
	s_lshl_b64 s[8:9], s[28:29], 6
	v_add_co_u32 v7, vcc_lo, s6, v0
	v_add_co_ci_u32_e32 v8, vcc_lo, s7, v1, vcc_lo
	v_lshlrev_b64 v[0:1], 3, v[5:6]
	v_add_co_u32 v2, vcc_lo, v4, v2
	v_add_co_ci_u32_e32 v3, vcc_lo, v9, v3, vcc_lo
	s_lshl_b64 s[6:7], s[22:23], 6
	s_delay_alu instid0(VALU_DEP_3) | instskip(NEXT) | instid1(VALU_DEP_4)
	v_add_co_u32 v0, vcc_lo, v7, v0
	v_add_co_ci_u32_e32 v1, vcc_lo, v8, v1, vcc_lo
	v_mov_b32_e32 v6, 0
	v_mov_b32_e32 v7, 0
	v_add_co_u32 v8, vcc_lo, s20, v2
	v_add_co_ci_u32_e32 v9, vcc_lo, s21, v3, vcc_lo
	v_add_co_u32 v10, vcc_lo, s26, v0
	v_mov_b32_e32 v2, v6
	v_lshl_or_b32 v24, v21, 8, v11
	v_add_co_ci_u32_e32 v11, vcc_lo, s27, v1, vcc_lo
	v_mov_b32_e32 v0, v6
	v_cmp_gt_i32_e64 s3, s12, v5
	v_dual_mov_b32 v4, v6 :: v_dual_mov_b32 v13, v7
	v_dual_mov_b32 v1, v7 :: v_dual_mov_b32 v12, v6
	v_mov_b32_e32 v3, v7
	v_mov_b32_e32 v5, v7
	s_branch .LBB1071_3
.LBB1071_2:                             ;   in Loop: Header=BB1071_3 Depth=1
	s_or_b32 exec_lo, exec_lo, s10
	s_waitcnt vmcnt(0)
	ds_store_b64 v25, v[16:17]
	s_waitcnt lgkmcnt(0)
	s_barrier
	buffer_gl0_inv
	ds_load_2addr_b64 v[14:17], v22 offset1:16
	ds_load_b128 v[26:29], v23
	ds_load_b128 v[30:33], v23 offset:1024
	ds_load_b128 v[34:37], v23 offset:16
	;; [unrolled: 1-line block ×3, first 2 shown]
	s_add_u32 s4, s4, 8
	s_addc_u32 s5, s5, 0
	v_add_co_u32 v8, vcc_lo, v8, s6
	v_cmp_ge_i64_e64 s10, s[4:5], s[16:17]
	v_add_co_ci_u32_e32 v9, vcc_lo, s7, v9, vcc_lo
	v_add_co_u32 v10, vcc_lo, v10, s8
	v_add_co_ci_u32_e32 v11, vcc_lo, s9, v11, vcc_lo
	s_delay_alu instid0(VALU_DEP_4)
	s_and_b32 vcc_lo, exec_lo, s10
	s_waitcnt lgkmcnt(3)
	v_fma_f64 v[12:13], v[14:15], v[26:27], v[12:13]
	v_fma_f64 v[4:5], v[16:17], v[26:27], v[4:5]
	s_waitcnt lgkmcnt(2)
	v_fma_f64 v[14:15], v[14:15], v[30:31], v[2:3]
	v_fma_f64 v[16:17], v[16:17], v[30:31], v[0:1]
	ds_load_2addr_b64 v[0:3], v22 offset0:32 offset1:48
	s_waitcnt lgkmcnt(0)
	v_fma_f64 v[12:13], v[0:1], v[28:29], v[12:13]
	v_fma_f64 v[4:5], v[2:3], v[28:29], v[4:5]
	v_fma_f64 v[14:15], v[0:1], v[32:33], v[14:15]
	v_fma_f64 v[16:17], v[2:3], v[32:33], v[16:17]
	ds_load_2addr_b64 v[0:3], v22 offset0:64 offset1:80
	s_waitcnt lgkmcnt(0)
	v_fma_f64 v[12:13], v[0:1], v[34:35], v[12:13]
	v_fma_f64 v[4:5], v[2:3], v[34:35], v[4:5]
	v_fma_f64 v[14:15], v[0:1], v[38:39], v[14:15]
	v_fma_f64 v[16:17], v[2:3], v[38:39], v[16:17]
	ds_load_2addr_b64 v[0:3], v22 offset0:96 offset1:112
	s_waitcnt lgkmcnt(0)
	v_fma_f64 v[38:39], v[0:1], v[36:37], v[12:13]
	v_fma_f64 v[4:5], v[2:3], v[36:37], v[4:5]
	v_fma_f64 v[42:43], v[0:1], v[40:41], v[14:15]
	v_fma_f64 v[16:17], v[2:3], v[40:41], v[16:17]
	ds_load_2addr_b64 v[0:3], v22 offset0:128 offset1:144
	ds_load_b128 v[12:15], v23 offset:32
	ds_load_b128 v[26:29], v23 offset:1056
	;; [unrolled: 1-line block ×4, first 2 shown]
	s_waitcnt lgkmcnt(3)
	v_fma_f64 v[38:39], v[0:1], v[12:13], v[38:39]
	v_fma_f64 v[4:5], v[2:3], v[12:13], v[4:5]
	s_waitcnt lgkmcnt(2)
	v_fma_f64 v[12:13], v[0:1], v[26:27], v[42:43]
	v_fma_f64 v[16:17], v[2:3], v[26:27], v[16:17]
	ds_load_2addr_b64 v[0:3], v22 offset0:160 offset1:176
	s_waitcnt lgkmcnt(0)
	v_fma_f64 v[26:27], v[0:1], v[14:15], v[38:39]
	v_fma_f64 v[4:5], v[2:3], v[14:15], v[4:5]
	;; [unrolled: 1-line block ×4, first 2 shown]
	ds_load_2addr_b64 v[0:3], v22 offset0:192 offset1:208
	s_waitcnt lgkmcnt(0)
	v_fma_f64 v[26:27], v[0:1], v[30:31], v[26:27]
	v_fma_f64 v[4:5], v[2:3], v[30:31], v[4:5]
	;; [unrolled: 1-line block ×4, first 2 shown]
	ds_load_2addr_b64 v[14:17], v22 offset0:224 offset1:240
	s_waitcnt lgkmcnt(0)
	s_barrier
	buffer_gl0_inv
	v_fma_f64 v[12:13], v[14:15], v[32:33], v[26:27]
	v_fma_f64 v[4:5], v[16:17], v[32:33], v[4:5]
	;; [unrolled: 1-line block ×4, first 2 shown]
	s_cbranch_vccnz .LBB1071_7
.LBB1071_3:                             ; =>This Inner Loop Header: Depth=1
	v_add_co_u32 v14, s10, v21, s4
	s_delay_alu instid0(VALU_DEP_1) | instskip(NEXT) | instid1(VALU_DEP_1)
	v_add_co_ci_u32_e64 v15, null, 0, s5, s10
	v_cmp_gt_i64_e32 vcc_lo, s[16:17], v[14:15]
	v_dual_mov_b32 v15, v7 :: v_dual_mov_b32 v14, v6
	s_and_b32 s11, s2, vcc_lo
	s_delay_alu instid0(SALU_CYCLE_1)
	s_and_saveexec_b32 s10, s11
	s_cbranch_execz .LBB1071_5
; %bb.4:                                ;   in Loop: Header=BB1071_3 Depth=1
	global_load_b64 v[14:15], v[8:9], off
.LBB1071_5:                             ;   in Loop: Header=BB1071_3 Depth=1
	s_or_b32 exec_lo, exec_lo, s10
	v_add_co_u32 v16, s10, v20, s4
	s_delay_alu instid0(VALU_DEP_1)
	v_add_co_ci_u32_e64 v17, null, 0, s5, s10
	s_waitcnt vmcnt(0)
	ds_store_b64 v24, v[14:15]
	v_cmp_gt_i64_e32 vcc_lo, s[16:17], v[16:17]
	v_dual_mov_b32 v17, v7 :: v_dual_mov_b32 v16, v6
	s_and_b32 s11, vcc_lo, s3
	s_delay_alu instid0(SALU_CYCLE_1)
	s_and_saveexec_b32 s10, s11
	s_cbranch_execz .LBB1071_2
; %bb.6:                                ;   in Loop: Header=BB1071_3 Depth=1
	global_load_b64 v[16:17], v[10:11], off
	s_branch .LBB1071_2
.LBB1071_7:
	s_load_b256 s[4:11], s[0:1], 0x48
	v_add_nc_u32_e32 v10, s14, v19
	s_delay_alu instid0(VALU_DEP_1) | instskip(SKIP_1) | instid1(VALU_DEP_1)
	v_ashrrev_i32_e32 v6, 31, v10
	s_waitcnt lgkmcnt(0)
	v_mul_lo_u32 v9, v6, s8
	v_mul_lo_u32 v11, v10, s9
	v_mad_u64_u32 v[7:8], null, v10, s8, 0
	s_mul_i32 s1, s15, s11
	s_mul_hi_u32 s3, s15, s10
	s_mul_i32 s2, s15, s10
	s_add_i32 s3, s3, s1
	v_add_nc_u32_e32 v6, s13, v18
	s_lshl_b64 s[2:3], s[2:3], 3
	s_delay_alu instid0(VALU_DEP_2)
	v_add3_u32 v8, v8, v11, v9
	s_add_u32 s2, s6, s2
	s_addc_u32 s3, s7, s3
	v_cmp_le_i32_e64 s0, v10, v6
	v_cmp_gt_i32_e32 vcc_lo, s12, v6
	v_lshlrev_b64 v[7:8], 3, v[7:8]
	s_delay_alu instid0(VALU_DEP_3) | instskip(NEXT) | instid1(VALU_DEP_1)
	s_and_b32 s0, s0, vcc_lo
	v_add_co_u32 v11, s1, s2, v7
	s_delay_alu instid0(VALU_DEP_1)
	v_add_co_ci_u32_e64 v14, s1, s3, v8, s1
	s_and_saveexec_b32 s1, s0
	s_cbranch_execz .LBB1071_9
; %bb.8:
	v_ashrrev_i32_e32 v7, 31, v6
	s_delay_alu instid0(VALU_DEP_1) | instskip(NEXT) | instid1(VALU_DEP_1)
	v_lshlrev_b64 v[7:8], 3, v[6:7]
	v_add_co_u32 v7, s0, v11, v7
	s_delay_alu instid0(VALU_DEP_1) | instskip(SKIP_3) | instid1(VALU_DEP_1)
	v_add_co_ci_u32_e64 v8, s0, v14, v8, s0
	global_load_b64 v[15:16], v[7:8], off
	s_waitcnt vmcnt(0)
	v_mul_f64 v[15:16], v[15:16], s[4:5]
	v_fma_f64 v[12:13], v[12:13], s[18:19], v[15:16]
	global_store_b64 v[7:8], v[12:13], off
.LBB1071_9:
	s_or_b32 exec_lo, exec_lo, s1
	v_add_nc_u32_e32 v8, 16, v6
	s_delay_alu instid0(VALU_DEP_1) | instskip(SKIP_1) | instid1(VALU_DEP_1)
	v_cmp_le_i32_e64 s1, v10, v8
	v_cmp_gt_i32_e64 s0, s12, v8
	s_and_b32 s1, s1, s0
	s_delay_alu instid0(SALU_CYCLE_1)
	s_and_saveexec_b32 s6, s1
	s_cbranch_execz .LBB1071_11
; %bb.10:
	v_ashrrev_i32_e32 v9, 31, v8
	s_delay_alu instid0(VALU_DEP_1) | instskip(NEXT) | instid1(VALU_DEP_1)
	v_lshlrev_b64 v[12:13], 3, v[8:9]
	v_add_co_u32 v11, s1, v11, v12
	s_delay_alu instid0(VALU_DEP_1) | instskip(SKIP_3) | instid1(VALU_DEP_1)
	v_add_co_ci_u32_e64 v12, s1, v14, v13, s1
	global_load_b64 v[13:14], v[11:12], off
	s_waitcnt vmcnt(0)
	v_mul_f64 v[13:14], v[13:14], s[4:5]
	v_fma_f64 v[4:5], v[4:5], s[18:19], v[13:14]
	global_store_b64 v[11:12], v[4:5], off
.LBB1071_11:
	s_or_b32 exec_lo, exec_lo, s6
	v_add_nc_u32_e32 v4, 16, v10
	s_delay_alu instid0(VALU_DEP_1) | instskip(SKIP_3) | instid1(VALU_DEP_4)
	v_ashrrev_i32_e32 v5, 31, v4
	v_mul_lo_u32 v7, v4, s9
	v_mad_u64_u32 v[9:10], null, v4, s8, 0
	v_cmp_le_i32_e64 s1, v4, v6
	v_mul_lo_u32 v5, v5, s8
	s_delay_alu instid0(VALU_DEP_1) | instskip(NEXT) | instid1(VALU_DEP_1)
	v_add3_u32 v10, v10, v7, v5
	v_lshlrev_b64 v[9:10], 3, v[9:10]
	s_delay_alu instid0(VALU_DEP_1) | instskip(NEXT) | instid1(VALU_DEP_1)
	v_add_co_u32 v5, s2, s2, v9
	v_add_co_ci_u32_e64 v10, s2, s3, v10, s2
	s_and_b32 s2, s1, vcc_lo
	s_delay_alu instid0(SALU_CYCLE_1)
	s_and_saveexec_b32 s1, s2
	s_cbranch_execz .LBB1071_13
; %bb.12:
	v_ashrrev_i32_e32 v7, 31, v6
	s_delay_alu instid0(VALU_DEP_1) | instskip(NEXT) | instid1(VALU_DEP_1)
	v_lshlrev_b64 v[6:7], 3, v[6:7]
	v_add_co_u32 v6, vcc_lo, v5, v6
	s_delay_alu instid0(VALU_DEP_2) | instskip(SKIP_3) | instid1(VALU_DEP_1)
	v_add_co_ci_u32_e32 v7, vcc_lo, v10, v7, vcc_lo
	global_load_b64 v[11:12], v[6:7], off
	s_waitcnt vmcnt(0)
	v_mul_f64 v[11:12], v[11:12], s[4:5]
	v_fma_f64 v[2:3], v[2:3], s[18:19], v[11:12]
	global_store_b64 v[6:7], v[2:3], off
.LBB1071_13:
	s_or_b32 exec_lo, exec_lo, s1
	v_cmp_le_i32_e32 vcc_lo, v4, v8
	s_and_b32 s0, vcc_lo, s0
	s_delay_alu instid0(SALU_CYCLE_1)
	s_and_saveexec_b32 s1, s0
	s_cbranch_execz .LBB1071_15
; %bb.14:
	v_ashrrev_i32_e32 v9, 31, v8
	s_delay_alu instid0(VALU_DEP_1) | instskip(NEXT) | instid1(VALU_DEP_1)
	v_lshlrev_b64 v[2:3], 3, v[8:9]
	v_add_co_u32 v2, vcc_lo, v5, v2
	s_delay_alu instid0(VALU_DEP_2) | instskip(SKIP_3) | instid1(VALU_DEP_1)
	v_add_co_ci_u32_e32 v3, vcc_lo, v10, v3, vcc_lo
	global_load_b64 v[4:5], v[2:3], off
	s_waitcnt vmcnt(0)
	v_mul_f64 v[4:5], v[4:5], s[4:5]
	v_fma_f64 v[0:1], v[0:1], s[18:19], v[4:5]
	global_store_b64 v[2:3], v[0:1], off
.LBB1071_15:
	s_nop 0
	s_sendmsg sendmsg(MSG_DEALLOC_VGPRS)
	s_endpgm
	.section	.rodata,"a",@progbits
	.p2align	6, 0x0
	.amdhsa_kernel _ZL34rocblas_syrkx_herkx_general_kernelIldLi16ELi32ELi8ELb0ELb0ELc78ELc76EKddEviT_T0_PT8_S1_lS4_S1_lS2_PT9_S1_li
		.amdhsa_group_segment_fixed_size 4096
		.amdhsa_private_segment_fixed_size 0
		.amdhsa_kernarg_size 108
		.amdhsa_user_sgpr_count 13
		.amdhsa_user_sgpr_dispatch_ptr 0
		.amdhsa_user_sgpr_queue_ptr 0
		.amdhsa_user_sgpr_kernarg_segment_ptr 1
		.amdhsa_user_sgpr_dispatch_id 0
		.amdhsa_user_sgpr_private_segment_size 0
		.amdhsa_wavefront_size32 1
		.amdhsa_uses_dynamic_stack 0
		.amdhsa_enable_private_segment 0
		.amdhsa_system_sgpr_workgroup_id_x 1
		.amdhsa_system_sgpr_workgroup_id_y 1
		.amdhsa_system_sgpr_workgroup_id_z 1
		.amdhsa_system_sgpr_workgroup_info 0
		.amdhsa_system_vgpr_workitem_id 1
		.amdhsa_next_free_vgpr 44
		.amdhsa_next_free_sgpr 32
		.amdhsa_reserve_vcc 1
		.amdhsa_float_round_mode_32 0
		.amdhsa_float_round_mode_16_64 0
		.amdhsa_float_denorm_mode_32 3
		.amdhsa_float_denorm_mode_16_64 3
		.amdhsa_dx10_clamp 1
		.amdhsa_ieee_mode 1
		.amdhsa_fp16_overflow 0
		.amdhsa_workgroup_processor_mode 1
		.amdhsa_memory_ordered 1
		.amdhsa_forward_progress 0
		.amdhsa_shared_vgpr_count 0
		.amdhsa_exception_fp_ieee_invalid_op 0
		.amdhsa_exception_fp_denorm_src 0
		.amdhsa_exception_fp_ieee_div_zero 0
		.amdhsa_exception_fp_ieee_overflow 0
		.amdhsa_exception_fp_ieee_underflow 0
		.amdhsa_exception_fp_ieee_inexact 0
		.amdhsa_exception_int_div_zero 0
	.end_amdhsa_kernel
	.section	.text._ZL34rocblas_syrkx_herkx_general_kernelIldLi16ELi32ELi8ELb0ELb0ELc78ELc76EKddEviT_T0_PT8_S1_lS4_S1_lS2_PT9_S1_li,"axG",@progbits,_ZL34rocblas_syrkx_herkx_general_kernelIldLi16ELi32ELi8ELb0ELb0ELc78ELc76EKddEviT_T0_PT8_S1_lS4_S1_lS2_PT9_S1_li,comdat
.Lfunc_end1071:
	.size	_ZL34rocblas_syrkx_herkx_general_kernelIldLi16ELi32ELi8ELb0ELb0ELc78ELc76EKddEviT_T0_PT8_S1_lS4_S1_lS2_PT9_S1_li, .Lfunc_end1071-_ZL34rocblas_syrkx_herkx_general_kernelIldLi16ELi32ELi8ELb0ELb0ELc78ELc76EKddEviT_T0_PT8_S1_lS4_S1_lS2_PT9_S1_li
                                        ; -- End function
	.section	.AMDGPU.csdata,"",@progbits
; Kernel info:
; codeLenInByte = 1736
; NumSgprs: 34
; NumVgprs: 44
; ScratchSize: 0
; MemoryBound: 0
; FloatMode: 240
; IeeeMode: 1
; LDSByteSize: 4096 bytes/workgroup (compile time only)
; SGPRBlocks: 4
; VGPRBlocks: 5
; NumSGPRsForWavesPerEU: 34
; NumVGPRsForWavesPerEU: 44
; Occupancy: 16
; WaveLimiterHint : 0
; COMPUTE_PGM_RSRC2:SCRATCH_EN: 0
; COMPUTE_PGM_RSRC2:USER_SGPR: 13
; COMPUTE_PGM_RSRC2:TRAP_HANDLER: 0
; COMPUTE_PGM_RSRC2:TGID_X_EN: 1
; COMPUTE_PGM_RSRC2:TGID_Y_EN: 1
; COMPUTE_PGM_RSRC2:TGID_Z_EN: 1
; COMPUTE_PGM_RSRC2:TIDIG_COMP_CNT: 1
	.section	.text._ZL34rocblas_syrkx_herkx_general_kernelIldLi16ELi32ELi8ELb0ELb0ELc84ELc85EKddEviT_T0_PT8_S1_lS4_S1_lS2_PT9_S1_li,"axG",@progbits,_ZL34rocblas_syrkx_herkx_general_kernelIldLi16ELi32ELi8ELb0ELb0ELc84ELc85EKddEviT_T0_PT8_S1_lS4_S1_lS2_PT9_S1_li,comdat
	.globl	_ZL34rocblas_syrkx_herkx_general_kernelIldLi16ELi32ELi8ELb0ELb0ELc84ELc85EKddEviT_T0_PT8_S1_lS4_S1_lS2_PT9_S1_li ; -- Begin function _ZL34rocblas_syrkx_herkx_general_kernelIldLi16ELi32ELi8ELb0ELb0ELc84ELc85EKddEviT_T0_PT8_S1_lS4_S1_lS2_PT9_S1_li
	.p2align	8
	.type	_ZL34rocblas_syrkx_herkx_general_kernelIldLi16ELi32ELi8ELb0ELb0ELc84ELc85EKddEviT_T0_PT8_S1_lS4_S1_lS2_PT9_S1_li,@function
_ZL34rocblas_syrkx_herkx_general_kernelIldLi16ELi32ELi8ELb0ELb0ELc84ELc85EKddEviT_T0_PT8_S1_lS4_S1_lS2_PT9_S1_li: ; @_ZL34rocblas_syrkx_herkx_general_kernelIldLi16ELi32ELi8ELb0ELb0ELc84ELc85EKddEviT_T0_PT8_S1_lS4_S1_lS2_PT9_S1_li
; %bb.0:
	s_clause 0x1
	s_load_b512 s[16:31], s[0:1], 0x8
	s_load_b32 s12, s[0:1], 0x0
	v_mov_b32_e32 v12, 0
	v_dual_mov_b32 v13, 0 :: v_dual_and_b32 v18, 0x3ff, v0
	v_bfe_u32 v19, v0, 10, 10
	s_delay_alu instid0(VALU_DEP_3) | instskip(NEXT) | instid1(VALU_DEP_3)
	v_mov_b32_e32 v4, v12
	v_dual_mov_b32 v2, v12 :: v_dual_mov_b32 v3, v13
	v_dual_mov_b32 v5, v13 :: v_dual_mov_b32 v0, v12
	v_mov_b32_e32 v1, v13
	s_lshl_b32 s13, s13, 5
	s_lshl_b32 s14, s14, 5
	s_mov_b64 s[4:5], 0
	s_waitcnt lgkmcnt(0)
	v_cmp_lt_i64_e64 s2, s[16:17], 1
	s_delay_alu instid0(VALU_DEP_1)
	s_and_b32 vcc_lo, exec_lo, s2
	s_cbranch_vccnz .LBB1072_7
; %bb.1:
	v_lshl_add_u32 v0, v19, 4, v18
	v_and_b32_e32 v20, 7, v18
	s_mul_i32 s3, s25, s15
	s_mul_hi_u32 s6, s24, s15
	s_mul_i32 s2, s24, s15
	v_and_b32_e32 v2, 31, v0
	v_lshrrev_b32_e32 v4, 3, v0
	v_lshrrev_b32_e32 v23, 5, v0
	s_add_i32 s3, s6, s3
	v_lshlrev_b32_e32 v21, 3, v18
	v_add_nc_u32_e32 v3, s13, v2
	v_add_nc_u32_e32 v6, s14, v4
	v_or_b32_e32 v9, s13, v2
	v_lshlrev_b32_e32 v10, 3, v2
	s_lshl_b64 s[6:7], s[2:3], 3
	v_ashrrev_i32_e32 v5, 31, v3
	v_mul_lo_u32 v7, s23, v3
	v_mad_u64_u32 v[0:1], null, s22, v3, 0
	v_ashrrev_i32_e32 v11, 31, v6
	s_delay_alu instid0(VALU_DEP_4)
	v_mul_lo_u32 v5, s22, v5
	v_mul_lo_u32 v12, s29, v6
	v_mad_u64_u32 v[2:3], null, s28, v6, 0
	v_cmp_gt_i32_e64 s3, s12, v6
	s_mul_i32 s8, s31, s15
	v_cmp_gt_i32_e64 s2, s12, v9
	v_lshl_add_u32 v22, v19, 6, 0x800
	v_add3_u32 v1, v1, v5, v7
	v_mul_lo_u32 v5, s28, v11
	v_mov_b32_e32 v6, 0
	v_dual_mov_b32 v7, 0 :: v_dual_lshlrev_b32 v8, 3, v20
	s_delay_alu instid0(VALU_DEP_4) | instskip(NEXT) | instid1(VALU_DEP_2)
	v_lshlrev_b64 v[0:1], 3, v[0:1]
	v_lshl_or_b32 v4, v4, 6, v8
	v_add3_u32 v3, v3, v5, v12
	s_delay_alu instid0(VALU_DEP_4) | instskip(NEXT) | instid1(VALU_DEP_3)
	v_dual_mov_b32 v13, v7 :: v_dual_mov_b32 v12, v6
	v_add_nc_u32_e32 v25, 0x800, v4
	v_add_co_u32 v4, vcc_lo, v0, s6
	v_add_co_ci_u32_e32 v5, vcc_lo, s7, v1, vcc_lo
	s_mul_hi_u32 s6, s30, s15
	v_lshlrev_b64 v[0:1], 3, v[2:3]
	s_add_i32 s7, s6, s8
	s_mul_i32 s6, s30, s15
	v_lshlrev_b32_e32 v2, 3, v23
	s_lshl_b64 s[6:7], s[6:7], 3
	s_delay_alu instid0(VALU_DEP_2) | instid1(SALU_CYCLE_1)
	v_add_co_u32 v0, vcc_lo, v0, s6
	v_add_co_ci_u32_e32 v1, vcc_lo, s7, v1, vcc_lo
	s_delay_alu instid0(VALU_DEP_3) | instskip(SKIP_1) | instid1(VALU_DEP_4)
	v_add_co_u32 v2, vcc_lo, v4, v2
	v_add_co_ci_u32_e32 v3, vcc_lo, 0, v5, vcc_lo
	v_add_co_u32 v0, vcc_lo, v0, v8
	s_delay_alu instid0(VALU_DEP_4) | instskip(NEXT) | instid1(VALU_DEP_4)
	v_add_co_ci_u32_e32 v1, vcc_lo, 0, v1, vcc_lo
	v_add_co_u32 v8, vcc_lo, s20, v2
	s_delay_alu instid0(VALU_DEP_4)
	v_add_co_ci_u32_e32 v9, vcc_lo, s21, v3, vcc_lo
	v_dual_mov_b32 v4, v6 :: v_dual_mov_b32 v5, v7
	v_lshl_or_b32 v24, v23, 8, v10
	v_add_co_u32 v10, vcc_lo, s26, v0
	v_add_co_ci_u32_e32 v11, vcc_lo, s27, v1, vcc_lo
	v_mov_b32_e32 v0, v6
	v_dual_mov_b32 v2, v6 :: v_dual_mov_b32 v1, v7
	v_mov_b32_e32 v3, v7
	s_branch .LBB1072_3
.LBB1072_2:                             ;   in Loop: Header=BB1072_3 Depth=1
	s_or_b32 exec_lo, exec_lo, s6
	s_waitcnt vmcnt(0)
	ds_store_b64 v25, v[16:17]
	s_waitcnt lgkmcnt(0)
	s_barrier
	buffer_gl0_inv
	ds_load_2addr_b64 v[14:17], v21 offset1:16
	ds_load_b128 v[26:29], v22
	ds_load_b128 v[30:33], v22 offset:1024
	ds_load_b128 v[34:37], v22 offset:16
	;; [unrolled: 1-line block ×3, first 2 shown]
	s_add_u32 s4, s4, 8
	s_addc_u32 s5, s5, 0
	v_add_co_u32 v8, vcc_lo, v8, 64
	v_cmp_ge_i64_e64 s6, s[4:5], s[16:17]
	v_add_co_ci_u32_e32 v9, vcc_lo, 0, v9, vcc_lo
	v_add_co_u32 v10, vcc_lo, v10, 64
	v_add_co_ci_u32_e32 v11, vcc_lo, 0, v11, vcc_lo
	s_delay_alu instid0(VALU_DEP_4)
	s_and_b32 vcc_lo, exec_lo, s6
	s_waitcnt lgkmcnt(3)
	v_fma_f64 v[12:13], v[14:15], v[26:27], v[12:13]
	v_fma_f64 v[4:5], v[16:17], v[26:27], v[4:5]
	s_waitcnt lgkmcnt(2)
	v_fma_f64 v[14:15], v[14:15], v[30:31], v[2:3]
	v_fma_f64 v[16:17], v[16:17], v[30:31], v[0:1]
	ds_load_2addr_b64 v[0:3], v21 offset0:32 offset1:48
	s_waitcnt lgkmcnt(0)
	v_fma_f64 v[12:13], v[0:1], v[28:29], v[12:13]
	v_fma_f64 v[4:5], v[2:3], v[28:29], v[4:5]
	v_fma_f64 v[14:15], v[0:1], v[32:33], v[14:15]
	v_fma_f64 v[16:17], v[2:3], v[32:33], v[16:17]
	ds_load_2addr_b64 v[0:3], v21 offset0:64 offset1:80
	s_waitcnt lgkmcnt(0)
	v_fma_f64 v[12:13], v[0:1], v[34:35], v[12:13]
	v_fma_f64 v[4:5], v[2:3], v[34:35], v[4:5]
	;; [unrolled: 6-line block ×3, first 2 shown]
	v_fma_f64 v[42:43], v[0:1], v[40:41], v[14:15]
	v_fma_f64 v[16:17], v[2:3], v[40:41], v[16:17]
	ds_load_2addr_b64 v[0:3], v21 offset0:128 offset1:144
	ds_load_b128 v[12:15], v22 offset:32
	ds_load_b128 v[26:29], v22 offset:1056
	;; [unrolled: 1-line block ×4, first 2 shown]
	s_waitcnt lgkmcnt(3)
	v_fma_f64 v[38:39], v[0:1], v[12:13], v[38:39]
	v_fma_f64 v[4:5], v[2:3], v[12:13], v[4:5]
	s_waitcnt lgkmcnt(2)
	v_fma_f64 v[12:13], v[0:1], v[26:27], v[42:43]
	v_fma_f64 v[16:17], v[2:3], v[26:27], v[16:17]
	ds_load_2addr_b64 v[0:3], v21 offset0:160 offset1:176
	s_waitcnt lgkmcnt(0)
	v_fma_f64 v[26:27], v[0:1], v[14:15], v[38:39]
	v_fma_f64 v[4:5], v[2:3], v[14:15], v[4:5]
	;; [unrolled: 1-line block ×4, first 2 shown]
	ds_load_2addr_b64 v[0:3], v21 offset0:192 offset1:208
	s_waitcnt lgkmcnt(0)
	v_fma_f64 v[26:27], v[0:1], v[30:31], v[26:27]
	v_fma_f64 v[4:5], v[2:3], v[30:31], v[4:5]
	;; [unrolled: 1-line block ×4, first 2 shown]
	ds_load_2addr_b64 v[14:17], v21 offset0:224 offset1:240
	s_waitcnt lgkmcnt(0)
	s_barrier
	buffer_gl0_inv
	v_fma_f64 v[12:13], v[14:15], v[32:33], v[26:27]
	v_fma_f64 v[4:5], v[16:17], v[32:33], v[4:5]
	;; [unrolled: 1-line block ×4, first 2 shown]
	s_cbranch_vccnz .LBB1072_7
.LBB1072_3:                             ; =>This Inner Loop Header: Depth=1
	v_add_co_u32 v14, s6, v23, s4
	s_delay_alu instid0(VALU_DEP_1) | instskip(NEXT) | instid1(VALU_DEP_1)
	v_add_co_ci_u32_e64 v15, null, 0, s5, s6
	v_cmp_gt_i64_e32 vcc_lo, s[16:17], v[14:15]
	v_dual_mov_b32 v15, v7 :: v_dual_mov_b32 v14, v6
	s_and_b32 s7, s2, vcc_lo
	s_delay_alu instid0(SALU_CYCLE_1)
	s_and_saveexec_b32 s6, s7
	s_cbranch_execz .LBB1072_5
; %bb.4:                                ;   in Loop: Header=BB1072_3 Depth=1
	global_load_b64 v[14:15], v[8:9], off
.LBB1072_5:                             ;   in Loop: Header=BB1072_3 Depth=1
	s_or_b32 exec_lo, exec_lo, s6
	v_add_co_u32 v16, s6, v20, s4
	s_delay_alu instid0(VALU_DEP_1)
	v_add_co_ci_u32_e64 v17, null, 0, s5, s6
	s_waitcnt vmcnt(0)
	ds_store_b64 v24, v[14:15]
	v_cmp_gt_i64_e32 vcc_lo, s[16:17], v[16:17]
	v_dual_mov_b32 v17, v7 :: v_dual_mov_b32 v16, v6
	s_and_b32 s7, vcc_lo, s3
	s_delay_alu instid0(SALU_CYCLE_1)
	s_and_saveexec_b32 s6, s7
	s_cbranch_execz .LBB1072_2
; %bb.6:                                ;   in Loop: Header=BB1072_3 Depth=1
	global_load_b64 v[16:17], v[10:11], off
	s_branch .LBB1072_2
.LBB1072_7:
	s_load_b256 s[4:11], s[0:1], 0x48
	v_add_nc_u32_e32 v10, s14, v19
	s_delay_alu instid0(VALU_DEP_1) | instskip(SKIP_2) | instid1(VALU_DEP_2)
	v_ashrrev_i32_e32 v6, 31, v10
	v_cmp_gt_i32_e32 vcc_lo, s12, v10
	s_waitcnt lgkmcnt(0)
	v_mul_lo_u32 v9, v6, s8
	v_mul_lo_u32 v11, v10, s9
	v_mad_u64_u32 v[7:8], null, v10, s8, 0
	s_mul_i32 s1, s15, s11
	s_mul_hi_u32 s2, s15, s10
	s_mul_i32 s0, s15, s10
	s_add_i32 s1, s2, s1
	v_add_nc_u32_e32 v6, s13, v18
	s_lshl_b64 s[2:3], s[0:1], 3
	s_delay_alu instid0(VALU_DEP_2) | instskip(SKIP_3) | instid1(VALU_DEP_2)
	v_add3_u32 v8, v8, v11, v9
	s_add_u32 s2, s6, s2
	s_addc_u32 s3, s7, s3
	v_cmp_le_i32_e64 s0, v6, v10
	v_lshlrev_b64 v[7:8], 3, v[7:8]
	s_delay_alu instid0(VALU_DEP_2) | instskip(NEXT) | instid1(VALU_DEP_1)
	s_and_b32 s0, vcc_lo, s0
	v_add_co_u32 v11, s1, s2, v7
	s_delay_alu instid0(VALU_DEP_1)
	v_add_co_ci_u32_e64 v14, s1, s3, v8, s1
	s_and_saveexec_b32 s1, s0
	s_cbranch_execz .LBB1072_9
; %bb.8:
	v_ashrrev_i32_e32 v7, 31, v6
	s_delay_alu instid0(VALU_DEP_1) | instskip(NEXT) | instid1(VALU_DEP_1)
	v_lshlrev_b64 v[7:8], 3, v[6:7]
	v_add_co_u32 v7, s0, v11, v7
	s_delay_alu instid0(VALU_DEP_1) | instskip(SKIP_3) | instid1(VALU_DEP_1)
	v_add_co_ci_u32_e64 v8, s0, v14, v8, s0
	global_load_b64 v[15:16], v[7:8], off
	s_waitcnt vmcnt(0)
	v_mul_f64 v[15:16], v[15:16], s[4:5]
	v_fma_f64 v[12:13], v[12:13], s[18:19], v[15:16]
	global_store_b64 v[7:8], v[12:13], off
.LBB1072_9:
	s_or_b32 exec_lo, exec_lo, s1
	v_add_nc_u32_e32 v8, 16, v6
	s_delay_alu instid0(VALU_DEP_1) | instskip(NEXT) | instid1(VALU_DEP_1)
	v_cmp_le_i32_e64 s0, v8, v10
	s_and_b32 s1, vcc_lo, s0
	s_delay_alu instid0(SALU_CYCLE_1)
	s_and_saveexec_b32 s0, s1
	s_cbranch_execz .LBB1072_11
; %bb.10:
	v_ashrrev_i32_e32 v9, 31, v8
	s_delay_alu instid0(VALU_DEP_1) | instskip(NEXT) | instid1(VALU_DEP_1)
	v_lshlrev_b64 v[12:13], 3, v[8:9]
	v_add_co_u32 v11, vcc_lo, v11, v12
	s_delay_alu instid0(VALU_DEP_2) | instskip(SKIP_3) | instid1(VALU_DEP_1)
	v_add_co_ci_u32_e32 v12, vcc_lo, v14, v13, vcc_lo
	global_load_b64 v[13:14], v[11:12], off
	s_waitcnt vmcnt(0)
	v_mul_f64 v[13:14], v[13:14], s[4:5]
	v_fma_f64 v[4:5], v[4:5], s[18:19], v[13:14]
	global_store_b64 v[11:12], v[4:5], off
.LBB1072_11:
	s_or_b32 exec_lo, exec_lo, s0
	v_add_nc_u32_e32 v4, 16, v10
	s_delay_alu instid0(VALU_DEP_1) | instskip(SKIP_3) | instid1(VALU_DEP_4)
	v_ashrrev_i32_e32 v5, 31, v4
	v_mul_lo_u32 v7, v4, s9
	v_mad_u64_u32 v[9:10], null, v4, s8, 0
	v_cmp_gt_i32_e32 vcc_lo, s12, v4
	v_mul_lo_u32 v5, v5, s8
	v_cmp_le_i32_e64 s0, v6, v4
	s_delay_alu instid0(VALU_DEP_1) | instskip(NEXT) | instid1(VALU_DEP_2)
	s_and_b32 s0, vcc_lo, s0
	v_add3_u32 v10, v10, v7, v5
	s_delay_alu instid0(VALU_DEP_1) | instskip(NEXT) | instid1(VALU_DEP_1)
	v_lshlrev_b64 v[9:10], 3, v[9:10]
	v_add_co_u32 v5, s1, s2, v9
	s_delay_alu instid0(VALU_DEP_1)
	v_add_co_ci_u32_e64 v10, s1, s3, v10, s1
	s_and_saveexec_b32 s1, s0
	s_cbranch_execz .LBB1072_13
; %bb.12:
	v_ashrrev_i32_e32 v7, 31, v6
	s_delay_alu instid0(VALU_DEP_1) | instskip(NEXT) | instid1(VALU_DEP_1)
	v_lshlrev_b64 v[6:7], 3, v[6:7]
	v_add_co_u32 v6, s0, v5, v6
	s_delay_alu instid0(VALU_DEP_1) | instskip(SKIP_3) | instid1(VALU_DEP_1)
	v_add_co_ci_u32_e64 v7, s0, v10, v7, s0
	global_load_b64 v[11:12], v[6:7], off
	s_waitcnt vmcnt(0)
	v_mul_f64 v[11:12], v[11:12], s[4:5]
	v_fma_f64 v[2:3], v[2:3], s[18:19], v[11:12]
	global_store_b64 v[6:7], v[2:3], off
.LBB1072_13:
	s_or_b32 exec_lo, exec_lo, s1
	v_cmp_le_i32_e64 s0, v8, v4
	s_delay_alu instid0(VALU_DEP_1) | instskip(NEXT) | instid1(SALU_CYCLE_1)
	s_and_b32 s0, vcc_lo, s0
	s_and_saveexec_b32 s1, s0
	s_cbranch_execz .LBB1072_15
; %bb.14:
	v_ashrrev_i32_e32 v9, 31, v8
	s_delay_alu instid0(VALU_DEP_1) | instskip(NEXT) | instid1(VALU_DEP_1)
	v_lshlrev_b64 v[2:3], 3, v[8:9]
	v_add_co_u32 v2, vcc_lo, v5, v2
	s_delay_alu instid0(VALU_DEP_2) | instskip(SKIP_3) | instid1(VALU_DEP_1)
	v_add_co_ci_u32_e32 v3, vcc_lo, v10, v3, vcc_lo
	global_load_b64 v[4:5], v[2:3], off
	s_waitcnt vmcnt(0)
	v_mul_f64 v[4:5], v[4:5], s[4:5]
	v_fma_f64 v[0:1], v[0:1], s[18:19], v[4:5]
	global_store_b64 v[2:3], v[0:1], off
.LBB1072_15:
	s_nop 0
	s_sendmsg sendmsg(MSG_DEALLOC_VGPRS)
	s_endpgm
	.section	.rodata,"a",@progbits
	.p2align	6, 0x0
	.amdhsa_kernel _ZL34rocblas_syrkx_herkx_general_kernelIldLi16ELi32ELi8ELb0ELb0ELc84ELc85EKddEviT_T0_PT8_S1_lS4_S1_lS2_PT9_S1_li
		.amdhsa_group_segment_fixed_size 4096
		.amdhsa_private_segment_fixed_size 0
		.amdhsa_kernarg_size 108
		.amdhsa_user_sgpr_count 13
		.amdhsa_user_sgpr_dispatch_ptr 0
		.amdhsa_user_sgpr_queue_ptr 0
		.amdhsa_user_sgpr_kernarg_segment_ptr 1
		.amdhsa_user_sgpr_dispatch_id 0
		.amdhsa_user_sgpr_private_segment_size 0
		.amdhsa_wavefront_size32 1
		.amdhsa_uses_dynamic_stack 0
		.amdhsa_enable_private_segment 0
		.amdhsa_system_sgpr_workgroup_id_x 1
		.amdhsa_system_sgpr_workgroup_id_y 1
		.amdhsa_system_sgpr_workgroup_id_z 1
		.amdhsa_system_sgpr_workgroup_info 0
		.amdhsa_system_vgpr_workitem_id 1
		.amdhsa_next_free_vgpr 44
		.amdhsa_next_free_sgpr 32
		.amdhsa_reserve_vcc 1
		.amdhsa_float_round_mode_32 0
		.amdhsa_float_round_mode_16_64 0
		.amdhsa_float_denorm_mode_32 3
		.amdhsa_float_denorm_mode_16_64 3
		.amdhsa_dx10_clamp 1
		.amdhsa_ieee_mode 1
		.amdhsa_fp16_overflow 0
		.amdhsa_workgroup_processor_mode 1
		.amdhsa_memory_ordered 1
		.amdhsa_forward_progress 0
		.amdhsa_shared_vgpr_count 0
		.amdhsa_exception_fp_ieee_invalid_op 0
		.amdhsa_exception_fp_denorm_src 0
		.amdhsa_exception_fp_ieee_div_zero 0
		.amdhsa_exception_fp_ieee_overflow 0
		.amdhsa_exception_fp_ieee_underflow 0
		.amdhsa_exception_fp_ieee_inexact 0
		.amdhsa_exception_int_div_zero 0
	.end_amdhsa_kernel
	.section	.text._ZL34rocblas_syrkx_herkx_general_kernelIldLi16ELi32ELi8ELb0ELb0ELc84ELc85EKddEviT_T0_PT8_S1_lS4_S1_lS2_PT9_S1_li,"axG",@progbits,_ZL34rocblas_syrkx_herkx_general_kernelIldLi16ELi32ELi8ELb0ELb0ELc84ELc85EKddEviT_T0_PT8_S1_lS4_S1_lS2_PT9_S1_li,comdat
.Lfunc_end1072:
	.size	_ZL34rocblas_syrkx_herkx_general_kernelIldLi16ELi32ELi8ELb0ELb0ELc84ELc85EKddEviT_T0_PT8_S1_lS4_S1_lS2_PT9_S1_li, .Lfunc_end1072-_ZL34rocblas_syrkx_herkx_general_kernelIldLi16ELi32ELi8ELb0ELb0ELc84ELc85EKddEviT_T0_PT8_S1_lS4_S1_lS2_PT9_S1_li
                                        ; -- End function
	.section	.AMDGPU.csdata,"",@progbits
; Kernel info:
; codeLenInByte = 1748
; NumSgprs: 34
; NumVgprs: 44
; ScratchSize: 0
; MemoryBound: 0
; FloatMode: 240
; IeeeMode: 1
; LDSByteSize: 4096 bytes/workgroup (compile time only)
; SGPRBlocks: 4
; VGPRBlocks: 5
; NumSGPRsForWavesPerEU: 34
; NumVGPRsForWavesPerEU: 44
; Occupancy: 16
; WaveLimiterHint : 0
; COMPUTE_PGM_RSRC2:SCRATCH_EN: 0
; COMPUTE_PGM_RSRC2:USER_SGPR: 13
; COMPUTE_PGM_RSRC2:TRAP_HANDLER: 0
; COMPUTE_PGM_RSRC2:TGID_X_EN: 1
; COMPUTE_PGM_RSRC2:TGID_Y_EN: 1
; COMPUTE_PGM_RSRC2:TGID_Z_EN: 1
; COMPUTE_PGM_RSRC2:TIDIG_COMP_CNT: 1
	.section	.text._ZL34rocblas_syrkx_herkx_general_kernelIldLi16ELi32ELi8ELb0ELb0ELc67ELc85EKddEviT_T0_PT8_S1_lS4_S1_lS2_PT9_S1_li,"axG",@progbits,_ZL34rocblas_syrkx_herkx_general_kernelIldLi16ELi32ELi8ELb0ELb0ELc67ELc85EKddEviT_T0_PT8_S1_lS4_S1_lS2_PT9_S1_li,comdat
	.globl	_ZL34rocblas_syrkx_herkx_general_kernelIldLi16ELi32ELi8ELb0ELb0ELc67ELc85EKddEviT_T0_PT8_S1_lS4_S1_lS2_PT9_S1_li ; -- Begin function _ZL34rocblas_syrkx_herkx_general_kernelIldLi16ELi32ELi8ELb0ELb0ELc67ELc85EKddEviT_T0_PT8_S1_lS4_S1_lS2_PT9_S1_li
	.p2align	8
	.type	_ZL34rocblas_syrkx_herkx_general_kernelIldLi16ELi32ELi8ELb0ELb0ELc67ELc85EKddEviT_T0_PT8_S1_lS4_S1_lS2_PT9_S1_li,@function
_ZL34rocblas_syrkx_herkx_general_kernelIldLi16ELi32ELi8ELb0ELb0ELc67ELc85EKddEviT_T0_PT8_S1_lS4_S1_lS2_PT9_S1_li: ; @_ZL34rocblas_syrkx_herkx_general_kernelIldLi16ELi32ELi8ELb0ELb0ELc67ELc85EKddEviT_T0_PT8_S1_lS4_S1_lS2_PT9_S1_li
; %bb.0:
	s_clause 0x1
	s_load_b512 s[16:31], s[0:1], 0x8
	s_load_b32 s12, s[0:1], 0x0
	v_mov_b32_e32 v12, 0
	v_dual_mov_b32 v13, 0 :: v_dual_and_b32 v18, 0x3ff, v0
	v_bfe_u32 v19, v0, 10, 10
	s_delay_alu instid0(VALU_DEP_3) | instskip(NEXT) | instid1(VALU_DEP_3)
	v_mov_b32_e32 v4, v12
	v_dual_mov_b32 v2, v12 :: v_dual_mov_b32 v3, v13
	v_dual_mov_b32 v5, v13 :: v_dual_mov_b32 v0, v12
	v_mov_b32_e32 v1, v13
	s_lshl_b32 s13, s13, 5
	s_lshl_b32 s14, s14, 5
	s_mov_b64 s[4:5], 0
	s_waitcnt lgkmcnt(0)
	v_cmp_lt_i64_e64 s2, s[16:17], 1
	s_delay_alu instid0(VALU_DEP_1)
	s_and_b32 vcc_lo, exec_lo, s2
	s_cbranch_vccnz .LBB1073_7
; %bb.1:
	v_lshl_add_u32 v0, v19, 4, v18
	v_and_b32_e32 v20, 7, v18
	s_mul_i32 s3, s25, s15
	s_mul_hi_u32 s6, s24, s15
	s_mul_i32 s2, s24, s15
	v_and_b32_e32 v2, 31, v0
	v_lshrrev_b32_e32 v4, 3, v0
	v_lshrrev_b32_e32 v23, 5, v0
	s_add_i32 s3, s6, s3
	v_lshlrev_b32_e32 v21, 3, v18
	v_add_nc_u32_e32 v3, s13, v2
	v_add_nc_u32_e32 v6, s14, v4
	v_or_b32_e32 v9, s13, v2
	v_lshlrev_b32_e32 v10, 3, v2
	s_lshl_b64 s[6:7], s[2:3], 3
	v_ashrrev_i32_e32 v5, 31, v3
	v_mul_lo_u32 v7, s23, v3
	v_mad_u64_u32 v[0:1], null, s22, v3, 0
	v_ashrrev_i32_e32 v11, 31, v6
	s_delay_alu instid0(VALU_DEP_4)
	v_mul_lo_u32 v5, s22, v5
	v_mul_lo_u32 v12, s29, v6
	v_mad_u64_u32 v[2:3], null, s28, v6, 0
	v_cmp_gt_i32_e64 s3, s12, v6
	s_mul_i32 s8, s31, s15
	v_cmp_gt_i32_e64 s2, s12, v9
	v_lshl_add_u32 v22, v19, 6, 0x800
	v_add3_u32 v1, v1, v5, v7
	v_mul_lo_u32 v5, s28, v11
	v_mov_b32_e32 v6, 0
	v_dual_mov_b32 v7, 0 :: v_dual_lshlrev_b32 v8, 3, v20
	s_delay_alu instid0(VALU_DEP_4) | instskip(NEXT) | instid1(VALU_DEP_2)
	v_lshlrev_b64 v[0:1], 3, v[0:1]
	v_lshl_or_b32 v4, v4, 6, v8
	v_add3_u32 v3, v3, v5, v12
	s_delay_alu instid0(VALU_DEP_4) | instskip(NEXT) | instid1(VALU_DEP_3)
	v_dual_mov_b32 v13, v7 :: v_dual_mov_b32 v12, v6
	v_add_nc_u32_e32 v25, 0x800, v4
	v_add_co_u32 v4, vcc_lo, v0, s6
	v_add_co_ci_u32_e32 v5, vcc_lo, s7, v1, vcc_lo
	s_mul_hi_u32 s6, s30, s15
	v_lshlrev_b64 v[0:1], 3, v[2:3]
	s_add_i32 s7, s6, s8
	s_mul_i32 s6, s30, s15
	v_lshlrev_b32_e32 v2, 3, v23
	s_lshl_b64 s[6:7], s[6:7], 3
	s_delay_alu instid0(VALU_DEP_2) | instid1(SALU_CYCLE_1)
	v_add_co_u32 v0, vcc_lo, v0, s6
	v_add_co_ci_u32_e32 v1, vcc_lo, s7, v1, vcc_lo
	s_delay_alu instid0(VALU_DEP_3) | instskip(SKIP_1) | instid1(VALU_DEP_4)
	v_add_co_u32 v2, vcc_lo, v4, v2
	v_add_co_ci_u32_e32 v3, vcc_lo, 0, v5, vcc_lo
	v_add_co_u32 v0, vcc_lo, v0, v8
	s_delay_alu instid0(VALU_DEP_4) | instskip(NEXT) | instid1(VALU_DEP_4)
	v_add_co_ci_u32_e32 v1, vcc_lo, 0, v1, vcc_lo
	v_add_co_u32 v8, vcc_lo, s20, v2
	s_delay_alu instid0(VALU_DEP_4)
	v_add_co_ci_u32_e32 v9, vcc_lo, s21, v3, vcc_lo
	v_dual_mov_b32 v4, v6 :: v_dual_mov_b32 v5, v7
	v_lshl_or_b32 v24, v23, 8, v10
	v_add_co_u32 v10, vcc_lo, s26, v0
	v_add_co_ci_u32_e32 v11, vcc_lo, s27, v1, vcc_lo
	v_mov_b32_e32 v0, v6
	v_dual_mov_b32 v2, v6 :: v_dual_mov_b32 v1, v7
	v_mov_b32_e32 v3, v7
	s_branch .LBB1073_3
.LBB1073_2:                             ;   in Loop: Header=BB1073_3 Depth=1
	s_or_b32 exec_lo, exec_lo, s6
	s_waitcnt vmcnt(0)
	ds_store_b64 v25, v[16:17]
	s_waitcnt lgkmcnt(0)
	s_barrier
	buffer_gl0_inv
	ds_load_2addr_b64 v[14:17], v21 offset1:16
	ds_load_b128 v[26:29], v22
	ds_load_b128 v[30:33], v22 offset:1024
	ds_load_b128 v[34:37], v22 offset:16
	;; [unrolled: 1-line block ×3, first 2 shown]
	s_add_u32 s4, s4, 8
	s_addc_u32 s5, s5, 0
	v_add_co_u32 v8, vcc_lo, v8, 64
	v_cmp_ge_i64_e64 s6, s[4:5], s[16:17]
	v_add_co_ci_u32_e32 v9, vcc_lo, 0, v9, vcc_lo
	v_add_co_u32 v10, vcc_lo, v10, 64
	v_add_co_ci_u32_e32 v11, vcc_lo, 0, v11, vcc_lo
	s_delay_alu instid0(VALU_DEP_4)
	s_and_b32 vcc_lo, exec_lo, s6
	s_waitcnt lgkmcnt(3)
	v_fma_f64 v[12:13], v[14:15], v[26:27], v[12:13]
	v_fma_f64 v[4:5], v[16:17], v[26:27], v[4:5]
	s_waitcnt lgkmcnt(2)
	v_fma_f64 v[14:15], v[14:15], v[30:31], v[2:3]
	v_fma_f64 v[16:17], v[16:17], v[30:31], v[0:1]
	ds_load_2addr_b64 v[0:3], v21 offset0:32 offset1:48
	s_waitcnt lgkmcnt(0)
	v_fma_f64 v[12:13], v[0:1], v[28:29], v[12:13]
	v_fma_f64 v[4:5], v[2:3], v[28:29], v[4:5]
	v_fma_f64 v[14:15], v[0:1], v[32:33], v[14:15]
	v_fma_f64 v[16:17], v[2:3], v[32:33], v[16:17]
	ds_load_2addr_b64 v[0:3], v21 offset0:64 offset1:80
	s_waitcnt lgkmcnt(0)
	v_fma_f64 v[12:13], v[0:1], v[34:35], v[12:13]
	v_fma_f64 v[4:5], v[2:3], v[34:35], v[4:5]
	;; [unrolled: 6-line block ×3, first 2 shown]
	v_fma_f64 v[42:43], v[0:1], v[40:41], v[14:15]
	v_fma_f64 v[16:17], v[2:3], v[40:41], v[16:17]
	ds_load_2addr_b64 v[0:3], v21 offset0:128 offset1:144
	ds_load_b128 v[12:15], v22 offset:32
	ds_load_b128 v[26:29], v22 offset:1056
	;; [unrolled: 1-line block ×4, first 2 shown]
	s_waitcnt lgkmcnt(3)
	v_fma_f64 v[38:39], v[0:1], v[12:13], v[38:39]
	v_fma_f64 v[4:5], v[2:3], v[12:13], v[4:5]
	s_waitcnt lgkmcnt(2)
	v_fma_f64 v[12:13], v[0:1], v[26:27], v[42:43]
	v_fma_f64 v[16:17], v[2:3], v[26:27], v[16:17]
	ds_load_2addr_b64 v[0:3], v21 offset0:160 offset1:176
	s_waitcnt lgkmcnt(0)
	v_fma_f64 v[26:27], v[0:1], v[14:15], v[38:39]
	v_fma_f64 v[4:5], v[2:3], v[14:15], v[4:5]
	;; [unrolled: 1-line block ×4, first 2 shown]
	ds_load_2addr_b64 v[0:3], v21 offset0:192 offset1:208
	s_waitcnt lgkmcnt(0)
	v_fma_f64 v[26:27], v[0:1], v[30:31], v[26:27]
	v_fma_f64 v[4:5], v[2:3], v[30:31], v[4:5]
	v_fma_f64 v[0:1], v[0:1], v[34:35], v[12:13]
	v_fma_f64 v[28:29], v[2:3], v[34:35], v[14:15]
	ds_load_2addr_b64 v[14:17], v21 offset0:224 offset1:240
	s_waitcnt lgkmcnt(0)
	s_barrier
	buffer_gl0_inv
	v_fma_f64 v[12:13], v[14:15], v[32:33], v[26:27]
	v_fma_f64 v[4:5], v[16:17], v[32:33], v[4:5]
	;; [unrolled: 1-line block ×4, first 2 shown]
	s_cbranch_vccnz .LBB1073_7
.LBB1073_3:                             ; =>This Inner Loop Header: Depth=1
	v_add_co_u32 v14, s6, v23, s4
	s_delay_alu instid0(VALU_DEP_1) | instskip(NEXT) | instid1(VALU_DEP_1)
	v_add_co_ci_u32_e64 v15, null, 0, s5, s6
	v_cmp_gt_i64_e32 vcc_lo, s[16:17], v[14:15]
	v_dual_mov_b32 v15, v7 :: v_dual_mov_b32 v14, v6
	s_and_b32 s7, s2, vcc_lo
	s_delay_alu instid0(SALU_CYCLE_1)
	s_and_saveexec_b32 s6, s7
	s_cbranch_execz .LBB1073_5
; %bb.4:                                ;   in Loop: Header=BB1073_3 Depth=1
	global_load_b64 v[14:15], v[8:9], off
.LBB1073_5:                             ;   in Loop: Header=BB1073_3 Depth=1
	s_or_b32 exec_lo, exec_lo, s6
	v_add_co_u32 v16, s6, v20, s4
	s_delay_alu instid0(VALU_DEP_1)
	v_add_co_ci_u32_e64 v17, null, 0, s5, s6
	s_waitcnt vmcnt(0)
	ds_store_b64 v24, v[14:15]
	v_cmp_gt_i64_e32 vcc_lo, s[16:17], v[16:17]
	v_dual_mov_b32 v17, v7 :: v_dual_mov_b32 v16, v6
	s_and_b32 s7, vcc_lo, s3
	s_delay_alu instid0(SALU_CYCLE_1)
	s_and_saveexec_b32 s6, s7
	s_cbranch_execz .LBB1073_2
; %bb.6:                                ;   in Loop: Header=BB1073_3 Depth=1
	global_load_b64 v[16:17], v[10:11], off
	s_branch .LBB1073_2
.LBB1073_7:
	s_load_b256 s[4:11], s[0:1], 0x48
	v_add_nc_u32_e32 v10, s14, v19
	s_delay_alu instid0(VALU_DEP_1) | instskip(SKIP_2) | instid1(VALU_DEP_2)
	v_ashrrev_i32_e32 v6, 31, v10
	v_cmp_gt_i32_e32 vcc_lo, s12, v10
	s_waitcnt lgkmcnt(0)
	v_mul_lo_u32 v9, v6, s8
	v_mul_lo_u32 v11, v10, s9
	v_mad_u64_u32 v[7:8], null, v10, s8, 0
	s_mul_i32 s1, s15, s11
	s_mul_hi_u32 s2, s15, s10
	s_mul_i32 s0, s15, s10
	s_add_i32 s1, s2, s1
	v_add_nc_u32_e32 v6, s13, v18
	s_lshl_b64 s[2:3], s[0:1], 3
	s_delay_alu instid0(VALU_DEP_2) | instskip(SKIP_3) | instid1(VALU_DEP_2)
	v_add3_u32 v8, v8, v11, v9
	s_add_u32 s2, s6, s2
	s_addc_u32 s3, s7, s3
	v_cmp_le_i32_e64 s0, v6, v10
	v_lshlrev_b64 v[7:8], 3, v[7:8]
	s_delay_alu instid0(VALU_DEP_2) | instskip(NEXT) | instid1(VALU_DEP_1)
	s_and_b32 s0, vcc_lo, s0
	v_add_co_u32 v11, s1, s2, v7
	s_delay_alu instid0(VALU_DEP_1)
	v_add_co_ci_u32_e64 v14, s1, s3, v8, s1
	s_and_saveexec_b32 s1, s0
	s_cbranch_execz .LBB1073_9
; %bb.8:
	v_ashrrev_i32_e32 v7, 31, v6
	s_delay_alu instid0(VALU_DEP_1) | instskip(NEXT) | instid1(VALU_DEP_1)
	v_lshlrev_b64 v[7:8], 3, v[6:7]
	v_add_co_u32 v7, s0, v11, v7
	s_delay_alu instid0(VALU_DEP_1) | instskip(SKIP_3) | instid1(VALU_DEP_1)
	v_add_co_ci_u32_e64 v8, s0, v14, v8, s0
	global_load_b64 v[15:16], v[7:8], off
	s_waitcnt vmcnt(0)
	v_mul_f64 v[15:16], v[15:16], s[4:5]
	v_fma_f64 v[12:13], v[12:13], s[18:19], v[15:16]
	global_store_b64 v[7:8], v[12:13], off
.LBB1073_9:
	s_or_b32 exec_lo, exec_lo, s1
	v_add_nc_u32_e32 v8, 16, v6
	s_delay_alu instid0(VALU_DEP_1) | instskip(NEXT) | instid1(VALU_DEP_1)
	v_cmp_le_i32_e64 s0, v8, v10
	s_and_b32 s1, vcc_lo, s0
	s_delay_alu instid0(SALU_CYCLE_1)
	s_and_saveexec_b32 s0, s1
	s_cbranch_execz .LBB1073_11
; %bb.10:
	v_ashrrev_i32_e32 v9, 31, v8
	s_delay_alu instid0(VALU_DEP_1) | instskip(NEXT) | instid1(VALU_DEP_1)
	v_lshlrev_b64 v[12:13], 3, v[8:9]
	v_add_co_u32 v11, vcc_lo, v11, v12
	s_delay_alu instid0(VALU_DEP_2) | instskip(SKIP_3) | instid1(VALU_DEP_1)
	v_add_co_ci_u32_e32 v12, vcc_lo, v14, v13, vcc_lo
	global_load_b64 v[13:14], v[11:12], off
	s_waitcnt vmcnt(0)
	v_mul_f64 v[13:14], v[13:14], s[4:5]
	v_fma_f64 v[4:5], v[4:5], s[18:19], v[13:14]
	global_store_b64 v[11:12], v[4:5], off
.LBB1073_11:
	s_or_b32 exec_lo, exec_lo, s0
	v_add_nc_u32_e32 v4, 16, v10
	s_delay_alu instid0(VALU_DEP_1) | instskip(SKIP_3) | instid1(VALU_DEP_4)
	v_ashrrev_i32_e32 v5, 31, v4
	v_mul_lo_u32 v7, v4, s9
	v_mad_u64_u32 v[9:10], null, v4, s8, 0
	v_cmp_gt_i32_e32 vcc_lo, s12, v4
	v_mul_lo_u32 v5, v5, s8
	v_cmp_le_i32_e64 s0, v6, v4
	s_delay_alu instid0(VALU_DEP_1) | instskip(NEXT) | instid1(VALU_DEP_2)
	s_and_b32 s0, vcc_lo, s0
	v_add3_u32 v10, v10, v7, v5
	s_delay_alu instid0(VALU_DEP_1) | instskip(NEXT) | instid1(VALU_DEP_1)
	v_lshlrev_b64 v[9:10], 3, v[9:10]
	v_add_co_u32 v5, s1, s2, v9
	s_delay_alu instid0(VALU_DEP_1)
	v_add_co_ci_u32_e64 v10, s1, s3, v10, s1
	s_and_saveexec_b32 s1, s0
	s_cbranch_execz .LBB1073_13
; %bb.12:
	v_ashrrev_i32_e32 v7, 31, v6
	s_delay_alu instid0(VALU_DEP_1) | instskip(NEXT) | instid1(VALU_DEP_1)
	v_lshlrev_b64 v[6:7], 3, v[6:7]
	v_add_co_u32 v6, s0, v5, v6
	s_delay_alu instid0(VALU_DEP_1) | instskip(SKIP_3) | instid1(VALU_DEP_1)
	v_add_co_ci_u32_e64 v7, s0, v10, v7, s0
	global_load_b64 v[11:12], v[6:7], off
	s_waitcnt vmcnt(0)
	v_mul_f64 v[11:12], v[11:12], s[4:5]
	v_fma_f64 v[2:3], v[2:3], s[18:19], v[11:12]
	global_store_b64 v[6:7], v[2:3], off
.LBB1073_13:
	s_or_b32 exec_lo, exec_lo, s1
	v_cmp_le_i32_e64 s0, v8, v4
	s_delay_alu instid0(VALU_DEP_1) | instskip(NEXT) | instid1(SALU_CYCLE_1)
	s_and_b32 s0, vcc_lo, s0
	s_and_saveexec_b32 s1, s0
	s_cbranch_execz .LBB1073_15
; %bb.14:
	v_ashrrev_i32_e32 v9, 31, v8
	s_delay_alu instid0(VALU_DEP_1) | instskip(NEXT) | instid1(VALU_DEP_1)
	v_lshlrev_b64 v[2:3], 3, v[8:9]
	v_add_co_u32 v2, vcc_lo, v5, v2
	s_delay_alu instid0(VALU_DEP_2) | instskip(SKIP_3) | instid1(VALU_DEP_1)
	v_add_co_ci_u32_e32 v3, vcc_lo, v10, v3, vcc_lo
	global_load_b64 v[4:5], v[2:3], off
	s_waitcnt vmcnt(0)
	v_mul_f64 v[4:5], v[4:5], s[4:5]
	v_fma_f64 v[0:1], v[0:1], s[18:19], v[4:5]
	global_store_b64 v[2:3], v[0:1], off
.LBB1073_15:
	s_nop 0
	s_sendmsg sendmsg(MSG_DEALLOC_VGPRS)
	s_endpgm
	.section	.rodata,"a",@progbits
	.p2align	6, 0x0
	.amdhsa_kernel _ZL34rocblas_syrkx_herkx_general_kernelIldLi16ELi32ELi8ELb0ELb0ELc67ELc85EKddEviT_T0_PT8_S1_lS4_S1_lS2_PT9_S1_li
		.amdhsa_group_segment_fixed_size 4096
		.amdhsa_private_segment_fixed_size 0
		.amdhsa_kernarg_size 108
		.amdhsa_user_sgpr_count 13
		.amdhsa_user_sgpr_dispatch_ptr 0
		.amdhsa_user_sgpr_queue_ptr 0
		.amdhsa_user_sgpr_kernarg_segment_ptr 1
		.amdhsa_user_sgpr_dispatch_id 0
		.amdhsa_user_sgpr_private_segment_size 0
		.amdhsa_wavefront_size32 1
		.amdhsa_uses_dynamic_stack 0
		.amdhsa_enable_private_segment 0
		.amdhsa_system_sgpr_workgroup_id_x 1
		.amdhsa_system_sgpr_workgroup_id_y 1
		.amdhsa_system_sgpr_workgroup_id_z 1
		.amdhsa_system_sgpr_workgroup_info 0
		.amdhsa_system_vgpr_workitem_id 1
		.amdhsa_next_free_vgpr 44
		.amdhsa_next_free_sgpr 32
		.amdhsa_reserve_vcc 1
		.amdhsa_float_round_mode_32 0
		.amdhsa_float_round_mode_16_64 0
		.amdhsa_float_denorm_mode_32 3
		.amdhsa_float_denorm_mode_16_64 3
		.amdhsa_dx10_clamp 1
		.amdhsa_ieee_mode 1
		.amdhsa_fp16_overflow 0
		.amdhsa_workgroup_processor_mode 1
		.amdhsa_memory_ordered 1
		.amdhsa_forward_progress 0
		.amdhsa_shared_vgpr_count 0
		.amdhsa_exception_fp_ieee_invalid_op 0
		.amdhsa_exception_fp_denorm_src 0
		.amdhsa_exception_fp_ieee_div_zero 0
		.amdhsa_exception_fp_ieee_overflow 0
		.amdhsa_exception_fp_ieee_underflow 0
		.amdhsa_exception_fp_ieee_inexact 0
		.amdhsa_exception_int_div_zero 0
	.end_amdhsa_kernel
	.section	.text._ZL34rocblas_syrkx_herkx_general_kernelIldLi16ELi32ELi8ELb0ELb0ELc67ELc85EKddEviT_T0_PT8_S1_lS4_S1_lS2_PT9_S1_li,"axG",@progbits,_ZL34rocblas_syrkx_herkx_general_kernelIldLi16ELi32ELi8ELb0ELb0ELc67ELc85EKddEviT_T0_PT8_S1_lS4_S1_lS2_PT9_S1_li,comdat
.Lfunc_end1073:
	.size	_ZL34rocblas_syrkx_herkx_general_kernelIldLi16ELi32ELi8ELb0ELb0ELc67ELc85EKddEviT_T0_PT8_S1_lS4_S1_lS2_PT9_S1_li, .Lfunc_end1073-_ZL34rocblas_syrkx_herkx_general_kernelIldLi16ELi32ELi8ELb0ELb0ELc67ELc85EKddEviT_T0_PT8_S1_lS4_S1_lS2_PT9_S1_li
                                        ; -- End function
	.section	.AMDGPU.csdata,"",@progbits
; Kernel info:
; codeLenInByte = 1748
; NumSgprs: 34
; NumVgprs: 44
; ScratchSize: 0
; MemoryBound: 0
; FloatMode: 240
; IeeeMode: 1
; LDSByteSize: 4096 bytes/workgroup (compile time only)
; SGPRBlocks: 4
; VGPRBlocks: 5
; NumSGPRsForWavesPerEU: 34
; NumVGPRsForWavesPerEU: 44
; Occupancy: 16
; WaveLimiterHint : 0
; COMPUTE_PGM_RSRC2:SCRATCH_EN: 0
; COMPUTE_PGM_RSRC2:USER_SGPR: 13
; COMPUTE_PGM_RSRC2:TRAP_HANDLER: 0
; COMPUTE_PGM_RSRC2:TGID_X_EN: 1
; COMPUTE_PGM_RSRC2:TGID_Y_EN: 1
; COMPUTE_PGM_RSRC2:TGID_Z_EN: 1
; COMPUTE_PGM_RSRC2:TIDIG_COMP_CNT: 1
	.section	.text._ZL34rocblas_syrkx_herkx_general_kernelIldLi16ELi32ELi8ELb0ELb0ELc78ELc85EKddEviT_T0_PT8_S1_lS4_S1_lS2_PT9_S1_li,"axG",@progbits,_ZL34rocblas_syrkx_herkx_general_kernelIldLi16ELi32ELi8ELb0ELb0ELc78ELc85EKddEviT_T0_PT8_S1_lS4_S1_lS2_PT9_S1_li,comdat
	.globl	_ZL34rocblas_syrkx_herkx_general_kernelIldLi16ELi32ELi8ELb0ELb0ELc78ELc85EKddEviT_T0_PT8_S1_lS4_S1_lS2_PT9_S1_li ; -- Begin function _ZL34rocblas_syrkx_herkx_general_kernelIldLi16ELi32ELi8ELb0ELb0ELc78ELc85EKddEviT_T0_PT8_S1_lS4_S1_lS2_PT9_S1_li
	.p2align	8
	.type	_ZL34rocblas_syrkx_herkx_general_kernelIldLi16ELi32ELi8ELb0ELb0ELc78ELc85EKddEviT_T0_PT8_S1_lS4_S1_lS2_PT9_S1_li,@function
_ZL34rocblas_syrkx_herkx_general_kernelIldLi16ELi32ELi8ELb0ELb0ELc78ELc85EKddEviT_T0_PT8_S1_lS4_S1_lS2_PT9_S1_li: ; @_ZL34rocblas_syrkx_herkx_general_kernelIldLi16ELi32ELi8ELb0ELb0ELc78ELc85EKddEviT_T0_PT8_S1_lS4_S1_lS2_PT9_S1_li
; %bb.0:
	s_clause 0x1
	s_load_b512 s[16:31], s[0:1], 0x8
	s_load_b32 s12, s[0:1], 0x0
	v_mov_b32_e32 v12, 0
	v_dual_mov_b32 v13, 0 :: v_dual_and_b32 v18, 0x3ff, v0
	v_bfe_u32 v19, v0, 10, 10
	s_delay_alu instid0(VALU_DEP_3) | instskip(NEXT) | instid1(VALU_DEP_3)
	v_mov_b32_e32 v4, v12
	v_dual_mov_b32 v2, v12 :: v_dual_mov_b32 v3, v13
	v_dual_mov_b32 v5, v13 :: v_dual_mov_b32 v0, v12
	v_mov_b32_e32 v1, v13
	s_lshl_b32 s13, s13, 5
	s_lshl_b32 s14, s14, 5
	s_mov_b64 s[4:5], 0
	s_waitcnt lgkmcnt(0)
	v_cmp_lt_i64_e64 s2, s[16:17], 1
	s_delay_alu instid0(VALU_DEP_1)
	s_and_b32 vcc_lo, exec_lo, s2
	s_cbranch_vccnz .LBB1074_7
; %bb.1:
	v_lshl_add_u32 v4, v19, 4, v18
	v_and_b32_e32 v20, 7, v18
	s_mul_i32 s3, s25, s15
	s_mul_hi_u32 s6, s24, s15
	s_mul_i32 s2, s24, s15
	v_lshrrev_b32_e32 v21, 5, v4
	v_mad_u64_u32 v[2:3], null, s28, v20, 0
	v_lshrrev_b32_e32 v6, 3, v4
	v_and_b32_e32 v7, 31, v4
	s_delay_alu instid0(VALU_DEP_4) | instskip(SKIP_2) | instid1(VALU_DEP_2)
	v_mad_u64_u32 v[0:1], null, s22, v21, 0
	s_add_i32 s3, s6, s3
	s_mul_i32 s8, s31, s15
	v_or_b32_e32 v8, s13, v7
	v_lshlrev_b32_e32 v11, 3, v7
	v_add_nc_u32_e32 v7, s13, v7
	s_lshl_b64 s[6:7], s[2:3], 3
	s_delay_alu instid0(VALU_DEP_4)
	v_mad_u64_u32 v[4:5], null, s23, v21, v[1:2]
	v_lshlrev_b32_e32 v1, 3, v20
	v_add_nc_u32_e32 v5, s14, v6
	s_mul_hi_u32 s9, s30, s15
	v_cmp_gt_i32_e64 s2, s12, v8
	v_ashrrev_i32_e32 v8, 31, v7
	v_lshl_or_b32 v6, v6, 6, v1
	v_mov_b32_e32 v1, v4
	v_mad_u64_u32 v[9:10], null, s29, v20, v[3:4]
	v_lshlrev_b32_e32 v22, 3, v18
	s_delay_alu instid0(VALU_DEP_4) | instskip(NEXT) | instid1(VALU_DEP_4)
	v_add_nc_u32_e32 v25, 0x800, v6
	v_lshlrev_b64 v[0:1], 3, v[0:1]
	v_ashrrev_i32_e32 v6, 31, v5
	v_lshl_add_u32 v23, v19, 6, 0x800
	v_mov_b32_e32 v3, v9
	s_delay_alu instid0(VALU_DEP_4) | instskip(SKIP_1) | instid1(VALU_DEP_3)
	v_add_co_u32 v4, vcc_lo, v0, s6
	v_add_co_ci_u32_e32 v9, vcc_lo, s7, v1, vcc_lo
	v_lshlrev_b64 v[0:1], 3, v[2:3]
	s_add_i32 s7, s9, s8
	s_mul_i32 s6, s30, s15
	v_lshlrev_b64 v[2:3], 3, v[7:8]
	s_lshl_b64 s[6:7], s[6:7], 3
	s_lshl_b64 s[8:9], s[28:29], 6
	v_add_co_u32 v7, vcc_lo, s6, v0
	v_add_co_ci_u32_e32 v8, vcc_lo, s7, v1, vcc_lo
	v_lshlrev_b64 v[0:1], 3, v[5:6]
	v_add_co_u32 v2, vcc_lo, v4, v2
	v_add_co_ci_u32_e32 v3, vcc_lo, v9, v3, vcc_lo
	s_lshl_b64 s[6:7], s[22:23], 6
	s_delay_alu instid0(VALU_DEP_3) | instskip(NEXT) | instid1(VALU_DEP_4)
	v_add_co_u32 v0, vcc_lo, v7, v0
	v_add_co_ci_u32_e32 v1, vcc_lo, v8, v1, vcc_lo
	v_mov_b32_e32 v6, 0
	v_mov_b32_e32 v7, 0
	v_add_co_u32 v8, vcc_lo, s20, v2
	v_add_co_ci_u32_e32 v9, vcc_lo, s21, v3, vcc_lo
	v_add_co_u32 v10, vcc_lo, s26, v0
	v_mov_b32_e32 v2, v6
	v_lshl_or_b32 v24, v21, 8, v11
	v_add_co_ci_u32_e32 v11, vcc_lo, s27, v1, vcc_lo
	v_mov_b32_e32 v0, v6
	v_cmp_gt_i32_e64 s3, s12, v5
	v_dual_mov_b32 v4, v6 :: v_dual_mov_b32 v13, v7
	v_dual_mov_b32 v1, v7 :: v_dual_mov_b32 v12, v6
	v_mov_b32_e32 v3, v7
	v_mov_b32_e32 v5, v7
	s_branch .LBB1074_3
.LBB1074_2:                             ;   in Loop: Header=BB1074_3 Depth=1
	s_or_b32 exec_lo, exec_lo, s10
	s_waitcnt vmcnt(0)
	ds_store_b64 v25, v[16:17]
	s_waitcnt lgkmcnt(0)
	s_barrier
	buffer_gl0_inv
	ds_load_2addr_b64 v[14:17], v22 offset1:16
	ds_load_b128 v[26:29], v23
	ds_load_b128 v[30:33], v23 offset:1024
	ds_load_b128 v[34:37], v23 offset:16
	;; [unrolled: 1-line block ×3, first 2 shown]
	s_add_u32 s4, s4, 8
	s_addc_u32 s5, s5, 0
	v_add_co_u32 v8, vcc_lo, v8, s6
	v_cmp_ge_i64_e64 s10, s[4:5], s[16:17]
	v_add_co_ci_u32_e32 v9, vcc_lo, s7, v9, vcc_lo
	v_add_co_u32 v10, vcc_lo, v10, s8
	v_add_co_ci_u32_e32 v11, vcc_lo, s9, v11, vcc_lo
	s_delay_alu instid0(VALU_DEP_4)
	s_and_b32 vcc_lo, exec_lo, s10
	s_waitcnt lgkmcnt(3)
	v_fma_f64 v[12:13], v[14:15], v[26:27], v[12:13]
	v_fma_f64 v[4:5], v[16:17], v[26:27], v[4:5]
	s_waitcnt lgkmcnt(2)
	v_fma_f64 v[14:15], v[14:15], v[30:31], v[2:3]
	v_fma_f64 v[16:17], v[16:17], v[30:31], v[0:1]
	ds_load_2addr_b64 v[0:3], v22 offset0:32 offset1:48
	s_waitcnt lgkmcnt(0)
	v_fma_f64 v[12:13], v[0:1], v[28:29], v[12:13]
	v_fma_f64 v[4:5], v[2:3], v[28:29], v[4:5]
	v_fma_f64 v[14:15], v[0:1], v[32:33], v[14:15]
	v_fma_f64 v[16:17], v[2:3], v[32:33], v[16:17]
	ds_load_2addr_b64 v[0:3], v22 offset0:64 offset1:80
	s_waitcnt lgkmcnt(0)
	v_fma_f64 v[12:13], v[0:1], v[34:35], v[12:13]
	v_fma_f64 v[4:5], v[2:3], v[34:35], v[4:5]
	;; [unrolled: 6-line block ×3, first 2 shown]
	v_fma_f64 v[42:43], v[0:1], v[40:41], v[14:15]
	v_fma_f64 v[16:17], v[2:3], v[40:41], v[16:17]
	ds_load_2addr_b64 v[0:3], v22 offset0:128 offset1:144
	ds_load_b128 v[12:15], v23 offset:32
	ds_load_b128 v[26:29], v23 offset:1056
	;; [unrolled: 1-line block ×4, first 2 shown]
	s_waitcnt lgkmcnt(3)
	v_fma_f64 v[38:39], v[0:1], v[12:13], v[38:39]
	v_fma_f64 v[4:5], v[2:3], v[12:13], v[4:5]
	s_waitcnt lgkmcnt(2)
	v_fma_f64 v[12:13], v[0:1], v[26:27], v[42:43]
	v_fma_f64 v[16:17], v[2:3], v[26:27], v[16:17]
	ds_load_2addr_b64 v[0:3], v22 offset0:160 offset1:176
	s_waitcnt lgkmcnt(0)
	v_fma_f64 v[26:27], v[0:1], v[14:15], v[38:39]
	v_fma_f64 v[4:5], v[2:3], v[14:15], v[4:5]
	;; [unrolled: 1-line block ×4, first 2 shown]
	ds_load_2addr_b64 v[0:3], v22 offset0:192 offset1:208
	s_waitcnt lgkmcnt(0)
	v_fma_f64 v[26:27], v[0:1], v[30:31], v[26:27]
	v_fma_f64 v[4:5], v[2:3], v[30:31], v[4:5]
	v_fma_f64 v[0:1], v[0:1], v[34:35], v[12:13]
	v_fma_f64 v[28:29], v[2:3], v[34:35], v[14:15]
	ds_load_2addr_b64 v[14:17], v22 offset0:224 offset1:240
	s_waitcnt lgkmcnt(0)
	s_barrier
	buffer_gl0_inv
	v_fma_f64 v[12:13], v[14:15], v[32:33], v[26:27]
	v_fma_f64 v[4:5], v[16:17], v[32:33], v[4:5]
	v_fma_f64 v[2:3], v[14:15], v[36:37], v[0:1]
	v_fma_f64 v[0:1], v[16:17], v[36:37], v[28:29]
	s_cbranch_vccnz .LBB1074_7
.LBB1074_3:                             ; =>This Inner Loop Header: Depth=1
	v_add_co_u32 v14, s10, v21, s4
	s_delay_alu instid0(VALU_DEP_1) | instskip(NEXT) | instid1(VALU_DEP_1)
	v_add_co_ci_u32_e64 v15, null, 0, s5, s10
	v_cmp_gt_i64_e32 vcc_lo, s[16:17], v[14:15]
	v_dual_mov_b32 v15, v7 :: v_dual_mov_b32 v14, v6
	s_and_b32 s11, s2, vcc_lo
	s_delay_alu instid0(SALU_CYCLE_1)
	s_and_saveexec_b32 s10, s11
	s_cbranch_execz .LBB1074_5
; %bb.4:                                ;   in Loop: Header=BB1074_3 Depth=1
	global_load_b64 v[14:15], v[8:9], off
.LBB1074_5:                             ;   in Loop: Header=BB1074_3 Depth=1
	s_or_b32 exec_lo, exec_lo, s10
	v_add_co_u32 v16, s10, v20, s4
	s_delay_alu instid0(VALU_DEP_1)
	v_add_co_ci_u32_e64 v17, null, 0, s5, s10
	s_waitcnt vmcnt(0)
	ds_store_b64 v24, v[14:15]
	v_cmp_gt_i64_e32 vcc_lo, s[16:17], v[16:17]
	v_dual_mov_b32 v17, v7 :: v_dual_mov_b32 v16, v6
	s_and_b32 s11, vcc_lo, s3
	s_delay_alu instid0(SALU_CYCLE_1)
	s_and_saveexec_b32 s10, s11
	s_cbranch_execz .LBB1074_2
; %bb.6:                                ;   in Loop: Header=BB1074_3 Depth=1
	global_load_b64 v[16:17], v[10:11], off
	s_branch .LBB1074_2
.LBB1074_7:
	s_load_b256 s[4:11], s[0:1], 0x48
	v_add_nc_u32_e32 v10, s14, v19
	s_delay_alu instid0(VALU_DEP_1) | instskip(SKIP_2) | instid1(VALU_DEP_2)
	v_ashrrev_i32_e32 v6, 31, v10
	v_cmp_gt_i32_e32 vcc_lo, s12, v10
	s_waitcnt lgkmcnt(0)
	v_mul_lo_u32 v9, v6, s8
	v_mul_lo_u32 v11, v10, s9
	v_mad_u64_u32 v[7:8], null, v10, s8, 0
	s_mul_i32 s1, s15, s11
	s_mul_hi_u32 s2, s15, s10
	s_mul_i32 s0, s15, s10
	s_add_i32 s1, s2, s1
	v_add_nc_u32_e32 v6, s13, v18
	s_lshl_b64 s[2:3], s[0:1], 3
	s_delay_alu instid0(VALU_DEP_2) | instskip(SKIP_3) | instid1(VALU_DEP_2)
	v_add3_u32 v8, v8, v11, v9
	s_add_u32 s2, s6, s2
	s_addc_u32 s3, s7, s3
	v_cmp_le_i32_e64 s0, v6, v10
	v_lshlrev_b64 v[7:8], 3, v[7:8]
	s_delay_alu instid0(VALU_DEP_2) | instskip(NEXT) | instid1(VALU_DEP_1)
	s_and_b32 s0, vcc_lo, s0
	v_add_co_u32 v11, s1, s2, v7
	s_delay_alu instid0(VALU_DEP_1)
	v_add_co_ci_u32_e64 v14, s1, s3, v8, s1
	s_and_saveexec_b32 s1, s0
	s_cbranch_execz .LBB1074_9
; %bb.8:
	v_ashrrev_i32_e32 v7, 31, v6
	s_delay_alu instid0(VALU_DEP_1) | instskip(NEXT) | instid1(VALU_DEP_1)
	v_lshlrev_b64 v[7:8], 3, v[6:7]
	v_add_co_u32 v7, s0, v11, v7
	s_delay_alu instid0(VALU_DEP_1) | instskip(SKIP_3) | instid1(VALU_DEP_1)
	v_add_co_ci_u32_e64 v8, s0, v14, v8, s0
	global_load_b64 v[15:16], v[7:8], off
	s_waitcnt vmcnt(0)
	v_mul_f64 v[15:16], v[15:16], s[4:5]
	v_fma_f64 v[12:13], v[12:13], s[18:19], v[15:16]
	global_store_b64 v[7:8], v[12:13], off
.LBB1074_9:
	s_or_b32 exec_lo, exec_lo, s1
	v_add_nc_u32_e32 v8, 16, v6
	s_delay_alu instid0(VALU_DEP_1) | instskip(NEXT) | instid1(VALU_DEP_1)
	v_cmp_le_i32_e64 s0, v8, v10
	s_and_b32 s1, vcc_lo, s0
	s_delay_alu instid0(SALU_CYCLE_1)
	s_and_saveexec_b32 s0, s1
	s_cbranch_execz .LBB1074_11
; %bb.10:
	v_ashrrev_i32_e32 v9, 31, v8
	s_delay_alu instid0(VALU_DEP_1) | instskip(NEXT) | instid1(VALU_DEP_1)
	v_lshlrev_b64 v[12:13], 3, v[8:9]
	v_add_co_u32 v11, vcc_lo, v11, v12
	s_delay_alu instid0(VALU_DEP_2) | instskip(SKIP_3) | instid1(VALU_DEP_1)
	v_add_co_ci_u32_e32 v12, vcc_lo, v14, v13, vcc_lo
	global_load_b64 v[13:14], v[11:12], off
	s_waitcnt vmcnt(0)
	v_mul_f64 v[13:14], v[13:14], s[4:5]
	v_fma_f64 v[4:5], v[4:5], s[18:19], v[13:14]
	global_store_b64 v[11:12], v[4:5], off
.LBB1074_11:
	s_or_b32 exec_lo, exec_lo, s0
	v_add_nc_u32_e32 v4, 16, v10
	s_delay_alu instid0(VALU_DEP_1) | instskip(SKIP_3) | instid1(VALU_DEP_4)
	v_ashrrev_i32_e32 v5, 31, v4
	v_mul_lo_u32 v7, v4, s9
	v_mad_u64_u32 v[9:10], null, v4, s8, 0
	v_cmp_gt_i32_e32 vcc_lo, s12, v4
	v_mul_lo_u32 v5, v5, s8
	v_cmp_le_i32_e64 s0, v6, v4
	s_delay_alu instid0(VALU_DEP_1) | instskip(NEXT) | instid1(VALU_DEP_2)
	s_and_b32 s0, vcc_lo, s0
	v_add3_u32 v10, v10, v7, v5
	s_delay_alu instid0(VALU_DEP_1) | instskip(NEXT) | instid1(VALU_DEP_1)
	v_lshlrev_b64 v[9:10], 3, v[9:10]
	v_add_co_u32 v5, s1, s2, v9
	s_delay_alu instid0(VALU_DEP_1)
	v_add_co_ci_u32_e64 v10, s1, s3, v10, s1
	s_and_saveexec_b32 s1, s0
	s_cbranch_execz .LBB1074_13
; %bb.12:
	v_ashrrev_i32_e32 v7, 31, v6
	s_delay_alu instid0(VALU_DEP_1) | instskip(NEXT) | instid1(VALU_DEP_1)
	v_lshlrev_b64 v[6:7], 3, v[6:7]
	v_add_co_u32 v6, s0, v5, v6
	s_delay_alu instid0(VALU_DEP_1) | instskip(SKIP_3) | instid1(VALU_DEP_1)
	v_add_co_ci_u32_e64 v7, s0, v10, v7, s0
	global_load_b64 v[11:12], v[6:7], off
	s_waitcnt vmcnt(0)
	v_mul_f64 v[11:12], v[11:12], s[4:5]
	v_fma_f64 v[2:3], v[2:3], s[18:19], v[11:12]
	global_store_b64 v[6:7], v[2:3], off
.LBB1074_13:
	s_or_b32 exec_lo, exec_lo, s1
	v_cmp_le_i32_e64 s0, v8, v4
	s_delay_alu instid0(VALU_DEP_1) | instskip(NEXT) | instid1(SALU_CYCLE_1)
	s_and_b32 s0, vcc_lo, s0
	s_and_saveexec_b32 s1, s0
	s_cbranch_execz .LBB1074_15
; %bb.14:
	v_ashrrev_i32_e32 v9, 31, v8
	s_delay_alu instid0(VALU_DEP_1) | instskip(NEXT) | instid1(VALU_DEP_1)
	v_lshlrev_b64 v[2:3], 3, v[8:9]
	v_add_co_u32 v2, vcc_lo, v5, v2
	s_delay_alu instid0(VALU_DEP_2) | instskip(SKIP_3) | instid1(VALU_DEP_1)
	v_add_co_ci_u32_e32 v3, vcc_lo, v10, v3, vcc_lo
	global_load_b64 v[4:5], v[2:3], off
	s_waitcnt vmcnt(0)
	v_mul_f64 v[4:5], v[4:5], s[4:5]
	v_fma_f64 v[0:1], v[0:1], s[18:19], v[4:5]
	global_store_b64 v[2:3], v[0:1], off
.LBB1074_15:
	s_nop 0
	s_sendmsg sendmsg(MSG_DEALLOC_VGPRS)
	s_endpgm
	.section	.rodata,"a",@progbits
	.p2align	6, 0x0
	.amdhsa_kernel _ZL34rocblas_syrkx_herkx_general_kernelIldLi16ELi32ELi8ELb0ELb0ELc78ELc85EKddEviT_T0_PT8_S1_lS4_S1_lS2_PT9_S1_li
		.amdhsa_group_segment_fixed_size 4096
		.amdhsa_private_segment_fixed_size 0
		.amdhsa_kernarg_size 108
		.amdhsa_user_sgpr_count 13
		.amdhsa_user_sgpr_dispatch_ptr 0
		.amdhsa_user_sgpr_queue_ptr 0
		.amdhsa_user_sgpr_kernarg_segment_ptr 1
		.amdhsa_user_sgpr_dispatch_id 0
		.amdhsa_user_sgpr_private_segment_size 0
		.amdhsa_wavefront_size32 1
		.amdhsa_uses_dynamic_stack 0
		.amdhsa_enable_private_segment 0
		.amdhsa_system_sgpr_workgroup_id_x 1
		.amdhsa_system_sgpr_workgroup_id_y 1
		.amdhsa_system_sgpr_workgroup_id_z 1
		.amdhsa_system_sgpr_workgroup_info 0
		.amdhsa_system_vgpr_workitem_id 1
		.amdhsa_next_free_vgpr 44
		.amdhsa_next_free_sgpr 32
		.amdhsa_reserve_vcc 1
		.amdhsa_float_round_mode_32 0
		.amdhsa_float_round_mode_16_64 0
		.amdhsa_float_denorm_mode_32 3
		.amdhsa_float_denorm_mode_16_64 3
		.amdhsa_dx10_clamp 1
		.amdhsa_ieee_mode 1
		.amdhsa_fp16_overflow 0
		.amdhsa_workgroup_processor_mode 1
		.amdhsa_memory_ordered 1
		.amdhsa_forward_progress 0
		.amdhsa_shared_vgpr_count 0
		.amdhsa_exception_fp_ieee_invalid_op 0
		.amdhsa_exception_fp_denorm_src 0
		.amdhsa_exception_fp_ieee_div_zero 0
		.amdhsa_exception_fp_ieee_overflow 0
		.amdhsa_exception_fp_ieee_underflow 0
		.amdhsa_exception_fp_ieee_inexact 0
		.amdhsa_exception_int_div_zero 0
	.end_amdhsa_kernel
	.section	.text._ZL34rocblas_syrkx_herkx_general_kernelIldLi16ELi32ELi8ELb0ELb0ELc78ELc85EKddEviT_T0_PT8_S1_lS4_S1_lS2_PT9_S1_li,"axG",@progbits,_ZL34rocblas_syrkx_herkx_general_kernelIldLi16ELi32ELi8ELb0ELb0ELc78ELc85EKddEviT_T0_PT8_S1_lS4_S1_lS2_PT9_S1_li,comdat
.Lfunc_end1074:
	.size	_ZL34rocblas_syrkx_herkx_general_kernelIldLi16ELi32ELi8ELb0ELb0ELc78ELc85EKddEviT_T0_PT8_S1_lS4_S1_lS2_PT9_S1_li, .Lfunc_end1074-_ZL34rocblas_syrkx_herkx_general_kernelIldLi16ELi32ELi8ELb0ELb0ELc78ELc85EKddEviT_T0_PT8_S1_lS4_S1_lS2_PT9_S1_li
                                        ; -- End function
	.section	.AMDGPU.csdata,"",@progbits
; Kernel info:
; codeLenInByte = 1736
; NumSgprs: 34
; NumVgprs: 44
; ScratchSize: 0
; MemoryBound: 0
; FloatMode: 240
; IeeeMode: 1
; LDSByteSize: 4096 bytes/workgroup (compile time only)
; SGPRBlocks: 4
; VGPRBlocks: 5
; NumSGPRsForWavesPerEU: 34
; NumVGPRsForWavesPerEU: 44
; Occupancy: 16
; WaveLimiterHint : 0
; COMPUTE_PGM_RSRC2:SCRATCH_EN: 0
; COMPUTE_PGM_RSRC2:USER_SGPR: 13
; COMPUTE_PGM_RSRC2:TRAP_HANDLER: 0
; COMPUTE_PGM_RSRC2:TGID_X_EN: 1
; COMPUTE_PGM_RSRC2:TGID_Y_EN: 1
; COMPUTE_PGM_RSRC2:TGID_Z_EN: 1
; COMPUTE_PGM_RSRC2:TIDIG_COMP_CNT: 1
	.section	.text._ZL26rocblas_syr2k_scale_kernelIlLi128ELi8ELb0EddPdEvbiT_T3_T4_T5_S1_li,"axG",@progbits,_ZL26rocblas_syr2k_scale_kernelIlLi128ELi8ELb0EddPdEvbiT_T3_T4_T5_S1_li,comdat
	.globl	_ZL26rocblas_syr2k_scale_kernelIlLi128ELi8ELb0EddPdEvbiT_T3_T4_T5_S1_li ; -- Begin function _ZL26rocblas_syr2k_scale_kernelIlLi128ELi8ELb0EddPdEvbiT_T3_T4_T5_S1_li
	.p2align	8
	.type	_ZL26rocblas_syr2k_scale_kernelIlLi128ELi8ELb0EddPdEvbiT_T3_T4_T5_S1_li,@function
_ZL26rocblas_syr2k_scale_kernelIlLi128ELi8ELb0EddPdEvbiT_T3_T4_T5_S1_li: ; @_ZL26rocblas_syr2k_scale_kernelIlLi128ELi8ELb0EddPdEvbiT_T3_T4_T5_S1_li
; %bb.0:
	s_load_b256 s[4:11], s[0:1], 0x18
	s_waitcnt lgkmcnt(0)
	v_cmp_eq_f64_e64 s2, s[4:5], 1.0
	s_delay_alu instid0(VALU_DEP_1)
	s_and_b32 vcc_lo, exec_lo, s2
	s_cbranch_vccnz .LBB1075_5
; %bb.1:
	s_clause 0x1
	s_load_b64 s[2:3], s[0:1], 0x0
	s_load_b32 s0, s[0:1], 0x4c
	v_and_b32_e32 v2, 0x3ff, v0
	v_bfe_u32 v3, v0, 10, 10
	s_waitcnt lgkmcnt(0)
	s_bitcmp1_b32 s2, 0
	s_cselect_b32 vcc_lo, -1, 0
	s_lshr_b32 s1, s0, 16
	s_and_b32 s0, s0, 0xffff
	s_delay_alu instid0(SALU_CYCLE_1) | instskip(SKIP_1) | instid1(VALU_DEP_1)
	v_mad_u64_u32 v[0:1], null, s13, s0, v[2:3]
	v_mad_u64_u32 v[1:2], null, s14, s1, v[3:4]
	v_cndmask_b32_e32 v2, v1, v0, vcc_lo
	v_max_u32_e32 v3, v0, v1
	v_cndmask_b32_e32 v4, v0, v1, vcc_lo
	s_delay_alu instid0(VALU_DEP_2) | instskip(NEXT) | instid1(VALU_DEP_2)
	v_cmp_gt_u32_e32 vcc_lo, s3, v3
	v_cmp_le_i32_e64 s0, v2, v4
	s_delay_alu instid0(VALU_DEP_1) | instskip(NEXT) | instid1(SALU_CYCLE_1)
	s_and_b32 s0, vcc_lo, s0
	s_and_saveexec_b32 s1, s0
	s_cbranch_execz .LBB1075_5
; %bb.2:
	v_mad_u64_u32 v[2:3], null, v1, s8, 0
	v_cmp_eq_f64_e64 s2, s[4:5], 0
	s_mul_i32 s1, s15, s11
	s_mul_hi_u32 s3, s15, s10
	s_mul_i32 s0, s15, s10
	s_add_i32 s1, s3, s1
	s_delay_alu instid0(SALU_CYCLE_1) | instskip(NEXT) | instid1(VALU_DEP_2)
	s_lshl_b64 s[0:1], s[0:1], 3
	v_mad_u64_u32 v[4:5], null, v1, s9, v[3:4]
	v_mov_b32_e32 v1, 0
	s_add_u32 s0, s6, s0
	s_addc_u32 s1, s7, s1
	s_delay_alu instid0(VALU_DEP_1) | instskip(NEXT) | instid1(VALU_DEP_3)
	v_lshlrev_b64 v[0:1], 3, v[0:1]
	v_mov_b32_e32 v3, v4
	s_delay_alu instid0(VALU_DEP_1) | instskip(NEXT) | instid1(VALU_DEP_1)
	v_lshlrev_b64 v[2:3], 3, v[2:3]
	v_add_co_u32 v2, vcc_lo, s0, v2
	s_delay_alu instid0(VALU_DEP_2) | instskip(NEXT) | instid1(VALU_DEP_2)
	v_add_co_ci_u32_e32 v3, vcc_lo, s1, v3, vcc_lo
	v_add_co_u32 v0, vcc_lo, v2, v0
	s_delay_alu instid0(VALU_DEP_2)
	v_add_co_ci_u32_e32 v1, vcc_lo, v3, v1, vcc_lo
	v_mov_b32_e32 v2, 0
	v_mov_b32_e32 v3, 0
	s_and_b32 vcc_lo, exec_lo, s2
	s_cbranch_vccnz .LBB1075_4
; %bb.3:
	global_load_b64 v[2:3], v[0:1], off
	s_waitcnt vmcnt(0)
	v_mul_f64 v[2:3], v[2:3], s[4:5]
.LBB1075_4:
	global_store_b64 v[0:1], v[2:3], off
.LBB1075_5:
	s_nop 0
	s_sendmsg sendmsg(MSG_DEALLOC_VGPRS)
	s_endpgm
	.section	.rodata,"a",@progbits
	.p2align	6, 0x0
	.amdhsa_kernel _ZL26rocblas_syr2k_scale_kernelIlLi128ELi8ELb0EddPdEvbiT_T3_T4_T5_S1_li
		.amdhsa_group_segment_fixed_size 0
		.amdhsa_private_segment_fixed_size 0
		.amdhsa_kernarg_size 320
		.amdhsa_user_sgpr_count 13
		.amdhsa_user_sgpr_dispatch_ptr 0
		.amdhsa_user_sgpr_queue_ptr 0
		.amdhsa_user_sgpr_kernarg_segment_ptr 1
		.amdhsa_user_sgpr_dispatch_id 0
		.amdhsa_user_sgpr_private_segment_size 0
		.amdhsa_wavefront_size32 1
		.amdhsa_uses_dynamic_stack 0
		.amdhsa_enable_private_segment 0
		.amdhsa_system_sgpr_workgroup_id_x 1
		.amdhsa_system_sgpr_workgroup_id_y 1
		.amdhsa_system_sgpr_workgroup_id_z 1
		.amdhsa_system_sgpr_workgroup_info 0
		.amdhsa_system_vgpr_workitem_id 1
		.amdhsa_next_free_vgpr 6
		.amdhsa_next_free_sgpr 16
		.amdhsa_reserve_vcc 1
		.amdhsa_float_round_mode_32 0
		.amdhsa_float_round_mode_16_64 0
		.amdhsa_float_denorm_mode_32 3
		.amdhsa_float_denorm_mode_16_64 3
		.amdhsa_dx10_clamp 1
		.amdhsa_ieee_mode 1
		.amdhsa_fp16_overflow 0
		.amdhsa_workgroup_processor_mode 1
		.amdhsa_memory_ordered 1
		.amdhsa_forward_progress 0
		.amdhsa_shared_vgpr_count 0
		.amdhsa_exception_fp_ieee_invalid_op 0
		.amdhsa_exception_fp_denorm_src 0
		.amdhsa_exception_fp_ieee_div_zero 0
		.amdhsa_exception_fp_ieee_overflow 0
		.amdhsa_exception_fp_ieee_underflow 0
		.amdhsa_exception_fp_ieee_inexact 0
		.amdhsa_exception_int_div_zero 0
	.end_amdhsa_kernel
	.section	.text._ZL26rocblas_syr2k_scale_kernelIlLi128ELi8ELb0EddPdEvbiT_T3_T4_T5_S1_li,"axG",@progbits,_ZL26rocblas_syr2k_scale_kernelIlLi128ELi8ELb0EddPdEvbiT_T3_T4_T5_S1_li,comdat
.Lfunc_end1075:
	.size	_ZL26rocblas_syr2k_scale_kernelIlLi128ELi8ELb0EddPdEvbiT_T3_T4_T5_S1_li, .Lfunc_end1075-_ZL26rocblas_syr2k_scale_kernelIlLi128ELi8ELb0EddPdEvbiT_T3_T4_T5_S1_li
                                        ; -- End function
	.section	.AMDGPU.csdata,"",@progbits
; Kernel info:
; codeLenInByte = 332
; NumSgprs: 18
; NumVgprs: 6
; ScratchSize: 0
; MemoryBound: 1
; FloatMode: 240
; IeeeMode: 1
; LDSByteSize: 0 bytes/workgroup (compile time only)
; SGPRBlocks: 2
; VGPRBlocks: 0
; NumSGPRsForWavesPerEU: 18
; NumVGPRsForWavesPerEU: 6
; Occupancy: 16
; WaveLimiterHint : 0
; COMPUTE_PGM_RSRC2:SCRATCH_EN: 0
; COMPUTE_PGM_RSRC2:USER_SGPR: 13
; COMPUTE_PGM_RSRC2:TRAP_HANDLER: 0
; COMPUTE_PGM_RSRC2:TGID_X_EN: 1
; COMPUTE_PGM_RSRC2:TGID_Y_EN: 1
; COMPUTE_PGM_RSRC2:TGID_Z_EN: 1
; COMPUTE_PGM_RSRC2:TIDIG_COMP_CNT: 1
	.section	.text._ZL26rocblas_syr2k_her2k_kernelIlLb0ELb0ELb0ELi32EPKdS1_PdEvbiT_T4_T5_S3_lS5_S3_lT6_S3_li,"axG",@progbits,_ZL26rocblas_syr2k_her2k_kernelIlLb0ELb0ELb0ELi32EPKdS1_PdEvbiT_T4_T5_S3_lS5_S3_lT6_S3_li,comdat
	.globl	_ZL26rocblas_syr2k_her2k_kernelIlLb0ELb0ELb0ELi32EPKdS1_PdEvbiT_T4_T5_S3_lS5_S3_lT6_S3_li ; -- Begin function _ZL26rocblas_syr2k_her2k_kernelIlLb0ELb0ELb0ELi32EPKdS1_PdEvbiT_T4_T5_S3_lS5_S3_lT6_S3_li
	.p2align	8
	.type	_ZL26rocblas_syr2k_her2k_kernelIlLb0ELb0ELb0ELi32EPKdS1_PdEvbiT_T4_T5_S3_lS5_S3_lT6_S3_li,@function
_ZL26rocblas_syr2k_her2k_kernelIlLb0ELb0ELb0ELi32EPKdS1_PdEvbiT_T4_T5_S3_lS5_S3_lT6_S3_li: ; @_ZL26rocblas_syr2k_her2k_kernelIlLb0ELb0ELb0ELi32EPKdS1_PdEvbiT_T4_T5_S3_lS5_S3_lT6_S3_li
; %bb.0:
	s_load_b512 s[16:31], s[0:1], 0x8
	s_waitcnt lgkmcnt(0)
	s_load_b64 s[8:9], s[18:19], 0x0
	s_waitcnt lgkmcnt(0)
	v_cmp_eq_f64_e64 s2, s[8:9], 0
	s_delay_alu instid0(VALU_DEP_1)
	s_and_b32 vcc_lo, exec_lo, s2
	s_cbranch_vccnz .LBB1076_11
; %bb.1:
	s_load_b64 s[2:3], s[0:1], 0x0
	s_lshl_b32 s10, s14, 5
	s_lshl_b32 s11, s13, 5
	s_waitcnt lgkmcnt(0)
	s_and_b32 s2, 1, s2
	s_delay_alu instid0(SALU_CYCLE_1) | instskip(SKIP_1) | instid1(SALU_CYCLE_1)
	s_cmp_eq_u32 s2, 1
	s_cselect_b32 s2, -1, 0
	s_and_b32 s4, s2, exec_lo
	s_cselect_b32 s4, s11, s10
	s_cselect_b32 s5, s10, s11
	s_delay_alu instid0(SALU_CYCLE_1)
	s_cmp_gt_i32 s4, s5
	s_cbranch_scc1 .LBB1076_11
; %bb.2:
	v_cmp_lt_i64_e64 s4, s[16:17], 1
	s_delay_alu instid0(VALU_DEP_1)
	s_and_b32 vcc_lo, exec_lo, s4
	s_cbranch_vccnz .LBB1076_11
; %bb.3:
	s_clause 0x1
	s_load_b64 s[12:13], s[0:1], 0x58
	s_load_b128 s[4:7], s[0:1], 0x48
	v_bfe_u32 v10, v0, 10, 10
	v_and_b32_e32 v11, 0x3ff, v0
	s_delay_alu instid0(VALU_DEP_2) | instskip(NEXT) | instid1(VALU_DEP_1)
	v_dual_mov_b32 v3, 0 :: v_dual_add_nc_u32 v4, s10, v10
	v_dual_mov_b32 v5, v3 :: v_dual_add_nc_u32 v2, s11, v11
	v_lshlrev_b32_e32 v8, 3, v10
	v_lshlrev_b32_e32 v12, 8, v11
	s_delay_alu instid0(VALU_DEP_4) | instskip(NEXT) | instid1(VALU_DEP_4)
	v_ashrrev_i32_e32 v1, 31, v4
	v_max_i32_e32 v0, v2, v4
	v_cndmask_b32_e64 v6, v2, v4, s2
	v_cndmask_b32_e64 v7, v4, v2, s2
	v_or_b32_e32 v13, 0x2000, v8
	v_add_nc_u32_e32 v14, v12, v8
	v_cmp_gt_i32_e32 vcc_lo, s3, v0
	v_mov_b32_e32 v8, v2
	s_waitcnt lgkmcnt(0)
	s_mul_i32 s1, s15, s13
	v_mul_lo_u32 v9, v1, s6
	v_mul_lo_u32 v16, v4, s7
	v_mad_u64_u32 v[0:1], null, v4, s6, 0
	s_mul_hi_u32 s2, s15, s12
	s_mul_i32 s0, s15, s12
	s_add_i32 s1, s2, s1
	v_cmp_le_i32_e64 s2, v7, v6
	v_mad_u64_u32 v[6:7], null, s28, v11, 0
	s_delay_alu instid0(VALU_DEP_3) | instskip(SKIP_3) | instid1(VALU_DEP_3)
	v_add3_u32 v1, v1, v16, v9
	v_mad_u64_u32 v[16:17], null, s22, v10, 0
	s_lshl_b64 s[0:1], s[0:1], 3
	v_ashrrev_i32_e32 v9, 31, v2
	v_lshlrev_b64 v[0:1], 3, v[0:1]
	v_mad_u64_u32 v[18:19], null, s29, v11, v[7:8]
	s_add_u32 s4, s4, s0
	s_mov_b32 s10, s3
	s_addc_u32 s5, s5, s1
	s_ashr_i32 s11, s3, 31
	s_mul_hi_u32 s3, s30, s15
	v_cmp_gt_i64_e64 s0, s[10:11], v[2:3]
	s_delay_alu instid0(VALU_DEP_2)
	v_mov_b32_e32 v7, v18
	v_cmp_gt_i64_e64 s1, s[10:11], v[4:5]
	s_and_b32 s10, s2, vcc_lo
	v_add_co_u32 v19, vcc_lo, s4, v0
	v_add_co_ci_u32_e32 v20, vcc_lo, s5, v1, vcc_lo
	v_lshlrev_b64 v[0:1], 3, v[8:9]
	v_mov_b32_e32 v8, v17
	s_mul_i32 s2, s31, s15
	v_lshlrev_b64 v[6:7], 3, v[6:7]
	s_add_i32 s3, s3, s2
	s_mul_i32 s2, s30, s15
	v_mad_u64_u32 v[17:18], null, s23, v10, v[8:9]
	v_add_co_u32 v0, vcc_lo, v19, v0
	s_lshl_b64 s[2:3], s[2:3], 3
	v_add_co_ci_u32_e32 v1, vcc_lo, v20, v1, vcc_lo
	v_add_co_u32 v8, vcc_lo, s2, v6
	v_add_co_ci_u32_e32 v9, vcc_lo, s3, v7, vcc_lo
	s_mul_i32 s2, s25, s15
	s_mul_hi_u32 s3, s24, s15
	v_lshlrev_b64 v[6:7], 3, v[16:17]
	v_add_nc_u32_e32 v17, 0x1000, v13
	s_add_i32 s3, s3, s2
	s_mul_i32 s2, s24, s15
	v_lshlrev_b64 v[4:5], 3, v[4:5]
	s_lshl_b64 s[2:3], s[2:3], 3
	v_lshlrev_b64 v[2:3], 3, v[2:3]
	v_add_co_u32 v6, vcc_lo, s2, v6
	v_add_co_ci_u32_e32 v7, vcc_lo, s3, v7, vcc_lo
	s_delay_alu instid0(VALU_DEP_4) | instskip(SKIP_1) | instid1(VALU_DEP_4)
	v_add_co_u32 v4, vcc_lo, v8, v4
	v_add_co_ci_u32_e32 v5, vcc_lo, v9, v5, vcc_lo
	v_add_co_u32 v6, vcc_lo, v6, v2
	s_delay_alu instid0(VALU_DEP_4) | instskip(NEXT) | instid1(VALU_DEP_4)
	v_add_co_ci_u32_e32 v7, vcc_lo, v7, v3, vcc_lo
	v_add_co_u32 v2, vcc_lo, s26, v4
	s_delay_alu instid0(VALU_DEP_4) | instskip(NEXT) | instid1(VALU_DEP_4)
	v_add_co_ci_u32_e32 v3, vcc_lo, s27, v5, vcc_lo
	v_add_co_u32 v4, vcc_lo, s20, v6
	v_add_nc_u32_e32 v15, v13, v12
	v_add_co_ci_u32_e32 v5, vcc_lo, s21, v7, vcc_lo
	v_add_nc_u32_e32 v16, 0x800, v13
	v_add_nc_u32_e32 v18, 0x1800, v13
	s_lshl_b64 s[2:3], s[28:29], 8
	s_lshl_b64 s[4:5], s[22:23], 8
	s_mov_b64 s[6:7], 0
	s_branch .LBB1076_5
.LBB1076_4:                             ;   in Loop: Header=BB1076_5 Depth=1
	s_or_b32 exec_lo, exec_lo, s11
	s_add_u32 s6, s6, 32
	s_addc_u32 s7, s7, 0
	v_add_co_u32 v2, vcc_lo, v2, s2
	v_cmp_lt_i64_e64 s11, s[6:7], s[16:17]
	v_add_co_ci_u32_e32 v3, vcc_lo, s3, v3, vcc_lo
	v_add_co_u32 v4, vcc_lo, v4, s4
	v_add_co_ci_u32_e32 v5, vcc_lo, s5, v5, vcc_lo
	s_delay_alu instid0(VALU_DEP_4)
	s_and_b32 vcc_lo, exec_lo, s11
	s_waitcnt_vscnt null, 0x0
	s_barrier
	buffer_gl0_inv
	s_cbranch_vccz .LBB1076_11
.LBB1076_5:                             ; =>This Inner Loop Header: Depth=1
	v_add_co_u32 v8, s11, v10, s6
	s_delay_alu instid0(VALU_DEP_1) | instskip(SKIP_2) | instid1(VALU_DEP_3)
	v_add_co_ci_u32_e64 v9, null, 0, s7, s11
	v_mov_b32_e32 v6, 0
	v_mov_b32_e32 v7, 0
	v_cmp_gt_i64_e32 vcc_lo, s[16:17], v[8:9]
	s_delay_alu instid0(VALU_DEP_2) | instskip(SKIP_1) | instid1(SALU_CYCLE_1)
	v_dual_mov_b32 v9, v7 :: v_dual_mov_b32 v8, v6
	s_and_b32 s12, s0, vcc_lo
	s_and_saveexec_b32 s11, s12
	s_cbranch_execz .LBB1076_7
; %bb.6:                                ;   in Loop: Header=BB1076_5 Depth=1
	global_load_b64 v[8:9], v[4:5], off
.LBB1076_7:                             ;   in Loop: Header=BB1076_5 Depth=1
	s_or_b32 exec_lo, exec_lo, s11
	v_add_co_u32 v19, s11, v11, s6
	s_delay_alu instid0(VALU_DEP_1) | instskip(SKIP_4) | instid1(SALU_CYCLE_1)
	v_add_co_ci_u32_e64 v20, null, 0, s7, s11
	s_waitcnt vmcnt(0)
	ds_store_b64 v14, v[8:9]
	v_cmp_gt_i64_e32 vcc_lo, s[16:17], v[19:20]
	s_and_b32 s12, s1, vcc_lo
	s_and_saveexec_b32 s11, s12
	s_cbranch_execz .LBB1076_9
; %bb.8:                                ;   in Loop: Header=BB1076_5 Depth=1
	global_load_b64 v[6:7], v[2:3], off
.LBB1076_9:                             ;   in Loop: Header=BB1076_5 Depth=1
	s_or_b32 exec_lo, exec_lo, s11
	s_waitcnt vmcnt(0)
	ds_store_b64 v15, v[6:7]
	s_waitcnt lgkmcnt(0)
	s_barrier
	buffer_gl0_inv
	s_and_saveexec_b32 s11, s10
	s_cbranch_execz .LBB1076_4
; %bb.10:                               ;   in Loop: Header=BB1076_5 Depth=1
	ds_load_2addr_b64 v[6:9], v13 offset1:32
	ds_load_b128 v[19:22], v12
	ds_load_b128 v[23:26], v12 offset:16
	s_waitcnt lgkmcnt(1)
	v_fma_f64 v[6:7], v[19:20], v[6:7], 0
	s_delay_alu instid0(VALU_DEP_1) | instskip(SKIP_3) | instid1(VALU_DEP_1)
	v_fma_f64 v[19:20], v[21:22], v[8:9], v[6:7]
	ds_load_2addr_b64 v[6:9], v13 offset0:64 offset1:96
	s_waitcnt lgkmcnt(0)
	v_fma_f64 v[6:7], v[23:24], v[6:7], v[19:20]
	v_fma_f64 v[27:28], v[25:26], v[8:9], v[6:7]
	ds_load_2addr_b64 v[6:9], v13 offset0:128 offset1:160
	ds_load_b128 v[19:22], v12 offset:32
	ds_load_b128 v[23:26], v12 offset:48
	s_waitcnt lgkmcnt(1)
	v_fma_f64 v[6:7], v[19:20], v[6:7], v[27:28]
	s_delay_alu instid0(VALU_DEP_1) | instskip(SKIP_3) | instid1(VALU_DEP_1)
	v_fma_f64 v[19:20], v[21:22], v[8:9], v[6:7]
	ds_load_2addr_b64 v[6:9], v13 offset0:192 offset1:224
	s_waitcnt lgkmcnt(0)
	v_fma_f64 v[6:7], v[23:24], v[6:7], v[19:20]
	v_fma_f64 v[27:28], v[25:26], v[8:9], v[6:7]
	ds_load_2addr_b64 v[6:9], v16 offset1:32
	ds_load_b128 v[19:22], v12 offset:64
	ds_load_b128 v[23:26], v12 offset:80
	s_waitcnt lgkmcnt(1)
	v_fma_f64 v[6:7], v[19:20], v[6:7], v[27:28]
	s_delay_alu instid0(VALU_DEP_1) | instskip(SKIP_3) | instid1(VALU_DEP_1)
	v_fma_f64 v[19:20], v[21:22], v[8:9], v[6:7]
	ds_load_2addr_b64 v[6:9], v16 offset0:64 offset1:96
	s_waitcnt lgkmcnt(0)
	v_fma_f64 v[6:7], v[23:24], v[6:7], v[19:20]
	v_fma_f64 v[27:28], v[25:26], v[8:9], v[6:7]
	ds_load_2addr_b64 v[6:9], v16 offset0:128 offset1:160
	ds_load_b128 v[19:22], v12 offset:96
	ds_load_b128 v[23:26], v12 offset:112
	s_waitcnt lgkmcnt(1)
	v_fma_f64 v[6:7], v[19:20], v[6:7], v[27:28]
	s_delay_alu instid0(VALU_DEP_1) | instskip(SKIP_3) | instid1(VALU_DEP_1)
	v_fma_f64 v[19:20], v[21:22], v[8:9], v[6:7]
	ds_load_2addr_b64 v[6:9], v16 offset0:192 offset1:224
	s_waitcnt lgkmcnt(0)
	v_fma_f64 v[6:7], v[23:24], v[6:7], v[19:20]
	v_fma_f64 v[27:28], v[25:26], v[8:9], v[6:7]
	ds_load_2addr_b64 v[6:9], v17 offset1:32
	ds_load_b128 v[19:22], v12 offset:128
	;; [unrolled: 22-line block ×3, first 2 shown]
	global_load_b64 v[29:30], v[0:1], off
	ds_load_b128 v[23:26], v12 offset:208
	s_waitcnt lgkmcnt(1)
	v_fma_f64 v[6:7], v[19:20], v[6:7], v[27:28]
	s_delay_alu instid0(VALU_DEP_1) | instskip(SKIP_3) | instid1(VALU_DEP_1)
	v_fma_f64 v[19:20], v[21:22], v[8:9], v[6:7]
	ds_load_2addr_b64 v[6:9], v18 offset0:64 offset1:96
	s_waitcnt lgkmcnt(0)
	v_fma_f64 v[6:7], v[23:24], v[6:7], v[19:20]
	v_fma_f64 v[27:28], v[25:26], v[8:9], v[6:7]
	ds_load_2addr_b64 v[6:9], v18 offset0:128 offset1:160
	ds_load_b128 v[19:22], v12 offset:224
	ds_load_b128 v[23:26], v12 offset:240
	s_waitcnt lgkmcnt(1)
	v_fma_f64 v[6:7], v[19:20], v[6:7], v[27:28]
	s_delay_alu instid0(VALU_DEP_1) | instskip(SKIP_3) | instid1(VALU_DEP_1)
	v_fma_f64 v[19:20], v[21:22], v[8:9], v[6:7]
	ds_load_2addr_b64 v[6:9], v18 offset0:192 offset1:224
	s_waitcnt lgkmcnt(0)
	v_fma_f64 v[6:7], v[23:24], v[6:7], v[19:20]
	v_fma_f64 v[6:7], v[25:26], v[8:9], v[6:7]
	s_waitcnt vmcnt(0)
	s_delay_alu instid0(VALU_DEP_1)
	v_fma_f64 v[6:7], s[8:9], v[6:7], v[29:30]
	global_store_b64 v[0:1], v[6:7], off
	s_branch .LBB1076_4
.LBB1076_11:
	s_endpgm
	.section	.rodata,"a",@progbits
	.p2align	6, 0x0
	.amdhsa_kernel _ZL26rocblas_syr2k_her2k_kernelIlLb0ELb0ELb0ELi32EPKdS1_PdEvbiT_T4_T5_S3_lS5_S3_lT6_S3_li
		.amdhsa_group_segment_fixed_size 16384
		.amdhsa_private_segment_fixed_size 0
		.amdhsa_kernarg_size 100
		.amdhsa_user_sgpr_count 13
		.amdhsa_user_sgpr_dispatch_ptr 0
		.amdhsa_user_sgpr_queue_ptr 0
		.amdhsa_user_sgpr_kernarg_segment_ptr 1
		.amdhsa_user_sgpr_dispatch_id 0
		.amdhsa_user_sgpr_private_segment_size 0
		.amdhsa_wavefront_size32 1
		.amdhsa_uses_dynamic_stack 0
		.amdhsa_enable_private_segment 0
		.amdhsa_system_sgpr_workgroup_id_x 1
		.amdhsa_system_sgpr_workgroup_id_y 1
		.amdhsa_system_sgpr_workgroup_id_z 1
		.amdhsa_system_sgpr_workgroup_info 0
		.amdhsa_system_vgpr_workitem_id 1
		.amdhsa_next_free_vgpr 31
		.amdhsa_next_free_sgpr 32
		.amdhsa_reserve_vcc 1
		.amdhsa_float_round_mode_32 0
		.amdhsa_float_round_mode_16_64 0
		.amdhsa_float_denorm_mode_32 3
		.amdhsa_float_denorm_mode_16_64 3
		.amdhsa_dx10_clamp 1
		.amdhsa_ieee_mode 1
		.amdhsa_fp16_overflow 0
		.amdhsa_workgroup_processor_mode 1
		.amdhsa_memory_ordered 1
		.amdhsa_forward_progress 0
		.amdhsa_shared_vgpr_count 0
		.amdhsa_exception_fp_ieee_invalid_op 0
		.amdhsa_exception_fp_denorm_src 0
		.amdhsa_exception_fp_ieee_div_zero 0
		.amdhsa_exception_fp_ieee_overflow 0
		.amdhsa_exception_fp_ieee_underflow 0
		.amdhsa_exception_fp_ieee_inexact 0
		.amdhsa_exception_int_div_zero 0
	.end_amdhsa_kernel
	.section	.text._ZL26rocblas_syr2k_her2k_kernelIlLb0ELb0ELb0ELi32EPKdS1_PdEvbiT_T4_T5_S3_lS5_S3_lT6_S3_li,"axG",@progbits,_ZL26rocblas_syr2k_her2k_kernelIlLb0ELb0ELb0ELi32EPKdS1_PdEvbiT_T4_T5_S3_lS5_S3_lT6_S3_li,comdat
.Lfunc_end1076:
	.size	_ZL26rocblas_syr2k_her2k_kernelIlLb0ELb0ELb0ELi32EPKdS1_PdEvbiT_T4_T5_S3_lS5_S3_lT6_S3_li, .Lfunc_end1076-_ZL26rocblas_syr2k_her2k_kernelIlLb0ELb0ELb0ELi32EPKdS1_PdEvbiT_T4_T5_S3_lS5_S3_lT6_S3_li
                                        ; -- End function
	.section	.AMDGPU.csdata,"",@progbits
; Kernel info:
; codeLenInByte = 1512
; NumSgprs: 34
; NumVgprs: 31
; ScratchSize: 0
; MemoryBound: 0
; FloatMode: 240
; IeeeMode: 1
; LDSByteSize: 16384 bytes/workgroup (compile time only)
; SGPRBlocks: 4
; VGPRBlocks: 3
; NumSGPRsForWavesPerEU: 34
; NumVGPRsForWavesPerEU: 31
; Occupancy: 16
; WaveLimiterHint : 0
; COMPUTE_PGM_RSRC2:SCRATCH_EN: 0
; COMPUTE_PGM_RSRC2:USER_SGPR: 13
; COMPUTE_PGM_RSRC2:TRAP_HANDLER: 0
; COMPUTE_PGM_RSRC2:TGID_X_EN: 1
; COMPUTE_PGM_RSRC2:TGID_Y_EN: 1
; COMPUTE_PGM_RSRC2:TGID_Z_EN: 1
; COMPUTE_PGM_RSRC2:TIDIG_COMP_CNT: 1
	.section	.text._ZL26rocblas_syr2k_her2k_kernelIlLb0ELb0ELb1ELi32EPKdS1_PdEvbiT_T4_T5_S3_lS5_S3_lT6_S3_li,"axG",@progbits,_ZL26rocblas_syr2k_her2k_kernelIlLb0ELb0ELb1ELi32EPKdS1_PdEvbiT_T4_T5_S3_lS5_S3_lT6_S3_li,comdat
	.globl	_ZL26rocblas_syr2k_her2k_kernelIlLb0ELb0ELb1ELi32EPKdS1_PdEvbiT_T4_T5_S3_lS5_S3_lT6_S3_li ; -- Begin function _ZL26rocblas_syr2k_her2k_kernelIlLb0ELb0ELb1ELi32EPKdS1_PdEvbiT_T4_T5_S3_lS5_S3_lT6_S3_li
	.p2align	8
	.type	_ZL26rocblas_syr2k_her2k_kernelIlLb0ELb0ELb1ELi32EPKdS1_PdEvbiT_T4_T5_S3_lS5_S3_lT6_S3_li,@function
_ZL26rocblas_syr2k_her2k_kernelIlLb0ELb0ELb1ELi32EPKdS1_PdEvbiT_T4_T5_S3_lS5_S3_lT6_S3_li: ; @_ZL26rocblas_syr2k_her2k_kernelIlLb0ELb0ELb1ELi32EPKdS1_PdEvbiT_T4_T5_S3_lS5_S3_lT6_S3_li
; %bb.0:
	s_load_b512 s[16:31], s[0:1], 0x8
	s_waitcnt lgkmcnt(0)
	s_load_b64 s[8:9], s[18:19], 0x0
	s_waitcnt lgkmcnt(0)
	v_cmp_eq_f64_e64 s2, s[8:9], 0
	s_delay_alu instid0(VALU_DEP_1)
	s_and_b32 vcc_lo, exec_lo, s2
	s_cbranch_vccnz .LBB1077_11
; %bb.1:
	s_load_b64 s[2:3], s[0:1], 0x0
	s_lshl_b32 s10, s14, 5
	s_lshl_b32 s11, s13, 5
	s_waitcnt lgkmcnt(0)
	s_and_b32 s2, 1, s2
	s_delay_alu instid0(SALU_CYCLE_1) | instskip(SKIP_1) | instid1(SALU_CYCLE_1)
	s_cmp_eq_u32 s2, 1
	s_cselect_b32 s2, -1, 0
	s_and_b32 s4, s2, exec_lo
	s_cselect_b32 s4, s11, s10
	s_cselect_b32 s5, s10, s11
	s_delay_alu instid0(SALU_CYCLE_1)
	s_cmp_gt_i32 s4, s5
	s_cbranch_scc1 .LBB1077_11
; %bb.2:
	v_cmp_lt_i64_e64 s4, s[16:17], 1
	s_delay_alu instid0(VALU_DEP_1)
	s_and_b32 vcc_lo, exec_lo, s4
	s_cbranch_vccnz .LBB1077_11
; %bb.3:
	s_clause 0x1
	s_load_b64 s[12:13], s[0:1], 0x58
	s_load_b128 s[4:7], s[0:1], 0x48
	v_bfe_u32 v10, v0, 10, 10
	v_mov_b32_e32 v1, 0
	v_and_b32_e32 v11, 0x3ff, v0
	s_delay_alu instid0(VALU_DEP_2) | instskip(NEXT) | instid1(VALU_DEP_2)
	v_dual_mov_b32 v3, v1 :: v_dual_add_nc_u32 v2, s10, v10
	v_add_nc_u32_e32 v0, s11, v11
	s_mov_b32 s10, s3
	s_delay_alu instid0(VALU_DEP_2) | instskip(SKIP_1) | instid1(VALU_DEP_3)
	v_ashrrev_i32_e32 v4, 31, v2
	v_mad_u64_u32 v[6:7], null, s28, v2, 0
	v_cndmask_b32_e64 v8, v0, v2, s2
	v_cndmask_b32_e64 v9, v2, v0, s2
	v_lshlrev_b32_e32 v18, 3, v10
	v_max_i32_e32 v19, v0, v2
	s_waitcnt lgkmcnt(0)
	s_mul_i32 s1, s15, s13
	v_mul_lo_u32 v16, v4, s6
	v_mul_lo_u32 v17, v2, s7
	v_mad_u64_u32 v[4:5], null, v2, s6, 0
	s_mul_hi_u32 s2, s15, s12
	s_mul_i32 s0, s15, s12
	s_add_i32 s1, s2, s1
	v_cmp_le_i32_e64 s2, v9, v8
	s_lshl_b64 s[0:1], s[0:1], 3
	v_mad_u64_u32 v[8:9], null, s22, v0, 0
	s_delay_alu instid0(VALU_DEP_3)
	v_add3_u32 v5, v5, v17, v16
	s_add_u32 s4, s4, s0
	s_addc_u32 s5, s5, s1
	s_ashr_i32 s11, s3, 31
	v_lshlrev_b32_e32 v12, 8, v11
	v_lshlrev_b64 v[4:5], 3, v[4:5]
	v_cmp_gt_i64_e64 s1, s[10:11], v[2:3]
	v_mov_b32_e32 v3, v7
	v_cmp_gt_i64_e64 s0, s[10:11], v[0:1]
	v_ashrrev_i32_e32 v1, 31, v0
	v_cmp_gt_i32_e32 vcc_lo, s3, v19
	v_or_b32_e32 v13, 0x2000, v18
	v_mad_u64_u32 v[16:17], null, s29, v2, v[3:4]
	v_mov_b32_e32 v3, v9
	v_add_co_u32 v17, s3, s4, v4
	s_delay_alu instid0(VALU_DEP_1) | instskip(NEXT) | instid1(VALU_DEP_3)
	v_add_co_ci_u32_e64 v19, s3, s5, v5, s3
	v_mad_u64_u32 v[4:5], null, s23, v0, v[3:4]
	v_mov_b32_e32 v7, v16
	v_lshlrev_b64 v[1:2], 3, v[0:1]
	s_mul_i32 s3, s31, s15
	s_mul_hi_u32 s4, s30, s15
	v_add_nc_u32_e32 v16, 0x800, v13
	v_lshlrev_b64 v[5:6], 3, v[6:7]
	s_add_i32 s5, s4, s3
	s_mul_i32 s4, s30, s15
	v_add_co_u32 v0, s3, v17, v1
	s_lshl_b64 s[4:5], s[4:5], 3
	v_mov_b32_e32 v9, v4
	v_add_co_ci_u32_e64 v1, s3, v19, v2, s3
	v_add_co_u32 v4, s3, s4, v5
	s_delay_alu instid0(VALU_DEP_1)
	v_add_co_ci_u32_e64 v5, s3, s5, v6, s3
	s_mul_i32 s3, s25, s15
	s_mul_hi_u32 s4, s24, s15
	v_lshlrev_b64 v[2:3], 3, v[8:9]
	s_add_i32 s5, s4, s3
	s_mul_i32 s4, s24, s15
	v_lshlrev_b32_e32 v6, 3, v11
	s_lshl_b64 s[4:5], s[4:5], 3
	v_add_nc_u32_e32 v14, v12, v18
	v_add_co_u32 v2, s3, s4, v2
	s_delay_alu instid0(VALU_DEP_1) | instskip(SKIP_1) | instid1(VALU_DEP_1)
	v_add_co_ci_u32_e64 v3, s3, s5, v3, s3
	v_add_co_u32 v4, s3, v4, v6
	v_add_co_ci_u32_e64 v5, s3, 0, v5, s3
	s_delay_alu instid0(VALU_DEP_4) | instskip(NEXT) | instid1(VALU_DEP_1)
	v_add_co_u32 v6, s3, v2, v18
	v_add_co_ci_u32_e64 v7, s3, 0, v3, s3
	s_delay_alu instid0(VALU_DEP_4) | instskip(NEXT) | instid1(VALU_DEP_1)
	v_add_co_u32 v2, s3, s26, v4
	v_add_co_ci_u32_e64 v3, s3, s27, v5, s3
	s_delay_alu instid0(VALU_DEP_4)
	v_add_co_u32 v4, s3, s20, v6
	v_add_nc_u32_e32 v15, v13, v12
	v_add_co_ci_u32_e64 v5, s3, s21, v7, s3
	v_add_nc_u32_e32 v17, 0x1000, v13
	v_add_nc_u32_e32 v18, 0x1800, v13
	s_and_b32 s4, s2, vcc_lo
	s_mov_b64 s[2:3], 0
	s_branch .LBB1077_5
.LBB1077_4:                             ;   in Loop: Header=BB1077_5 Depth=1
	s_or_b32 exec_lo, exec_lo, s5
	s_add_u32 s2, s2, 32
	s_addc_u32 s3, s3, 0
	v_add_co_u32 v2, vcc_lo, 0x100, v2
	v_cmp_lt_i64_e64 s5, s[2:3], s[16:17]
	v_add_co_ci_u32_e32 v3, vcc_lo, 0, v3, vcc_lo
	v_add_co_u32 v4, vcc_lo, 0x100, v4
	v_add_co_ci_u32_e32 v5, vcc_lo, 0, v5, vcc_lo
	s_delay_alu instid0(VALU_DEP_4)
	s_and_b32 vcc_lo, exec_lo, s5
	s_waitcnt_vscnt null, 0x0
	s_barrier
	buffer_gl0_inv
	s_cbranch_vccz .LBB1077_11
.LBB1077_5:                             ; =>This Inner Loop Header: Depth=1
	v_add_co_u32 v8, s5, v10, s2
	s_delay_alu instid0(VALU_DEP_1) | instskip(SKIP_2) | instid1(VALU_DEP_3)
	v_add_co_ci_u32_e64 v9, null, 0, s3, s5
	v_mov_b32_e32 v6, 0
	v_mov_b32_e32 v7, 0
	v_cmp_gt_i64_e32 vcc_lo, s[16:17], v[8:9]
	s_delay_alu instid0(VALU_DEP_2) | instskip(SKIP_1) | instid1(SALU_CYCLE_1)
	v_dual_mov_b32 v9, v7 :: v_dual_mov_b32 v8, v6
	s_and_b32 s6, s0, vcc_lo
	s_and_saveexec_b32 s5, s6
	s_cbranch_execz .LBB1077_7
; %bb.6:                                ;   in Loop: Header=BB1077_5 Depth=1
	global_load_b64 v[8:9], v[4:5], off
.LBB1077_7:                             ;   in Loop: Header=BB1077_5 Depth=1
	s_or_b32 exec_lo, exec_lo, s5
	v_add_co_u32 v19, s5, v11, s2
	s_delay_alu instid0(VALU_DEP_1) | instskip(SKIP_4) | instid1(SALU_CYCLE_1)
	v_add_co_ci_u32_e64 v20, null, 0, s3, s5
	s_waitcnt vmcnt(0)
	ds_store_b64 v14, v[8:9]
	v_cmp_gt_i64_e32 vcc_lo, s[16:17], v[19:20]
	s_and_b32 s6, s1, vcc_lo
	s_and_saveexec_b32 s5, s6
	s_cbranch_execz .LBB1077_9
; %bb.8:                                ;   in Loop: Header=BB1077_5 Depth=1
	global_load_b64 v[6:7], v[2:3], off
.LBB1077_9:                             ;   in Loop: Header=BB1077_5 Depth=1
	s_or_b32 exec_lo, exec_lo, s5
	s_waitcnt vmcnt(0)
	ds_store_b64 v15, v[6:7]
	s_waitcnt lgkmcnt(0)
	s_barrier
	buffer_gl0_inv
	s_and_saveexec_b32 s5, s4
	s_cbranch_execz .LBB1077_4
; %bb.10:                               ;   in Loop: Header=BB1077_5 Depth=1
	ds_load_2addr_b64 v[6:9], v13 offset1:32
	ds_load_b128 v[19:22], v12
	ds_load_b128 v[23:26], v12 offset:16
	s_waitcnt lgkmcnt(1)
	v_fma_f64 v[6:7], v[19:20], v[6:7], 0
	s_delay_alu instid0(VALU_DEP_1) | instskip(SKIP_3) | instid1(VALU_DEP_1)
	v_fma_f64 v[19:20], v[21:22], v[8:9], v[6:7]
	ds_load_2addr_b64 v[6:9], v13 offset0:64 offset1:96
	s_waitcnt lgkmcnt(0)
	v_fma_f64 v[6:7], v[23:24], v[6:7], v[19:20]
	v_fma_f64 v[27:28], v[25:26], v[8:9], v[6:7]
	ds_load_2addr_b64 v[6:9], v13 offset0:128 offset1:160
	ds_load_b128 v[19:22], v12 offset:32
	ds_load_b128 v[23:26], v12 offset:48
	s_waitcnt lgkmcnt(1)
	v_fma_f64 v[6:7], v[19:20], v[6:7], v[27:28]
	s_delay_alu instid0(VALU_DEP_1) | instskip(SKIP_3) | instid1(VALU_DEP_1)
	v_fma_f64 v[19:20], v[21:22], v[8:9], v[6:7]
	ds_load_2addr_b64 v[6:9], v13 offset0:192 offset1:224
	s_waitcnt lgkmcnt(0)
	v_fma_f64 v[6:7], v[23:24], v[6:7], v[19:20]
	v_fma_f64 v[27:28], v[25:26], v[8:9], v[6:7]
	ds_load_2addr_b64 v[6:9], v16 offset1:32
	ds_load_b128 v[19:22], v12 offset:64
	ds_load_b128 v[23:26], v12 offset:80
	s_waitcnt lgkmcnt(1)
	v_fma_f64 v[6:7], v[19:20], v[6:7], v[27:28]
	s_delay_alu instid0(VALU_DEP_1) | instskip(SKIP_3) | instid1(VALU_DEP_1)
	v_fma_f64 v[19:20], v[21:22], v[8:9], v[6:7]
	ds_load_2addr_b64 v[6:9], v16 offset0:64 offset1:96
	s_waitcnt lgkmcnt(0)
	v_fma_f64 v[6:7], v[23:24], v[6:7], v[19:20]
	v_fma_f64 v[27:28], v[25:26], v[8:9], v[6:7]
	ds_load_2addr_b64 v[6:9], v16 offset0:128 offset1:160
	ds_load_b128 v[19:22], v12 offset:96
	ds_load_b128 v[23:26], v12 offset:112
	s_waitcnt lgkmcnt(1)
	v_fma_f64 v[6:7], v[19:20], v[6:7], v[27:28]
	s_delay_alu instid0(VALU_DEP_1) | instskip(SKIP_3) | instid1(VALU_DEP_1)
	v_fma_f64 v[19:20], v[21:22], v[8:9], v[6:7]
	ds_load_2addr_b64 v[6:9], v16 offset0:192 offset1:224
	s_waitcnt lgkmcnt(0)
	v_fma_f64 v[6:7], v[23:24], v[6:7], v[19:20]
	v_fma_f64 v[27:28], v[25:26], v[8:9], v[6:7]
	ds_load_2addr_b64 v[6:9], v17 offset1:32
	ds_load_b128 v[19:22], v12 offset:128
	;; [unrolled: 22-line block ×3, first 2 shown]
	global_load_b64 v[29:30], v[0:1], off
	ds_load_b128 v[23:26], v12 offset:208
	s_waitcnt lgkmcnt(1)
	v_fma_f64 v[6:7], v[19:20], v[6:7], v[27:28]
	s_delay_alu instid0(VALU_DEP_1) | instskip(SKIP_3) | instid1(VALU_DEP_1)
	v_fma_f64 v[19:20], v[21:22], v[8:9], v[6:7]
	ds_load_2addr_b64 v[6:9], v18 offset0:64 offset1:96
	s_waitcnt lgkmcnt(0)
	v_fma_f64 v[6:7], v[23:24], v[6:7], v[19:20]
	v_fma_f64 v[27:28], v[25:26], v[8:9], v[6:7]
	ds_load_2addr_b64 v[6:9], v18 offset0:128 offset1:160
	ds_load_b128 v[19:22], v12 offset:224
	ds_load_b128 v[23:26], v12 offset:240
	s_waitcnt lgkmcnt(1)
	v_fma_f64 v[6:7], v[19:20], v[6:7], v[27:28]
	s_delay_alu instid0(VALU_DEP_1) | instskip(SKIP_3) | instid1(VALU_DEP_1)
	v_fma_f64 v[19:20], v[21:22], v[8:9], v[6:7]
	ds_load_2addr_b64 v[6:9], v18 offset0:192 offset1:224
	s_waitcnt lgkmcnt(0)
	v_fma_f64 v[6:7], v[23:24], v[6:7], v[19:20]
	v_fma_f64 v[6:7], v[25:26], v[8:9], v[6:7]
	s_waitcnt vmcnt(0)
	s_delay_alu instid0(VALU_DEP_1)
	v_fma_f64 v[6:7], s[8:9], v[6:7], v[29:30]
	global_store_b64 v[0:1], v[6:7], off
	s_branch .LBB1077_4
.LBB1077_11:
	s_endpgm
	.section	.rodata,"a",@progbits
	.p2align	6, 0x0
	.amdhsa_kernel _ZL26rocblas_syr2k_her2k_kernelIlLb0ELb0ELb1ELi32EPKdS1_PdEvbiT_T4_T5_S3_lS5_S3_lT6_S3_li
		.amdhsa_group_segment_fixed_size 16384
		.amdhsa_private_segment_fixed_size 0
		.amdhsa_kernarg_size 100
		.amdhsa_user_sgpr_count 13
		.amdhsa_user_sgpr_dispatch_ptr 0
		.amdhsa_user_sgpr_queue_ptr 0
		.amdhsa_user_sgpr_kernarg_segment_ptr 1
		.amdhsa_user_sgpr_dispatch_id 0
		.amdhsa_user_sgpr_private_segment_size 0
		.amdhsa_wavefront_size32 1
		.amdhsa_uses_dynamic_stack 0
		.amdhsa_enable_private_segment 0
		.amdhsa_system_sgpr_workgroup_id_x 1
		.amdhsa_system_sgpr_workgroup_id_y 1
		.amdhsa_system_sgpr_workgroup_id_z 1
		.amdhsa_system_sgpr_workgroup_info 0
		.amdhsa_system_vgpr_workitem_id 1
		.amdhsa_next_free_vgpr 31
		.amdhsa_next_free_sgpr 32
		.amdhsa_reserve_vcc 1
		.amdhsa_float_round_mode_32 0
		.amdhsa_float_round_mode_16_64 0
		.amdhsa_float_denorm_mode_32 3
		.amdhsa_float_denorm_mode_16_64 3
		.amdhsa_dx10_clamp 1
		.amdhsa_ieee_mode 1
		.amdhsa_fp16_overflow 0
		.amdhsa_workgroup_processor_mode 1
		.amdhsa_memory_ordered 1
		.amdhsa_forward_progress 0
		.amdhsa_shared_vgpr_count 0
		.amdhsa_exception_fp_ieee_invalid_op 0
		.amdhsa_exception_fp_denorm_src 0
		.amdhsa_exception_fp_ieee_div_zero 0
		.amdhsa_exception_fp_ieee_overflow 0
		.amdhsa_exception_fp_ieee_underflow 0
		.amdhsa_exception_fp_ieee_inexact 0
		.amdhsa_exception_int_div_zero 0
	.end_amdhsa_kernel
	.section	.text._ZL26rocblas_syr2k_her2k_kernelIlLb0ELb0ELb1ELi32EPKdS1_PdEvbiT_T4_T5_S3_lS5_S3_lT6_S3_li,"axG",@progbits,_ZL26rocblas_syr2k_her2k_kernelIlLb0ELb0ELb1ELi32EPKdS1_PdEvbiT_T4_T5_S3_lS5_S3_lT6_S3_li,comdat
.Lfunc_end1077:
	.size	_ZL26rocblas_syr2k_her2k_kernelIlLb0ELb0ELb1ELi32EPKdS1_PdEvbiT_T4_T5_S3_lS5_S3_lT6_S3_li, .Lfunc_end1077-_ZL26rocblas_syr2k_her2k_kernelIlLb0ELb0ELb1ELi32EPKdS1_PdEvbiT_T4_T5_S3_lS5_S3_lT6_S3_li
                                        ; -- End function
	.section	.AMDGPU.csdata,"",@progbits
; Kernel info:
; codeLenInByte = 1544
; NumSgprs: 34
; NumVgprs: 31
; ScratchSize: 0
; MemoryBound: 0
; FloatMode: 240
; IeeeMode: 1
; LDSByteSize: 16384 bytes/workgroup (compile time only)
; SGPRBlocks: 4
; VGPRBlocks: 3
; NumSGPRsForWavesPerEU: 34
; NumVGPRsForWavesPerEU: 31
; Occupancy: 16
; WaveLimiterHint : 0
; COMPUTE_PGM_RSRC2:SCRATCH_EN: 0
; COMPUTE_PGM_RSRC2:USER_SGPR: 13
; COMPUTE_PGM_RSRC2:TRAP_HANDLER: 0
; COMPUTE_PGM_RSRC2:TGID_X_EN: 1
; COMPUTE_PGM_RSRC2:TGID_Y_EN: 1
; COMPUTE_PGM_RSRC2:TGID_Z_EN: 1
; COMPUTE_PGM_RSRC2:TIDIG_COMP_CNT: 1
	.section	.text._ZL26rocblas_syr2k_her2k_kernelIlLb0ELb0ELb0ELi32E19rocblas_complex_numIfEPKS1_PS1_EvbiT_T4_T5_S5_lS7_S5_lT6_S5_li,"axG",@progbits,_ZL26rocblas_syr2k_her2k_kernelIlLb0ELb0ELb0ELi32E19rocblas_complex_numIfEPKS1_PS1_EvbiT_T4_T5_S5_lS7_S5_lT6_S5_li,comdat
	.globl	_ZL26rocblas_syr2k_her2k_kernelIlLb0ELb0ELb0ELi32E19rocblas_complex_numIfEPKS1_PS1_EvbiT_T4_T5_S5_lS7_S5_lT6_S5_li ; -- Begin function _ZL26rocblas_syr2k_her2k_kernelIlLb0ELb0ELb0ELi32E19rocblas_complex_numIfEPKS1_PS1_EvbiT_T4_T5_S5_lS7_S5_lT6_S5_li
	.p2align	8
	.type	_ZL26rocblas_syr2k_her2k_kernelIlLb0ELb0ELb0ELi32E19rocblas_complex_numIfEPKS1_PS1_EvbiT_T4_T5_S5_lS7_S5_lT6_S5_li,@function
_ZL26rocblas_syr2k_her2k_kernelIlLb0ELb0ELb0ELi32E19rocblas_complex_numIfEPKS1_PS1_EvbiT_T4_T5_S5_lS7_S5_lT6_S5_li: ; @_ZL26rocblas_syr2k_her2k_kernelIlLb0ELb0ELb0ELi32E19rocblas_complex_numIfEPKS1_PS1_EvbiT_T4_T5_S5_lS7_S5_lT6_S5_li
; %bb.0:
	s_load_b64 s[4:5], s[0:1], 0x10
	s_waitcnt lgkmcnt(0)
	v_cmp_eq_f32_e64 s2, s4, 0
	v_cmp_eq_f32_e64 s3, s5, 0
	s_delay_alu instid0(VALU_DEP_1) | instskip(NEXT) | instid1(SALU_CYCLE_1)
	s_and_b32 s2, s2, s3
	s_and_b32 vcc_lo, exec_lo, s2
	s_cbranch_vccnz .LBB1078_11
; %bb.1:
	s_load_b64 s[2:3], s[0:1], 0x0
	s_lshl_b32 s8, s14, 5
	s_lshl_b32 s9, s13, 5
	s_waitcnt lgkmcnt(0)
	s_and_b32 s2, 1, s2
	s_delay_alu instid0(SALU_CYCLE_1) | instskip(SKIP_1) | instid1(SALU_CYCLE_1)
	s_cmp_eq_u32 s2, 1
	s_cselect_b32 s2, -1, 0
	s_and_b32 s6, s2, exec_lo
	s_cselect_b32 s6, s9, s8
	s_cselect_b32 s7, s8, s9
	s_delay_alu instid0(SALU_CYCLE_1)
	s_cmp_gt_i32 s6, s7
	s_cbranch_scc1 .LBB1078_11
; %bb.2:
	s_load_b64 s[6:7], s[0:1], 0x8
	s_waitcnt lgkmcnt(0)
	v_cmp_lt_i64_e64 s10, s[6:7], 1
	s_delay_alu instid0(VALU_DEP_1)
	s_and_b32 vcc_lo, exec_lo, s10
	s_cbranch_vccnz .LBB1078_11
; %bb.3:
	s_clause 0x1
	s_load_b64 s[10:11], s[0:1], 0x58
	s_load_b512 s[16:31], s[0:1], 0x18
	v_bfe_u32 v10, v0, 10, 10
	v_and_b32_e32 v11, 0x3ff, v0
	s_delay_alu instid0(VALU_DEP_2) | instskip(NEXT) | instid1(VALU_DEP_1)
	v_dual_mov_b32 v3, 0 :: v_dual_add_nc_u32 v4, s8, v10
	v_dual_mov_b32 v5, v3 :: v_dual_add_nc_u32 v2, s9, v11
	v_lshlrev_b32_e32 v8, 3, v10
	v_lshlrev_b32_e32 v12, 8, v11
	s_delay_alu instid0(VALU_DEP_4) | instskip(NEXT) | instid1(VALU_DEP_4)
	v_ashrrev_i32_e32 v1, 31, v4
	v_max_i32_e32 v0, v2, v4
	v_cndmask_b32_e64 v6, v2, v4, s2
	v_cndmask_b32_e64 v7, v4, v2, s2
	v_or_b32_e32 v13, 0x2000, v8
	v_add_nc_u32_e32 v14, v12, v8
	v_cmp_gt_i32_e32 vcc_lo, s3, v0
	v_mov_b32_e32 v8, v2
	s_waitcnt lgkmcnt(0)
	s_mul_i32 s1, s15, s11
	v_mul_lo_u32 v9, v1, s30
	v_mul_lo_u32 v16, v4, s31
	v_mad_u64_u32 v[0:1], null, v4, s30, 0
	s_mul_hi_u32 s2, s15, s10
	s_mul_i32 s0, s15, s10
	s_add_i32 s1, s2, s1
	v_cmp_le_i32_e64 s2, v7, v6
	v_mad_u64_u32 v[6:7], null, s24, v11, 0
	s_delay_alu instid0(VALU_DEP_3) | instskip(SKIP_3) | instid1(VALU_DEP_3)
	v_add3_u32 v1, v1, v16, v9
	v_mad_u64_u32 v[16:17], null, s18, v10, 0
	s_lshl_b64 s[0:1], s[0:1], 3
	v_ashrrev_i32_e32 v9, 31, v2
	v_lshlrev_b64 v[0:1], 3, v[0:1]
	v_mad_u64_u32 v[18:19], null, s25, v11, v[7:8]
	s_add_u32 s10, s28, s0
	s_addc_u32 s11, s29, s1
	s_and_b32 s12, s2, vcc_lo
	s_delay_alu instid0(VALU_DEP_2) | instskip(SKIP_1) | instid1(VALU_DEP_3)
	v_add_co_u32 v19, vcc_lo, s10, v0
	v_add_co_ci_u32_e32 v20, vcc_lo, s11, v1, vcc_lo
	v_mov_b32_e32 v7, v18
	v_lshlrev_b64 v[0:1], 3, v[8:9]
	v_mov_b32_e32 v8, v17
	s_mov_b32 s8, s3
	s_ashr_i32 s9, s3, 31
	s_mul_i32 s2, s27, s15
	s_mul_hi_u32 s3, s26, s15
	v_mad_u64_u32 v[17:18], null, s19, v10, v[8:9]
	v_lshlrev_b64 v[6:7], 3, v[6:7]
	s_add_i32 s3, s3, s2
	s_mul_i32 s2, s26, s15
	v_add_co_u32 v0, vcc_lo, v19, v0
	s_lshl_b64 s[2:3], s[2:3], 3
	v_add_co_ci_u32_e32 v1, vcc_lo, v20, v1, vcc_lo
	v_add_co_u32 v8, vcc_lo, s2, v6
	v_add_co_ci_u32_e32 v9, vcc_lo, s3, v7, vcc_lo
	s_mul_i32 s2, s21, s15
	s_mul_hi_u32 s3, s20, s15
	v_lshlrev_b64 v[6:7], 3, v[16:17]
	v_add_nc_u32_e32 v17, 0x1000, v13
	s_add_i32 s3, s3, s2
	s_mul_i32 s2, s20, s15
	v_cmp_gt_i64_e64 s1, s[8:9], v[4:5]
	v_lshlrev_b64 v[4:5], 3, v[4:5]
	s_lshl_b64 s[2:3], s[2:3], 3
	v_cmp_gt_i64_e64 s0, s[8:9], v[2:3]
	v_add_co_u32 v6, vcc_lo, s2, v6
	v_lshlrev_b64 v[2:3], 3, v[2:3]
	v_add_co_ci_u32_e32 v7, vcc_lo, s3, v7, vcc_lo
	v_add_co_u32 v4, vcc_lo, v8, v4
	v_add_co_ci_u32_e32 v5, vcc_lo, v9, v5, vcc_lo
	s_delay_alu instid0(VALU_DEP_4) | instskip(NEXT) | instid1(VALU_DEP_4)
	v_add_co_u32 v2, vcc_lo, v6, v2
	v_add_co_ci_u32_e32 v3, vcc_lo, v7, v3, vcc_lo
	s_delay_alu instid0(VALU_DEP_4) | instskip(NEXT) | instid1(VALU_DEP_4)
	;; [unrolled: 3-line block ×4, first 2 shown]
	v_add_co_u32 v2, vcc_lo, v4, 4
	v_add_co_ci_u32_e32 v3, vcc_lo, 0, v5, vcc_lo
	s_delay_alu instid0(VALU_DEP_4)
	v_add_co_u32 v4, vcc_lo, v6, 4
	v_add_nc_u32_e32 v15, v13, v12
	v_add_co_ci_u32_e32 v5, vcc_lo, 0, v7, vcc_lo
	v_add_nc_u32_e32 v16, 0x800, v13
	v_add_nc_u32_e32 v18, 0x1800, v13
	s_lshl_b64 s[2:3], s[24:25], 8
	s_lshl_b64 s[8:9], s[18:19], 8
	s_mov_b64 s[10:11], 0
	s_branch .LBB1078_5
.LBB1078_4:                             ;   in Loop: Header=BB1078_5 Depth=1
	s_or_b32 exec_lo, exec_lo, s13
	s_add_u32 s10, s10, 32
	s_addc_u32 s11, s11, 0
	v_add_co_u32 v2, vcc_lo, v2, s2
	v_cmp_lt_i64_e64 s13, s[10:11], s[6:7]
	v_add_co_ci_u32_e32 v3, vcc_lo, s3, v3, vcc_lo
	v_add_co_u32 v4, vcc_lo, v4, s8
	v_add_co_ci_u32_e32 v5, vcc_lo, s9, v5, vcc_lo
	s_delay_alu instid0(VALU_DEP_4)
	s_and_b32 vcc_lo, exec_lo, s13
	s_waitcnt_vscnt null, 0x0
	s_barrier
	buffer_gl0_inv
	s_cbranch_vccz .LBB1078_11
.LBB1078_5:                             ; =>This Inner Loop Header: Depth=1
	v_add_co_u32 v6, s13, v10, s10
	s_delay_alu instid0(VALU_DEP_1) | instskip(NEXT) | instid1(VALU_DEP_1)
	v_add_co_ci_u32_e64 v7, null, 0, s11, s13
	v_cmp_gt_i64_e32 vcc_lo, s[6:7], v[6:7]
	v_dual_mov_b32 v6, 0 :: v_dual_mov_b32 v7, 0
	s_and_b32 s14, s0, vcc_lo
	s_delay_alu instid0(SALU_CYCLE_1)
	s_and_saveexec_b32 s13, s14
	s_cbranch_execz .LBB1078_7
; %bb.6:                                ;   in Loop: Header=BB1078_5 Depth=1
	global_load_b64 v[6:7], v[4:5], off offset:-4
.LBB1078_7:                             ;   in Loop: Header=BB1078_5 Depth=1
	s_or_b32 exec_lo, exec_lo, s13
	v_add_co_u32 v8, s13, v11, s10
	s_delay_alu instid0(VALU_DEP_1)
	v_add_co_ci_u32_e64 v9, null, 0, s11, s13
	s_waitcnt vmcnt(0)
	ds_store_b64 v14, v[6:7]
	v_cmp_gt_i64_e32 vcc_lo, s[6:7], v[8:9]
	v_dual_mov_b32 v8, 0 :: v_dual_mov_b32 v9, 0
	s_and_b32 s14, s1, vcc_lo
	s_delay_alu instid0(SALU_CYCLE_1)
	s_and_saveexec_b32 s13, s14
	s_cbranch_execz .LBB1078_9
; %bb.8:                                ;   in Loop: Header=BB1078_5 Depth=1
	global_load_b64 v[8:9], v[2:3], off offset:-4
.LBB1078_9:                             ;   in Loop: Header=BB1078_5 Depth=1
	s_or_b32 exec_lo, exec_lo, s13
	s_waitcnt vmcnt(0)
	ds_store_b64 v15, v[8:9]
	s_waitcnt lgkmcnt(0)
	s_barrier
	buffer_gl0_inv
	s_and_saveexec_b32 s13, s12
	s_cbranch_execz .LBB1078_4
; %bb.10:                               ;   in Loop: Header=BB1078_5 Depth=1
	ds_load_b128 v[6:9], v12
	ds_load_b128 v[19:22], v12 offset:16
	ds_load_b128 v[23:26], v12 offset:32
	;; [unrolled: 1-line block ×3, first 2 shown]
	ds_load_2addr_b64 v[31:34], v13 offset1:32
	s_waitcnt lgkmcnt(0)
	v_mul_f32_e32 v35, v32, v7
	v_mul_f32_e32 v7, v31, v7
	s_delay_alu instid0(VALU_DEP_2) | instskip(NEXT) | instid1(VALU_DEP_2)
	v_fma_f32 v35, v31, v6, -v35
	v_fmac_f32_e32 v7, v32, v6
	v_mul_f32_e32 v31, v34, v9
	s_delay_alu instid0(VALU_DEP_3) | instskip(NEXT) | instid1(VALU_DEP_3)
	v_dual_mul_f32 v9, v33, v9 :: v_dual_add_f32 v6, 0, v35
	v_add_f32_e32 v7, 0, v7
	s_delay_alu instid0(VALU_DEP_3) | instskip(NEXT) | instid1(VALU_DEP_3)
	v_fma_f32 v31, v33, v8, -v31
	v_fmac_f32_e32 v9, v34, v8
	s_delay_alu instid0(VALU_DEP_1) | instskip(SKIP_3) | instid1(VALU_DEP_1)
	v_dual_add_f32 v31, v6, v31 :: v_dual_add_f32 v32, v7, v9
	ds_load_2addr_b64 v[6:9], v13 offset0:64 offset1:96
	s_waitcnt lgkmcnt(0)
	v_mul_f32_e32 v33, v7, v20
	v_fma_f32 v33, v6, v19, -v33
	v_mul_f32_e32 v6, v6, v20
	s_delay_alu instid0(VALU_DEP_1) | instskip(NEXT) | instid1(VALU_DEP_1)
	v_dual_fmac_f32 v6, v7, v19 :: v_dual_mul_f32 v19, v9, v22
	v_add_f32_e32 v6, v32, v6
	s_delay_alu instid0(VALU_DEP_2) | instskip(SKIP_1) | instid1(VALU_DEP_1)
	v_fma_f32 v19, v8, v21, -v19
	v_mul_f32_e32 v8, v8, v22
	v_fmac_f32_e32 v8, v9, v21
	s_delay_alu instid0(VALU_DEP_1) | instskip(NEXT) | instid1(VALU_DEP_1)
	v_dual_add_f32 v7, v31, v33 :: v_dual_add_f32 v20, v6, v8
	v_add_f32_e32 v19, v7, v19
	ds_load_2addr_b64 v[6:9], v13 offset0:128 offset1:160
	s_waitcnt lgkmcnt(0)
	v_mul_f32_e32 v21, v7, v24
	s_delay_alu instid0(VALU_DEP_1) | instskip(SKIP_1) | instid1(VALU_DEP_1)
	v_fma_f32 v21, v6, v23, -v21
	v_mul_f32_e32 v6, v6, v24
	v_fmac_f32_e32 v6, v7, v23
	s_delay_alu instid0(VALU_DEP_1) | instskip(SKIP_1) | instid1(VALU_DEP_1)
	v_dual_add_f32 v6, v20, v6 :: v_dual_add_f32 v7, v19, v21
	v_mul_f32_e32 v19, v9, v26
	v_fma_f32 v19, v8, v25, -v19
	v_mul_f32_e32 v8, v8, v26
	s_delay_alu instid0(VALU_DEP_1) | instskip(NEXT) | instid1(VALU_DEP_1)
	v_fmac_f32_e32 v8, v9, v25
	v_dual_add_f32 v20, v6, v8 :: v_dual_add_f32 v19, v7, v19
	ds_load_2addr_b64 v[6:9], v13 offset0:192 offset1:224
	s_waitcnt lgkmcnt(0)
	v_mul_f32_e32 v21, v7, v28
	s_delay_alu instid0(VALU_DEP_1) | instskip(SKIP_1) | instid1(VALU_DEP_1)
	v_fma_f32 v21, v6, v27, -v21
	v_mul_f32_e32 v6, v6, v28
	v_fmac_f32_e32 v6, v7, v27
	s_delay_alu instid0(VALU_DEP_1) | instskip(SKIP_1) | instid1(VALU_DEP_1)
	v_dual_add_f32 v6, v20, v6 :: v_dual_add_f32 v7, v19, v21
	v_mul_f32_e32 v19, v9, v30
	v_fma_f32 v19, v8, v29, -v19
	v_mul_f32_e32 v8, v8, v30
	s_delay_alu instid0(VALU_DEP_1) | instskip(NEXT) | instid1(VALU_DEP_1)
	v_fmac_f32_e32 v8, v9, v29
	v_dual_add_f32 v24, v6, v8 :: v_dual_add_f32 v23, v7, v19
	ds_load_b128 v[6:9], v12 offset:64
	ds_load_2addr_b64 v[19:22], v16 offset1:32
	s_waitcnt lgkmcnt(0)
	v_mul_f32_e32 v25, v20, v7
	v_mul_f32_e32 v7, v19, v7
	s_delay_alu instid0(VALU_DEP_2) | instskip(SKIP_1) | instid1(VALU_DEP_3)
	v_fma_f32 v25, v19, v6, -v25
	v_mul_f32_e32 v19, v22, v9
	v_fmac_f32_e32 v7, v20, v6
	v_mul_f32_e32 v9, v21, v9
	s_delay_alu instid0(VALU_DEP_4) | instskip(NEXT) | instid1(VALU_DEP_4)
	v_add_f32_e32 v6, v23, v25
	v_fma_f32 v19, v21, v8, -v19
	s_delay_alu instid0(VALU_DEP_3) | instskip(NEXT) | instid1(VALU_DEP_2)
	v_fmac_f32_e32 v9, v22, v8
	v_add_f32_e32 v23, v6, v19
	v_add_f32_e32 v7, v24, v7
	s_delay_alu instid0(VALU_DEP_1)
	v_add_f32_e32 v24, v7, v9
	ds_load_b128 v[6:9], v12 offset:80
	ds_load_2addr_b64 v[19:22], v16 offset0:64 offset1:96
	s_waitcnt lgkmcnt(0)
	v_mul_f32_e32 v25, v20, v7
	v_mul_f32_e32 v7, v19, v7
	s_delay_alu instid0(VALU_DEP_2) | instskip(NEXT) | instid1(VALU_DEP_2)
	v_fma_f32 v25, v19, v6, -v25
	v_fmac_f32_e32 v7, v20, v6
	v_mul_f32_e32 v19, v22, v9
	v_mul_f32_e32 v9, v21, v9
	s_delay_alu instid0(VALU_DEP_3) | instskip(NEXT) | instid1(VALU_DEP_3)
	v_add_f32_e32 v7, v24, v7
	v_fma_f32 v19, v21, v8, -v19
	s_delay_alu instid0(VALU_DEP_3) | instskip(NEXT) | instid1(VALU_DEP_1)
	v_fmac_f32_e32 v9, v22, v8
	v_add_f32_e32 v24, v7, v9
	v_add_f32_e32 v6, v23, v25
	s_delay_alu instid0(VALU_DEP_1)
	v_add_f32_e32 v23, v6, v19
	ds_load_b128 v[6:9], v12 offset:96
	ds_load_2addr_b64 v[19:22], v16 offset0:128 offset1:160
	s_waitcnt lgkmcnt(0)
	v_mul_f32_e32 v25, v20, v7
	v_mul_f32_e32 v7, v19, v7
	s_delay_alu instid0(VALU_DEP_2) | instskip(NEXT) | instid1(VALU_DEP_2)
	v_fma_f32 v25, v19, v6, -v25
	v_fmac_f32_e32 v7, v20, v6
	v_mul_f32_e32 v19, v22, v9
	v_mul_f32_e32 v9, v21, v9
	s_delay_alu instid0(VALU_DEP_3) | instskip(NEXT) | instid1(VALU_DEP_3)
	v_dual_add_f32 v6, v23, v25 :: v_dual_add_f32 v7, v24, v7
	v_fma_f32 v19, v21, v8, -v19
	s_delay_alu instid0(VALU_DEP_3) | instskip(NEXT) | instid1(VALU_DEP_1)
	v_fmac_f32_e32 v9, v22, v8
	v_dual_add_f32 v23, v6, v19 :: v_dual_add_f32 v24, v7, v9
	ds_load_b128 v[6:9], v12 offset:112
	ds_load_2addr_b64 v[19:22], v16 offset0:192 offset1:224
	s_waitcnt lgkmcnt(0)
	v_mul_f32_e32 v25, v20, v7
	v_mul_f32_e32 v7, v19, v7
	s_delay_alu instid0(VALU_DEP_2) | instskip(NEXT) | instid1(VALU_DEP_2)
	v_fma_f32 v25, v19, v6, -v25
	v_fmac_f32_e32 v7, v20, v6
	v_mul_f32_e32 v19, v22, v9
	v_mul_f32_e32 v9, v21, v9
	s_delay_alu instid0(VALU_DEP_3) | instskip(NEXT) | instid1(VALU_DEP_3)
	v_dual_add_f32 v6, v23, v25 :: v_dual_add_f32 v7, v24, v7
	v_fma_f32 v19, v21, v8, -v19
	s_delay_alu instid0(VALU_DEP_3) | instskip(NEXT) | instid1(VALU_DEP_1)
	v_fmac_f32_e32 v9, v22, v8
	v_dual_add_f32 v23, v6, v19 :: v_dual_add_f32 v24, v7, v9
	ds_load_b128 v[6:9], v12 offset:128
	ds_load_2addr_b64 v[19:22], v17 offset1:32
	s_waitcnt lgkmcnt(0)
	v_mul_f32_e32 v25, v20, v7
	v_mul_f32_e32 v7, v19, v7
	s_delay_alu instid0(VALU_DEP_2) | instskip(NEXT) | instid1(VALU_DEP_2)
	v_fma_f32 v25, v19, v6, -v25
	v_fmac_f32_e32 v7, v20, v6
	v_mul_f32_e32 v19, v22, v9
	v_mul_f32_e32 v9, v21, v9
	s_delay_alu instid0(VALU_DEP_3) | instskip(NEXT) | instid1(VALU_DEP_3)
	v_dual_add_f32 v6, v23, v25 :: v_dual_add_f32 v7, v24, v7
	v_fma_f32 v19, v21, v8, -v19
	s_delay_alu instid0(VALU_DEP_3) | instskip(NEXT) | instid1(VALU_DEP_1)
	v_fmac_f32_e32 v9, v22, v8
	v_dual_add_f32 v23, v6, v19 :: v_dual_add_f32 v24, v7, v9
	ds_load_b128 v[6:9], v12 offset:144
	ds_load_2addr_b64 v[19:22], v17 offset0:64 offset1:96
	s_waitcnt lgkmcnt(0)
	v_mul_f32_e32 v25, v20, v7
	v_mul_f32_e32 v7, v19, v7
	s_delay_alu instid0(VALU_DEP_2) | instskip(NEXT) | instid1(VALU_DEP_2)
	v_fma_f32 v25, v19, v6, -v25
	v_fmac_f32_e32 v7, v20, v6
	v_mul_f32_e32 v19, v22, v9
	v_mul_f32_e32 v9, v21, v9
	s_delay_alu instid0(VALU_DEP_3) | instskip(NEXT) | instid1(VALU_DEP_3)
	v_dual_add_f32 v6, v23, v25 :: v_dual_add_f32 v7, v24, v7
	v_fma_f32 v19, v21, v8, -v19
	s_delay_alu instid0(VALU_DEP_3) | instskip(NEXT) | instid1(VALU_DEP_1)
	v_fmac_f32_e32 v9, v22, v8
	v_dual_add_f32 v23, v6, v19 :: v_dual_add_f32 v24, v7, v9
	ds_load_b128 v[6:9], v12 offset:160
	ds_load_2addr_b64 v[19:22], v17 offset0:128 offset1:160
	;; [unrolled: 16-line block ×3, first 2 shown]
	s_waitcnt lgkmcnt(0)
	v_mul_f32_e32 v25, v20, v7
	v_mul_f32_e32 v7, v19, v7
	s_delay_alu instid0(VALU_DEP_2) | instskip(NEXT) | instid1(VALU_DEP_2)
	v_fma_f32 v25, v19, v6, -v25
	v_fmac_f32_e32 v7, v20, v6
	v_mul_f32_e32 v19, v22, v9
	v_mul_f32_e32 v9, v21, v9
	s_delay_alu instid0(VALU_DEP_3) | instskip(NEXT) | instid1(VALU_DEP_3)
	v_dual_add_f32 v6, v23, v25 :: v_dual_add_f32 v7, v24, v7
	v_fma_f32 v19, v21, v8, -v19
	s_delay_alu instid0(VALU_DEP_3) | instskip(NEXT) | instid1(VALU_DEP_1)
	v_fmac_f32_e32 v9, v22, v8
	v_dual_add_f32 v23, v6, v19 :: v_dual_add_f32 v24, v7, v9
	ds_load_b128 v[6:9], v12 offset:192
	ds_load_2addr_b64 v[19:22], v18 offset1:32
	s_waitcnt lgkmcnt(0)
	v_mul_f32_e32 v25, v20, v7
	v_mul_f32_e32 v7, v19, v7
	s_delay_alu instid0(VALU_DEP_2) | instskip(NEXT) | instid1(VALU_DEP_2)
	v_fma_f32 v25, v19, v6, -v25
	v_fmac_f32_e32 v7, v20, v6
	v_mul_f32_e32 v19, v22, v9
	v_mul_f32_e32 v9, v21, v9
	s_delay_alu instid0(VALU_DEP_3) | instskip(NEXT) | instid1(VALU_DEP_3)
	v_dual_add_f32 v6, v23, v25 :: v_dual_add_f32 v7, v24, v7
	v_fma_f32 v19, v21, v8, -v19
	s_delay_alu instid0(VALU_DEP_3) | instskip(NEXT) | instid1(VALU_DEP_1)
	v_fmac_f32_e32 v9, v22, v8
	v_dual_add_f32 v23, v6, v19 :: v_dual_add_f32 v24, v7, v9
	ds_load_b128 v[6:9], v12 offset:208
	ds_load_2addr_b64 v[19:22], v18 offset0:64 offset1:96
	s_waitcnt lgkmcnt(0)
	v_mul_f32_e32 v25, v20, v7
	v_mul_f32_e32 v7, v19, v7
	s_delay_alu instid0(VALU_DEP_2) | instskip(NEXT) | instid1(VALU_DEP_2)
	v_fma_f32 v25, v19, v6, -v25
	v_fmac_f32_e32 v7, v20, v6
	v_mul_f32_e32 v19, v22, v9
	v_mul_f32_e32 v9, v21, v9
	s_delay_alu instid0(VALU_DEP_3) | instskip(NEXT) | instid1(VALU_DEP_3)
	v_dual_add_f32 v6, v23, v25 :: v_dual_add_f32 v7, v24, v7
	v_fma_f32 v19, v21, v8, -v19
	s_delay_alu instid0(VALU_DEP_3) | instskip(NEXT) | instid1(VALU_DEP_1)
	v_fmac_f32_e32 v9, v22, v8
	v_dual_add_f32 v23, v6, v19 :: v_dual_add_f32 v24, v7, v9
	ds_load_b128 v[6:9], v12 offset:224
	ds_load_2addr_b64 v[19:22], v18 offset0:128 offset1:160
	;; [unrolled: 16-line block ×3, first 2 shown]
	s_waitcnt lgkmcnt(0)
	v_mul_f32_e32 v25, v20, v7
	v_mul_f32_e32 v7, v19, v7
	s_delay_alu instid0(VALU_DEP_2) | instskip(NEXT) | instid1(VALU_DEP_2)
	v_fma_f32 v25, v19, v6, -v25
	v_fmac_f32_e32 v7, v20, v6
	v_mul_f32_e32 v19, v22, v9
	v_mul_f32_e32 v9, v21, v9
	s_delay_alu instid0(VALU_DEP_3) | instskip(NEXT) | instid1(VALU_DEP_3)
	v_dual_add_f32 v6, v23, v25 :: v_dual_add_f32 v7, v24, v7
	v_fma_f32 v19, v21, v8, -v19
	s_delay_alu instid0(VALU_DEP_3) | instskip(NEXT) | instid1(VALU_DEP_1)
	v_fmac_f32_e32 v9, v22, v8
	v_dual_add_f32 v8, v6, v19 :: v_dual_add_f32 v9, v7, v9
	s_delay_alu instid0(VALU_DEP_1) | instskip(NEXT) | instid1(VALU_DEP_1)
	v_dual_mul_f32 v7, s5, v8 :: v_dual_mul_f32 v6, s5, v9
	v_fmac_f32_e32 v7, s4, v9
	s_delay_alu instid0(VALU_DEP_2)
	v_fma_f32 v6, s4, v8, -v6
	global_load_b64 v[8:9], v[0:1], off
	s_waitcnt vmcnt(0)
	v_dual_add_f32 v6, v8, v6 :: v_dual_add_f32 v7, v9, v7
	global_store_b64 v[0:1], v[6:7], off
	s_branch .LBB1078_4
.LBB1078_11:
	s_endpgm
	.section	.rodata,"a",@progbits
	.p2align	6, 0x0
	.amdhsa_kernel _ZL26rocblas_syr2k_her2k_kernelIlLb0ELb0ELb0ELi32E19rocblas_complex_numIfEPKS1_PS1_EvbiT_T4_T5_S5_lS7_S5_lT6_S5_li
		.amdhsa_group_segment_fixed_size 16384
		.amdhsa_private_segment_fixed_size 0
		.amdhsa_kernarg_size 100
		.amdhsa_user_sgpr_count 13
		.amdhsa_user_sgpr_dispatch_ptr 0
		.amdhsa_user_sgpr_queue_ptr 0
		.amdhsa_user_sgpr_kernarg_segment_ptr 1
		.amdhsa_user_sgpr_dispatch_id 0
		.amdhsa_user_sgpr_private_segment_size 0
		.amdhsa_wavefront_size32 1
		.amdhsa_uses_dynamic_stack 0
		.amdhsa_enable_private_segment 0
		.amdhsa_system_sgpr_workgroup_id_x 1
		.amdhsa_system_sgpr_workgroup_id_y 1
		.amdhsa_system_sgpr_workgroup_id_z 1
		.amdhsa_system_sgpr_workgroup_info 0
		.amdhsa_system_vgpr_workitem_id 1
		.amdhsa_next_free_vgpr 36
		.amdhsa_next_free_sgpr 32
		.amdhsa_reserve_vcc 1
		.amdhsa_float_round_mode_32 0
		.amdhsa_float_round_mode_16_64 0
		.amdhsa_float_denorm_mode_32 3
		.amdhsa_float_denorm_mode_16_64 3
		.amdhsa_dx10_clamp 1
		.amdhsa_ieee_mode 1
		.amdhsa_fp16_overflow 0
		.amdhsa_workgroup_processor_mode 1
		.amdhsa_memory_ordered 1
		.amdhsa_forward_progress 0
		.amdhsa_shared_vgpr_count 0
		.amdhsa_exception_fp_ieee_invalid_op 0
		.amdhsa_exception_fp_denorm_src 0
		.amdhsa_exception_fp_ieee_div_zero 0
		.amdhsa_exception_fp_ieee_overflow 0
		.amdhsa_exception_fp_ieee_underflow 0
		.amdhsa_exception_fp_ieee_inexact 0
		.amdhsa_exception_int_div_zero 0
	.end_amdhsa_kernel
	.section	.text._ZL26rocblas_syr2k_her2k_kernelIlLb0ELb0ELb0ELi32E19rocblas_complex_numIfEPKS1_PS1_EvbiT_T4_T5_S5_lS7_S5_lT6_S5_li,"axG",@progbits,_ZL26rocblas_syr2k_her2k_kernelIlLb0ELb0ELb0ELi32E19rocblas_complex_numIfEPKS1_PS1_EvbiT_T4_T5_S5_lS7_S5_lT6_S5_li,comdat
.Lfunc_end1078:
	.size	_ZL26rocblas_syr2k_her2k_kernelIlLb0ELb0ELb0ELi32E19rocblas_complex_numIfEPKS1_PS1_EvbiT_T4_T5_S5_lS7_S5_lT6_S5_li, .Lfunc_end1078-_ZL26rocblas_syr2k_her2k_kernelIlLb0ELb0ELb0ELi32E19rocblas_complex_numIfEPKS1_PS1_EvbiT_T4_T5_S5_lS7_S5_lT6_S5_li
                                        ; -- End function
	.section	.AMDGPU.csdata,"",@progbits
; Kernel info:
; codeLenInByte = 2396
; NumSgprs: 34
; NumVgprs: 36
; ScratchSize: 0
; MemoryBound: 0
; FloatMode: 240
; IeeeMode: 1
; LDSByteSize: 16384 bytes/workgroup (compile time only)
; SGPRBlocks: 4
; VGPRBlocks: 4
; NumSGPRsForWavesPerEU: 34
; NumVGPRsForWavesPerEU: 36
; Occupancy: 16
; WaveLimiterHint : 0
; COMPUTE_PGM_RSRC2:SCRATCH_EN: 0
; COMPUTE_PGM_RSRC2:USER_SGPR: 13
; COMPUTE_PGM_RSRC2:TRAP_HANDLER: 0
; COMPUTE_PGM_RSRC2:TGID_X_EN: 1
; COMPUTE_PGM_RSRC2:TGID_Y_EN: 1
; COMPUTE_PGM_RSRC2:TGID_Z_EN: 1
; COMPUTE_PGM_RSRC2:TIDIG_COMP_CNT: 1
	.section	.text._ZL26rocblas_syr2k_her2k_kernelIlLb0ELb0ELb1ELi32E19rocblas_complex_numIfEPKS1_PS1_EvbiT_T4_T5_S5_lS7_S5_lT6_S5_li,"axG",@progbits,_ZL26rocblas_syr2k_her2k_kernelIlLb0ELb0ELb1ELi32E19rocblas_complex_numIfEPKS1_PS1_EvbiT_T4_T5_S5_lS7_S5_lT6_S5_li,comdat
	.globl	_ZL26rocblas_syr2k_her2k_kernelIlLb0ELb0ELb1ELi32E19rocblas_complex_numIfEPKS1_PS1_EvbiT_T4_T5_S5_lS7_S5_lT6_S5_li ; -- Begin function _ZL26rocblas_syr2k_her2k_kernelIlLb0ELb0ELb1ELi32E19rocblas_complex_numIfEPKS1_PS1_EvbiT_T4_T5_S5_lS7_S5_lT6_S5_li
	.p2align	8
	.type	_ZL26rocblas_syr2k_her2k_kernelIlLb0ELb0ELb1ELi32E19rocblas_complex_numIfEPKS1_PS1_EvbiT_T4_T5_S5_lS7_S5_lT6_S5_li,@function
_ZL26rocblas_syr2k_her2k_kernelIlLb0ELb0ELb1ELi32E19rocblas_complex_numIfEPKS1_PS1_EvbiT_T4_T5_S5_lS7_S5_lT6_S5_li: ; @_ZL26rocblas_syr2k_her2k_kernelIlLb0ELb0ELb1ELi32E19rocblas_complex_numIfEPKS1_PS1_EvbiT_T4_T5_S5_lS7_S5_lT6_S5_li
; %bb.0:
	s_load_b64 s[4:5], s[0:1], 0x10
	s_waitcnt lgkmcnt(0)
	v_cmp_eq_f32_e64 s2, s4, 0
	v_cmp_eq_f32_e64 s3, s5, 0
	s_delay_alu instid0(VALU_DEP_1) | instskip(NEXT) | instid1(SALU_CYCLE_1)
	s_and_b32 s2, s2, s3
	s_and_b32 vcc_lo, exec_lo, s2
	s_cbranch_vccnz .LBB1079_11
; %bb.1:
	s_load_b64 s[2:3], s[0:1], 0x0
	s_lshl_b32 s8, s14, 5
	s_lshl_b32 s9, s13, 5
	s_waitcnt lgkmcnt(0)
	s_and_b32 s2, 1, s2
	s_delay_alu instid0(SALU_CYCLE_1) | instskip(SKIP_1) | instid1(SALU_CYCLE_1)
	s_cmp_eq_u32 s2, 1
	s_cselect_b32 s2, -1, 0
	s_and_b32 s6, s2, exec_lo
	s_cselect_b32 s6, s9, s8
	s_cselect_b32 s7, s8, s9
	s_delay_alu instid0(SALU_CYCLE_1)
	s_cmp_gt_i32 s6, s7
	s_cbranch_scc1 .LBB1079_11
; %bb.2:
	s_load_b64 s[6:7], s[0:1], 0x8
	s_waitcnt lgkmcnt(0)
	v_cmp_lt_i64_e64 s10, s[6:7], 1
	s_delay_alu instid0(VALU_DEP_1)
	s_and_b32 vcc_lo, exec_lo, s10
	s_cbranch_vccnz .LBB1079_11
; %bb.3:
	s_clause 0x1
	s_load_b64 s[10:11], s[0:1], 0x58
	s_load_b512 s[16:31], s[0:1], 0x18
	v_bfe_u32 v10, v0, 10, 10
	v_mov_b32_e32 v1, 0
	v_and_b32_e32 v11, 0x3ff, v0
	s_delay_alu instid0(VALU_DEP_2) | instskip(NEXT) | instid1(VALU_DEP_2)
	v_dual_mov_b32 v3, v1 :: v_dual_add_nc_u32 v2, s8, v10
	v_add_nc_u32_e32 v0, s9, v11
	s_mov_b32 s8, s3
	s_delay_alu instid0(VALU_DEP_2) | instskip(NEXT) | instid1(VALU_DEP_2)
	v_ashrrev_i32_e32 v4, 31, v2
	v_cndmask_b32_e64 v8, v0, v2, s2
	v_cndmask_b32_e64 v9, v2, v0, s2
	v_max_i32_e32 v19, v0, v2
	s_waitcnt lgkmcnt(0)
	s_mul_i32 s1, s15, s11
	v_mul_lo_u32 v16, v4, s30
	v_mul_lo_u32 v17, v2, s31
	v_mad_u64_u32 v[4:5], null, v2, s30, 0
	s_mul_hi_u32 s2, s15, s10
	v_mad_u64_u32 v[6:7], null, s24, v2, 0
	s_mul_i32 s0, s15, s10
	s_add_i32 s1, s2, s1
	v_lshlrev_b32_e32 v18, 3, v10
	s_delay_alu instid0(VALU_DEP_3)
	v_add3_u32 v5, v5, v17, v16
	s_lshl_b64 s[0:1], s[0:1], 3
	v_cmp_le_i32_e64 s2, v9, v8
	s_add_u32 s10, s28, s0
	s_addc_u32 s11, s29, s1
	s_ashr_i32 s9, s3, 31
	v_lshlrev_b64 v[4:5], 3, v[4:5]
	v_cmp_gt_i64_e64 s1, s[8:9], v[2:3]
	v_mov_b32_e32 v3, v7
	v_mad_u64_u32 v[8:9], null, s18, v0, 0
	v_lshlrev_b32_e32 v12, 8, v11
	v_cmp_gt_i64_e64 s0, s[8:9], v[0:1]
	s_delay_alu instid0(VALU_DEP_4) | instskip(SKIP_4) | instid1(VALU_DEP_1)
	v_mad_u64_u32 v[16:17], null, s25, v2, v[3:4]
	v_ashrrev_i32_e32 v1, 31, v0
	v_cmp_gt_i32_e32 vcc_lo, s3, v19
	v_mov_b32_e32 v3, v9
	v_add_co_u32 v17, s3, s10, v4
	v_add_co_ci_u32_e64 v19, s3, s11, v5, s3
	v_mov_b32_e32 v7, v16
	s_delay_alu instid0(VALU_DEP_4)
	v_mad_u64_u32 v[4:5], null, s19, v0, v[3:4]
	v_lshlrev_b64 v[1:2], 3, v[0:1]
	s_mul_i32 s3, s27, s15
	s_mul_hi_u32 s8, s26, s15
	v_lshlrev_b64 v[5:6], 3, v[6:7]
	s_add_i32 s9, s8, s3
	s_mul_i32 s8, s26, s15
	v_add_co_u32 v0, s3, v17, v1
	v_or_b32_e32 v13, 0x2000, v18
	s_lshl_b64 s[8:9], s[8:9], 3
	v_mov_b32_e32 v9, v4
	v_add_co_ci_u32_e64 v1, s3, v19, v2, s3
	s_delay_alu instid0(VALU_DEP_3) | instskip(SKIP_1) | instid1(VALU_DEP_1)
	v_add_nc_u32_e32 v16, 0x800, v13
	v_add_co_u32 v4, s3, s8, v5
	v_add_co_ci_u32_e64 v5, s3, s9, v6, s3
	s_mul_i32 s3, s21, s15
	s_mul_hi_u32 s8, s20, s15
	v_lshlrev_b64 v[2:3], 3, v[8:9]
	s_add_i32 s9, s8, s3
	s_mul_i32 s8, s20, s15
	v_lshlrev_b32_e32 v6, 3, v11
	s_lshl_b64 s[8:9], s[8:9], 3
	v_add_nc_u32_e32 v14, v12, v18
	v_add_co_u32 v2, s3, s8, v2
	s_delay_alu instid0(VALU_DEP_1) | instskip(SKIP_1) | instid1(VALU_DEP_1)
	v_add_co_ci_u32_e64 v3, s3, s9, v3, s3
	v_add_co_u32 v4, s3, v4, v6
	v_add_co_ci_u32_e64 v5, s3, 0, v5, s3
	s_delay_alu instid0(VALU_DEP_4) | instskip(NEXT) | instid1(VALU_DEP_1)
	v_add_co_u32 v2, s3, v2, v18
	v_add_co_ci_u32_e64 v3, s3, 0, v3, s3
	s_delay_alu instid0(VALU_DEP_4) | instskip(NEXT) | instid1(VALU_DEP_1)
	v_add_co_u32 v4, s3, v4, s22
	v_add_co_ci_u32_e64 v5, s3, s23, v5, s3
	s_delay_alu instid0(VALU_DEP_4) | instskip(NEXT) | instid1(VALU_DEP_1)
	v_add_co_u32 v6, s3, v2, s16
	v_add_co_ci_u32_e64 v7, s3, s17, v3, s3
	s_delay_alu instid0(VALU_DEP_4) | instskip(NEXT) | instid1(VALU_DEP_1)
	v_add_co_u32 v2, s3, v4, 4
	v_add_co_ci_u32_e64 v3, s3, 0, v5, s3
	s_delay_alu instid0(VALU_DEP_4)
	v_add_co_u32 v4, s3, v6, 4
	v_add_nc_u32_e32 v15, v13, v12
	v_add_co_ci_u32_e64 v5, s3, 0, v7, s3
	v_add_nc_u32_e32 v17, 0x1000, v13
	v_add_nc_u32_e32 v18, 0x1800, v13
	s_and_b32 s8, s2, vcc_lo
	s_mov_b64 s[2:3], 0
	s_branch .LBB1079_5
.LBB1079_4:                             ;   in Loop: Header=BB1079_5 Depth=1
	s_or_b32 exec_lo, exec_lo, s9
	s_add_u32 s2, s2, 32
	s_addc_u32 s3, s3, 0
	v_add_co_u32 v2, vcc_lo, 0x100, v2
	v_cmp_lt_i64_e64 s9, s[2:3], s[6:7]
	v_add_co_ci_u32_e32 v3, vcc_lo, 0, v3, vcc_lo
	v_add_co_u32 v4, vcc_lo, 0x100, v4
	v_add_co_ci_u32_e32 v5, vcc_lo, 0, v5, vcc_lo
	s_delay_alu instid0(VALU_DEP_4)
	s_and_b32 vcc_lo, exec_lo, s9
	s_waitcnt_vscnt null, 0x0
	s_barrier
	buffer_gl0_inv
	s_cbranch_vccz .LBB1079_11
.LBB1079_5:                             ; =>This Inner Loop Header: Depth=1
	v_add_co_u32 v6, s9, v10, s2
	s_delay_alu instid0(VALU_DEP_1) | instskip(NEXT) | instid1(VALU_DEP_1)
	v_add_co_ci_u32_e64 v7, null, 0, s3, s9
	v_cmp_gt_i64_e32 vcc_lo, s[6:7], v[6:7]
	v_dual_mov_b32 v6, 0 :: v_dual_mov_b32 v7, 0
	s_and_b32 s10, s0, vcc_lo
	s_delay_alu instid0(SALU_CYCLE_1)
	s_and_saveexec_b32 s9, s10
	s_cbranch_execz .LBB1079_7
; %bb.6:                                ;   in Loop: Header=BB1079_5 Depth=1
	global_load_b64 v[6:7], v[4:5], off offset:-4
.LBB1079_7:                             ;   in Loop: Header=BB1079_5 Depth=1
	s_or_b32 exec_lo, exec_lo, s9
	v_add_co_u32 v8, s9, v11, s2
	s_delay_alu instid0(VALU_DEP_1)
	v_add_co_ci_u32_e64 v9, null, 0, s3, s9
	s_waitcnt vmcnt(0)
	ds_store_b64 v14, v[6:7]
	v_cmp_gt_i64_e32 vcc_lo, s[6:7], v[8:9]
	v_dual_mov_b32 v8, 0 :: v_dual_mov_b32 v9, 0
	s_and_b32 s10, s1, vcc_lo
	s_delay_alu instid0(SALU_CYCLE_1)
	s_and_saveexec_b32 s9, s10
	s_cbranch_execz .LBB1079_9
; %bb.8:                                ;   in Loop: Header=BB1079_5 Depth=1
	global_load_b64 v[8:9], v[2:3], off offset:-4
.LBB1079_9:                             ;   in Loop: Header=BB1079_5 Depth=1
	s_or_b32 exec_lo, exec_lo, s9
	s_waitcnt vmcnt(0)
	ds_store_b64 v15, v[8:9]
	s_waitcnt lgkmcnt(0)
	s_barrier
	buffer_gl0_inv
	s_and_saveexec_b32 s9, s8
	s_cbranch_execz .LBB1079_4
; %bb.10:                               ;   in Loop: Header=BB1079_5 Depth=1
	ds_load_b128 v[6:9], v12
	ds_load_b128 v[19:22], v12 offset:16
	ds_load_b128 v[23:26], v12 offset:32
	ds_load_b128 v[27:30], v12 offset:48
	ds_load_2addr_b64 v[31:34], v13 offset1:32
	s_waitcnt lgkmcnt(0)
	v_mul_f32_e32 v35, v32, v7
	v_mul_f32_e32 v7, v31, v7
	s_delay_alu instid0(VALU_DEP_2) | instskip(NEXT) | instid1(VALU_DEP_2)
	v_fma_f32 v35, v31, v6, -v35
	v_fmac_f32_e32 v7, v32, v6
	v_mul_f32_e32 v31, v34, v9
	s_delay_alu instid0(VALU_DEP_3) | instskip(NEXT) | instid1(VALU_DEP_3)
	v_dual_mul_f32 v9, v33, v9 :: v_dual_add_f32 v6, 0, v35
	v_add_f32_e32 v7, 0, v7
	s_delay_alu instid0(VALU_DEP_3) | instskip(NEXT) | instid1(VALU_DEP_3)
	v_fma_f32 v31, v33, v8, -v31
	v_fmac_f32_e32 v9, v34, v8
	s_delay_alu instid0(VALU_DEP_1) | instskip(SKIP_3) | instid1(VALU_DEP_1)
	v_dual_add_f32 v31, v6, v31 :: v_dual_add_f32 v32, v7, v9
	ds_load_2addr_b64 v[6:9], v13 offset0:64 offset1:96
	s_waitcnt lgkmcnt(0)
	v_mul_f32_e32 v33, v7, v20
	v_fma_f32 v33, v6, v19, -v33
	v_mul_f32_e32 v6, v6, v20
	s_delay_alu instid0(VALU_DEP_1) | instskip(NEXT) | instid1(VALU_DEP_1)
	v_dual_fmac_f32 v6, v7, v19 :: v_dual_mul_f32 v19, v9, v22
	v_add_f32_e32 v6, v32, v6
	s_delay_alu instid0(VALU_DEP_2) | instskip(SKIP_1) | instid1(VALU_DEP_1)
	v_fma_f32 v19, v8, v21, -v19
	v_mul_f32_e32 v8, v8, v22
	v_fmac_f32_e32 v8, v9, v21
	s_delay_alu instid0(VALU_DEP_1) | instskip(NEXT) | instid1(VALU_DEP_1)
	v_dual_add_f32 v7, v31, v33 :: v_dual_add_f32 v20, v6, v8
	v_add_f32_e32 v19, v7, v19
	ds_load_2addr_b64 v[6:9], v13 offset0:128 offset1:160
	s_waitcnt lgkmcnt(0)
	v_mul_f32_e32 v21, v7, v24
	s_delay_alu instid0(VALU_DEP_1) | instskip(SKIP_1) | instid1(VALU_DEP_1)
	v_fma_f32 v21, v6, v23, -v21
	v_mul_f32_e32 v6, v6, v24
	v_fmac_f32_e32 v6, v7, v23
	s_delay_alu instid0(VALU_DEP_1) | instskip(SKIP_1) | instid1(VALU_DEP_1)
	v_dual_add_f32 v6, v20, v6 :: v_dual_add_f32 v7, v19, v21
	v_mul_f32_e32 v19, v9, v26
	v_fma_f32 v19, v8, v25, -v19
	v_mul_f32_e32 v8, v8, v26
	s_delay_alu instid0(VALU_DEP_1) | instskip(NEXT) | instid1(VALU_DEP_1)
	v_fmac_f32_e32 v8, v9, v25
	v_dual_add_f32 v20, v6, v8 :: v_dual_add_f32 v19, v7, v19
	ds_load_2addr_b64 v[6:9], v13 offset0:192 offset1:224
	s_waitcnt lgkmcnt(0)
	v_mul_f32_e32 v21, v7, v28
	s_delay_alu instid0(VALU_DEP_1) | instskip(SKIP_1) | instid1(VALU_DEP_1)
	v_fma_f32 v21, v6, v27, -v21
	v_mul_f32_e32 v6, v6, v28
	v_fmac_f32_e32 v6, v7, v27
	s_delay_alu instid0(VALU_DEP_1) | instskip(SKIP_1) | instid1(VALU_DEP_1)
	v_dual_add_f32 v6, v20, v6 :: v_dual_add_f32 v7, v19, v21
	v_mul_f32_e32 v19, v9, v30
	v_fma_f32 v19, v8, v29, -v19
	v_mul_f32_e32 v8, v8, v30
	s_delay_alu instid0(VALU_DEP_1) | instskip(NEXT) | instid1(VALU_DEP_1)
	v_fmac_f32_e32 v8, v9, v29
	v_dual_add_f32 v24, v6, v8 :: v_dual_add_f32 v23, v7, v19
	ds_load_b128 v[6:9], v12 offset:64
	ds_load_2addr_b64 v[19:22], v16 offset1:32
	s_waitcnt lgkmcnt(0)
	v_mul_f32_e32 v25, v20, v7
	v_mul_f32_e32 v7, v19, v7
	s_delay_alu instid0(VALU_DEP_2) | instskip(SKIP_1) | instid1(VALU_DEP_3)
	v_fma_f32 v25, v19, v6, -v25
	v_mul_f32_e32 v19, v22, v9
	v_fmac_f32_e32 v7, v20, v6
	v_mul_f32_e32 v9, v21, v9
	s_delay_alu instid0(VALU_DEP_4) | instskip(NEXT) | instid1(VALU_DEP_4)
	v_add_f32_e32 v6, v23, v25
	v_fma_f32 v19, v21, v8, -v19
	s_delay_alu instid0(VALU_DEP_3) | instskip(NEXT) | instid1(VALU_DEP_2)
	v_fmac_f32_e32 v9, v22, v8
	v_add_f32_e32 v23, v6, v19
	v_add_f32_e32 v7, v24, v7
	s_delay_alu instid0(VALU_DEP_1)
	v_add_f32_e32 v24, v7, v9
	ds_load_b128 v[6:9], v12 offset:80
	ds_load_2addr_b64 v[19:22], v16 offset0:64 offset1:96
	s_waitcnt lgkmcnt(0)
	v_mul_f32_e32 v25, v20, v7
	v_mul_f32_e32 v7, v19, v7
	s_delay_alu instid0(VALU_DEP_2) | instskip(NEXT) | instid1(VALU_DEP_2)
	v_fma_f32 v25, v19, v6, -v25
	v_fmac_f32_e32 v7, v20, v6
	v_mul_f32_e32 v19, v22, v9
	v_mul_f32_e32 v9, v21, v9
	s_delay_alu instid0(VALU_DEP_3) | instskip(NEXT) | instid1(VALU_DEP_3)
	v_add_f32_e32 v7, v24, v7
	v_fma_f32 v19, v21, v8, -v19
	s_delay_alu instid0(VALU_DEP_3) | instskip(NEXT) | instid1(VALU_DEP_1)
	v_fmac_f32_e32 v9, v22, v8
	v_add_f32_e32 v24, v7, v9
	v_add_f32_e32 v6, v23, v25
	s_delay_alu instid0(VALU_DEP_1)
	v_add_f32_e32 v23, v6, v19
	ds_load_b128 v[6:9], v12 offset:96
	ds_load_2addr_b64 v[19:22], v16 offset0:128 offset1:160
	s_waitcnt lgkmcnt(0)
	v_mul_f32_e32 v25, v20, v7
	v_mul_f32_e32 v7, v19, v7
	s_delay_alu instid0(VALU_DEP_2) | instskip(NEXT) | instid1(VALU_DEP_2)
	v_fma_f32 v25, v19, v6, -v25
	v_fmac_f32_e32 v7, v20, v6
	v_mul_f32_e32 v19, v22, v9
	v_mul_f32_e32 v9, v21, v9
	s_delay_alu instid0(VALU_DEP_3) | instskip(NEXT) | instid1(VALU_DEP_3)
	v_dual_add_f32 v6, v23, v25 :: v_dual_add_f32 v7, v24, v7
	v_fma_f32 v19, v21, v8, -v19
	s_delay_alu instid0(VALU_DEP_3) | instskip(NEXT) | instid1(VALU_DEP_1)
	v_fmac_f32_e32 v9, v22, v8
	v_dual_add_f32 v23, v6, v19 :: v_dual_add_f32 v24, v7, v9
	ds_load_b128 v[6:9], v12 offset:112
	ds_load_2addr_b64 v[19:22], v16 offset0:192 offset1:224
	s_waitcnt lgkmcnt(0)
	v_mul_f32_e32 v25, v20, v7
	v_mul_f32_e32 v7, v19, v7
	s_delay_alu instid0(VALU_DEP_2) | instskip(NEXT) | instid1(VALU_DEP_2)
	v_fma_f32 v25, v19, v6, -v25
	v_fmac_f32_e32 v7, v20, v6
	v_mul_f32_e32 v19, v22, v9
	v_mul_f32_e32 v9, v21, v9
	s_delay_alu instid0(VALU_DEP_3) | instskip(NEXT) | instid1(VALU_DEP_3)
	v_dual_add_f32 v6, v23, v25 :: v_dual_add_f32 v7, v24, v7
	v_fma_f32 v19, v21, v8, -v19
	s_delay_alu instid0(VALU_DEP_3) | instskip(NEXT) | instid1(VALU_DEP_1)
	v_fmac_f32_e32 v9, v22, v8
	v_dual_add_f32 v23, v6, v19 :: v_dual_add_f32 v24, v7, v9
	ds_load_b128 v[6:9], v12 offset:128
	ds_load_2addr_b64 v[19:22], v17 offset1:32
	s_waitcnt lgkmcnt(0)
	v_mul_f32_e32 v25, v20, v7
	v_mul_f32_e32 v7, v19, v7
	s_delay_alu instid0(VALU_DEP_2) | instskip(NEXT) | instid1(VALU_DEP_2)
	v_fma_f32 v25, v19, v6, -v25
	v_fmac_f32_e32 v7, v20, v6
	v_mul_f32_e32 v19, v22, v9
	v_mul_f32_e32 v9, v21, v9
	s_delay_alu instid0(VALU_DEP_3) | instskip(NEXT) | instid1(VALU_DEP_3)
	v_dual_add_f32 v6, v23, v25 :: v_dual_add_f32 v7, v24, v7
	v_fma_f32 v19, v21, v8, -v19
	s_delay_alu instid0(VALU_DEP_3) | instskip(NEXT) | instid1(VALU_DEP_1)
	v_fmac_f32_e32 v9, v22, v8
	v_dual_add_f32 v23, v6, v19 :: v_dual_add_f32 v24, v7, v9
	ds_load_b128 v[6:9], v12 offset:144
	ds_load_2addr_b64 v[19:22], v17 offset0:64 offset1:96
	s_waitcnt lgkmcnt(0)
	v_mul_f32_e32 v25, v20, v7
	v_mul_f32_e32 v7, v19, v7
	s_delay_alu instid0(VALU_DEP_2) | instskip(NEXT) | instid1(VALU_DEP_2)
	v_fma_f32 v25, v19, v6, -v25
	v_fmac_f32_e32 v7, v20, v6
	v_mul_f32_e32 v19, v22, v9
	v_mul_f32_e32 v9, v21, v9
	s_delay_alu instid0(VALU_DEP_3) | instskip(NEXT) | instid1(VALU_DEP_3)
	v_dual_add_f32 v6, v23, v25 :: v_dual_add_f32 v7, v24, v7
	v_fma_f32 v19, v21, v8, -v19
	s_delay_alu instid0(VALU_DEP_3) | instskip(NEXT) | instid1(VALU_DEP_1)
	v_fmac_f32_e32 v9, v22, v8
	v_dual_add_f32 v23, v6, v19 :: v_dual_add_f32 v24, v7, v9
	ds_load_b128 v[6:9], v12 offset:160
	ds_load_2addr_b64 v[19:22], v17 offset0:128 offset1:160
	;; [unrolled: 16-line block ×3, first 2 shown]
	s_waitcnt lgkmcnt(0)
	v_mul_f32_e32 v25, v20, v7
	v_mul_f32_e32 v7, v19, v7
	s_delay_alu instid0(VALU_DEP_2) | instskip(NEXT) | instid1(VALU_DEP_2)
	v_fma_f32 v25, v19, v6, -v25
	v_fmac_f32_e32 v7, v20, v6
	v_mul_f32_e32 v19, v22, v9
	v_mul_f32_e32 v9, v21, v9
	s_delay_alu instid0(VALU_DEP_3) | instskip(NEXT) | instid1(VALU_DEP_3)
	v_dual_add_f32 v6, v23, v25 :: v_dual_add_f32 v7, v24, v7
	v_fma_f32 v19, v21, v8, -v19
	s_delay_alu instid0(VALU_DEP_3) | instskip(NEXT) | instid1(VALU_DEP_1)
	v_fmac_f32_e32 v9, v22, v8
	v_dual_add_f32 v23, v6, v19 :: v_dual_add_f32 v24, v7, v9
	ds_load_b128 v[6:9], v12 offset:192
	ds_load_2addr_b64 v[19:22], v18 offset1:32
	s_waitcnt lgkmcnt(0)
	v_mul_f32_e32 v25, v20, v7
	v_mul_f32_e32 v7, v19, v7
	s_delay_alu instid0(VALU_DEP_2) | instskip(NEXT) | instid1(VALU_DEP_2)
	v_fma_f32 v25, v19, v6, -v25
	v_fmac_f32_e32 v7, v20, v6
	v_mul_f32_e32 v19, v22, v9
	v_mul_f32_e32 v9, v21, v9
	s_delay_alu instid0(VALU_DEP_3) | instskip(NEXT) | instid1(VALU_DEP_3)
	v_dual_add_f32 v6, v23, v25 :: v_dual_add_f32 v7, v24, v7
	v_fma_f32 v19, v21, v8, -v19
	s_delay_alu instid0(VALU_DEP_3) | instskip(NEXT) | instid1(VALU_DEP_1)
	v_fmac_f32_e32 v9, v22, v8
	v_dual_add_f32 v23, v6, v19 :: v_dual_add_f32 v24, v7, v9
	ds_load_b128 v[6:9], v12 offset:208
	ds_load_2addr_b64 v[19:22], v18 offset0:64 offset1:96
	s_waitcnt lgkmcnt(0)
	v_mul_f32_e32 v25, v20, v7
	v_mul_f32_e32 v7, v19, v7
	s_delay_alu instid0(VALU_DEP_2) | instskip(NEXT) | instid1(VALU_DEP_2)
	v_fma_f32 v25, v19, v6, -v25
	v_fmac_f32_e32 v7, v20, v6
	v_mul_f32_e32 v19, v22, v9
	v_mul_f32_e32 v9, v21, v9
	s_delay_alu instid0(VALU_DEP_3) | instskip(NEXT) | instid1(VALU_DEP_3)
	v_dual_add_f32 v6, v23, v25 :: v_dual_add_f32 v7, v24, v7
	v_fma_f32 v19, v21, v8, -v19
	s_delay_alu instid0(VALU_DEP_3) | instskip(NEXT) | instid1(VALU_DEP_1)
	v_fmac_f32_e32 v9, v22, v8
	v_dual_add_f32 v23, v6, v19 :: v_dual_add_f32 v24, v7, v9
	ds_load_b128 v[6:9], v12 offset:224
	ds_load_2addr_b64 v[19:22], v18 offset0:128 offset1:160
	;; [unrolled: 16-line block ×3, first 2 shown]
	s_waitcnt lgkmcnt(0)
	v_mul_f32_e32 v25, v20, v7
	v_mul_f32_e32 v7, v19, v7
	s_delay_alu instid0(VALU_DEP_2) | instskip(NEXT) | instid1(VALU_DEP_2)
	v_fma_f32 v25, v19, v6, -v25
	v_fmac_f32_e32 v7, v20, v6
	v_mul_f32_e32 v19, v22, v9
	v_mul_f32_e32 v9, v21, v9
	s_delay_alu instid0(VALU_DEP_3) | instskip(NEXT) | instid1(VALU_DEP_3)
	v_dual_add_f32 v6, v23, v25 :: v_dual_add_f32 v7, v24, v7
	v_fma_f32 v19, v21, v8, -v19
	s_delay_alu instid0(VALU_DEP_3) | instskip(NEXT) | instid1(VALU_DEP_1)
	v_fmac_f32_e32 v9, v22, v8
	v_dual_add_f32 v8, v6, v19 :: v_dual_add_f32 v9, v7, v9
	s_delay_alu instid0(VALU_DEP_1) | instskip(NEXT) | instid1(VALU_DEP_1)
	v_dual_mul_f32 v7, s5, v8 :: v_dual_mul_f32 v6, s5, v9
	v_fmac_f32_e32 v7, s4, v9
	s_delay_alu instid0(VALU_DEP_2)
	v_fma_f32 v6, s4, v8, -v6
	global_load_b64 v[8:9], v[0:1], off
	s_waitcnt vmcnt(0)
	v_dual_add_f32 v6, v8, v6 :: v_dual_add_f32 v7, v9, v7
	global_store_b64 v[0:1], v[6:7], off
	s_branch .LBB1079_4
.LBB1079_11:
	s_endpgm
	.section	.rodata,"a",@progbits
	.p2align	6, 0x0
	.amdhsa_kernel _ZL26rocblas_syr2k_her2k_kernelIlLb0ELb0ELb1ELi32E19rocblas_complex_numIfEPKS1_PS1_EvbiT_T4_T5_S5_lS7_S5_lT6_S5_li
		.amdhsa_group_segment_fixed_size 16384
		.amdhsa_private_segment_fixed_size 0
		.amdhsa_kernarg_size 100
		.amdhsa_user_sgpr_count 13
		.amdhsa_user_sgpr_dispatch_ptr 0
		.amdhsa_user_sgpr_queue_ptr 0
		.amdhsa_user_sgpr_kernarg_segment_ptr 1
		.amdhsa_user_sgpr_dispatch_id 0
		.amdhsa_user_sgpr_private_segment_size 0
		.amdhsa_wavefront_size32 1
		.amdhsa_uses_dynamic_stack 0
		.amdhsa_enable_private_segment 0
		.amdhsa_system_sgpr_workgroup_id_x 1
		.amdhsa_system_sgpr_workgroup_id_y 1
		.amdhsa_system_sgpr_workgroup_id_z 1
		.amdhsa_system_sgpr_workgroup_info 0
		.amdhsa_system_vgpr_workitem_id 1
		.amdhsa_next_free_vgpr 36
		.amdhsa_next_free_sgpr 32
		.amdhsa_reserve_vcc 1
		.amdhsa_float_round_mode_32 0
		.amdhsa_float_round_mode_16_64 0
		.amdhsa_float_denorm_mode_32 3
		.amdhsa_float_denorm_mode_16_64 3
		.amdhsa_dx10_clamp 1
		.amdhsa_ieee_mode 1
		.amdhsa_fp16_overflow 0
		.amdhsa_workgroup_processor_mode 1
		.amdhsa_memory_ordered 1
		.amdhsa_forward_progress 0
		.amdhsa_shared_vgpr_count 0
		.amdhsa_exception_fp_ieee_invalid_op 0
		.amdhsa_exception_fp_denorm_src 0
		.amdhsa_exception_fp_ieee_div_zero 0
		.amdhsa_exception_fp_ieee_overflow 0
		.amdhsa_exception_fp_ieee_underflow 0
		.amdhsa_exception_fp_ieee_inexact 0
		.amdhsa_exception_int_div_zero 0
	.end_amdhsa_kernel
	.section	.text._ZL26rocblas_syr2k_her2k_kernelIlLb0ELb0ELb1ELi32E19rocblas_complex_numIfEPKS1_PS1_EvbiT_T4_T5_S5_lS7_S5_lT6_S5_li,"axG",@progbits,_ZL26rocblas_syr2k_her2k_kernelIlLb0ELb0ELb1ELi32E19rocblas_complex_numIfEPKS1_PS1_EvbiT_T4_T5_S5_lS7_S5_lT6_S5_li,comdat
.Lfunc_end1079:
	.size	_ZL26rocblas_syr2k_her2k_kernelIlLb0ELb0ELb1ELi32E19rocblas_complex_numIfEPKS1_PS1_EvbiT_T4_T5_S5_lS7_S5_lT6_S5_li, .Lfunc_end1079-_ZL26rocblas_syr2k_her2k_kernelIlLb0ELb0ELb1ELi32E19rocblas_complex_numIfEPKS1_PS1_EvbiT_T4_T5_S5_lS7_S5_lT6_S5_li
                                        ; -- End function
	.section	.AMDGPU.csdata,"",@progbits
; Kernel info:
; codeLenInByte = 2440
; NumSgprs: 34
; NumVgprs: 36
; ScratchSize: 0
; MemoryBound: 0
; FloatMode: 240
; IeeeMode: 1
; LDSByteSize: 16384 bytes/workgroup (compile time only)
; SGPRBlocks: 4
; VGPRBlocks: 4
; NumSGPRsForWavesPerEU: 34
; NumVGPRsForWavesPerEU: 36
; Occupancy: 16
; WaveLimiterHint : 0
; COMPUTE_PGM_RSRC2:SCRATCH_EN: 0
; COMPUTE_PGM_RSRC2:USER_SGPR: 13
; COMPUTE_PGM_RSRC2:TRAP_HANDLER: 0
; COMPUTE_PGM_RSRC2:TGID_X_EN: 1
; COMPUTE_PGM_RSRC2:TGID_Y_EN: 1
; COMPUTE_PGM_RSRC2:TGID_Z_EN: 1
; COMPUTE_PGM_RSRC2:TIDIG_COMP_CNT: 1
	.section	.text._ZL37rocblas_syrkx_herkx_restricted_kernelIl19rocblas_complex_numIfELi16ELi32ELi8ELi1ELi1ELb0ELc84ELc76EKS1_S1_EviT_PT9_S3_lS5_S3_lPT10_S3_li,"axG",@progbits,_ZL37rocblas_syrkx_herkx_restricted_kernelIl19rocblas_complex_numIfELi16ELi32ELi8ELi1ELi1ELb0ELc84ELc76EKS1_S1_EviT_PT9_S3_lS5_S3_lPT10_S3_li,comdat
	.globl	_ZL37rocblas_syrkx_herkx_restricted_kernelIl19rocblas_complex_numIfELi16ELi32ELi8ELi1ELi1ELb0ELc84ELc76EKS1_S1_EviT_PT9_S3_lS5_S3_lPT10_S3_li ; -- Begin function _ZL37rocblas_syrkx_herkx_restricted_kernelIl19rocblas_complex_numIfELi16ELi32ELi8ELi1ELi1ELb0ELc84ELc76EKS1_S1_EviT_PT9_S3_lS5_S3_lPT10_S3_li
	.p2align	8
	.type	_ZL37rocblas_syrkx_herkx_restricted_kernelIl19rocblas_complex_numIfELi16ELi32ELi8ELi1ELi1ELb0ELc84ELc76EKS1_S1_EviT_PT9_S3_lS5_S3_lPT10_S3_li,@function
_ZL37rocblas_syrkx_herkx_restricted_kernelIl19rocblas_complex_numIfELi16ELi32ELi8ELi1ELi1ELb0ELc84ELc76EKS1_S1_EviT_PT9_S3_lS5_S3_lPT10_S3_li: ; @_ZL37rocblas_syrkx_herkx_restricted_kernelIl19rocblas_complex_numIfELi16ELi32ELi8ELi1ELi1ELb0ELc84ELc76EKS1_S1_EviT_PT9_S3_lS5_S3_lPT10_S3_li
; %bb.0:
	s_load_b512 s[16:31], s[0:1], 0x8
	v_dual_mov_b32 v15, 0 :: v_dual_mov_b32 v16, 0
	v_dual_mov_b32 v13, 0 :: v_dual_mov_b32 v12, 0
	;; [unrolled: 1-line block ×4, first 2 shown]
	v_and_b32_e32 v6, 0x3ff, v0
	v_bfe_u32 v7, v0, 10, 10
	s_lshl_b32 s8, s13, 5
	s_lshl_b32 s9, s14, 5
	s_waitcnt lgkmcnt(0)
	v_cmp_lt_i64_e64 s2, s[16:17], 1
	s_delay_alu instid0(VALU_DEP_1)
	s_and_b32 vcc_lo, exec_lo, s2
	s_cbranch_vccnz .LBB1080_3
; %bb.1:
	v_lshl_add_u32 v2, v7, 4, v6
	v_dual_mov_b32 v1, 0 :: v_dual_and_b32 v0, 7, v6
	s_mul_i32 s3, s23, s15
	s_mul_hi_u32 s4, s22, s15
	s_delay_alu instid0(VALU_DEP_2)
	v_and_b32_e32 v10, 31, v2
	v_lshrrev_b32_e32 v12, 3, v2
	v_mov_b32_e32 v3, v1
	v_lshrrev_b32_e32 v2, 5, v2
	v_lshlrev_b32_e32 v14, 3, v0
	v_add_nc_u32_e32 v8, s8, v10
	v_add_nc_u32_e32 v13, s9, v12
	s_mul_i32 s2, s22, s15
	s_add_i32 s3, s4, s3
	s_mul_hi_u32 s5, s28, s15
	v_ashrrev_i32_e32 v9, 31, v8
	v_mad_u64_u32 v[4:5], null, s20, v8, v[2:3]
	v_mul_lo_u32 v3, s21, v8
	s_lshl_b64 s[2:3], s[2:3], 3
	s_delay_alu instid0(VALU_DEP_3)
	v_mul_lo_u32 v16, s20, v9
	v_mad_u64_u32 v[8:9], null, v13, s26, v[0:1]
	v_lshlrev_b32_e32 v0, 3, v10
	v_lshl_or_b32 v10, v12, 6, v14
	s_add_u32 s4, s18, s2
	s_mul_i32 s2, s29, s15
	s_addc_u32 s6, s19, s3
	s_delay_alu instid0(VALU_DEP_4)
	v_add3_u32 v5, v3, v5, v16
	v_add_nc_u32_e32 v14, 0x800, v10
	v_mov_b32_e32 v10, v1
	v_ashrrev_i32_e32 v15, 31, v13
	v_mul_lo_u32 v17, v13, s27
	s_add_i32 s3, s5, s2
	s_mul_i32 s2, s28, s15
	v_lshlrev_b32_e32 v11, 3, v6
	v_mul_lo_u32 v13, v15, s26
	v_mov_b32_e32 v15, v1
	v_lshl_or_b32 v0, v2, 8, v0
	v_lshlrev_b64 v[2:3], 3, v[4:5]
	s_lshl_b64 s[2:3], s[2:3], 3
	v_mov_b32_e32 v12, v1
	s_add_u32 s2, s24, s2
	s_addc_u32 s3, s25, s3
	v_add3_u32 v9, v13, v9, v17
	v_add_co_u32 v2, vcc_lo, s4, v2
	v_add_co_ci_u32_e32 v3, vcc_lo, s6, v3, vcc_lo
	s_delay_alu instid0(VALU_DEP_3)
	v_lshlrev_b64 v[4:5], 3, v[8:9]
	v_mov_b32_e32 v8, v1
	v_lshl_add_u32 v17, v7, 6, 0x800
	v_mov_b32_e32 v9, v1
	v_mov_b32_e32 v13, v1
	;; [unrolled: 1-line block ×3, first 2 shown]
	v_add_co_u32 v4, vcc_lo, s2, v4
	v_add_co_ci_u32_e32 v5, vcc_lo, s3, v5, vcc_lo
	v_add_co_u32 v2, vcc_lo, v2, 4
	v_add_co_ci_u32_e32 v3, vcc_lo, 0, v3, vcc_lo
	s_delay_alu instid0(VALU_DEP_4) | instskip(NEXT) | instid1(VALU_DEP_4)
	v_add_co_u32 v4, vcc_lo, v4, 4
	v_add_co_ci_u32_e32 v5, vcc_lo, 0, v5, vcc_lo
	s_mov_b64 s[2:3], 0
.LBB1080_2:                             ; =>This Inner Loop Header: Depth=1
	global_load_b64 v[18:19], v[2:3], off offset:-4
	global_load_b64 v[20:21], v[4:5], off offset:-4
	s_add_u32 s2, s2, 8
	v_add_co_u32 v2, vcc_lo, v2, 64
	s_addc_u32 s3, s3, 0
	v_add_co_ci_u32_e32 v3, vcc_lo, 0, v3, vcc_lo
	v_cmp_ge_u64_e64 s4, s[2:3], s[16:17]
	v_add_co_u32 v4, vcc_lo, v4, 64
	v_add_co_ci_u32_e32 v5, vcc_lo, 0, v5, vcc_lo
	s_waitcnt vmcnt(1)
	ds_store_b64 v0, v[18:19]
	s_waitcnt vmcnt(0)
	ds_store_b64 v14, v[20:21]
	s_waitcnt lgkmcnt(0)
	s_barrier
	buffer_gl0_inv
	ds_load_2addr_b64 v[18:21], v11 offset1:16
	ds_load_b128 v[22:25], v17
	ds_load_b128 v[26:29], v17 offset:1024
	ds_load_b128 v[30:33], v17 offset:16
	;; [unrolled: 1-line block ×4, first 2 shown]
	ds_load_2addr_b64 v[42:45], v11 offset0:32 offset1:48
	ds_load_2addr_b64 v[46:49], v11 offset0:64 offset1:80
	ds_load_b128 v[50:53], v17 offset:1040
	ds_load_2addr_b64 v[54:57], v11 offset0:96 offset1:112
	ds_load_2addr_b64 v[58:61], v11 offset0:128 offset1:144
	;; [unrolled: 1-line block ×4, first 2 shown]
	ds_load_b128 v[70:73], v17 offset:1056
	ds_load_b128 v[74:77], v17 offset:1072
	ds_load_2addr_b64 v[78:81], v11 offset0:224 offset1:240
	s_and_b32 vcc_lo, exec_lo, s4
	s_waitcnt lgkmcnt(0)
	s_barrier
	buffer_gl0_inv
	v_dual_mul_f32 v82, v23, v19 :: v_dual_mul_f32 v85, v22, v21
	v_dual_mul_f32 v83, v22, v19 :: v_dual_mul_f32 v84, v23, v21
	v_mul_f32_e32 v86, v27, v19
	v_dual_mul_f32 v19, v26, v19 :: v_dual_mul_f32 v90, v25, v45
	v_dual_mul_f32 v87, v27, v21 :: v_dual_mul_f32 v88, v25, v43
	v_mul_f32_e32 v21, v26, v21
	v_fma_f32 v82, v22, v18, -v82
	v_fmac_f32_e32 v83, v23, v18
	v_fma_f32 v22, v22, v20, -v84
	v_fmac_f32_e32 v85, v23, v20
	v_fma_f32 v23, v26, v18, -v86
	v_dual_fmac_f32 v19, v27, v18 :: v_dual_mul_f32 v86, v30, v47
	v_fma_f32 v18, v26, v20, -v87
	v_dual_fmac_f32 v21, v27, v20 :: v_dual_mul_f32 v20, v24, v45
	v_mul_f32_e32 v89, v24, v43
	v_mul_f32_e32 v26, v29, v43
	;; [unrolled: 1-line block ×4, first 2 shown]
	v_fmac_f32_e32 v20, v25, v44
	v_fmac_f32_e32 v89, v25, v42
	v_dual_mul_f32 v25, v28, v45 :: v_dual_fmac_f32 v86, v31, v46
	v_fma_f32 v84, v24, v42, -v88
	v_fma_f32 v24, v24, v44, -v90
	v_dual_mul_f32 v45, v31, v47 :: v_dual_mul_f32 v90, v33, v57
	v_fma_f32 v26, v28, v42, -v26
	v_fma_f32 v28, v28, v44, -v43
	v_fmac_f32_e32 v25, v29, v44
	v_dual_mul_f32 v43, v50, v47 :: v_dual_mul_f32 v44, v51, v49
	v_dual_fmac_f32 v27, v29, v42 :: v_dual_mul_f32 v42, v51, v47
	v_dual_mul_f32 v88, v32, v55 :: v_dual_mul_f32 v29, v30, v49
	v_mul_f32_e32 v87, v31, v49
	v_fma_f32 v45, v30, v46, -v45
	v_add_f32_e32 v16, v16, v83
	s_delay_alu instid0(VALU_DEP_4)
	v_dual_fmac_f32 v88, v33, v54 :: v_dual_fmac_f32 v29, v31, v48
	v_fma_f32 v31, v50, v46, -v42
	v_fma_f32 v42, v50, v48, -v44
	v_mul_f32_e32 v44, v32, v57
	v_mul_f32_e32 v47, v50, v49
	v_dual_mul_f32 v50, v53, v57 :: v_dual_fmac_f32 v43, v51, v46
	v_mul_f32_e32 v46, v53, v55
	v_mul_f32_e32 v49, v33, v55
	v_fma_f32 v30, v30, v48, -v87
	v_fmac_f32_e32 v44, v33, v56
	v_dual_fmac_f32 v47, v51, v48 :: v_dual_mul_f32 v48, v52, v55
	v_mul_f32_e32 v33, v52, v57
	v_fma_f32 v46, v52, v54, -v46
	v_fma_f32 v50, v52, v56, -v50
	v_mul_f32_e32 v52, v34, v61
	v_fma_f32 v49, v32, v54, -v49
	v_fma_f32 v32, v32, v56, -v90
	v_dual_mul_f32 v51, v35, v59 :: v_dual_fmac_f32 v48, v53, v54
	v_mul_f32_e32 v54, v70, v59
	v_dual_mul_f32 v55, v34, v59 :: v_dual_fmac_f32 v52, v35, v60
	v_fmac_f32_e32 v33, v53, v56
	v_mul_f32_e32 v53, v71, v59
	v_mul_f32_e32 v56, v71, v61
	;; [unrolled: 1-line block ×3, first 2 shown]
	v_fmac_f32_e32 v54, v71, v58
	v_fmac_f32_e32 v55, v35, v58
	v_fma_f32 v35, v70, v58, -v53
	v_fma_f32 v53, v70, v60, -v56
	v_mul_f32_e32 v56, v36, v65
	v_mul_f32_e32 v59, v70, v61
	v_fma_f32 v51, v34, v58, -v51
	v_mul_f32_e32 v58, v72, v63
	v_mul_f32_e32 v87, v36, v63
	;; [unrolled: 1-line block ×4, first 2 shown]
	v_fma_f32 v34, v34, v60, -v57
	v_mul_f32_e32 v57, v73, v63
	v_fmac_f32_e32 v56, v37, v64
	v_dual_fmac_f32 v59, v71, v60 :: v_dual_mul_f32 v60, v73, v65
	v_mul_f32_e32 v63, v39, v67
	v_mul_f32_e32 v70, v39, v69
	v_fmac_f32_e32 v58, v73, v62
	v_fmac_f32_e32 v87, v37, v62
	v_mul_f32_e32 v37, v72, v65
	v_fma_f32 v61, v36, v62, -v61
	v_fma_f32 v36, v36, v64, -v90
	v_mul_f32_e32 v65, v38, v67
	v_fma_f32 v57, v72, v62, -v57
	v_fma_f32 v60, v72, v64, -v60
	v_dual_fmac_f32 v37, v73, v64 :: v_dual_mul_f32 v62, v38, v69
	v_mul_f32_e32 v64, v75, v67
	v_fma_f32 v63, v38, v66, -v63
	v_fma_f32 v38, v38, v68, -v70
	v_mul_f32_e32 v70, v76, v79
	v_mul_f32_e32 v67, v74, v67
	v_dual_add_f32 v10, v10, v19 :: v_dual_add_f32 v15, v15, v82
	s_delay_alu instid0(VALU_DEP_3) | instskip(NEXT) | instid1(VALU_DEP_2)
	v_dual_mul_f32 v71, v75, v69 :: v_dual_fmac_f32 v70, v77, v78
	v_dual_fmac_f32 v67, v75, v66 :: v_dual_add_f32 v10, v10, v27
	v_dual_mul_f32 v69, v74, v69 :: v_dual_add_f32 v8, v8, v18
	v_dual_fmac_f32 v65, v39, v66 :: v_dual_add_f32 v12, v12, v85
	v_fmac_f32_e32 v62, v39, v68
	v_fma_f32 v39, v74, v66, -v64
	v_mul_f32_e32 v66, v40, v81
	v_dual_add_f32 v1, v1, v21 :: v_dual_add_f32 v10, v10, v43
	v_mul_f32_e32 v73, v40, v79
	v_mul_f32_e32 v72, v41, v79
	;; [unrolled: 1-line block ×3, first 2 shown]
	v_fma_f32 v64, v74, v68, -v71
	v_add_f32_e32 v10, v10, v48
	v_dual_fmac_f32 v69, v75, v68 :: v_dual_add_f32 v16, v16, v89
	v_dual_mul_f32 v71, v77, v81 :: v_dual_add_f32 v12, v12, v20
	v_dual_fmac_f32 v73, v41, v78 :: v_dual_add_f32 v8, v8, v28
	v_dual_fmac_f32 v66, v41, v80 :: v_dual_mul_f32 v41, v76, v81
	v_add_f32_e32 v10, v10, v54
	s_delay_alu instid0(VALU_DEP_4) | instskip(NEXT) | instid1(VALU_DEP_4)
	v_dual_add_f32 v13, v13, v22 :: v_dual_add_f32 v12, v12, v29
	v_dual_add_f32 v9, v9, v23 :: v_dual_add_f32 v8, v8, v42
	s_delay_alu instid0(VALU_DEP_4) | instskip(SKIP_1) | instid1(VALU_DEP_3)
	v_dual_fmac_f32 v41, v77, v80 :: v_dual_add_f32 v16, v16, v86
	v_add_f32_e32 v15, v15, v84
	v_add_f32_e32 v9, v9, v26
	v_dual_add_f32 v1, v1, v25 :: v_dual_add_f32 v12, v12, v44
	s_delay_alu instid0(VALU_DEP_4) | instskip(SKIP_1) | instid1(VALU_DEP_3)
	v_add_f32_e32 v16, v16, v88
	v_dual_add_f32 v13, v13, v24 :: v_dual_add_f32 v8, v8, v50
	v_dual_add_f32 v15, v15, v45 :: v_dual_add_f32 v12, v12, v52
	v_add_f32_e32 v9, v9, v31
	v_dual_add_f32 v1, v1, v47 :: v_dual_add_f32 v10, v10, v58
	s_delay_alu instid0(VALU_DEP_4) | instskip(SKIP_2) | instid1(VALU_DEP_3)
	v_dual_add_f32 v16, v16, v55 :: v_dual_add_f32 v13, v13, v30
	v_add_f32_e32 v8, v8, v53
	v_dual_add_f32 v15, v15, v49 :: v_dual_add_f32 v12, v12, v56
	v_dual_add_f32 v16, v16, v87 :: v_dual_add_f32 v13, v13, v32
	s_delay_alu instid0(VALU_DEP_3) | instskip(NEXT) | instid1(VALU_DEP_3)
	v_dual_add_f32 v9, v9, v46 :: v_dual_add_f32 v8, v8, v60
	v_dual_add_f32 v1, v1, v33 :: v_dual_add_f32 v12, v12, v62
	s_delay_alu instid0(VALU_DEP_3) | instskip(NEXT) | instid1(VALU_DEP_3)
	v_dual_add_f32 v15, v15, v51 :: v_dual_add_f32 v16, v16, v65
	v_dual_add_f32 v8, v8, v64 :: v_dual_add_f32 v13, v13, v34
	v_add_f32_e32 v10, v10, v67
	s_delay_alu instid0(VALU_DEP_3)
	v_dual_add_f32 v9, v9, v35 :: v_dual_add_f32 v16, v16, v73
	v_dual_add_f32 v1, v1, v59 :: v_dual_add_f32 v12, v12, v66
	v_mul_f32_e32 v68, v77, v79
	v_fma_f32 v71, v76, v80, -v71
	v_dual_add_f32 v15, v15, v61 :: v_dual_add_f32 v10, v10, v70
	v_add_f32_e32 v13, v13, v36
	s_delay_alu instid0(VALU_DEP_3)
	v_dual_add_f32 v9, v9, v57 :: v_dual_add_f32 v8, v8, v71
	v_add_f32_e32 v1, v1, v37
	v_fma_f32 v72, v40, v78, -v72
	v_fma_f32 v40, v40, v80, -v90
	;; [unrolled: 1-line block ×3, first 2 shown]
	v_add_f32_e32 v15, v15, v63
	v_add_f32_e32 v13, v13, v38
	;; [unrolled: 1-line block ×4, first 2 shown]
	s_delay_alu instid0(VALU_DEP_4) | instskip(NEXT) | instid1(VALU_DEP_4)
	v_add_f32_e32 v15, v15, v72
	v_add_f32_e32 v13, v13, v40
	s_delay_alu instid0(VALU_DEP_4) | instskip(NEXT) | instid1(VALU_DEP_4)
	v_add_f32_e32 v9, v9, v68
	v_add_f32_e32 v1, v1, v41
	s_cbranch_vccz .LBB1080_2
.LBB1080_3:
	s_load_b128 s[4:7], s[0:1], 0x48
	v_add_nc_u32_e32 v0, s9, v7
	s_load_b32 s9, s[0:1], 0x0
	s_delay_alu instid0(VALU_DEP_1) | instskip(SKIP_1) | instid1(VALU_DEP_1)
	v_ashrrev_i32_e32 v2, 31, v0
	s_waitcnt lgkmcnt(0)
	v_mul_lo_u32 v5, v2, s4
	v_mul_lo_u32 v7, v0, s5
	v_mad_u64_u32 v[3:4], null, v0, s4, 0
	s_mul_i32 s1, s15, s7
	s_mul_hi_u32 s3, s15, s6
	s_mul_i32 s2, s15, s6
	s_add_i32 s3, s3, s1
	v_add_nc_u32_e32 v2, s8, v6
	s_lshl_b64 s[2:3], s[2:3], 3
	s_delay_alu instid0(VALU_DEP_2)
	v_add3_u32 v4, v4, v7, v5
	s_add_u32 s2, s30, s2
	s_addc_u32 s3, s31, s3
	v_cmp_le_i32_e64 s0, v0, v2
	v_cmp_gt_i32_e32 vcc_lo, s9, v2
	v_lshlrev_b64 v[3:4], 3, v[3:4]
	s_delay_alu instid0(VALU_DEP_3) | instskip(NEXT) | instid1(VALU_DEP_1)
	s_and_b32 s0, s0, vcc_lo
	v_add_co_u32 v6, s1, s2, v3
	s_delay_alu instid0(VALU_DEP_1)
	v_add_co_ci_u32_e64 v7, s1, s3, v4, s1
	s_and_saveexec_b32 s1, s0
	s_cbranch_execz .LBB1080_5
; %bb.4:
	v_ashrrev_i32_e32 v3, 31, v2
	s_delay_alu instid0(VALU_DEP_1) | instskip(NEXT) | instid1(VALU_DEP_1)
	v_lshlrev_b64 v[3:4], 3, v[2:3]
	v_add_co_u32 v3, s0, v6, v3
	s_delay_alu instid0(VALU_DEP_1)
	v_add_co_ci_u32_e64 v4, s0, v7, v4, s0
	global_load_b64 v[17:18], v[3:4], off
	s_waitcnt vmcnt(0)
	v_dual_add_f32 v14, v15, v17 :: v_dual_add_f32 v15, v16, v18
	global_store_b64 v[3:4], v[14:15], off
.LBB1080_5:
	s_or_b32 exec_lo, exec_lo, s1
	v_add_nc_u32_e32 v4, 16, v2
	s_delay_alu instid0(VALU_DEP_1) | instskip(SKIP_1) | instid1(VALU_DEP_1)
	v_cmp_le_i32_e64 s1, v0, v4
	v_cmp_gt_i32_e64 s0, s9, v4
	s_and_b32 s1, s1, s0
	s_delay_alu instid0(SALU_CYCLE_1)
	s_and_saveexec_b32 s6, s1
	s_cbranch_execz .LBB1080_7
; %bb.6:
	v_ashrrev_i32_e32 v5, 31, v4
	s_delay_alu instid0(VALU_DEP_1) | instskip(NEXT) | instid1(VALU_DEP_1)
	v_lshlrev_b64 v[14:15], 3, v[4:5]
	v_add_co_u32 v5, s1, v6, v14
	s_delay_alu instid0(VALU_DEP_1)
	v_add_co_ci_u32_e64 v6, s1, v7, v15, s1
	global_load_b64 v[14:15], v[5:6], off
	s_waitcnt vmcnt(0)
	v_dual_add_f32 v11, v13, v14 :: v_dual_add_f32 v12, v12, v15
	global_store_b64 v[5:6], v[11:12], off
.LBB1080_7:
	s_or_b32 exec_lo, exec_lo, s6
	v_add_nc_u32_e32 v0, 16, v0
	s_delay_alu instid0(VALU_DEP_1) | instskip(SKIP_3) | instid1(VALU_DEP_4)
	v_ashrrev_i32_e32 v3, 31, v0
	v_mul_lo_u32 v7, v0, s5
	v_mad_u64_u32 v[5:6], null, v0, s4, 0
	v_cmp_le_i32_e64 s1, v0, v2
	v_mul_lo_u32 v3, v3, s4
	s_delay_alu instid0(VALU_DEP_1) | instskip(NEXT) | instid1(VALU_DEP_1)
	v_add3_u32 v6, v6, v7, v3
	v_lshlrev_b64 v[6:7], 3, v[5:6]
	s_delay_alu instid0(VALU_DEP_1) | instskip(NEXT) | instid1(VALU_DEP_1)
	v_add_co_u32 v6, s2, s2, v6
	v_add_co_ci_u32_e64 v7, s2, s3, v7, s2
	s_and_b32 s2, s1, vcc_lo
	s_delay_alu instid0(SALU_CYCLE_1)
	s_and_saveexec_b32 s1, s2
	s_cbranch_execz .LBB1080_9
; %bb.8:
	v_ashrrev_i32_e32 v3, 31, v2
	s_delay_alu instid0(VALU_DEP_1) | instskip(NEXT) | instid1(VALU_DEP_1)
	v_lshlrev_b64 v[2:3], 3, v[2:3]
	v_add_co_u32 v2, vcc_lo, v6, v2
	s_delay_alu instid0(VALU_DEP_2)
	v_add_co_ci_u32_e32 v3, vcc_lo, v7, v3, vcc_lo
	global_load_b64 v[11:12], v[2:3], off
	s_waitcnt vmcnt(0)
	v_dual_add_f32 v9, v9, v11 :: v_dual_add_f32 v10, v10, v12
	global_store_b64 v[2:3], v[9:10], off
.LBB1080_9:
	s_or_b32 exec_lo, exec_lo, s1
	v_cmp_le_i32_e32 vcc_lo, v0, v4
	s_and_b32 s0, vcc_lo, s0
	s_delay_alu instid0(SALU_CYCLE_1)
	s_and_saveexec_b32 s1, s0
	s_cbranch_execz .LBB1080_11
; %bb.10:
	v_ashrrev_i32_e32 v5, 31, v4
	s_delay_alu instid0(VALU_DEP_1) | instskip(NEXT) | instid1(VALU_DEP_1)
	v_lshlrev_b64 v[2:3], 3, v[4:5]
	v_add_co_u32 v2, vcc_lo, v6, v2
	s_delay_alu instid0(VALU_DEP_2)
	v_add_co_ci_u32_e32 v3, vcc_lo, v7, v3, vcc_lo
	global_load_b64 v[4:5], v[2:3], off
	s_waitcnt vmcnt(0)
	v_dual_add_f32 v0, v8, v4 :: v_dual_add_f32 v1, v1, v5
	global_store_b64 v[2:3], v[0:1], off
.LBB1080_11:
	s_nop 0
	s_sendmsg sendmsg(MSG_DEALLOC_VGPRS)
	s_endpgm
	.section	.rodata,"a",@progbits
	.p2align	6, 0x0
	.amdhsa_kernel _ZL37rocblas_syrkx_herkx_restricted_kernelIl19rocblas_complex_numIfELi16ELi32ELi8ELi1ELi1ELb0ELc84ELc76EKS1_S1_EviT_PT9_S3_lS5_S3_lPT10_S3_li
		.amdhsa_group_segment_fixed_size 4096
		.amdhsa_private_segment_fixed_size 0
		.amdhsa_kernarg_size 92
		.amdhsa_user_sgpr_count 13
		.amdhsa_user_sgpr_dispatch_ptr 0
		.amdhsa_user_sgpr_queue_ptr 0
		.amdhsa_user_sgpr_kernarg_segment_ptr 1
		.amdhsa_user_sgpr_dispatch_id 0
		.amdhsa_user_sgpr_private_segment_size 0
		.amdhsa_wavefront_size32 1
		.amdhsa_uses_dynamic_stack 0
		.amdhsa_enable_private_segment 0
		.amdhsa_system_sgpr_workgroup_id_x 1
		.amdhsa_system_sgpr_workgroup_id_y 1
		.amdhsa_system_sgpr_workgroup_id_z 1
		.amdhsa_system_sgpr_workgroup_info 0
		.amdhsa_system_vgpr_workitem_id 1
		.amdhsa_next_free_vgpr 91
		.amdhsa_next_free_sgpr 32
		.amdhsa_reserve_vcc 1
		.amdhsa_float_round_mode_32 0
		.amdhsa_float_round_mode_16_64 0
		.amdhsa_float_denorm_mode_32 3
		.amdhsa_float_denorm_mode_16_64 3
		.amdhsa_dx10_clamp 1
		.amdhsa_ieee_mode 1
		.amdhsa_fp16_overflow 0
		.amdhsa_workgroup_processor_mode 1
		.amdhsa_memory_ordered 1
		.amdhsa_forward_progress 0
		.amdhsa_shared_vgpr_count 0
		.amdhsa_exception_fp_ieee_invalid_op 0
		.amdhsa_exception_fp_denorm_src 0
		.amdhsa_exception_fp_ieee_div_zero 0
		.amdhsa_exception_fp_ieee_overflow 0
		.amdhsa_exception_fp_ieee_underflow 0
		.amdhsa_exception_fp_ieee_inexact 0
		.amdhsa_exception_int_div_zero 0
	.end_amdhsa_kernel
	.section	.text._ZL37rocblas_syrkx_herkx_restricted_kernelIl19rocblas_complex_numIfELi16ELi32ELi8ELi1ELi1ELb0ELc84ELc76EKS1_S1_EviT_PT9_S3_lS5_S3_lPT10_S3_li,"axG",@progbits,_ZL37rocblas_syrkx_herkx_restricted_kernelIl19rocblas_complex_numIfELi16ELi32ELi8ELi1ELi1ELb0ELc84ELc76EKS1_S1_EviT_PT9_S3_lS5_S3_lPT10_S3_li,comdat
.Lfunc_end1080:
	.size	_ZL37rocblas_syrkx_herkx_restricted_kernelIl19rocblas_complex_numIfELi16ELi32ELi8ELi1ELi1ELb0ELc84ELc76EKS1_S1_EviT_PT9_S3_lS5_S3_lPT10_S3_li, .Lfunc_end1080-_ZL37rocblas_syrkx_herkx_restricted_kernelIl19rocblas_complex_numIfELi16ELi32ELi8ELi1ELi1ELb0ELc84ELc76EKS1_S1_EviT_PT9_S3_lS5_S3_lPT10_S3_li
                                        ; -- End function
	.section	.AMDGPU.csdata,"",@progbits
; Kernel info:
; codeLenInByte = 2200
; NumSgprs: 34
; NumVgprs: 91
; ScratchSize: 0
; MemoryBound: 0
; FloatMode: 240
; IeeeMode: 1
; LDSByteSize: 4096 bytes/workgroup (compile time only)
; SGPRBlocks: 4
; VGPRBlocks: 11
; NumSGPRsForWavesPerEU: 34
; NumVGPRsForWavesPerEU: 91
; Occupancy: 16
; WaveLimiterHint : 1
; COMPUTE_PGM_RSRC2:SCRATCH_EN: 0
; COMPUTE_PGM_RSRC2:USER_SGPR: 13
; COMPUTE_PGM_RSRC2:TRAP_HANDLER: 0
; COMPUTE_PGM_RSRC2:TGID_X_EN: 1
; COMPUTE_PGM_RSRC2:TGID_Y_EN: 1
; COMPUTE_PGM_RSRC2:TGID_Z_EN: 1
; COMPUTE_PGM_RSRC2:TIDIG_COMP_CNT: 1
	.section	.text._ZL37rocblas_syrkx_herkx_restricted_kernelIl19rocblas_complex_numIfELi16ELi32ELi8ELi1ELi1ELb0ELc67ELc76EKS1_S1_EviT_PT9_S3_lS5_S3_lPT10_S3_li,"axG",@progbits,_ZL37rocblas_syrkx_herkx_restricted_kernelIl19rocblas_complex_numIfELi16ELi32ELi8ELi1ELi1ELb0ELc67ELc76EKS1_S1_EviT_PT9_S3_lS5_S3_lPT10_S3_li,comdat
	.globl	_ZL37rocblas_syrkx_herkx_restricted_kernelIl19rocblas_complex_numIfELi16ELi32ELi8ELi1ELi1ELb0ELc67ELc76EKS1_S1_EviT_PT9_S3_lS5_S3_lPT10_S3_li ; -- Begin function _ZL37rocblas_syrkx_herkx_restricted_kernelIl19rocblas_complex_numIfELi16ELi32ELi8ELi1ELi1ELb0ELc67ELc76EKS1_S1_EviT_PT9_S3_lS5_S3_lPT10_S3_li
	.p2align	8
	.type	_ZL37rocblas_syrkx_herkx_restricted_kernelIl19rocblas_complex_numIfELi16ELi32ELi8ELi1ELi1ELb0ELc67ELc76EKS1_S1_EviT_PT9_S3_lS5_S3_lPT10_S3_li,@function
_ZL37rocblas_syrkx_herkx_restricted_kernelIl19rocblas_complex_numIfELi16ELi32ELi8ELi1ELi1ELb0ELc67ELc76EKS1_S1_EviT_PT9_S3_lS5_S3_lPT10_S3_li: ; @_ZL37rocblas_syrkx_herkx_restricted_kernelIl19rocblas_complex_numIfELi16ELi32ELi8ELi1ELi1ELb0ELc67ELc76EKS1_S1_EviT_PT9_S3_lS5_S3_lPT10_S3_li
; %bb.0:
	s_load_b512 s[16:31], s[0:1], 0x8
	v_dual_mov_b32 v15, 0 :: v_dual_mov_b32 v16, 0
	v_dual_mov_b32 v13, 0 :: v_dual_mov_b32 v12, 0
	v_dual_mov_b32 v9, 0 :: v_dual_mov_b32 v10, 0
	v_dual_mov_b32 v8, 0 :: v_dual_mov_b32 v1, 0
	v_and_b32_e32 v6, 0x3ff, v0
	v_bfe_u32 v7, v0, 10, 10
	s_lshl_b32 s8, s13, 5
	s_lshl_b32 s9, s14, 5
	s_waitcnt lgkmcnt(0)
	v_cmp_lt_i64_e64 s2, s[16:17], 1
	s_delay_alu instid0(VALU_DEP_1)
	s_and_b32 vcc_lo, exec_lo, s2
	s_cbranch_vccnz .LBB1081_3
; %bb.1:
	v_lshl_add_u32 v2, v7, 4, v6
	v_dual_mov_b32 v1, 0 :: v_dual_and_b32 v0, 7, v6
	s_mul_i32 s3, s23, s15
	s_mul_hi_u32 s4, s22, s15
	s_delay_alu instid0(VALU_DEP_2)
	v_and_b32_e32 v10, 31, v2
	v_lshrrev_b32_e32 v12, 3, v2
	v_mov_b32_e32 v3, v1
	v_lshrrev_b32_e32 v2, 5, v2
	v_lshlrev_b32_e32 v14, 3, v0
	v_add_nc_u32_e32 v8, s8, v10
	v_add_nc_u32_e32 v13, s9, v12
	s_mul_i32 s2, s22, s15
	s_add_i32 s3, s4, s3
	s_mul_hi_u32 s5, s28, s15
	v_ashrrev_i32_e32 v9, 31, v8
	v_mad_u64_u32 v[4:5], null, s20, v8, v[2:3]
	v_mul_lo_u32 v3, s21, v8
	s_lshl_b64 s[2:3], s[2:3], 3
	s_delay_alu instid0(VALU_DEP_3)
	v_mul_lo_u32 v16, s20, v9
	v_mad_u64_u32 v[8:9], null, v13, s26, v[0:1]
	v_lshlrev_b32_e32 v0, 3, v10
	v_lshl_or_b32 v10, v12, 6, v14
	s_add_u32 s4, s18, s2
	s_mul_i32 s2, s29, s15
	s_addc_u32 s6, s19, s3
	s_delay_alu instid0(VALU_DEP_4)
	v_add3_u32 v5, v3, v5, v16
	v_add_nc_u32_e32 v14, 0x800, v10
	v_mov_b32_e32 v10, v1
	v_ashrrev_i32_e32 v15, 31, v13
	v_mul_lo_u32 v17, v13, s27
	s_add_i32 s3, s5, s2
	s_mul_i32 s2, s28, s15
	v_lshlrev_b32_e32 v11, 3, v6
	v_mul_lo_u32 v13, v15, s26
	v_mov_b32_e32 v15, v1
	v_lshl_or_b32 v0, v2, 8, v0
	v_lshlrev_b64 v[2:3], 3, v[4:5]
	s_lshl_b64 s[2:3], s[2:3], 3
	v_mov_b32_e32 v12, v1
	s_add_u32 s2, s24, s2
	s_addc_u32 s3, s25, s3
	v_add3_u32 v9, v13, v9, v17
	v_add_co_u32 v2, vcc_lo, s4, v2
	v_add_co_ci_u32_e32 v3, vcc_lo, s6, v3, vcc_lo
	s_delay_alu instid0(VALU_DEP_3)
	v_lshlrev_b64 v[4:5], 3, v[8:9]
	v_mov_b32_e32 v8, v1
	v_lshl_add_u32 v17, v7, 6, 0x800
	v_mov_b32_e32 v9, v1
	v_mov_b32_e32 v13, v1
	;; [unrolled: 1-line block ×3, first 2 shown]
	v_add_co_u32 v4, vcc_lo, s2, v4
	v_add_co_ci_u32_e32 v5, vcc_lo, s3, v5, vcc_lo
	v_add_co_u32 v2, vcc_lo, v2, 4
	v_add_co_ci_u32_e32 v3, vcc_lo, 0, v3, vcc_lo
	s_delay_alu instid0(VALU_DEP_4) | instskip(NEXT) | instid1(VALU_DEP_4)
	v_add_co_u32 v4, vcc_lo, v4, 4
	v_add_co_ci_u32_e32 v5, vcc_lo, 0, v5, vcc_lo
	s_mov_b64 s[2:3], 0
.LBB1081_2:                             ; =>This Inner Loop Header: Depth=1
	global_load_b64 v[18:19], v[2:3], off offset:-4
	global_load_b64 v[20:21], v[4:5], off offset:-4
	s_add_u32 s2, s2, 8
	v_add_co_u32 v2, vcc_lo, v2, 64
	s_addc_u32 s3, s3, 0
	v_add_co_ci_u32_e32 v3, vcc_lo, 0, v3, vcc_lo
	v_cmp_ge_u64_e64 s4, s[2:3], s[16:17]
	v_add_co_u32 v4, vcc_lo, v4, 64
	v_add_co_ci_u32_e32 v5, vcc_lo, 0, v5, vcc_lo
	s_waitcnt vmcnt(1)
	ds_store_b64 v0, v[18:19]
	s_waitcnt vmcnt(0)
	ds_store_b64 v14, v[20:21]
	s_waitcnt lgkmcnt(0)
	s_barrier
	buffer_gl0_inv
	ds_load_2addr_b64 v[18:21], v11 offset1:16
	ds_load_b128 v[22:25], v17
	ds_load_b128 v[26:29], v17 offset:1024
	ds_load_b128 v[30:33], v17 offset:16
	;; [unrolled: 1-line block ×4, first 2 shown]
	ds_load_2addr_b64 v[42:45], v11 offset0:32 offset1:48
	ds_load_2addr_b64 v[46:49], v11 offset0:64 offset1:80
	ds_load_b128 v[50:53], v17 offset:1040
	ds_load_2addr_b64 v[54:57], v11 offset0:96 offset1:112
	ds_load_2addr_b64 v[58:61], v11 offset0:128 offset1:144
	;; [unrolled: 1-line block ×4, first 2 shown]
	ds_load_b128 v[70:73], v17 offset:1056
	ds_load_b128 v[74:77], v17 offset:1072
	ds_load_2addr_b64 v[78:81], v11 offset0:224 offset1:240
	s_and_b32 vcc_lo, exec_lo, s4
	s_waitcnt lgkmcnt(0)
	s_barrier
	buffer_gl0_inv
	v_dual_mul_f32 v82, v23, v19 :: v_dual_mul_f32 v85, v22, v21
	v_dual_mul_f32 v83, v22, v19 :: v_dual_mul_f32 v84, v23, v21
	v_mul_f32_e32 v86, v27, v19
	v_dual_mul_f32 v19, v26, v19 :: v_dual_mul_f32 v90, v25, v45
	v_dual_mul_f32 v87, v27, v21 :: v_dual_mul_f32 v88, v25, v43
	v_mul_f32_e32 v21, v26, v21
	v_fma_f32 v82, v22, v18, -v82
	v_fmac_f32_e32 v83, v23, v18
	v_fma_f32 v22, v22, v20, -v84
	v_fmac_f32_e32 v85, v23, v20
	v_fma_f32 v23, v26, v18, -v86
	v_dual_fmac_f32 v19, v27, v18 :: v_dual_mul_f32 v86, v30, v47
	v_fma_f32 v18, v26, v20, -v87
	v_dual_fmac_f32 v21, v27, v20 :: v_dual_mul_f32 v20, v24, v45
	v_mul_f32_e32 v89, v24, v43
	v_mul_f32_e32 v26, v29, v43
	;; [unrolled: 1-line block ×4, first 2 shown]
	v_fmac_f32_e32 v20, v25, v44
	v_fmac_f32_e32 v89, v25, v42
	v_dual_mul_f32 v25, v28, v45 :: v_dual_fmac_f32 v86, v31, v46
	v_fma_f32 v84, v24, v42, -v88
	v_fma_f32 v24, v24, v44, -v90
	v_dual_mul_f32 v45, v31, v47 :: v_dual_mul_f32 v90, v33, v57
	v_fma_f32 v26, v28, v42, -v26
	v_fma_f32 v28, v28, v44, -v43
	v_fmac_f32_e32 v25, v29, v44
	v_dual_mul_f32 v43, v50, v47 :: v_dual_mul_f32 v44, v51, v49
	v_dual_fmac_f32 v27, v29, v42 :: v_dual_mul_f32 v42, v51, v47
	v_dual_mul_f32 v88, v32, v55 :: v_dual_mul_f32 v29, v30, v49
	v_mul_f32_e32 v87, v31, v49
	v_fma_f32 v45, v30, v46, -v45
	v_add_f32_e32 v16, v16, v83
	s_delay_alu instid0(VALU_DEP_4)
	v_dual_fmac_f32 v88, v33, v54 :: v_dual_fmac_f32 v29, v31, v48
	v_fma_f32 v31, v50, v46, -v42
	v_fma_f32 v42, v50, v48, -v44
	v_mul_f32_e32 v44, v32, v57
	v_mul_f32_e32 v47, v50, v49
	v_dual_mul_f32 v50, v53, v57 :: v_dual_fmac_f32 v43, v51, v46
	v_mul_f32_e32 v46, v53, v55
	v_mul_f32_e32 v49, v33, v55
	v_fma_f32 v30, v30, v48, -v87
	v_fmac_f32_e32 v44, v33, v56
	v_dual_fmac_f32 v47, v51, v48 :: v_dual_mul_f32 v48, v52, v55
	v_mul_f32_e32 v33, v52, v57
	v_fma_f32 v46, v52, v54, -v46
	v_fma_f32 v50, v52, v56, -v50
	v_mul_f32_e32 v52, v34, v61
	v_fma_f32 v49, v32, v54, -v49
	v_fma_f32 v32, v32, v56, -v90
	v_dual_mul_f32 v51, v35, v59 :: v_dual_fmac_f32 v48, v53, v54
	v_mul_f32_e32 v54, v70, v59
	v_dual_mul_f32 v55, v34, v59 :: v_dual_fmac_f32 v52, v35, v60
	v_fmac_f32_e32 v33, v53, v56
	v_mul_f32_e32 v53, v71, v59
	v_mul_f32_e32 v56, v71, v61
	;; [unrolled: 1-line block ×3, first 2 shown]
	v_fmac_f32_e32 v54, v71, v58
	v_fmac_f32_e32 v55, v35, v58
	v_fma_f32 v35, v70, v58, -v53
	v_fma_f32 v53, v70, v60, -v56
	v_mul_f32_e32 v56, v36, v65
	v_mul_f32_e32 v59, v70, v61
	v_fma_f32 v51, v34, v58, -v51
	v_mul_f32_e32 v58, v72, v63
	v_mul_f32_e32 v87, v36, v63
	;; [unrolled: 1-line block ×4, first 2 shown]
	v_fma_f32 v34, v34, v60, -v57
	v_mul_f32_e32 v57, v73, v63
	v_fmac_f32_e32 v56, v37, v64
	v_dual_fmac_f32 v59, v71, v60 :: v_dual_mul_f32 v60, v73, v65
	v_mul_f32_e32 v63, v39, v67
	v_mul_f32_e32 v70, v39, v69
	v_fmac_f32_e32 v58, v73, v62
	v_fmac_f32_e32 v87, v37, v62
	v_mul_f32_e32 v37, v72, v65
	v_fma_f32 v61, v36, v62, -v61
	v_fma_f32 v36, v36, v64, -v90
	v_mul_f32_e32 v65, v38, v67
	v_fma_f32 v57, v72, v62, -v57
	v_fma_f32 v60, v72, v64, -v60
	v_dual_fmac_f32 v37, v73, v64 :: v_dual_mul_f32 v62, v38, v69
	v_mul_f32_e32 v64, v75, v67
	v_fma_f32 v63, v38, v66, -v63
	v_fma_f32 v38, v38, v68, -v70
	v_mul_f32_e32 v70, v76, v79
	v_mul_f32_e32 v67, v74, v67
	v_dual_add_f32 v10, v10, v19 :: v_dual_add_f32 v15, v15, v82
	s_delay_alu instid0(VALU_DEP_3) | instskip(NEXT) | instid1(VALU_DEP_2)
	v_dual_mul_f32 v71, v75, v69 :: v_dual_fmac_f32 v70, v77, v78
	v_dual_fmac_f32 v67, v75, v66 :: v_dual_add_f32 v10, v10, v27
	v_dual_mul_f32 v69, v74, v69 :: v_dual_add_f32 v8, v8, v18
	v_dual_fmac_f32 v65, v39, v66 :: v_dual_add_f32 v12, v12, v85
	v_fmac_f32_e32 v62, v39, v68
	v_fma_f32 v39, v74, v66, -v64
	v_mul_f32_e32 v66, v40, v81
	v_dual_add_f32 v1, v1, v21 :: v_dual_add_f32 v10, v10, v43
	v_mul_f32_e32 v73, v40, v79
	v_mul_f32_e32 v72, v41, v79
	v_mul_f32_e32 v90, v41, v81
	v_fma_f32 v64, v74, v68, -v71
	v_add_f32_e32 v10, v10, v48
	v_dual_fmac_f32 v69, v75, v68 :: v_dual_add_f32 v16, v16, v89
	v_dual_mul_f32 v71, v77, v81 :: v_dual_add_f32 v12, v12, v20
	v_dual_fmac_f32 v73, v41, v78 :: v_dual_add_f32 v8, v8, v28
	v_dual_fmac_f32 v66, v41, v80 :: v_dual_mul_f32 v41, v76, v81
	v_add_f32_e32 v10, v10, v54
	s_delay_alu instid0(VALU_DEP_4) | instskip(NEXT) | instid1(VALU_DEP_4)
	v_dual_add_f32 v13, v13, v22 :: v_dual_add_f32 v12, v12, v29
	v_dual_add_f32 v9, v9, v23 :: v_dual_add_f32 v8, v8, v42
	s_delay_alu instid0(VALU_DEP_4) | instskip(SKIP_1) | instid1(VALU_DEP_3)
	v_dual_fmac_f32 v41, v77, v80 :: v_dual_add_f32 v16, v16, v86
	v_add_f32_e32 v15, v15, v84
	v_add_f32_e32 v9, v9, v26
	v_dual_add_f32 v1, v1, v25 :: v_dual_add_f32 v12, v12, v44
	s_delay_alu instid0(VALU_DEP_4) | instskip(SKIP_1) | instid1(VALU_DEP_3)
	v_add_f32_e32 v16, v16, v88
	v_dual_add_f32 v13, v13, v24 :: v_dual_add_f32 v8, v8, v50
	v_dual_add_f32 v15, v15, v45 :: v_dual_add_f32 v12, v12, v52
	v_add_f32_e32 v9, v9, v31
	v_dual_add_f32 v1, v1, v47 :: v_dual_add_f32 v10, v10, v58
	s_delay_alu instid0(VALU_DEP_4) | instskip(SKIP_2) | instid1(VALU_DEP_3)
	v_dual_add_f32 v16, v16, v55 :: v_dual_add_f32 v13, v13, v30
	v_add_f32_e32 v8, v8, v53
	v_dual_add_f32 v15, v15, v49 :: v_dual_add_f32 v12, v12, v56
	v_dual_add_f32 v16, v16, v87 :: v_dual_add_f32 v13, v13, v32
	s_delay_alu instid0(VALU_DEP_3) | instskip(NEXT) | instid1(VALU_DEP_3)
	v_dual_add_f32 v9, v9, v46 :: v_dual_add_f32 v8, v8, v60
	v_dual_add_f32 v1, v1, v33 :: v_dual_add_f32 v12, v12, v62
	s_delay_alu instid0(VALU_DEP_3) | instskip(NEXT) | instid1(VALU_DEP_3)
	v_dual_add_f32 v15, v15, v51 :: v_dual_add_f32 v16, v16, v65
	v_dual_add_f32 v8, v8, v64 :: v_dual_add_f32 v13, v13, v34
	v_add_f32_e32 v10, v10, v67
	s_delay_alu instid0(VALU_DEP_3)
	v_dual_add_f32 v9, v9, v35 :: v_dual_add_f32 v16, v16, v73
	v_dual_add_f32 v1, v1, v59 :: v_dual_add_f32 v12, v12, v66
	v_mul_f32_e32 v68, v77, v79
	v_fma_f32 v71, v76, v80, -v71
	v_dual_add_f32 v15, v15, v61 :: v_dual_add_f32 v10, v10, v70
	v_add_f32_e32 v13, v13, v36
	s_delay_alu instid0(VALU_DEP_3)
	v_dual_add_f32 v9, v9, v57 :: v_dual_add_f32 v8, v8, v71
	v_add_f32_e32 v1, v1, v37
	v_fma_f32 v72, v40, v78, -v72
	v_fma_f32 v40, v40, v80, -v90
	;; [unrolled: 1-line block ×3, first 2 shown]
	v_add_f32_e32 v15, v15, v63
	v_add_f32_e32 v13, v13, v38
	;; [unrolled: 1-line block ×4, first 2 shown]
	s_delay_alu instid0(VALU_DEP_4) | instskip(NEXT) | instid1(VALU_DEP_4)
	v_add_f32_e32 v15, v15, v72
	v_add_f32_e32 v13, v13, v40
	s_delay_alu instid0(VALU_DEP_4) | instskip(NEXT) | instid1(VALU_DEP_4)
	v_add_f32_e32 v9, v9, v68
	v_add_f32_e32 v1, v1, v41
	s_cbranch_vccz .LBB1081_2
.LBB1081_3:
	s_load_b128 s[4:7], s[0:1], 0x48
	v_add_nc_u32_e32 v0, s9, v7
	s_load_b32 s9, s[0:1], 0x0
	s_delay_alu instid0(VALU_DEP_1) | instskip(SKIP_1) | instid1(VALU_DEP_1)
	v_ashrrev_i32_e32 v2, 31, v0
	s_waitcnt lgkmcnt(0)
	v_mul_lo_u32 v5, v2, s4
	v_mul_lo_u32 v7, v0, s5
	v_mad_u64_u32 v[3:4], null, v0, s4, 0
	s_mul_i32 s1, s15, s7
	s_mul_hi_u32 s3, s15, s6
	s_mul_i32 s2, s15, s6
	s_add_i32 s3, s3, s1
	v_add_nc_u32_e32 v2, s8, v6
	s_lshl_b64 s[2:3], s[2:3], 3
	s_delay_alu instid0(VALU_DEP_2)
	v_add3_u32 v4, v4, v7, v5
	s_add_u32 s2, s30, s2
	s_addc_u32 s3, s31, s3
	v_cmp_le_i32_e64 s0, v0, v2
	v_cmp_gt_i32_e32 vcc_lo, s9, v2
	v_lshlrev_b64 v[3:4], 3, v[3:4]
	s_delay_alu instid0(VALU_DEP_3) | instskip(NEXT) | instid1(VALU_DEP_1)
	s_and_b32 s0, s0, vcc_lo
	v_add_co_u32 v6, s1, s2, v3
	s_delay_alu instid0(VALU_DEP_1)
	v_add_co_ci_u32_e64 v7, s1, s3, v4, s1
	s_and_saveexec_b32 s1, s0
	s_cbranch_execz .LBB1081_5
; %bb.4:
	v_ashrrev_i32_e32 v3, 31, v2
	s_delay_alu instid0(VALU_DEP_1) | instskip(NEXT) | instid1(VALU_DEP_1)
	v_lshlrev_b64 v[3:4], 3, v[2:3]
	v_add_co_u32 v3, s0, v6, v3
	s_delay_alu instid0(VALU_DEP_1)
	v_add_co_ci_u32_e64 v4, s0, v7, v4, s0
	global_load_b64 v[17:18], v[3:4], off
	s_waitcnt vmcnt(0)
	v_dual_add_f32 v14, v15, v17 :: v_dual_add_f32 v15, v16, v18
	global_store_b64 v[3:4], v[14:15], off
.LBB1081_5:
	s_or_b32 exec_lo, exec_lo, s1
	v_add_nc_u32_e32 v4, 16, v2
	s_delay_alu instid0(VALU_DEP_1) | instskip(SKIP_1) | instid1(VALU_DEP_1)
	v_cmp_le_i32_e64 s1, v0, v4
	v_cmp_gt_i32_e64 s0, s9, v4
	s_and_b32 s1, s1, s0
	s_delay_alu instid0(SALU_CYCLE_1)
	s_and_saveexec_b32 s6, s1
	s_cbranch_execz .LBB1081_7
; %bb.6:
	v_ashrrev_i32_e32 v5, 31, v4
	s_delay_alu instid0(VALU_DEP_1) | instskip(NEXT) | instid1(VALU_DEP_1)
	v_lshlrev_b64 v[14:15], 3, v[4:5]
	v_add_co_u32 v5, s1, v6, v14
	s_delay_alu instid0(VALU_DEP_1)
	v_add_co_ci_u32_e64 v6, s1, v7, v15, s1
	global_load_b64 v[14:15], v[5:6], off
	s_waitcnt vmcnt(0)
	v_dual_add_f32 v11, v13, v14 :: v_dual_add_f32 v12, v12, v15
	global_store_b64 v[5:6], v[11:12], off
.LBB1081_7:
	s_or_b32 exec_lo, exec_lo, s6
	v_add_nc_u32_e32 v0, 16, v0
	s_delay_alu instid0(VALU_DEP_1) | instskip(SKIP_3) | instid1(VALU_DEP_4)
	v_ashrrev_i32_e32 v3, 31, v0
	v_mul_lo_u32 v7, v0, s5
	v_mad_u64_u32 v[5:6], null, v0, s4, 0
	v_cmp_le_i32_e64 s1, v0, v2
	v_mul_lo_u32 v3, v3, s4
	s_delay_alu instid0(VALU_DEP_1) | instskip(NEXT) | instid1(VALU_DEP_1)
	v_add3_u32 v6, v6, v7, v3
	v_lshlrev_b64 v[6:7], 3, v[5:6]
	s_delay_alu instid0(VALU_DEP_1) | instskip(NEXT) | instid1(VALU_DEP_1)
	v_add_co_u32 v6, s2, s2, v6
	v_add_co_ci_u32_e64 v7, s2, s3, v7, s2
	s_and_b32 s2, s1, vcc_lo
	s_delay_alu instid0(SALU_CYCLE_1)
	s_and_saveexec_b32 s1, s2
	s_cbranch_execz .LBB1081_9
; %bb.8:
	v_ashrrev_i32_e32 v3, 31, v2
	s_delay_alu instid0(VALU_DEP_1) | instskip(NEXT) | instid1(VALU_DEP_1)
	v_lshlrev_b64 v[2:3], 3, v[2:3]
	v_add_co_u32 v2, vcc_lo, v6, v2
	s_delay_alu instid0(VALU_DEP_2)
	v_add_co_ci_u32_e32 v3, vcc_lo, v7, v3, vcc_lo
	global_load_b64 v[11:12], v[2:3], off
	s_waitcnt vmcnt(0)
	v_dual_add_f32 v9, v9, v11 :: v_dual_add_f32 v10, v10, v12
	global_store_b64 v[2:3], v[9:10], off
.LBB1081_9:
	s_or_b32 exec_lo, exec_lo, s1
	v_cmp_le_i32_e32 vcc_lo, v0, v4
	s_and_b32 s0, vcc_lo, s0
	s_delay_alu instid0(SALU_CYCLE_1)
	s_and_saveexec_b32 s1, s0
	s_cbranch_execz .LBB1081_11
; %bb.10:
	v_ashrrev_i32_e32 v5, 31, v4
	s_delay_alu instid0(VALU_DEP_1) | instskip(NEXT) | instid1(VALU_DEP_1)
	v_lshlrev_b64 v[2:3], 3, v[4:5]
	v_add_co_u32 v2, vcc_lo, v6, v2
	s_delay_alu instid0(VALU_DEP_2)
	v_add_co_ci_u32_e32 v3, vcc_lo, v7, v3, vcc_lo
	global_load_b64 v[4:5], v[2:3], off
	s_waitcnt vmcnt(0)
	v_dual_add_f32 v0, v8, v4 :: v_dual_add_f32 v1, v1, v5
	global_store_b64 v[2:3], v[0:1], off
.LBB1081_11:
	s_nop 0
	s_sendmsg sendmsg(MSG_DEALLOC_VGPRS)
	s_endpgm
	.section	.rodata,"a",@progbits
	.p2align	6, 0x0
	.amdhsa_kernel _ZL37rocblas_syrkx_herkx_restricted_kernelIl19rocblas_complex_numIfELi16ELi32ELi8ELi1ELi1ELb0ELc67ELc76EKS1_S1_EviT_PT9_S3_lS5_S3_lPT10_S3_li
		.amdhsa_group_segment_fixed_size 4096
		.amdhsa_private_segment_fixed_size 0
		.amdhsa_kernarg_size 92
		.amdhsa_user_sgpr_count 13
		.amdhsa_user_sgpr_dispatch_ptr 0
		.amdhsa_user_sgpr_queue_ptr 0
		.amdhsa_user_sgpr_kernarg_segment_ptr 1
		.amdhsa_user_sgpr_dispatch_id 0
		.amdhsa_user_sgpr_private_segment_size 0
		.amdhsa_wavefront_size32 1
		.amdhsa_uses_dynamic_stack 0
		.amdhsa_enable_private_segment 0
		.amdhsa_system_sgpr_workgroup_id_x 1
		.amdhsa_system_sgpr_workgroup_id_y 1
		.amdhsa_system_sgpr_workgroup_id_z 1
		.amdhsa_system_sgpr_workgroup_info 0
		.amdhsa_system_vgpr_workitem_id 1
		.amdhsa_next_free_vgpr 91
		.amdhsa_next_free_sgpr 32
		.amdhsa_reserve_vcc 1
		.amdhsa_float_round_mode_32 0
		.amdhsa_float_round_mode_16_64 0
		.amdhsa_float_denorm_mode_32 3
		.amdhsa_float_denorm_mode_16_64 3
		.amdhsa_dx10_clamp 1
		.amdhsa_ieee_mode 1
		.amdhsa_fp16_overflow 0
		.amdhsa_workgroup_processor_mode 1
		.amdhsa_memory_ordered 1
		.amdhsa_forward_progress 0
		.amdhsa_shared_vgpr_count 0
		.amdhsa_exception_fp_ieee_invalid_op 0
		.amdhsa_exception_fp_denorm_src 0
		.amdhsa_exception_fp_ieee_div_zero 0
		.amdhsa_exception_fp_ieee_overflow 0
		.amdhsa_exception_fp_ieee_underflow 0
		.amdhsa_exception_fp_ieee_inexact 0
		.amdhsa_exception_int_div_zero 0
	.end_amdhsa_kernel
	.section	.text._ZL37rocblas_syrkx_herkx_restricted_kernelIl19rocblas_complex_numIfELi16ELi32ELi8ELi1ELi1ELb0ELc67ELc76EKS1_S1_EviT_PT9_S3_lS5_S3_lPT10_S3_li,"axG",@progbits,_ZL37rocblas_syrkx_herkx_restricted_kernelIl19rocblas_complex_numIfELi16ELi32ELi8ELi1ELi1ELb0ELc67ELc76EKS1_S1_EviT_PT9_S3_lS5_S3_lPT10_S3_li,comdat
.Lfunc_end1081:
	.size	_ZL37rocblas_syrkx_herkx_restricted_kernelIl19rocblas_complex_numIfELi16ELi32ELi8ELi1ELi1ELb0ELc67ELc76EKS1_S1_EviT_PT9_S3_lS5_S3_lPT10_S3_li, .Lfunc_end1081-_ZL37rocblas_syrkx_herkx_restricted_kernelIl19rocblas_complex_numIfELi16ELi32ELi8ELi1ELi1ELb0ELc67ELc76EKS1_S1_EviT_PT9_S3_lS5_S3_lPT10_S3_li
                                        ; -- End function
	.section	.AMDGPU.csdata,"",@progbits
; Kernel info:
; codeLenInByte = 2200
; NumSgprs: 34
; NumVgprs: 91
; ScratchSize: 0
; MemoryBound: 0
; FloatMode: 240
; IeeeMode: 1
; LDSByteSize: 4096 bytes/workgroup (compile time only)
; SGPRBlocks: 4
; VGPRBlocks: 11
; NumSGPRsForWavesPerEU: 34
; NumVGPRsForWavesPerEU: 91
; Occupancy: 16
; WaveLimiterHint : 1
; COMPUTE_PGM_RSRC2:SCRATCH_EN: 0
; COMPUTE_PGM_RSRC2:USER_SGPR: 13
; COMPUTE_PGM_RSRC2:TRAP_HANDLER: 0
; COMPUTE_PGM_RSRC2:TGID_X_EN: 1
; COMPUTE_PGM_RSRC2:TGID_Y_EN: 1
; COMPUTE_PGM_RSRC2:TGID_Z_EN: 1
; COMPUTE_PGM_RSRC2:TIDIG_COMP_CNT: 1
	.section	.text._ZL37rocblas_syrkx_herkx_restricted_kernelIl19rocblas_complex_numIfELi16ELi32ELi8ELi1ELi1ELb0ELc78ELc76EKS1_S1_EviT_PT9_S3_lS5_S3_lPT10_S3_li,"axG",@progbits,_ZL37rocblas_syrkx_herkx_restricted_kernelIl19rocblas_complex_numIfELi16ELi32ELi8ELi1ELi1ELb0ELc78ELc76EKS1_S1_EviT_PT9_S3_lS5_S3_lPT10_S3_li,comdat
	.globl	_ZL37rocblas_syrkx_herkx_restricted_kernelIl19rocblas_complex_numIfELi16ELi32ELi8ELi1ELi1ELb0ELc78ELc76EKS1_S1_EviT_PT9_S3_lS5_S3_lPT10_S3_li ; -- Begin function _ZL37rocblas_syrkx_herkx_restricted_kernelIl19rocblas_complex_numIfELi16ELi32ELi8ELi1ELi1ELb0ELc78ELc76EKS1_S1_EviT_PT9_S3_lS5_S3_lPT10_S3_li
	.p2align	8
	.type	_ZL37rocblas_syrkx_herkx_restricted_kernelIl19rocblas_complex_numIfELi16ELi32ELi8ELi1ELi1ELb0ELc78ELc76EKS1_S1_EviT_PT9_S3_lS5_S3_lPT10_S3_li,@function
_ZL37rocblas_syrkx_herkx_restricted_kernelIl19rocblas_complex_numIfELi16ELi32ELi8ELi1ELi1ELb0ELc78ELc76EKS1_S1_EviT_PT9_S3_lS5_S3_lPT10_S3_li: ; @_ZL37rocblas_syrkx_herkx_restricted_kernelIl19rocblas_complex_numIfELi16ELi32ELi8ELi1ELi1ELb0ELc78ELc76EKS1_S1_EviT_PT9_S3_lS5_S3_lPT10_S3_li
; %bb.0:
	s_load_b512 s[16:31], s[0:1], 0x8
	v_dual_mov_b32 v14, 0 :: v_dual_mov_b32 v15, 0
	v_dual_mov_b32 v13, 0 :: v_dual_mov_b32 v12, 0
	;; [unrolled: 1-line block ×3, first 2 shown]
	v_dual_mov_b32 v7, 0 :: v_dual_and_b32 v4, 0x3ff, v0
	v_bfe_u32 v5, v0, 10, 10
	v_mov_b32_e32 v6, 0
	s_lshl_b32 s8, s13, 5
	s_lshl_b32 s9, s14, 5
	s_waitcnt lgkmcnt(0)
	v_cmp_lt_i64_e64 s2, s[16:17], 1
	s_delay_alu instid0(VALU_DEP_1)
	s_and_b32 vcc_lo, exec_lo, s2
	s_cbranch_vccnz .LBB1082_3
; %bb.1:
	v_lshl_add_u32 v1, v5, 4, v4
	v_and_b32_e32 v13, 7, v4
	s_mul_i32 s3, s23, s15
	s_mul_hi_u32 s5, s22, s15
	s_mul_i32 s2, s22, s15
	v_and_b32_e32 v9, 31, v1
	v_lshrrev_b32_e32 v12, 3, v1
	v_lshrrev_b32_e32 v14, 5, v1
	s_add_i32 s3, s5, s3
	s_mul_i32 s6, s29, s15
	v_add_nc_u32_e32 v0, s8, v9
	v_add_nc_u32_e32 v2, s9, v12
	s_lshl_b64 s[2:3], s[2:3], 3
	s_mul_hi_u32 s7, s28, s15
	s_add_u32 s10, s18, s2
	v_ashrrev_i32_e32 v1, 31, v0
	v_ashrrev_i32_e32 v3, 31, v2
	s_mul_i32 s4, s28, s15
	s_addc_u32 s11, s19, s3
	s_add_i32 s5, s7, s6
	v_mad_u64_u32 v[6:7], null, v14, s20, v[0:1]
	v_mad_u64_u32 v[0:1], null, v13, s26, v[2:3]
	s_lshl_b64 s[4:5], s[4:5], 3
	s_lshl_b64 s[2:3], s[20:21], 6
	s_add_u32 s4, s24, s4
	s_addc_u32 s5, s25, s5
	s_delay_alu instid0(VALU_DEP_2) | instskip(SKIP_3) | instid1(VALU_DEP_3)
	v_mov_b32_e32 v2, v7
	v_lshlrev_b32_e32 v10, 3, v4
	v_lshl_add_u32 v11, v5, 6, 0x800
	s_mov_b64 s[6:7], 0
	v_mad_u64_u32 v[7:8], null, v14, s21, v[2:3]
	v_mad_u64_u32 v[2:3], null, v13, s27, v[1:2]
	s_delay_alu instid0(VALU_DEP_1) | instskip(NEXT) | instid1(VALU_DEP_3)
	v_dual_mov_b32 v1, v2 :: v_dual_lshlrev_b32 v8, 3, v9
	v_lshlrev_b64 v[2:3], 3, v[6:7]
	s_delay_alu instid0(VALU_DEP_2) | instskip(NEXT) | instid1(VALU_DEP_2)
	v_lshlrev_b64 v[0:1], 3, v[0:1]
	v_add_co_u32 v2, vcc_lo, s10, v2
	s_delay_alu instid0(VALU_DEP_3) | instskip(NEXT) | instid1(VALU_DEP_3)
	v_add_co_ci_u32_e32 v3, vcc_lo, s11, v3, vcc_lo
	v_add_co_u32 v6, vcc_lo, s4, v0
	s_delay_alu instid0(VALU_DEP_4) | instskip(NEXT) | instid1(VALU_DEP_4)
	v_add_co_ci_u32_e32 v7, vcc_lo, s5, v1, vcc_lo
	v_add_co_u32 v0, vcc_lo, v2, 4
	s_delay_alu instid0(VALU_DEP_4) | instskip(NEXT) | instid1(VALU_DEP_4)
	v_add_co_ci_u32_e32 v1, vcc_lo, 0, v3, vcc_lo
	v_add_co_u32 v2, vcc_lo, v6, 4
	v_dual_mov_b32 v6, 0 :: v_dual_lshlrev_b32 v15, 3, v13
	v_mov_b32_e32 v13, 0
	v_lshl_or_b32 v16, v14, 8, v8
	v_mov_b32_e32 v8, 0
	v_add_co_ci_u32_e32 v3, vcc_lo, 0, v7, vcc_lo
	v_lshl_or_b32 v9, v12, 6, v15
	v_dual_mov_b32 v7, 0 :: v_dual_mov_b32 v12, 0
	v_dual_mov_b32 v15, 0 :: v_dual_mov_b32 v14, 0
	s_delay_alu instid0(VALU_DEP_3)
	v_add_nc_u32_e32 v17, 0x800, v9
	v_mov_b32_e32 v9, 0
	s_lshl_b64 s[4:5], s[26:27], 6
.LBB1082_2:                             ; =>This Inner Loop Header: Depth=1
	global_load_b64 v[18:19], v[0:1], off offset:-4
	global_load_b64 v[20:21], v[2:3], off offset:-4
	s_add_u32 s6, s6, 8
	v_add_co_u32 v0, vcc_lo, v0, s2
	s_addc_u32 s7, s7, 0
	v_add_co_ci_u32_e32 v1, vcc_lo, s3, v1, vcc_lo
	v_cmp_ge_u64_e64 s10, s[6:7], s[16:17]
	v_add_co_u32 v2, vcc_lo, v2, s4
	v_add_co_ci_u32_e32 v3, vcc_lo, s5, v3, vcc_lo
	s_waitcnt vmcnt(1)
	ds_store_b64 v16, v[18:19]
	s_waitcnt vmcnt(0)
	ds_store_b64 v17, v[20:21]
	s_waitcnt lgkmcnt(0)
	s_barrier
	buffer_gl0_inv
	ds_load_2addr_b64 v[18:21], v10 offset1:16
	ds_load_b128 v[22:25], v11
	ds_load_b128 v[26:29], v11 offset:1024
	ds_load_b128 v[30:33], v11 offset:16
	;; [unrolled: 1-line block ×4, first 2 shown]
	ds_load_2addr_b64 v[42:45], v10 offset0:32 offset1:48
	ds_load_2addr_b64 v[46:49], v10 offset0:64 offset1:80
	ds_load_b128 v[50:53], v11 offset:1040
	ds_load_2addr_b64 v[54:57], v10 offset0:96 offset1:112
	ds_load_2addr_b64 v[58:61], v10 offset0:128 offset1:144
	;; [unrolled: 1-line block ×4, first 2 shown]
	ds_load_b128 v[70:73], v11 offset:1056
	ds_load_b128 v[74:77], v11 offset:1072
	ds_load_2addr_b64 v[78:81], v10 offset0:224 offset1:240
	s_and_b32 vcc_lo, exec_lo, s10
	s_waitcnt lgkmcnt(0)
	s_barrier
	buffer_gl0_inv
	v_dual_mul_f32 v82, v23, v19 :: v_dual_mul_f32 v85, v22, v21
	v_dual_mul_f32 v83, v22, v19 :: v_dual_mul_f32 v84, v23, v21
	v_mul_f32_e32 v86, v27, v19
	v_dual_mul_f32 v19, v26, v19 :: v_dual_mul_f32 v90, v25, v45
	v_dual_mul_f32 v87, v27, v21 :: v_dual_mul_f32 v88, v25, v43
	v_mul_f32_e32 v21, v26, v21
	v_mul_f32_e32 v89, v24, v43
	;; [unrolled: 1-line block ×3, first 2 shown]
	v_fma_f32 v82, v22, v18, -v82
	v_fmac_f32_e32 v83, v23, v18
	v_fma_f32 v22, v22, v20, -v84
	v_dual_fmac_f32 v85, v23, v20 :: v_dual_mul_f32 v84, v30, v47
	v_fma_f32 v23, v26, v18, -v86
	v_fmac_f32_e32 v19, v27, v18
	v_fma_f32 v18, v26, v20, -v87
	v_dual_mul_f32 v26, v28, v43 :: v_dual_fmac_f32 v21, v27, v20
	v_mul_f32_e32 v20, v29, v43
	v_mul_f32_e32 v27, v29, v45
	v_dual_mul_f32 v43, v28, v45 :: v_dual_fmac_f32 v84, v31, v46
	v_fma_f32 v45, v24, v42, -v88
	v_fma_f32 v24, v24, v44, -v90
	v_dual_fmac_f32 v91, v25, v44 :: v_dual_mul_f32 v90, v32, v57
	v_dual_mul_f32 v86, v31, v49 :: v_dual_fmac_f32 v89, v25, v42
	v_dual_mul_f32 v25, v31, v47 :: v_dual_mul_f32 v88, v33, v57
	v_fma_f32 v20, v28, v42, -v20
	v_fmac_f32_e32 v26, v29, v42
	v_fma_f32 v27, v28, v44, -v27
	v_dual_fmac_f32 v43, v29, v44 :: v_dual_mul_f32 v28, v51, v47
	v_dual_mul_f32 v29, v50, v47 :: v_dual_mul_f32 v42, v51, v49
	v_mul_f32_e32 v44, v50, v49
	v_mul_f32_e32 v87, v30, v49
	v_mul_f32_e32 v47, v33, v55
	v_dual_mul_f32 v49, v32, v55 :: v_dual_fmac_f32 v90, v33, v56
	v_fma_f32 v25, v30, v46, -v25
	v_fma_f32 v30, v30, v48, -v86
	;; [unrolled: 1-line block ×3, first 2 shown]
	v_fmac_f32_e32 v44, v51, v48
	v_fmac_f32_e32 v87, v31, v48
	v_fma_f32 v31, v50, v48, -v42
	v_mul_f32_e32 v42, v53, v55
	v_mul_f32_e32 v48, v53, v57
	v_dual_mul_f32 v50, v52, v57 :: v_dual_fmac_f32 v29, v51, v46
	v_mul_f32_e32 v46, v52, v55
	v_fma_f32 v47, v32, v54, -v47
	v_fmac_f32_e32 v49, v33, v54
	v_fma_f32 v32, v32, v56, -v88
	s_delay_alu instid0(VALU_DEP_4)
	v_dual_mul_f32 v33, v35, v59 :: v_dual_fmac_f32 v46, v53, v54
	v_mul_f32_e32 v51, v34, v59
	v_mul_f32_e32 v55, v35, v61
	v_fma_f32 v42, v52, v54, -v42
	v_fma_f32 v48, v52, v56, -v48
	v_fmac_f32_e32 v50, v53, v56
	v_mul_f32_e32 v52, v71, v59
	v_dual_mul_f32 v53, v70, v59 :: v_dual_mul_f32 v86, v37, v65
	v_mul_f32_e32 v54, v71, v61
	v_dual_mul_f32 v56, v70, v61 :: v_dual_mul_f32 v59, v37, v63
	v_mul_f32_e32 v57, v34, v61
	v_mul_f32_e32 v61, v36, v63
	v_dual_mul_f32 v88, v36, v65 :: v_dual_fmac_f32 v51, v35, v58
	v_fma_f32 v33, v34, v58, -v33
	v_fmac_f32_e32 v53, v71, v58
	v_fmac_f32_e32 v56, v71, v60
	s_delay_alu instid0(VALU_DEP_4)
	v_fmac_f32_e32 v88, v37, v64
	v_fmac_f32_e32 v57, v35, v60
	v_fma_f32 v35, v70, v58, -v52
	v_fma_f32 v52, v70, v60, -v54
	v_mul_f32_e32 v54, v73, v63
	v_fma_f32 v34, v34, v60, -v55
	v_mul_f32_e32 v60, v72, v65
	v_dual_mul_f32 v55, v72, v63 :: v_dual_mul_f32 v70, v38, v69
	v_mul_f32_e32 v58, v73, v65
	v_fma_f32 v59, v36, v62, -v59
	v_fmac_f32_e32 v61, v37, v62
	v_fma_f32 v36, v36, v64, -v86
	v_dual_mul_f32 v37, v39, v67 :: v_dual_fmac_f32 v60, v73, v64
	v_dual_mul_f32 v63, v38, v67 :: v_dual_mul_f32 v86, v40, v81
	v_mul_f32_e32 v65, v39, v69
	v_fma_f32 v54, v72, v62, -v54
	v_fmac_f32_e32 v55, v73, v62
	v_fma_f32 v58, v72, v64, -v58
	v_mul_f32_e32 v72, v40, v79
	v_mul_f32_e32 v62, v75, v67
	v_dual_mul_f32 v64, v74, v67 :: v_dual_mul_f32 v67, v75, v69
	v_dual_mul_f32 v69, v74, v69 :: v_dual_fmac_f32 v70, v39, v68
	s_delay_alu instid0(VALU_DEP_2)
	v_dual_mul_f32 v71, v41, v79 :: v_dual_fmac_f32 v64, v75, v66
	v_fma_f32 v37, v38, v66, -v37
	v_fmac_f32_e32 v63, v39, v66
	v_fma_f32 v38, v38, v68, -v65
	v_fma_f32 v39, v74, v66, -v62
	v_dual_fmac_f32 v69, v75, v68 :: v_dual_fmac_f32 v72, v41, v78
	v_mul_f32_e32 v66, v76, v79
	v_fma_f32 v62, v74, v68, -v67
	v_mul_f32_e32 v68, v76, v81
	v_dual_mul_f32 v73, v41, v81 :: v_dual_add_f32 v14, v14, v82
	v_dual_mul_f32 v65, v77, v79 :: v_dual_add_f32 v12, v12, v85
	;; [unrolled: 1-line block ×3, first 2 shown]
	v_dual_fmac_f32 v86, v41, v80 :: v_dual_add_f32 v15, v15, v83
	v_dual_fmac_f32 v68, v77, v80 :: v_dual_add_f32 v7, v7, v18
	v_dual_add_f32 v13, v13, v22 :: v_dual_add_f32 v6, v6, v21
	v_dual_add_f32 v9, v9, v19 :: v_dual_add_f32 v14, v14, v45
	s_delay_alu instid0(VALU_DEP_4) | instskip(NEXT) | instid1(VALU_DEP_3)
	v_dual_fmac_f32 v66, v77, v78 :: v_dual_add_f32 v15, v15, v89
	v_dual_add_f32 v13, v13, v24 :: v_dual_add_f32 v12, v12, v91
	s_delay_alu instid0(VALU_DEP_3) | instskip(NEXT) | instid1(VALU_DEP_4)
	v_dual_add_f32 v8, v8, v20 :: v_dual_add_f32 v9, v9, v26
	v_dual_add_f32 v7, v7, v27 :: v_dual_add_f32 v14, v14, v25
	s_delay_alu instid0(VALU_DEP_4) | instskip(NEXT) | instid1(VALU_DEP_4)
	v_dual_add_f32 v6, v6, v43 :: v_dual_add_f32 v15, v15, v84
	v_dual_add_f32 v13, v13, v30 :: v_dual_add_f32 v12, v12, v87
	s_delay_alu instid0(VALU_DEP_4) | instskip(NEXT) | instid1(VALU_DEP_3)
	v_dual_add_f32 v8, v8, v28 :: v_dual_add_f32 v9, v9, v29
	v_dual_add_f32 v7, v7, v31 :: v_dual_add_f32 v6, v6, v44
	s_delay_alu instid0(VALU_DEP_4) | instskip(NEXT) | instid1(VALU_DEP_4)
	v_dual_add_f32 v14, v14, v47 :: v_dual_add_f32 v15, v15, v49
	v_dual_add_f32 v13, v13, v32 :: v_dual_add_f32 v12, v12, v90
	s_delay_alu instid0(VALU_DEP_3) | instskip(NEXT) | instid1(VALU_DEP_3)
	v_dual_add_f32 v8, v8, v42 :: v_dual_add_f32 v7, v7, v48
	v_dual_add_f32 v9, v9, v46 :: v_dual_add_f32 v14, v14, v33
	s_delay_alu instid0(VALU_DEP_4) | instskip(NEXT) | instid1(VALU_DEP_4)
	v_dual_add_f32 v6, v6, v50 :: v_dual_add_f32 v15, v15, v51
	v_dual_add_f32 v13, v13, v34 :: v_dual_add_f32 v12, v12, v57
	s_delay_alu instid0(VALU_DEP_3) | instskip(NEXT) | instid1(VALU_DEP_4)
	v_dual_add_f32 v8, v8, v35 :: v_dual_add_f32 v9, v9, v53
	v_dual_add_f32 v7, v7, v52 :: v_dual_add_f32 v14, v14, v59
	s_delay_alu instid0(VALU_DEP_4) | instskip(NEXT) | instid1(VALU_DEP_3)
	v_dual_add_f32 v6, v6, v56 :: v_dual_add_f32 v15, v15, v61
	v_dual_add_f32 v13, v13, v36 :: v_dual_add_f32 v8, v8, v54
	s_delay_alu instid0(VALU_DEP_4) | instskip(NEXT) | instid1(VALU_DEP_3)
	v_dual_add_f32 v12, v12, v88 :: v_dual_add_f32 v9, v9, v55
	v_dual_add_f32 v7, v7, v58 :: v_dual_add_f32 v6, v6, v60
	v_fma_f32 v71, v40, v78, -v71
	v_fma_f32 v40, v40, v80, -v73
	;; [unrolled: 1-line block ×4, first 2 shown]
	v_dual_add_f32 v14, v14, v37 :: v_dual_add_f32 v15, v15, v63
	v_dual_add_f32 v13, v13, v38 :: v_dual_add_f32 v8, v8, v39
	;; [unrolled: 1-line block ×4, first 2 shown]
	s_delay_alu instid0(VALU_DEP_4) | instskip(NEXT) | instid1(VALU_DEP_3)
	v_dual_add_f32 v14, v14, v71 :: v_dual_add_f32 v15, v15, v72
	v_dual_add_f32 v13, v13, v40 :: v_dual_add_f32 v12, v12, v86
	s_delay_alu instid0(VALU_DEP_4) | instskip(NEXT) | instid1(VALU_DEP_4)
	v_dual_add_f32 v8, v8, v41 :: v_dual_add_f32 v9, v9, v66
	v_dual_add_f32 v7, v7, v65 :: v_dual_add_f32 v6, v6, v68
	s_cbranch_vccz .LBB1082_2
.LBB1082_3:
	s_load_b128 s[4:7], s[0:1], 0x48
	v_add_nc_u32_e32 v5, s9, v5
	s_load_b32 s9, s[0:1], 0x0
	s_delay_alu instid0(VALU_DEP_1) | instskip(SKIP_1) | instid1(VALU_DEP_1)
	v_ashrrev_i32_e32 v0, 31, v5
	s_waitcnt lgkmcnt(0)
	v_mul_lo_u32 v3, v0, s4
	v_mul_lo_u32 v10, v5, s5
	v_mad_u64_u32 v[1:2], null, v5, s4, 0
	s_mul_i32 s1, s15, s7
	s_mul_hi_u32 s3, s15, s6
	s_mul_i32 s2, s15, s6
	s_add_i32 s3, s3, s1
	v_add_nc_u32_e32 v0, s8, v4
	s_lshl_b64 s[2:3], s[2:3], 3
	s_delay_alu instid0(VALU_DEP_2)
	v_add3_u32 v2, v2, v10, v3
	s_add_u32 s2, s30, s2
	s_addc_u32 s3, s31, s3
	v_cmp_le_i32_e64 s0, v5, v0
	v_cmp_gt_i32_e32 vcc_lo, s9, v0
	v_lshlrev_b64 v[1:2], 3, v[1:2]
	s_delay_alu instid0(VALU_DEP_3) | instskip(NEXT) | instid1(VALU_DEP_1)
	s_and_b32 s0, s0, vcc_lo
	v_add_co_u32 v4, s1, s2, v1
	s_delay_alu instid0(VALU_DEP_1)
	v_add_co_ci_u32_e64 v10, s1, s3, v2, s1
	s_and_saveexec_b32 s1, s0
	s_cbranch_execz .LBB1082_5
; %bb.4:
	v_ashrrev_i32_e32 v1, 31, v0
	s_delay_alu instid0(VALU_DEP_1) | instskip(NEXT) | instid1(VALU_DEP_1)
	v_lshlrev_b64 v[1:2], 3, v[0:1]
	v_add_co_u32 v1, s0, v4, v1
	s_delay_alu instid0(VALU_DEP_1)
	v_add_co_ci_u32_e64 v2, s0, v10, v2, s0
	global_load_b64 v[16:17], v[1:2], off
	s_waitcnt vmcnt(0)
	v_dual_add_f32 v14, v14, v16 :: v_dual_add_f32 v15, v15, v17
	global_store_b64 v[1:2], v[14:15], off
.LBB1082_5:
	s_or_b32 exec_lo, exec_lo, s1
	v_add_nc_u32_e32 v2, 16, v0
	s_delay_alu instid0(VALU_DEP_1) | instskip(SKIP_1) | instid1(VALU_DEP_1)
	v_cmp_le_i32_e64 s1, v5, v2
	v_cmp_gt_i32_e64 s0, s9, v2
	s_and_b32 s1, s1, s0
	s_delay_alu instid0(SALU_CYCLE_1)
	s_and_saveexec_b32 s6, s1
	s_cbranch_execz .LBB1082_7
; %bb.6:
	v_ashrrev_i32_e32 v3, 31, v2
	s_delay_alu instid0(VALU_DEP_1) | instskip(NEXT) | instid1(VALU_DEP_1)
	v_lshlrev_b64 v[14:15], 3, v[2:3]
	v_add_co_u32 v3, s1, v4, v14
	s_delay_alu instid0(VALU_DEP_1)
	v_add_co_ci_u32_e64 v4, s1, v10, v15, s1
	global_load_b64 v[10:11], v[3:4], off
	s_waitcnt vmcnt(0)
	v_dual_add_f32 v10, v13, v10 :: v_dual_add_f32 v11, v12, v11
	global_store_b64 v[3:4], v[10:11], off
.LBB1082_7:
	s_or_b32 exec_lo, exec_lo, s6
	v_add_nc_u32_e32 v3, 16, v5
	s_delay_alu instid0(VALU_DEP_1) | instskip(SKIP_3) | instid1(VALU_DEP_4)
	v_ashrrev_i32_e32 v1, 31, v3
	v_mul_lo_u32 v10, v3, s5
	v_mad_u64_u32 v[4:5], null, v3, s4, 0
	v_cmp_le_i32_e64 s1, v3, v0
	v_mul_lo_u32 v1, v1, s4
	s_delay_alu instid0(VALU_DEP_1) | instskip(NEXT) | instid1(VALU_DEP_1)
	v_add3_u32 v5, v5, v10, v1
	v_lshlrev_b64 v[4:5], 3, v[4:5]
	s_delay_alu instid0(VALU_DEP_1) | instskip(NEXT) | instid1(VALU_DEP_1)
	v_add_co_u32 v4, s2, s2, v4
	v_add_co_ci_u32_e64 v5, s2, s3, v5, s2
	s_and_b32 s2, s1, vcc_lo
	s_delay_alu instid0(SALU_CYCLE_1)
	s_and_saveexec_b32 s1, s2
	s_cbranch_execz .LBB1082_9
; %bb.8:
	v_ashrrev_i32_e32 v1, 31, v0
	s_delay_alu instid0(VALU_DEP_1) | instskip(NEXT) | instid1(VALU_DEP_1)
	v_lshlrev_b64 v[0:1], 3, v[0:1]
	v_add_co_u32 v0, vcc_lo, v4, v0
	s_delay_alu instid0(VALU_DEP_2)
	v_add_co_ci_u32_e32 v1, vcc_lo, v5, v1, vcc_lo
	global_load_b64 v[10:11], v[0:1], off
	s_waitcnt vmcnt(0)
	v_dual_add_f32 v8, v8, v10 :: v_dual_add_f32 v9, v9, v11
	global_store_b64 v[0:1], v[8:9], off
.LBB1082_9:
	s_or_b32 exec_lo, exec_lo, s1
	v_cmp_le_i32_e32 vcc_lo, v3, v2
	s_and_b32 s0, vcc_lo, s0
	s_delay_alu instid0(SALU_CYCLE_1)
	s_and_saveexec_b32 s1, s0
	s_cbranch_execz .LBB1082_11
; %bb.10:
	v_ashrrev_i32_e32 v3, 31, v2
	s_delay_alu instid0(VALU_DEP_1) | instskip(NEXT) | instid1(VALU_DEP_1)
	v_lshlrev_b64 v[0:1], 3, v[2:3]
	v_add_co_u32 v0, vcc_lo, v4, v0
	s_delay_alu instid0(VALU_DEP_2)
	v_add_co_ci_u32_e32 v1, vcc_lo, v5, v1, vcc_lo
	global_load_b64 v[2:3], v[0:1], off
	s_waitcnt vmcnt(0)
	v_dual_add_f32 v2, v7, v2 :: v_dual_add_f32 v3, v6, v3
	global_store_b64 v[0:1], v[2:3], off
.LBB1082_11:
	s_nop 0
	s_sendmsg sendmsg(MSG_DEALLOC_VGPRS)
	s_endpgm
	.section	.rodata,"a",@progbits
	.p2align	6, 0x0
	.amdhsa_kernel _ZL37rocblas_syrkx_herkx_restricted_kernelIl19rocblas_complex_numIfELi16ELi32ELi8ELi1ELi1ELb0ELc78ELc76EKS1_S1_EviT_PT9_S3_lS5_S3_lPT10_S3_li
		.amdhsa_group_segment_fixed_size 4096
		.amdhsa_private_segment_fixed_size 0
		.amdhsa_kernarg_size 92
		.amdhsa_user_sgpr_count 13
		.amdhsa_user_sgpr_dispatch_ptr 0
		.amdhsa_user_sgpr_queue_ptr 0
		.amdhsa_user_sgpr_kernarg_segment_ptr 1
		.amdhsa_user_sgpr_dispatch_id 0
		.amdhsa_user_sgpr_private_segment_size 0
		.amdhsa_wavefront_size32 1
		.amdhsa_uses_dynamic_stack 0
		.amdhsa_enable_private_segment 0
		.amdhsa_system_sgpr_workgroup_id_x 1
		.amdhsa_system_sgpr_workgroup_id_y 1
		.amdhsa_system_sgpr_workgroup_id_z 1
		.amdhsa_system_sgpr_workgroup_info 0
		.amdhsa_system_vgpr_workitem_id 1
		.amdhsa_next_free_vgpr 92
		.amdhsa_next_free_sgpr 32
		.amdhsa_reserve_vcc 1
		.amdhsa_float_round_mode_32 0
		.amdhsa_float_round_mode_16_64 0
		.amdhsa_float_denorm_mode_32 3
		.amdhsa_float_denorm_mode_16_64 3
		.amdhsa_dx10_clamp 1
		.amdhsa_ieee_mode 1
		.amdhsa_fp16_overflow 0
		.amdhsa_workgroup_processor_mode 1
		.amdhsa_memory_ordered 1
		.amdhsa_forward_progress 0
		.amdhsa_shared_vgpr_count 0
		.amdhsa_exception_fp_ieee_invalid_op 0
		.amdhsa_exception_fp_denorm_src 0
		.amdhsa_exception_fp_ieee_div_zero 0
		.amdhsa_exception_fp_ieee_overflow 0
		.amdhsa_exception_fp_ieee_underflow 0
		.amdhsa_exception_fp_ieee_inexact 0
		.amdhsa_exception_int_div_zero 0
	.end_amdhsa_kernel
	.section	.text._ZL37rocblas_syrkx_herkx_restricted_kernelIl19rocblas_complex_numIfELi16ELi32ELi8ELi1ELi1ELb0ELc78ELc76EKS1_S1_EviT_PT9_S3_lS5_S3_lPT10_S3_li,"axG",@progbits,_ZL37rocblas_syrkx_herkx_restricted_kernelIl19rocblas_complex_numIfELi16ELi32ELi8ELi1ELi1ELb0ELc78ELc76EKS1_S1_EviT_PT9_S3_lS5_S3_lPT10_S3_li,comdat
.Lfunc_end1082:
	.size	_ZL37rocblas_syrkx_herkx_restricted_kernelIl19rocblas_complex_numIfELi16ELi32ELi8ELi1ELi1ELb0ELc78ELc76EKS1_S1_EviT_PT9_S3_lS5_S3_lPT10_S3_li, .Lfunc_end1082-_ZL37rocblas_syrkx_herkx_restricted_kernelIl19rocblas_complex_numIfELi16ELi32ELi8ELi1ELi1ELb0ELc78ELc76EKS1_S1_EviT_PT9_S3_lS5_S3_lPT10_S3_li
                                        ; -- End function
	.section	.AMDGPU.csdata,"",@progbits
; Kernel info:
; codeLenInByte = 2200
; NumSgprs: 34
; NumVgprs: 92
; ScratchSize: 0
; MemoryBound: 0
; FloatMode: 240
; IeeeMode: 1
; LDSByteSize: 4096 bytes/workgroup (compile time only)
; SGPRBlocks: 4
; VGPRBlocks: 11
; NumSGPRsForWavesPerEU: 34
; NumVGPRsForWavesPerEU: 92
; Occupancy: 16
; WaveLimiterHint : 1
; COMPUTE_PGM_RSRC2:SCRATCH_EN: 0
; COMPUTE_PGM_RSRC2:USER_SGPR: 13
; COMPUTE_PGM_RSRC2:TRAP_HANDLER: 0
; COMPUTE_PGM_RSRC2:TGID_X_EN: 1
; COMPUTE_PGM_RSRC2:TGID_Y_EN: 1
; COMPUTE_PGM_RSRC2:TGID_Z_EN: 1
; COMPUTE_PGM_RSRC2:TIDIG_COMP_CNT: 1
	.section	.text._ZL37rocblas_syrkx_herkx_restricted_kernelIl19rocblas_complex_numIfELi16ELi32ELi8ELi1ELi1ELb0ELc84ELc85EKS1_S1_EviT_PT9_S3_lS5_S3_lPT10_S3_li,"axG",@progbits,_ZL37rocblas_syrkx_herkx_restricted_kernelIl19rocblas_complex_numIfELi16ELi32ELi8ELi1ELi1ELb0ELc84ELc85EKS1_S1_EviT_PT9_S3_lS5_S3_lPT10_S3_li,comdat
	.globl	_ZL37rocblas_syrkx_herkx_restricted_kernelIl19rocblas_complex_numIfELi16ELi32ELi8ELi1ELi1ELb0ELc84ELc85EKS1_S1_EviT_PT9_S3_lS5_S3_lPT10_S3_li ; -- Begin function _ZL37rocblas_syrkx_herkx_restricted_kernelIl19rocblas_complex_numIfELi16ELi32ELi8ELi1ELi1ELb0ELc84ELc85EKS1_S1_EviT_PT9_S3_lS5_S3_lPT10_S3_li
	.p2align	8
	.type	_ZL37rocblas_syrkx_herkx_restricted_kernelIl19rocblas_complex_numIfELi16ELi32ELi8ELi1ELi1ELb0ELc84ELc85EKS1_S1_EviT_PT9_S3_lS5_S3_lPT10_S3_li,@function
_ZL37rocblas_syrkx_herkx_restricted_kernelIl19rocblas_complex_numIfELi16ELi32ELi8ELi1ELi1ELb0ELc84ELc85EKS1_S1_EviT_PT9_S3_lS5_S3_lPT10_S3_li: ; @_ZL37rocblas_syrkx_herkx_restricted_kernelIl19rocblas_complex_numIfELi16ELi32ELi8ELi1ELi1ELb0ELc84ELc85EKS1_S1_EviT_PT9_S3_lS5_S3_lPT10_S3_li
; %bb.0:
	s_load_b512 s[16:31], s[0:1], 0x8
	v_dual_mov_b32 v15, 0 :: v_dual_mov_b32 v16, 0
	v_dual_mov_b32 v13, 0 :: v_dual_mov_b32 v12, 0
	;; [unrolled: 1-line block ×4, first 2 shown]
	v_and_b32_e32 v6, 0x3ff, v0
	v_bfe_u32 v7, v0, 10, 10
	s_lshl_b32 s8, s13, 5
	s_lshl_b32 s9, s14, 5
	s_waitcnt lgkmcnt(0)
	v_cmp_lt_i64_e64 s2, s[16:17], 1
	s_delay_alu instid0(VALU_DEP_1)
	s_and_b32 vcc_lo, exec_lo, s2
	s_cbranch_vccnz .LBB1083_3
; %bb.1:
	v_lshl_add_u32 v2, v7, 4, v6
	v_dual_mov_b32 v1, 0 :: v_dual_and_b32 v0, 7, v6
	s_mul_i32 s3, s23, s15
	s_mul_hi_u32 s4, s22, s15
	s_delay_alu instid0(VALU_DEP_2)
	v_and_b32_e32 v10, 31, v2
	v_lshrrev_b32_e32 v12, 3, v2
	v_mov_b32_e32 v3, v1
	v_lshrrev_b32_e32 v2, 5, v2
	v_lshlrev_b32_e32 v14, 3, v0
	v_add_nc_u32_e32 v8, s8, v10
	v_add_nc_u32_e32 v13, s9, v12
	s_mul_i32 s2, s22, s15
	s_add_i32 s3, s4, s3
	s_mul_hi_u32 s5, s28, s15
	v_ashrrev_i32_e32 v9, 31, v8
	v_mad_u64_u32 v[4:5], null, s20, v8, v[2:3]
	v_mul_lo_u32 v3, s21, v8
	s_lshl_b64 s[2:3], s[2:3], 3
	s_delay_alu instid0(VALU_DEP_3)
	v_mul_lo_u32 v16, s20, v9
	v_mad_u64_u32 v[8:9], null, v13, s26, v[0:1]
	v_lshlrev_b32_e32 v0, 3, v10
	v_lshl_or_b32 v10, v12, 6, v14
	s_add_u32 s4, s18, s2
	s_mul_i32 s2, s29, s15
	s_addc_u32 s6, s19, s3
	s_delay_alu instid0(VALU_DEP_4)
	v_add3_u32 v5, v3, v5, v16
	v_add_nc_u32_e32 v14, 0x800, v10
	v_mov_b32_e32 v10, v1
	v_ashrrev_i32_e32 v15, 31, v13
	v_mul_lo_u32 v17, v13, s27
	s_add_i32 s3, s5, s2
	s_mul_i32 s2, s28, s15
	v_lshlrev_b32_e32 v11, 3, v6
	v_mul_lo_u32 v13, v15, s26
	v_mov_b32_e32 v15, v1
	v_lshl_or_b32 v0, v2, 8, v0
	v_lshlrev_b64 v[2:3], 3, v[4:5]
	s_lshl_b64 s[2:3], s[2:3], 3
	v_mov_b32_e32 v12, v1
	s_add_u32 s2, s24, s2
	s_addc_u32 s3, s25, s3
	v_add3_u32 v9, v13, v9, v17
	v_add_co_u32 v2, vcc_lo, s4, v2
	v_add_co_ci_u32_e32 v3, vcc_lo, s6, v3, vcc_lo
	s_delay_alu instid0(VALU_DEP_3)
	v_lshlrev_b64 v[4:5], 3, v[8:9]
	v_mov_b32_e32 v8, v1
	v_lshl_add_u32 v17, v7, 6, 0x800
	v_mov_b32_e32 v9, v1
	v_mov_b32_e32 v13, v1
	;; [unrolled: 1-line block ×3, first 2 shown]
	v_add_co_u32 v4, vcc_lo, s2, v4
	v_add_co_ci_u32_e32 v5, vcc_lo, s3, v5, vcc_lo
	v_add_co_u32 v2, vcc_lo, v2, 4
	v_add_co_ci_u32_e32 v3, vcc_lo, 0, v3, vcc_lo
	s_delay_alu instid0(VALU_DEP_4) | instskip(NEXT) | instid1(VALU_DEP_4)
	v_add_co_u32 v4, vcc_lo, v4, 4
	v_add_co_ci_u32_e32 v5, vcc_lo, 0, v5, vcc_lo
	s_mov_b64 s[2:3], 0
.LBB1083_2:                             ; =>This Inner Loop Header: Depth=1
	global_load_b64 v[18:19], v[2:3], off offset:-4
	global_load_b64 v[20:21], v[4:5], off offset:-4
	s_add_u32 s2, s2, 8
	v_add_co_u32 v2, vcc_lo, v2, 64
	s_addc_u32 s3, s3, 0
	v_add_co_ci_u32_e32 v3, vcc_lo, 0, v3, vcc_lo
	v_cmp_ge_u64_e64 s4, s[2:3], s[16:17]
	v_add_co_u32 v4, vcc_lo, v4, 64
	v_add_co_ci_u32_e32 v5, vcc_lo, 0, v5, vcc_lo
	s_waitcnt vmcnt(1)
	ds_store_b64 v0, v[18:19]
	s_waitcnt vmcnt(0)
	ds_store_b64 v14, v[20:21]
	s_waitcnt lgkmcnt(0)
	s_barrier
	buffer_gl0_inv
	ds_load_2addr_b64 v[18:21], v11 offset1:16
	ds_load_b128 v[22:25], v17
	ds_load_b128 v[26:29], v17 offset:1024
	ds_load_b128 v[30:33], v17 offset:16
	;; [unrolled: 1-line block ×4, first 2 shown]
	ds_load_2addr_b64 v[42:45], v11 offset0:32 offset1:48
	ds_load_2addr_b64 v[46:49], v11 offset0:64 offset1:80
	ds_load_b128 v[50:53], v17 offset:1040
	ds_load_2addr_b64 v[54:57], v11 offset0:96 offset1:112
	ds_load_2addr_b64 v[58:61], v11 offset0:128 offset1:144
	;; [unrolled: 1-line block ×4, first 2 shown]
	ds_load_b128 v[70:73], v17 offset:1056
	ds_load_b128 v[74:77], v17 offset:1072
	ds_load_2addr_b64 v[78:81], v11 offset0:224 offset1:240
	s_and_b32 vcc_lo, exec_lo, s4
	s_waitcnt lgkmcnt(0)
	s_barrier
	buffer_gl0_inv
	v_dual_mul_f32 v82, v23, v19 :: v_dual_mul_f32 v85, v22, v21
	v_dual_mul_f32 v83, v22, v19 :: v_dual_mul_f32 v84, v23, v21
	v_mul_f32_e32 v86, v27, v19
	v_dual_mul_f32 v19, v26, v19 :: v_dual_mul_f32 v90, v25, v45
	v_dual_mul_f32 v87, v27, v21 :: v_dual_mul_f32 v88, v25, v43
	v_mul_f32_e32 v21, v26, v21
	v_fma_f32 v82, v22, v18, -v82
	v_fmac_f32_e32 v83, v23, v18
	v_fma_f32 v22, v22, v20, -v84
	v_fmac_f32_e32 v85, v23, v20
	v_fma_f32 v23, v26, v18, -v86
	v_dual_fmac_f32 v19, v27, v18 :: v_dual_mul_f32 v86, v30, v47
	v_fma_f32 v18, v26, v20, -v87
	v_dual_fmac_f32 v21, v27, v20 :: v_dual_mul_f32 v20, v24, v45
	v_mul_f32_e32 v89, v24, v43
	v_mul_f32_e32 v26, v29, v43
	;; [unrolled: 1-line block ×4, first 2 shown]
	v_fmac_f32_e32 v20, v25, v44
	v_fmac_f32_e32 v89, v25, v42
	v_dual_mul_f32 v25, v28, v45 :: v_dual_fmac_f32 v86, v31, v46
	v_fma_f32 v84, v24, v42, -v88
	v_fma_f32 v24, v24, v44, -v90
	v_dual_mul_f32 v45, v31, v47 :: v_dual_mul_f32 v90, v33, v57
	v_fma_f32 v26, v28, v42, -v26
	v_fma_f32 v28, v28, v44, -v43
	v_fmac_f32_e32 v25, v29, v44
	v_dual_mul_f32 v43, v50, v47 :: v_dual_mul_f32 v44, v51, v49
	v_dual_fmac_f32 v27, v29, v42 :: v_dual_mul_f32 v42, v51, v47
	v_dual_mul_f32 v88, v32, v55 :: v_dual_mul_f32 v29, v30, v49
	v_mul_f32_e32 v87, v31, v49
	v_fma_f32 v45, v30, v46, -v45
	v_add_f32_e32 v16, v16, v83
	s_delay_alu instid0(VALU_DEP_4)
	v_dual_fmac_f32 v88, v33, v54 :: v_dual_fmac_f32 v29, v31, v48
	v_fma_f32 v31, v50, v46, -v42
	v_fma_f32 v42, v50, v48, -v44
	v_mul_f32_e32 v44, v32, v57
	v_mul_f32_e32 v47, v50, v49
	v_dual_mul_f32 v50, v53, v57 :: v_dual_fmac_f32 v43, v51, v46
	v_mul_f32_e32 v46, v53, v55
	v_mul_f32_e32 v49, v33, v55
	v_fma_f32 v30, v30, v48, -v87
	v_fmac_f32_e32 v44, v33, v56
	v_dual_fmac_f32 v47, v51, v48 :: v_dual_mul_f32 v48, v52, v55
	v_mul_f32_e32 v33, v52, v57
	v_fma_f32 v46, v52, v54, -v46
	v_fma_f32 v50, v52, v56, -v50
	v_mul_f32_e32 v52, v34, v61
	v_fma_f32 v49, v32, v54, -v49
	v_fma_f32 v32, v32, v56, -v90
	v_dual_mul_f32 v51, v35, v59 :: v_dual_fmac_f32 v48, v53, v54
	v_mul_f32_e32 v54, v70, v59
	v_dual_mul_f32 v55, v34, v59 :: v_dual_fmac_f32 v52, v35, v60
	v_fmac_f32_e32 v33, v53, v56
	v_mul_f32_e32 v53, v71, v59
	v_mul_f32_e32 v56, v71, v61
	;; [unrolled: 1-line block ×3, first 2 shown]
	v_fmac_f32_e32 v54, v71, v58
	v_fmac_f32_e32 v55, v35, v58
	v_fma_f32 v35, v70, v58, -v53
	v_fma_f32 v53, v70, v60, -v56
	v_mul_f32_e32 v56, v36, v65
	v_mul_f32_e32 v59, v70, v61
	v_fma_f32 v51, v34, v58, -v51
	v_mul_f32_e32 v58, v72, v63
	v_mul_f32_e32 v87, v36, v63
	;; [unrolled: 1-line block ×4, first 2 shown]
	v_fma_f32 v34, v34, v60, -v57
	v_mul_f32_e32 v57, v73, v63
	v_fmac_f32_e32 v56, v37, v64
	v_dual_fmac_f32 v59, v71, v60 :: v_dual_mul_f32 v60, v73, v65
	v_mul_f32_e32 v63, v39, v67
	v_mul_f32_e32 v70, v39, v69
	v_fmac_f32_e32 v58, v73, v62
	v_fmac_f32_e32 v87, v37, v62
	v_mul_f32_e32 v37, v72, v65
	v_fma_f32 v61, v36, v62, -v61
	v_fma_f32 v36, v36, v64, -v90
	v_mul_f32_e32 v65, v38, v67
	v_fma_f32 v57, v72, v62, -v57
	v_fma_f32 v60, v72, v64, -v60
	v_dual_fmac_f32 v37, v73, v64 :: v_dual_mul_f32 v62, v38, v69
	v_mul_f32_e32 v64, v75, v67
	v_fma_f32 v63, v38, v66, -v63
	v_fma_f32 v38, v38, v68, -v70
	v_mul_f32_e32 v70, v76, v79
	v_mul_f32_e32 v67, v74, v67
	v_dual_add_f32 v10, v10, v19 :: v_dual_add_f32 v15, v15, v82
	s_delay_alu instid0(VALU_DEP_3) | instskip(NEXT) | instid1(VALU_DEP_2)
	v_dual_mul_f32 v71, v75, v69 :: v_dual_fmac_f32 v70, v77, v78
	v_dual_fmac_f32 v67, v75, v66 :: v_dual_add_f32 v10, v10, v27
	v_dual_mul_f32 v69, v74, v69 :: v_dual_add_f32 v8, v8, v18
	v_dual_fmac_f32 v65, v39, v66 :: v_dual_add_f32 v12, v12, v85
	v_fmac_f32_e32 v62, v39, v68
	v_fma_f32 v39, v74, v66, -v64
	v_mul_f32_e32 v66, v40, v81
	v_dual_add_f32 v1, v1, v21 :: v_dual_add_f32 v10, v10, v43
	v_mul_f32_e32 v73, v40, v79
	v_mul_f32_e32 v72, v41, v79
	v_mul_f32_e32 v90, v41, v81
	v_fma_f32 v64, v74, v68, -v71
	v_add_f32_e32 v10, v10, v48
	v_dual_fmac_f32 v69, v75, v68 :: v_dual_add_f32 v16, v16, v89
	v_dual_mul_f32 v71, v77, v81 :: v_dual_add_f32 v12, v12, v20
	v_dual_fmac_f32 v73, v41, v78 :: v_dual_add_f32 v8, v8, v28
	v_dual_fmac_f32 v66, v41, v80 :: v_dual_mul_f32 v41, v76, v81
	v_add_f32_e32 v10, v10, v54
	s_delay_alu instid0(VALU_DEP_4) | instskip(NEXT) | instid1(VALU_DEP_4)
	v_dual_add_f32 v13, v13, v22 :: v_dual_add_f32 v12, v12, v29
	v_dual_add_f32 v9, v9, v23 :: v_dual_add_f32 v8, v8, v42
	s_delay_alu instid0(VALU_DEP_4) | instskip(SKIP_1) | instid1(VALU_DEP_3)
	v_dual_fmac_f32 v41, v77, v80 :: v_dual_add_f32 v16, v16, v86
	v_add_f32_e32 v15, v15, v84
	v_add_f32_e32 v9, v9, v26
	v_dual_add_f32 v1, v1, v25 :: v_dual_add_f32 v12, v12, v44
	s_delay_alu instid0(VALU_DEP_4) | instskip(SKIP_1) | instid1(VALU_DEP_3)
	v_add_f32_e32 v16, v16, v88
	v_dual_add_f32 v13, v13, v24 :: v_dual_add_f32 v8, v8, v50
	v_dual_add_f32 v15, v15, v45 :: v_dual_add_f32 v12, v12, v52
	v_add_f32_e32 v9, v9, v31
	v_dual_add_f32 v1, v1, v47 :: v_dual_add_f32 v10, v10, v58
	s_delay_alu instid0(VALU_DEP_4) | instskip(SKIP_2) | instid1(VALU_DEP_3)
	v_dual_add_f32 v16, v16, v55 :: v_dual_add_f32 v13, v13, v30
	v_add_f32_e32 v8, v8, v53
	v_dual_add_f32 v15, v15, v49 :: v_dual_add_f32 v12, v12, v56
	v_dual_add_f32 v16, v16, v87 :: v_dual_add_f32 v13, v13, v32
	s_delay_alu instid0(VALU_DEP_3) | instskip(NEXT) | instid1(VALU_DEP_3)
	v_dual_add_f32 v9, v9, v46 :: v_dual_add_f32 v8, v8, v60
	v_dual_add_f32 v1, v1, v33 :: v_dual_add_f32 v12, v12, v62
	s_delay_alu instid0(VALU_DEP_3) | instskip(NEXT) | instid1(VALU_DEP_3)
	v_dual_add_f32 v15, v15, v51 :: v_dual_add_f32 v16, v16, v65
	v_dual_add_f32 v8, v8, v64 :: v_dual_add_f32 v13, v13, v34
	v_add_f32_e32 v10, v10, v67
	s_delay_alu instid0(VALU_DEP_3)
	v_dual_add_f32 v9, v9, v35 :: v_dual_add_f32 v16, v16, v73
	v_dual_add_f32 v1, v1, v59 :: v_dual_add_f32 v12, v12, v66
	v_mul_f32_e32 v68, v77, v79
	v_fma_f32 v71, v76, v80, -v71
	v_dual_add_f32 v15, v15, v61 :: v_dual_add_f32 v10, v10, v70
	v_add_f32_e32 v13, v13, v36
	s_delay_alu instid0(VALU_DEP_3)
	v_dual_add_f32 v9, v9, v57 :: v_dual_add_f32 v8, v8, v71
	v_add_f32_e32 v1, v1, v37
	v_fma_f32 v72, v40, v78, -v72
	v_fma_f32 v40, v40, v80, -v90
	;; [unrolled: 1-line block ×3, first 2 shown]
	v_add_f32_e32 v15, v15, v63
	v_add_f32_e32 v13, v13, v38
	;; [unrolled: 1-line block ×4, first 2 shown]
	s_delay_alu instid0(VALU_DEP_4) | instskip(NEXT) | instid1(VALU_DEP_4)
	v_add_f32_e32 v15, v15, v72
	v_add_f32_e32 v13, v13, v40
	s_delay_alu instid0(VALU_DEP_4) | instskip(NEXT) | instid1(VALU_DEP_4)
	v_add_f32_e32 v9, v9, v68
	v_add_f32_e32 v1, v1, v41
	s_cbranch_vccz .LBB1083_2
.LBB1083_3:
	s_clause 0x1
	s_load_b128 s[4:7], s[0:1], 0x48
	s_load_b32 s2, s[0:1], 0x0
	v_add_nc_u32_e32 v0, s9, v7
	s_delay_alu instid0(VALU_DEP_1) | instskip(SKIP_1) | instid1(VALU_DEP_1)
	v_ashrrev_i32_e32 v2, 31, v0
	s_waitcnt lgkmcnt(0)
	v_mul_lo_u32 v5, v2, s4
	v_mul_lo_u32 v7, v0, s5
	v_mad_u64_u32 v[3:4], null, v0, s4, 0
	s_mul_i32 s1, s15, s7
	s_mul_hi_u32 s3, s15, s6
	s_mul_i32 s6, s15, s6
	s_add_i32 s7, s3, s1
	v_add_nc_u32_e32 v2, s8, v6
	s_lshl_b64 s[6:7], s[6:7], 3
	s_delay_alu instid0(VALU_DEP_2)
	v_add3_u32 v4, v4, v7, v5
	s_add_u32 s3, s30, s6
	v_cmp_gt_i32_e32 vcc_lo, s2, v0
	v_cmp_le_i32_e64 s0, v2, v0
	s_addc_u32 s6, s31, s7
	v_lshlrev_b64 v[3:4], 3, v[3:4]
	s_delay_alu instid0(VALU_DEP_2) | instskip(NEXT) | instid1(VALU_DEP_1)
	s_and_b32 s0, vcc_lo, s0
	v_add_co_u32 v6, s1, s3, v3
	s_delay_alu instid0(VALU_DEP_1)
	v_add_co_ci_u32_e64 v7, s1, s6, v4, s1
	s_and_saveexec_b32 s1, s0
	s_cbranch_execz .LBB1083_5
; %bb.4:
	v_ashrrev_i32_e32 v3, 31, v2
	s_delay_alu instid0(VALU_DEP_1) | instskip(NEXT) | instid1(VALU_DEP_1)
	v_lshlrev_b64 v[3:4], 3, v[2:3]
	v_add_co_u32 v3, s0, v6, v3
	s_delay_alu instid0(VALU_DEP_1)
	v_add_co_ci_u32_e64 v4, s0, v7, v4, s0
	global_load_b64 v[17:18], v[3:4], off
	s_waitcnt vmcnt(0)
	v_dual_add_f32 v14, v15, v17 :: v_dual_add_f32 v15, v16, v18
	global_store_b64 v[3:4], v[14:15], off
.LBB1083_5:
	s_or_b32 exec_lo, exec_lo, s1
	v_add_nc_u32_e32 v4, 16, v2
	s_delay_alu instid0(VALU_DEP_1) | instskip(NEXT) | instid1(VALU_DEP_1)
	v_cmp_le_i32_e64 s0, v4, v0
	s_and_b32 s1, vcc_lo, s0
	s_delay_alu instid0(SALU_CYCLE_1)
	s_and_saveexec_b32 s0, s1
	s_cbranch_execz .LBB1083_7
; %bb.6:
	v_ashrrev_i32_e32 v5, 31, v4
	s_delay_alu instid0(VALU_DEP_1) | instskip(NEXT) | instid1(VALU_DEP_1)
	v_lshlrev_b64 v[14:15], 3, v[4:5]
	v_add_co_u32 v5, vcc_lo, v6, v14
	s_delay_alu instid0(VALU_DEP_2)
	v_add_co_ci_u32_e32 v6, vcc_lo, v7, v15, vcc_lo
	global_load_b64 v[14:15], v[5:6], off
	s_waitcnt vmcnt(0)
	v_dual_add_f32 v11, v13, v14 :: v_dual_add_f32 v12, v12, v15
	global_store_b64 v[5:6], v[11:12], off
.LBB1083_7:
	s_or_b32 exec_lo, exec_lo, s0
	v_add_nc_u32_e32 v0, 16, v0
	s_delay_alu instid0(VALU_DEP_1) | instskip(SKIP_3) | instid1(VALU_DEP_4)
	v_ashrrev_i32_e32 v3, 31, v0
	v_mul_lo_u32 v7, v0, s5
	v_mad_u64_u32 v[5:6], null, v0, s4, 0
	v_cmp_gt_i32_e32 vcc_lo, s2, v0
	v_mul_lo_u32 v3, v3, s4
	v_cmp_le_i32_e64 s0, v2, v0
	s_delay_alu instid0(VALU_DEP_1) | instskip(NEXT) | instid1(VALU_DEP_2)
	s_and_b32 s0, vcc_lo, s0
	v_add3_u32 v6, v6, v7, v3
	s_delay_alu instid0(VALU_DEP_1) | instskip(NEXT) | instid1(VALU_DEP_1)
	v_lshlrev_b64 v[6:7], 3, v[5:6]
	v_add_co_u32 v6, s1, s3, v6
	s_delay_alu instid0(VALU_DEP_1)
	v_add_co_ci_u32_e64 v7, s1, s6, v7, s1
	s_and_saveexec_b32 s1, s0
	s_cbranch_execz .LBB1083_9
; %bb.8:
	v_ashrrev_i32_e32 v3, 31, v2
	s_delay_alu instid0(VALU_DEP_1) | instskip(NEXT) | instid1(VALU_DEP_1)
	v_lshlrev_b64 v[2:3], 3, v[2:3]
	v_add_co_u32 v2, s0, v6, v2
	s_delay_alu instid0(VALU_DEP_1)
	v_add_co_ci_u32_e64 v3, s0, v7, v3, s0
	global_load_b64 v[11:12], v[2:3], off
	s_waitcnt vmcnt(0)
	v_dual_add_f32 v9, v9, v11 :: v_dual_add_f32 v10, v10, v12
	global_store_b64 v[2:3], v[9:10], off
.LBB1083_9:
	s_or_b32 exec_lo, exec_lo, s1
	v_cmp_le_i32_e64 s0, v4, v0
	s_delay_alu instid0(VALU_DEP_1) | instskip(NEXT) | instid1(SALU_CYCLE_1)
	s_and_b32 s0, vcc_lo, s0
	s_and_saveexec_b32 s1, s0
	s_cbranch_execz .LBB1083_11
; %bb.10:
	v_ashrrev_i32_e32 v5, 31, v4
	s_delay_alu instid0(VALU_DEP_1) | instskip(NEXT) | instid1(VALU_DEP_1)
	v_lshlrev_b64 v[2:3], 3, v[4:5]
	v_add_co_u32 v2, vcc_lo, v6, v2
	s_delay_alu instid0(VALU_DEP_2)
	v_add_co_ci_u32_e32 v3, vcc_lo, v7, v3, vcc_lo
	global_load_b64 v[4:5], v[2:3], off
	s_waitcnt vmcnt(0)
	v_dual_add_f32 v0, v8, v4 :: v_dual_add_f32 v1, v1, v5
	global_store_b64 v[2:3], v[0:1], off
.LBB1083_11:
	s_nop 0
	s_sendmsg sendmsg(MSG_DEALLOC_VGPRS)
	s_endpgm
	.section	.rodata,"a",@progbits
	.p2align	6, 0x0
	.amdhsa_kernel _ZL37rocblas_syrkx_herkx_restricted_kernelIl19rocblas_complex_numIfELi16ELi32ELi8ELi1ELi1ELb0ELc84ELc85EKS1_S1_EviT_PT9_S3_lS5_S3_lPT10_S3_li
		.amdhsa_group_segment_fixed_size 4096
		.amdhsa_private_segment_fixed_size 0
		.amdhsa_kernarg_size 92
		.amdhsa_user_sgpr_count 13
		.amdhsa_user_sgpr_dispatch_ptr 0
		.amdhsa_user_sgpr_queue_ptr 0
		.amdhsa_user_sgpr_kernarg_segment_ptr 1
		.amdhsa_user_sgpr_dispatch_id 0
		.amdhsa_user_sgpr_private_segment_size 0
		.amdhsa_wavefront_size32 1
		.amdhsa_uses_dynamic_stack 0
		.amdhsa_enable_private_segment 0
		.amdhsa_system_sgpr_workgroup_id_x 1
		.amdhsa_system_sgpr_workgroup_id_y 1
		.amdhsa_system_sgpr_workgroup_id_z 1
		.amdhsa_system_sgpr_workgroup_info 0
		.amdhsa_system_vgpr_workitem_id 1
		.amdhsa_next_free_vgpr 91
		.amdhsa_next_free_sgpr 32
		.amdhsa_reserve_vcc 1
		.amdhsa_float_round_mode_32 0
		.amdhsa_float_round_mode_16_64 0
		.amdhsa_float_denorm_mode_32 3
		.amdhsa_float_denorm_mode_16_64 3
		.amdhsa_dx10_clamp 1
		.amdhsa_ieee_mode 1
		.amdhsa_fp16_overflow 0
		.amdhsa_workgroup_processor_mode 1
		.amdhsa_memory_ordered 1
		.amdhsa_forward_progress 0
		.amdhsa_shared_vgpr_count 0
		.amdhsa_exception_fp_ieee_invalid_op 0
		.amdhsa_exception_fp_denorm_src 0
		.amdhsa_exception_fp_ieee_div_zero 0
		.amdhsa_exception_fp_ieee_overflow 0
		.amdhsa_exception_fp_ieee_underflow 0
		.amdhsa_exception_fp_ieee_inexact 0
		.amdhsa_exception_int_div_zero 0
	.end_amdhsa_kernel
	.section	.text._ZL37rocblas_syrkx_herkx_restricted_kernelIl19rocblas_complex_numIfELi16ELi32ELi8ELi1ELi1ELb0ELc84ELc85EKS1_S1_EviT_PT9_S3_lS5_S3_lPT10_S3_li,"axG",@progbits,_ZL37rocblas_syrkx_herkx_restricted_kernelIl19rocblas_complex_numIfELi16ELi32ELi8ELi1ELi1ELb0ELc84ELc85EKS1_S1_EviT_PT9_S3_lS5_S3_lPT10_S3_li,comdat
.Lfunc_end1083:
	.size	_ZL37rocblas_syrkx_herkx_restricted_kernelIl19rocblas_complex_numIfELi16ELi32ELi8ELi1ELi1ELb0ELc84ELc85EKS1_S1_EviT_PT9_S3_lS5_S3_lPT10_S3_li, .Lfunc_end1083-_ZL37rocblas_syrkx_herkx_restricted_kernelIl19rocblas_complex_numIfELi16ELi32ELi8ELi1ELi1ELb0ELc84ELc85EKS1_S1_EviT_PT9_S3_lS5_S3_lPT10_S3_li
                                        ; -- End function
	.section	.AMDGPU.csdata,"",@progbits
; Kernel info:
; codeLenInByte = 2204
; NumSgprs: 34
; NumVgprs: 91
; ScratchSize: 0
; MemoryBound: 0
; FloatMode: 240
; IeeeMode: 1
; LDSByteSize: 4096 bytes/workgroup (compile time only)
; SGPRBlocks: 4
; VGPRBlocks: 11
; NumSGPRsForWavesPerEU: 34
; NumVGPRsForWavesPerEU: 91
; Occupancy: 16
; WaveLimiterHint : 1
; COMPUTE_PGM_RSRC2:SCRATCH_EN: 0
; COMPUTE_PGM_RSRC2:USER_SGPR: 13
; COMPUTE_PGM_RSRC2:TRAP_HANDLER: 0
; COMPUTE_PGM_RSRC2:TGID_X_EN: 1
; COMPUTE_PGM_RSRC2:TGID_Y_EN: 1
; COMPUTE_PGM_RSRC2:TGID_Z_EN: 1
; COMPUTE_PGM_RSRC2:TIDIG_COMP_CNT: 1
	.section	.text._ZL37rocblas_syrkx_herkx_restricted_kernelIl19rocblas_complex_numIfELi16ELi32ELi8ELi1ELi1ELb0ELc67ELc85EKS1_S1_EviT_PT9_S3_lS5_S3_lPT10_S3_li,"axG",@progbits,_ZL37rocblas_syrkx_herkx_restricted_kernelIl19rocblas_complex_numIfELi16ELi32ELi8ELi1ELi1ELb0ELc67ELc85EKS1_S1_EviT_PT9_S3_lS5_S3_lPT10_S3_li,comdat
	.globl	_ZL37rocblas_syrkx_herkx_restricted_kernelIl19rocblas_complex_numIfELi16ELi32ELi8ELi1ELi1ELb0ELc67ELc85EKS1_S1_EviT_PT9_S3_lS5_S3_lPT10_S3_li ; -- Begin function _ZL37rocblas_syrkx_herkx_restricted_kernelIl19rocblas_complex_numIfELi16ELi32ELi8ELi1ELi1ELb0ELc67ELc85EKS1_S1_EviT_PT9_S3_lS5_S3_lPT10_S3_li
	.p2align	8
	.type	_ZL37rocblas_syrkx_herkx_restricted_kernelIl19rocblas_complex_numIfELi16ELi32ELi8ELi1ELi1ELb0ELc67ELc85EKS1_S1_EviT_PT9_S3_lS5_S3_lPT10_S3_li,@function
_ZL37rocblas_syrkx_herkx_restricted_kernelIl19rocblas_complex_numIfELi16ELi32ELi8ELi1ELi1ELb0ELc67ELc85EKS1_S1_EviT_PT9_S3_lS5_S3_lPT10_S3_li: ; @_ZL37rocblas_syrkx_herkx_restricted_kernelIl19rocblas_complex_numIfELi16ELi32ELi8ELi1ELi1ELb0ELc67ELc85EKS1_S1_EviT_PT9_S3_lS5_S3_lPT10_S3_li
; %bb.0:
	s_load_b512 s[16:31], s[0:1], 0x8
	v_dual_mov_b32 v15, 0 :: v_dual_mov_b32 v16, 0
	v_dual_mov_b32 v13, 0 :: v_dual_mov_b32 v12, 0
	;; [unrolled: 1-line block ×4, first 2 shown]
	v_and_b32_e32 v6, 0x3ff, v0
	v_bfe_u32 v7, v0, 10, 10
	s_lshl_b32 s8, s13, 5
	s_lshl_b32 s9, s14, 5
	s_waitcnt lgkmcnt(0)
	v_cmp_lt_i64_e64 s2, s[16:17], 1
	s_delay_alu instid0(VALU_DEP_1)
	s_and_b32 vcc_lo, exec_lo, s2
	s_cbranch_vccnz .LBB1084_3
; %bb.1:
	v_lshl_add_u32 v2, v7, 4, v6
	v_dual_mov_b32 v1, 0 :: v_dual_and_b32 v0, 7, v6
	s_mul_i32 s3, s23, s15
	s_mul_hi_u32 s4, s22, s15
	s_delay_alu instid0(VALU_DEP_2)
	v_and_b32_e32 v10, 31, v2
	v_lshrrev_b32_e32 v12, 3, v2
	v_mov_b32_e32 v3, v1
	v_lshrrev_b32_e32 v2, 5, v2
	v_lshlrev_b32_e32 v14, 3, v0
	v_add_nc_u32_e32 v8, s8, v10
	v_add_nc_u32_e32 v13, s9, v12
	s_mul_i32 s2, s22, s15
	s_add_i32 s3, s4, s3
	s_mul_hi_u32 s5, s28, s15
	v_ashrrev_i32_e32 v9, 31, v8
	v_mad_u64_u32 v[4:5], null, s20, v8, v[2:3]
	v_mul_lo_u32 v3, s21, v8
	s_lshl_b64 s[2:3], s[2:3], 3
	s_delay_alu instid0(VALU_DEP_3)
	v_mul_lo_u32 v16, s20, v9
	v_mad_u64_u32 v[8:9], null, v13, s26, v[0:1]
	v_lshlrev_b32_e32 v0, 3, v10
	v_lshl_or_b32 v10, v12, 6, v14
	s_add_u32 s4, s18, s2
	s_mul_i32 s2, s29, s15
	s_addc_u32 s6, s19, s3
	s_delay_alu instid0(VALU_DEP_4)
	v_add3_u32 v5, v3, v5, v16
	v_add_nc_u32_e32 v14, 0x800, v10
	v_mov_b32_e32 v10, v1
	v_ashrrev_i32_e32 v15, 31, v13
	v_mul_lo_u32 v17, v13, s27
	s_add_i32 s3, s5, s2
	s_mul_i32 s2, s28, s15
	v_lshlrev_b32_e32 v11, 3, v6
	v_mul_lo_u32 v13, v15, s26
	v_mov_b32_e32 v15, v1
	v_lshl_or_b32 v0, v2, 8, v0
	v_lshlrev_b64 v[2:3], 3, v[4:5]
	s_lshl_b64 s[2:3], s[2:3], 3
	v_mov_b32_e32 v12, v1
	s_add_u32 s2, s24, s2
	s_addc_u32 s3, s25, s3
	v_add3_u32 v9, v13, v9, v17
	v_add_co_u32 v2, vcc_lo, s4, v2
	v_add_co_ci_u32_e32 v3, vcc_lo, s6, v3, vcc_lo
	s_delay_alu instid0(VALU_DEP_3)
	v_lshlrev_b64 v[4:5], 3, v[8:9]
	v_mov_b32_e32 v8, v1
	v_lshl_add_u32 v17, v7, 6, 0x800
	v_mov_b32_e32 v9, v1
	v_mov_b32_e32 v13, v1
	;; [unrolled: 1-line block ×3, first 2 shown]
	v_add_co_u32 v4, vcc_lo, s2, v4
	v_add_co_ci_u32_e32 v5, vcc_lo, s3, v5, vcc_lo
	v_add_co_u32 v2, vcc_lo, v2, 4
	v_add_co_ci_u32_e32 v3, vcc_lo, 0, v3, vcc_lo
	s_delay_alu instid0(VALU_DEP_4) | instskip(NEXT) | instid1(VALU_DEP_4)
	v_add_co_u32 v4, vcc_lo, v4, 4
	v_add_co_ci_u32_e32 v5, vcc_lo, 0, v5, vcc_lo
	s_mov_b64 s[2:3], 0
.LBB1084_2:                             ; =>This Inner Loop Header: Depth=1
	global_load_b64 v[18:19], v[2:3], off offset:-4
	global_load_b64 v[20:21], v[4:5], off offset:-4
	s_add_u32 s2, s2, 8
	v_add_co_u32 v2, vcc_lo, v2, 64
	s_addc_u32 s3, s3, 0
	v_add_co_ci_u32_e32 v3, vcc_lo, 0, v3, vcc_lo
	v_cmp_ge_u64_e64 s4, s[2:3], s[16:17]
	v_add_co_u32 v4, vcc_lo, v4, 64
	v_add_co_ci_u32_e32 v5, vcc_lo, 0, v5, vcc_lo
	s_waitcnt vmcnt(1)
	ds_store_b64 v0, v[18:19]
	s_waitcnt vmcnt(0)
	ds_store_b64 v14, v[20:21]
	s_waitcnt lgkmcnt(0)
	s_barrier
	buffer_gl0_inv
	ds_load_2addr_b64 v[18:21], v11 offset1:16
	ds_load_b128 v[22:25], v17
	ds_load_b128 v[26:29], v17 offset:1024
	ds_load_b128 v[30:33], v17 offset:16
	;; [unrolled: 1-line block ×4, first 2 shown]
	ds_load_2addr_b64 v[42:45], v11 offset0:32 offset1:48
	ds_load_2addr_b64 v[46:49], v11 offset0:64 offset1:80
	ds_load_b128 v[50:53], v17 offset:1040
	ds_load_2addr_b64 v[54:57], v11 offset0:96 offset1:112
	ds_load_2addr_b64 v[58:61], v11 offset0:128 offset1:144
	;; [unrolled: 1-line block ×4, first 2 shown]
	ds_load_b128 v[70:73], v17 offset:1056
	ds_load_b128 v[74:77], v17 offset:1072
	ds_load_2addr_b64 v[78:81], v11 offset0:224 offset1:240
	s_and_b32 vcc_lo, exec_lo, s4
	s_waitcnt lgkmcnt(0)
	s_barrier
	buffer_gl0_inv
	v_dual_mul_f32 v82, v23, v19 :: v_dual_mul_f32 v85, v22, v21
	v_dual_mul_f32 v83, v22, v19 :: v_dual_mul_f32 v84, v23, v21
	v_mul_f32_e32 v86, v27, v19
	v_dual_mul_f32 v19, v26, v19 :: v_dual_mul_f32 v90, v25, v45
	v_dual_mul_f32 v87, v27, v21 :: v_dual_mul_f32 v88, v25, v43
	v_mul_f32_e32 v21, v26, v21
	v_fma_f32 v82, v22, v18, -v82
	v_fmac_f32_e32 v83, v23, v18
	v_fma_f32 v22, v22, v20, -v84
	v_fmac_f32_e32 v85, v23, v20
	v_fma_f32 v23, v26, v18, -v86
	v_dual_fmac_f32 v19, v27, v18 :: v_dual_mul_f32 v86, v30, v47
	v_fma_f32 v18, v26, v20, -v87
	v_dual_fmac_f32 v21, v27, v20 :: v_dual_mul_f32 v20, v24, v45
	v_mul_f32_e32 v89, v24, v43
	v_mul_f32_e32 v26, v29, v43
	;; [unrolled: 1-line block ×4, first 2 shown]
	v_fmac_f32_e32 v20, v25, v44
	v_fmac_f32_e32 v89, v25, v42
	v_dual_mul_f32 v25, v28, v45 :: v_dual_fmac_f32 v86, v31, v46
	v_fma_f32 v84, v24, v42, -v88
	v_fma_f32 v24, v24, v44, -v90
	v_dual_mul_f32 v45, v31, v47 :: v_dual_mul_f32 v90, v33, v57
	v_fma_f32 v26, v28, v42, -v26
	v_fma_f32 v28, v28, v44, -v43
	v_fmac_f32_e32 v25, v29, v44
	v_dual_mul_f32 v43, v50, v47 :: v_dual_mul_f32 v44, v51, v49
	v_dual_fmac_f32 v27, v29, v42 :: v_dual_mul_f32 v42, v51, v47
	v_dual_mul_f32 v88, v32, v55 :: v_dual_mul_f32 v29, v30, v49
	v_mul_f32_e32 v87, v31, v49
	v_fma_f32 v45, v30, v46, -v45
	v_add_f32_e32 v16, v16, v83
	s_delay_alu instid0(VALU_DEP_4)
	v_dual_fmac_f32 v88, v33, v54 :: v_dual_fmac_f32 v29, v31, v48
	v_fma_f32 v31, v50, v46, -v42
	v_fma_f32 v42, v50, v48, -v44
	v_mul_f32_e32 v44, v32, v57
	v_mul_f32_e32 v47, v50, v49
	v_dual_mul_f32 v50, v53, v57 :: v_dual_fmac_f32 v43, v51, v46
	v_mul_f32_e32 v46, v53, v55
	v_mul_f32_e32 v49, v33, v55
	v_fma_f32 v30, v30, v48, -v87
	v_fmac_f32_e32 v44, v33, v56
	v_dual_fmac_f32 v47, v51, v48 :: v_dual_mul_f32 v48, v52, v55
	v_mul_f32_e32 v33, v52, v57
	v_fma_f32 v46, v52, v54, -v46
	v_fma_f32 v50, v52, v56, -v50
	v_mul_f32_e32 v52, v34, v61
	v_fma_f32 v49, v32, v54, -v49
	v_fma_f32 v32, v32, v56, -v90
	v_dual_mul_f32 v51, v35, v59 :: v_dual_fmac_f32 v48, v53, v54
	v_mul_f32_e32 v54, v70, v59
	v_dual_mul_f32 v55, v34, v59 :: v_dual_fmac_f32 v52, v35, v60
	v_fmac_f32_e32 v33, v53, v56
	v_mul_f32_e32 v53, v71, v59
	v_mul_f32_e32 v56, v71, v61
	;; [unrolled: 1-line block ×3, first 2 shown]
	v_fmac_f32_e32 v54, v71, v58
	v_fmac_f32_e32 v55, v35, v58
	v_fma_f32 v35, v70, v58, -v53
	v_fma_f32 v53, v70, v60, -v56
	v_mul_f32_e32 v56, v36, v65
	v_mul_f32_e32 v59, v70, v61
	v_fma_f32 v51, v34, v58, -v51
	v_mul_f32_e32 v58, v72, v63
	v_mul_f32_e32 v87, v36, v63
	;; [unrolled: 1-line block ×4, first 2 shown]
	v_fma_f32 v34, v34, v60, -v57
	v_mul_f32_e32 v57, v73, v63
	v_fmac_f32_e32 v56, v37, v64
	v_dual_fmac_f32 v59, v71, v60 :: v_dual_mul_f32 v60, v73, v65
	v_mul_f32_e32 v63, v39, v67
	v_mul_f32_e32 v70, v39, v69
	v_fmac_f32_e32 v58, v73, v62
	v_fmac_f32_e32 v87, v37, v62
	v_mul_f32_e32 v37, v72, v65
	v_fma_f32 v61, v36, v62, -v61
	v_fma_f32 v36, v36, v64, -v90
	v_mul_f32_e32 v65, v38, v67
	v_fma_f32 v57, v72, v62, -v57
	v_fma_f32 v60, v72, v64, -v60
	v_dual_fmac_f32 v37, v73, v64 :: v_dual_mul_f32 v62, v38, v69
	v_mul_f32_e32 v64, v75, v67
	v_fma_f32 v63, v38, v66, -v63
	v_fma_f32 v38, v38, v68, -v70
	v_mul_f32_e32 v70, v76, v79
	v_mul_f32_e32 v67, v74, v67
	v_dual_add_f32 v10, v10, v19 :: v_dual_add_f32 v15, v15, v82
	s_delay_alu instid0(VALU_DEP_3) | instskip(NEXT) | instid1(VALU_DEP_2)
	v_dual_mul_f32 v71, v75, v69 :: v_dual_fmac_f32 v70, v77, v78
	v_dual_fmac_f32 v67, v75, v66 :: v_dual_add_f32 v10, v10, v27
	v_dual_mul_f32 v69, v74, v69 :: v_dual_add_f32 v8, v8, v18
	v_dual_fmac_f32 v65, v39, v66 :: v_dual_add_f32 v12, v12, v85
	v_fmac_f32_e32 v62, v39, v68
	v_fma_f32 v39, v74, v66, -v64
	v_mul_f32_e32 v66, v40, v81
	v_dual_add_f32 v1, v1, v21 :: v_dual_add_f32 v10, v10, v43
	v_mul_f32_e32 v73, v40, v79
	v_mul_f32_e32 v72, v41, v79
	;; [unrolled: 1-line block ×3, first 2 shown]
	v_fma_f32 v64, v74, v68, -v71
	v_add_f32_e32 v10, v10, v48
	v_dual_fmac_f32 v69, v75, v68 :: v_dual_add_f32 v16, v16, v89
	v_dual_mul_f32 v71, v77, v81 :: v_dual_add_f32 v12, v12, v20
	v_dual_fmac_f32 v73, v41, v78 :: v_dual_add_f32 v8, v8, v28
	v_dual_fmac_f32 v66, v41, v80 :: v_dual_mul_f32 v41, v76, v81
	v_add_f32_e32 v10, v10, v54
	s_delay_alu instid0(VALU_DEP_4) | instskip(NEXT) | instid1(VALU_DEP_4)
	v_dual_add_f32 v13, v13, v22 :: v_dual_add_f32 v12, v12, v29
	v_dual_add_f32 v9, v9, v23 :: v_dual_add_f32 v8, v8, v42
	s_delay_alu instid0(VALU_DEP_4) | instskip(SKIP_1) | instid1(VALU_DEP_3)
	v_dual_fmac_f32 v41, v77, v80 :: v_dual_add_f32 v16, v16, v86
	v_add_f32_e32 v15, v15, v84
	v_add_f32_e32 v9, v9, v26
	v_dual_add_f32 v1, v1, v25 :: v_dual_add_f32 v12, v12, v44
	s_delay_alu instid0(VALU_DEP_4) | instskip(SKIP_1) | instid1(VALU_DEP_3)
	v_add_f32_e32 v16, v16, v88
	v_dual_add_f32 v13, v13, v24 :: v_dual_add_f32 v8, v8, v50
	v_dual_add_f32 v15, v15, v45 :: v_dual_add_f32 v12, v12, v52
	v_add_f32_e32 v9, v9, v31
	v_dual_add_f32 v1, v1, v47 :: v_dual_add_f32 v10, v10, v58
	s_delay_alu instid0(VALU_DEP_4) | instskip(SKIP_2) | instid1(VALU_DEP_3)
	v_dual_add_f32 v16, v16, v55 :: v_dual_add_f32 v13, v13, v30
	v_add_f32_e32 v8, v8, v53
	v_dual_add_f32 v15, v15, v49 :: v_dual_add_f32 v12, v12, v56
	v_dual_add_f32 v16, v16, v87 :: v_dual_add_f32 v13, v13, v32
	s_delay_alu instid0(VALU_DEP_3) | instskip(NEXT) | instid1(VALU_DEP_3)
	v_dual_add_f32 v9, v9, v46 :: v_dual_add_f32 v8, v8, v60
	v_dual_add_f32 v1, v1, v33 :: v_dual_add_f32 v12, v12, v62
	s_delay_alu instid0(VALU_DEP_3) | instskip(NEXT) | instid1(VALU_DEP_3)
	v_dual_add_f32 v15, v15, v51 :: v_dual_add_f32 v16, v16, v65
	v_dual_add_f32 v8, v8, v64 :: v_dual_add_f32 v13, v13, v34
	v_add_f32_e32 v10, v10, v67
	s_delay_alu instid0(VALU_DEP_3)
	v_dual_add_f32 v9, v9, v35 :: v_dual_add_f32 v16, v16, v73
	v_dual_add_f32 v1, v1, v59 :: v_dual_add_f32 v12, v12, v66
	v_mul_f32_e32 v68, v77, v79
	v_fma_f32 v71, v76, v80, -v71
	v_dual_add_f32 v15, v15, v61 :: v_dual_add_f32 v10, v10, v70
	v_add_f32_e32 v13, v13, v36
	s_delay_alu instid0(VALU_DEP_3)
	v_dual_add_f32 v9, v9, v57 :: v_dual_add_f32 v8, v8, v71
	v_add_f32_e32 v1, v1, v37
	v_fma_f32 v72, v40, v78, -v72
	v_fma_f32 v40, v40, v80, -v90
	v_fma_f32 v68, v76, v78, -v68
	v_add_f32_e32 v15, v15, v63
	v_add_f32_e32 v13, v13, v38
	;; [unrolled: 1-line block ×4, first 2 shown]
	s_delay_alu instid0(VALU_DEP_4) | instskip(NEXT) | instid1(VALU_DEP_4)
	v_add_f32_e32 v15, v15, v72
	v_add_f32_e32 v13, v13, v40
	s_delay_alu instid0(VALU_DEP_4) | instskip(NEXT) | instid1(VALU_DEP_4)
	v_add_f32_e32 v9, v9, v68
	v_add_f32_e32 v1, v1, v41
	s_cbranch_vccz .LBB1084_2
.LBB1084_3:
	s_clause 0x1
	s_load_b128 s[4:7], s[0:1], 0x48
	s_load_b32 s2, s[0:1], 0x0
	v_add_nc_u32_e32 v0, s9, v7
	s_delay_alu instid0(VALU_DEP_1) | instskip(SKIP_1) | instid1(VALU_DEP_1)
	v_ashrrev_i32_e32 v2, 31, v0
	s_waitcnt lgkmcnt(0)
	v_mul_lo_u32 v5, v2, s4
	v_mul_lo_u32 v7, v0, s5
	v_mad_u64_u32 v[3:4], null, v0, s4, 0
	s_mul_i32 s1, s15, s7
	s_mul_hi_u32 s3, s15, s6
	s_mul_i32 s6, s15, s6
	s_add_i32 s7, s3, s1
	v_add_nc_u32_e32 v2, s8, v6
	s_lshl_b64 s[6:7], s[6:7], 3
	s_delay_alu instid0(VALU_DEP_2)
	v_add3_u32 v4, v4, v7, v5
	s_add_u32 s3, s30, s6
	v_cmp_gt_i32_e32 vcc_lo, s2, v0
	v_cmp_le_i32_e64 s0, v2, v0
	s_addc_u32 s6, s31, s7
	v_lshlrev_b64 v[3:4], 3, v[3:4]
	s_delay_alu instid0(VALU_DEP_2) | instskip(NEXT) | instid1(VALU_DEP_1)
	s_and_b32 s0, vcc_lo, s0
	v_add_co_u32 v6, s1, s3, v3
	s_delay_alu instid0(VALU_DEP_1)
	v_add_co_ci_u32_e64 v7, s1, s6, v4, s1
	s_and_saveexec_b32 s1, s0
	s_cbranch_execz .LBB1084_5
; %bb.4:
	v_ashrrev_i32_e32 v3, 31, v2
	s_delay_alu instid0(VALU_DEP_1) | instskip(NEXT) | instid1(VALU_DEP_1)
	v_lshlrev_b64 v[3:4], 3, v[2:3]
	v_add_co_u32 v3, s0, v6, v3
	s_delay_alu instid0(VALU_DEP_1)
	v_add_co_ci_u32_e64 v4, s0, v7, v4, s0
	global_load_b64 v[17:18], v[3:4], off
	s_waitcnt vmcnt(0)
	v_dual_add_f32 v14, v15, v17 :: v_dual_add_f32 v15, v16, v18
	global_store_b64 v[3:4], v[14:15], off
.LBB1084_5:
	s_or_b32 exec_lo, exec_lo, s1
	v_add_nc_u32_e32 v4, 16, v2
	s_delay_alu instid0(VALU_DEP_1) | instskip(NEXT) | instid1(VALU_DEP_1)
	v_cmp_le_i32_e64 s0, v4, v0
	s_and_b32 s1, vcc_lo, s0
	s_delay_alu instid0(SALU_CYCLE_1)
	s_and_saveexec_b32 s0, s1
	s_cbranch_execz .LBB1084_7
; %bb.6:
	v_ashrrev_i32_e32 v5, 31, v4
	s_delay_alu instid0(VALU_DEP_1) | instskip(NEXT) | instid1(VALU_DEP_1)
	v_lshlrev_b64 v[14:15], 3, v[4:5]
	v_add_co_u32 v5, vcc_lo, v6, v14
	s_delay_alu instid0(VALU_DEP_2)
	v_add_co_ci_u32_e32 v6, vcc_lo, v7, v15, vcc_lo
	global_load_b64 v[14:15], v[5:6], off
	s_waitcnt vmcnt(0)
	v_dual_add_f32 v11, v13, v14 :: v_dual_add_f32 v12, v12, v15
	global_store_b64 v[5:6], v[11:12], off
.LBB1084_7:
	s_or_b32 exec_lo, exec_lo, s0
	v_add_nc_u32_e32 v0, 16, v0
	s_delay_alu instid0(VALU_DEP_1) | instskip(SKIP_3) | instid1(VALU_DEP_4)
	v_ashrrev_i32_e32 v3, 31, v0
	v_mul_lo_u32 v7, v0, s5
	v_mad_u64_u32 v[5:6], null, v0, s4, 0
	v_cmp_gt_i32_e32 vcc_lo, s2, v0
	v_mul_lo_u32 v3, v3, s4
	v_cmp_le_i32_e64 s0, v2, v0
	s_delay_alu instid0(VALU_DEP_1) | instskip(NEXT) | instid1(VALU_DEP_2)
	s_and_b32 s0, vcc_lo, s0
	v_add3_u32 v6, v6, v7, v3
	s_delay_alu instid0(VALU_DEP_1) | instskip(NEXT) | instid1(VALU_DEP_1)
	v_lshlrev_b64 v[6:7], 3, v[5:6]
	v_add_co_u32 v6, s1, s3, v6
	s_delay_alu instid0(VALU_DEP_1)
	v_add_co_ci_u32_e64 v7, s1, s6, v7, s1
	s_and_saveexec_b32 s1, s0
	s_cbranch_execz .LBB1084_9
; %bb.8:
	v_ashrrev_i32_e32 v3, 31, v2
	s_delay_alu instid0(VALU_DEP_1) | instskip(NEXT) | instid1(VALU_DEP_1)
	v_lshlrev_b64 v[2:3], 3, v[2:3]
	v_add_co_u32 v2, s0, v6, v2
	s_delay_alu instid0(VALU_DEP_1)
	v_add_co_ci_u32_e64 v3, s0, v7, v3, s0
	global_load_b64 v[11:12], v[2:3], off
	s_waitcnt vmcnt(0)
	v_dual_add_f32 v9, v9, v11 :: v_dual_add_f32 v10, v10, v12
	global_store_b64 v[2:3], v[9:10], off
.LBB1084_9:
	s_or_b32 exec_lo, exec_lo, s1
	v_cmp_le_i32_e64 s0, v4, v0
	s_delay_alu instid0(VALU_DEP_1) | instskip(NEXT) | instid1(SALU_CYCLE_1)
	s_and_b32 s0, vcc_lo, s0
	s_and_saveexec_b32 s1, s0
	s_cbranch_execz .LBB1084_11
; %bb.10:
	v_ashrrev_i32_e32 v5, 31, v4
	s_delay_alu instid0(VALU_DEP_1) | instskip(NEXT) | instid1(VALU_DEP_1)
	v_lshlrev_b64 v[2:3], 3, v[4:5]
	v_add_co_u32 v2, vcc_lo, v6, v2
	s_delay_alu instid0(VALU_DEP_2)
	v_add_co_ci_u32_e32 v3, vcc_lo, v7, v3, vcc_lo
	global_load_b64 v[4:5], v[2:3], off
	s_waitcnt vmcnt(0)
	v_dual_add_f32 v0, v8, v4 :: v_dual_add_f32 v1, v1, v5
	global_store_b64 v[2:3], v[0:1], off
.LBB1084_11:
	s_nop 0
	s_sendmsg sendmsg(MSG_DEALLOC_VGPRS)
	s_endpgm
	.section	.rodata,"a",@progbits
	.p2align	6, 0x0
	.amdhsa_kernel _ZL37rocblas_syrkx_herkx_restricted_kernelIl19rocblas_complex_numIfELi16ELi32ELi8ELi1ELi1ELb0ELc67ELc85EKS1_S1_EviT_PT9_S3_lS5_S3_lPT10_S3_li
		.amdhsa_group_segment_fixed_size 4096
		.amdhsa_private_segment_fixed_size 0
		.amdhsa_kernarg_size 92
		.amdhsa_user_sgpr_count 13
		.amdhsa_user_sgpr_dispatch_ptr 0
		.amdhsa_user_sgpr_queue_ptr 0
		.amdhsa_user_sgpr_kernarg_segment_ptr 1
		.amdhsa_user_sgpr_dispatch_id 0
		.amdhsa_user_sgpr_private_segment_size 0
		.amdhsa_wavefront_size32 1
		.amdhsa_uses_dynamic_stack 0
		.amdhsa_enable_private_segment 0
		.amdhsa_system_sgpr_workgroup_id_x 1
		.amdhsa_system_sgpr_workgroup_id_y 1
		.amdhsa_system_sgpr_workgroup_id_z 1
		.amdhsa_system_sgpr_workgroup_info 0
		.amdhsa_system_vgpr_workitem_id 1
		.amdhsa_next_free_vgpr 91
		.amdhsa_next_free_sgpr 32
		.amdhsa_reserve_vcc 1
		.amdhsa_float_round_mode_32 0
		.amdhsa_float_round_mode_16_64 0
		.amdhsa_float_denorm_mode_32 3
		.amdhsa_float_denorm_mode_16_64 3
		.amdhsa_dx10_clamp 1
		.amdhsa_ieee_mode 1
		.amdhsa_fp16_overflow 0
		.amdhsa_workgroup_processor_mode 1
		.amdhsa_memory_ordered 1
		.amdhsa_forward_progress 0
		.amdhsa_shared_vgpr_count 0
		.amdhsa_exception_fp_ieee_invalid_op 0
		.amdhsa_exception_fp_denorm_src 0
		.amdhsa_exception_fp_ieee_div_zero 0
		.amdhsa_exception_fp_ieee_overflow 0
		.amdhsa_exception_fp_ieee_underflow 0
		.amdhsa_exception_fp_ieee_inexact 0
		.amdhsa_exception_int_div_zero 0
	.end_amdhsa_kernel
	.section	.text._ZL37rocblas_syrkx_herkx_restricted_kernelIl19rocblas_complex_numIfELi16ELi32ELi8ELi1ELi1ELb0ELc67ELc85EKS1_S1_EviT_PT9_S3_lS5_S3_lPT10_S3_li,"axG",@progbits,_ZL37rocblas_syrkx_herkx_restricted_kernelIl19rocblas_complex_numIfELi16ELi32ELi8ELi1ELi1ELb0ELc67ELc85EKS1_S1_EviT_PT9_S3_lS5_S3_lPT10_S3_li,comdat
.Lfunc_end1084:
	.size	_ZL37rocblas_syrkx_herkx_restricted_kernelIl19rocblas_complex_numIfELi16ELi32ELi8ELi1ELi1ELb0ELc67ELc85EKS1_S1_EviT_PT9_S3_lS5_S3_lPT10_S3_li, .Lfunc_end1084-_ZL37rocblas_syrkx_herkx_restricted_kernelIl19rocblas_complex_numIfELi16ELi32ELi8ELi1ELi1ELb0ELc67ELc85EKS1_S1_EviT_PT9_S3_lS5_S3_lPT10_S3_li
                                        ; -- End function
	.section	.AMDGPU.csdata,"",@progbits
; Kernel info:
; codeLenInByte = 2204
; NumSgprs: 34
; NumVgprs: 91
; ScratchSize: 0
; MemoryBound: 0
; FloatMode: 240
; IeeeMode: 1
; LDSByteSize: 4096 bytes/workgroup (compile time only)
; SGPRBlocks: 4
; VGPRBlocks: 11
; NumSGPRsForWavesPerEU: 34
; NumVGPRsForWavesPerEU: 91
; Occupancy: 16
; WaveLimiterHint : 1
; COMPUTE_PGM_RSRC2:SCRATCH_EN: 0
; COMPUTE_PGM_RSRC2:USER_SGPR: 13
; COMPUTE_PGM_RSRC2:TRAP_HANDLER: 0
; COMPUTE_PGM_RSRC2:TGID_X_EN: 1
; COMPUTE_PGM_RSRC2:TGID_Y_EN: 1
; COMPUTE_PGM_RSRC2:TGID_Z_EN: 1
; COMPUTE_PGM_RSRC2:TIDIG_COMP_CNT: 1
	.section	.text._ZL37rocblas_syrkx_herkx_restricted_kernelIl19rocblas_complex_numIfELi16ELi32ELi8ELi1ELi1ELb0ELc78ELc85EKS1_S1_EviT_PT9_S3_lS5_S3_lPT10_S3_li,"axG",@progbits,_ZL37rocblas_syrkx_herkx_restricted_kernelIl19rocblas_complex_numIfELi16ELi32ELi8ELi1ELi1ELb0ELc78ELc85EKS1_S1_EviT_PT9_S3_lS5_S3_lPT10_S3_li,comdat
	.globl	_ZL37rocblas_syrkx_herkx_restricted_kernelIl19rocblas_complex_numIfELi16ELi32ELi8ELi1ELi1ELb0ELc78ELc85EKS1_S1_EviT_PT9_S3_lS5_S3_lPT10_S3_li ; -- Begin function _ZL37rocblas_syrkx_herkx_restricted_kernelIl19rocblas_complex_numIfELi16ELi32ELi8ELi1ELi1ELb0ELc78ELc85EKS1_S1_EviT_PT9_S3_lS5_S3_lPT10_S3_li
	.p2align	8
	.type	_ZL37rocblas_syrkx_herkx_restricted_kernelIl19rocblas_complex_numIfELi16ELi32ELi8ELi1ELi1ELb0ELc78ELc85EKS1_S1_EviT_PT9_S3_lS5_S3_lPT10_S3_li,@function
_ZL37rocblas_syrkx_herkx_restricted_kernelIl19rocblas_complex_numIfELi16ELi32ELi8ELi1ELi1ELb0ELc78ELc85EKS1_S1_EviT_PT9_S3_lS5_S3_lPT10_S3_li: ; @_ZL37rocblas_syrkx_herkx_restricted_kernelIl19rocblas_complex_numIfELi16ELi32ELi8ELi1ELi1ELb0ELc78ELc85EKS1_S1_EviT_PT9_S3_lS5_S3_lPT10_S3_li
; %bb.0:
	s_load_b512 s[16:31], s[0:1], 0x8
	v_dual_mov_b32 v14, 0 :: v_dual_mov_b32 v15, 0
	v_dual_mov_b32 v13, 0 :: v_dual_mov_b32 v12, 0
	;; [unrolled: 1-line block ×3, first 2 shown]
	v_dual_mov_b32 v7, 0 :: v_dual_and_b32 v4, 0x3ff, v0
	v_bfe_u32 v5, v0, 10, 10
	v_mov_b32_e32 v6, 0
	s_lshl_b32 s8, s13, 5
	s_lshl_b32 s9, s14, 5
	s_waitcnt lgkmcnt(0)
	v_cmp_lt_i64_e64 s2, s[16:17], 1
	s_delay_alu instid0(VALU_DEP_1)
	s_and_b32 vcc_lo, exec_lo, s2
	s_cbranch_vccnz .LBB1085_3
; %bb.1:
	v_lshl_add_u32 v1, v5, 4, v4
	v_and_b32_e32 v13, 7, v4
	s_mul_i32 s3, s23, s15
	s_mul_hi_u32 s5, s22, s15
	s_mul_i32 s2, s22, s15
	v_and_b32_e32 v9, 31, v1
	v_lshrrev_b32_e32 v12, 3, v1
	v_lshrrev_b32_e32 v14, 5, v1
	s_add_i32 s3, s5, s3
	s_mul_i32 s6, s29, s15
	v_add_nc_u32_e32 v0, s8, v9
	v_add_nc_u32_e32 v2, s9, v12
	s_lshl_b64 s[2:3], s[2:3], 3
	s_mul_hi_u32 s7, s28, s15
	s_add_u32 s10, s18, s2
	v_ashrrev_i32_e32 v1, 31, v0
	v_ashrrev_i32_e32 v3, 31, v2
	s_mul_i32 s4, s28, s15
	s_addc_u32 s11, s19, s3
	s_add_i32 s5, s7, s6
	v_mad_u64_u32 v[6:7], null, v14, s20, v[0:1]
	v_mad_u64_u32 v[0:1], null, v13, s26, v[2:3]
	s_lshl_b64 s[4:5], s[4:5], 3
	s_lshl_b64 s[2:3], s[20:21], 6
	s_add_u32 s4, s24, s4
	s_addc_u32 s5, s25, s5
	s_delay_alu instid0(VALU_DEP_2) | instskip(SKIP_3) | instid1(VALU_DEP_3)
	v_mov_b32_e32 v2, v7
	v_lshlrev_b32_e32 v10, 3, v4
	v_lshl_add_u32 v11, v5, 6, 0x800
	s_mov_b64 s[6:7], 0
	v_mad_u64_u32 v[7:8], null, v14, s21, v[2:3]
	v_mad_u64_u32 v[2:3], null, v13, s27, v[1:2]
	s_delay_alu instid0(VALU_DEP_1) | instskip(NEXT) | instid1(VALU_DEP_3)
	v_dual_mov_b32 v1, v2 :: v_dual_lshlrev_b32 v8, 3, v9
	v_lshlrev_b64 v[2:3], 3, v[6:7]
	s_delay_alu instid0(VALU_DEP_2) | instskip(NEXT) | instid1(VALU_DEP_2)
	v_lshlrev_b64 v[0:1], 3, v[0:1]
	v_add_co_u32 v2, vcc_lo, s10, v2
	s_delay_alu instid0(VALU_DEP_3) | instskip(NEXT) | instid1(VALU_DEP_3)
	v_add_co_ci_u32_e32 v3, vcc_lo, s11, v3, vcc_lo
	v_add_co_u32 v6, vcc_lo, s4, v0
	s_delay_alu instid0(VALU_DEP_4) | instskip(NEXT) | instid1(VALU_DEP_4)
	v_add_co_ci_u32_e32 v7, vcc_lo, s5, v1, vcc_lo
	v_add_co_u32 v0, vcc_lo, v2, 4
	s_delay_alu instid0(VALU_DEP_4) | instskip(NEXT) | instid1(VALU_DEP_4)
	v_add_co_ci_u32_e32 v1, vcc_lo, 0, v3, vcc_lo
	v_add_co_u32 v2, vcc_lo, v6, 4
	v_dual_mov_b32 v6, 0 :: v_dual_lshlrev_b32 v15, 3, v13
	v_mov_b32_e32 v13, 0
	v_lshl_or_b32 v16, v14, 8, v8
	v_mov_b32_e32 v8, 0
	v_add_co_ci_u32_e32 v3, vcc_lo, 0, v7, vcc_lo
	v_lshl_or_b32 v9, v12, 6, v15
	v_dual_mov_b32 v7, 0 :: v_dual_mov_b32 v12, 0
	v_dual_mov_b32 v15, 0 :: v_dual_mov_b32 v14, 0
	s_delay_alu instid0(VALU_DEP_3)
	v_add_nc_u32_e32 v17, 0x800, v9
	v_mov_b32_e32 v9, 0
	s_lshl_b64 s[4:5], s[26:27], 6
.LBB1085_2:                             ; =>This Inner Loop Header: Depth=1
	global_load_b64 v[18:19], v[0:1], off offset:-4
	global_load_b64 v[20:21], v[2:3], off offset:-4
	s_add_u32 s6, s6, 8
	v_add_co_u32 v0, vcc_lo, v0, s2
	s_addc_u32 s7, s7, 0
	v_add_co_ci_u32_e32 v1, vcc_lo, s3, v1, vcc_lo
	v_cmp_ge_u64_e64 s10, s[6:7], s[16:17]
	v_add_co_u32 v2, vcc_lo, v2, s4
	v_add_co_ci_u32_e32 v3, vcc_lo, s5, v3, vcc_lo
	s_waitcnt vmcnt(1)
	ds_store_b64 v16, v[18:19]
	s_waitcnt vmcnt(0)
	ds_store_b64 v17, v[20:21]
	s_waitcnt lgkmcnt(0)
	s_barrier
	buffer_gl0_inv
	ds_load_2addr_b64 v[18:21], v10 offset1:16
	ds_load_b128 v[22:25], v11
	ds_load_b128 v[26:29], v11 offset:1024
	ds_load_b128 v[30:33], v11 offset:16
	;; [unrolled: 1-line block ×4, first 2 shown]
	ds_load_2addr_b64 v[42:45], v10 offset0:32 offset1:48
	ds_load_2addr_b64 v[46:49], v10 offset0:64 offset1:80
	ds_load_b128 v[50:53], v11 offset:1040
	ds_load_2addr_b64 v[54:57], v10 offset0:96 offset1:112
	ds_load_2addr_b64 v[58:61], v10 offset0:128 offset1:144
	;; [unrolled: 1-line block ×4, first 2 shown]
	ds_load_b128 v[70:73], v11 offset:1056
	ds_load_b128 v[74:77], v11 offset:1072
	ds_load_2addr_b64 v[78:81], v10 offset0:224 offset1:240
	s_and_b32 vcc_lo, exec_lo, s10
	s_waitcnt lgkmcnt(0)
	s_barrier
	buffer_gl0_inv
	v_dual_mul_f32 v82, v23, v19 :: v_dual_mul_f32 v85, v22, v21
	v_dual_mul_f32 v83, v22, v19 :: v_dual_mul_f32 v84, v23, v21
	v_mul_f32_e32 v86, v27, v19
	v_dual_mul_f32 v19, v26, v19 :: v_dual_mul_f32 v90, v25, v45
	v_dual_mul_f32 v87, v27, v21 :: v_dual_mul_f32 v88, v25, v43
	v_mul_f32_e32 v21, v26, v21
	v_mul_f32_e32 v89, v24, v43
	;; [unrolled: 1-line block ×3, first 2 shown]
	v_fma_f32 v82, v22, v18, -v82
	v_fmac_f32_e32 v83, v23, v18
	v_fma_f32 v22, v22, v20, -v84
	v_dual_fmac_f32 v85, v23, v20 :: v_dual_mul_f32 v84, v30, v47
	v_fma_f32 v23, v26, v18, -v86
	v_fmac_f32_e32 v19, v27, v18
	v_fma_f32 v18, v26, v20, -v87
	v_dual_mul_f32 v26, v28, v43 :: v_dual_fmac_f32 v21, v27, v20
	v_mul_f32_e32 v20, v29, v43
	v_mul_f32_e32 v27, v29, v45
	v_dual_mul_f32 v43, v28, v45 :: v_dual_fmac_f32 v84, v31, v46
	v_fma_f32 v45, v24, v42, -v88
	v_fma_f32 v24, v24, v44, -v90
	v_dual_fmac_f32 v91, v25, v44 :: v_dual_mul_f32 v90, v32, v57
	v_dual_mul_f32 v86, v31, v49 :: v_dual_fmac_f32 v89, v25, v42
	v_dual_mul_f32 v25, v31, v47 :: v_dual_mul_f32 v88, v33, v57
	v_fma_f32 v20, v28, v42, -v20
	v_fmac_f32_e32 v26, v29, v42
	v_fma_f32 v27, v28, v44, -v27
	v_dual_fmac_f32 v43, v29, v44 :: v_dual_mul_f32 v28, v51, v47
	v_dual_mul_f32 v29, v50, v47 :: v_dual_mul_f32 v42, v51, v49
	v_mul_f32_e32 v44, v50, v49
	v_mul_f32_e32 v87, v30, v49
	;; [unrolled: 1-line block ×3, first 2 shown]
	v_dual_mul_f32 v49, v32, v55 :: v_dual_fmac_f32 v90, v33, v56
	v_fma_f32 v25, v30, v46, -v25
	v_fma_f32 v30, v30, v48, -v86
	;; [unrolled: 1-line block ×3, first 2 shown]
	v_fmac_f32_e32 v44, v51, v48
	v_fmac_f32_e32 v87, v31, v48
	v_fma_f32 v31, v50, v48, -v42
	v_mul_f32_e32 v42, v53, v55
	v_mul_f32_e32 v48, v53, v57
	v_dual_mul_f32 v50, v52, v57 :: v_dual_fmac_f32 v29, v51, v46
	v_mul_f32_e32 v46, v52, v55
	v_fma_f32 v47, v32, v54, -v47
	v_fmac_f32_e32 v49, v33, v54
	v_fma_f32 v32, v32, v56, -v88
	s_delay_alu instid0(VALU_DEP_4)
	v_dual_mul_f32 v33, v35, v59 :: v_dual_fmac_f32 v46, v53, v54
	v_mul_f32_e32 v51, v34, v59
	v_mul_f32_e32 v55, v35, v61
	v_fma_f32 v42, v52, v54, -v42
	v_fma_f32 v48, v52, v56, -v48
	v_fmac_f32_e32 v50, v53, v56
	v_mul_f32_e32 v52, v71, v59
	v_dual_mul_f32 v53, v70, v59 :: v_dual_mul_f32 v86, v37, v65
	v_mul_f32_e32 v54, v71, v61
	v_dual_mul_f32 v56, v70, v61 :: v_dual_mul_f32 v59, v37, v63
	v_mul_f32_e32 v57, v34, v61
	v_mul_f32_e32 v61, v36, v63
	v_dual_mul_f32 v88, v36, v65 :: v_dual_fmac_f32 v51, v35, v58
	v_fma_f32 v33, v34, v58, -v33
	v_fmac_f32_e32 v53, v71, v58
	v_fmac_f32_e32 v56, v71, v60
	s_delay_alu instid0(VALU_DEP_4)
	v_fmac_f32_e32 v88, v37, v64
	v_fmac_f32_e32 v57, v35, v60
	v_fma_f32 v35, v70, v58, -v52
	v_fma_f32 v52, v70, v60, -v54
	v_mul_f32_e32 v54, v73, v63
	v_fma_f32 v34, v34, v60, -v55
	v_mul_f32_e32 v60, v72, v65
	v_dual_mul_f32 v55, v72, v63 :: v_dual_mul_f32 v70, v38, v69
	v_mul_f32_e32 v58, v73, v65
	v_fma_f32 v59, v36, v62, -v59
	v_fmac_f32_e32 v61, v37, v62
	v_fma_f32 v36, v36, v64, -v86
	v_dual_mul_f32 v37, v39, v67 :: v_dual_fmac_f32 v60, v73, v64
	v_dual_mul_f32 v63, v38, v67 :: v_dual_mul_f32 v86, v40, v81
	v_mul_f32_e32 v65, v39, v69
	v_fma_f32 v54, v72, v62, -v54
	v_fmac_f32_e32 v55, v73, v62
	v_fma_f32 v58, v72, v64, -v58
	v_mul_f32_e32 v72, v40, v79
	v_mul_f32_e32 v62, v75, v67
	v_dual_mul_f32 v64, v74, v67 :: v_dual_mul_f32 v67, v75, v69
	v_dual_mul_f32 v69, v74, v69 :: v_dual_fmac_f32 v70, v39, v68
	s_delay_alu instid0(VALU_DEP_2)
	v_dual_mul_f32 v71, v41, v79 :: v_dual_fmac_f32 v64, v75, v66
	v_fma_f32 v37, v38, v66, -v37
	v_fmac_f32_e32 v63, v39, v66
	v_fma_f32 v38, v38, v68, -v65
	v_fma_f32 v39, v74, v66, -v62
	v_dual_fmac_f32 v69, v75, v68 :: v_dual_fmac_f32 v72, v41, v78
	v_mul_f32_e32 v66, v76, v79
	v_fma_f32 v62, v74, v68, -v67
	v_mul_f32_e32 v68, v76, v81
	v_dual_mul_f32 v73, v41, v81 :: v_dual_add_f32 v14, v14, v82
	v_dual_mul_f32 v65, v77, v79 :: v_dual_add_f32 v12, v12, v85
	v_dual_mul_f32 v67, v77, v81 :: v_dual_add_f32 v8, v8, v23
	v_dual_fmac_f32 v86, v41, v80 :: v_dual_add_f32 v15, v15, v83
	v_dual_fmac_f32 v68, v77, v80 :: v_dual_add_f32 v7, v7, v18
	v_dual_add_f32 v13, v13, v22 :: v_dual_add_f32 v6, v6, v21
	v_dual_add_f32 v9, v9, v19 :: v_dual_add_f32 v14, v14, v45
	s_delay_alu instid0(VALU_DEP_4) | instskip(NEXT) | instid1(VALU_DEP_3)
	v_dual_fmac_f32 v66, v77, v78 :: v_dual_add_f32 v15, v15, v89
	v_dual_add_f32 v13, v13, v24 :: v_dual_add_f32 v12, v12, v91
	s_delay_alu instid0(VALU_DEP_3) | instskip(NEXT) | instid1(VALU_DEP_4)
	v_dual_add_f32 v8, v8, v20 :: v_dual_add_f32 v9, v9, v26
	v_dual_add_f32 v7, v7, v27 :: v_dual_add_f32 v14, v14, v25
	s_delay_alu instid0(VALU_DEP_4) | instskip(NEXT) | instid1(VALU_DEP_4)
	v_dual_add_f32 v6, v6, v43 :: v_dual_add_f32 v15, v15, v84
	v_dual_add_f32 v13, v13, v30 :: v_dual_add_f32 v12, v12, v87
	s_delay_alu instid0(VALU_DEP_4) | instskip(NEXT) | instid1(VALU_DEP_3)
	v_dual_add_f32 v8, v8, v28 :: v_dual_add_f32 v9, v9, v29
	v_dual_add_f32 v7, v7, v31 :: v_dual_add_f32 v6, v6, v44
	s_delay_alu instid0(VALU_DEP_4) | instskip(NEXT) | instid1(VALU_DEP_4)
	v_dual_add_f32 v14, v14, v47 :: v_dual_add_f32 v15, v15, v49
	v_dual_add_f32 v13, v13, v32 :: v_dual_add_f32 v12, v12, v90
	s_delay_alu instid0(VALU_DEP_3) | instskip(NEXT) | instid1(VALU_DEP_3)
	v_dual_add_f32 v8, v8, v42 :: v_dual_add_f32 v7, v7, v48
	v_dual_add_f32 v9, v9, v46 :: v_dual_add_f32 v14, v14, v33
	s_delay_alu instid0(VALU_DEP_4) | instskip(NEXT) | instid1(VALU_DEP_4)
	v_dual_add_f32 v6, v6, v50 :: v_dual_add_f32 v15, v15, v51
	v_dual_add_f32 v13, v13, v34 :: v_dual_add_f32 v12, v12, v57
	s_delay_alu instid0(VALU_DEP_3) | instskip(NEXT) | instid1(VALU_DEP_4)
	v_dual_add_f32 v8, v8, v35 :: v_dual_add_f32 v9, v9, v53
	v_dual_add_f32 v7, v7, v52 :: v_dual_add_f32 v14, v14, v59
	s_delay_alu instid0(VALU_DEP_4) | instskip(NEXT) | instid1(VALU_DEP_3)
	v_dual_add_f32 v6, v6, v56 :: v_dual_add_f32 v15, v15, v61
	v_dual_add_f32 v13, v13, v36 :: v_dual_add_f32 v8, v8, v54
	s_delay_alu instid0(VALU_DEP_4) | instskip(NEXT) | instid1(VALU_DEP_3)
	v_dual_add_f32 v12, v12, v88 :: v_dual_add_f32 v9, v9, v55
	v_dual_add_f32 v7, v7, v58 :: v_dual_add_f32 v6, v6, v60
	v_fma_f32 v71, v40, v78, -v71
	v_fma_f32 v40, v40, v80, -v73
	;; [unrolled: 1-line block ×4, first 2 shown]
	v_dual_add_f32 v14, v14, v37 :: v_dual_add_f32 v15, v15, v63
	v_dual_add_f32 v13, v13, v38 :: v_dual_add_f32 v8, v8, v39
	;; [unrolled: 1-line block ×4, first 2 shown]
	s_delay_alu instid0(VALU_DEP_4) | instskip(NEXT) | instid1(VALU_DEP_3)
	v_dual_add_f32 v14, v14, v71 :: v_dual_add_f32 v15, v15, v72
	v_dual_add_f32 v13, v13, v40 :: v_dual_add_f32 v12, v12, v86
	s_delay_alu instid0(VALU_DEP_4) | instskip(NEXT) | instid1(VALU_DEP_4)
	v_dual_add_f32 v8, v8, v41 :: v_dual_add_f32 v9, v9, v66
	v_dual_add_f32 v7, v7, v65 :: v_dual_add_f32 v6, v6, v68
	s_cbranch_vccz .LBB1085_2
.LBB1085_3:
	s_clause 0x1
	s_load_b128 s[4:7], s[0:1], 0x48
	s_load_b32 s2, s[0:1], 0x0
	v_add_nc_u32_e32 v5, s9, v5
	s_delay_alu instid0(VALU_DEP_1) | instskip(SKIP_1) | instid1(VALU_DEP_1)
	v_ashrrev_i32_e32 v0, 31, v5
	s_waitcnt lgkmcnt(0)
	v_mul_lo_u32 v3, v0, s4
	v_mul_lo_u32 v10, v5, s5
	v_mad_u64_u32 v[1:2], null, v5, s4, 0
	s_mul_i32 s1, s15, s7
	s_mul_hi_u32 s3, s15, s6
	s_mul_i32 s6, s15, s6
	s_add_i32 s7, s3, s1
	v_add_nc_u32_e32 v0, s8, v4
	s_lshl_b64 s[6:7], s[6:7], 3
	s_delay_alu instid0(VALU_DEP_2)
	v_add3_u32 v2, v2, v10, v3
	s_add_u32 s3, s30, s6
	v_cmp_gt_i32_e32 vcc_lo, s2, v5
	v_cmp_le_i32_e64 s0, v0, v5
	s_addc_u32 s6, s31, s7
	v_lshlrev_b64 v[1:2], 3, v[1:2]
	s_delay_alu instid0(VALU_DEP_2) | instskip(NEXT) | instid1(VALU_DEP_1)
	s_and_b32 s0, vcc_lo, s0
	v_add_co_u32 v4, s1, s3, v1
	s_delay_alu instid0(VALU_DEP_1)
	v_add_co_ci_u32_e64 v10, s1, s6, v2, s1
	s_and_saveexec_b32 s1, s0
	s_cbranch_execz .LBB1085_5
; %bb.4:
	v_ashrrev_i32_e32 v1, 31, v0
	s_delay_alu instid0(VALU_DEP_1) | instskip(NEXT) | instid1(VALU_DEP_1)
	v_lshlrev_b64 v[1:2], 3, v[0:1]
	v_add_co_u32 v1, s0, v4, v1
	s_delay_alu instid0(VALU_DEP_1)
	v_add_co_ci_u32_e64 v2, s0, v10, v2, s0
	global_load_b64 v[16:17], v[1:2], off
	s_waitcnt vmcnt(0)
	v_dual_add_f32 v14, v14, v16 :: v_dual_add_f32 v15, v15, v17
	global_store_b64 v[1:2], v[14:15], off
.LBB1085_5:
	s_or_b32 exec_lo, exec_lo, s1
	v_add_nc_u32_e32 v2, 16, v0
	s_delay_alu instid0(VALU_DEP_1) | instskip(NEXT) | instid1(VALU_DEP_1)
	v_cmp_le_i32_e64 s0, v2, v5
	s_and_b32 s1, vcc_lo, s0
	s_delay_alu instid0(SALU_CYCLE_1)
	s_and_saveexec_b32 s0, s1
	s_cbranch_execz .LBB1085_7
; %bb.6:
	v_ashrrev_i32_e32 v3, 31, v2
	s_delay_alu instid0(VALU_DEP_1) | instskip(NEXT) | instid1(VALU_DEP_1)
	v_lshlrev_b64 v[14:15], 3, v[2:3]
	v_add_co_u32 v3, vcc_lo, v4, v14
	s_delay_alu instid0(VALU_DEP_2)
	v_add_co_ci_u32_e32 v4, vcc_lo, v10, v15, vcc_lo
	global_load_b64 v[10:11], v[3:4], off
	s_waitcnt vmcnt(0)
	v_dual_add_f32 v10, v13, v10 :: v_dual_add_f32 v11, v12, v11
	global_store_b64 v[3:4], v[10:11], off
.LBB1085_7:
	s_or_b32 exec_lo, exec_lo, s0
	v_add_nc_u32_e32 v3, 16, v5
	s_delay_alu instid0(VALU_DEP_1) | instskip(SKIP_3) | instid1(VALU_DEP_4)
	v_ashrrev_i32_e32 v1, 31, v3
	v_mul_lo_u32 v10, v3, s5
	v_mad_u64_u32 v[4:5], null, v3, s4, 0
	v_cmp_gt_i32_e32 vcc_lo, s2, v3
	v_mul_lo_u32 v1, v1, s4
	v_cmp_le_i32_e64 s0, v0, v3
	s_delay_alu instid0(VALU_DEP_1) | instskip(NEXT) | instid1(VALU_DEP_2)
	s_and_b32 s0, vcc_lo, s0
	v_add3_u32 v5, v5, v10, v1
	s_delay_alu instid0(VALU_DEP_1) | instskip(NEXT) | instid1(VALU_DEP_1)
	v_lshlrev_b64 v[4:5], 3, v[4:5]
	v_add_co_u32 v4, s1, s3, v4
	s_delay_alu instid0(VALU_DEP_1)
	v_add_co_ci_u32_e64 v5, s1, s6, v5, s1
	s_and_saveexec_b32 s1, s0
	s_cbranch_execz .LBB1085_9
; %bb.8:
	v_ashrrev_i32_e32 v1, 31, v0
	s_delay_alu instid0(VALU_DEP_1) | instskip(NEXT) | instid1(VALU_DEP_1)
	v_lshlrev_b64 v[0:1], 3, v[0:1]
	v_add_co_u32 v0, s0, v4, v0
	s_delay_alu instid0(VALU_DEP_1)
	v_add_co_ci_u32_e64 v1, s0, v5, v1, s0
	global_load_b64 v[10:11], v[0:1], off
	s_waitcnt vmcnt(0)
	v_dual_add_f32 v8, v8, v10 :: v_dual_add_f32 v9, v9, v11
	global_store_b64 v[0:1], v[8:9], off
.LBB1085_9:
	s_or_b32 exec_lo, exec_lo, s1
	v_cmp_le_i32_e64 s0, v2, v3
	s_delay_alu instid0(VALU_DEP_1) | instskip(NEXT) | instid1(SALU_CYCLE_1)
	s_and_b32 s0, vcc_lo, s0
	s_and_saveexec_b32 s1, s0
	s_cbranch_execz .LBB1085_11
; %bb.10:
	v_ashrrev_i32_e32 v3, 31, v2
	s_delay_alu instid0(VALU_DEP_1) | instskip(NEXT) | instid1(VALU_DEP_1)
	v_lshlrev_b64 v[0:1], 3, v[2:3]
	v_add_co_u32 v0, vcc_lo, v4, v0
	s_delay_alu instid0(VALU_DEP_2)
	v_add_co_ci_u32_e32 v1, vcc_lo, v5, v1, vcc_lo
	global_load_b64 v[2:3], v[0:1], off
	s_waitcnt vmcnt(0)
	v_dual_add_f32 v2, v7, v2 :: v_dual_add_f32 v3, v6, v3
	global_store_b64 v[0:1], v[2:3], off
.LBB1085_11:
	s_nop 0
	s_sendmsg sendmsg(MSG_DEALLOC_VGPRS)
	s_endpgm
	.section	.rodata,"a",@progbits
	.p2align	6, 0x0
	.amdhsa_kernel _ZL37rocblas_syrkx_herkx_restricted_kernelIl19rocblas_complex_numIfELi16ELi32ELi8ELi1ELi1ELb0ELc78ELc85EKS1_S1_EviT_PT9_S3_lS5_S3_lPT10_S3_li
		.amdhsa_group_segment_fixed_size 4096
		.amdhsa_private_segment_fixed_size 0
		.amdhsa_kernarg_size 92
		.amdhsa_user_sgpr_count 13
		.amdhsa_user_sgpr_dispatch_ptr 0
		.amdhsa_user_sgpr_queue_ptr 0
		.amdhsa_user_sgpr_kernarg_segment_ptr 1
		.amdhsa_user_sgpr_dispatch_id 0
		.amdhsa_user_sgpr_private_segment_size 0
		.amdhsa_wavefront_size32 1
		.amdhsa_uses_dynamic_stack 0
		.amdhsa_enable_private_segment 0
		.amdhsa_system_sgpr_workgroup_id_x 1
		.amdhsa_system_sgpr_workgroup_id_y 1
		.amdhsa_system_sgpr_workgroup_id_z 1
		.amdhsa_system_sgpr_workgroup_info 0
		.amdhsa_system_vgpr_workitem_id 1
		.amdhsa_next_free_vgpr 92
		.amdhsa_next_free_sgpr 32
		.amdhsa_reserve_vcc 1
		.amdhsa_float_round_mode_32 0
		.amdhsa_float_round_mode_16_64 0
		.amdhsa_float_denorm_mode_32 3
		.amdhsa_float_denorm_mode_16_64 3
		.amdhsa_dx10_clamp 1
		.amdhsa_ieee_mode 1
		.amdhsa_fp16_overflow 0
		.amdhsa_workgroup_processor_mode 1
		.amdhsa_memory_ordered 1
		.amdhsa_forward_progress 0
		.amdhsa_shared_vgpr_count 0
		.amdhsa_exception_fp_ieee_invalid_op 0
		.amdhsa_exception_fp_denorm_src 0
		.amdhsa_exception_fp_ieee_div_zero 0
		.amdhsa_exception_fp_ieee_overflow 0
		.amdhsa_exception_fp_ieee_underflow 0
		.amdhsa_exception_fp_ieee_inexact 0
		.amdhsa_exception_int_div_zero 0
	.end_amdhsa_kernel
	.section	.text._ZL37rocblas_syrkx_herkx_restricted_kernelIl19rocblas_complex_numIfELi16ELi32ELi8ELi1ELi1ELb0ELc78ELc85EKS1_S1_EviT_PT9_S3_lS5_S3_lPT10_S3_li,"axG",@progbits,_ZL37rocblas_syrkx_herkx_restricted_kernelIl19rocblas_complex_numIfELi16ELi32ELi8ELi1ELi1ELb0ELc78ELc85EKS1_S1_EviT_PT9_S3_lS5_S3_lPT10_S3_li,comdat
.Lfunc_end1085:
	.size	_ZL37rocblas_syrkx_herkx_restricted_kernelIl19rocblas_complex_numIfELi16ELi32ELi8ELi1ELi1ELb0ELc78ELc85EKS1_S1_EviT_PT9_S3_lS5_S3_lPT10_S3_li, .Lfunc_end1085-_ZL37rocblas_syrkx_herkx_restricted_kernelIl19rocblas_complex_numIfELi16ELi32ELi8ELi1ELi1ELb0ELc78ELc85EKS1_S1_EviT_PT9_S3_lS5_S3_lPT10_S3_li
                                        ; -- End function
	.section	.AMDGPU.csdata,"",@progbits
; Kernel info:
; codeLenInByte = 2204
; NumSgprs: 34
; NumVgprs: 92
; ScratchSize: 0
; MemoryBound: 0
; FloatMode: 240
; IeeeMode: 1
; LDSByteSize: 4096 bytes/workgroup (compile time only)
; SGPRBlocks: 4
; VGPRBlocks: 11
; NumSGPRsForWavesPerEU: 34
; NumVGPRsForWavesPerEU: 92
; Occupancy: 16
; WaveLimiterHint : 1
; COMPUTE_PGM_RSRC2:SCRATCH_EN: 0
; COMPUTE_PGM_RSRC2:USER_SGPR: 13
; COMPUTE_PGM_RSRC2:TRAP_HANDLER: 0
; COMPUTE_PGM_RSRC2:TGID_X_EN: 1
; COMPUTE_PGM_RSRC2:TGID_Y_EN: 1
; COMPUTE_PGM_RSRC2:TGID_Z_EN: 1
; COMPUTE_PGM_RSRC2:TIDIG_COMP_CNT: 1
	.section	.text._ZL37rocblas_syrkx_herkx_restricted_kernelIl19rocblas_complex_numIfELi16ELi32ELi8ELi1ELin1ELb0ELc84ELc76EKS1_S1_EviT_PT9_S3_lS5_S3_lPT10_S3_li,"axG",@progbits,_ZL37rocblas_syrkx_herkx_restricted_kernelIl19rocblas_complex_numIfELi16ELi32ELi8ELi1ELin1ELb0ELc84ELc76EKS1_S1_EviT_PT9_S3_lS5_S3_lPT10_S3_li,comdat
	.globl	_ZL37rocblas_syrkx_herkx_restricted_kernelIl19rocblas_complex_numIfELi16ELi32ELi8ELi1ELin1ELb0ELc84ELc76EKS1_S1_EviT_PT9_S3_lS5_S3_lPT10_S3_li ; -- Begin function _ZL37rocblas_syrkx_herkx_restricted_kernelIl19rocblas_complex_numIfELi16ELi32ELi8ELi1ELin1ELb0ELc84ELc76EKS1_S1_EviT_PT9_S3_lS5_S3_lPT10_S3_li
	.p2align	8
	.type	_ZL37rocblas_syrkx_herkx_restricted_kernelIl19rocblas_complex_numIfELi16ELi32ELi8ELi1ELin1ELb0ELc84ELc76EKS1_S1_EviT_PT9_S3_lS5_S3_lPT10_S3_li,@function
_ZL37rocblas_syrkx_herkx_restricted_kernelIl19rocblas_complex_numIfELi16ELi32ELi8ELi1ELin1ELb0ELc84ELc76EKS1_S1_EviT_PT9_S3_lS5_S3_lPT10_S3_li: ; @_ZL37rocblas_syrkx_herkx_restricted_kernelIl19rocblas_complex_numIfELi16ELi32ELi8ELi1ELin1ELb0ELc84ELc76EKS1_S1_EviT_PT9_S3_lS5_S3_lPT10_S3_li
; %bb.0:
	s_load_b512 s[16:31], s[0:1], 0x8
	v_dual_mov_b32 v15, 0 :: v_dual_mov_b32 v16, 0
	v_dual_mov_b32 v13, 0 :: v_dual_mov_b32 v12, 0
	;; [unrolled: 1-line block ×4, first 2 shown]
	v_and_b32_e32 v6, 0x3ff, v0
	v_bfe_u32 v7, v0, 10, 10
	s_lshl_b32 s8, s13, 5
	s_lshl_b32 s9, s14, 5
	s_waitcnt lgkmcnt(0)
	v_cmp_lt_i64_e64 s2, s[16:17], 1
	s_delay_alu instid0(VALU_DEP_1)
	s_and_b32 vcc_lo, exec_lo, s2
	s_cbranch_vccnz .LBB1086_3
; %bb.1:
	v_lshl_add_u32 v2, v7, 4, v6
	v_dual_mov_b32 v1, 0 :: v_dual_and_b32 v0, 7, v6
	s_mul_i32 s3, s23, s15
	s_mul_hi_u32 s4, s22, s15
	s_delay_alu instid0(VALU_DEP_2)
	v_and_b32_e32 v10, 31, v2
	v_lshrrev_b32_e32 v12, 3, v2
	v_mov_b32_e32 v3, v1
	v_lshrrev_b32_e32 v2, 5, v2
	v_lshlrev_b32_e32 v14, 3, v0
	v_add_nc_u32_e32 v8, s8, v10
	v_add_nc_u32_e32 v13, s9, v12
	s_mul_i32 s2, s22, s15
	s_add_i32 s3, s4, s3
	s_mul_hi_u32 s5, s28, s15
	v_ashrrev_i32_e32 v9, 31, v8
	v_mad_u64_u32 v[4:5], null, s20, v8, v[2:3]
	v_mul_lo_u32 v3, s21, v8
	s_lshl_b64 s[2:3], s[2:3], 3
	s_delay_alu instid0(VALU_DEP_3)
	v_mul_lo_u32 v16, s20, v9
	v_mad_u64_u32 v[8:9], null, v13, s26, v[0:1]
	v_lshlrev_b32_e32 v0, 3, v10
	v_lshl_or_b32 v10, v12, 6, v14
	s_add_u32 s4, s18, s2
	s_mul_i32 s2, s29, s15
	s_addc_u32 s6, s19, s3
	s_delay_alu instid0(VALU_DEP_4)
	v_add3_u32 v5, v3, v5, v16
	v_add_nc_u32_e32 v14, 0x800, v10
	v_mov_b32_e32 v10, v1
	v_ashrrev_i32_e32 v15, 31, v13
	v_mul_lo_u32 v17, v13, s27
	s_add_i32 s3, s5, s2
	s_mul_i32 s2, s28, s15
	v_lshlrev_b32_e32 v11, 3, v6
	v_mul_lo_u32 v13, v15, s26
	v_mov_b32_e32 v15, v1
	v_lshl_or_b32 v0, v2, 8, v0
	v_lshlrev_b64 v[2:3], 3, v[4:5]
	s_lshl_b64 s[2:3], s[2:3], 3
	v_mov_b32_e32 v12, v1
	s_add_u32 s2, s24, s2
	s_addc_u32 s3, s25, s3
	v_add3_u32 v9, v13, v9, v17
	v_add_co_u32 v2, vcc_lo, s4, v2
	v_add_co_ci_u32_e32 v3, vcc_lo, s6, v3, vcc_lo
	s_delay_alu instid0(VALU_DEP_3)
	v_lshlrev_b64 v[4:5], 3, v[8:9]
	v_mov_b32_e32 v8, v1
	v_lshl_add_u32 v17, v7, 6, 0x800
	v_mov_b32_e32 v9, v1
	v_mov_b32_e32 v13, v1
	;; [unrolled: 1-line block ×3, first 2 shown]
	v_add_co_u32 v4, vcc_lo, s2, v4
	v_add_co_ci_u32_e32 v5, vcc_lo, s3, v5, vcc_lo
	v_add_co_u32 v2, vcc_lo, v2, 4
	v_add_co_ci_u32_e32 v3, vcc_lo, 0, v3, vcc_lo
	s_delay_alu instid0(VALU_DEP_4) | instskip(NEXT) | instid1(VALU_DEP_4)
	v_add_co_u32 v4, vcc_lo, v4, 4
	v_add_co_ci_u32_e32 v5, vcc_lo, 0, v5, vcc_lo
	s_mov_b64 s[2:3], 0
.LBB1086_2:                             ; =>This Inner Loop Header: Depth=1
	global_load_b64 v[18:19], v[2:3], off offset:-4
	global_load_b64 v[20:21], v[4:5], off offset:-4
	s_add_u32 s2, s2, 8
	v_add_co_u32 v2, vcc_lo, v2, 64
	s_addc_u32 s3, s3, 0
	v_add_co_ci_u32_e32 v3, vcc_lo, 0, v3, vcc_lo
	v_cmp_ge_u64_e64 s4, s[2:3], s[16:17]
	v_add_co_u32 v4, vcc_lo, v4, 64
	v_add_co_ci_u32_e32 v5, vcc_lo, 0, v5, vcc_lo
	s_waitcnt vmcnt(1)
	ds_store_b64 v0, v[18:19]
	s_waitcnt vmcnt(0)
	ds_store_b64 v14, v[20:21]
	s_waitcnt lgkmcnt(0)
	s_barrier
	buffer_gl0_inv
	ds_load_2addr_b64 v[18:21], v11 offset1:16
	ds_load_b128 v[22:25], v17
	ds_load_b128 v[26:29], v17 offset:1024
	ds_load_b128 v[30:33], v17 offset:16
	;; [unrolled: 1-line block ×4, first 2 shown]
	ds_load_2addr_b64 v[42:45], v11 offset0:32 offset1:48
	ds_load_2addr_b64 v[46:49], v11 offset0:64 offset1:80
	ds_load_b128 v[50:53], v17 offset:1040
	ds_load_2addr_b64 v[54:57], v11 offset0:96 offset1:112
	ds_load_2addr_b64 v[58:61], v11 offset0:128 offset1:144
	;; [unrolled: 1-line block ×4, first 2 shown]
	ds_load_b128 v[70:73], v17 offset:1056
	ds_load_b128 v[74:77], v17 offset:1072
	ds_load_2addr_b64 v[78:81], v11 offset0:224 offset1:240
	s_and_b32 vcc_lo, exec_lo, s4
	s_waitcnt lgkmcnt(0)
	s_barrier
	buffer_gl0_inv
	v_dual_mul_f32 v82, v23, v19 :: v_dual_mul_f32 v85, v22, v21
	v_dual_mul_f32 v83, v22, v19 :: v_dual_mul_f32 v84, v23, v21
	v_mul_f32_e32 v86, v27, v19
	v_dual_mul_f32 v19, v26, v19 :: v_dual_mul_f32 v90, v25, v45
	v_dual_mul_f32 v87, v27, v21 :: v_dual_mul_f32 v88, v25, v43
	v_mul_f32_e32 v21, v26, v21
	v_fma_f32 v82, v22, v18, -v82
	v_fmac_f32_e32 v83, v23, v18
	v_fma_f32 v22, v22, v20, -v84
	v_fmac_f32_e32 v85, v23, v20
	v_fma_f32 v23, v26, v18, -v86
	v_dual_fmac_f32 v19, v27, v18 :: v_dual_mul_f32 v86, v30, v47
	v_fma_f32 v18, v26, v20, -v87
	v_dual_fmac_f32 v21, v27, v20 :: v_dual_mul_f32 v20, v24, v45
	v_mul_f32_e32 v89, v24, v43
	v_mul_f32_e32 v26, v29, v43
	;; [unrolled: 1-line block ×4, first 2 shown]
	v_fmac_f32_e32 v20, v25, v44
	v_fmac_f32_e32 v89, v25, v42
	v_dual_mul_f32 v25, v28, v45 :: v_dual_fmac_f32 v86, v31, v46
	v_fma_f32 v84, v24, v42, -v88
	v_fma_f32 v24, v24, v44, -v90
	v_dual_mul_f32 v45, v31, v47 :: v_dual_mul_f32 v90, v33, v57
	v_fma_f32 v26, v28, v42, -v26
	v_fma_f32 v28, v28, v44, -v43
	v_fmac_f32_e32 v25, v29, v44
	v_dual_mul_f32 v43, v50, v47 :: v_dual_mul_f32 v44, v51, v49
	v_dual_fmac_f32 v27, v29, v42 :: v_dual_mul_f32 v42, v51, v47
	v_dual_mul_f32 v88, v32, v55 :: v_dual_mul_f32 v29, v30, v49
	v_mul_f32_e32 v87, v31, v49
	v_fma_f32 v45, v30, v46, -v45
	v_add_f32_e32 v16, v16, v83
	s_delay_alu instid0(VALU_DEP_4)
	v_dual_fmac_f32 v88, v33, v54 :: v_dual_fmac_f32 v29, v31, v48
	v_fma_f32 v31, v50, v46, -v42
	v_fma_f32 v42, v50, v48, -v44
	v_mul_f32_e32 v44, v32, v57
	v_mul_f32_e32 v47, v50, v49
	v_dual_mul_f32 v50, v53, v57 :: v_dual_fmac_f32 v43, v51, v46
	v_mul_f32_e32 v46, v53, v55
	v_mul_f32_e32 v49, v33, v55
	v_fma_f32 v30, v30, v48, -v87
	v_fmac_f32_e32 v44, v33, v56
	v_dual_fmac_f32 v47, v51, v48 :: v_dual_mul_f32 v48, v52, v55
	v_mul_f32_e32 v33, v52, v57
	v_fma_f32 v46, v52, v54, -v46
	v_fma_f32 v50, v52, v56, -v50
	v_mul_f32_e32 v52, v34, v61
	v_fma_f32 v49, v32, v54, -v49
	v_fma_f32 v32, v32, v56, -v90
	v_dual_mul_f32 v51, v35, v59 :: v_dual_fmac_f32 v48, v53, v54
	v_mul_f32_e32 v54, v70, v59
	v_dual_mul_f32 v55, v34, v59 :: v_dual_fmac_f32 v52, v35, v60
	v_fmac_f32_e32 v33, v53, v56
	v_mul_f32_e32 v53, v71, v59
	v_mul_f32_e32 v56, v71, v61
	v_mul_f32_e32 v57, v35, v61
	v_fmac_f32_e32 v54, v71, v58
	v_fmac_f32_e32 v55, v35, v58
	v_fma_f32 v35, v70, v58, -v53
	v_fma_f32 v53, v70, v60, -v56
	v_mul_f32_e32 v56, v36, v65
	v_mul_f32_e32 v59, v70, v61
	v_fma_f32 v51, v34, v58, -v51
	v_mul_f32_e32 v58, v72, v63
	v_mul_f32_e32 v87, v36, v63
	;; [unrolled: 1-line block ×4, first 2 shown]
	v_fma_f32 v34, v34, v60, -v57
	v_mul_f32_e32 v57, v73, v63
	v_fmac_f32_e32 v56, v37, v64
	v_dual_fmac_f32 v59, v71, v60 :: v_dual_mul_f32 v60, v73, v65
	v_mul_f32_e32 v63, v39, v67
	v_mul_f32_e32 v70, v39, v69
	v_fmac_f32_e32 v58, v73, v62
	v_fmac_f32_e32 v87, v37, v62
	v_mul_f32_e32 v37, v72, v65
	v_fma_f32 v61, v36, v62, -v61
	v_fma_f32 v36, v36, v64, -v90
	v_mul_f32_e32 v65, v38, v67
	v_fma_f32 v57, v72, v62, -v57
	v_fma_f32 v60, v72, v64, -v60
	v_dual_fmac_f32 v37, v73, v64 :: v_dual_mul_f32 v62, v38, v69
	v_mul_f32_e32 v64, v75, v67
	v_fma_f32 v63, v38, v66, -v63
	v_fma_f32 v38, v38, v68, -v70
	v_mul_f32_e32 v70, v76, v79
	v_mul_f32_e32 v67, v74, v67
	v_dual_add_f32 v10, v10, v19 :: v_dual_add_f32 v15, v15, v82
	s_delay_alu instid0(VALU_DEP_3) | instskip(NEXT) | instid1(VALU_DEP_2)
	v_dual_mul_f32 v71, v75, v69 :: v_dual_fmac_f32 v70, v77, v78
	v_dual_fmac_f32 v67, v75, v66 :: v_dual_add_f32 v10, v10, v27
	v_dual_mul_f32 v69, v74, v69 :: v_dual_add_f32 v8, v8, v18
	v_dual_fmac_f32 v65, v39, v66 :: v_dual_add_f32 v12, v12, v85
	v_fmac_f32_e32 v62, v39, v68
	v_fma_f32 v39, v74, v66, -v64
	v_mul_f32_e32 v66, v40, v81
	v_dual_add_f32 v1, v1, v21 :: v_dual_add_f32 v10, v10, v43
	v_mul_f32_e32 v73, v40, v79
	v_mul_f32_e32 v72, v41, v79
	;; [unrolled: 1-line block ×3, first 2 shown]
	v_fma_f32 v64, v74, v68, -v71
	v_add_f32_e32 v10, v10, v48
	v_dual_fmac_f32 v69, v75, v68 :: v_dual_add_f32 v16, v16, v89
	v_dual_mul_f32 v71, v77, v81 :: v_dual_add_f32 v12, v12, v20
	v_dual_fmac_f32 v73, v41, v78 :: v_dual_add_f32 v8, v8, v28
	v_dual_fmac_f32 v66, v41, v80 :: v_dual_mul_f32 v41, v76, v81
	v_add_f32_e32 v10, v10, v54
	s_delay_alu instid0(VALU_DEP_4) | instskip(NEXT) | instid1(VALU_DEP_4)
	v_dual_add_f32 v13, v13, v22 :: v_dual_add_f32 v12, v12, v29
	v_dual_add_f32 v9, v9, v23 :: v_dual_add_f32 v8, v8, v42
	s_delay_alu instid0(VALU_DEP_4) | instskip(SKIP_1) | instid1(VALU_DEP_3)
	v_dual_fmac_f32 v41, v77, v80 :: v_dual_add_f32 v16, v16, v86
	v_add_f32_e32 v15, v15, v84
	v_add_f32_e32 v9, v9, v26
	v_dual_add_f32 v1, v1, v25 :: v_dual_add_f32 v12, v12, v44
	s_delay_alu instid0(VALU_DEP_4) | instskip(SKIP_1) | instid1(VALU_DEP_3)
	v_add_f32_e32 v16, v16, v88
	v_dual_add_f32 v13, v13, v24 :: v_dual_add_f32 v8, v8, v50
	v_dual_add_f32 v15, v15, v45 :: v_dual_add_f32 v12, v12, v52
	v_add_f32_e32 v9, v9, v31
	v_dual_add_f32 v1, v1, v47 :: v_dual_add_f32 v10, v10, v58
	s_delay_alu instid0(VALU_DEP_4) | instskip(SKIP_2) | instid1(VALU_DEP_3)
	v_dual_add_f32 v16, v16, v55 :: v_dual_add_f32 v13, v13, v30
	v_add_f32_e32 v8, v8, v53
	v_dual_add_f32 v15, v15, v49 :: v_dual_add_f32 v12, v12, v56
	v_dual_add_f32 v16, v16, v87 :: v_dual_add_f32 v13, v13, v32
	s_delay_alu instid0(VALU_DEP_3) | instskip(NEXT) | instid1(VALU_DEP_3)
	v_dual_add_f32 v9, v9, v46 :: v_dual_add_f32 v8, v8, v60
	v_dual_add_f32 v1, v1, v33 :: v_dual_add_f32 v12, v12, v62
	s_delay_alu instid0(VALU_DEP_3) | instskip(NEXT) | instid1(VALU_DEP_3)
	v_dual_add_f32 v15, v15, v51 :: v_dual_add_f32 v16, v16, v65
	v_dual_add_f32 v8, v8, v64 :: v_dual_add_f32 v13, v13, v34
	v_add_f32_e32 v10, v10, v67
	s_delay_alu instid0(VALU_DEP_3)
	v_dual_add_f32 v9, v9, v35 :: v_dual_add_f32 v16, v16, v73
	v_dual_add_f32 v1, v1, v59 :: v_dual_add_f32 v12, v12, v66
	v_mul_f32_e32 v68, v77, v79
	v_fma_f32 v71, v76, v80, -v71
	v_dual_add_f32 v15, v15, v61 :: v_dual_add_f32 v10, v10, v70
	v_add_f32_e32 v13, v13, v36
	s_delay_alu instid0(VALU_DEP_3)
	v_dual_add_f32 v9, v9, v57 :: v_dual_add_f32 v8, v8, v71
	v_add_f32_e32 v1, v1, v37
	v_fma_f32 v72, v40, v78, -v72
	v_fma_f32 v40, v40, v80, -v90
	;; [unrolled: 1-line block ×3, first 2 shown]
	v_add_f32_e32 v15, v15, v63
	v_add_f32_e32 v13, v13, v38
	;; [unrolled: 1-line block ×4, first 2 shown]
	s_delay_alu instid0(VALU_DEP_4) | instskip(NEXT) | instid1(VALU_DEP_4)
	v_add_f32_e32 v15, v15, v72
	v_add_f32_e32 v13, v13, v40
	s_delay_alu instid0(VALU_DEP_4) | instskip(NEXT) | instid1(VALU_DEP_4)
	v_add_f32_e32 v9, v9, v68
	v_add_f32_e32 v1, v1, v41
	s_cbranch_vccz .LBB1086_2
.LBB1086_3:
	s_load_b128 s[4:7], s[0:1], 0x48
	v_add_nc_u32_e32 v0, s9, v7
	s_load_b32 s9, s[0:1], 0x0
	s_delay_alu instid0(VALU_DEP_1) | instskip(SKIP_1) | instid1(VALU_DEP_1)
	v_ashrrev_i32_e32 v2, 31, v0
	s_waitcnt lgkmcnt(0)
	v_mul_lo_u32 v5, v2, s4
	v_mul_lo_u32 v7, v0, s5
	v_mad_u64_u32 v[3:4], null, v0, s4, 0
	s_mul_i32 s1, s15, s7
	s_mul_hi_u32 s3, s15, s6
	s_mul_i32 s2, s15, s6
	s_add_i32 s3, s3, s1
	v_add_nc_u32_e32 v2, s8, v6
	s_lshl_b64 s[2:3], s[2:3], 3
	s_delay_alu instid0(VALU_DEP_2)
	v_add3_u32 v4, v4, v7, v5
	s_add_u32 s2, s30, s2
	s_addc_u32 s3, s31, s3
	v_cmp_le_i32_e64 s0, v0, v2
	v_cmp_gt_i32_e32 vcc_lo, s9, v2
	v_lshlrev_b64 v[3:4], 3, v[3:4]
	s_delay_alu instid0(VALU_DEP_3) | instskip(NEXT) | instid1(VALU_DEP_1)
	s_and_b32 s0, s0, vcc_lo
	v_add_co_u32 v6, s1, s2, v3
	s_delay_alu instid0(VALU_DEP_1)
	v_add_co_ci_u32_e64 v7, s1, s3, v4, s1
	s_and_saveexec_b32 s1, s0
	s_cbranch_execz .LBB1086_5
; %bb.4:
	v_ashrrev_i32_e32 v3, 31, v2
	s_delay_alu instid0(VALU_DEP_1) | instskip(NEXT) | instid1(VALU_DEP_1)
	v_lshlrev_b64 v[3:4], 3, v[2:3]
	v_add_co_u32 v3, s0, v6, v3
	s_delay_alu instid0(VALU_DEP_1)
	v_add_co_ci_u32_e64 v4, s0, v7, v4, s0
	global_load_b64 v[17:18], v[3:4], off
	s_waitcnt vmcnt(0)
	v_dual_sub_f32 v14, v15, v17 :: v_dual_sub_f32 v15, v16, v18
	global_store_b64 v[3:4], v[14:15], off
.LBB1086_5:
	s_or_b32 exec_lo, exec_lo, s1
	v_add_nc_u32_e32 v4, 16, v2
	s_delay_alu instid0(VALU_DEP_1) | instskip(SKIP_1) | instid1(VALU_DEP_1)
	v_cmp_le_i32_e64 s1, v0, v4
	v_cmp_gt_i32_e64 s0, s9, v4
	s_and_b32 s1, s1, s0
	s_delay_alu instid0(SALU_CYCLE_1)
	s_and_saveexec_b32 s6, s1
	s_cbranch_execz .LBB1086_7
; %bb.6:
	v_ashrrev_i32_e32 v5, 31, v4
	s_delay_alu instid0(VALU_DEP_1) | instskip(NEXT) | instid1(VALU_DEP_1)
	v_lshlrev_b64 v[14:15], 3, v[4:5]
	v_add_co_u32 v5, s1, v6, v14
	s_delay_alu instid0(VALU_DEP_1)
	v_add_co_ci_u32_e64 v6, s1, v7, v15, s1
	global_load_b64 v[14:15], v[5:6], off
	s_waitcnt vmcnt(0)
	v_dual_sub_f32 v11, v13, v14 :: v_dual_sub_f32 v12, v12, v15
	global_store_b64 v[5:6], v[11:12], off
.LBB1086_7:
	s_or_b32 exec_lo, exec_lo, s6
	v_add_nc_u32_e32 v0, 16, v0
	s_delay_alu instid0(VALU_DEP_1) | instskip(SKIP_3) | instid1(VALU_DEP_4)
	v_ashrrev_i32_e32 v3, 31, v0
	v_mul_lo_u32 v7, v0, s5
	v_mad_u64_u32 v[5:6], null, v0, s4, 0
	v_cmp_le_i32_e64 s1, v0, v2
	v_mul_lo_u32 v3, v3, s4
	s_delay_alu instid0(VALU_DEP_1) | instskip(NEXT) | instid1(VALU_DEP_1)
	v_add3_u32 v6, v6, v7, v3
	v_lshlrev_b64 v[6:7], 3, v[5:6]
	s_delay_alu instid0(VALU_DEP_1) | instskip(NEXT) | instid1(VALU_DEP_1)
	v_add_co_u32 v6, s2, s2, v6
	v_add_co_ci_u32_e64 v7, s2, s3, v7, s2
	s_and_b32 s2, s1, vcc_lo
	s_delay_alu instid0(SALU_CYCLE_1)
	s_and_saveexec_b32 s1, s2
	s_cbranch_execz .LBB1086_9
; %bb.8:
	v_ashrrev_i32_e32 v3, 31, v2
	s_delay_alu instid0(VALU_DEP_1) | instskip(NEXT) | instid1(VALU_DEP_1)
	v_lshlrev_b64 v[2:3], 3, v[2:3]
	v_add_co_u32 v2, vcc_lo, v6, v2
	s_delay_alu instid0(VALU_DEP_2)
	v_add_co_ci_u32_e32 v3, vcc_lo, v7, v3, vcc_lo
	global_load_b64 v[11:12], v[2:3], off
	s_waitcnt vmcnt(0)
	v_dual_sub_f32 v9, v9, v11 :: v_dual_sub_f32 v10, v10, v12
	global_store_b64 v[2:3], v[9:10], off
.LBB1086_9:
	s_or_b32 exec_lo, exec_lo, s1
	v_cmp_le_i32_e32 vcc_lo, v0, v4
	s_and_b32 s0, vcc_lo, s0
	s_delay_alu instid0(SALU_CYCLE_1)
	s_and_saveexec_b32 s1, s0
	s_cbranch_execz .LBB1086_11
; %bb.10:
	v_ashrrev_i32_e32 v5, 31, v4
	s_delay_alu instid0(VALU_DEP_1) | instskip(NEXT) | instid1(VALU_DEP_1)
	v_lshlrev_b64 v[2:3], 3, v[4:5]
	v_add_co_u32 v2, vcc_lo, v6, v2
	s_delay_alu instid0(VALU_DEP_2)
	v_add_co_ci_u32_e32 v3, vcc_lo, v7, v3, vcc_lo
	global_load_b64 v[4:5], v[2:3], off
	s_waitcnt vmcnt(0)
	v_dual_sub_f32 v0, v8, v4 :: v_dual_sub_f32 v1, v1, v5
	global_store_b64 v[2:3], v[0:1], off
.LBB1086_11:
	s_nop 0
	s_sendmsg sendmsg(MSG_DEALLOC_VGPRS)
	s_endpgm
	.section	.rodata,"a",@progbits
	.p2align	6, 0x0
	.amdhsa_kernel _ZL37rocblas_syrkx_herkx_restricted_kernelIl19rocblas_complex_numIfELi16ELi32ELi8ELi1ELin1ELb0ELc84ELc76EKS1_S1_EviT_PT9_S3_lS5_S3_lPT10_S3_li
		.amdhsa_group_segment_fixed_size 4096
		.amdhsa_private_segment_fixed_size 0
		.amdhsa_kernarg_size 92
		.amdhsa_user_sgpr_count 13
		.amdhsa_user_sgpr_dispatch_ptr 0
		.amdhsa_user_sgpr_queue_ptr 0
		.amdhsa_user_sgpr_kernarg_segment_ptr 1
		.amdhsa_user_sgpr_dispatch_id 0
		.amdhsa_user_sgpr_private_segment_size 0
		.amdhsa_wavefront_size32 1
		.amdhsa_uses_dynamic_stack 0
		.amdhsa_enable_private_segment 0
		.amdhsa_system_sgpr_workgroup_id_x 1
		.amdhsa_system_sgpr_workgroup_id_y 1
		.amdhsa_system_sgpr_workgroup_id_z 1
		.amdhsa_system_sgpr_workgroup_info 0
		.amdhsa_system_vgpr_workitem_id 1
		.amdhsa_next_free_vgpr 91
		.amdhsa_next_free_sgpr 32
		.amdhsa_reserve_vcc 1
		.amdhsa_float_round_mode_32 0
		.amdhsa_float_round_mode_16_64 0
		.amdhsa_float_denorm_mode_32 3
		.amdhsa_float_denorm_mode_16_64 3
		.amdhsa_dx10_clamp 1
		.amdhsa_ieee_mode 1
		.amdhsa_fp16_overflow 0
		.amdhsa_workgroup_processor_mode 1
		.amdhsa_memory_ordered 1
		.amdhsa_forward_progress 0
		.amdhsa_shared_vgpr_count 0
		.amdhsa_exception_fp_ieee_invalid_op 0
		.amdhsa_exception_fp_denorm_src 0
		.amdhsa_exception_fp_ieee_div_zero 0
		.amdhsa_exception_fp_ieee_overflow 0
		.amdhsa_exception_fp_ieee_underflow 0
		.amdhsa_exception_fp_ieee_inexact 0
		.amdhsa_exception_int_div_zero 0
	.end_amdhsa_kernel
	.section	.text._ZL37rocblas_syrkx_herkx_restricted_kernelIl19rocblas_complex_numIfELi16ELi32ELi8ELi1ELin1ELb0ELc84ELc76EKS1_S1_EviT_PT9_S3_lS5_S3_lPT10_S3_li,"axG",@progbits,_ZL37rocblas_syrkx_herkx_restricted_kernelIl19rocblas_complex_numIfELi16ELi32ELi8ELi1ELin1ELb0ELc84ELc76EKS1_S1_EviT_PT9_S3_lS5_S3_lPT10_S3_li,comdat
.Lfunc_end1086:
	.size	_ZL37rocblas_syrkx_herkx_restricted_kernelIl19rocblas_complex_numIfELi16ELi32ELi8ELi1ELin1ELb0ELc84ELc76EKS1_S1_EviT_PT9_S3_lS5_S3_lPT10_S3_li, .Lfunc_end1086-_ZL37rocblas_syrkx_herkx_restricted_kernelIl19rocblas_complex_numIfELi16ELi32ELi8ELi1ELin1ELb0ELc84ELc76EKS1_S1_EviT_PT9_S3_lS5_S3_lPT10_S3_li
                                        ; -- End function
	.section	.AMDGPU.csdata,"",@progbits
; Kernel info:
; codeLenInByte = 2200
; NumSgprs: 34
; NumVgprs: 91
; ScratchSize: 0
; MemoryBound: 0
; FloatMode: 240
; IeeeMode: 1
; LDSByteSize: 4096 bytes/workgroup (compile time only)
; SGPRBlocks: 4
; VGPRBlocks: 11
; NumSGPRsForWavesPerEU: 34
; NumVGPRsForWavesPerEU: 91
; Occupancy: 16
; WaveLimiterHint : 1
; COMPUTE_PGM_RSRC2:SCRATCH_EN: 0
; COMPUTE_PGM_RSRC2:USER_SGPR: 13
; COMPUTE_PGM_RSRC2:TRAP_HANDLER: 0
; COMPUTE_PGM_RSRC2:TGID_X_EN: 1
; COMPUTE_PGM_RSRC2:TGID_Y_EN: 1
; COMPUTE_PGM_RSRC2:TGID_Z_EN: 1
; COMPUTE_PGM_RSRC2:TIDIG_COMP_CNT: 1
	.section	.text._ZL37rocblas_syrkx_herkx_restricted_kernelIl19rocblas_complex_numIfELi16ELi32ELi8ELi1ELin1ELb0ELc67ELc76EKS1_S1_EviT_PT9_S3_lS5_S3_lPT10_S3_li,"axG",@progbits,_ZL37rocblas_syrkx_herkx_restricted_kernelIl19rocblas_complex_numIfELi16ELi32ELi8ELi1ELin1ELb0ELc67ELc76EKS1_S1_EviT_PT9_S3_lS5_S3_lPT10_S3_li,comdat
	.globl	_ZL37rocblas_syrkx_herkx_restricted_kernelIl19rocblas_complex_numIfELi16ELi32ELi8ELi1ELin1ELb0ELc67ELc76EKS1_S1_EviT_PT9_S3_lS5_S3_lPT10_S3_li ; -- Begin function _ZL37rocblas_syrkx_herkx_restricted_kernelIl19rocblas_complex_numIfELi16ELi32ELi8ELi1ELin1ELb0ELc67ELc76EKS1_S1_EviT_PT9_S3_lS5_S3_lPT10_S3_li
	.p2align	8
	.type	_ZL37rocblas_syrkx_herkx_restricted_kernelIl19rocblas_complex_numIfELi16ELi32ELi8ELi1ELin1ELb0ELc67ELc76EKS1_S1_EviT_PT9_S3_lS5_S3_lPT10_S3_li,@function
_ZL37rocblas_syrkx_herkx_restricted_kernelIl19rocblas_complex_numIfELi16ELi32ELi8ELi1ELin1ELb0ELc67ELc76EKS1_S1_EviT_PT9_S3_lS5_S3_lPT10_S3_li: ; @_ZL37rocblas_syrkx_herkx_restricted_kernelIl19rocblas_complex_numIfELi16ELi32ELi8ELi1ELin1ELb0ELc67ELc76EKS1_S1_EviT_PT9_S3_lS5_S3_lPT10_S3_li
; %bb.0:
	s_load_b512 s[16:31], s[0:1], 0x8
	v_dual_mov_b32 v15, 0 :: v_dual_mov_b32 v16, 0
	v_dual_mov_b32 v13, 0 :: v_dual_mov_b32 v12, 0
	;; [unrolled: 1-line block ×4, first 2 shown]
	v_and_b32_e32 v6, 0x3ff, v0
	v_bfe_u32 v7, v0, 10, 10
	s_lshl_b32 s8, s13, 5
	s_lshl_b32 s9, s14, 5
	s_waitcnt lgkmcnt(0)
	v_cmp_lt_i64_e64 s2, s[16:17], 1
	s_delay_alu instid0(VALU_DEP_1)
	s_and_b32 vcc_lo, exec_lo, s2
	s_cbranch_vccnz .LBB1087_3
; %bb.1:
	v_lshl_add_u32 v2, v7, 4, v6
	v_dual_mov_b32 v1, 0 :: v_dual_and_b32 v0, 7, v6
	s_mul_i32 s3, s23, s15
	s_mul_hi_u32 s4, s22, s15
	s_delay_alu instid0(VALU_DEP_2)
	v_and_b32_e32 v10, 31, v2
	v_lshrrev_b32_e32 v12, 3, v2
	v_mov_b32_e32 v3, v1
	v_lshrrev_b32_e32 v2, 5, v2
	v_lshlrev_b32_e32 v14, 3, v0
	v_add_nc_u32_e32 v8, s8, v10
	v_add_nc_u32_e32 v13, s9, v12
	s_mul_i32 s2, s22, s15
	s_add_i32 s3, s4, s3
	s_mul_hi_u32 s5, s28, s15
	v_ashrrev_i32_e32 v9, 31, v8
	v_mad_u64_u32 v[4:5], null, s20, v8, v[2:3]
	v_mul_lo_u32 v3, s21, v8
	s_lshl_b64 s[2:3], s[2:3], 3
	s_delay_alu instid0(VALU_DEP_3)
	v_mul_lo_u32 v16, s20, v9
	v_mad_u64_u32 v[8:9], null, v13, s26, v[0:1]
	v_lshlrev_b32_e32 v0, 3, v10
	v_lshl_or_b32 v10, v12, 6, v14
	s_add_u32 s4, s18, s2
	s_mul_i32 s2, s29, s15
	s_addc_u32 s6, s19, s3
	s_delay_alu instid0(VALU_DEP_4)
	v_add3_u32 v5, v3, v5, v16
	v_add_nc_u32_e32 v14, 0x800, v10
	v_mov_b32_e32 v10, v1
	v_ashrrev_i32_e32 v15, 31, v13
	v_mul_lo_u32 v17, v13, s27
	s_add_i32 s3, s5, s2
	s_mul_i32 s2, s28, s15
	v_lshlrev_b32_e32 v11, 3, v6
	v_mul_lo_u32 v13, v15, s26
	v_mov_b32_e32 v15, v1
	v_lshl_or_b32 v0, v2, 8, v0
	v_lshlrev_b64 v[2:3], 3, v[4:5]
	s_lshl_b64 s[2:3], s[2:3], 3
	v_mov_b32_e32 v12, v1
	s_add_u32 s2, s24, s2
	s_addc_u32 s3, s25, s3
	v_add3_u32 v9, v13, v9, v17
	v_add_co_u32 v2, vcc_lo, s4, v2
	v_add_co_ci_u32_e32 v3, vcc_lo, s6, v3, vcc_lo
	s_delay_alu instid0(VALU_DEP_3)
	v_lshlrev_b64 v[4:5], 3, v[8:9]
	v_mov_b32_e32 v8, v1
	v_lshl_add_u32 v17, v7, 6, 0x800
	v_mov_b32_e32 v9, v1
	v_mov_b32_e32 v13, v1
	;; [unrolled: 1-line block ×3, first 2 shown]
	v_add_co_u32 v4, vcc_lo, s2, v4
	v_add_co_ci_u32_e32 v5, vcc_lo, s3, v5, vcc_lo
	v_add_co_u32 v2, vcc_lo, v2, 4
	v_add_co_ci_u32_e32 v3, vcc_lo, 0, v3, vcc_lo
	s_delay_alu instid0(VALU_DEP_4) | instskip(NEXT) | instid1(VALU_DEP_4)
	v_add_co_u32 v4, vcc_lo, v4, 4
	v_add_co_ci_u32_e32 v5, vcc_lo, 0, v5, vcc_lo
	s_mov_b64 s[2:3], 0
.LBB1087_2:                             ; =>This Inner Loop Header: Depth=1
	global_load_b64 v[18:19], v[2:3], off offset:-4
	global_load_b64 v[20:21], v[4:5], off offset:-4
	s_add_u32 s2, s2, 8
	v_add_co_u32 v2, vcc_lo, v2, 64
	s_addc_u32 s3, s3, 0
	v_add_co_ci_u32_e32 v3, vcc_lo, 0, v3, vcc_lo
	v_cmp_ge_u64_e64 s4, s[2:3], s[16:17]
	v_add_co_u32 v4, vcc_lo, v4, 64
	v_add_co_ci_u32_e32 v5, vcc_lo, 0, v5, vcc_lo
	s_waitcnt vmcnt(1)
	ds_store_b64 v0, v[18:19]
	s_waitcnt vmcnt(0)
	ds_store_b64 v14, v[20:21]
	s_waitcnt lgkmcnt(0)
	s_barrier
	buffer_gl0_inv
	ds_load_2addr_b64 v[18:21], v11 offset1:16
	ds_load_b128 v[22:25], v17
	ds_load_b128 v[26:29], v17 offset:1024
	ds_load_b128 v[30:33], v17 offset:16
	;; [unrolled: 1-line block ×4, first 2 shown]
	ds_load_2addr_b64 v[42:45], v11 offset0:32 offset1:48
	ds_load_2addr_b64 v[46:49], v11 offset0:64 offset1:80
	ds_load_b128 v[50:53], v17 offset:1040
	ds_load_2addr_b64 v[54:57], v11 offset0:96 offset1:112
	ds_load_2addr_b64 v[58:61], v11 offset0:128 offset1:144
	;; [unrolled: 1-line block ×4, first 2 shown]
	ds_load_b128 v[70:73], v17 offset:1056
	ds_load_b128 v[74:77], v17 offset:1072
	ds_load_2addr_b64 v[78:81], v11 offset0:224 offset1:240
	s_and_b32 vcc_lo, exec_lo, s4
	s_waitcnt lgkmcnt(0)
	s_barrier
	buffer_gl0_inv
	v_dual_mul_f32 v82, v23, v19 :: v_dual_mul_f32 v85, v22, v21
	v_dual_mul_f32 v83, v22, v19 :: v_dual_mul_f32 v84, v23, v21
	v_mul_f32_e32 v86, v27, v19
	v_dual_mul_f32 v19, v26, v19 :: v_dual_mul_f32 v90, v25, v45
	v_dual_mul_f32 v87, v27, v21 :: v_dual_mul_f32 v88, v25, v43
	v_mul_f32_e32 v21, v26, v21
	v_fma_f32 v82, v22, v18, -v82
	v_fmac_f32_e32 v83, v23, v18
	v_fma_f32 v22, v22, v20, -v84
	v_fmac_f32_e32 v85, v23, v20
	v_fma_f32 v23, v26, v18, -v86
	v_dual_fmac_f32 v19, v27, v18 :: v_dual_mul_f32 v86, v30, v47
	v_fma_f32 v18, v26, v20, -v87
	v_dual_fmac_f32 v21, v27, v20 :: v_dual_mul_f32 v20, v24, v45
	v_mul_f32_e32 v89, v24, v43
	v_mul_f32_e32 v26, v29, v43
	;; [unrolled: 1-line block ×4, first 2 shown]
	v_fmac_f32_e32 v20, v25, v44
	v_fmac_f32_e32 v89, v25, v42
	v_dual_mul_f32 v25, v28, v45 :: v_dual_fmac_f32 v86, v31, v46
	v_fma_f32 v84, v24, v42, -v88
	v_fma_f32 v24, v24, v44, -v90
	v_dual_mul_f32 v45, v31, v47 :: v_dual_mul_f32 v90, v33, v57
	v_fma_f32 v26, v28, v42, -v26
	v_fma_f32 v28, v28, v44, -v43
	v_fmac_f32_e32 v25, v29, v44
	v_dual_mul_f32 v43, v50, v47 :: v_dual_mul_f32 v44, v51, v49
	v_dual_fmac_f32 v27, v29, v42 :: v_dual_mul_f32 v42, v51, v47
	v_dual_mul_f32 v88, v32, v55 :: v_dual_mul_f32 v29, v30, v49
	v_mul_f32_e32 v87, v31, v49
	v_fma_f32 v45, v30, v46, -v45
	v_add_f32_e32 v16, v16, v83
	s_delay_alu instid0(VALU_DEP_4)
	v_dual_fmac_f32 v88, v33, v54 :: v_dual_fmac_f32 v29, v31, v48
	v_fma_f32 v31, v50, v46, -v42
	v_fma_f32 v42, v50, v48, -v44
	v_mul_f32_e32 v44, v32, v57
	v_mul_f32_e32 v47, v50, v49
	v_dual_mul_f32 v50, v53, v57 :: v_dual_fmac_f32 v43, v51, v46
	v_mul_f32_e32 v46, v53, v55
	v_mul_f32_e32 v49, v33, v55
	v_fma_f32 v30, v30, v48, -v87
	v_fmac_f32_e32 v44, v33, v56
	v_dual_fmac_f32 v47, v51, v48 :: v_dual_mul_f32 v48, v52, v55
	v_mul_f32_e32 v33, v52, v57
	v_fma_f32 v46, v52, v54, -v46
	v_fma_f32 v50, v52, v56, -v50
	v_mul_f32_e32 v52, v34, v61
	v_fma_f32 v49, v32, v54, -v49
	v_fma_f32 v32, v32, v56, -v90
	v_dual_mul_f32 v51, v35, v59 :: v_dual_fmac_f32 v48, v53, v54
	v_mul_f32_e32 v54, v70, v59
	v_dual_mul_f32 v55, v34, v59 :: v_dual_fmac_f32 v52, v35, v60
	v_fmac_f32_e32 v33, v53, v56
	v_mul_f32_e32 v53, v71, v59
	v_mul_f32_e32 v56, v71, v61
	v_mul_f32_e32 v57, v35, v61
	v_fmac_f32_e32 v54, v71, v58
	v_fmac_f32_e32 v55, v35, v58
	v_fma_f32 v35, v70, v58, -v53
	v_fma_f32 v53, v70, v60, -v56
	v_mul_f32_e32 v56, v36, v65
	v_mul_f32_e32 v59, v70, v61
	v_fma_f32 v51, v34, v58, -v51
	v_mul_f32_e32 v58, v72, v63
	v_mul_f32_e32 v87, v36, v63
	;; [unrolled: 1-line block ×4, first 2 shown]
	v_fma_f32 v34, v34, v60, -v57
	v_mul_f32_e32 v57, v73, v63
	v_fmac_f32_e32 v56, v37, v64
	v_dual_fmac_f32 v59, v71, v60 :: v_dual_mul_f32 v60, v73, v65
	v_mul_f32_e32 v63, v39, v67
	v_mul_f32_e32 v70, v39, v69
	v_fmac_f32_e32 v58, v73, v62
	v_fmac_f32_e32 v87, v37, v62
	v_mul_f32_e32 v37, v72, v65
	v_fma_f32 v61, v36, v62, -v61
	v_fma_f32 v36, v36, v64, -v90
	v_mul_f32_e32 v65, v38, v67
	v_fma_f32 v57, v72, v62, -v57
	v_fma_f32 v60, v72, v64, -v60
	v_dual_fmac_f32 v37, v73, v64 :: v_dual_mul_f32 v62, v38, v69
	v_mul_f32_e32 v64, v75, v67
	v_fma_f32 v63, v38, v66, -v63
	v_fma_f32 v38, v38, v68, -v70
	v_mul_f32_e32 v70, v76, v79
	v_mul_f32_e32 v67, v74, v67
	v_dual_add_f32 v10, v10, v19 :: v_dual_add_f32 v15, v15, v82
	s_delay_alu instid0(VALU_DEP_3) | instskip(NEXT) | instid1(VALU_DEP_2)
	v_dual_mul_f32 v71, v75, v69 :: v_dual_fmac_f32 v70, v77, v78
	v_dual_fmac_f32 v67, v75, v66 :: v_dual_add_f32 v10, v10, v27
	v_dual_mul_f32 v69, v74, v69 :: v_dual_add_f32 v8, v8, v18
	v_dual_fmac_f32 v65, v39, v66 :: v_dual_add_f32 v12, v12, v85
	v_fmac_f32_e32 v62, v39, v68
	v_fma_f32 v39, v74, v66, -v64
	v_mul_f32_e32 v66, v40, v81
	v_dual_add_f32 v1, v1, v21 :: v_dual_add_f32 v10, v10, v43
	v_mul_f32_e32 v73, v40, v79
	v_mul_f32_e32 v72, v41, v79
	;; [unrolled: 1-line block ×3, first 2 shown]
	v_fma_f32 v64, v74, v68, -v71
	v_add_f32_e32 v10, v10, v48
	v_dual_fmac_f32 v69, v75, v68 :: v_dual_add_f32 v16, v16, v89
	v_dual_mul_f32 v71, v77, v81 :: v_dual_add_f32 v12, v12, v20
	v_dual_fmac_f32 v73, v41, v78 :: v_dual_add_f32 v8, v8, v28
	v_dual_fmac_f32 v66, v41, v80 :: v_dual_mul_f32 v41, v76, v81
	v_add_f32_e32 v10, v10, v54
	s_delay_alu instid0(VALU_DEP_4) | instskip(NEXT) | instid1(VALU_DEP_4)
	v_dual_add_f32 v13, v13, v22 :: v_dual_add_f32 v12, v12, v29
	v_dual_add_f32 v9, v9, v23 :: v_dual_add_f32 v8, v8, v42
	s_delay_alu instid0(VALU_DEP_4) | instskip(SKIP_1) | instid1(VALU_DEP_3)
	v_dual_fmac_f32 v41, v77, v80 :: v_dual_add_f32 v16, v16, v86
	v_add_f32_e32 v15, v15, v84
	v_add_f32_e32 v9, v9, v26
	v_dual_add_f32 v1, v1, v25 :: v_dual_add_f32 v12, v12, v44
	s_delay_alu instid0(VALU_DEP_4) | instskip(SKIP_1) | instid1(VALU_DEP_3)
	v_add_f32_e32 v16, v16, v88
	v_dual_add_f32 v13, v13, v24 :: v_dual_add_f32 v8, v8, v50
	v_dual_add_f32 v15, v15, v45 :: v_dual_add_f32 v12, v12, v52
	v_add_f32_e32 v9, v9, v31
	v_dual_add_f32 v1, v1, v47 :: v_dual_add_f32 v10, v10, v58
	s_delay_alu instid0(VALU_DEP_4) | instskip(SKIP_2) | instid1(VALU_DEP_3)
	v_dual_add_f32 v16, v16, v55 :: v_dual_add_f32 v13, v13, v30
	v_add_f32_e32 v8, v8, v53
	v_dual_add_f32 v15, v15, v49 :: v_dual_add_f32 v12, v12, v56
	v_dual_add_f32 v16, v16, v87 :: v_dual_add_f32 v13, v13, v32
	s_delay_alu instid0(VALU_DEP_3) | instskip(NEXT) | instid1(VALU_DEP_3)
	v_dual_add_f32 v9, v9, v46 :: v_dual_add_f32 v8, v8, v60
	v_dual_add_f32 v1, v1, v33 :: v_dual_add_f32 v12, v12, v62
	s_delay_alu instid0(VALU_DEP_3) | instskip(NEXT) | instid1(VALU_DEP_3)
	v_dual_add_f32 v15, v15, v51 :: v_dual_add_f32 v16, v16, v65
	v_dual_add_f32 v8, v8, v64 :: v_dual_add_f32 v13, v13, v34
	v_add_f32_e32 v10, v10, v67
	s_delay_alu instid0(VALU_DEP_3)
	v_dual_add_f32 v9, v9, v35 :: v_dual_add_f32 v16, v16, v73
	v_dual_add_f32 v1, v1, v59 :: v_dual_add_f32 v12, v12, v66
	v_mul_f32_e32 v68, v77, v79
	v_fma_f32 v71, v76, v80, -v71
	v_dual_add_f32 v15, v15, v61 :: v_dual_add_f32 v10, v10, v70
	v_add_f32_e32 v13, v13, v36
	s_delay_alu instid0(VALU_DEP_3)
	v_dual_add_f32 v9, v9, v57 :: v_dual_add_f32 v8, v8, v71
	v_add_f32_e32 v1, v1, v37
	v_fma_f32 v72, v40, v78, -v72
	v_fma_f32 v40, v40, v80, -v90
	;; [unrolled: 1-line block ×3, first 2 shown]
	v_add_f32_e32 v15, v15, v63
	v_add_f32_e32 v13, v13, v38
	;; [unrolled: 1-line block ×4, first 2 shown]
	s_delay_alu instid0(VALU_DEP_4) | instskip(NEXT) | instid1(VALU_DEP_4)
	v_add_f32_e32 v15, v15, v72
	v_add_f32_e32 v13, v13, v40
	s_delay_alu instid0(VALU_DEP_4) | instskip(NEXT) | instid1(VALU_DEP_4)
	v_add_f32_e32 v9, v9, v68
	v_add_f32_e32 v1, v1, v41
	s_cbranch_vccz .LBB1087_2
.LBB1087_3:
	s_load_b128 s[4:7], s[0:1], 0x48
	v_add_nc_u32_e32 v0, s9, v7
	s_load_b32 s9, s[0:1], 0x0
	s_delay_alu instid0(VALU_DEP_1) | instskip(SKIP_1) | instid1(VALU_DEP_1)
	v_ashrrev_i32_e32 v2, 31, v0
	s_waitcnt lgkmcnt(0)
	v_mul_lo_u32 v5, v2, s4
	v_mul_lo_u32 v7, v0, s5
	v_mad_u64_u32 v[3:4], null, v0, s4, 0
	s_mul_i32 s1, s15, s7
	s_mul_hi_u32 s3, s15, s6
	s_mul_i32 s2, s15, s6
	s_add_i32 s3, s3, s1
	v_add_nc_u32_e32 v2, s8, v6
	s_lshl_b64 s[2:3], s[2:3], 3
	s_delay_alu instid0(VALU_DEP_2)
	v_add3_u32 v4, v4, v7, v5
	s_add_u32 s2, s30, s2
	s_addc_u32 s3, s31, s3
	v_cmp_le_i32_e64 s0, v0, v2
	v_cmp_gt_i32_e32 vcc_lo, s9, v2
	v_lshlrev_b64 v[3:4], 3, v[3:4]
	s_delay_alu instid0(VALU_DEP_3) | instskip(NEXT) | instid1(VALU_DEP_1)
	s_and_b32 s0, s0, vcc_lo
	v_add_co_u32 v6, s1, s2, v3
	s_delay_alu instid0(VALU_DEP_1)
	v_add_co_ci_u32_e64 v7, s1, s3, v4, s1
	s_and_saveexec_b32 s1, s0
	s_cbranch_execz .LBB1087_5
; %bb.4:
	v_ashrrev_i32_e32 v3, 31, v2
	s_delay_alu instid0(VALU_DEP_1) | instskip(NEXT) | instid1(VALU_DEP_1)
	v_lshlrev_b64 v[3:4], 3, v[2:3]
	v_add_co_u32 v3, s0, v6, v3
	s_delay_alu instid0(VALU_DEP_1)
	v_add_co_ci_u32_e64 v4, s0, v7, v4, s0
	global_load_b64 v[17:18], v[3:4], off
	s_waitcnt vmcnt(0)
	v_dual_sub_f32 v14, v15, v17 :: v_dual_sub_f32 v15, v16, v18
	global_store_b64 v[3:4], v[14:15], off
.LBB1087_5:
	s_or_b32 exec_lo, exec_lo, s1
	v_add_nc_u32_e32 v4, 16, v2
	s_delay_alu instid0(VALU_DEP_1) | instskip(SKIP_1) | instid1(VALU_DEP_1)
	v_cmp_le_i32_e64 s1, v0, v4
	v_cmp_gt_i32_e64 s0, s9, v4
	s_and_b32 s1, s1, s0
	s_delay_alu instid0(SALU_CYCLE_1)
	s_and_saveexec_b32 s6, s1
	s_cbranch_execz .LBB1087_7
; %bb.6:
	v_ashrrev_i32_e32 v5, 31, v4
	s_delay_alu instid0(VALU_DEP_1) | instskip(NEXT) | instid1(VALU_DEP_1)
	v_lshlrev_b64 v[14:15], 3, v[4:5]
	v_add_co_u32 v5, s1, v6, v14
	s_delay_alu instid0(VALU_DEP_1)
	v_add_co_ci_u32_e64 v6, s1, v7, v15, s1
	global_load_b64 v[14:15], v[5:6], off
	s_waitcnt vmcnt(0)
	v_dual_sub_f32 v11, v13, v14 :: v_dual_sub_f32 v12, v12, v15
	global_store_b64 v[5:6], v[11:12], off
.LBB1087_7:
	s_or_b32 exec_lo, exec_lo, s6
	v_add_nc_u32_e32 v0, 16, v0
	s_delay_alu instid0(VALU_DEP_1) | instskip(SKIP_3) | instid1(VALU_DEP_4)
	v_ashrrev_i32_e32 v3, 31, v0
	v_mul_lo_u32 v7, v0, s5
	v_mad_u64_u32 v[5:6], null, v0, s4, 0
	v_cmp_le_i32_e64 s1, v0, v2
	v_mul_lo_u32 v3, v3, s4
	s_delay_alu instid0(VALU_DEP_1) | instskip(NEXT) | instid1(VALU_DEP_1)
	v_add3_u32 v6, v6, v7, v3
	v_lshlrev_b64 v[6:7], 3, v[5:6]
	s_delay_alu instid0(VALU_DEP_1) | instskip(NEXT) | instid1(VALU_DEP_1)
	v_add_co_u32 v6, s2, s2, v6
	v_add_co_ci_u32_e64 v7, s2, s3, v7, s2
	s_and_b32 s2, s1, vcc_lo
	s_delay_alu instid0(SALU_CYCLE_1)
	s_and_saveexec_b32 s1, s2
	s_cbranch_execz .LBB1087_9
; %bb.8:
	v_ashrrev_i32_e32 v3, 31, v2
	s_delay_alu instid0(VALU_DEP_1) | instskip(NEXT) | instid1(VALU_DEP_1)
	v_lshlrev_b64 v[2:3], 3, v[2:3]
	v_add_co_u32 v2, vcc_lo, v6, v2
	s_delay_alu instid0(VALU_DEP_2)
	v_add_co_ci_u32_e32 v3, vcc_lo, v7, v3, vcc_lo
	global_load_b64 v[11:12], v[2:3], off
	s_waitcnt vmcnt(0)
	v_dual_sub_f32 v9, v9, v11 :: v_dual_sub_f32 v10, v10, v12
	global_store_b64 v[2:3], v[9:10], off
.LBB1087_9:
	s_or_b32 exec_lo, exec_lo, s1
	v_cmp_le_i32_e32 vcc_lo, v0, v4
	s_and_b32 s0, vcc_lo, s0
	s_delay_alu instid0(SALU_CYCLE_1)
	s_and_saveexec_b32 s1, s0
	s_cbranch_execz .LBB1087_11
; %bb.10:
	v_ashrrev_i32_e32 v5, 31, v4
	s_delay_alu instid0(VALU_DEP_1) | instskip(NEXT) | instid1(VALU_DEP_1)
	v_lshlrev_b64 v[2:3], 3, v[4:5]
	v_add_co_u32 v2, vcc_lo, v6, v2
	s_delay_alu instid0(VALU_DEP_2)
	v_add_co_ci_u32_e32 v3, vcc_lo, v7, v3, vcc_lo
	global_load_b64 v[4:5], v[2:3], off
	s_waitcnt vmcnt(0)
	v_dual_sub_f32 v0, v8, v4 :: v_dual_sub_f32 v1, v1, v5
	global_store_b64 v[2:3], v[0:1], off
.LBB1087_11:
	s_nop 0
	s_sendmsg sendmsg(MSG_DEALLOC_VGPRS)
	s_endpgm
	.section	.rodata,"a",@progbits
	.p2align	6, 0x0
	.amdhsa_kernel _ZL37rocblas_syrkx_herkx_restricted_kernelIl19rocblas_complex_numIfELi16ELi32ELi8ELi1ELin1ELb0ELc67ELc76EKS1_S1_EviT_PT9_S3_lS5_S3_lPT10_S3_li
		.amdhsa_group_segment_fixed_size 4096
		.amdhsa_private_segment_fixed_size 0
		.amdhsa_kernarg_size 92
		.amdhsa_user_sgpr_count 13
		.amdhsa_user_sgpr_dispatch_ptr 0
		.amdhsa_user_sgpr_queue_ptr 0
		.amdhsa_user_sgpr_kernarg_segment_ptr 1
		.amdhsa_user_sgpr_dispatch_id 0
		.amdhsa_user_sgpr_private_segment_size 0
		.amdhsa_wavefront_size32 1
		.amdhsa_uses_dynamic_stack 0
		.amdhsa_enable_private_segment 0
		.amdhsa_system_sgpr_workgroup_id_x 1
		.amdhsa_system_sgpr_workgroup_id_y 1
		.amdhsa_system_sgpr_workgroup_id_z 1
		.amdhsa_system_sgpr_workgroup_info 0
		.amdhsa_system_vgpr_workitem_id 1
		.amdhsa_next_free_vgpr 91
		.amdhsa_next_free_sgpr 32
		.amdhsa_reserve_vcc 1
		.amdhsa_float_round_mode_32 0
		.amdhsa_float_round_mode_16_64 0
		.amdhsa_float_denorm_mode_32 3
		.amdhsa_float_denorm_mode_16_64 3
		.amdhsa_dx10_clamp 1
		.amdhsa_ieee_mode 1
		.amdhsa_fp16_overflow 0
		.amdhsa_workgroup_processor_mode 1
		.amdhsa_memory_ordered 1
		.amdhsa_forward_progress 0
		.amdhsa_shared_vgpr_count 0
		.amdhsa_exception_fp_ieee_invalid_op 0
		.amdhsa_exception_fp_denorm_src 0
		.amdhsa_exception_fp_ieee_div_zero 0
		.amdhsa_exception_fp_ieee_overflow 0
		.amdhsa_exception_fp_ieee_underflow 0
		.amdhsa_exception_fp_ieee_inexact 0
		.amdhsa_exception_int_div_zero 0
	.end_amdhsa_kernel
	.section	.text._ZL37rocblas_syrkx_herkx_restricted_kernelIl19rocblas_complex_numIfELi16ELi32ELi8ELi1ELin1ELb0ELc67ELc76EKS1_S1_EviT_PT9_S3_lS5_S3_lPT10_S3_li,"axG",@progbits,_ZL37rocblas_syrkx_herkx_restricted_kernelIl19rocblas_complex_numIfELi16ELi32ELi8ELi1ELin1ELb0ELc67ELc76EKS1_S1_EviT_PT9_S3_lS5_S3_lPT10_S3_li,comdat
.Lfunc_end1087:
	.size	_ZL37rocblas_syrkx_herkx_restricted_kernelIl19rocblas_complex_numIfELi16ELi32ELi8ELi1ELin1ELb0ELc67ELc76EKS1_S1_EviT_PT9_S3_lS5_S3_lPT10_S3_li, .Lfunc_end1087-_ZL37rocblas_syrkx_herkx_restricted_kernelIl19rocblas_complex_numIfELi16ELi32ELi8ELi1ELin1ELb0ELc67ELc76EKS1_S1_EviT_PT9_S3_lS5_S3_lPT10_S3_li
                                        ; -- End function
	.section	.AMDGPU.csdata,"",@progbits
; Kernel info:
; codeLenInByte = 2200
; NumSgprs: 34
; NumVgprs: 91
; ScratchSize: 0
; MemoryBound: 0
; FloatMode: 240
; IeeeMode: 1
; LDSByteSize: 4096 bytes/workgroup (compile time only)
; SGPRBlocks: 4
; VGPRBlocks: 11
; NumSGPRsForWavesPerEU: 34
; NumVGPRsForWavesPerEU: 91
; Occupancy: 16
; WaveLimiterHint : 1
; COMPUTE_PGM_RSRC2:SCRATCH_EN: 0
; COMPUTE_PGM_RSRC2:USER_SGPR: 13
; COMPUTE_PGM_RSRC2:TRAP_HANDLER: 0
; COMPUTE_PGM_RSRC2:TGID_X_EN: 1
; COMPUTE_PGM_RSRC2:TGID_Y_EN: 1
; COMPUTE_PGM_RSRC2:TGID_Z_EN: 1
; COMPUTE_PGM_RSRC2:TIDIG_COMP_CNT: 1
	.section	.text._ZL37rocblas_syrkx_herkx_restricted_kernelIl19rocblas_complex_numIfELi16ELi32ELi8ELi1ELin1ELb0ELc78ELc76EKS1_S1_EviT_PT9_S3_lS5_S3_lPT10_S3_li,"axG",@progbits,_ZL37rocblas_syrkx_herkx_restricted_kernelIl19rocblas_complex_numIfELi16ELi32ELi8ELi1ELin1ELb0ELc78ELc76EKS1_S1_EviT_PT9_S3_lS5_S3_lPT10_S3_li,comdat
	.globl	_ZL37rocblas_syrkx_herkx_restricted_kernelIl19rocblas_complex_numIfELi16ELi32ELi8ELi1ELin1ELb0ELc78ELc76EKS1_S1_EviT_PT9_S3_lS5_S3_lPT10_S3_li ; -- Begin function _ZL37rocblas_syrkx_herkx_restricted_kernelIl19rocblas_complex_numIfELi16ELi32ELi8ELi1ELin1ELb0ELc78ELc76EKS1_S1_EviT_PT9_S3_lS5_S3_lPT10_S3_li
	.p2align	8
	.type	_ZL37rocblas_syrkx_herkx_restricted_kernelIl19rocblas_complex_numIfELi16ELi32ELi8ELi1ELin1ELb0ELc78ELc76EKS1_S1_EviT_PT9_S3_lS5_S3_lPT10_S3_li,@function
_ZL37rocblas_syrkx_herkx_restricted_kernelIl19rocblas_complex_numIfELi16ELi32ELi8ELi1ELin1ELb0ELc78ELc76EKS1_S1_EviT_PT9_S3_lS5_S3_lPT10_S3_li: ; @_ZL37rocblas_syrkx_herkx_restricted_kernelIl19rocblas_complex_numIfELi16ELi32ELi8ELi1ELin1ELb0ELc78ELc76EKS1_S1_EviT_PT9_S3_lS5_S3_lPT10_S3_li
; %bb.0:
	s_load_b512 s[16:31], s[0:1], 0x8
	v_dual_mov_b32 v14, 0 :: v_dual_mov_b32 v15, 0
	v_dual_mov_b32 v13, 0 :: v_dual_mov_b32 v12, 0
	;; [unrolled: 1-line block ×3, first 2 shown]
	v_dual_mov_b32 v7, 0 :: v_dual_and_b32 v4, 0x3ff, v0
	v_bfe_u32 v5, v0, 10, 10
	v_mov_b32_e32 v6, 0
	s_lshl_b32 s8, s13, 5
	s_lshl_b32 s9, s14, 5
	s_waitcnt lgkmcnt(0)
	v_cmp_lt_i64_e64 s2, s[16:17], 1
	s_delay_alu instid0(VALU_DEP_1)
	s_and_b32 vcc_lo, exec_lo, s2
	s_cbranch_vccnz .LBB1088_3
; %bb.1:
	v_lshl_add_u32 v1, v5, 4, v4
	v_and_b32_e32 v13, 7, v4
	s_mul_i32 s3, s23, s15
	s_mul_hi_u32 s5, s22, s15
	s_mul_i32 s2, s22, s15
	v_and_b32_e32 v9, 31, v1
	v_lshrrev_b32_e32 v12, 3, v1
	v_lshrrev_b32_e32 v14, 5, v1
	s_add_i32 s3, s5, s3
	s_mul_i32 s6, s29, s15
	v_add_nc_u32_e32 v0, s8, v9
	v_add_nc_u32_e32 v2, s9, v12
	s_lshl_b64 s[2:3], s[2:3], 3
	s_mul_hi_u32 s7, s28, s15
	s_add_u32 s10, s18, s2
	v_ashrrev_i32_e32 v1, 31, v0
	v_ashrrev_i32_e32 v3, 31, v2
	s_mul_i32 s4, s28, s15
	s_addc_u32 s11, s19, s3
	s_add_i32 s5, s7, s6
	v_mad_u64_u32 v[6:7], null, v14, s20, v[0:1]
	v_mad_u64_u32 v[0:1], null, v13, s26, v[2:3]
	s_lshl_b64 s[4:5], s[4:5], 3
	s_lshl_b64 s[2:3], s[20:21], 6
	s_add_u32 s4, s24, s4
	s_addc_u32 s5, s25, s5
	s_delay_alu instid0(VALU_DEP_2) | instskip(SKIP_3) | instid1(VALU_DEP_3)
	v_mov_b32_e32 v2, v7
	v_lshlrev_b32_e32 v10, 3, v4
	v_lshl_add_u32 v11, v5, 6, 0x800
	s_mov_b64 s[6:7], 0
	v_mad_u64_u32 v[7:8], null, v14, s21, v[2:3]
	v_mad_u64_u32 v[2:3], null, v13, s27, v[1:2]
	s_delay_alu instid0(VALU_DEP_1) | instskip(NEXT) | instid1(VALU_DEP_3)
	v_dual_mov_b32 v1, v2 :: v_dual_lshlrev_b32 v8, 3, v9
	v_lshlrev_b64 v[2:3], 3, v[6:7]
	s_delay_alu instid0(VALU_DEP_2) | instskip(NEXT) | instid1(VALU_DEP_2)
	v_lshlrev_b64 v[0:1], 3, v[0:1]
	v_add_co_u32 v2, vcc_lo, s10, v2
	s_delay_alu instid0(VALU_DEP_3) | instskip(NEXT) | instid1(VALU_DEP_3)
	v_add_co_ci_u32_e32 v3, vcc_lo, s11, v3, vcc_lo
	v_add_co_u32 v6, vcc_lo, s4, v0
	s_delay_alu instid0(VALU_DEP_4) | instskip(NEXT) | instid1(VALU_DEP_4)
	v_add_co_ci_u32_e32 v7, vcc_lo, s5, v1, vcc_lo
	v_add_co_u32 v0, vcc_lo, v2, 4
	s_delay_alu instid0(VALU_DEP_4) | instskip(NEXT) | instid1(VALU_DEP_4)
	v_add_co_ci_u32_e32 v1, vcc_lo, 0, v3, vcc_lo
	v_add_co_u32 v2, vcc_lo, v6, 4
	v_dual_mov_b32 v6, 0 :: v_dual_lshlrev_b32 v15, 3, v13
	v_mov_b32_e32 v13, 0
	v_lshl_or_b32 v16, v14, 8, v8
	v_mov_b32_e32 v8, 0
	v_add_co_ci_u32_e32 v3, vcc_lo, 0, v7, vcc_lo
	v_lshl_or_b32 v9, v12, 6, v15
	v_dual_mov_b32 v7, 0 :: v_dual_mov_b32 v12, 0
	v_dual_mov_b32 v15, 0 :: v_dual_mov_b32 v14, 0
	s_delay_alu instid0(VALU_DEP_3)
	v_add_nc_u32_e32 v17, 0x800, v9
	v_mov_b32_e32 v9, 0
	s_lshl_b64 s[4:5], s[26:27], 6
.LBB1088_2:                             ; =>This Inner Loop Header: Depth=1
	global_load_b64 v[18:19], v[0:1], off offset:-4
	global_load_b64 v[20:21], v[2:3], off offset:-4
	s_add_u32 s6, s6, 8
	v_add_co_u32 v0, vcc_lo, v0, s2
	s_addc_u32 s7, s7, 0
	v_add_co_ci_u32_e32 v1, vcc_lo, s3, v1, vcc_lo
	v_cmp_ge_u64_e64 s10, s[6:7], s[16:17]
	v_add_co_u32 v2, vcc_lo, v2, s4
	v_add_co_ci_u32_e32 v3, vcc_lo, s5, v3, vcc_lo
	s_waitcnt vmcnt(1)
	ds_store_b64 v16, v[18:19]
	s_waitcnt vmcnt(0)
	ds_store_b64 v17, v[20:21]
	s_waitcnt lgkmcnt(0)
	s_barrier
	buffer_gl0_inv
	ds_load_2addr_b64 v[18:21], v10 offset1:16
	ds_load_b128 v[22:25], v11
	ds_load_b128 v[26:29], v11 offset:1024
	ds_load_b128 v[30:33], v11 offset:16
	;; [unrolled: 1-line block ×4, first 2 shown]
	ds_load_2addr_b64 v[42:45], v10 offset0:32 offset1:48
	ds_load_2addr_b64 v[46:49], v10 offset0:64 offset1:80
	ds_load_b128 v[50:53], v11 offset:1040
	ds_load_2addr_b64 v[54:57], v10 offset0:96 offset1:112
	ds_load_2addr_b64 v[58:61], v10 offset0:128 offset1:144
	;; [unrolled: 1-line block ×4, first 2 shown]
	ds_load_b128 v[70:73], v11 offset:1056
	ds_load_b128 v[74:77], v11 offset:1072
	ds_load_2addr_b64 v[78:81], v10 offset0:224 offset1:240
	s_and_b32 vcc_lo, exec_lo, s10
	s_waitcnt lgkmcnt(0)
	s_barrier
	buffer_gl0_inv
	v_dual_mul_f32 v82, v23, v19 :: v_dual_mul_f32 v85, v22, v21
	v_dual_mul_f32 v83, v22, v19 :: v_dual_mul_f32 v84, v23, v21
	v_mul_f32_e32 v86, v27, v19
	v_dual_mul_f32 v19, v26, v19 :: v_dual_mul_f32 v90, v25, v45
	v_dual_mul_f32 v87, v27, v21 :: v_dual_mul_f32 v88, v25, v43
	v_mul_f32_e32 v21, v26, v21
	v_mul_f32_e32 v89, v24, v43
	;; [unrolled: 1-line block ×3, first 2 shown]
	v_fma_f32 v82, v22, v18, -v82
	v_fmac_f32_e32 v83, v23, v18
	v_fma_f32 v22, v22, v20, -v84
	v_dual_fmac_f32 v85, v23, v20 :: v_dual_mul_f32 v84, v30, v47
	v_fma_f32 v23, v26, v18, -v86
	v_fmac_f32_e32 v19, v27, v18
	v_fma_f32 v18, v26, v20, -v87
	v_dual_mul_f32 v26, v28, v43 :: v_dual_fmac_f32 v21, v27, v20
	v_mul_f32_e32 v20, v29, v43
	v_mul_f32_e32 v27, v29, v45
	v_dual_mul_f32 v43, v28, v45 :: v_dual_fmac_f32 v84, v31, v46
	v_fma_f32 v45, v24, v42, -v88
	v_fma_f32 v24, v24, v44, -v90
	v_dual_fmac_f32 v91, v25, v44 :: v_dual_mul_f32 v90, v32, v57
	v_dual_mul_f32 v86, v31, v49 :: v_dual_fmac_f32 v89, v25, v42
	v_dual_mul_f32 v25, v31, v47 :: v_dual_mul_f32 v88, v33, v57
	v_fma_f32 v20, v28, v42, -v20
	v_fmac_f32_e32 v26, v29, v42
	v_fma_f32 v27, v28, v44, -v27
	v_dual_fmac_f32 v43, v29, v44 :: v_dual_mul_f32 v28, v51, v47
	v_dual_mul_f32 v29, v50, v47 :: v_dual_mul_f32 v42, v51, v49
	v_mul_f32_e32 v44, v50, v49
	v_mul_f32_e32 v87, v30, v49
	;; [unrolled: 1-line block ×3, first 2 shown]
	v_dual_mul_f32 v49, v32, v55 :: v_dual_fmac_f32 v90, v33, v56
	v_fma_f32 v25, v30, v46, -v25
	v_fma_f32 v30, v30, v48, -v86
	;; [unrolled: 1-line block ×3, first 2 shown]
	v_fmac_f32_e32 v44, v51, v48
	v_fmac_f32_e32 v87, v31, v48
	v_fma_f32 v31, v50, v48, -v42
	v_mul_f32_e32 v42, v53, v55
	v_mul_f32_e32 v48, v53, v57
	v_dual_mul_f32 v50, v52, v57 :: v_dual_fmac_f32 v29, v51, v46
	v_mul_f32_e32 v46, v52, v55
	v_fma_f32 v47, v32, v54, -v47
	v_fmac_f32_e32 v49, v33, v54
	v_fma_f32 v32, v32, v56, -v88
	s_delay_alu instid0(VALU_DEP_4)
	v_dual_mul_f32 v33, v35, v59 :: v_dual_fmac_f32 v46, v53, v54
	v_mul_f32_e32 v51, v34, v59
	v_mul_f32_e32 v55, v35, v61
	v_fma_f32 v42, v52, v54, -v42
	v_fma_f32 v48, v52, v56, -v48
	v_fmac_f32_e32 v50, v53, v56
	v_mul_f32_e32 v52, v71, v59
	v_dual_mul_f32 v53, v70, v59 :: v_dual_mul_f32 v86, v37, v65
	v_mul_f32_e32 v54, v71, v61
	v_dual_mul_f32 v56, v70, v61 :: v_dual_mul_f32 v59, v37, v63
	v_mul_f32_e32 v57, v34, v61
	v_mul_f32_e32 v61, v36, v63
	v_dual_mul_f32 v88, v36, v65 :: v_dual_fmac_f32 v51, v35, v58
	v_fma_f32 v33, v34, v58, -v33
	v_fmac_f32_e32 v53, v71, v58
	v_fmac_f32_e32 v56, v71, v60
	s_delay_alu instid0(VALU_DEP_4)
	v_fmac_f32_e32 v88, v37, v64
	v_fmac_f32_e32 v57, v35, v60
	v_fma_f32 v35, v70, v58, -v52
	v_fma_f32 v52, v70, v60, -v54
	v_mul_f32_e32 v54, v73, v63
	v_fma_f32 v34, v34, v60, -v55
	v_mul_f32_e32 v60, v72, v65
	v_dual_mul_f32 v55, v72, v63 :: v_dual_mul_f32 v70, v38, v69
	v_mul_f32_e32 v58, v73, v65
	v_fma_f32 v59, v36, v62, -v59
	v_fmac_f32_e32 v61, v37, v62
	v_fma_f32 v36, v36, v64, -v86
	v_dual_mul_f32 v37, v39, v67 :: v_dual_fmac_f32 v60, v73, v64
	v_dual_mul_f32 v63, v38, v67 :: v_dual_mul_f32 v86, v40, v81
	v_mul_f32_e32 v65, v39, v69
	v_fma_f32 v54, v72, v62, -v54
	v_fmac_f32_e32 v55, v73, v62
	v_fma_f32 v58, v72, v64, -v58
	v_mul_f32_e32 v72, v40, v79
	v_mul_f32_e32 v62, v75, v67
	v_dual_mul_f32 v64, v74, v67 :: v_dual_mul_f32 v67, v75, v69
	v_dual_mul_f32 v69, v74, v69 :: v_dual_fmac_f32 v70, v39, v68
	s_delay_alu instid0(VALU_DEP_2)
	v_dual_mul_f32 v71, v41, v79 :: v_dual_fmac_f32 v64, v75, v66
	v_fma_f32 v37, v38, v66, -v37
	v_fmac_f32_e32 v63, v39, v66
	v_fma_f32 v38, v38, v68, -v65
	v_fma_f32 v39, v74, v66, -v62
	v_dual_fmac_f32 v69, v75, v68 :: v_dual_fmac_f32 v72, v41, v78
	v_mul_f32_e32 v66, v76, v79
	v_fma_f32 v62, v74, v68, -v67
	v_mul_f32_e32 v68, v76, v81
	v_dual_mul_f32 v73, v41, v81 :: v_dual_add_f32 v14, v14, v82
	v_dual_mul_f32 v65, v77, v79 :: v_dual_add_f32 v12, v12, v85
	;; [unrolled: 1-line block ×3, first 2 shown]
	v_dual_fmac_f32 v86, v41, v80 :: v_dual_add_f32 v15, v15, v83
	v_dual_fmac_f32 v68, v77, v80 :: v_dual_add_f32 v7, v7, v18
	v_dual_add_f32 v13, v13, v22 :: v_dual_add_f32 v6, v6, v21
	v_dual_add_f32 v9, v9, v19 :: v_dual_add_f32 v14, v14, v45
	s_delay_alu instid0(VALU_DEP_4) | instskip(NEXT) | instid1(VALU_DEP_3)
	v_dual_fmac_f32 v66, v77, v78 :: v_dual_add_f32 v15, v15, v89
	v_dual_add_f32 v13, v13, v24 :: v_dual_add_f32 v12, v12, v91
	s_delay_alu instid0(VALU_DEP_3) | instskip(NEXT) | instid1(VALU_DEP_4)
	v_dual_add_f32 v8, v8, v20 :: v_dual_add_f32 v9, v9, v26
	v_dual_add_f32 v7, v7, v27 :: v_dual_add_f32 v14, v14, v25
	s_delay_alu instid0(VALU_DEP_4) | instskip(NEXT) | instid1(VALU_DEP_4)
	v_dual_add_f32 v6, v6, v43 :: v_dual_add_f32 v15, v15, v84
	v_dual_add_f32 v13, v13, v30 :: v_dual_add_f32 v12, v12, v87
	s_delay_alu instid0(VALU_DEP_4) | instskip(NEXT) | instid1(VALU_DEP_3)
	v_dual_add_f32 v8, v8, v28 :: v_dual_add_f32 v9, v9, v29
	v_dual_add_f32 v7, v7, v31 :: v_dual_add_f32 v6, v6, v44
	s_delay_alu instid0(VALU_DEP_4) | instskip(NEXT) | instid1(VALU_DEP_4)
	v_dual_add_f32 v14, v14, v47 :: v_dual_add_f32 v15, v15, v49
	v_dual_add_f32 v13, v13, v32 :: v_dual_add_f32 v12, v12, v90
	s_delay_alu instid0(VALU_DEP_3) | instskip(NEXT) | instid1(VALU_DEP_3)
	v_dual_add_f32 v8, v8, v42 :: v_dual_add_f32 v7, v7, v48
	v_dual_add_f32 v9, v9, v46 :: v_dual_add_f32 v14, v14, v33
	s_delay_alu instid0(VALU_DEP_4) | instskip(NEXT) | instid1(VALU_DEP_4)
	v_dual_add_f32 v6, v6, v50 :: v_dual_add_f32 v15, v15, v51
	v_dual_add_f32 v13, v13, v34 :: v_dual_add_f32 v12, v12, v57
	s_delay_alu instid0(VALU_DEP_3) | instskip(NEXT) | instid1(VALU_DEP_4)
	v_dual_add_f32 v8, v8, v35 :: v_dual_add_f32 v9, v9, v53
	v_dual_add_f32 v7, v7, v52 :: v_dual_add_f32 v14, v14, v59
	s_delay_alu instid0(VALU_DEP_4) | instskip(NEXT) | instid1(VALU_DEP_3)
	v_dual_add_f32 v6, v6, v56 :: v_dual_add_f32 v15, v15, v61
	v_dual_add_f32 v13, v13, v36 :: v_dual_add_f32 v8, v8, v54
	s_delay_alu instid0(VALU_DEP_4) | instskip(NEXT) | instid1(VALU_DEP_3)
	v_dual_add_f32 v12, v12, v88 :: v_dual_add_f32 v9, v9, v55
	v_dual_add_f32 v7, v7, v58 :: v_dual_add_f32 v6, v6, v60
	v_fma_f32 v71, v40, v78, -v71
	v_fma_f32 v40, v40, v80, -v73
	;; [unrolled: 1-line block ×4, first 2 shown]
	v_dual_add_f32 v14, v14, v37 :: v_dual_add_f32 v15, v15, v63
	v_dual_add_f32 v13, v13, v38 :: v_dual_add_f32 v8, v8, v39
	;; [unrolled: 1-line block ×4, first 2 shown]
	s_delay_alu instid0(VALU_DEP_4) | instskip(NEXT) | instid1(VALU_DEP_3)
	v_dual_add_f32 v14, v14, v71 :: v_dual_add_f32 v15, v15, v72
	v_dual_add_f32 v13, v13, v40 :: v_dual_add_f32 v12, v12, v86
	s_delay_alu instid0(VALU_DEP_4) | instskip(NEXT) | instid1(VALU_DEP_4)
	v_dual_add_f32 v8, v8, v41 :: v_dual_add_f32 v9, v9, v66
	v_dual_add_f32 v7, v7, v65 :: v_dual_add_f32 v6, v6, v68
	s_cbranch_vccz .LBB1088_2
.LBB1088_3:
	s_load_b128 s[4:7], s[0:1], 0x48
	v_add_nc_u32_e32 v5, s9, v5
	s_load_b32 s9, s[0:1], 0x0
	s_delay_alu instid0(VALU_DEP_1) | instskip(SKIP_1) | instid1(VALU_DEP_1)
	v_ashrrev_i32_e32 v0, 31, v5
	s_waitcnt lgkmcnt(0)
	v_mul_lo_u32 v3, v0, s4
	v_mul_lo_u32 v10, v5, s5
	v_mad_u64_u32 v[1:2], null, v5, s4, 0
	s_mul_i32 s1, s15, s7
	s_mul_hi_u32 s3, s15, s6
	s_mul_i32 s2, s15, s6
	s_add_i32 s3, s3, s1
	v_add_nc_u32_e32 v0, s8, v4
	s_lshl_b64 s[2:3], s[2:3], 3
	s_delay_alu instid0(VALU_DEP_2)
	v_add3_u32 v2, v2, v10, v3
	s_add_u32 s2, s30, s2
	s_addc_u32 s3, s31, s3
	v_cmp_le_i32_e64 s0, v5, v0
	v_cmp_gt_i32_e32 vcc_lo, s9, v0
	v_lshlrev_b64 v[1:2], 3, v[1:2]
	s_delay_alu instid0(VALU_DEP_3) | instskip(NEXT) | instid1(VALU_DEP_1)
	s_and_b32 s0, s0, vcc_lo
	v_add_co_u32 v4, s1, s2, v1
	s_delay_alu instid0(VALU_DEP_1)
	v_add_co_ci_u32_e64 v10, s1, s3, v2, s1
	s_and_saveexec_b32 s1, s0
	s_cbranch_execz .LBB1088_5
; %bb.4:
	v_ashrrev_i32_e32 v1, 31, v0
	s_delay_alu instid0(VALU_DEP_1) | instskip(NEXT) | instid1(VALU_DEP_1)
	v_lshlrev_b64 v[1:2], 3, v[0:1]
	v_add_co_u32 v1, s0, v4, v1
	s_delay_alu instid0(VALU_DEP_1)
	v_add_co_ci_u32_e64 v2, s0, v10, v2, s0
	global_load_b64 v[16:17], v[1:2], off
	s_waitcnt vmcnt(0)
	v_dual_sub_f32 v14, v14, v16 :: v_dual_sub_f32 v15, v15, v17
	global_store_b64 v[1:2], v[14:15], off
.LBB1088_5:
	s_or_b32 exec_lo, exec_lo, s1
	v_add_nc_u32_e32 v2, 16, v0
	s_delay_alu instid0(VALU_DEP_1) | instskip(SKIP_1) | instid1(VALU_DEP_1)
	v_cmp_le_i32_e64 s1, v5, v2
	v_cmp_gt_i32_e64 s0, s9, v2
	s_and_b32 s1, s1, s0
	s_delay_alu instid0(SALU_CYCLE_1)
	s_and_saveexec_b32 s6, s1
	s_cbranch_execz .LBB1088_7
; %bb.6:
	v_ashrrev_i32_e32 v3, 31, v2
	s_delay_alu instid0(VALU_DEP_1) | instskip(NEXT) | instid1(VALU_DEP_1)
	v_lshlrev_b64 v[14:15], 3, v[2:3]
	v_add_co_u32 v3, s1, v4, v14
	s_delay_alu instid0(VALU_DEP_1)
	v_add_co_ci_u32_e64 v4, s1, v10, v15, s1
	global_load_b64 v[10:11], v[3:4], off
	s_waitcnt vmcnt(0)
	v_dual_sub_f32 v10, v13, v10 :: v_dual_sub_f32 v11, v12, v11
	global_store_b64 v[3:4], v[10:11], off
.LBB1088_7:
	s_or_b32 exec_lo, exec_lo, s6
	v_add_nc_u32_e32 v3, 16, v5
	s_delay_alu instid0(VALU_DEP_1) | instskip(SKIP_3) | instid1(VALU_DEP_4)
	v_ashrrev_i32_e32 v1, 31, v3
	v_mul_lo_u32 v10, v3, s5
	v_mad_u64_u32 v[4:5], null, v3, s4, 0
	v_cmp_le_i32_e64 s1, v3, v0
	v_mul_lo_u32 v1, v1, s4
	s_delay_alu instid0(VALU_DEP_1) | instskip(NEXT) | instid1(VALU_DEP_1)
	v_add3_u32 v5, v5, v10, v1
	v_lshlrev_b64 v[4:5], 3, v[4:5]
	s_delay_alu instid0(VALU_DEP_1) | instskip(NEXT) | instid1(VALU_DEP_1)
	v_add_co_u32 v4, s2, s2, v4
	v_add_co_ci_u32_e64 v5, s2, s3, v5, s2
	s_and_b32 s2, s1, vcc_lo
	s_delay_alu instid0(SALU_CYCLE_1)
	s_and_saveexec_b32 s1, s2
	s_cbranch_execz .LBB1088_9
; %bb.8:
	v_ashrrev_i32_e32 v1, 31, v0
	s_delay_alu instid0(VALU_DEP_1) | instskip(NEXT) | instid1(VALU_DEP_1)
	v_lshlrev_b64 v[0:1], 3, v[0:1]
	v_add_co_u32 v0, vcc_lo, v4, v0
	s_delay_alu instid0(VALU_DEP_2)
	v_add_co_ci_u32_e32 v1, vcc_lo, v5, v1, vcc_lo
	global_load_b64 v[10:11], v[0:1], off
	s_waitcnt vmcnt(0)
	v_dual_sub_f32 v8, v8, v10 :: v_dual_sub_f32 v9, v9, v11
	global_store_b64 v[0:1], v[8:9], off
.LBB1088_9:
	s_or_b32 exec_lo, exec_lo, s1
	v_cmp_le_i32_e32 vcc_lo, v3, v2
	s_and_b32 s0, vcc_lo, s0
	s_delay_alu instid0(SALU_CYCLE_1)
	s_and_saveexec_b32 s1, s0
	s_cbranch_execz .LBB1088_11
; %bb.10:
	v_ashrrev_i32_e32 v3, 31, v2
	s_delay_alu instid0(VALU_DEP_1) | instskip(NEXT) | instid1(VALU_DEP_1)
	v_lshlrev_b64 v[0:1], 3, v[2:3]
	v_add_co_u32 v0, vcc_lo, v4, v0
	s_delay_alu instid0(VALU_DEP_2)
	v_add_co_ci_u32_e32 v1, vcc_lo, v5, v1, vcc_lo
	global_load_b64 v[2:3], v[0:1], off
	s_waitcnt vmcnt(0)
	v_dual_sub_f32 v2, v7, v2 :: v_dual_sub_f32 v3, v6, v3
	global_store_b64 v[0:1], v[2:3], off
.LBB1088_11:
	s_nop 0
	s_sendmsg sendmsg(MSG_DEALLOC_VGPRS)
	s_endpgm
	.section	.rodata,"a",@progbits
	.p2align	6, 0x0
	.amdhsa_kernel _ZL37rocblas_syrkx_herkx_restricted_kernelIl19rocblas_complex_numIfELi16ELi32ELi8ELi1ELin1ELb0ELc78ELc76EKS1_S1_EviT_PT9_S3_lS5_S3_lPT10_S3_li
		.amdhsa_group_segment_fixed_size 4096
		.amdhsa_private_segment_fixed_size 0
		.amdhsa_kernarg_size 92
		.amdhsa_user_sgpr_count 13
		.amdhsa_user_sgpr_dispatch_ptr 0
		.amdhsa_user_sgpr_queue_ptr 0
		.amdhsa_user_sgpr_kernarg_segment_ptr 1
		.amdhsa_user_sgpr_dispatch_id 0
		.amdhsa_user_sgpr_private_segment_size 0
		.amdhsa_wavefront_size32 1
		.amdhsa_uses_dynamic_stack 0
		.amdhsa_enable_private_segment 0
		.amdhsa_system_sgpr_workgroup_id_x 1
		.amdhsa_system_sgpr_workgroup_id_y 1
		.amdhsa_system_sgpr_workgroup_id_z 1
		.amdhsa_system_sgpr_workgroup_info 0
		.amdhsa_system_vgpr_workitem_id 1
		.amdhsa_next_free_vgpr 92
		.amdhsa_next_free_sgpr 32
		.amdhsa_reserve_vcc 1
		.amdhsa_float_round_mode_32 0
		.amdhsa_float_round_mode_16_64 0
		.amdhsa_float_denorm_mode_32 3
		.amdhsa_float_denorm_mode_16_64 3
		.amdhsa_dx10_clamp 1
		.amdhsa_ieee_mode 1
		.amdhsa_fp16_overflow 0
		.amdhsa_workgroup_processor_mode 1
		.amdhsa_memory_ordered 1
		.amdhsa_forward_progress 0
		.amdhsa_shared_vgpr_count 0
		.amdhsa_exception_fp_ieee_invalid_op 0
		.amdhsa_exception_fp_denorm_src 0
		.amdhsa_exception_fp_ieee_div_zero 0
		.amdhsa_exception_fp_ieee_overflow 0
		.amdhsa_exception_fp_ieee_underflow 0
		.amdhsa_exception_fp_ieee_inexact 0
		.amdhsa_exception_int_div_zero 0
	.end_amdhsa_kernel
	.section	.text._ZL37rocblas_syrkx_herkx_restricted_kernelIl19rocblas_complex_numIfELi16ELi32ELi8ELi1ELin1ELb0ELc78ELc76EKS1_S1_EviT_PT9_S3_lS5_S3_lPT10_S3_li,"axG",@progbits,_ZL37rocblas_syrkx_herkx_restricted_kernelIl19rocblas_complex_numIfELi16ELi32ELi8ELi1ELin1ELb0ELc78ELc76EKS1_S1_EviT_PT9_S3_lS5_S3_lPT10_S3_li,comdat
.Lfunc_end1088:
	.size	_ZL37rocblas_syrkx_herkx_restricted_kernelIl19rocblas_complex_numIfELi16ELi32ELi8ELi1ELin1ELb0ELc78ELc76EKS1_S1_EviT_PT9_S3_lS5_S3_lPT10_S3_li, .Lfunc_end1088-_ZL37rocblas_syrkx_herkx_restricted_kernelIl19rocblas_complex_numIfELi16ELi32ELi8ELi1ELin1ELb0ELc78ELc76EKS1_S1_EviT_PT9_S3_lS5_S3_lPT10_S3_li
                                        ; -- End function
	.section	.AMDGPU.csdata,"",@progbits
; Kernel info:
; codeLenInByte = 2200
; NumSgprs: 34
; NumVgprs: 92
; ScratchSize: 0
; MemoryBound: 0
; FloatMode: 240
; IeeeMode: 1
; LDSByteSize: 4096 bytes/workgroup (compile time only)
; SGPRBlocks: 4
; VGPRBlocks: 11
; NumSGPRsForWavesPerEU: 34
; NumVGPRsForWavesPerEU: 92
; Occupancy: 16
; WaveLimiterHint : 1
; COMPUTE_PGM_RSRC2:SCRATCH_EN: 0
; COMPUTE_PGM_RSRC2:USER_SGPR: 13
; COMPUTE_PGM_RSRC2:TRAP_HANDLER: 0
; COMPUTE_PGM_RSRC2:TGID_X_EN: 1
; COMPUTE_PGM_RSRC2:TGID_Y_EN: 1
; COMPUTE_PGM_RSRC2:TGID_Z_EN: 1
; COMPUTE_PGM_RSRC2:TIDIG_COMP_CNT: 1
	.section	.text._ZL37rocblas_syrkx_herkx_restricted_kernelIl19rocblas_complex_numIfELi16ELi32ELi8ELi1ELin1ELb0ELc84ELc85EKS1_S1_EviT_PT9_S3_lS5_S3_lPT10_S3_li,"axG",@progbits,_ZL37rocblas_syrkx_herkx_restricted_kernelIl19rocblas_complex_numIfELi16ELi32ELi8ELi1ELin1ELb0ELc84ELc85EKS1_S1_EviT_PT9_S3_lS5_S3_lPT10_S3_li,comdat
	.globl	_ZL37rocblas_syrkx_herkx_restricted_kernelIl19rocblas_complex_numIfELi16ELi32ELi8ELi1ELin1ELb0ELc84ELc85EKS1_S1_EviT_PT9_S3_lS5_S3_lPT10_S3_li ; -- Begin function _ZL37rocblas_syrkx_herkx_restricted_kernelIl19rocblas_complex_numIfELi16ELi32ELi8ELi1ELin1ELb0ELc84ELc85EKS1_S1_EviT_PT9_S3_lS5_S3_lPT10_S3_li
	.p2align	8
	.type	_ZL37rocblas_syrkx_herkx_restricted_kernelIl19rocblas_complex_numIfELi16ELi32ELi8ELi1ELin1ELb0ELc84ELc85EKS1_S1_EviT_PT9_S3_lS5_S3_lPT10_S3_li,@function
_ZL37rocblas_syrkx_herkx_restricted_kernelIl19rocblas_complex_numIfELi16ELi32ELi8ELi1ELin1ELb0ELc84ELc85EKS1_S1_EviT_PT9_S3_lS5_S3_lPT10_S3_li: ; @_ZL37rocblas_syrkx_herkx_restricted_kernelIl19rocblas_complex_numIfELi16ELi32ELi8ELi1ELin1ELb0ELc84ELc85EKS1_S1_EviT_PT9_S3_lS5_S3_lPT10_S3_li
; %bb.0:
	s_load_b512 s[16:31], s[0:1], 0x8
	v_dual_mov_b32 v15, 0 :: v_dual_mov_b32 v16, 0
	v_dual_mov_b32 v13, 0 :: v_dual_mov_b32 v12, 0
	;; [unrolled: 1-line block ×4, first 2 shown]
	v_and_b32_e32 v6, 0x3ff, v0
	v_bfe_u32 v7, v0, 10, 10
	s_lshl_b32 s8, s13, 5
	s_lshl_b32 s9, s14, 5
	s_waitcnt lgkmcnt(0)
	v_cmp_lt_i64_e64 s2, s[16:17], 1
	s_delay_alu instid0(VALU_DEP_1)
	s_and_b32 vcc_lo, exec_lo, s2
	s_cbranch_vccnz .LBB1089_3
; %bb.1:
	v_lshl_add_u32 v2, v7, 4, v6
	v_dual_mov_b32 v1, 0 :: v_dual_and_b32 v0, 7, v6
	s_mul_i32 s3, s23, s15
	s_mul_hi_u32 s4, s22, s15
	s_delay_alu instid0(VALU_DEP_2)
	v_and_b32_e32 v10, 31, v2
	v_lshrrev_b32_e32 v12, 3, v2
	v_mov_b32_e32 v3, v1
	v_lshrrev_b32_e32 v2, 5, v2
	v_lshlrev_b32_e32 v14, 3, v0
	v_add_nc_u32_e32 v8, s8, v10
	v_add_nc_u32_e32 v13, s9, v12
	s_mul_i32 s2, s22, s15
	s_add_i32 s3, s4, s3
	s_mul_hi_u32 s5, s28, s15
	v_ashrrev_i32_e32 v9, 31, v8
	v_mad_u64_u32 v[4:5], null, s20, v8, v[2:3]
	v_mul_lo_u32 v3, s21, v8
	s_lshl_b64 s[2:3], s[2:3], 3
	s_delay_alu instid0(VALU_DEP_3)
	v_mul_lo_u32 v16, s20, v9
	v_mad_u64_u32 v[8:9], null, v13, s26, v[0:1]
	v_lshlrev_b32_e32 v0, 3, v10
	v_lshl_or_b32 v10, v12, 6, v14
	s_add_u32 s4, s18, s2
	s_mul_i32 s2, s29, s15
	s_addc_u32 s6, s19, s3
	s_delay_alu instid0(VALU_DEP_4)
	v_add3_u32 v5, v3, v5, v16
	v_add_nc_u32_e32 v14, 0x800, v10
	v_mov_b32_e32 v10, v1
	v_ashrrev_i32_e32 v15, 31, v13
	v_mul_lo_u32 v17, v13, s27
	s_add_i32 s3, s5, s2
	s_mul_i32 s2, s28, s15
	v_lshlrev_b32_e32 v11, 3, v6
	v_mul_lo_u32 v13, v15, s26
	v_mov_b32_e32 v15, v1
	v_lshl_or_b32 v0, v2, 8, v0
	v_lshlrev_b64 v[2:3], 3, v[4:5]
	s_lshl_b64 s[2:3], s[2:3], 3
	v_mov_b32_e32 v12, v1
	s_add_u32 s2, s24, s2
	s_addc_u32 s3, s25, s3
	v_add3_u32 v9, v13, v9, v17
	v_add_co_u32 v2, vcc_lo, s4, v2
	v_add_co_ci_u32_e32 v3, vcc_lo, s6, v3, vcc_lo
	s_delay_alu instid0(VALU_DEP_3)
	v_lshlrev_b64 v[4:5], 3, v[8:9]
	v_mov_b32_e32 v8, v1
	v_lshl_add_u32 v17, v7, 6, 0x800
	v_mov_b32_e32 v9, v1
	v_mov_b32_e32 v13, v1
	;; [unrolled: 1-line block ×3, first 2 shown]
	v_add_co_u32 v4, vcc_lo, s2, v4
	v_add_co_ci_u32_e32 v5, vcc_lo, s3, v5, vcc_lo
	v_add_co_u32 v2, vcc_lo, v2, 4
	v_add_co_ci_u32_e32 v3, vcc_lo, 0, v3, vcc_lo
	s_delay_alu instid0(VALU_DEP_4) | instskip(NEXT) | instid1(VALU_DEP_4)
	v_add_co_u32 v4, vcc_lo, v4, 4
	v_add_co_ci_u32_e32 v5, vcc_lo, 0, v5, vcc_lo
	s_mov_b64 s[2:3], 0
.LBB1089_2:                             ; =>This Inner Loop Header: Depth=1
	global_load_b64 v[18:19], v[2:3], off offset:-4
	global_load_b64 v[20:21], v[4:5], off offset:-4
	s_add_u32 s2, s2, 8
	v_add_co_u32 v2, vcc_lo, v2, 64
	s_addc_u32 s3, s3, 0
	v_add_co_ci_u32_e32 v3, vcc_lo, 0, v3, vcc_lo
	v_cmp_ge_u64_e64 s4, s[2:3], s[16:17]
	v_add_co_u32 v4, vcc_lo, v4, 64
	v_add_co_ci_u32_e32 v5, vcc_lo, 0, v5, vcc_lo
	s_waitcnt vmcnt(1)
	ds_store_b64 v0, v[18:19]
	s_waitcnt vmcnt(0)
	ds_store_b64 v14, v[20:21]
	s_waitcnt lgkmcnt(0)
	s_barrier
	buffer_gl0_inv
	ds_load_2addr_b64 v[18:21], v11 offset1:16
	ds_load_b128 v[22:25], v17
	ds_load_b128 v[26:29], v17 offset:1024
	ds_load_b128 v[30:33], v17 offset:16
	;; [unrolled: 1-line block ×4, first 2 shown]
	ds_load_2addr_b64 v[42:45], v11 offset0:32 offset1:48
	ds_load_2addr_b64 v[46:49], v11 offset0:64 offset1:80
	ds_load_b128 v[50:53], v17 offset:1040
	ds_load_2addr_b64 v[54:57], v11 offset0:96 offset1:112
	ds_load_2addr_b64 v[58:61], v11 offset0:128 offset1:144
	;; [unrolled: 1-line block ×4, first 2 shown]
	ds_load_b128 v[70:73], v17 offset:1056
	ds_load_b128 v[74:77], v17 offset:1072
	ds_load_2addr_b64 v[78:81], v11 offset0:224 offset1:240
	s_and_b32 vcc_lo, exec_lo, s4
	s_waitcnt lgkmcnt(0)
	s_barrier
	buffer_gl0_inv
	v_dual_mul_f32 v82, v23, v19 :: v_dual_mul_f32 v85, v22, v21
	v_dual_mul_f32 v83, v22, v19 :: v_dual_mul_f32 v84, v23, v21
	v_mul_f32_e32 v86, v27, v19
	v_dual_mul_f32 v19, v26, v19 :: v_dual_mul_f32 v90, v25, v45
	v_dual_mul_f32 v87, v27, v21 :: v_dual_mul_f32 v88, v25, v43
	v_mul_f32_e32 v21, v26, v21
	v_fma_f32 v82, v22, v18, -v82
	v_fmac_f32_e32 v83, v23, v18
	v_fma_f32 v22, v22, v20, -v84
	v_fmac_f32_e32 v85, v23, v20
	v_fma_f32 v23, v26, v18, -v86
	v_dual_fmac_f32 v19, v27, v18 :: v_dual_mul_f32 v86, v30, v47
	v_fma_f32 v18, v26, v20, -v87
	v_dual_fmac_f32 v21, v27, v20 :: v_dual_mul_f32 v20, v24, v45
	v_mul_f32_e32 v89, v24, v43
	v_mul_f32_e32 v26, v29, v43
	;; [unrolled: 1-line block ×4, first 2 shown]
	v_fmac_f32_e32 v20, v25, v44
	v_fmac_f32_e32 v89, v25, v42
	v_dual_mul_f32 v25, v28, v45 :: v_dual_fmac_f32 v86, v31, v46
	v_fma_f32 v84, v24, v42, -v88
	v_fma_f32 v24, v24, v44, -v90
	v_dual_mul_f32 v45, v31, v47 :: v_dual_mul_f32 v90, v33, v57
	v_fma_f32 v26, v28, v42, -v26
	v_fma_f32 v28, v28, v44, -v43
	v_fmac_f32_e32 v25, v29, v44
	v_dual_mul_f32 v43, v50, v47 :: v_dual_mul_f32 v44, v51, v49
	v_dual_fmac_f32 v27, v29, v42 :: v_dual_mul_f32 v42, v51, v47
	v_dual_mul_f32 v88, v32, v55 :: v_dual_mul_f32 v29, v30, v49
	v_mul_f32_e32 v87, v31, v49
	v_fma_f32 v45, v30, v46, -v45
	v_add_f32_e32 v16, v16, v83
	s_delay_alu instid0(VALU_DEP_4)
	v_dual_fmac_f32 v88, v33, v54 :: v_dual_fmac_f32 v29, v31, v48
	v_fma_f32 v31, v50, v46, -v42
	v_fma_f32 v42, v50, v48, -v44
	v_mul_f32_e32 v44, v32, v57
	v_mul_f32_e32 v47, v50, v49
	v_dual_mul_f32 v50, v53, v57 :: v_dual_fmac_f32 v43, v51, v46
	v_mul_f32_e32 v46, v53, v55
	v_mul_f32_e32 v49, v33, v55
	v_fma_f32 v30, v30, v48, -v87
	v_fmac_f32_e32 v44, v33, v56
	v_dual_fmac_f32 v47, v51, v48 :: v_dual_mul_f32 v48, v52, v55
	v_mul_f32_e32 v33, v52, v57
	v_fma_f32 v46, v52, v54, -v46
	v_fma_f32 v50, v52, v56, -v50
	v_mul_f32_e32 v52, v34, v61
	v_fma_f32 v49, v32, v54, -v49
	v_fma_f32 v32, v32, v56, -v90
	v_dual_mul_f32 v51, v35, v59 :: v_dual_fmac_f32 v48, v53, v54
	v_mul_f32_e32 v54, v70, v59
	v_dual_mul_f32 v55, v34, v59 :: v_dual_fmac_f32 v52, v35, v60
	v_fmac_f32_e32 v33, v53, v56
	v_mul_f32_e32 v53, v71, v59
	v_mul_f32_e32 v56, v71, v61
	;; [unrolled: 1-line block ×3, first 2 shown]
	v_fmac_f32_e32 v54, v71, v58
	v_fmac_f32_e32 v55, v35, v58
	v_fma_f32 v35, v70, v58, -v53
	v_fma_f32 v53, v70, v60, -v56
	v_mul_f32_e32 v56, v36, v65
	v_mul_f32_e32 v59, v70, v61
	v_fma_f32 v51, v34, v58, -v51
	v_mul_f32_e32 v58, v72, v63
	v_mul_f32_e32 v87, v36, v63
	;; [unrolled: 1-line block ×4, first 2 shown]
	v_fma_f32 v34, v34, v60, -v57
	v_mul_f32_e32 v57, v73, v63
	v_fmac_f32_e32 v56, v37, v64
	v_dual_fmac_f32 v59, v71, v60 :: v_dual_mul_f32 v60, v73, v65
	v_mul_f32_e32 v63, v39, v67
	v_mul_f32_e32 v70, v39, v69
	v_fmac_f32_e32 v58, v73, v62
	v_fmac_f32_e32 v87, v37, v62
	v_mul_f32_e32 v37, v72, v65
	v_fma_f32 v61, v36, v62, -v61
	v_fma_f32 v36, v36, v64, -v90
	v_mul_f32_e32 v65, v38, v67
	v_fma_f32 v57, v72, v62, -v57
	v_fma_f32 v60, v72, v64, -v60
	v_dual_fmac_f32 v37, v73, v64 :: v_dual_mul_f32 v62, v38, v69
	v_mul_f32_e32 v64, v75, v67
	v_fma_f32 v63, v38, v66, -v63
	v_fma_f32 v38, v38, v68, -v70
	v_mul_f32_e32 v70, v76, v79
	v_mul_f32_e32 v67, v74, v67
	v_dual_add_f32 v10, v10, v19 :: v_dual_add_f32 v15, v15, v82
	s_delay_alu instid0(VALU_DEP_3) | instskip(NEXT) | instid1(VALU_DEP_2)
	v_dual_mul_f32 v71, v75, v69 :: v_dual_fmac_f32 v70, v77, v78
	v_dual_fmac_f32 v67, v75, v66 :: v_dual_add_f32 v10, v10, v27
	v_dual_mul_f32 v69, v74, v69 :: v_dual_add_f32 v8, v8, v18
	v_dual_fmac_f32 v65, v39, v66 :: v_dual_add_f32 v12, v12, v85
	v_fmac_f32_e32 v62, v39, v68
	v_fma_f32 v39, v74, v66, -v64
	v_mul_f32_e32 v66, v40, v81
	v_dual_add_f32 v1, v1, v21 :: v_dual_add_f32 v10, v10, v43
	v_mul_f32_e32 v73, v40, v79
	v_mul_f32_e32 v72, v41, v79
	v_mul_f32_e32 v90, v41, v81
	v_fma_f32 v64, v74, v68, -v71
	v_add_f32_e32 v10, v10, v48
	v_dual_fmac_f32 v69, v75, v68 :: v_dual_add_f32 v16, v16, v89
	v_dual_mul_f32 v71, v77, v81 :: v_dual_add_f32 v12, v12, v20
	v_dual_fmac_f32 v73, v41, v78 :: v_dual_add_f32 v8, v8, v28
	v_dual_fmac_f32 v66, v41, v80 :: v_dual_mul_f32 v41, v76, v81
	v_add_f32_e32 v10, v10, v54
	s_delay_alu instid0(VALU_DEP_4) | instskip(NEXT) | instid1(VALU_DEP_4)
	v_dual_add_f32 v13, v13, v22 :: v_dual_add_f32 v12, v12, v29
	v_dual_add_f32 v9, v9, v23 :: v_dual_add_f32 v8, v8, v42
	s_delay_alu instid0(VALU_DEP_4) | instskip(SKIP_1) | instid1(VALU_DEP_3)
	v_dual_fmac_f32 v41, v77, v80 :: v_dual_add_f32 v16, v16, v86
	v_add_f32_e32 v15, v15, v84
	v_add_f32_e32 v9, v9, v26
	v_dual_add_f32 v1, v1, v25 :: v_dual_add_f32 v12, v12, v44
	s_delay_alu instid0(VALU_DEP_4) | instskip(SKIP_1) | instid1(VALU_DEP_3)
	v_add_f32_e32 v16, v16, v88
	v_dual_add_f32 v13, v13, v24 :: v_dual_add_f32 v8, v8, v50
	v_dual_add_f32 v15, v15, v45 :: v_dual_add_f32 v12, v12, v52
	v_add_f32_e32 v9, v9, v31
	v_dual_add_f32 v1, v1, v47 :: v_dual_add_f32 v10, v10, v58
	s_delay_alu instid0(VALU_DEP_4) | instskip(SKIP_2) | instid1(VALU_DEP_3)
	v_dual_add_f32 v16, v16, v55 :: v_dual_add_f32 v13, v13, v30
	v_add_f32_e32 v8, v8, v53
	v_dual_add_f32 v15, v15, v49 :: v_dual_add_f32 v12, v12, v56
	v_dual_add_f32 v16, v16, v87 :: v_dual_add_f32 v13, v13, v32
	s_delay_alu instid0(VALU_DEP_3) | instskip(NEXT) | instid1(VALU_DEP_3)
	v_dual_add_f32 v9, v9, v46 :: v_dual_add_f32 v8, v8, v60
	v_dual_add_f32 v1, v1, v33 :: v_dual_add_f32 v12, v12, v62
	s_delay_alu instid0(VALU_DEP_3) | instskip(NEXT) | instid1(VALU_DEP_3)
	v_dual_add_f32 v15, v15, v51 :: v_dual_add_f32 v16, v16, v65
	v_dual_add_f32 v8, v8, v64 :: v_dual_add_f32 v13, v13, v34
	v_add_f32_e32 v10, v10, v67
	s_delay_alu instid0(VALU_DEP_3)
	v_dual_add_f32 v9, v9, v35 :: v_dual_add_f32 v16, v16, v73
	v_dual_add_f32 v1, v1, v59 :: v_dual_add_f32 v12, v12, v66
	v_mul_f32_e32 v68, v77, v79
	v_fma_f32 v71, v76, v80, -v71
	v_dual_add_f32 v15, v15, v61 :: v_dual_add_f32 v10, v10, v70
	v_add_f32_e32 v13, v13, v36
	s_delay_alu instid0(VALU_DEP_3)
	v_dual_add_f32 v9, v9, v57 :: v_dual_add_f32 v8, v8, v71
	v_add_f32_e32 v1, v1, v37
	v_fma_f32 v72, v40, v78, -v72
	v_fma_f32 v40, v40, v80, -v90
	;; [unrolled: 1-line block ×3, first 2 shown]
	v_add_f32_e32 v15, v15, v63
	v_add_f32_e32 v13, v13, v38
	;; [unrolled: 1-line block ×4, first 2 shown]
	s_delay_alu instid0(VALU_DEP_4) | instskip(NEXT) | instid1(VALU_DEP_4)
	v_add_f32_e32 v15, v15, v72
	v_add_f32_e32 v13, v13, v40
	s_delay_alu instid0(VALU_DEP_4) | instskip(NEXT) | instid1(VALU_DEP_4)
	v_add_f32_e32 v9, v9, v68
	v_add_f32_e32 v1, v1, v41
	s_cbranch_vccz .LBB1089_2
.LBB1089_3:
	s_clause 0x1
	s_load_b128 s[4:7], s[0:1], 0x48
	s_load_b32 s2, s[0:1], 0x0
	v_add_nc_u32_e32 v0, s9, v7
	s_delay_alu instid0(VALU_DEP_1) | instskip(SKIP_1) | instid1(VALU_DEP_1)
	v_ashrrev_i32_e32 v2, 31, v0
	s_waitcnt lgkmcnt(0)
	v_mul_lo_u32 v5, v2, s4
	v_mul_lo_u32 v7, v0, s5
	v_mad_u64_u32 v[3:4], null, v0, s4, 0
	s_mul_i32 s1, s15, s7
	s_mul_hi_u32 s3, s15, s6
	s_mul_i32 s6, s15, s6
	s_add_i32 s7, s3, s1
	v_add_nc_u32_e32 v2, s8, v6
	s_lshl_b64 s[6:7], s[6:7], 3
	s_delay_alu instid0(VALU_DEP_2)
	v_add3_u32 v4, v4, v7, v5
	s_add_u32 s3, s30, s6
	v_cmp_gt_i32_e32 vcc_lo, s2, v0
	v_cmp_le_i32_e64 s0, v2, v0
	s_addc_u32 s6, s31, s7
	v_lshlrev_b64 v[3:4], 3, v[3:4]
	s_delay_alu instid0(VALU_DEP_2) | instskip(NEXT) | instid1(VALU_DEP_1)
	s_and_b32 s0, vcc_lo, s0
	v_add_co_u32 v6, s1, s3, v3
	s_delay_alu instid0(VALU_DEP_1)
	v_add_co_ci_u32_e64 v7, s1, s6, v4, s1
	s_and_saveexec_b32 s1, s0
	s_cbranch_execz .LBB1089_5
; %bb.4:
	v_ashrrev_i32_e32 v3, 31, v2
	s_delay_alu instid0(VALU_DEP_1) | instskip(NEXT) | instid1(VALU_DEP_1)
	v_lshlrev_b64 v[3:4], 3, v[2:3]
	v_add_co_u32 v3, s0, v6, v3
	s_delay_alu instid0(VALU_DEP_1)
	v_add_co_ci_u32_e64 v4, s0, v7, v4, s0
	global_load_b64 v[17:18], v[3:4], off
	s_waitcnt vmcnt(0)
	v_dual_sub_f32 v14, v15, v17 :: v_dual_sub_f32 v15, v16, v18
	global_store_b64 v[3:4], v[14:15], off
.LBB1089_5:
	s_or_b32 exec_lo, exec_lo, s1
	v_add_nc_u32_e32 v4, 16, v2
	s_delay_alu instid0(VALU_DEP_1) | instskip(NEXT) | instid1(VALU_DEP_1)
	v_cmp_le_i32_e64 s0, v4, v0
	s_and_b32 s1, vcc_lo, s0
	s_delay_alu instid0(SALU_CYCLE_1)
	s_and_saveexec_b32 s0, s1
	s_cbranch_execz .LBB1089_7
; %bb.6:
	v_ashrrev_i32_e32 v5, 31, v4
	s_delay_alu instid0(VALU_DEP_1) | instskip(NEXT) | instid1(VALU_DEP_1)
	v_lshlrev_b64 v[14:15], 3, v[4:5]
	v_add_co_u32 v5, vcc_lo, v6, v14
	s_delay_alu instid0(VALU_DEP_2)
	v_add_co_ci_u32_e32 v6, vcc_lo, v7, v15, vcc_lo
	global_load_b64 v[14:15], v[5:6], off
	s_waitcnt vmcnt(0)
	v_dual_sub_f32 v11, v13, v14 :: v_dual_sub_f32 v12, v12, v15
	global_store_b64 v[5:6], v[11:12], off
.LBB1089_7:
	s_or_b32 exec_lo, exec_lo, s0
	v_add_nc_u32_e32 v0, 16, v0
	s_delay_alu instid0(VALU_DEP_1) | instskip(SKIP_3) | instid1(VALU_DEP_4)
	v_ashrrev_i32_e32 v3, 31, v0
	v_mul_lo_u32 v7, v0, s5
	v_mad_u64_u32 v[5:6], null, v0, s4, 0
	v_cmp_gt_i32_e32 vcc_lo, s2, v0
	v_mul_lo_u32 v3, v3, s4
	v_cmp_le_i32_e64 s0, v2, v0
	s_delay_alu instid0(VALU_DEP_1) | instskip(NEXT) | instid1(VALU_DEP_2)
	s_and_b32 s0, vcc_lo, s0
	v_add3_u32 v6, v6, v7, v3
	s_delay_alu instid0(VALU_DEP_1) | instskip(NEXT) | instid1(VALU_DEP_1)
	v_lshlrev_b64 v[6:7], 3, v[5:6]
	v_add_co_u32 v6, s1, s3, v6
	s_delay_alu instid0(VALU_DEP_1)
	v_add_co_ci_u32_e64 v7, s1, s6, v7, s1
	s_and_saveexec_b32 s1, s0
	s_cbranch_execz .LBB1089_9
; %bb.8:
	v_ashrrev_i32_e32 v3, 31, v2
	s_delay_alu instid0(VALU_DEP_1) | instskip(NEXT) | instid1(VALU_DEP_1)
	v_lshlrev_b64 v[2:3], 3, v[2:3]
	v_add_co_u32 v2, s0, v6, v2
	s_delay_alu instid0(VALU_DEP_1)
	v_add_co_ci_u32_e64 v3, s0, v7, v3, s0
	global_load_b64 v[11:12], v[2:3], off
	s_waitcnt vmcnt(0)
	v_dual_sub_f32 v9, v9, v11 :: v_dual_sub_f32 v10, v10, v12
	global_store_b64 v[2:3], v[9:10], off
.LBB1089_9:
	s_or_b32 exec_lo, exec_lo, s1
	v_cmp_le_i32_e64 s0, v4, v0
	s_delay_alu instid0(VALU_DEP_1) | instskip(NEXT) | instid1(SALU_CYCLE_1)
	s_and_b32 s0, vcc_lo, s0
	s_and_saveexec_b32 s1, s0
	s_cbranch_execz .LBB1089_11
; %bb.10:
	v_ashrrev_i32_e32 v5, 31, v4
	s_delay_alu instid0(VALU_DEP_1) | instskip(NEXT) | instid1(VALU_DEP_1)
	v_lshlrev_b64 v[2:3], 3, v[4:5]
	v_add_co_u32 v2, vcc_lo, v6, v2
	s_delay_alu instid0(VALU_DEP_2)
	v_add_co_ci_u32_e32 v3, vcc_lo, v7, v3, vcc_lo
	global_load_b64 v[4:5], v[2:3], off
	s_waitcnt vmcnt(0)
	v_dual_sub_f32 v0, v8, v4 :: v_dual_sub_f32 v1, v1, v5
	global_store_b64 v[2:3], v[0:1], off
.LBB1089_11:
	s_nop 0
	s_sendmsg sendmsg(MSG_DEALLOC_VGPRS)
	s_endpgm
	.section	.rodata,"a",@progbits
	.p2align	6, 0x0
	.amdhsa_kernel _ZL37rocblas_syrkx_herkx_restricted_kernelIl19rocblas_complex_numIfELi16ELi32ELi8ELi1ELin1ELb0ELc84ELc85EKS1_S1_EviT_PT9_S3_lS5_S3_lPT10_S3_li
		.amdhsa_group_segment_fixed_size 4096
		.amdhsa_private_segment_fixed_size 0
		.amdhsa_kernarg_size 92
		.amdhsa_user_sgpr_count 13
		.amdhsa_user_sgpr_dispatch_ptr 0
		.amdhsa_user_sgpr_queue_ptr 0
		.amdhsa_user_sgpr_kernarg_segment_ptr 1
		.amdhsa_user_sgpr_dispatch_id 0
		.amdhsa_user_sgpr_private_segment_size 0
		.amdhsa_wavefront_size32 1
		.amdhsa_uses_dynamic_stack 0
		.amdhsa_enable_private_segment 0
		.amdhsa_system_sgpr_workgroup_id_x 1
		.amdhsa_system_sgpr_workgroup_id_y 1
		.amdhsa_system_sgpr_workgroup_id_z 1
		.amdhsa_system_sgpr_workgroup_info 0
		.amdhsa_system_vgpr_workitem_id 1
		.amdhsa_next_free_vgpr 91
		.amdhsa_next_free_sgpr 32
		.amdhsa_reserve_vcc 1
		.amdhsa_float_round_mode_32 0
		.amdhsa_float_round_mode_16_64 0
		.amdhsa_float_denorm_mode_32 3
		.amdhsa_float_denorm_mode_16_64 3
		.amdhsa_dx10_clamp 1
		.amdhsa_ieee_mode 1
		.amdhsa_fp16_overflow 0
		.amdhsa_workgroup_processor_mode 1
		.amdhsa_memory_ordered 1
		.amdhsa_forward_progress 0
		.amdhsa_shared_vgpr_count 0
		.amdhsa_exception_fp_ieee_invalid_op 0
		.amdhsa_exception_fp_denorm_src 0
		.amdhsa_exception_fp_ieee_div_zero 0
		.amdhsa_exception_fp_ieee_overflow 0
		.amdhsa_exception_fp_ieee_underflow 0
		.amdhsa_exception_fp_ieee_inexact 0
		.amdhsa_exception_int_div_zero 0
	.end_amdhsa_kernel
	.section	.text._ZL37rocblas_syrkx_herkx_restricted_kernelIl19rocblas_complex_numIfELi16ELi32ELi8ELi1ELin1ELb0ELc84ELc85EKS1_S1_EviT_PT9_S3_lS5_S3_lPT10_S3_li,"axG",@progbits,_ZL37rocblas_syrkx_herkx_restricted_kernelIl19rocblas_complex_numIfELi16ELi32ELi8ELi1ELin1ELb0ELc84ELc85EKS1_S1_EviT_PT9_S3_lS5_S3_lPT10_S3_li,comdat
.Lfunc_end1089:
	.size	_ZL37rocblas_syrkx_herkx_restricted_kernelIl19rocblas_complex_numIfELi16ELi32ELi8ELi1ELin1ELb0ELc84ELc85EKS1_S1_EviT_PT9_S3_lS5_S3_lPT10_S3_li, .Lfunc_end1089-_ZL37rocblas_syrkx_herkx_restricted_kernelIl19rocblas_complex_numIfELi16ELi32ELi8ELi1ELin1ELb0ELc84ELc85EKS1_S1_EviT_PT9_S3_lS5_S3_lPT10_S3_li
                                        ; -- End function
	.section	.AMDGPU.csdata,"",@progbits
; Kernel info:
; codeLenInByte = 2204
; NumSgprs: 34
; NumVgprs: 91
; ScratchSize: 0
; MemoryBound: 0
; FloatMode: 240
; IeeeMode: 1
; LDSByteSize: 4096 bytes/workgroup (compile time only)
; SGPRBlocks: 4
; VGPRBlocks: 11
; NumSGPRsForWavesPerEU: 34
; NumVGPRsForWavesPerEU: 91
; Occupancy: 16
; WaveLimiterHint : 1
; COMPUTE_PGM_RSRC2:SCRATCH_EN: 0
; COMPUTE_PGM_RSRC2:USER_SGPR: 13
; COMPUTE_PGM_RSRC2:TRAP_HANDLER: 0
; COMPUTE_PGM_RSRC2:TGID_X_EN: 1
; COMPUTE_PGM_RSRC2:TGID_Y_EN: 1
; COMPUTE_PGM_RSRC2:TGID_Z_EN: 1
; COMPUTE_PGM_RSRC2:TIDIG_COMP_CNT: 1
	.section	.text._ZL37rocblas_syrkx_herkx_restricted_kernelIl19rocblas_complex_numIfELi16ELi32ELi8ELi1ELin1ELb0ELc67ELc85EKS1_S1_EviT_PT9_S3_lS5_S3_lPT10_S3_li,"axG",@progbits,_ZL37rocblas_syrkx_herkx_restricted_kernelIl19rocblas_complex_numIfELi16ELi32ELi8ELi1ELin1ELb0ELc67ELc85EKS1_S1_EviT_PT9_S3_lS5_S3_lPT10_S3_li,comdat
	.globl	_ZL37rocblas_syrkx_herkx_restricted_kernelIl19rocblas_complex_numIfELi16ELi32ELi8ELi1ELin1ELb0ELc67ELc85EKS1_S1_EviT_PT9_S3_lS5_S3_lPT10_S3_li ; -- Begin function _ZL37rocblas_syrkx_herkx_restricted_kernelIl19rocblas_complex_numIfELi16ELi32ELi8ELi1ELin1ELb0ELc67ELc85EKS1_S1_EviT_PT9_S3_lS5_S3_lPT10_S3_li
	.p2align	8
	.type	_ZL37rocblas_syrkx_herkx_restricted_kernelIl19rocblas_complex_numIfELi16ELi32ELi8ELi1ELin1ELb0ELc67ELc85EKS1_S1_EviT_PT9_S3_lS5_S3_lPT10_S3_li,@function
_ZL37rocblas_syrkx_herkx_restricted_kernelIl19rocblas_complex_numIfELi16ELi32ELi8ELi1ELin1ELb0ELc67ELc85EKS1_S1_EviT_PT9_S3_lS5_S3_lPT10_S3_li: ; @_ZL37rocblas_syrkx_herkx_restricted_kernelIl19rocblas_complex_numIfELi16ELi32ELi8ELi1ELin1ELb0ELc67ELc85EKS1_S1_EviT_PT9_S3_lS5_S3_lPT10_S3_li
; %bb.0:
	s_load_b512 s[16:31], s[0:1], 0x8
	v_dual_mov_b32 v15, 0 :: v_dual_mov_b32 v16, 0
	v_dual_mov_b32 v13, 0 :: v_dual_mov_b32 v12, 0
	v_dual_mov_b32 v9, 0 :: v_dual_mov_b32 v10, 0
	v_dual_mov_b32 v8, 0 :: v_dual_mov_b32 v1, 0
	v_and_b32_e32 v6, 0x3ff, v0
	v_bfe_u32 v7, v0, 10, 10
	s_lshl_b32 s8, s13, 5
	s_lshl_b32 s9, s14, 5
	s_waitcnt lgkmcnt(0)
	v_cmp_lt_i64_e64 s2, s[16:17], 1
	s_delay_alu instid0(VALU_DEP_1)
	s_and_b32 vcc_lo, exec_lo, s2
	s_cbranch_vccnz .LBB1090_3
; %bb.1:
	v_lshl_add_u32 v2, v7, 4, v6
	v_dual_mov_b32 v1, 0 :: v_dual_and_b32 v0, 7, v6
	s_mul_i32 s3, s23, s15
	s_mul_hi_u32 s4, s22, s15
	s_delay_alu instid0(VALU_DEP_2)
	v_and_b32_e32 v10, 31, v2
	v_lshrrev_b32_e32 v12, 3, v2
	v_mov_b32_e32 v3, v1
	v_lshrrev_b32_e32 v2, 5, v2
	v_lshlrev_b32_e32 v14, 3, v0
	v_add_nc_u32_e32 v8, s8, v10
	v_add_nc_u32_e32 v13, s9, v12
	s_mul_i32 s2, s22, s15
	s_add_i32 s3, s4, s3
	s_mul_hi_u32 s5, s28, s15
	v_ashrrev_i32_e32 v9, 31, v8
	v_mad_u64_u32 v[4:5], null, s20, v8, v[2:3]
	v_mul_lo_u32 v3, s21, v8
	s_lshl_b64 s[2:3], s[2:3], 3
	s_delay_alu instid0(VALU_DEP_3)
	v_mul_lo_u32 v16, s20, v9
	v_mad_u64_u32 v[8:9], null, v13, s26, v[0:1]
	v_lshlrev_b32_e32 v0, 3, v10
	v_lshl_or_b32 v10, v12, 6, v14
	s_add_u32 s4, s18, s2
	s_mul_i32 s2, s29, s15
	s_addc_u32 s6, s19, s3
	s_delay_alu instid0(VALU_DEP_4)
	v_add3_u32 v5, v3, v5, v16
	v_add_nc_u32_e32 v14, 0x800, v10
	v_mov_b32_e32 v10, v1
	v_ashrrev_i32_e32 v15, 31, v13
	v_mul_lo_u32 v17, v13, s27
	s_add_i32 s3, s5, s2
	s_mul_i32 s2, s28, s15
	v_lshlrev_b32_e32 v11, 3, v6
	v_mul_lo_u32 v13, v15, s26
	v_mov_b32_e32 v15, v1
	v_lshl_or_b32 v0, v2, 8, v0
	v_lshlrev_b64 v[2:3], 3, v[4:5]
	s_lshl_b64 s[2:3], s[2:3], 3
	v_mov_b32_e32 v12, v1
	s_add_u32 s2, s24, s2
	s_addc_u32 s3, s25, s3
	v_add3_u32 v9, v13, v9, v17
	v_add_co_u32 v2, vcc_lo, s4, v2
	v_add_co_ci_u32_e32 v3, vcc_lo, s6, v3, vcc_lo
	s_delay_alu instid0(VALU_DEP_3)
	v_lshlrev_b64 v[4:5], 3, v[8:9]
	v_mov_b32_e32 v8, v1
	v_lshl_add_u32 v17, v7, 6, 0x800
	v_mov_b32_e32 v9, v1
	v_mov_b32_e32 v13, v1
	;; [unrolled: 1-line block ×3, first 2 shown]
	v_add_co_u32 v4, vcc_lo, s2, v4
	v_add_co_ci_u32_e32 v5, vcc_lo, s3, v5, vcc_lo
	v_add_co_u32 v2, vcc_lo, v2, 4
	v_add_co_ci_u32_e32 v3, vcc_lo, 0, v3, vcc_lo
	s_delay_alu instid0(VALU_DEP_4) | instskip(NEXT) | instid1(VALU_DEP_4)
	v_add_co_u32 v4, vcc_lo, v4, 4
	v_add_co_ci_u32_e32 v5, vcc_lo, 0, v5, vcc_lo
	s_mov_b64 s[2:3], 0
.LBB1090_2:                             ; =>This Inner Loop Header: Depth=1
	global_load_b64 v[18:19], v[2:3], off offset:-4
	global_load_b64 v[20:21], v[4:5], off offset:-4
	s_add_u32 s2, s2, 8
	v_add_co_u32 v2, vcc_lo, v2, 64
	s_addc_u32 s3, s3, 0
	v_add_co_ci_u32_e32 v3, vcc_lo, 0, v3, vcc_lo
	v_cmp_ge_u64_e64 s4, s[2:3], s[16:17]
	v_add_co_u32 v4, vcc_lo, v4, 64
	v_add_co_ci_u32_e32 v5, vcc_lo, 0, v5, vcc_lo
	s_waitcnt vmcnt(1)
	ds_store_b64 v0, v[18:19]
	s_waitcnt vmcnt(0)
	ds_store_b64 v14, v[20:21]
	s_waitcnt lgkmcnt(0)
	s_barrier
	buffer_gl0_inv
	ds_load_2addr_b64 v[18:21], v11 offset1:16
	ds_load_b128 v[22:25], v17
	ds_load_b128 v[26:29], v17 offset:1024
	ds_load_b128 v[30:33], v17 offset:16
	;; [unrolled: 1-line block ×4, first 2 shown]
	ds_load_2addr_b64 v[42:45], v11 offset0:32 offset1:48
	ds_load_2addr_b64 v[46:49], v11 offset0:64 offset1:80
	ds_load_b128 v[50:53], v17 offset:1040
	ds_load_2addr_b64 v[54:57], v11 offset0:96 offset1:112
	ds_load_2addr_b64 v[58:61], v11 offset0:128 offset1:144
	;; [unrolled: 1-line block ×4, first 2 shown]
	ds_load_b128 v[70:73], v17 offset:1056
	ds_load_b128 v[74:77], v17 offset:1072
	ds_load_2addr_b64 v[78:81], v11 offset0:224 offset1:240
	s_and_b32 vcc_lo, exec_lo, s4
	s_waitcnt lgkmcnt(0)
	s_barrier
	buffer_gl0_inv
	v_dual_mul_f32 v82, v23, v19 :: v_dual_mul_f32 v85, v22, v21
	v_dual_mul_f32 v83, v22, v19 :: v_dual_mul_f32 v84, v23, v21
	v_mul_f32_e32 v86, v27, v19
	v_dual_mul_f32 v19, v26, v19 :: v_dual_mul_f32 v90, v25, v45
	v_dual_mul_f32 v87, v27, v21 :: v_dual_mul_f32 v88, v25, v43
	v_mul_f32_e32 v21, v26, v21
	v_fma_f32 v82, v22, v18, -v82
	v_fmac_f32_e32 v83, v23, v18
	v_fma_f32 v22, v22, v20, -v84
	v_fmac_f32_e32 v85, v23, v20
	v_fma_f32 v23, v26, v18, -v86
	v_dual_fmac_f32 v19, v27, v18 :: v_dual_mul_f32 v86, v30, v47
	v_fma_f32 v18, v26, v20, -v87
	v_dual_fmac_f32 v21, v27, v20 :: v_dual_mul_f32 v20, v24, v45
	v_mul_f32_e32 v89, v24, v43
	v_mul_f32_e32 v26, v29, v43
	;; [unrolled: 1-line block ×4, first 2 shown]
	v_fmac_f32_e32 v20, v25, v44
	v_fmac_f32_e32 v89, v25, v42
	v_dual_mul_f32 v25, v28, v45 :: v_dual_fmac_f32 v86, v31, v46
	v_fma_f32 v84, v24, v42, -v88
	v_fma_f32 v24, v24, v44, -v90
	v_dual_mul_f32 v45, v31, v47 :: v_dual_mul_f32 v90, v33, v57
	v_fma_f32 v26, v28, v42, -v26
	v_fma_f32 v28, v28, v44, -v43
	v_fmac_f32_e32 v25, v29, v44
	v_dual_mul_f32 v43, v50, v47 :: v_dual_mul_f32 v44, v51, v49
	v_dual_fmac_f32 v27, v29, v42 :: v_dual_mul_f32 v42, v51, v47
	v_dual_mul_f32 v88, v32, v55 :: v_dual_mul_f32 v29, v30, v49
	v_mul_f32_e32 v87, v31, v49
	v_fma_f32 v45, v30, v46, -v45
	v_add_f32_e32 v16, v16, v83
	s_delay_alu instid0(VALU_DEP_4)
	v_dual_fmac_f32 v88, v33, v54 :: v_dual_fmac_f32 v29, v31, v48
	v_fma_f32 v31, v50, v46, -v42
	v_fma_f32 v42, v50, v48, -v44
	v_mul_f32_e32 v44, v32, v57
	v_mul_f32_e32 v47, v50, v49
	v_dual_mul_f32 v50, v53, v57 :: v_dual_fmac_f32 v43, v51, v46
	v_mul_f32_e32 v46, v53, v55
	v_mul_f32_e32 v49, v33, v55
	v_fma_f32 v30, v30, v48, -v87
	v_fmac_f32_e32 v44, v33, v56
	v_dual_fmac_f32 v47, v51, v48 :: v_dual_mul_f32 v48, v52, v55
	v_mul_f32_e32 v33, v52, v57
	v_fma_f32 v46, v52, v54, -v46
	v_fma_f32 v50, v52, v56, -v50
	v_mul_f32_e32 v52, v34, v61
	v_fma_f32 v49, v32, v54, -v49
	v_fma_f32 v32, v32, v56, -v90
	v_dual_mul_f32 v51, v35, v59 :: v_dual_fmac_f32 v48, v53, v54
	v_mul_f32_e32 v54, v70, v59
	v_dual_mul_f32 v55, v34, v59 :: v_dual_fmac_f32 v52, v35, v60
	v_fmac_f32_e32 v33, v53, v56
	v_mul_f32_e32 v53, v71, v59
	v_mul_f32_e32 v56, v71, v61
	;; [unrolled: 1-line block ×3, first 2 shown]
	v_fmac_f32_e32 v54, v71, v58
	v_fmac_f32_e32 v55, v35, v58
	v_fma_f32 v35, v70, v58, -v53
	v_fma_f32 v53, v70, v60, -v56
	v_mul_f32_e32 v56, v36, v65
	v_mul_f32_e32 v59, v70, v61
	v_fma_f32 v51, v34, v58, -v51
	v_mul_f32_e32 v58, v72, v63
	v_mul_f32_e32 v87, v36, v63
	;; [unrolled: 1-line block ×4, first 2 shown]
	v_fma_f32 v34, v34, v60, -v57
	v_mul_f32_e32 v57, v73, v63
	v_fmac_f32_e32 v56, v37, v64
	v_dual_fmac_f32 v59, v71, v60 :: v_dual_mul_f32 v60, v73, v65
	v_mul_f32_e32 v63, v39, v67
	v_mul_f32_e32 v70, v39, v69
	v_fmac_f32_e32 v58, v73, v62
	v_fmac_f32_e32 v87, v37, v62
	v_mul_f32_e32 v37, v72, v65
	v_fma_f32 v61, v36, v62, -v61
	v_fma_f32 v36, v36, v64, -v90
	v_mul_f32_e32 v65, v38, v67
	v_fma_f32 v57, v72, v62, -v57
	v_fma_f32 v60, v72, v64, -v60
	v_dual_fmac_f32 v37, v73, v64 :: v_dual_mul_f32 v62, v38, v69
	v_mul_f32_e32 v64, v75, v67
	v_fma_f32 v63, v38, v66, -v63
	v_fma_f32 v38, v38, v68, -v70
	v_mul_f32_e32 v70, v76, v79
	v_mul_f32_e32 v67, v74, v67
	v_dual_add_f32 v10, v10, v19 :: v_dual_add_f32 v15, v15, v82
	s_delay_alu instid0(VALU_DEP_3) | instskip(NEXT) | instid1(VALU_DEP_2)
	v_dual_mul_f32 v71, v75, v69 :: v_dual_fmac_f32 v70, v77, v78
	v_dual_fmac_f32 v67, v75, v66 :: v_dual_add_f32 v10, v10, v27
	v_dual_mul_f32 v69, v74, v69 :: v_dual_add_f32 v8, v8, v18
	v_dual_fmac_f32 v65, v39, v66 :: v_dual_add_f32 v12, v12, v85
	v_fmac_f32_e32 v62, v39, v68
	v_fma_f32 v39, v74, v66, -v64
	v_mul_f32_e32 v66, v40, v81
	v_dual_add_f32 v1, v1, v21 :: v_dual_add_f32 v10, v10, v43
	v_mul_f32_e32 v73, v40, v79
	v_mul_f32_e32 v72, v41, v79
	;; [unrolled: 1-line block ×3, first 2 shown]
	v_fma_f32 v64, v74, v68, -v71
	v_add_f32_e32 v10, v10, v48
	v_dual_fmac_f32 v69, v75, v68 :: v_dual_add_f32 v16, v16, v89
	v_dual_mul_f32 v71, v77, v81 :: v_dual_add_f32 v12, v12, v20
	v_dual_fmac_f32 v73, v41, v78 :: v_dual_add_f32 v8, v8, v28
	v_dual_fmac_f32 v66, v41, v80 :: v_dual_mul_f32 v41, v76, v81
	v_add_f32_e32 v10, v10, v54
	s_delay_alu instid0(VALU_DEP_4) | instskip(NEXT) | instid1(VALU_DEP_4)
	v_dual_add_f32 v13, v13, v22 :: v_dual_add_f32 v12, v12, v29
	v_dual_add_f32 v9, v9, v23 :: v_dual_add_f32 v8, v8, v42
	s_delay_alu instid0(VALU_DEP_4) | instskip(SKIP_1) | instid1(VALU_DEP_3)
	v_dual_fmac_f32 v41, v77, v80 :: v_dual_add_f32 v16, v16, v86
	v_add_f32_e32 v15, v15, v84
	v_add_f32_e32 v9, v9, v26
	v_dual_add_f32 v1, v1, v25 :: v_dual_add_f32 v12, v12, v44
	s_delay_alu instid0(VALU_DEP_4) | instskip(SKIP_1) | instid1(VALU_DEP_3)
	v_add_f32_e32 v16, v16, v88
	v_dual_add_f32 v13, v13, v24 :: v_dual_add_f32 v8, v8, v50
	v_dual_add_f32 v15, v15, v45 :: v_dual_add_f32 v12, v12, v52
	v_add_f32_e32 v9, v9, v31
	v_dual_add_f32 v1, v1, v47 :: v_dual_add_f32 v10, v10, v58
	s_delay_alu instid0(VALU_DEP_4) | instskip(SKIP_2) | instid1(VALU_DEP_3)
	v_dual_add_f32 v16, v16, v55 :: v_dual_add_f32 v13, v13, v30
	v_add_f32_e32 v8, v8, v53
	v_dual_add_f32 v15, v15, v49 :: v_dual_add_f32 v12, v12, v56
	v_dual_add_f32 v16, v16, v87 :: v_dual_add_f32 v13, v13, v32
	s_delay_alu instid0(VALU_DEP_3) | instskip(NEXT) | instid1(VALU_DEP_3)
	v_dual_add_f32 v9, v9, v46 :: v_dual_add_f32 v8, v8, v60
	v_dual_add_f32 v1, v1, v33 :: v_dual_add_f32 v12, v12, v62
	s_delay_alu instid0(VALU_DEP_3) | instskip(NEXT) | instid1(VALU_DEP_3)
	v_dual_add_f32 v15, v15, v51 :: v_dual_add_f32 v16, v16, v65
	v_dual_add_f32 v8, v8, v64 :: v_dual_add_f32 v13, v13, v34
	v_add_f32_e32 v10, v10, v67
	s_delay_alu instid0(VALU_DEP_3)
	v_dual_add_f32 v9, v9, v35 :: v_dual_add_f32 v16, v16, v73
	v_dual_add_f32 v1, v1, v59 :: v_dual_add_f32 v12, v12, v66
	v_mul_f32_e32 v68, v77, v79
	v_fma_f32 v71, v76, v80, -v71
	v_dual_add_f32 v15, v15, v61 :: v_dual_add_f32 v10, v10, v70
	v_add_f32_e32 v13, v13, v36
	s_delay_alu instid0(VALU_DEP_3)
	v_dual_add_f32 v9, v9, v57 :: v_dual_add_f32 v8, v8, v71
	v_add_f32_e32 v1, v1, v37
	v_fma_f32 v72, v40, v78, -v72
	v_fma_f32 v40, v40, v80, -v90
	;; [unrolled: 1-line block ×3, first 2 shown]
	v_add_f32_e32 v15, v15, v63
	v_add_f32_e32 v13, v13, v38
	;; [unrolled: 1-line block ×4, first 2 shown]
	s_delay_alu instid0(VALU_DEP_4) | instskip(NEXT) | instid1(VALU_DEP_4)
	v_add_f32_e32 v15, v15, v72
	v_add_f32_e32 v13, v13, v40
	s_delay_alu instid0(VALU_DEP_4) | instskip(NEXT) | instid1(VALU_DEP_4)
	v_add_f32_e32 v9, v9, v68
	v_add_f32_e32 v1, v1, v41
	s_cbranch_vccz .LBB1090_2
.LBB1090_3:
	s_clause 0x1
	s_load_b128 s[4:7], s[0:1], 0x48
	s_load_b32 s2, s[0:1], 0x0
	v_add_nc_u32_e32 v0, s9, v7
	s_delay_alu instid0(VALU_DEP_1) | instskip(SKIP_1) | instid1(VALU_DEP_1)
	v_ashrrev_i32_e32 v2, 31, v0
	s_waitcnt lgkmcnt(0)
	v_mul_lo_u32 v5, v2, s4
	v_mul_lo_u32 v7, v0, s5
	v_mad_u64_u32 v[3:4], null, v0, s4, 0
	s_mul_i32 s1, s15, s7
	s_mul_hi_u32 s3, s15, s6
	s_mul_i32 s6, s15, s6
	s_add_i32 s7, s3, s1
	v_add_nc_u32_e32 v2, s8, v6
	s_lshl_b64 s[6:7], s[6:7], 3
	s_delay_alu instid0(VALU_DEP_2)
	v_add3_u32 v4, v4, v7, v5
	s_add_u32 s3, s30, s6
	v_cmp_gt_i32_e32 vcc_lo, s2, v0
	v_cmp_le_i32_e64 s0, v2, v0
	s_addc_u32 s6, s31, s7
	v_lshlrev_b64 v[3:4], 3, v[3:4]
	s_delay_alu instid0(VALU_DEP_2) | instskip(NEXT) | instid1(VALU_DEP_1)
	s_and_b32 s0, vcc_lo, s0
	v_add_co_u32 v6, s1, s3, v3
	s_delay_alu instid0(VALU_DEP_1)
	v_add_co_ci_u32_e64 v7, s1, s6, v4, s1
	s_and_saveexec_b32 s1, s0
	s_cbranch_execz .LBB1090_5
; %bb.4:
	v_ashrrev_i32_e32 v3, 31, v2
	s_delay_alu instid0(VALU_DEP_1) | instskip(NEXT) | instid1(VALU_DEP_1)
	v_lshlrev_b64 v[3:4], 3, v[2:3]
	v_add_co_u32 v3, s0, v6, v3
	s_delay_alu instid0(VALU_DEP_1)
	v_add_co_ci_u32_e64 v4, s0, v7, v4, s0
	global_load_b64 v[17:18], v[3:4], off
	s_waitcnt vmcnt(0)
	v_dual_sub_f32 v14, v15, v17 :: v_dual_sub_f32 v15, v16, v18
	global_store_b64 v[3:4], v[14:15], off
.LBB1090_5:
	s_or_b32 exec_lo, exec_lo, s1
	v_add_nc_u32_e32 v4, 16, v2
	s_delay_alu instid0(VALU_DEP_1) | instskip(NEXT) | instid1(VALU_DEP_1)
	v_cmp_le_i32_e64 s0, v4, v0
	s_and_b32 s1, vcc_lo, s0
	s_delay_alu instid0(SALU_CYCLE_1)
	s_and_saveexec_b32 s0, s1
	s_cbranch_execz .LBB1090_7
; %bb.6:
	v_ashrrev_i32_e32 v5, 31, v4
	s_delay_alu instid0(VALU_DEP_1) | instskip(NEXT) | instid1(VALU_DEP_1)
	v_lshlrev_b64 v[14:15], 3, v[4:5]
	v_add_co_u32 v5, vcc_lo, v6, v14
	s_delay_alu instid0(VALU_DEP_2)
	v_add_co_ci_u32_e32 v6, vcc_lo, v7, v15, vcc_lo
	global_load_b64 v[14:15], v[5:6], off
	s_waitcnt vmcnt(0)
	v_dual_sub_f32 v11, v13, v14 :: v_dual_sub_f32 v12, v12, v15
	global_store_b64 v[5:6], v[11:12], off
.LBB1090_7:
	s_or_b32 exec_lo, exec_lo, s0
	v_add_nc_u32_e32 v0, 16, v0
	s_delay_alu instid0(VALU_DEP_1) | instskip(SKIP_3) | instid1(VALU_DEP_4)
	v_ashrrev_i32_e32 v3, 31, v0
	v_mul_lo_u32 v7, v0, s5
	v_mad_u64_u32 v[5:6], null, v0, s4, 0
	v_cmp_gt_i32_e32 vcc_lo, s2, v0
	v_mul_lo_u32 v3, v3, s4
	v_cmp_le_i32_e64 s0, v2, v0
	s_delay_alu instid0(VALU_DEP_1) | instskip(NEXT) | instid1(VALU_DEP_2)
	s_and_b32 s0, vcc_lo, s0
	v_add3_u32 v6, v6, v7, v3
	s_delay_alu instid0(VALU_DEP_1) | instskip(NEXT) | instid1(VALU_DEP_1)
	v_lshlrev_b64 v[6:7], 3, v[5:6]
	v_add_co_u32 v6, s1, s3, v6
	s_delay_alu instid0(VALU_DEP_1)
	v_add_co_ci_u32_e64 v7, s1, s6, v7, s1
	s_and_saveexec_b32 s1, s0
	s_cbranch_execz .LBB1090_9
; %bb.8:
	v_ashrrev_i32_e32 v3, 31, v2
	s_delay_alu instid0(VALU_DEP_1) | instskip(NEXT) | instid1(VALU_DEP_1)
	v_lshlrev_b64 v[2:3], 3, v[2:3]
	v_add_co_u32 v2, s0, v6, v2
	s_delay_alu instid0(VALU_DEP_1)
	v_add_co_ci_u32_e64 v3, s0, v7, v3, s0
	global_load_b64 v[11:12], v[2:3], off
	s_waitcnt vmcnt(0)
	v_dual_sub_f32 v9, v9, v11 :: v_dual_sub_f32 v10, v10, v12
	global_store_b64 v[2:3], v[9:10], off
.LBB1090_9:
	s_or_b32 exec_lo, exec_lo, s1
	v_cmp_le_i32_e64 s0, v4, v0
	s_delay_alu instid0(VALU_DEP_1) | instskip(NEXT) | instid1(SALU_CYCLE_1)
	s_and_b32 s0, vcc_lo, s0
	s_and_saveexec_b32 s1, s0
	s_cbranch_execz .LBB1090_11
; %bb.10:
	v_ashrrev_i32_e32 v5, 31, v4
	s_delay_alu instid0(VALU_DEP_1) | instskip(NEXT) | instid1(VALU_DEP_1)
	v_lshlrev_b64 v[2:3], 3, v[4:5]
	v_add_co_u32 v2, vcc_lo, v6, v2
	s_delay_alu instid0(VALU_DEP_2)
	v_add_co_ci_u32_e32 v3, vcc_lo, v7, v3, vcc_lo
	global_load_b64 v[4:5], v[2:3], off
	s_waitcnt vmcnt(0)
	v_dual_sub_f32 v0, v8, v4 :: v_dual_sub_f32 v1, v1, v5
	global_store_b64 v[2:3], v[0:1], off
.LBB1090_11:
	s_nop 0
	s_sendmsg sendmsg(MSG_DEALLOC_VGPRS)
	s_endpgm
	.section	.rodata,"a",@progbits
	.p2align	6, 0x0
	.amdhsa_kernel _ZL37rocblas_syrkx_herkx_restricted_kernelIl19rocblas_complex_numIfELi16ELi32ELi8ELi1ELin1ELb0ELc67ELc85EKS1_S1_EviT_PT9_S3_lS5_S3_lPT10_S3_li
		.amdhsa_group_segment_fixed_size 4096
		.amdhsa_private_segment_fixed_size 0
		.amdhsa_kernarg_size 92
		.amdhsa_user_sgpr_count 13
		.amdhsa_user_sgpr_dispatch_ptr 0
		.amdhsa_user_sgpr_queue_ptr 0
		.amdhsa_user_sgpr_kernarg_segment_ptr 1
		.amdhsa_user_sgpr_dispatch_id 0
		.amdhsa_user_sgpr_private_segment_size 0
		.amdhsa_wavefront_size32 1
		.amdhsa_uses_dynamic_stack 0
		.amdhsa_enable_private_segment 0
		.amdhsa_system_sgpr_workgroup_id_x 1
		.amdhsa_system_sgpr_workgroup_id_y 1
		.amdhsa_system_sgpr_workgroup_id_z 1
		.amdhsa_system_sgpr_workgroup_info 0
		.amdhsa_system_vgpr_workitem_id 1
		.amdhsa_next_free_vgpr 91
		.amdhsa_next_free_sgpr 32
		.amdhsa_reserve_vcc 1
		.amdhsa_float_round_mode_32 0
		.amdhsa_float_round_mode_16_64 0
		.amdhsa_float_denorm_mode_32 3
		.amdhsa_float_denorm_mode_16_64 3
		.amdhsa_dx10_clamp 1
		.amdhsa_ieee_mode 1
		.amdhsa_fp16_overflow 0
		.amdhsa_workgroup_processor_mode 1
		.amdhsa_memory_ordered 1
		.amdhsa_forward_progress 0
		.amdhsa_shared_vgpr_count 0
		.amdhsa_exception_fp_ieee_invalid_op 0
		.amdhsa_exception_fp_denorm_src 0
		.amdhsa_exception_fp_ieee_div_zero 0
		.amdhsa_exception_fp_ieee_overflow 0
		.amdhsa_exception_fp_ieee_underflow 0
		.amdhsa_exception_fp_ieee_inexact 0
		.amdhsa_exception_int_div_zero 0
	.end_amdhsa_kernel
	.section	.text._ZL37rocblas_syrkx_herkx_restricted_kernelIl19rocblas_complex_numIfELi16ELi32ELi8ELi1ELin1ELb0ELc67ELc85EKS1_S1_EviT_PT9_S3_lS5_S3_lPT10_S3_li,"axG",@progbits,_ZL37rocblas_syrkx_herkx_restricted_kernelIl19rocblas_complex_numIfELi16ELi32ELi8ELi1ELin1ELb0ELc67ELc85EKS1_S1_EviT_PT9_S3_lS5_S3_lPT10_S3_li,comdat
.Lfunc_end1090:
	.size	_ZL37rocblas_syrkx_herkx_restricted_kernelIl19rocblas_complex_numIfELi16ELi32ELi8ELi1ELin1ELb0ELc67ELc85EKS1_S1_EviT_PT9_S3_lS5_S3_lPT10_S3_li, .Lfunc_end1090-_ZL37rocblas_syrkx_herkx_restricted_kernelIl19rocblas_complex_numIfELi16ELi32ELi8ELi1ELin1ELb0ELc67ELc85EKS1_S1_EviT_PT9_S3_lS5_S3_lPT10_S3_li
                                        ; -- End function
	.section	.AMDGPU.csdata,"",@progbits
; Kernel info:
; codeLenInByte = 2204
; NumSgprs: 34
; NumVgprs: 91
; ScratchSize: 0
; MemoryBound: 0
; FloatMode: 240
; IeeeMode: 1
; LDSByteSize: 4096 bytes/workgroup (compile time only)
; SGPRBlocks: 4
; VGPRBlocks: 11
; NumSGPRsForWavesPerEU: 34
; NumVGPRsForWavesPerEU: 91
; Occupancy: 16
; WaveLimiterHint : 1
; COMPUTE_PGM_RSRC2:SCRATCH_EN: 0
; COMPUTE_PGM_RSRC2:USER_SGPR: 13
; COMPUTE_PGM_RSRC2:TRAP_HANDLER: 0
; COMPUTE_PGM_RSRC2:TGID_X_EN: 1
; COMPUTE_PGM_RSRC2:TGID_Y_EN: 1
; COMPUTE_PGM_RSRC2:TGID_Z_EN: 1
; COMPUTE_PGM_RSRC2:TIDIG_COMP_CNT: 1
	.section	.text._ZL37rocblas_syrkx_herkx_restricted_kernelIl19rocblas_complex_numIfELi16ELi32ELi8ELi1ELin1ELb0ELc78ELc85EKS1_S1_EviT_PT9_S3_lS5_S3_lPT10_S3_li,"axG",@progbits,_ZL37rocblas_syrkx_herkx_restricted_kernelIl19rocblas_complex_numIfELi16ELi32ELi8ELi1ELin1ELb0ELc78ELc85EKS1_S1_EviT_PT9_S3_lS5_S3_lPT10_S3_li,comdat
	.globl	_ZL37rocblas_syrkx_herkx_restricted_kernelIl19rocblas_complex_numIfELi16ELi32ELi8ELi1ELin1ELb0ELc78ELc85EKS1_S1_EviT_PT9_S3_lS5_S3_lPT10_S3_li ; -- Begin function _ZL37rocblas_syrkx_herkx_restricted_kernelIl19rocblas_complex_numIfELi16ELi32ELi8ELi1ELin1ELb0ELc78ELc85EKS1_S1_EviT_PT9_S3_lS5_S3_lPT10_S3_li
	.p2align	8
	.type	_ZL37rocblas_syrkx_herkx_restricted_kernelIl19rocblas_complex_numIfELi16ELi32ELi8ELi1ELin1ELb0ELc78ELc85EKS1_S1_EviT_PT9_S3_lS5_S3_lPT10_S3_li,@function
_ZL37rocblas_syrkx_herkx_restricted_kernelIl19rocblas_complex_numIfELi16ELi32ELi8ELi1ELin1ELb0ELc78ELc85EKS1_S1_EviT_PT9_S3_lS5_S3_lPT10_S3_li: ; @_ZL37rocblas_syrkx_herkx_restricted_kernelIl19rocblas_complex_numIfELi16ELi32ELi8ELi1ELin1ELb0ELc78ELc85EKS1_S1_EviT_PT9_S3_lS5_S3_lPT10_S3_li
; %bb.0:
	s_load_b512 s[16:31], s[0:1], 0x8
	v_dual_mov_b32 v14, 0 :: v_dual_mov_b32 v15, 0
	v_dual_mov_b32 v13, 0 :: v_dual_mov_b32 v12, 0
	;; [unrolled: 1-line block ×3, first 2 shown]
	v_dual_mov_b32 v7, 0 :: v_dual_and_b32 v4, 0x3ff, v0
	v_bfe_u32 v5, v0, 10, 10
	v_mov_b32_e32 v6, 0
	s_lshl_b32 s8, s13, 5
	s_lshl_b32 s9, s14, 5
	s_waitcnt lgkmcnt(0)
	v_cmp_lt_i64_e64 s2, s[16:17], 1
	s_delay_alu instid0(VALU_DEP_1)
	s_and_b32 vcc_lo, exec_lo, s2
	s_cbranch_vccnz .LBB1091_3
; %bb.1:
	v_lshl_add_u32 v1, v5, 4, v4
	v_and_b32_e32 v13, 7, v4
	s_mul_i32 s3, s23, s15
	s_mul_hi_u32 s5, s22, s15
	s_mul_i32 s2, s22, s15
	v_and_b32_e32 v9, 31, v1
	v_lshrrev_b32_e32 v12, 3, v1
	v_lshrrev_b32_e32 v14, 5, v1
	s_add_i32 s3, s5, s3
	s_mul_i32 s6, s29, s15
	v_add_nc_u32_e32 v0, s8, v9
	v_add_nc_u32_e32 v2, s9, v12
	s_lshl_b64 s[2:3], s[2:3], 3
	s_mul_hi_u32 s7, s28, s15
	s_add_u32 s10, s18, s2
	v_ashrrev_i32_e32 v1, 31, v0
	v_ashrrev_i32_e32 v3, 31, v2
	s_mul_i32 s4, s28, s15
	s_addc_u32 s11, s19, s3
	s_add_i32 s5, s7, s6
	v_mad_u64_u32 v[6:7], null, v14, s20, v[0:1]
	v_mad_u64_u32 v[0:1], null, v13, s26, v[2:3]
	s_lshl_b64 s[4:5], s[4:5], 3
	s_lshl_b64 s[2:3], s[20:21], 6
	s_add_u32 s4, s24, s4
	s_addc_u32 s5, s25, s5
	s_delay_alu instid0(VALU_DEP_2) | instskip(SKIP_3) | instid1(VALU_DEP_3)
	v_mov_b32_e32 v2, v7
	v_lshlrev_b32_e32 v10, 3, v4
	v_lshl_add_u32 v11, v5, 6, 0x800
	s_mov_b64 s[6:7], 0
	v_mad_u64_u32 v[7:8], null, v14, s21, v[2:3]
	v_mad_u64_u32 v[2:3], null, v13, s27, v[1:2]
	s_delay_alu instid0(VALU_DEP_1) | instskip(NEXT) | instid1(VALU_DEP_3)
	v_dual_mov_b32 v1, v2 :: v_dual_lshlrev_b32 v8, 3, v9
	v_lshlrev_b64 v[2:3], 3, v[6:7]
	s_delay_alu instid0(VALU_DEP_2) | instskip(NEXT) | instid1(VALU_DEP_2)
	v_lshlrev_b64 v[0:1], 3, v[0:1]
	v_add_co_u32 v2, vcc_lo, s10, v2
	s_delay_alu instid0(VALU_DEP_3) | instskip(NEXT) | instid1(VALU_DEP_3)
	v_add_co_ci_u32_e32 v3, vcc_lo, s11, v3, vcc_lo
	v_add_co_u32 v6, vcc_lo, s4, v0
	s_delay_alu instid0(VALU_DEP_4) | instskip(NEXT) | instid1(VALU_DEP_4)
	v_add_co_ci_u32_e32 v7, vcc_lo, s5, v1, vcc_lo
	v_add_co_u32 v0, vcc_lo, v2, 4
	s_delay_alu instid0(VALU_DEP_4) | instskip(NEXT) | instid1(VALU_DEP_4)
	v_add_co_ci_u32_e32 v1, vcc_lo, 0, v3, vcc_lo
	v_add_co_u32 v2, vcc_lo, v6, 4
	v_dual_mov_b32 v6, 0 :: v_dual_lshlrev_b32 v15, 3, v13
	v_mov_b32_e32 v13, 0
	v_lshl_or_b32 v16, v14, 8, v8
	v_mov_b32_e32 v8, 0
	v_add_co_ci_u32_e32 v3, vcc_lo, 0, v7, vcc_lo
	v_lshl_or_b32 v9, v12, 6, v15
	v_dual_mov_b32 v7, 0 :: v_dual_mov_b32 v12, 0
	v_dual_mov_b32 v15, 0 :: v_dual_mov_b32 v14, 0
	s_delay_alu instid0(VALU_DEP_3)
	v_add_nc_u32_e32 v17, 0x800, v9
	v_mov_b32_e32 v9, 0
	s_lshl_b64 s[4:5], s[26:27], 6
.LBB1091_2:                             ; =>This Inner Loop Header: Depth=1
	global_load_b64 v[18:19], v[0:1], off offset:-4
	global_load_b64 v[20:21], v[2:3], off offset:-4
	s_add_u32 s6, s6, 8
	v_add_co_u32 v0, vcc_lo, v0, s2
	s_addc_u32 s7, s7, 0
	v_add_co_ci_u32_e32 v1, vcc_lo, s3, v1, vcc_lo
	v_cmp_ge_u64_e64 s10, s[6:7], s[16:17]
	v_add_co_u32 v2, vcc_lo, v2, s4
	v_add_co_ci_u32_e32 v3, vcc_lo, s5, v3, vcc_lo
	s_waitcnt vmcnt(1)
	ds_store_b64 v16, v[18:19]
	s_waitcnt vmcnt(0)
	ds_store_b64 v17, v[20:21]
	s_waitcnt lgkmcnt(0)
	s_barrier
	buffer_gl0_inv
	ds_load_2addr_b64 v[18:21], v10 offset1:16
	ds_load_b128 v[22:25], v11
	ds_load_b128 v[26:29], v11 offset:1024
	ds_load_b128 v[30:33], v11 offset:16
	;; [unrolled: 1-line block ×4, first 2 shown]
	ds_load_2addr_b64 v[42:45], v10 offset0:32 offset1:48
	ds_load_2addr_b64 v[46:49], v10 offset0:64 offset1:80
	ds_load_b128 v[50:53], v11 offset:1040
	ds_load_2addr_b64 v[54:57], v10 offset0:96 offset1:112
	ds_load_2addr_b64 v[58:61], v10 offset0:128 offset1:144
	;; [unrolled: 1-line block ×4, first 2 shown]
	ds_load_b128 v[70:73], v11 offset:1056
	ds_load_b128 v[74:77], v11 offset:1072
	ds_load_2addr_b64 v[78:81], v10 offset0:224 offset1:240
	s_and_b32 vcc_lo, exec_lo, s10
	s_waitcnt lgkmcnt(0)
	s_barrier
	buffer_gl0_inv
	v_dual_mul_f32 v82, v23, v19 :: v_dual_mul_f32 v85, v22, v21
	v_dual_mul_f32 v83, v22, v19 :: v_dual_mul_f32 v84, v23, v21
	v_mul_f32_e32 v86, v27, v19
	v_dual_mul_f32 v19, v26, v19 :: v_dual_mul_f32 v90, v25, v45
	v_dual_mul_f32 v87, v27, v21 :: v_dual_mul_f32 v88, v25, v43
	v_mul_f32_e32 v21, v26, v21
	v_mul_f32_e32 v89, v24, v43
	;; [unrolled: 1-line block ×3, first 2 shown]
	v_fma_f32 v82, v22, v18, -v82
	v_fmac_f32_e32 v83, v23, v18
	v_fma_f32 v22, v22, v20, -v84
	v_dual_fmac_f32 v85, v23, v20 :: v_dual_mul_f32 v84, v30, v47
	v_fma_f32 v23, v26, v18, -v86
	v_fmac_f32_e32 v19, v27, v18
	v_fma_f32 v18, v26, v20, -v87
	v_dual_mul_f32 v26, v28, v43 :: v_dual_fmac_f32 v21, v27, v20
	v_mul_f32_e32 v20, v29, v43
	v_mul_f32_e32 v27, v29, v45
	v_dual_mul_f32 v43, v28, v45 :: v_dual_fmac_f32 v84, v31, v46
	v_fma_f32 v45, v24, v42, -v88
	v_fma_f32 v24, v24, v44, -v90
	v_dual_fmac_f32 v91, v25, v44 :: v_dual_mul_f32 v90, v32, v57
	v_dual_mul_f32 v86, v31, v49 :: v_dual_fmac_f32 v89, v25, v42
	v_dual_mul_f32 v25, v31, v47 :: v_dual_mul_f32 v88, v33, v57
	v_fma_f32 v20, v28, v42, -v20
	v_fmac_f32_e32 v26, v29, v42
	v_fma_f32 v27, v28, v44, -v27
	v_dual_fmac_f32 v43, v29, v44 :: v_dual_mul_f32 v28, v51, v47
	v_dual_mul_f32 v29, v50, v47 :: v_dual_mul_f32 v42, v51, v49
	v_mul_f32_e32 v44, v50, v49
	v_mul_f32_e32 v87, v30, v49
	;; [unrolled: 1-line block ×3, first 2 shown]
	v_dual_mul_f32 v49, v32, v55 :: v_dual_fmac_f32 v90, v33, v56
	v_fma_f32 v25, v30, v46, -v25
	v_fma_f32 v30, v30, v48, -v86
	;; [unrolled: 1-line block ×3, first 2 shown]
	v_fmac_f32_e32 v44, v51, v48
	v_fmac_f32_e32 v87, v31, v48
	v_fma_f32 v31, v50, v48, -v42
	v_mul_f32_e32 v42, v53, v55
	v_mul_f32_e32 v48, v53, v57
	v_dual_mul_f32 v50, v52, v57 :: v_dual_fmac_f32 v29, v51, v46
	v_mul_f32_e32 v46, v52, v55
	v_fma_f32 v47, v32, v54, -v47
	v_fmac_f32_e32 v49, v33, v54
	v_fma_f32 v32, v32, v56, -v88
	s_delay_alu instid0(VALU_DEP_4)
	v_dual_mul_f32 v33, v35, v59 :: v_dual_fmac_f32 v46, v53, v54
	v_mul_f32_e32 v51, v34, v59
	v_mul_f32_e32 v55, v35, v61
	v_fma_f32 v42, v52, v54, -v42
	v_fma_f32 v48, v52, v56, -v48
	v_fmac_f32_e32 v50, v53, v56
	v_mul_f32_e32 v52, v71, v59
	v_dual_mul_f32 v53, v70, v59 :: v_dual_mul_f32 v86, v37, v65
	v_mul_f32_e32 v54, v71, v61
	v_dual_mul_f32 v56, v70, v61 :: v_dual_mul_f32 v59, v37, v63
	v_mul_f32_e32 v57, v34, v61
	v_mul_f32_e32 v61, v36, v63
	v_dual_mul_f32 v88, v36, v65 :: v_dual_fmac_f32 v51, v35, v58
	v_fma_f32 v33, v34, v58, -v33
	v_fmac_f32_e32 v53, v71, v58
	v_fmac_f32_e32 v56, v71, v60
	s_delay_alu instid0(VALU_DEP_4)
	v_fmac_f32_e32 v88, v37, v64
	v_fmac_f32_e32 v57, v35, v60
	v_fma_f32 v35, v70, v58, -v52
	v_fma_f32 v52, v70, v60, -v54
	v_mul_f32_e32 v54, v73, v63
	v_fma_f32 v34, v34, v60, -v55
	v_mul_f32_e32 v60, v72, v65
	v_dual_mul_f32 v55, v72, v63 :: v_dual_mul_f32 v70, v38, v69
	v_mul_f32_e32 v58, v73, v65
	v_fma_f32 v59, v36, v62, -v59
	v_fmac_f32_e32 v61, v37, v62
	v_fma_f32 v36, v36, v64, -v86
	v_dual_mul_f32 v37, v39, v67 :: v_dual_fmac_f32 v60, v73, v64
	v_dual_mul_f32 v63, v38, v67 :: v_dual_mul_f32 v86, v40, v81
	v_mul_f32_e32 v65, v39, v69
	v_fma_f32 v54, v72, v62, -v54
	v_fmac_f32_e32 v55, v73, v62
	v_fma_f32 v58, v72, v64, -v58
	v_mul_f32_e32 v72, v40, v79
	v_mul_f32_e32 v62, v75, v67
	v_dual_mul_f32 v64, v74, v67 :: v_dual_mul_f32 v67, v75, v69
	v_dual_mul_f32 v69, v74, v69 :: v_dual_fmac_f32 v70, v39, v68
	s_delay_alu instid0(VALU_DEP_2)
	v_dual_mul_f32 v71, v41, v79 :: v_dual_fmac_f32 v64, v75, v66
	v_fma_f32 v37, v38, v66, -v37
	v_fmac_f32_e32 v63, v39, v66
	v_fma_f32 v38, v38, v68, -v65
	v_fma_f32 v39, v74, v66, -v62
	v_dual_fmac_f32 v69, v75, v68 :: v_dual_fmac_f32 v72, v41, v78
	v_mul_f32_e32 v66, v76, v79
	v_fma_f32 v62, v74, v68, -v67
	v_mul_f32_e32 v68, v76, v81
	v_dual_mul_f32 v73, v41, v81 :: v_dual_add_f32 v14, v14, v82
	v_dual_mul_f32 v65, v77, v79 :: v_dual_add_f32 v12, v12, v85
	;; [unrolled: 1-line block ×3, first 2 shown]
	v_dual_fmac_f32 v86, v41, v80 :: v_dual_add_f32 v15, v15, v83
	v_dual_fmac_f32 v68, v77, v80 :: v_dual_add_f32 v7, v7, v18
	v_dual_add_f32 v13, v13, v22 :: v_dual_add_f32 v6, v6, v21
	v_dual_add_f32 v9, v9, v19 :: v_dual_add_f32 v14, v14, v45
	s_delay_alu instid0(VALU_DEP_4) | instskip(NEXT) | instid1(VALU_DEP_3)
	v_dual_fmac_f32 v66, v77, v78 :: v_dual_add_f32 v15, v15, v89
	v_dual_add_f32 v13, v13, v24 :: v_dual_add_f32 v12, v12, v91
	s_delay_alu instid0(VALU_DEP_3) | instskip(NEXT) | instid1(VALU_DEP_4)
	v_dual_add_f32 v8, v8, v20 :: v_dual_add_f32 v9, v9, v26
	v_dual_add_f32 v7, v7, v27 :: v_dual_add_f32 v14, v14, v25
	s_delay_alu instid0(VALU_DEP_4) | instskip(NEXT) | instid1(VALU_DEP_4)
	v_dual_add_f32 v6, v6, v43 :: v_dual_add_f32 v15, v15, v84
	v_dual_add_f32 v13, v13, v30 :: v_dual_add_f32 v12, v12, v87
	s_delay_alu instid0(VALU_DEP_4) | instskip(NEXT) | instid1(VALU_DEP_3)
	v_dual_add_f32 v8, v8, v28 :: v_dual_add_f32 v9, v9, v29
	v_dual_add_f32 v7, v7, v31 :: v_dual_add_f32 v6, v6, v44
	s_delay_alu instid0(VALU_DEP_4) | instskip(NEXT) | instid1(VALU_DEP_4)
	v_dual_add_f32 v14, v14, v47 :: v_dual_add_f32 v15, v15, v49
	v_dual_add_f32 v13, v13, v32 :: v_dual_add_f32 v12, v12, v90
	s_delay_alu instid0(VALU_DEP_3) | instskip(NEXT) | instid1(VALU_DEP_3)
	v_dual_add_f32 v8, v8, v42 :: v_dual_add_f32 v7, v7, v48
	v_dual_add_f32 v9, v9, v46 :: v_dual_add_f32 v14, v14, v33
	s_delay_alu instid0(VALU_DEP_4) | instskip(NEXT) | instid1(VALU_DEP_4)
	v_dual_add_f32 v6, v6, v50 :: v_dual_add_f32 v15, v15, v51
	v_dual_add_f32 v13, v13, v34 :: v_dual_add_f32 v12, v12, v57
	s_delay_alu instid0(VALU_DEP_3) | instskip(NEXT) | instid1(VALU_DEP_4)
	v_dual_add_f32 v8, v8, v35 :: v_dual_add_f32 v9, v9, v53
	v_dual_add_f32 v7, v7, v52 :: v_dual_add_f32 v14, v14, v59
	s_delay_alu instid0(VALU_DEP_4) | instskip(NEXT) | instid1(VALU_DEP_3)
	v_dual_add_f32 v6, v6, v56 :: v_dual_add_f32 v15, v15, v61
	v_dual_add_f32 v13, v13, v36 :: v_dual_add_f32 v8, v8, v54
	s_delay_alu instid0(VALU_DEP_4) | instskip(NEXT) | instid1(VALU_DEP_3)
	v_dual_add_f32 v12, v12, v88 :: v_dual_add_f32 v9, v9, v55
	v_dual_add_f32 v7, v7, v58 :: v_dual_add_f32 v6, v6, v60
	v_fma_f32 v71, v40, v78, -v71
	v_fma_f32 v40, v40, v80, -v73
	;; [unrolled: 1-line block ×4, first 2 shown]
	v_dual_add_f32 v14, v14, v37 :: v_dual_add_f32 v15, v15, v63
	v_dual_add_f32 v13, v13, v38 :: v_dual_add_f32 v8, v8, v39
	;; [unrolled: 1-line block ×4, first 2 shown]
	s_delay_alu instid0(VALU_DEP_4) | instskip(NEXT) | instid1(VALU_DEP_3)
	v_dual_add_f32 v14, v14, v71 :: v_dual_add_f32 v15, v15, v72
	v_dual_add_f32 v13, v13, v40 :: v_dual_add_f32 v12, v12, v86
	s_delay_alu instid0(VALU_DEP_4) | instskip(NEXT) | instid1(VALU_DEP_4)
	v_dual_add_f32 v8, v8, v41 :: v_dual_add_f32 v9, v9, v66
	v_dual_add_f32 v7, v7, v65 :: v_dual_add_f32 v6, v6, v68
	s_cbranch_vccz .LBB1091_2
.LBB1091_3:
	s_clause 0x1
	s_load_b128 s[4:7], s[0:1], 0x48
	s_load_b32 s2, s[0:1], 0x0
	v_add_nc_u32_e32 v5, s9, v5
	s_delay_alu instid0(VALU_DEP_1) | instskip(SKIP_1) | instid1(VALU_DEP_1)
	v_ashrrev_i32_e32 v0, 31, v5
	s_waitcnt lgkmcnt(0)
	v_mul_lo_u32 v3, v0, s4
	v_mul_lo_u32 v10, v5, s5
	v_mad_u64_u32 v[1:2], null, v5, s4, 0
	s_mul_i32 s1, s15, s7
	s_mul_hi_u32 s3, s15, s6
	s_mul_i32 s6, s15, s6
	s_add_i32 s7, s3, s1
	v_add_nc_u32_e32 v0, s8, v4
	s_lshl_b64 s[6:7], s[6:7], 3
	s_delay_alu instid0(VALU_DEP_2)
	v_add3_u32 v2, v2, v10, v3
	s_add_u32 s3, s30, s6
	v_cmp_gt_i32_e32 vcc_lo, s2, v5
	v_cmp_le_i32_e64 s0, v0, v5
	s_addc_u32 s6, s31, s7
	v_lshlrev_b64 v[1:2], 3, v[1:2]
	s_delay_alu instid0(VALU_DEP_2) | instskip(NEXT) | instid1(VALU_DEP_1)
	s_and_b32 s0, vcc_lo, s0
	v_add_co_u32 v4, s1, s3, v1
	s_delay_alu instid0(VALU_DEP_1)
	v_add_co_ci_u32_e64 v10, s1, s6, v2, s1
	s_and_saveexec_b32 s1, s0
	s_cbranch_execz .LBB1091_5
; %bb.4:
	v_ashrrev_i32_e32 v1, 31, v0
	s_delay_alu instid0(VALU_DEP_1) | instskip(NEXT) | instid1(VALU_DEP_1)
	v_lshlrev_b64 v[1:2], 3, v[0:1]
	v_add_co_u32 v1, s0, v4, v1
	s_delay_alu instid0(VALU_DEP_1)
	v_add_co_ci_u32_e64 v2, s0, v10, v2, s0
	global_load_b64 v[16:17], v[1:2], off
	s_waitcnt vmcnt(0)
	v_dual_sub_f32 v14, v14, v16 :: v_dual_sub_f32 v15, v15, v17
	global_store_b64 v[1:2], v[14:15], off
.LBB1091_5:
	s_or_b32 exec_lo, exec_lo, s1
	v_add_nc_u32_e32 v2, 16, v0
	s_delay_alu instid0(VALU_DEP_1) | instskip(NEXT) | instid1(VALU_DEP_1)
	v_cmp_le_i32_e64 s0, v2, v5
	s_and_b32 s1, vcc_lo, s0
	s_delay_alu instid0(SALU_CYCLE_1)
	s_and_saveexec_b32 s0, s1
	s_cbranch_execz .LBB1091_7
; %bb.6:
	v_ashrrev_i32_e32 v3, 31, v2
	s_delay_alu instid0(VALU_DEP_1) | instskip(NEXT) | instid1(VALU_DEP_1)
	v_lshlrev_b64 v[14:15], 3, v[2:3]
	v_add_co_u32 v3, vcc_lo, v4, v14
	s_delay_alu instid0(VALU_DEP_2)
	v_add_co_ci_u32_e32 v4, vcc_lo, v10, v15, vcc_lo
	global_load_b64 v[10:11], v[3:4], off
	s_waitcnt vmcnt(0)
	v_dual_sub_f32 v10, v13, v10 :: v_dual_sub_f32 v11, v12, v11
	global_store_b64 v[3:4], v[10:11], off
.LBB1091_7:
	s_or_b32 exec_lo, exec_lo, s0
	v_add_nc_u32_e32 v3, 16, v5
	s_delay_alu instid0(VALU_DEP_1) | instskip(SKIP_3) | instid1(VALU_DEP_4)
	v_ashrrev_i32_e32 v1, 31, v3
	v_mul_lo_u32 v10, v3, s5
	v_mad_u64_u32 v[4:5], null, v3, s4, 0
	v_cmp_gt_i32_e32 vcc_lo, s2, v3
	v_mul_lo_u32 v1, v1, s4
	v_cmp_le_i32_e64 s0, v0, v3
	s_delay_alu instid0(VALU_DEP_1) | instskip(NEXT) | instid1(VALU_DEP_2)
	s_and_b32 s0, vcc_lo, s0
	v_add3_u32 v5, v5, v10, v1
	s_delay_alu instid0(VALU_DEP_1) | instskip(NEXT) | instid1(VALU_DEP_1)
	v_lshlrev_b64 v[4:5], 3, v[4:5]
	v_add_co_u32 v4, s1, s3, v4
	s_delay_alu instid0(VALU_DEP_1)
	v_add_co_ci_u32_e64 v5, s1, s6, v5, s1
	s_and_saveexec_b32 s1, s0
	s_cbranch_execz .LBB1091_9
; %bb.8:
	v_ashrrev_i32_e32 v1, 31, v0
	s_delay_alu instid0(VALU_DEP_1) | instskip(NEXT) | instid1(VALU_DEP_1)
	v_lshlrev_b64 v[0:1], 3, v[0:1]
	v_add_co_u32 v0, s0, v4, v0
	s_delay_alu instid0(VALU_DEP_1)
	v_add_co_ci_u32_e64 v1, s0, v5, v1, s0
	global_load_b64 v[10:11], v[0:1], off
	s_waitcnt vmcnt(0)
	v_dual_sub_f32 v8, v8, v10 :: v_dual_sub_f32 v9, v9, v11
	global_store_b64 v[0:1], v[8:9], off
.LBB1091_9:
	s_or_b32 exec_lo, exec_lo, s1
	v_cmp_le_i32_e64 s0, v2, v3
	s_delay_alu instid0(VALU_DEP_1) | instskip(NEXT) | instid1(SALU_CYCLE_1)
	s_and_b32 s0, vcc_lo, s0
	s_and_saveexec_b32 s1, s0
	s_cbranch_execz .LBB1091_11
; %bb.10:
	v_ashrrev_i32_e32 v3, 31, v2
	s_delay_alu instid0(VALU_DEP_1) | instskip(NEXT) | instid1(VALU_DEP_1)
	v_lshlrev_b64 v[0:1], 3, v[2:3]
	v_add_co_u32 v0, vcc_lo, v4, v0
	s_delay_alu instid0(VALU_DEP_2)
	v_add_co_ci_u32_e32 v1, vcc_lo, v5, v1, vcc_lo
	global_load_b64 v[2:3], v[0:1], off
	s_waitcnt vmcnt(0)
	v_dual_sub_f32 v2, v7, v2 :: v_dual_sub_f32 v3, v6, v3
	global_store_b64 v[0:1], v[2:3], off
.LBB1091_11:
	s_nop 0
	s_sendmsg sendmsg(MSG_DEALLOC_VGPRS)
	s_endpgm
	.section	.rodata,"a",@progbits
	.p2align	6, 0x0
	.amdhsa_kernel _ZL37rocblas_syrkx_herkx_restricted_kernelIl19rocblas_complex_numIfELi16ELi32ELi8ELi1ELin1ELb0ELc78ELc85EKS1_S1_EviT_PT9_S3_lS5_S3_lPT10_S3_li
		.amdhsa_group_segment_fixed_size 4096
		.amdhsa_private_segment_fixed_size 0
		.amdhsa_kernarg_size 92
		.amdhsa_user_sgpr_count 13
		.amdhsa_user_sgpr_dispatch_ptr 0
		.amdhsa_user_sgpr_queue_ptr 0
		.amdhsa_user_sgpr_kernarg_segment_ptr 1
		.amdhsa_user_sgpr_dispatch_id 0
		.amdhsa_user_sgpr_private_segment_size 0
		.amdhsa_wavefront_size32 1
		.amdhsa_uses_dynamic_stack 0
		.amdhsa_enable_private_segment 0
		.amdhsa_system_sgpr_workgroup_id_x 1
		.amdhsa_system_sgpr_workgroup_id_y 1
		.amdhsa_system_sgpr_workgroup_id_z 1
		.amdhsa_system_sgpr_workgroup_info 0
		.amdhsa_system_vgpr_workitem_id 1
		.amdhsa_next_free_vgpr 92
		.amdhsa_next_free_sgpr 32
		.amdhsa_reserve_vcc 1
		.amdhsa_float_round_mode_32 0
		.amdhsa_float_round_mode_16_64 0
		.amdhsa_float_denorm_mode_32 3
		.amdhsa_float_denorm_mode_16_64 3
		.amdhsa_dx10_clamp 1
		.amdhsa_ieee_mode 1
		.amdhsa_fp16_overflow 0
		.amdhsa_workgroup_processor_mode 1
		.amdhsa_memory_ordered 1
		.amdhsa_forward_progress 0
		.amdhsa_shared_vgpr_count 0
		.amdhsa_exception_fp_ieee_invalid_op 0
		.amdhsa_exception_fp_denorm_src 0
		.amdhsa_exception_fp_ieee_div_zero 0
		.amdhsa_exception_fp_ieee_overflow 0
		.amdhsa_exception_fp_ieee_underflow 0
		.amdhsa_exception_fp_ieee_inexact 0
		.amdhsa_exception_int_div_zero 0
	.end_amdhsa_kernel
	.section	.text._ZL37rocblas_syrkx_herkx_restricted_kernelIl19rocblas_complex_numIfELi16ELi32ELi8ELi1ELin1ELb0ELc78ELc85EKS1_S1_EviT_PT9_S3_lS5_S3_lPT10_S3_li,"axG",@progbits,_ZL37rocblas_syrkx_herkx_restricted_kernelIl19rocblas_complex_numIfELi16ELi32ELi8ELi1ELin1ELb0ELc78ELc85EKS1_S1_EviT_PT9_S3_lS5_S3_lPT10_S3_li,comdat
.Lfunc_end1091:
	.size	_ZL37rocblas_syrkx_herkx_restricted_kernelIl19rocblas_complex_numIfELi16ELi32ELi8ELi1ELin1ELb0ELc78ELc85EKS1_S1_EviT_PT9_S3_lS5_S3_lPT10_S3_li, .Lfunc_end1091-_ZL37rocblas_syrkx_herkx_restricted_kernelIl19rocblas_complex_numIfELi16ELi32ELi8ELi1ELin1ELb0ELc78ELc85EKS1_S1_EviT_PT9_S3_lS5_S3_lPT10_S3_li
                                        ; -- End function
	.section	.AMDGPU.csdata,"",@progbits
; Kernel info:
; codeLenInByte = 2204
; NumSgprs: 34
; NumVgprs: 92
; ScratchSize: 0
; MemoryBound: 0
; FloatMode: 240
; IeeeMode: 1
; LDSByteSize: 4096 bytes/workgroup (compile time only)
; SGPRBlocks: 4
; VGPRBlocks: 11
; NumSGPRsForWavesPerEU: 34
; NumVGPRsForWavesPerEU: 92
; Occupancy: 16
; WaveLimiterHint : 1
; COMPUTE_PGM_RSRC2:SCRATCH_EN: 0
; COMPUTE_PGM_RSRC2:USER_SGPR: 13
; COMPUTE_PGM_RSRC2:TRAP_HANDLER: 0
; COMPUTE_PGM_RSRC2:TGID_X_EN: 1
; COMPUTE_PGM_RSRC2:TGID_Y_EN: 1
; COMPUTE_PGM_RSRC2:TGID_Z_EN: 1
; COMPUTE_PGM_RSRC2:TIDIG_COMP_CNT: 1
	.section	.text._ZL37rocblas_syrkx_herkx_restricted_kernelIl19rocblas_complex_numIfELi16ELi32ELi8ELi1ELi0ELb0ELc84ELc76EKS1_S1_EviT_PT9_S3_lS5_S3_lPT10_S3_li,"axG",@progbits,_ZL37rocblas_syrkx_herkx_restricted_kernelIl19rocblas_complex_numIfELi16ELi32ELi8ELi1ELi0ELb0ELc84ELc76EKS1_S1_EviT_PT9_S3_lS5_S3_lPT10_S3_li,comdat
	.globl	_ZL37rocblas_syrkx_herkx_restricted_kernelIl19rocblas_complex_numIfELi16ELi32ELi8ELi1ELi0ELb0ELc84ELc76EKS1_S1_EviT_PT9_S3_lS5_S3_lPT10_S3_li ; -- Begin function _ZL37rocblas_syrkx_herkx_restricted_kernelIl19rocblas_complex_numIfELi16ELi32ELi8ELi1ELi0ELb0ELc84ELc76EKS1_S1_EviT_PT9_S3_lS5_S3_lPT10_S3_li
	.p2align	8
	.type	_ZL37rocblas_syrkx_herkx_restricted_kernelIl19rocblas_complex_numIfELi16ELi32ELi8ELi1ELi0ELb0ELc84ELc76EKS1_S1_EviT_PT9_S3_lS5_S3_lPT10_S3_li,@function
_ZL37rocblas_syrkx_herkx_restricted_kernelIl19rocblas_complex_numIfELi16ELi32ELi8ELi1ELi0ELb0ELc84ELc76EKS1_S1_EviT_PT9_S3_lS5_S3_lPT10_S3_li: ; @_ZL37rocblas_syrkx_herkx_restricted_kernelIl19rocblas_complex_numIfELi16ELi32ELi8ELi1ELi0ELb0ELc84ELc76EKS1_S1_EviT_PT9_S3_lS5_S3_lPT10_S3_li
; %bb.0:
	s_load_b512 s[16:31], s[0:1], 0x8
	v_dual_mov_b32 v7, 0 :: v_dual_mov_b32 v8, 0
	v_dual_mov_b32 v5, 0 :: v_dual_mov_b32 v6, 0
	;; [unrolled: 1-line block ×4, first 2 shown]
	v_and_b32_e32 v13, 0x3ff, v0
	v_bfe_u32 v0, v0, 10, 10
	s_lshl_b32 s8, s13, 5
	s_lshl_b32 s9, s14, 5
	s_waitcnt lgkmcnt(0)
	v_cmp_lt_i64_e64 s2, s[16:17], 1
	s_delay_alu instid0(VALU_DEP_1)
	s_and_b32 vcc_lo, exec_lo, s2
	s_cbranch_vccnz .LBB1092_3
; %bb.1:
	v_lshl_add_u32 v3, v0, 4, v13
	v_dual_mov_b32 v2, 0 :: v_dual_and_b32 v1, 7, v13
	s_mul_i32 s3, s23, s15
	s_mul_hi_u32 s4, s22, s15
	s_delay_alu instid0(VALU_DEP_2)
	v_and_b32_e32 v9, 31, v3
	v_lshrrev_b32_e32 v10, 3, v3
	v_mov_b32_e32 v4, v2
	v_lshrrev_b32_e32 v3, 5, v3
	v_lshlrev_b32_e32 v12, 3, v1
	v_add_nc_u32_e32 v7, s8, v9
	v_add_nc_u32_e32 v11, s9, v10
	v_lshlrev_b32_e32 v9, 3, v9
	s_mul_i32 s2, s22, s15
	s_add_i32 s3, s4, s3
	v_ashrrev_i32_e32 v8, 31, v7
	v_ashrrev_i32_e32 v15, 31, v11
	v_mad_u64_u32 v[5:6], null, s20, v7, v[3:4]
	v_mul_lo_u32 v4, s21, v7
	s_delay_alu instid0(VALU_DEP_4)
	v_mul_lo_u32 v16, s20, v8
	v_mul_lo_u32 v17, v11, s27
	v_mad_u64_u32 v[7:8], null, v11, s26, v[1:2]
	v_mul_lo_u32 v1, v15, s26
	s_lshl_b64 s[2:3], s[2:3], 3
	v_lshl_or_b32 v15, v3, 8, v9
	s_add_u32 s4, s18, s2
	v_add3_u32 v6, v4, v6, v16
	s_mul_i32 s2, s29, s15
	s_mul_hi_u32 s5, s28, s15
	s_addc_u32 s6, s19, s3
	v_add3_u32 v8, v1, v8, v17
	v_lshlrev_b64 v[3:4], 3, v[5:6]
	s_add_i32 s3, s5, s2
	s_mul_i32 s2, s28, s15
	v_lshl_or_b32 v10, v10, 6, v12
	v_lshlrev_b64 v[5:6], 3, v[7:8]
	v_mov_b32_e32 v8, v2
	s_lshl_b64 s[2:3], s[2:3], 3
	v_add_co_u32 v1, vcc_lo, s4, v3
	s_add_u32 s2, s24, s2
	v_add_co_ci_u32_e32 v3, vcc_lo, s6, v4, vcc_lo
	s_addc_u32 s3, s25, s3
	v_add_co_u32 v4, vcc_lo, s2, v5
	v_add_co_ci_u32_e32 v5, vcc_lo, s3, v6, vcc_lo
	v_add_co_u32 v9, vcc_lo, v1, 4
	v_add_nc_u32_e32 v16, 0x800, v10
	v_add_co_ci_u32_e32 v10, vcc_lo, 0, v3, vcc_lo
	v_add_co_u32 v11, vcc_lo, v4, 4
	v_dual_mov_b32 v1, v2 :: v_dual_lshlrev_b32 v14, 3, v13
	v_lshl_add_u32 v17, v0, 6, 0x800
	v_add_co_ci_u32_e32 v12, vcc_lo, 0, v5, vcc_lo
	v_mov_b32_e32 v4, v2
	v_mov_b32_e32 v3, v2
	;; [unrolled: 1-line block ×5, first 2 shown]
	s_mov_b64 s[2:3], 0
.LBB1092_2:                             ; =>This Inner Loop Header: Depth=1
	global_load_b64 v[18:19], v[9:10], off offset:-4
	global_load_b64 v[20:21], v[11:12], off offset:-4
	s_add_u32 s2, s2, 8
	v_add_co_u32 v9, vcc_lo, v9, 64
	s_addc_u32 s3, s3, 0
	v_add_co_ci_u32_e32 v10, vcc_lo, 0, v10, vcc_lo
	v_cmp_ge_u64_e64 s4, s[2:3], s[16:17]
	v_add_co_u32 v11, vcc_lo, v11, 64
	v_add_co_ci_u32_e32 v12, vcc_lo, 0, v12, vcc_lo
	s_waitcnt vmcnt(1)
	ds_store_b64 v15, v[18:19]
	s_waitcnt vmcnt(0)
	ds_store_b64 v16, v[20:21]
	s_waitcnt lgkmcnt(0)
	s_barrier
	buffer_gl0_inv
	ds_load_2addr_b64 v[18:21], v14 offset1:16
	ds_load_b128 v[22:25], v17
	ds_load_b128 v[26:29], v17 offset:1024
	ds_load_b128 v[30:33], v17 offset:16
	;; [unrolled: 1-line block ×4, first 2 shown]
	ds_load_2addr_b64 v[42:45], v14 offset0:32 offset1:48
	ds_load_2addr_b64 v[46:49], v14 offset0:64 offset1:80
	ds_load_b128 v[50:53], v17 offset:1040
	ds_load_2addr_b64 v[54:57], v14 offset0:96 offset1:112
	ds_load_2addr_b64 v[58:61], v14 offset0:128 offset1:144
	;; [unrolled: 1-line block ×4, first 2 shown]
	ds_load_b128 v[70:73], v17 offset:1056
	ds_load_b128 v[74:77], v17 offset:1072
	ds_load_2addr_b64 v[78:81], v14 offset0:224 offset1:240
	s_and_b32 vcc_lo, exec_lo, s4
	s_waitcnt lgkmcnt(0)
	s_barrier
	buffer_gl0_inv
	v_dual_mul_f32 v82, v23, v19 :: v_dual_mul_f32 v85, v22, v21
	v_dual_mul_f32 v83, v22, v19 :: v_dual_mul_f32 v84, v23, v21
	v_mul_f32_e32 v86, v27, v19
	v_dual_mul_f32 v19, v26, v19 :: v_dual_mul_f32 v90, v25, v45
	v_dual_mul_f32 v87, v27, v21 :: v_dual_mul_f32 v88, v25, v43
	v_mul_f32_e32 v21, v26, v21
	v_mul_f32_e32 v89, v24, v43
	;; [unrolled: 1-line block ×3, first 2 shown]
	v_fma_f32 v82, v22, v18, -v82
	v_fmac_f32_e32 v83, v23, v18
	v_fma_f32 v22, v22, v20, -v84
	v_dual_fmac_f32 v85, v23, v20 :: v_dual_mul_f32 v84, v30, v47
	v_fma_f32 v23, v26, v18, -v86
	v_fmac_f32_e32 v19, v27, v18
	v_fma_f32 v18, v26, v20, -v87
	v_dual_mul_f32 v26, v28, v43 :: v_dual_fmac_f32 v21, v27, v20
	v_mul_f32_e32 v20, v29, v43
	v_mul_f32_e32 v27, v29, v45
	v_dual_mul_f32 v43, v28, v45 :: v_dual_fmac_f32 v84, v31, v46
	v_fma_f32 v45, v24, v42, -v88
	v_fma_f32 v24, v24, v44, -v90
	v_dual_fmac_f32 v91, v25, v44 :: v_dual_mul_f32 v90, v32, v57
	v_dual_mul_f32 v86, v31, v49 :: v_dual_fmac_f32 v89, v25, v42
	v_dual_mul_f32 v25, v31, v47 :: v_dual_mul_f32 v88, v33, v57
	v_fma_f32 v20, v28, v42, -v20
	v_fmac_f32_e32 v26, v29, v42
	v_fma_f32 v27, v28, v44, -v27
	v_dual_fmac_f32 v43, v29, v44 :: v_dual_mul_f32 v28, v51, v47
	v_dual_mul_f32 v29, v50, v47 :: v_dual_mul_f32 v42, v51, v49
	v_mul_f32_e32 v44, v50, v49
	v_mul_f32_e32 v87, v30, v49
	;; [unrolled: 1-line block ×3, first 2 shown]
	v_dual_mul_f32 v49, v32, v55 :: v_dual_fmac_f32 v90, v33, v56
	v_fma_f32 v25, v30, v46, -v25
	v_fma_f32 v30, v30, v48, -v86
	;; [unrolled: 1-line block ×3, first 2 shown]
	v_fmac_f32_e32 v44, v51, v48
	v_fmac_f32_e32 v87, v31, v48
	v_fma_f32 v31, v50, v48, -v42
	v_mul_f32_e32 v42, v53, v55
	v_mul_f32_e32 v48, v53, v57
	v_dual_mul_f32 v50, v52, v57 :: v_dual_fmac_f32 v29, v51, v46
	v_mul_f32_e32 v46, v52, v55
	v_fma_f32 v47, v32, v54, -v47
	v_fmac_f32_e32 v49, v33, v54
	v_fma_f32 v32, v32, v56, -v88
	s_delay_alu instid0(VALU_DEP_4)
	v_dual_mul_f32 v33, v35, v59 :: v_dual_fmac_f32 v46, v53, v54
	v_mul_f32_e32 v51, v34, v59
	v_mul_f32_e32 v55, v35, v61
	v_fma_f32 v42, v52, v54, -v42
	v_fma_f32 v48, v52, v56, -v48
	v_fmac_f32_e32 v50, v53, v56
	v_mul_f32_e32 v52, v71, v59
	v_dual_mul_f32 v53, v70, v59 :: v_dual_mul_f32 v86, v37, v65
	v_mul_f32_e32 v54, v71, v61
	v_dual_mul_f32 v56, v70, v61 :: v_dual_mul_f32 v59, v37, v63
	v_mul_f32_e32 v57, v34, v61
	v_mul_f32_e32 v61, v36, v63
	v_dual_mul_f32 v88, v36, v65 :: v_dual_fmac_f32 v51, v35, v58
	v_fma_f32 v33, v34, v58, -v33
	v_fmac_f32_e32 v53, v71, v58
	v_fmac_f32_e32 v56, v71, v60
	s_delay_alu instid0(VALU_DEP_4)
	v_fmac_f32_e32 v88, v37, v64
	v_fmac_f32_e32 v57, v35, v60
	v_fma_f32 v35, v70, v58, -v52
	v_fma_f32 v52, v70, v60, -v54
	v_mul_f32_e32 v54, v73, v63
	v_fma_f32 v34, v34, v60, -v55
	v_mul_f32_e32 v60, v72, v65
	v_dual_mul_f32 v55, v72, v63 :: v_dual_mul_f32 v70, v38, v69
	v_mul_f32_e32 v58, v73, v65
	v_fma_f32 v59, v36, v62, -v59
	v_fmac_f32_e32 v61, v37, v62
	v_fma_f32 v36, v36, v64, -v86
	v_dual_mul_f32 v37, v39, v67 :: v_dual_fmac_f32 v60, v73, v64
	v_dual_mul_f32 v63, v38, v67 :: v_dual_mul_f32 v86, v40, v81
	v_mul_f32_e32 v65, v39, v69
	v_fma_f32 v54, v72, v62, -v54
	v_fmac_f32_e32 v55, v73, v62
	v_fma_f32 v58, v72, v64, -v58
	v_mul_f32_e32 v72, v40, v79
	v_mul_f32_e32 v62, v75, v67
	v_dual_mul_f32 v64, v74, v67 :: v_dual_mul_f32 v67, v75, v69
	v_dual_mul_f32 v69, v74, v69 :: v_dual_fmac_f32 v70, v39, v68
	s_delay_alu instid0(VALU_DEP_2)
	v_dual_mul_f32 v71, v41, v79 :: v_dual_fmac_f32 v64, v75, v66
	v_fma_f32 v37, v38, v66, -v37
	v_fmac_f32_e32 v63, v39, v66
	v_fma_f32 v39, v74, v66, -v62
	v_dual_mul_f32 v66, v76, v79 :: v_dual_mul_f32 v73, v41, v81
	v_add_f32_e32 v8, v8, v83
	v_fma_f32 v38, v38, v68, -v65
	v_fma_f32 v62, v74, v68, -v67
	v_dual_fmac_f32 v69, v75, v68 :: v_dual_fmac_f32 v72, v41, v78
	v_dual_mul_f32 v65, v77, v79 :: v_dual_add_f32 v6, v6, v85
	v_dual_mul_f32 v67, v77, v81 :: v_dual_add_f32 v4, v4, v19
	v_mul_f32_e32 v68, v76, v81
	v_dual_fmac_f32 v86, v41, v80 :: v_dual_add_f32 v7, v7, v82
	v_dual_fmac_f32 v66, v77, v78 :: v_dual_add_f32 v3, v3, v23
	v_dual_add_f32 v5, v5, v22 :: v_dual_add_f32 v2, v2, v21
	v_dual_add_f32 v1, v1, v18 :: v_dual_add_f32 v8, v8, v89
	s_delay_alu instid0(VALU_DEP_4) | instskip(NEXT) | instid1(VALU_DEP_3)
	v_dual_fmac_f32 v68, v77, v80 :: v_dual_add_f32 v7, v7, v45
	v_dual_add_f32 v5, v5, v24 :: v_dual_add_f32 v6, v6, v91
	v_dual_add_f32 v3, v3, v20 :: v_dual_add_f32 v4, v4, v26
	s_delay_alu instid0(VALU_DEP_4) | instskip(NEXT) | instid1(VALU_DEP_4)
	v_dual_add_f32 v1, v1, v27 :: v_dual_add_f32 v8, v8, v84
	v_dual_add_f32 v2, v2, v43 :: v_dual_add_f32 v7, v7, v25
	s_delay_alu instid0(VALU_DEP_4) | instskip(NEXT) | instid1(VALU_DEP_4)
	v_dual_add_f32 v5, v5, v30 :: v_dual_add_f32 v6, v6, v87
	v_dual_add_f32 v3, v3, v28 :: v_dual_add_f32 v4, v4, v29
	s_delay_alu instid0(VALU_DEP_3) | instskip(NEXT) | instid1(VALU_DEP_4)
	v_dual_add_f32 v1, v1, v31 :: v_dual_add_f32 v2, v2, v44
	v_dual_add_f32 v7, v7, v47 :: v_dual_add_f32 v8, v8, v49
	s_delay_alu instid0(VALU_DEP_4) | instskip(NEXT) | instid1(VALU_DEP_4)
	v_dual_add_f32 v5, v5, v32 :: v_dual_add_f32 v6, v6, v90
	v_add_f32_e32 v3, v3, v42
	s_delay_alu instid0(VALU_DEP_4) | instskip(NEXT) | instid1(VALU_DEP_4)
	v_dual_add_f32 v4, v4, v46 :: v_dual_add_f32 v1, v1, v48
	v_dual_add_f32 v2, v2, v50 :: v_dual_add_f32 v7, v7, v33
	s_delay_alu instid0(VALU_DEP_4) | instskip(NEXT) | instid1(VALU_DEP_4)
	v_dual_add_f32 v8, v8, v51 :: v_dual_add_f32 v5, v5, v34
	v_dual_add_f32 v6, v6, v57 :: v_dual_add_f32 v3, v3, v35
	s_delay_alu instid0(VALU_DEP_4) | instskip(NEXT) | instid1(VALU_DEP_3)
	v_dual_add_f32 v4, v4, v53 :: v_dual_add_f32 v1, v1, v52
	v_add_f32_e32 v8, v8, v61
	v_dual_add_f32 v2, v2, v56 :: v_dual_add_f32 v7, v7, v59
	s_delay_alu instid0(VALU_DEP_3) | instskip(SKIP_1) | instid1(VALU_DEP_3)
	v_dual_add_f32 v5, v5, v36 :: v_dual_add_f32 v4, v4, v55
	v_dual_add_f32 v6, v6, v88 :: v_dual_add_f32 v3, v3, v54
	;; [unrolled: 1-line block ×3, first 2 shown]
	v_fma_f32 v71, v40, v78, -v71
	v_fma_f32 v40, v40, v80, -v73
	;; [unrolled: 1-line block ×4, first 2 shown]
	v_dual_add_f32 v7, v7, v37 :: v_dual_add_f32 v8, v8, v63
	v_dual_add_f32 v5, v5, v38 :: v_dual_add_f32 v4, v4, v64
	;; [unrolled: 1-line block ×4, first 2 shown]
	s_delay_alu instid0(VALU_DEP_4) | instskip(NEXT) | instid1(VALU_DEP_3)
	v_dual_add_f32 v7, v7, v71 :: v_dual_add_f32 v8, v8, v72
	v_dual_add_f32 v5, v5, v40 :: v_dual_add_f32 v6, v6, v86
	s_delay_alu instid0(VALU_DEP_4) | instskip(NEXT) | instid1(VALU_DEP_4)
	v_dual_add_f32 v3, v3, v41 :: v_dual_add_f32 v4, v4, v66
	v_dual_add_f32 v1, v1, v65 :: v_dual_add_f32 v2, v2, v68
	s_cbranch_vccz .LBB1092_2
.LBB1092_3:
	s_load_b128 s[4:7], s[0:1], 0x48
	v_add_nc_u32_e32 v0, s9, v0
	s_load_b32 s9, s[0:1], 0x0
	s_delay_alu instid0(VALU_DEP_1) | instskip(SKIP_1) | instid1(VALU_DEP_1)
	v_ashrrev_i32_e32 v9, 31, v0
	s_waitcnt lgkmcnt(0)
	v_mul_lo_u32 v12, v9, s4
	v_mul_lo_u32 v14, v0, s5
	v_mad_u64_u32 v[10:11], null, v0, s4, 0
	s_mul_i32 s1, s15, s7
	s_mul_hi_u32 s3, s15, s6
	s_mul_i32 s2, s15, s6
	s_add_i32 s3, s3, s1
	v_add_nc_u32_e32 v9, s8, v13
	s_lshl_b64 s[2:3], s[2:3], 3
	s_delay_alu instid0(VALU_DEP_2)
	v_add3_u32 v11, v11, v14, v12
	s_add_u32 s2, s30, s2
	s_addc_u32 s3, s31, s3
	v_cmp_le_i32_e64 s0, v0, v9
	v_cmp_gt_i32_e32 vcc_lo, s9, v9
	v_lshlrev_b64 v[11:12], 3, v[10:11]
	s_delay_alu instid0(VALU_DEP_3) | instskip(NEXT) | instid1(VALU_DEP_1)
	s_and_b32 s0, s0, vcc_lo
	v_add_co_u32 v11, s1, s2, v11
	s_delay_alu instid0(VALU_DEP_1)
	v_add_co_ci_u32_e64 v12, s1, s3, v12, s1
	s_and_saveexec_b32 s1, s0
	s_cbranch_execz .LBB1092_5
; %bb.4:
	v_ashrrev_i32_e32 v10, 31, v9
	s_delay_alu instid0(VALU_DEP_1) | instskip(NEXT) | instid1(VALU_DEP_1)
	v_lshlrev_b64 v[13:14], 3, v[9:10]
	v_add_co_u32 v13, s0, v11, v13
	s_delay_alu instid0(VALU_DEP_1)
	v_add_co_ci_u32_e64 v14, s0, v12, v14, s0
	global_store_b64 v[13:14], v[7:8], off
.LBB1092_5:
	s_or_b32 exec_lo, exec_lo, s1
	v_add_nc_u32_e32 v7, 16, v9
	s_delay_alu instid0(VALU_DEP_1) | instskip(SKIP_1) | instid1(VALU_DEP_1)
	v_cmp_le_i32_e64 s1, v0, v7
	v_cmp_gt_i32_e64 s0, s9, v7
	s_and_b32 s1, s1, s0
	s_delay_alu instid0(SALU_CYCLE_1)
	s_and_saveexec_b32 s6, s1
	s_cbranch_execz .LBB1092_7
; %bb.6:
	v_ashrrev_i32_e32 v8, 31, v7
	s_delay_alu instid0(VALU_DEP_1) | instskip(NEXT) | instid1(VALU_DEP_1)
	v_lshlrev_b64 v[13:14], 3, v[7:8]
	v_add_co_u32 v10, s1, v11, v13
	s_delay_alu instid0(VALU_DEP_1)
	v_add_co_ci_u32_e64 v11, s1, v12, v14, s1
	global_store_b64 v[10:11], v[5:6], off
.LBB1092_7:
	s_or_b32 exec_lo, exec_lo, s6
	v_add_nc_u32_e32 v0, 16, v0
	s_delay_alu instid0(VALU_DEP_1) | instskip(SKIP_3) | instid1(VALU_DEP_4)
	v_ashrrev_i32_e32 v8, 31, v0
	v_mul_lo_u32 v10, v0, s5
	v_mad_u64_u32 v[5:6], null, v0, s4, 0
	v_cmp_le_i32_e64 s1, v0, v9
	v_mul_lo_u32 v8, v8, s4
	s_delay_alu instid0(VALU_DEP_1) | instskip(NEXT) | instid1(VALU_DEP_1)
	v_add3_u32 v6, v6, v10, v8
	v_lshlrev_b64 v[5:6], 3, v[5:6]
	s_delay_alu instid0(VALU_DEP_1) | instskip(NEXT) | instid1(VALU_DEP_1)
	v_add_co_u32 v5, s2, s2, v5
	v_add_co_ci_u32_e64 v6, s2, s3, v6, s2
	s_and_b32 s2, s1, vcc_lo
	s_delay_alu instid0(SALU_CYCLE_1)
	s_and_saveexec_b32 s1, s2
	s_cbranch_execz .LBB1092_9
; %bb.8:
	v_ashrrev_i32_e32 v10, 31, v9
	s_delay_alu instid0(VALU_DEP_1) | instskip(NEXT) | instid1(VALU_DEP_1)
	v_lshlrev_b64 v[8:9], 3, v[9:10]
	v_add_co_u32 v8, vcc_lo, v5, v8
	s_delay_alu instid0(VALU_DEP_2)
	v_add_co_ci_u32_e32 v9, vcc_lo, v6, v9, vcc_lo
	global_store_b64 v[8:9], v[3:4], off
.LBB1092_9:
	s_or_b32 exec_lo, exec_lo, s1
	v_cmp_le_i32_e32 vcc_lo, v0, v7
	s_and_b32 s0, vcc_lo, s0
	s_delay_alu instid0(SALU_CYCLE_1)
	s_and_saveexec_b32 s1, s0
	s_cbranch_execz .LBB1092_11
; %bb.10:
	v_ashrrev_i32_e32 v8, 31, v7
	s_delay_alu instid0(VALU_DEP_1) | instskip(NEXT) | instid1(VALU_DEP_1)
	v_lshlrev_b64 v[3:4], 3, v[7:8]
	v_add_co_u32 v3, vcc_lo, v5, v3
	s_delay_alu instid0(VALU_DEP_2)
	v_add_co_ci_u32_e32 v4, vcc_lo, v6, v4, vcc_lo
	global_store_b64 v[3:4], v[1:2], off
.LBB1092_11:
	s_nop 0
	s_sendmsg sendmsg(MSG_DEALLOC_VGPRS)
	s_endpgm
	.section	.rodata,"a",@progbits
	.p2align	6, 0x0
	.amdhsa_kernel _ZL37rocblas_syrkx_herkx_restricted_kernelIl19rocblas_complex_numIfELi16ELi32ELi8ELi1ELi0ELb0ELc84ELc76EKS1_S1_EviT_PT9_S3_lS5_S3_lPT10_S3_li
		.amdhsa_group_segment_fixed_size 4096
		.amdhsa_private_segment_fixed_size 0
		.amdhsa_kernarg_size 92
		.amdhsa_user_sgpr_count 13
		.amdhsa_user_sgpr_dispatch_ptr 0
		.amdhsa_user_sgpr_queue_ptr 0
		.amdhsa_user_sgpr_kernarg_segment_ptr 1
		.amdhsa_user_sgpr_dispatch_id 0
		.amdhsa_user_sgpr_private_segment_size 0
		.amdhsa_wavefront_size32 1
		.amdhsa_uses_dynamic_stack 0
		.amdhsa_enable_private_segment 0
		.amdhsa_system_sgpr_workgroup_id_x 1
		.amdhsa_system_sgpr_workgroup_id_y 1
		.amdhsa_system_sgpr_workgroup_id_z 1
		.amdhsa_system_sgpr_workgroup_info 0
		.amdhsa_system_vgpr_workitem_id 1
		.amdhsa_next_free_vgpr 92
		.amdhsa_next_free_sgpr 32
		.amdhsa_reserve_vcc 1
		.amdhsa_float_round_mode_32 0
		.amdhsa_float_round_mode_16_64 0
		.amdhsa_float_denorm_mode_32 3
		.amdhsa_float_denorm_mode_16_64 3
		.amdhsa_dx10_clamp 1
		.amdhsa_ieee_mode 1
		.amdhsa_fp16_overflow 0
		.amdhsa_workgroup_processor_mode 1
		.amdhsa_memory_ordered 1
		.amdhsa_forward_progress 0
		.amdhsa_shared_vgpr_count 0
		.amdhsa_exception_fp_ieee_invalid_op 0
		.amdhsa_exception_fp_denorm_src 0
		.amdhsa_exception_fp_ieee_div_zero 0
		.amdhsa_exception_fp_ieee_overflow 0
		.amdhsa_exception_fp_ieee_underflow 0
		.amdhsa_exception_fp_ieee_inexact 0
		.amdhsa_exception_int_div_zero 0
	.end_amdhsa_kernel
	.section	.text._ZL37rocblas_syrkx_herkx_restricted_kernelIl19rocblas_complex_numIfELi16ELi32ELi8ELi1ELi0ELb0ELc84ELc76EKS1_S1_EviT_PT9_S3_lS5_S3_lPT10_S3_li,"axG",@progbits,_ZL37rocblas_syrkx_herkx_restricted_kernelIl19rocblas_complex_numIfELi16ELi32ELi8ELi1ELi0ELb0ELc84ELc76EKS1_S1_EviT_PT9_S3_lS5_S3_lPT10_S3_li,comdat
.Lfunc_end1092:
	.size	_ZL37rocblas_syrkx_herkx_restricted_kernelIl19rocblas_complex_numIfELi16ELi32ELi8ELi1ELi0ELb0ELc84ELc76EKS1_S1_EviT_PT9_S3_lS5_S3_lPT10_S3_li, .Lfunc_end1092-_ZL37rocblas_syrkx_herkx_restricted_kernelIl19rocblas_complex_numIfELi16ELi32ELi8ELi1ELi0ELb0ELc84ELc76EKS1_S1_EviT_PT9_S3_lS5_S3_lPT10_S3_li
                                        ; -- End function
	.section	.AMDGPU.csdata,"",@progbits
; Kernel info:
; codeLenInByte = 2116
; NumSgprs: 34
; NumVgprs: 92
; ScratchSize: 0
; MemoryBound: 0
; FloatMode: 240
; IeeeMode: 1
; LDSByteSize: 4096 bytes/workgroup (compile time only)
; SGPRBlocks: 4
; VGPRBlocks: 11
; NumSGPRsForWavesPerEU: 34
; NumVGPRsForWavesPerEU: 92
; Occupancy: 16
; WaveLimiterHint : 1
; COMPUTE_PGM_RSRC2:SCRATCH_EN: 0
; COMPUTE_PGM_RSRC2:USER_SGPR: 13
; COMPUTE_PGM_RSRC2:TRAP_HANDLER: 0
; COMPUTE_PGM_RSRC2:TGID_X_EN: 1
; COMPUTE_PGM_RSRC2:TGID_Y_EN: 1
; COMPUTE_PGM_RSRC2:TGID_Z_EN: 1
; COMPUTE_PGM_RSRC2:TIDIG_COMP_CNT: 1
	.section	.text._ZL37rocblas_syrkx_herkx_restricted_kernelIl19rocblas_complex_numIfELi16ELi32ELi8ELi1ELi0ELb0ELc67ELc76EKS1_S1_EviT_PT9_S3_lS5_S3_lPT10_S3_li,"axG",@progbits,_ZL37rocblas_syrkx_herkx_restricted_kernelIl19rocblas_complex_numIfELi16ELi32ELi8ELi1ELi0ELb0ELc67ELc76EKS1_S1_EviT_PT9_S3_lS5_S3_lPT10_S3_li,comdat
	.globl	_ZL37rocblas_syrkx_herkx_restricted_kernelIl19rocblas_complex_numIfELi16ELi32ELi8ELi1ELi0ELb0ELc67ELc76EKS1_S1_EviT_PT9_S3_lS5_S3_lPT10_S3_li ; -- Begin function _ZL37rocblas_syrkx_herkx_restricted_kernelIl19rocblas_complex_numIfELi16ELi32ELi8ELi1ELi0ELb0ELc67ELc76EKS1_S1_EviT_PT9_S3_lS5_S3_lPT10_S3_li
	.p2align	8
	.type	_ZL37rocblas_syrkx_herkx_restricted_kernelIl19rocblas_complex_numIfELi16ELi32ELi8ELi1ELi0ELb0ELc67ELc76EKS1_S1_EviT_PT9_S3_lS5_S3_lPT10_S3_li,@function
_ZL37rocblas_syrkx_herkx_restricted_kernelIl19rocblas_complex_numIfELi16ELi32ELi8ELi1ELi0ELb0ELc67ELc76EKS1_S1_EviT_PT9_S3_lS5_S3_lPT10_S3_li: ; @_ZL37rocblas_syrkx_herkx_restricted_kernelIl19rocblas_complex_numIfELi16ELi32ELi8ELi1ELi0ELb0ELc67ELc76EKS1_S1_EviT_PT9_S3_lS5_S3_lPT10_S3_li
; %bb.0:
	s_load_b512 s[16:31], s[0:1], 0x8
	v_dual_mov_b32 v7, 0 :: v_dual_mov_b32 v8, 0
	v_dual_mov_b32 v5, 0 :: v_dual_mov_b32 v6, 0
	;; [unrolled: 1-line block ×4, first 2 shown]
	v_and_b32_e32 v13, 0x3ff, v0
	v_bfe_u32 v0, v0, 10, 10
	s_lshl_b32 s8, s13, 5
	s_lshl_b32 s9, s14, 5
	s_waitcnt lgkmcnt(0)
	v_cmp_lt_i64_e64 s2, s[16:17], 1
	s_delay_alu instid0(VALU_DEP_1)
	s_and_b32 vcc_lo, exec_lo, s2
	s_cbranch_vccnz .LBB1093_3
; %bb.1:
	v_lshl_add_u32 v3, v0, 4, v13
	v_dual_mov_b32 v2, 0 :: v_dual_and_b32 v1, 7, v13
	s_mul_i32 s3, s23, s15
	s_mul_hi_u32 s4, s22, s15
	s_delay_alu instid0(VALU_DEP_2)
	v_and_b32_e32 v9, 31, v3
	v_lshrrev_b32_e32 v10, 3, v3
	v_mov_b32_e32 v4, v2
	v_lshrrev_b32_e32 v3, 5, v3
	v_lshlrev_b32_e32 v12, 3, v1
	v_add_nc_u32_e32 v7, s8, v9
	v_add_nc_u32_e32 v11, s9, v10
	v_lshlrev_b32_e32 v9, 3, v9
	s_mul_i32 s2, s22, s15
	s_add_i32 s3, s4, s3
	v_ashrrev_i32_e32 v8, 31, v7
	v_ashrrev_i32_e32 v15, 31, v11
	v_mad_u64_u32 v[5:6], null, s20, v7, v[3:4]
	v_mul_lo_u32 v4, s21, v7
	s_delay_alu instid0(VALU_DEP_4)
	v_mul_lo_u32 v16, s20, v8
	v_mul_lo_u32 v17, v11, s27
	v_mad_u64_u32 v[7:8], null, v11, s26, v[1:2]
	v_mul_lo_u32 v1, v15, s26
	s_lshl_b64 s[2:3], s[2:3], 3
	v_lshl_or_b32 v15, v3, 8, v9
	s_add_u32 s4, s18, s2
	v_add3_u32 v6, v4, v6, v16
	s_mul_i32 s2, s29, s15
	s_mul_hi_u32 s5, s28, s15
	s_addc_u32 s6, s19, s3
	v_add3_u32 v8, v1, v8, v17
	v_lshlrev_b64 v[3:4], 3, v[5:6]
	s_add_i32 s3, s5, s2
	s_mul_i32 s2, s28, s15
	v_lshl_or_b32 v10, v10, 6, v12
	v_lshlrev_b64 v[5:6], 3, v[7:8]
	v_mov_b32_e32 v8, v2
	s_lshl_b64 s[2:3], s[2:3], 3
	v_add_co_u32 v1, vcc_lo, s4, v3
	s_add_u32 s2, s24, s2
	v_add_co_ci_u32_e32 v3, vcc_lo, s6, v4, vcc_lo
	s_addc_u32 s3, s25, s3
	v_add_co_u32 v4, vcc_lo, s2, v5
	v_add_co_ci_u32_e32 v5, vcc_lo, s3, v6, vcc_lo
	v_add_co_u32 v9, vcc_lo, v1, 4
	v_add_nc_u32_e32 v16, 0x800, v10
	v_add_co_ci_u32_e32 v10, vcc_lo, 0, v3, vcc_lo
	v_add_co_u32 v11, vcc_lo, v4, 4
	v_dual_mov_b32 v1, v2 :: v_dual_lshlrev_b32 v14, 3, v13
	v_lshl_add_u32 v17, v0, 6, 0x800
	v_add_co_ci_u32_e32 v12, vcc_lo, 0, v5, vcc_lo
	v_mov_b32_e32 v4, v2
	v_mov_b32_e32 v3, v2
	;; [unrolled: 1-line block ×5, first 2 shown]
	s_mov_b64 s[2:3], 0
.LBB1093_2:                             ; =>This Inner Loop Header: Depth=1
	global_load_b64 v[18:19], v[9:10], off offset:-4
	global_load_b64 v[20:21], v[11:12], off offset:-4
	s_add_u32 s2, s2, 8
	v_add_co_u32 v9, vcc_lo, v9, 64
	s_addc_u32 s3, s3, 0
	v_add_co_ci_u32_e32 v10, vcc_lo, 0, v10, vcc_lo
	v_cmp_ge_u64_e64 s4, s[2:3], s[16:17]
	v_add_co_u32 v11, vcc_lo, v11, 64
	v_add_co_ci_u32_e32 v12, vcc_lo, 0, v12, vcc_lo
	s_waitcnt vmcnt(1)
	ds_store_b64 v15, v[18:19]
	s_waitcnt vmcnt(0)
	ds_store_b64 v16, v[20:21]
	s_waitcnt lgkmcnt(0)
	s_barrier
	buffer_gl0_inv
	ds_load_2addr_b64 v[18:21], v14 offset1:16
	ds_load_b128 v[22:25], v17
	ds_load_b128 v[26:29], v17 offset:1024
	ds_load_b128 v[30:33], v17 offset:16
	;; [unrolled: 1-line block ×4, first 2 shown]
	ds_load_2addr_b64 v[42:45], v14 offset0:32 offset1:48
	ds_load_2addr_b64 v[46:49], v14 offset0:64 offset1:80
	ds_load_b128 v[50:53], v17 offset:1040
	ds_load_2addr_b64 v[54:57], v14 offset0:96 offset1:112
	ds_load_2addr_b64 v[58:61], v14 offset0:128 offset1:144
	;; [unrolled: 1-line block ×4, first 2 shown]
	ds_load_b128 v[70:73], v17 offset:1056
	ds_load_b128 v[74:77], v17 offset:1072
	ds_load_2addr_b64 v[78:81], v14 offset0:224 offset1:240
	s_and_b32 vcc_lo, exec_lo, s4
	s_waitcnt lgkmcnt(0)
	s_barrier
	buffer_gl0_inv
	v_dual_mul_f32 v82, v23, v19 :: v_dual_mul_f32 v85, v22, v21
	v_dual_mul_f32 v83, v22, v19 :: v_dual_mul_f32 v84, v23, v21
	v_mul_f32_e32 v86, v27, v19
	v_dual_mul_f32 v19, v26, v19 :: v_dual_mul_f32 v90, v25, v45
	v_dual_mul_f32 v87, v27, v21 :: v_dual_mul_f32 v88, v25, v43
	v_mul_f32_e32 v21, v26, v21
	v_mul_f32_e32 v89, v24, v43
	v_mul_f32_e32 v91, v24, v45
	v_fma_f32 v82, v22, v18, -v82
	v_fmac_f32_e32 v83, v23, v18
	v_fma_f32 v22, v22, v20, -v84
	v_dual_fmac_f32 v85, v23, v20 :: v_dual_mul_f32 v84, v30, v47
	v_fma_f32 v23, v26, v18, -v86
	v_fmac_f32_e32 v19, v27, v18
	v_fma_f32 v18, v26, v20, -v87
	v_dual_mul_f32 v26, v28, v43 :: v_dual_fmac_f32 v21, v27, v20
	v_mul_f32_e32 v20, v29, v43
	v_mul_f32_e32 v27, v29, v45
	v_dual_mul_f32 v43, v28, v45 :: v_dual_fmac_f32 v84, v31, v46
	v_fma_f32 v45, v24, v42, -v88
	v_fma_f32 v24, v24, v44, -v90
	v_dual_fmac_f32 v91, v25, v44 :: v_dual_mul_f32 v90, v32, v57
	v_dual_mul_f32 v86, v31, v49 :: v_dual_fmac_f32 v89, v25, v42
	v_dual_mul_f32 v25, v31, v47 :: v_dual_mul_f32 v88, v33, v57
	v_fma_f32 v20, v28, v42, -v20
	v_fmac_f32_e32 v26, v29, v42
	v_fma_f32 v27, v28, v44, -v27
	v_dual_fmac_f32 v43, v29, v44 :: v_dual_mul_f32 v28, v51, v47
	v_dual_mul_f32 v29, v50, v47 :: v_dual_mul_f32 v42, v51, v49
	v_mul_f32_e32 v44, v50, v49
	v_mul_f32_e32 v87, v30, v49
	;; [unrolled: 1-line block ×3, first 2 shown]
	v_dual_mul_f32 v49, v32, v55 :: v_dual_fmac_f32 v90, v33, v56
	v_fma_f32 v25, v30, v46, -v25
	v_fma_f32 v30, v30, v48, -v86
	;; [unrolled: 1-line block ×3, first 2 shown]
	v_fmac_f32_e32 v44, v51, v48
	v_fmac_f32_e32 v87, v31, v48
	v_fma_f32 v31, v50, v48, -v42
	v_mul_f32_e32 v42, v53, v55
	v_mul_f32_e32 v48, v53, v57
	v_dual_mul_f32 v50, v52, v57 :: v_dual_fmac_f32 v29, v51, v46
	v_mul_f32_e32 v46, v52, v55
	v_fma_f32 v47, v32, v54, -v47
	v_fmac_f32_e32 v49, v33, v54
	v_fma_f32 v32, v32, v56, -v88
	s_delay_alu instid0(VALU_DEP_4)
	v_dual_mul_f32 v33, v35, v59 :: v_dual_fmac_f32 v46, v53, v54
	v_mul_f32_e32 v51, v34, v59
	v_mul_f32_e32 v55, v35, v61
	v_fma_f32 v42, v52, v54, -v42
	v_fma_f32 v48, v52, v56, -v48
	v_fmac_f32_e32 v50, v53, v56
	v_mul_f32_e32 v52, v71, v59
	v_dual_mul_f32 v53, v70, v59 :: v_dual_mul_f32 v86, v37, v65
	v_mul_f32_e32 v54, v71, v61
	v_dual_mul_f32 v56, v70, v61 :: v_dual_mul_f32 v59, v37, v63
	v_mul_f32_e32 v57, v34, v61
	v_mul_f32_e32 v61, v36, v63
	v_dual_mul_f32 v88, v36, v65 :: v_dual_fmac_f32 v51, v35, v58
	v_fma_f32 v33, v34, v58, -v33
	v_fmac_f32_e32 v53, v71, v58
	v_fmac_f32_e32 v56, v71, v60
	s_delay_alu instid0(VALU_DEP_4)
	v_fmac_f32_e32 v88, v37, v64
	v_fmac_f32_e32 v57, v35, v60
	v_fma_f32 v35, v70, v58, -v52
	v_fma_f32 v52, v70, v60, -v54
	v_mul_f32_e32 v54, v73, v63
	v_fma_f32 v34, v34, v60, -v55
	v_mul_f32_e32 v60, v72, v65
	v_dual_mul_f32 v55, v72, v63 :: v_dual_mul_f32 v70, v38, v69
	v_mul_f32_e32 v58, v73, v65
	v_fma_f32 v59, v36, v62, -v59
	v_fmac_f32_e32 v61, v37, v62
	v_fma_f32 v36, v36, v64, -v86
	v_dual_mul_f32 v37, v39, v67 :: v_dual_fmac_f32 v60, v73, v64
	v_dual_mul_f32 v63, v38, v67 :: v_dual_mul_f32 v86, v40, v81
	v_mul_f32_e32 v65, v39, v69
	v_fma_f32 v54, v72, v62, -v54
	v_fmac_f32_e32 v55, v73, v62
	v_fma_f32 v58, v72, v64, -v58
	v_mul_f32_e32 v72, v40, v79
	v_mul_f32_e32 v62, v75, v67
	v_dual_mul_f32 v64, v74, v67 :: v_dual_mul_f32 v67, v75, v69
	v_dual_mul_f32 v69, v74, v69 :: v_dual_fmac_f32 v70, v39, v68
	s_delay_alu instid0(VALU_DEP_2)
	v_dual_mul_f32 v71, v41, v79 :: v_dual_fmac_f32 v64, v75, v66
	v_fma_f32 v37, v38, v66, -v37
	v_fmac_f32_e32 v63, v39, v66
	v_fma_f32 v39, v74, v66, -v62
	v_dual_mul_f32 v66, v76, v79 :: v_dual_mul_f32 v73, v41, v81
	v_add_f32_e32 v8, v8, v83
	v_fma_f32 v38, v38, v68, -v65
	v_fma_f32 v62, v74, v68, -v67
	v_dual_fmac_f32 v69, v75, v68 :: v_dual_fmac_f32 v72, v41, v78
	v_dual_mul_f32 v65, v77, v79 :: v_dual_add_f32 v6, v6, v85
	v_dual_mul_f32 v67, v77, v81 :: v_dual_add_f32 v4, v4, v19
	v_mul_f32_e32 v68, v76, v81
	v_dual_fmac_f32 v86, v41, v80 :: v_dual_add_f32 v7, v7, v82
	v_dual_fmac_f32 v66, v77, v78 :: v_dual_add_f32 v3, v3, v23
	v_dual_add_f32 v5, v5, v22 :: v_dual_add_f32 v2, v2, v21
	v_dual_add_f32 v1, v1, v18 :: v_dual_add_f32 v8, v8, v89
	s_delay_alu instid0(VALU_DEP_4) | instskip(NEXT) | instid1(VALU_DEP_3)
	v_dual_fmac_f32 v68, v77, v80 :: v_dual_add_f32 v7, v7, v45
	v_dual_add_f32 v5, v5, v24 :: v_dual_add_f32 v6, v6, v91
	v_dual_add_f32 v3, v3, v20 :: v_dual_add_f32 v4, v4, v26
	s_delay_alu instid0(VALU_DEP_4) | instskip(NEXT) | instid1(VALU_DEP_4)
	v_dual_add_f32 v1, v1, v27 :: v_dual_add_f32 v8, v8, v84
	v_dual_add_f32 v2, v2, v43 :: v_dual_add_f32 v7, v7, v25
	s_delay_alu instid0(VALU_DEP_4) | instskip(NEXT) | instid1(VALU_DEP_4)
	v_dual_add_f32 v5, v5, v30 :: v_dual_add_f32 v6, v6, v87
	v_dual_add_f32 v3, v3, v28 :: v_dual_add_f32 v4, v4, v29
	s_delay_alu instid0(VALU_DEP_3) | instskip(NEXT) | instid1(VALU_DEP_4)
	v_dual_add_f32 v1, v1, v31 :: v_dual_add_f32 v2, v2, v44
	v_dual_add_f32 v7, v7, v47 :: v_dual_add_f32 v8, v8, v49
	s_delay_alu instid0(VALU_DEP_4) | instskip(NEXT) | instid1(VALU_DEP_4)
	v_dual_add_f32 v5, v5, v32 :: v_dual_add_f32 v6, v6, v90
	v_add_f32_e32 v3, v3, v42
	s_delay_alu instid0(VALU_DEP_4) | instskip(NEXT) | instid1(VALU_DEP_4)
	v_dual_add_f32 v4, v4, v46 :: v_dual_add_f32 v1, v1, v48
	v_dual_add_f32 v2, v2, v50 :: v_dual_add_f32 v7, v7, v33
	s_delay_alu instid0(VALU_DEP_4) | instskip(NEXT) | instid1(VALU_DEP_4)
	v_dual_add_f32 v8, v8, v51 :: v_dual_add_f32 v5, v5, v34
	v_dual_add_f32 v6, v6, v57 :: v_dual_add_f32 v3, v3, v35
	s_delay_alu instid0(VALU_DEP_4) | instskip(NEXT) | instid1(VALU_DEP_3)
	v_dual_add_f32 v4, v4, v53 :: v_dual_add_f32 v1, v1, v52
	v_add_f32_e32 v8, v8, v61
	v_dual_add_f32 v2, v2, v56 :: v_dual_add_f32 v7, v7, v59
	s_delay_alu instid0(VALU_DEP_3) | instskip(SKIP_1) | instid1(VALU_DEP_3)
	v_dual_add_f32 v5, v5, v36 :: v_dual_add_f32 v4, v4, v55
	v_dual_add_f32 v6, v6, v88 :: v_dual_add_f32 v3, v3, v54
	v_dual_add_f32 v1, v1, v58 :: v_dual_add_f32 v2, v2, v60
	v_fma_f32 v71, v40, v78, -v71
	v_fma_f32 v40, v40, v80, -v73
	;; [unrolled: 1-line block ×4, first 2 shown]
	v_dual_add_f32 v7, v7, v37 :: v_dual_add_f32 v8, v8, v63
	v_dual_add_f32 v5, v5, v38 :: v_dual_add_f32 v4, v4, v64
	;; [unrolled: 1-line block ×4, first 2 shown]
	s_delay_alu instid0(VALU_DEP_4) | instskip(NEXT) | instid1(VALU_DEP_3)
	v_dual_add_f32 v7, v7, v71 :: v_dual_add_f32 v8, v8, v72
	v_dual_add_f32 v5, v5, v40 :: v_dual_add_f32 v6, v6, v86
	s_delay_alu instid0(VALU_DEP_4) | instskip(NEXT) | instid1(VALU_DEP_4)
	v_dual_add_f32 v3, v3, v41 :: v_dual_add_f32 v4, v4, v66
	v_dual_add_f32 v1, v1, v65 :: v_dual_add_f32 v2, v2, v68
	s_cbranch_vccz .LBB1093_2
.LBB1093_3:
	s_load_b128 s[4:7], s[0:1], 0x48
	v_add_nc_u32_e32 v0, s9, v0
	s_load_b32 s9, s[0:1], 0x0
	s_delay_alu instid0(VALU_DEP_1) | instskip(SKIP_1) | instid1(VALU_DEP_1)
	v_ashrrev_i32_e32 v9, 31, v0
	s_waitcnt lgkmcnt(0)
	v_mul_lo_u32 v12, v9, s4
	v_mul_lo_u32 v14, v0, s5
	v_mad_u64_u32 v[10:11], null, v0, s4, 0
	s_mul_i32 s1, s15, s7
	s_mul_hi_u32 s3, s15, s6
	s_mul_i32 s2, s15, s6
	s_add_i32 s3, s3, s1
	v_add_nc_u32_e32 v9, s8, v13
	s_lshl_b64 s[2:3], s[2:3], 3
	s_delay_alu instid0(VALU_DEP_2)
	v_add3_u32 v11, v11, v14, v12
	s_add_u32 s2, s30, s2
	s_addc_u32 s3, s31, s3
	v_cmp_le_i32_e64 s0, v0, v9
	v_cmp_gt_i32_e32 vcc_lo, s9, v9
	v_lshlrev_b64 v[11:12], 3, v[10:11]
	s_delay_alu instid0(VALU_DEP_3) | instskip(NEXT) | instid1(VALU_DEP_1)
	s_and_b32 s0, s0, vcc_lo
	v_add_co_u32 v11, s1, s2, v11
	s_delay_alu instid0(VALU_DEP_1)
	v_add_co_ci_u32_e64 v12, s1, s3, v12, s1
	s_and_saveexec_b32 s1, s0
	s_cbranch_execz .LBB1093_5
; %bb.4:
	v_ashrrev_i32_e32 v10, 31, v9
	s_delay_alu instid0(VALU_DEP_1) | instskip(NEXT) | instid1(VALU_DEP_1)
	v_lshlrev_b64 v[13:14], 3, v[9:10]
	v_add_co_u32 v13, s0, v11, v13
	s_delay_alu instid0(VALU_DEP_1)
	v_add_co_ci_u32_e64 v14, s0, v12, v14, s0
	global_store_b64 v[13:14], v[7:8], off
.LBB1093_5:
	s_or_b32 exec_lo, exec_lo, s1
	v_add_nc_u32_e32 v7, 16, v9
	s_delay_alu instid0(VALU_DEP_1) | instskip(SKIP_1) | instid1(VALU_DEP_1)
	v_cmp_le_i32_e64 s1, v0, v7
	v_cmp_gt_i32_e64 s0, s9, v7
	s_and_b32 s1, s1, s0
	s_delay_alu instid0(SALU_CYCLE_1)
	s_and_saveexec_b32 s6, s1
	s_cbranch_execz .LBB1093_7
; %bb.6:
	v_ashrrev_i32_e32 v8, 31, v7
	s_delay_alu instid0(VALU_DEP_1) | instskip(NEXT) | instid1(VALU_DEP_1)
	v_lshlrev_b64 v[13:14], 3, v[7:8]
	v_add_co_u32 v10, s1, v11, v13
	s_delay_alu instid0(VALU_DEP_1)
	v_add_co_ci_u32_e64 v11, s1, v12, v14, s1
	global_store_b64 v[10:11], v[5:6], off
.LBB1093_7:
	s_or_b32 exec_lo, exec_lo, s6
	v_add_nc_u32_e32 v0, 16, v0
	s_delay_alu instid0(VALU_DEP_1) | instskip(SKIP_3) | instid1(VALU_DEP_4)
	v_ashrrev_i32_e32 v8, 31, v0
	v_mul_lo_u32 v10, v0, s5
	v_mad_u64_u32 v[5:6], null, v0, s4, 0
	v_cmp_le_i32_e64 s1, v0, v9
	v_mul_lo_u32 v8, v8, s4
	s_delay_alu instid0(VALU_DEP_1) | instskip(NEXT) | instid1(VALU_DEP_1)
	v_add3_u32 v6, v6, v10, v8
	v_lshlrev_b64 v[5:6], 3, v[5:6]
	s_delay_alu instid0(VALU_DEP_1) | instskip(NEXT) | instid1(VALU_DEP_1)
	v_add_co_u32 v5, s2, s2, v5
	v_add_co_ci_u32_e64 v6, s2, s3, v6, s2
	s_and_b32 s2, s1, vcc_lo
	s_delay_alu instid0(SALU_CYCLE_1)
	s_and_saveexec_b32 s1, s2
	s_cbranch_execz .LBB1093_9
; %bb.8:
	v_ashrrev_i32_e32 v10, 31, v9
	s_delay_alu instid0(VALU_DEP_1) | instskip(NEXT) | instid1(VALU_DEP_1)
	v_lshlrev_b64 v[8:9], 3, v[9:10]
	v_add_co_u32 v8, vcc_lo, v5, v8
	s_delay_alu instid0(VALU_DEP_2)
	v_add_co_ci_u32_e32 v9, vcc_lo, v6, v9, vcc_lo
	global_store_b64 v[8:9], v[3:4], off
.LBB1093_9:
	s_or_b32 exec_lo, exec_lo, s1
	v_cmp_le_i32_e32 vcc_lo, v0, v7
	s_and_b32 s0, vcc_lo, s0
	s_delay_alu instid0(SALU_CYCLE_1)
	s_and_saveexec_b32 s1, s0
	s_cbranch_execz .LBB1093_11
; %bb.10:
	v_ashrrev_i32_e32 v8, 31, v7
	s_delay_alu instid0(VALU_DEP_1) | instskip(NEXT) | instid1(VALU_DEP_1)
	v_lshlrev_b64 v[3:4], 3, v[7:8]
	v_add_co_u32 v3, vcc_lo, v5, v3
	s_delay_alu instid0(VALU_DEP_2)
	v_add_co_ci_u32_e32 v4, vcc_lo, v6, v4, vcc_lo
	global_store_b64 v[3:4], v[1:2], off
.LBB1093_11:
	s_nop 0
	s_sendmsg sendmsg(MSG_DEALLOC_VGPRS)
	s_endpgm
	.section	.rodata,"a",@progbits
	.p2align	6, 0x0
	.amdhsa_kernel _ZL37rocblas_syrkx_herkx_restricted_kernelIl19rocblas_complex_numIfELi16ELi32ELi8ELi1ELi0ELb0ELc67ELc76EKS1_S1_EviT_PT9_S3_lS5_S3_lPT10_S3_li
		.amdhsa_group_segment_fixed_size 4096
		.amdhsa_private_segment_fixed_size 0
		.amdhsa_kernarg_size 92
		.amdhsa_user_sgpr_count 13
		.amdhsa_user_sgpr_dispatch_ptr 0
		.amdhsa_user_sgpr_queue_ptr 0
		.amdhsa_user_sgpr_kernarg_segment_ptr 1
		.amdhsa_user_sgpr_dispatch_id 0
		.amdhsa_user_sgpr_private_segment_size 0
		.amdhsa_wavefront_size32 1
		.amdhsa_uses_dynamic_stack 0
		.amdhsa_enable_private_segment 0
		.amdhsa_system_sgpr_workgroup_id_x 1
		.amdhsa_system_sgpr_workgroup_id_y 1
		.amdhsa_system_sgpr_workgroup_id_z 1
		.amdhsa_system_sgpr_workgroup_info 0
		.amdhsa_system_vgpr_workitem_id 1
		.amdhsa_next_free_vgpr 92
		.amdhsa_next_free_sgpr 32
		.amdhsa_reserve_vcc 1
		.amdhsa_float_round_mode_32 0
		.amdhsa_float_round_mode_16_64 0
		.amdhsa_float_denorm_mode_32 3
		.amdhsa_float_denorm_mode_16_64 3
		.amdhsa_dx10_clamp 1
		.amdhsa_ieee_mode 1
		.amdhsa_fp16_overflow 0
		.amdhsa_workgroup_processor_mode 1
		.amdhsa_memory_ordered 1
		.amdhsa_forward_progress 0
		.amdhsa_shared_vgpr_count 0
		.amdhsa_exception_fp_ieee_invalid_op 0
		.amdhsa_exception_fp_denorm_src 0
		.amdhsa_exception_fp_ieee_div_zero 0
		.amdhsa_exception_fp_ieee_overflow 0
		.amdhsa_exception_fp_ieee_underflow 0
		.amdhsa_exception_fp_ieee_inexact 0
		.amdhsa_exception_int_div_zero 0
	.end_amdhsa_kernel
	.section	.text._ZL37rocblas_syrkx_herkx_restricted_kernelIl19rocblas_complex_numIfELi16ELi32ELi8ELi1ELi0ELb0ELc67ELc76EKS1_S1_EviT_PT9_S3_lS5_S3_lPT10_S3_li,"axG",@progbits,_ZL37rocblas_syrkx_herkx_restricted_kernelIl19rocblas_complex_numIfELi16ELi32ELi8ELi1ELi0ELb0ELc67ELc76EKS1_S1_EviT_PT9_S3_lS5_S3_lPT10_S3_li,comdat
.Lfunc_end1093:
	.size	_ZL37rocblas_syrkx_herkx_restricted_kernelIl19rocblas_complex_numIfELi16ELi32ELi8ELi1ELi0ELb0ELc67ELc76EKS1_S1_EviT_PT9_S3_lS5_S3_lPT10_S3_li, .Lfunc_end1093-_ZL37rocblas_syrkx_herkx_restricted_kernelIl19rocblas_complex_numIfELi16ELi32ELi8ELi1ELi0ELb0ELc67ELc76EKS1_S1_EviT_PT9_S3_lS5_S3_lPT10_S3_li
                                        ; -- End function
	.section	.AMDGPU.csdata,"",@progbits
; Kernel info:
; codeLenInByte = 2116
; NumSgprs: 34
; NumVgprs: 92
; ScratchSize: 0
; MemoryBound: 0
; FloatMode: 240
; IeeeMode: 1
; LDSByteSize: 4096 bytes/workgroup (compile time only)
; SGPRBlocks: 4
; VGPRBlocks: 11
; NumSGPRsForWavesPerEU: 34
; NumVGPRsForWavesPerEU: 92
; Occupancy: 16
; WaveLimiterHint : 1
; COMPUTE_PGM_RSRC2:SCRATCH_EN: 0
; COMPUTE_PGM_RSRC2:USER_SGPR: 13
; COMPUTE_PGM_RSRC2:TRAP_HANDLER: 0
; COMPUTE_PGM_RSRC2:TGID_X_EN: 1
; COMPUTE_PGM_RSRC2:TGID_Y_EN: 1
; COMPUTE_PGM_RSRC2:TGID_Z_EN: 1
; COMPUTE_PGM_RSRC2:TIDIG_COMP_CNT: 1
	.section	.text._ZL37rocblas_syrkx_herkx_restricted_kernelIl19rocblas_complex_numIfELi16ELi32ELi8ELi1ELi0ELb0ELc78ELc76EKS1_S1_EviT_PT9_S3_lS5_S3_lPT10_S3_li,"axG",@progbits,_ZL37rocblas_syrkx_herkx_restricted_kernelIl19rocblas_complex_numIfELi16ELi32ELi8ELi1ELi0ELb0ELc78ELc76EKS1_S1_EviT_PT9_S3_lS5_S3_lPT10_S3_li,comdat
	.globl	_ZL37rocblas_syrkx_herkx_restricted_kernelIl19rocblas_complex_numIfELi16ELi32ELi8ELi1ELi0ELb0ELc78ELc76EKS1_S1_EviT_PT9_S3_lS5_S3_lPT10_S3_li ; -- Begin function _ZL37rocblas_syrkx_herkx_restricted_kernelIl19rocblas_complex_numIfELi16ELi32ELi8ELi1ELi0ELb0ELc78ELc76EKS1_S1_EviT_PT9_S3_lS5_S3_lPT10_S3_li
	.p2align	8
	.type	_ZL37rocblas_syrkx_herkx_restricted_kernelIl19rocblas_complex_numIfELi16ELi32ELi8ELi1ELi0ELb0ELc78ELc76EKS1_S1_EviT_PT9_S3_lS5_S3_lPT10_S3_li,@function
_ZL37rocblas_syrkx_herkx_restricted_kernelIl19rocblas_complex_numIfELi16ELi32ELi8ELi1ELi0ELb0ELc78ELc76EKS1_S1_EviT_PT9_S3_lS5_S3_lPT10_S3_li: ; @_ZL37rocblas_syrkx_herkx_restricted_kernelIl19rocblas_complex_numIfELi16ELi32ELi8ELi1ELi0ELb0ELc78ELc76EKS1_S1_EviT_PT9_S3_lS5_S3_lPT10_S3_li
; %bb.0:
	s_load_b512 s[16:31], s[0:1], 0x8
	v_dual_mov_b32 v7, 0 :: v_dual_mov_b32 v8, 0
	v_dual_mov_b32 v5, 0 :: v_dual_mov_b32 v6, 0
	;; [unrolled: 1-line block ×4, first 2 shown]
	v_and_b32_e32 v13, 0x3ff, v0
	v_bfe_u32 v0, v0, 10, 10
	s_lshl_b32 s8, s13, 5
	s_lshl_b32 s9, s14, 5
	s_waitcnt lgkmcnt(0)
	v_cmp_lt_i64_e64 s2, s[16:17], 1
	s_delay_alu instid0(VALU_DEP_1)
	s_and_b32 vcc_lo, exec_lo, s2
	s_cbranch_vccnz .LBB1094_3
; %bb.1:
	v_lshl_add_u32 v2, v0, 4, v13
	v_and_b32_e32 v10, 7, v13
	s_mul_i32 s3, s23, s15
	s_mul_hi_u32 s5, s22, s15
	s_mul_i32 s2, s22, s15
	v_and_b32_e32 v8, 31, v2
	v_lshrrev_b32_e32 v9, 3, v2
	v_lshrrev_b32_e32 v11, 5, v2
	s_add_i32 s3, s5, s3
	s_mul_i32 s6, s29, s15
	v_add_nc_u32_e32 v1, s8, v8
	v_add_nc_u32_e32 v3, s9, v9
	s_lshl_b64 s[2:3], s[2:3], 3
	s_mul_hi_u32 s7, s28, s15
	s_add_u32 s10, s18, s2
	v_ashrrev_i32_e32 v2, 31, v1
	v_ashrrev_i32_e32 v4, 31, v3
	s_mul_i32 s4, s28, s15
	s_addc_u32 s11, s19, s3
	s_add_i32 s5, s7, s6
	v_mad_u64_u32 v[5:6], null, v11, s20, v[1:2]
	v_mad_u64_u32 v[1:2], null, v10, s26, v[3:4]
	s_lshl_b64 s[4:5], s[4:5], 3
	s_lshl_b64 s[2:3], s[20:21], 6
	v_lshlrev_b32_e32 v12, 3, v10
	s_add_u32 s4, s24, s4
	s_delay_alu instid0(VALU_DEP_3)
	v_mov_b32_e32 v3, v6
	s_addc_u32 s5, s25, s5
	v_lshlrev_b32_e32 v14, 3, v13
	v_lshl_add_u32 v15, v0, 6, 0x800
	s_mov_b64 s[6:7], 0
	v_mad_u64_u32 v[6:7], null, v11, s21, v[3:4]
	v_mad_u64_u32 v[3:4], null, v10, s27, v[2:3]
	s_delay_alu instid0(VALU_DEP_1) | instskip(NEXT) | instid1(VALU_DEP_3)
	v_dual_mov_b32 v2, v3 :: v_dual_lshlrev_b32 v7, 3, v8
	v_lshlrev_b64 v[3:4], 3, v[5:6]
	v_mov_b32_e32 v5, 0
	v_lshl_or_b32 v8, v9, 6, v12
	v_mov_b32_e32 v6, 0
	v_lshlrev_b64 v[1:2], 3, v[1:2]
	v_add_co_u32 v3, vcc_lo, s10, v3
	v_add_co_ci_u32_e32 v4, vcc_lo, s11, v4, vcc_lo
	s_delay_alu instid0(VALU_DEP_3) | instskip(NEXT) | instid1(VALU_DEP_4)
	v_add_co_u32 v1, vcc_lo, s4, v1
	v_add_co_ci_u32_e32 v2, vcc_lo, s5, v2, vcc_lo
	s_delay_alu instid0(VALU_DEP_4) | instskip(NEXT) | instid1(VALU_DEP_4)
	v_add_co_u32 v9, vcc_lo, v3, 4
	v_add_co_ci_u32_e32 v10, vcc_lo, 0, v4, vcc_lo
	v_mov_b32_e32 v4, 0
	v_lshl_or_b32 v16, v11, 8, v7
	v_add_co_u32 v11, vcc_lo, v1, 4
	v_add_nc_u32_e32 v17, 0x800, v8
	v_add_co_ci_u32_e32 v12, vcc_lo, 0, v2, vcc_lo
	v_dual_mov_b32 v2, 0 :: v_dual_mov_b32 v1, 0
	v_dual_mov_b32 v3, 0 :: v_dual_mov_b32 v8, 0
	v_mov_b32_e32 v7, 0
	s_lshl_b64 s[4:5], s[26:27], 6
.LBB1094_2:                             ; =>This Inner Loop Header: Depth=1
	global_load_b64 v[18:19], v[9:10], off offset:-4
	global_load_b64 v[20:21], v[11:12], off offset:-4
	s_add_u32 s6, s6, 8
	v_add_co_u32 v9, vcc_lo, v9, s2
	s_addc_u32 s7, s7, 0
	v_add_co_ci_u32_e32 v10, vcc_lo, s3, v10, vcc_lo
	v_cmp_ge_u64_e64 s10, s[6:7], s[16:17]
	v_add_co_u32 v11, vcc_lo, v11, s4
	v_add_co_ci_u32_e32 v12, vcc_lo, s5, v12, vcc_lo
	s_waitcnt vmcnt(1)
	ds_store_b64 v16, v[18:19]
	s_waitcnt vmcnt(0)
	ds_store_b64 v17, v[20:21]
	s_waitcnt lgkmcnt(0)
	s_barrier
	buffer_gl0_inv
	ds_load_2addr_b64 v[18:21], v14 offset1:16
	ds_load_b128 v[22:25], v15
	ds_load_b128 v[26:29], v15 offset:1024
	ds_load_b128 v[30:33], v15 offset:16
	;; [unrolled: 1-line block ×4, first 2 shown]
	ds_load_2addr_b64 v[42:45], v14 offset0:32 offset1:48
	ds_load_2addr_b64 v[46:49], v14 offset0:64 offset1:80
	ds_load_b128 v[50:53], v15 offset:1040
	ds_load_2addr_b64 v[54:57], v14 offset0:96 offset1:112
	ds_load_2addr_b64 v[58:61], v14 offset0:128 offset1:144
	;; [unrolled: 1-line block ×4, first 2 shown]
	ds_load_b128 v[70:73], v15 offset:1056
	ds_load_b128 v[74:77], v15 offset:1072
	ds_load_2addr_b64 v[78:81], v14 offset0:224 offset1:240
	s_and_b32 vcc_lo, exec_lo, s10
	s_waitcnt lgkmcnt(0)
	s_barrier
	buffer_gl0_inv
	v_dual_mul_f32 v82, v23, v19 :: v_dual_mul_f32 v85, v22, v21
	v_dual_mul_f32 v83, v22, v19 :: v_dual_mul_f32 v84, v23, v21
	v_mul_f32_e32 v86, v27, v19
	v_dual_mul_f32 v19, v26, v19 :: v_dual_mul_f32 v90, v25, v45
	v_dual_mul_f32 v87, v27, v21 :: v_dual_mul_f32 v88, v25, v43
	v_mul_f32_e32 v21, v26, v21
	v_mul_f32_e32 v89, v24, v43
	;; [unrolled: 1-line block ×3, first 2 shown]
	v_fma_f32 v82, v22, v18, -v82
	v_fmac_f32_e32 v83, v23, v18
	v_fma_f32 v22, v22, v20, -v84
	v_dual_fmac_f32 v85, v23, v20 :: v_dual_mul_f32 v84, v30, v47
	v_fma_f32 v23, v26, v18, -v86
	v_fmac_f32_e32 v19, v27, v18
	v_fma_f32 v18, v26, v20, -v87
	v_dual_mul_f32 v26, v28, v43 :: v_dual_fmac_f32 v21, v27, v20
	v_mul_f32_e32 v20, v29, v43
	v_mul_f32_e32 v27, v29, v45
	v_dual_mul_f32 v43, v28, v45 :: v_dual_fmac_f32 v84, v31, v46
	v_fma_f32 v45, v24, v42, -v88
	v_fma_f32 v24, v24, v44, -v90
	v_dual_fmac_f32 v91, v25, v44 :: v_dual_mul_f32 v90, v32, v57
	v_dual_mul_f32 v86, v31, v49 :: v_dual_fmac_f32 v89, v25, v42
	v_dual_mul_f32 v25, v31, v47 :: v_dual_mul_f32 v88, v33, v57
	v_fma_f32 v20, v28, v42, -v20
	v_fmac_f32_e32 v26, v29, v42
	v_fma_f32 v27, v28, v44, -v27
	v_dual_fmac_f32 v43, v29, v44 :: v_dual_mul_f32 v28, v51, v47
	v_dual_mul_f32 v29, v50, v47 :: v_dual_mul_f32 v42, v51, v49
	v_mul_f32_e32 v44, v50, v49
	v_mul_f32_e32 v87, v30, v49
	;; [unrolled: 1-line block ×3, first 2 shown]
	v_dual_mul_f32 v49, v32, v55 :: v_dual_fmac_f32 v90, v33, v56
	v_fma_f32 v25, v30, v46, -v25
	v_fma_f32 v30, v30, v48, -v86
	;; [unrolled: 1-line block ×3, first 2 shown]
	v_fmac_f32_e32 v44, v51, v48
	v_fmac_f32_e32 v87, v31, v48
	v_fma_f32 v31, v50, v48, -v42
	v_mul_f32_e32 v42, v53, v55
	v_mul_f32_e32 v48, v53, v57
	v_dual_mul_f32 v50, v52, v57 :: v_dual_fmac_f32 v29, v51, v46
	v_mul_f32_e32 v46, v52, v55
	v_fma_f32 v47, v32, v54, -v47
	v_fmac_f32_e32 v49, v33, v54
	v_fma_f32 v32, v32, v56, -v88
	s_delay_alu instid0(VALU_DEP_4)
	v_dual_mul_f32 v33, v35, v59 :: v_dual_fmac_f32 v46, v53, v54
	v_mul_f32_e32 v51, v34, v59
	v_mul_f32_e32 v55, v35, v61
	v_fma_f32 v42, v52, v54, -v42
	v_fma_f32 v48, v52, v56, -v48
	v_fmac_f32_e32 v50, v53, v56
	v_mul_f32_e32 v52, v71, v59
	v_dual_mul_f32 v53, v70, v59 :: v_dual_mul_f32 v86, v37, v65
	v_mul_f32_e32 v54, v71, v61
	v_dual_mul_f32 v56, v70, v61 :: v_dual_mul_f32 v59, v37, v63
	v_mul_f32_e32 v57, v34, v61
	v_mul_f32_e32 v61, v36, v63
	v_dual_mul_f32 v88, v36, v65 :: v_dual_fmac_f32 v51, v35, v58
	v_fma_f32 v33, v34, v58, -v33
	v_fmac_f32_e32 v53, v71, v58
	v_fmac_f32_e32 v56, v71, v60
	s_delay_alu instid0(VALU_DEP_4)
	v_fmac_f32_e32 v88, v37, v64
	v_fmac_f32_e32 v57, v35, v60
	v_fma_f32 v35, v70, v58, -v52
	v_fma_f32 v52, v70, v60, -v54
	v_mul_f32_e32 v54, v73, v63
	v_fma_f32 v34, v34, v60, -v55
	v_mul_f32_e32 v60, v72, v65
	v_dual_mul_f32 v55, v72, v63 :: v_dual_mul_f32 v70, v38, v69
	v_mul_f32_e32 v58, v73, v65
	v_fma_f32 v59, v36, v62, -v59
	v_fmac_f32_e32 v61, v37, v62
	v_fma_f32 v36, v36, v64, -v86
	v_dual_mul_f32 v37, v39, v67 :: v_dual_fmac_f32 v60, v73, v64
	v_dual_mul_f32 v63, v38, v67 :: v_dual_mul_f32 v86, v40, v81
	v_mul_f32_e32 v65, v39, v69
	v_fma_f32 v54, v72, v62, -v54
	v_fmac_f32_e32 v55, v73, v62
	v_fma_f32 v58, v72, v64, -v58
	v_mul_f32_e32 v72, v40, v79
	v_mul_f32_e32 v62, v75, v67
	v_dual_mul_f32 v64, v74, v67 :: v_dual_mul_f32 v67, v75, v69
	v_dual_mul_f32 v69, v74, v69 :: v_dual_fmac_f32 v70, v39, v68
	s_delay_alu instid0(VALU_DEP_2)
	v_dual_mul_f32 v71, v41, v79 :: v_dual_fmac_f32 v64, v75, v66
	v_fma_f32 v37, v38, v66, -v37
	v_fmac_f32_e32 v63, v39, v66
	v_fma_f32 v39, v74, v66, -v62
	v_dual_mul_f32 v66, v76, v79 :: v_dual_mul_f32 v73, v41, v81
	v_add_f32_e32 v8, v8, v83
	v_fma_f32 v38, v38, v68, -v65
	v_fma_f32 v62, v74, v68, -v67
	v_dual_fmac_f32 v69, v75, v68 :: v_dual_fmac_f32 v72, v41, v78
	v_dual_mul_f32 v65, v77, v79 :: v_dual_add_f32 v6, v6, v85
	v_dual_mul_f32 v67, v77, v81 :: v_dual_add_f32 v4, v4, v19
	v_mul_f32_e32 v68, v76, v81
	v_dual_fmac_f32 v86, v41, v80 :: v_dual_add_f32 v7, v7, v82
	v_dual_fmac_f32 v66, v77, v78 :: v_dual_add_f32 v3, v3, v23
	v_dual_add_f32 v5, v5, v22 :: v_dual_add_f32 v2, v2, v21
	v_dual_add_f32 v1, v1, v18 :: v_dual_add_f32 v8, v8, v89
	s_delay_alu instid0(VALU_DEP_4) | instskip(NEXT) | instid1(VALU_DEP_3)
	v_dual_fmac_f32 v68, v77, v80 :: v_dual_add_f32 v7, v7, v45
	v_dual_add_f32 v5, v5, v24 :: v_dual_add_f32 v6, v6, v91
	v_dual_add_f32 v3, v3, v20 :: v_dual_add_f32 v4, v4, v26
	s_delay_alu instid0(VALU_DEP_4) | instskip(NEXT) | instid1(VALU_DEP_4)
	v_dual_add_f32 v1, v1, v27 :: v_dual_add_f32 v8, v8, v84
	v_dual_add_f32 v2, v2, v43 :: v_dual_add_f32 v7, v7, v25
	s_delay_alu instid0(VALU_DEP_4) | instskip(NEXT) | instid1(VALU_DEP_4)
	v_dual_add_f32 v5, v5, v30 :: v_dual_add_f32 v6, v6, v87
	v_dual_add_f32 v3, v3, v28 :: v_dual_add_f32 v4, v4, v29
	s_delay_alu instid0(VALU_DEP_3) | instskip(NEXT) | instid1(VALU_DEP_4)
	v_dual_add_f32 v1, v1, v31 :: v_dual_add_f32 v2, v2, v44
	v_dual_add_f32 v7, v7, v47 :: v_dual_add_f32 v8, v8, v49
	s_delay_alu instid0(VALU_DEP_4) | instskip(NEXT) | instid1(VALU_DEP_4)
	v_dual_add_f32 v5, v5, v32 :: v_dual_add_f32 v6, v6, v90
	v_add_f32_e32 v3, v3, v42
	s_delay_alu instid0(VALU_DEP_4) | instskip(NEXT) | instid1(VALU_DEP_4)
	v_dual_add_f32 v4, v4, v46 :: v_dual_add_f32 v1, v1, v48
	v_dual_add_f32 v2, v2, v50 :: v_dual_add_f32 v7, v7, v33
	s_delay_alu instid0(VALU_DEP_4) | instskip(NEXT) | instid1(VALU_DEP_4)
	v_dual_add_f32 v8, v8, v51 :: v_dual_add_f32 v5, v5, v34
	v_dual_add_f32 v6, v6, v57 :: v_dual_add_f32 v3, v3, v35
	s_delay_alu instid0(VALU_DEP_4) | instskip(NEXT) | instid1(VALU_DEP_3)
	v_dual_add_f32 v4, v4, v53 :: v_dual_add_f32 v1, v1, v52
	v_add_f32_e32 v8, v8, v61
	v_dual_add_f32 v2, v2, v56 :: v_dual_add_f32 v7, v7, v59
	s_delay_alu instid0(VALU_DEP_3) | instskip(SKIP_1) | instid1(VALU_DEP_3)
	v_dual_add_f32 v5, v5, v36 :: v_dual_add_f32 v4, v4, v55
	v_dual_add_f32 v6, v6, v88 :: v_dual_add_f32 v3, v3, v54
	;; [unrolled: 1-line block ×3, first 2 shown]
	v_fma_f32 v71, v40, v78, -v71
	v_fma_f32 v40, v40, v80, -v73
	;; [unrolled: 1-line block ×4, first 2 shown]
	v_dual_add_f32 v7, v7, v37 :: v_dual_add_f32 v8, v8, v63
	v_dual_add_f32 v5, v5, v38 :: v_dual_add_f32 v4, v4, v64
	;; [unrolled: 1-line block ×4, first 2 shown]
	s_delay_alu instid0(VALU_DEP_4) | instskip(NEXT) | instid1(VALU_DEP_3)
	v_dual_add_f32 v7, v7, v71 :: v_dual_add_f32 v8, v8, v72
	v_dual_add_f32 v5, v5, v40 :: v_dual_add_f32 v6, v6, v86
	s_delay_alu instid0(VALU_DEP_4) | instskip(NEXT) | instid1(VALU_DEP_4)
	v_dual_add_f32 v3, v3, v41 :: v_dual_add_f32 v4, v4, v66
	v_dual_add_f32 v1, v1, v65 :: v_dual_add_f32 v2, v2, v68
	s_cbranch_vccz .LBB1094_2
.LBB1094_3:
	s_load_b128 s[4:7], s[0:1], 0x48
	v_add_nc_u32_e32 v0, s9, v0
	s_load_b32 s9, s[0:1], 0x0
	s_delay_alu instid0(VALU_DEP_1) | instskip(SKIP_1) | instid1(VALU_DEP_1)
	v_ashrrev_i32_e32 v9, 31, v0
	s_waitcnt lgkmcnt(0)
	v_mul_lo_u32 v12, v9, s4
	v_mul_lo_u32 v14, v0, s5
	v_mad_u64_u32 v[10:11], null, v0, s4, 0
	s_mul_i32 s1, s15, s7
	s_mul_hi_u32 s3, s15, s6
	s_mul_i32 s2, s15, s6
	s_add_i32 s3, s3, s1
	v_add_nc_u32_e32 v9, s8, v13
	s_lshl_b64 s[2:3], s[2:3], 3
	s_delay_alu instid0(VALU_DEP_2)
	v_add3_u32 v11, v11, v14, v12
	s_add_u32 s2, s30, s2
	s_addc_u32 s3, s31, s3
	v_cmp_le_i32_e64 s0, v0, v9
	v_cmp_gt_i32_e32 vcc_lo, s9, v9
	v_lshlrev_b64 v[11:12], 3, v[10:11]
	s_delay_alu instid0(VALU_DEP_3) | instskip(NEXT) | instid1(VALU_DEP_1)
	s_and_b32 s0, s0, vcc_lo
	v_add_co_u32 v11, s1, s2, v11
	s_delay_alu instid0(VALU_DEP_1)
	v_add_co_ci_u32_e64 v12, s1, s3, v12, s1
	s_and_saveexec_b32 s1, s0
	s_cbranch_execz .LBB1094_5
; %bb.4:
	v_ashrrev_i32_e32 v10, 31, v9
	s_delay_alu instid0(VALU_DEP_1) | instskip(NEXT) | instid1(VALU_DEP_1)
	v_lshlrev_b64 v[13:14], 3, v[9:10]
	v_add_co_u32 v13, s0, v11, v13
	s_delay_alu instid0(VALU_DEP_1)
	v_add_co_ci_u32_e64 v14, s0, v12, v14, s0
	global_store_b64 v[13:14], v[7:8], off
.LBB1094_5:
	s_or_b32 exec_lo, exec_lo, s1
	v_add_nc_u32_e32 v7, 16, v9
	s_delay_alu instid0(VALU_DEP_1) | instskip(SKIP_1) | instid1(VALU_DEP_1)
	v_cmp_le_i32_e64 s1, v0, v7
	v_cmp_gt_i32_e64 s0, s9, v7
	s_and_b32 s1, s1, s0
	s_delay_alu instid0(SALU_CYCLE_1)
	s_and_saveexec_b32 s6, s1
	s_cbranch_execz .LBB1094_7
; %bb.6:
	v_ashrrev_i32_e32 v8, 31, v7
	s_delay_alu instid0(VALU_DEP_1) | instskip(NEXT) | instid1(VALU_DEP_1)
	v_lshlrev_b64 v[13:14], 3, v[7:8]
	v_add_co_u32 v10, s1, v11, v13
	s_delay_alu instid0(VALU_DEP_1)
	v_add_co_ci_u32_e64 v11, s1, v12, v14, s1
	global_store_b64 v[10:11], v[5:6], off
.LBB1094_7:
	s_or_b32 exec_lo, exec_lo, s6
	v_add_nc_u32_e32 v0, 16, v0
	s_delay_alu instid0(VALU_DEP_1) | instskip(SKIP_3) | instid1(VALU_DEP_4)
	v_ashrrev_i32_e32 v8, 31, v0
	v_mul_lo_u32 v10, v0, s5
	v_mad_u64_u32 v[5:6], null, v0, s4, 0
	v_cmp_le_i32_e64 s1, v0, v9
	v_mul_lo_u32 v8, v8, s4
	s_delay_alu instid0(VALU_DEP_1) | instskip(NEXT) | instid1(VALU_DEP_1)
	v_add3_u32 v6, v6, v10, v8
	v_lshlrev_b64 v[5:6], 3, v[5:6]
	s_delay_alu instid0(VALU_DEP_1) | instskip(NEXT) | instid1(VALU_DEP_1)
	v_add_co_u32 v5, s2, s2, v5
	v_add_co_ci_u32_e64 v6, s2, s3, v6, s2
	s_and_b32 s2, s1, vcc_lo
	s_delay_alu instid0(SALU_CYCLE_1)
	s_and_saveexec_b32 s1, s2
	s_cbranch_execz .LBB1094_9
; %bb.8:
	v_ashrrev_i32_e32 v10, 31, v9
	s_delay_alu instid0(VALU_DEP_1) | instskip(NEXT) | instid1(VALU_DEP_1)
	v_lshlrev_b64 v[8:9], 3, v[9:10]
	v_add_co_u32 v8, vcc_lo, v5, v8
	s_delay_alu instid0(VALU_DEP_2)
	v_add_co_ci_u32_e32 v9, vcc_lo, v6, v9, vcc_lo
	global_store_b64 v[8:9], v[3:4], off
.LBB1094_9:
	s_or_b32 exec_lo, exec_lo, s1
	v_cmp_le_i32_e32 vcc_lo, v0, v7
	s_and_b32 s0, vcc_lo, s0
	s_delay_alu instid0(SALU_CYCLE_1)
	s_and_saveexec_b32 s1, s0
	s_cbranch_execz .LBB1094_11
; %bb.10:
	v_ashrrev_i32_e32 v8, 31, v7
	s_delay_alu instid0(VALU_DEP_1) | instskip(NEXT) | instid1(VALU_DEP_1)
	v_lshlrev_b64 v[3:4], 3, v[7:8]
	v_add_co_u32 v3, vcc_lo, v5, v3
	s_delay_alu instid0(VALU_DEP_2)
	v_add_co_ci_u32_e32 v4, vcc_lo, v6, v4, vcc_lo
	global_store_b64 v[3:4], v[1:2], off
.LBB1094_11:
	s_nop 0
	s_sendmsg sendmsg(MSG_DEALLOC_VGPRS)
	s_endpgm
	.section	.rodata,"a",@progbits
	.p2align	6, 0x0
	.amdhsa_kernel _ZL37rocblas_syrkx_herkx_restricted_kernelIl19rocblas_complex_numIfELi16ELi32ELi8ELi1ELi0ELb0ELc78ELc76EKS1_S1_EviT_PT9_S3_lS5_S3_lPT10_S3_li
		.amdhsa_group_segment_fixed_size 4096
		.amdhsa_private_segment_fixed_size 0
		.amdhsa_kernarg_size 92
		.amdhsa_user_sgpr_count 13
		.amdhsa_user_sgpr_dispatch_ptr 0
		.amdhsa_user_sgpr_queue_ptr 0
		.amdhsa_user_sgpr_kernarg_segment_ptr 1
		.amdhsa_user_sgpr_dispatch_id 0
		.amdhsa_user_sgpr_private_segment_size 0
		.amdhsa_wavefront_size32 1
		.amdhsa_uses_dynamic_stack 0
		.amdhsa_enable_private_segment 0
		.amdhsa_system_sgpr_workgroup_id_x 1
		.amdhsa_system_sgpr_workgroup_id_y 1
		.amdhsa_system_sgpr_workgroup_id_z 1
		.amdhsa_system_sgpr_workgroup_info 0
		.amdhsa_system_vgpr_workitem_id 1
		.amdhsa_next_free_vgpr 92
		.amdhsa_next_free_sgpr 32
		.amdhsa_reserve_vcc 1
		.amdhsa_float_round_mode_32 0
		.amdhsa_float_round_mode_16_64 0
		.amdhsa_float_denorm_mode_32 3
		.amdhsa_float_denorm_mode_16_64 3
		.amdhsa_dx10_clamp 1
		.amdhsa_ieee_mode 1
		.amdhsa_fp16_overflow 0
		.amdhsa_workgroup_processor_mode 1
		.amdhsa_memory_ordered 1
		.amdhsa_forward_progress 0
		.amdhsa_shared_vgpr_count 0
		.amdhsa_exception_fp_ieee_invalid_op 0
		.amdhsa_exception_fp_denorm_src 0
		.amdhsa_exception_fp_ieee_div_zero 0
		.amdhsa_exception_fp_ieee_overflow 0
		.amdhsa_exception_fp_ieee_underflow 0
		.amdhsa_exception_fp_ieee_inexact 0
		.amdhsa_exception_int_div_zero 0
	.end_amdhsa_kernel
	.section	.text._ZL37rocblas_syrkx_herkx_restricted_kernelIl19rocblas_complex_numIfELi16ELi32ELi8ELi1ELi0ELb0ELc78ELc76EKS1_S1_EviT_PT9_S3_lS5_S3_lPT10_S3_li,"axG",@progbits,_ZL37rocblas_syrkx_herkx_restricted_kernelIl19rocblas_complex_numIfELi16ELi32ELi8ELi1ELi0ELb0ELc78ELc76EKS1_S1_EviT_PT9_S3_lS5_S3_lPT10_S3_li,comdat
.Lfunc_end1094:
	.size	_ZL37rocblas_syrkx_herkx_restricted_kernelIl19rocblas_complex_numIfELi16ELi32ELi8ELi1ELi0ELb0ELc78ELc76EKS1_S1_EviT_PT9_S3_lS5_S3_lPT10_S3_li, .Lfunc_end1094-_ZL37rocblas_syrkx_herkx_restricted_kernelIl19rocblas_complex_numIfELi16ELi32ELi8ELi1ELi0ELb0ELc78ELc76EKS1_S1_EviT_PT9_S3_lS5_S3_lPT10_S3_li
                                        ; -- End function
	.section	.AMDGPU.csdata,"",@progbits
; Kernel info:
; codeLenInByte = 2104
; NumSgprs: 34
; NumVgprs: 92
; ScratchSize: 0
; MemoryBound: 0
; FloatMode: 240
; IeeeMode: 1
; LDSByteSize: 4096 bytes/workgroup (compile time only)
; SGPRBlocks: 4
; VGPRBlocks: 11
; NumSGPRsForWavesPerEU: 34
; NumVGPRsForWavesPerEU: 92
; Occupancy: 16
; WaveLimiterHint : 1
; COMPUTE_PGM_RSRC2:SCRATCH_EN: 0
; COMPUTE_PGM_RSRC2:USER_SGPR: 13
; COMPUTE_PGM_RSRC2:TRAP_HANDLER: 0
; COMPUTE_PGM_RSRC2:TGID_X_EN: 1
; COMPUTE_PGM_RSRC2:TGID_Y_EN: 1
; COMPUTE_PGM_RSRC2:TGID_Z_EN: 1
; COMPUTE_PGM_RSRC2:TIDIG_COMP_CNT: 1
	.section	.text._ZL37rocblas_syrkx_herkx_restricted_kernelIl19rocblas_complex_numIfELi16ELi32ELi8ELi1ELi0ELb0ELc84ELc85EKS1_S1_EviT_PT9_S3_lS5_S3_lPT10_S3_li,"axG",@progbits,_ZL37rocblas_syrkx_herkx_restricted_kernelIl19rocblas_complex_numIfELi16ELi32ELi8ELi1ELi0ELb0ELc84ELc85EKS1_S1_EviT_PT9_S3_lS5_S3_lPT10_S3_li,comdat
	.globl	_ZL37rocblas_syrkx_herkx_restricted_kernelIl19rocblas_complex_numIfELi16ELi32ELi8ELi1ELi0ELb0ELc84ELc85EKS1_S1_EviT_PT9_S3_lS5_S3_lPT10_S3_li ; -- Begin function _ZL37rocblas_syrkx_herkx_restricted_kernelIl19rocblas_complex_numIfELi16ELi32ELi8ELi1ELi0ELb0ELc84ELc85EKS1_S1_EviT_PT9_S3_lS5_S3_lPT10_S3_li
	.p2align	8
	.type	_ZL37rocblas_syrkx_herkx_restricted_kernelIl19rocblas_complex_numIfELi16ELi32ELi8ELi1ELi0ELb0ELc84ELc85EKS1_S1_EviT_PT9_S3_lS5_S3_lPT10_S3_li,@function
_ZL37rocblas_syrkx_herkx_restricted_kernelIl19rocblas_complex_numIfELi16ELi32ELi8ELi1ELi0ELb0ELc84ELc85EKS1_S1_EviT_PT9_S3_lS5_S3_lPT10_S3_li: ; @_ZL37rocblas_syrkx_herkx_restricted_kernelIl19rocblas_complex_numIfELi16ELi32ELi8ELi1ELi0ELb0ELc84ELc85EKS1_S1_EviT_PT9_S3_lS5_S3_lPT10_S3_li
; %bb.0:
	s_load_b512 s[16:31], s[0:1], 0x8
	v_dual_mov_b32 v7, 0 :: v_dual_mov_b32 v8, 0
	v_dual_mov_b32 v5, 0 :: v_dual_mov_b32 v6, 0
	;; [unrolled: 1-line block ×4, first 2 shown]
	v_and_b32_e32 v13, 0x3ff, v0
	v_bfe_u32 v0, v0, 10, 10
	s_lshl_b32 s8, s13, 5
	s_lshl_b32 s9, s14, 5
	s_waitcnt lgkmcnt(0)
	v_cmp_lt_i64_e64 s2, s[16:17], 1
	s_delay_alu instid0(VALU_DEP_1)
	s_and_b32 vcc_lo, exec_lo, s2
	s_cbranch_vccnz .LBB1095_3
; %bb.1:
	v_lshl_add_u32 v3, v0, 4, v13
	v_dual_mov_b32 v2, 0 :: v_dual_and_b32 v1, 7, v13
	s_mul_i32 s3, s23, s15
	s_mul_hi_u32 s4, s22, s15
	s_delay_alu instid0(VALU_DEP_2)
	v_and_b32_e32 v9, 31, v3
	v_lshrrev_b32_e32 v10, 3, v3
	v_mov_b32_e32 v4, v2
	v_lshrrev_b32_e32 v3, 5, v3
	v_lshlrev_b32_e32 v12, 3, v1
	v_add_nc_u32_e32 v7, s8, v9
	v_add_nc_u32_e32 v11, s9, v10
	v_lshlrev_b32_e32 v9, 3, v9
	s_mul_i32 s2, s22, s15
	s_add_i32 s3, s4, s3
	v_ashrrev_i32_e32 v8, 31, v7
	v_ashrrev_i32_e32 v15, 31, v11
	v_mad_u64_u32 v[5:6], null, s20, v7, v[3:4]
	v_mul_lo_u32 v4, s21, v7
	s_delay_alu instid0(VALU_DEP_4)
	v_mul_lo_u32 v16, s20, v8
	v_mul_lo_u32 v17, v11, s27
	v_mad_u64_u32 v[7:8], null, v11, s26, v[1:2]
	v_mul_lo_u32 v1, v15, s26
	s_lshl_b64 s[2:3], s[2:3], 3
	v_lshl_or_b32 v15, v3, 8, v9
	s_add_u32 s4, s18, s2
	v_add3_u32 v6, v4, v6, v16
	s_mul_i32 s2, s29, s15
	s_mul_hi_u32 s5, s28, s15
	s_addc_u32 s6, s19, s3
	v_add3_u32 v8, v1, v8, v17
	v_lshlrev_b64 v[3:4], 3, v[5:6]
	s_add_i32 s3, s5, s2
	s_mul_i32 s2, s28, s15
	v_lshl_or_b32 v10, v10, 6, v12
	v_lshlrev_b64 v[5:6], 3, v[7:8]
	v_mov_b32_e32 v8, v2
	s_lshl_b64 s[2:3], s[2:3], 3
	v_add_co_u32 v1, vcc_lo, s4, v3
	s_add_u32 s2, s24, s2
	v_add_co_ci_u32_e32 v3, vcc_lo, s6, v4, vcc_lo
	s_addc_u32 s3, s25, s3
	v_add_co_u32 v4, vcc_lo, s2, v5
	v_add_co_ci_u32_e32 v5, vcc_lo, s3, v6, vcc_lo
	v_add_co_u32 v9, vcc_lo, v1, 4
	v_add_nc_u32_e32 v16, 0x800, v10
	v_add_co_ci_u32_e32 v10, vcc_lo, 0, v3, vcc_lo
	v_add_co_u32 v11, vcc_lo, v4, 4
	v_dual_mov_b32 v1, v2 :: v_dual_lshlrev_b32 v14, 3, v13
	v_lshl_add_u32 v17, v0, 6, 0x800
	v_add_co_ci_u32_e32 v12, vcc_lo, 0, v5, vcc_lo
	v_mov_b32_e32 v4, v2
	v_mov_b32_e32 v3, v2
	;; [unrolled: 1-line block ×5, first 2 shown]
	s_mov_b64 s[2:3], 0
.LBB1095_2:                             ; =>This Inner Loop Header: Depth=1
	global_load_b64 v[18:19], v[9:10], off offset:-4
	global_load_b64 v[20:21], v[11:12], off offset:-4
	s_add_u32 s2, s2, 8
	v_add_co_u32 v9, vcc_lo, v9, 64
	s_addc_u32 s3, s3, 0
	v_add_co_ci_u32_e32 v10, vcc_lo, 0, v10, vcc_lo
	v_cmp_ge_u64_e64 s4, s[2:3], s[16:17]
	v_add_co_u32 v11, vcc_lo, v11, 64
	v_add_co_ci_u32_e32 v12, vcc_lo, 0, v12, vcc_lo
	s_waitcnt vmcnt(1)
	ds_store_b64 v15, v[18:19]
	s_waitcnt vmcnt(0)
	ds_store_b64 v16, v[20:21]
	s_waitcnt lgkmcnt(0)
	s_barrier
	buffer_gl0_inv
	ds_load_2addr_b64 v[18:21], v14 offset1:16
	ds_load_b128 v[22:25], v17
	ds_load_b128 v[26:29], v17 offset:1024
	ds_load_b128 v[30:33], v17 offset:16
	;; [unrolled: 1-line block ×4, first 2 shown]
	ds_load_2addr_b64 v[42:45], v14 offset0:32 offset1:48
	ds_load_2addr_b64 v[46:49], v14 offset0:64 offset1:80
	ds_load_b128 v[50:53], v17 offset:1040
	ds_load_2addr_b64 v[54:57], v14 offset0:96 offset1:112
	ds_load_2addr_b64 v[58:61], v14 offset0:128 offset1:144
	;; [unrolled: 1-line block ×4, first 2 shown]
	ds_load_b128 v[70:73], v17 offset:1056
	ds_load_b128 v[74:77], v17 offset:1072
	ds_load_2addr_b64 v[78:81], v14 offset0:224 offset1:240
	s_and_b32 vcc_lo, exec_lo, s4
	s_waitcnt lgkmcnt(0)
	s_barrier
	buffer_gl0_inv
	v_dual_mul_f32 v82, v23, v19 :: v_dual_mul_f32 v85, v22, v21
	v_dual_mul_f32 v83, v22, v19 :: v_dual_mul_f32 v84, v23, v21
	v_mul_f32_e32 v86, v27, v19
	v_dual_mul_f32 v19, v26, v19 :: v_dual_mul_f32 v90, v25, v45
	v_dual_mul_f32 v87, v27, v21 :: v_dual_mul_f32 v88, v25, v43
	v_mul_f32_e32 v21, v26, v21
	v_mul_f32_e32 v89, v24, v43
	;; [unrolled: 1-line block ×3, first 2 shown]
	v_fma_f32 v82, v22, v18, -v82
	v_fmac_f32_e32 v83, v23, v18
	v_fma_f32 v22, v22, v20, -v84
	v_dual_fmac_f32 v85, v23, v20 :: v_dual_mul_f32 v84, v30, v47
	v_fma_f32 v23, v26, v18, -v86
	v_fmac_f32_e32 v19, v27, v18
	v_fma_f32 v18, v26, v20, -v87
	v_dual_mul_f32 v26, v28, v43 :: v_dual_fmac_f32 v21, v27, v20
	v_mul_f32_e32 v20, v29, v43
	v_mul_f32_e32 v27, v29, v45
	v_dual_mul_f32 v43, v28, v45 :: v_dual_fmac_f32 v84, v31, v46
	v_fma_f32 v45, v24, v42, -v88
	v_fma_f32 v24, v24, v44, -v90
	v_dual_fmac_f32 v91, v25, v44 :: v_dual_mul_f32 v90, v32, v57
	v_dual_mul_f32 v86, v31, v49 :: v_dual_fmac_f32 v89, v25, v42
	v_dual_mul_f32 v25, v31, v47 :: v_dual_mul_f32 v88, v33, v57
	v_fma_f32 v20, v28, v42, -v20
	v_fmac_f32_e32 v26, v29, v42
	v_fma_f32 v27, v28, v44, -v27
	v_dual_fmac_f32 v43, v29, v44 :: v_dual_mul_f32 v28, v51, v47
	v_dual_mul_f32 v29, v50, v47 :: v_dual_mul_f32 v42, v51, v49
	v_mul_f32_e32 v44, v50, v49
	v_mul_f32_e32 v87, v30, v49
	;; [unrolled: 1-line block ×3, first 2 shown]
	v_dual_mul_f32 v49, v32, v55 :: v_dual_fmac_f32 v90, v33, v56
	v_fma_f32 v25, v30, v46, -v25
	v_fma_f32 v30, v30, v48, -v86
	;; [unrolled: 1-line block ×3, first 2 shown]
	v_fmac_f32_e32 v44, v51, v48
	v_fmac_f32_e32 v87, v31, v48
	v_fma_f32 v31, v50, v48, -v42
	v_mul_f32_e32 v42, v53, v55
	v_mul_f32_e32 v48, v53, v57
	v_dual_mul_f32 v50, v52, v57 :: v_dual_fmac_f32 v29, v51, v46
	v_mul_f32_e32 v46, v52, v55
	v_fma_f32 v47, v32, v54, -v47
	v_fmac_f32_e32 v49, v33, v54
	v_fma_f32 v32, v32, v56, -v88
	s_delay_alu instid0(VALU_DEP_4)
	v_dual_mul_f32 v33, v35, v59 :: v_dual_fmac_f32 v46, v53, v54
	v_mul_f32_e32 v51, v34, v59
	v_mul_f32_e32 v55, v35, v61
	v_fma_f32 v42, v52, v54, -v42
	v_fma_f32 v48, v52, v56, -v48
	v_fmac_f32_e32 v50, v53, v56
	v_mul_f32_e32 v52, v71, v59
	v_dual_mul_f32 v53, v70, v59 :: v_dual_mul_f32 v86, v37, v65
	v_mul_f32_e32 v54, v71, v61
	v_dual_mul_f32 v56, v70, v61 :: v_dual_mul_f32 v59, v37, v63
	v_mul_f32_e32 v57, v34, v61
	v_mul_f32_e32 v61, v36, v63
	v_dual_mul_f32 v88, v36, v65 :: v_dual_fmac_f32 v51, v35, v58
	v_fma_f32 v33, v34, v58, -v33
	v_fmac_f32_e32 v53, v71, v58
	v_fmac_f32_e32 v56, v71, v60
	s_delay_alu instid0(VALU_DEP_4)
	v_fmac_f32_e32 v88, v37, v64
	v_fmac_f32_e32 v57, v35, v60
	v_fma_f32 v35, v70, v58, -v52
	v_fma_f32 v52, v70, v60, -v54
	v_mul_f32_e32 v54, v73, v63
	v_fma_f32 v34, v34, v60, -v55
	v_mul_f32_e32 v60, v72, v65
	v_dual_mul_f32 v55, v72, v63 :: v_dual_mul_f32 v70, v38, v69
	v_mul_f32_e32 v58, v73, v65
	v_fma_f32 v59, v36, v62, -v59
	v_fmac_f32_e32 v61, v37, v62
	v_fma_f32 v36, v36, v64, -v86
	v_dual_mul_f32 v37, v39, v67 :: v_dual_fmac_f32 v60, v73, v64
	v_dual_mul_f32 v63, v38, v67 :: v_dual_mul_f32 v86, v40, v81
	v_mul_f32_e32 v65, v39, v69
	v_fma_f32 v54, v72, v62, -v54
	v_fmac_f32_e32 v55, v73, v62
	v_fma_f32 v58, v72, v64, -v58
	v_mul_f32_e32 v72, v40, v79
	v_mul_f32_e32 v62, v75, v67
	v_dual_mul_f32 v64, v74, v67 :: v_dual_mul_f32 v67, v75, v69
	v_dual_mul_f32 v69, v74, v69 :: v_dual_fmac_f32 v70, v39, v68
	s_delay_alu instid0(VALU_DEP_2)
	v_dual_mul_f32 v71, v41, v79 :: v_dual_fmac_f32 v64, v75, v66
	v_fma_f32 v37, v38, v66, -v37
	v_fmac_f32_e32 v63, v39, v66
	v_fma_f32 v39, v74, v66, -v62
	v_dual_mul_f32 v66, v76, v79 :: v_dual_mul_f32 v73, v41, v81
	v_add_f32_e32 v8, v8, v83
	v_fma_f32 v38, v38, v68, -v65
	v_fma_f32 v62, v74, v68, -v67
	v_dual_fmac_f32 v69, v75, v68 :: v_dual_fmac_f32 v72, v41, v78
	v_dual_mul_f32 v65, v77, v79 :: v_dual_add_f32 v6, v6, v85
	v_dual_mul_f32 v67, v77, v81 :: v_dual_add_f32 v4, v4, v19
	v_mul_f32_e32 v68, v76, v81
	v_dual_fmac_f32 v86, v41, v80 :: v_dual_add_f32 v7, v7, v82
	v_dual_fmac_f32 v66, v77, v78 :: v_dual_add_f32 v3, v3, v23
	v_dual_add_f32 v5, v5, v22 :: v_dual_add_f32 v2, v2, v21
	v_dual_add_f32 v1, v1, v18 :: v_dual_add_f32 v8, v8, v89
	s_delay_alu instid0(VALU_DEP_4) | instskip(NEXT) | instid1(VALU_DEP_3)
	v_dual_fmac_f32 v68, v77, v80 :: v_dual_add_f32 v7, v7, v45
	v_dual_add_f32 v5, v5, v24 :: v_dual_add_f32 v6, v6, v91
	v_dual_add_f32 v3, v3, v20 :: v_dual_add_f32 v4, v4, v26
	s_delay_alu instid0(VALU_DEP_4) | instskip(NEXT) | instid1(VALU_DEP_4)
	v_dual_add_f32 v1, v1, v27 :: v_dual_add_f32 v8, v8, v84
	v_dual_add_f32 v2, v2, v43 :: v_dual_add_f32 v7, v7, v25
	s_delay_alu instid0(VALU_DEP_4) | instskip(NEXT) | instid1(VALU_DEP_4)
	v_dual_add_f32 v5, v5, v30 :: v_dual_add_f32 v6, v6, v87
	v_dual_add_f32 v3, v3, v28 :: v_dual_add_f32 v4, v4, v29
	s_delay_alu instid0(VALU_DEP_3) | instskip(NEXT) | instid1(VALU_DEP_4)
	v_dual_add_f32 v1, v1, v31 :: v_dual_add_f32 v2, v2, v44
	v_dual_add_f32 v7, v7, v47 :: v_dual_add_f32 v8, v8, v49
	s_delay_alu instid0(VALU_DEP_4) | instskip(NEXT) | instid1(VALU_DEP_4)
	v_dual_add_f32 v5, v5, v32 :: v_dual_add_f32 v6, v6, v90
	v_add_f32_e32 v3, v3, v42
	s_delay_alu instid0(VALU_DEP_4) | instskip(NEXT) | instid1(VALU_DEP_4)
	v_dual_add_f32 v4, v4, v46 :: v_dual_add_f32 v1, v1, v48
	v_dual_add_f32 v2, v2, v50 :: v_dual_add_f32 v7, v7, v33
	s_delay_alu instid0(VALU_DEP_4) | instskip(NEXT) | instid1(VALU_DEP_4)
	v_dual_add_f32 v8, v8, v51 :: v_dual_add_f32 v5, v5, v34
	v_dual_add_f32 v6, v6, v57 :: v_dual_add_f32 v3, v3, v35
	s_delay_alu instid0(VALU_DEP_4) | instskip(NEXT) | instid1(VALU_DEP_3)
	v_dual_add_f32 v4, v4, v53 :: v_dual_add_f32 v1, v1, v52
	v_add_f32_e32 v8, v8, v61
	v_dual_add_f32 v2, v2, v56 :: v_dual_add_f32 v7, v7, v59
	s_delay_alu instid0(VALU_DEP_3) | instskip(SKIP_1) | instid1(VALU_DEP_3)
	v_dual_add_f32 v5, v5, v36 :: v_dual_add_f32 v4, v4, v55
	v_dual_add_f32 v6, v6, v88 :: v_dual_add_f32 v3, v3, v54
	;; [unrolled: 1-line block ×3, first 2 shown]
	v_fma_f32 v71, v40, v78, -v71
	v_fma_f32 v40, v40, v80, -v73
	;; [unrolled: 1-line block ×4, first 2 shown]
	v_dual_add_f32 v7, v7, v37 :: v_dual_add_f32 v8, v8, v63
	v_dual_add_f32 v5, v5, v38 :: v_dual_add_f32 v4, v4, v64
	;; [unrolled: 1-line block ×4, first 2 shown]
	s_delay_alu instid0(VALU_DEP_4) | instskip(NEXT) | instid1(VALU_DEP_3)
	v_dual_add_f32 v7, v7, v71 :: v_dual_add_f32 v8, v8, v72
	v_dual_add_f32 v5, v5, v40 :: v_dual_add_f32 v6, v6, v86
	s_delay_alu instid0(VALU_DEP_4) | instskip(NEXT) | instid1(VALU_DEP_4)
	v_dual_add_f32 v3, v3, v41 :: v_dual_add_f32 v4, v4, v66
	v_dual_add_f32 v1, v1, v65 :: v_dual_add_f32 v2, v2, v68
	s_cbranch_vccz .LBB1095_2
.LBB1095_3:
	s_clause 0x1
	s_load_b128 s[4:7], s[0:1], 0x48
	s_load_b32 s2, s[0:1], 0x0
	v_add_nc_u32_e32 v0, s9, v0
	s_delay_alu instid0(VALU_DEP_1) | instskip(SKIP_1) | instid1(VALU_DEP_1)
	v_ashrrev_i32_e32 v9, 31, v0
	s_waitcnt lgkmcnt(0)
	v_mul_lo_u32 v12, v9, s4
	v_mul_lo_u32 v14, v0, s5
	v_mad_u64_u32 v[10:11], null, v0, s4, 0
	s_mul_i32 s1, s15, s7
	s_mul_hi_u32 s3, s15, s6
	s_mul_i32 s6, s15, s6
	s_add_i32 s7, s3, s1
	v_add_nc_u32_e32 v9, s8, v13
	s_lshl_b64 s[6:7], s[6:7], 3
	s_delay_alu instid0(VALU_DEP_2)
	v_add3_u32 v11, v11, v14, v12
	s_add_u32 s3, s30, s6
	v_cmp_gt_i32_e32 vcc_lo, s2, v0
	v_cmp_le_i32_e64 s0, v9, v0
	s_addc_u32 s6, s31, s7
	v_lshlrev_b64 v[11:12], 3, v[10:11]
	s_delay_alu instid0(VALU_DEP_2) | instskip(NEXT) | instid1(VALU_DEP_1)
	s_and_b32 s0, vcc_lo, s0
	v_add_co_u32 v11, s1, s3, v11
	s_delay_alu instid0(VALU_DEP_1)
	v_add_co_ci_u32_e64 v12, s1, s6, v12, s1
	s_and_saveexec_b32 s1, s0
	s_cbranch_execz .LBB1095_5
; %bb.4:
	v_ashrrev_i32_e32 v10, 31, v9
	s_delay_alu instid0(VALU_DEP_1) | instskip(NEXT) | instid1(VALU_DEP_1)
	v_lshlrev_b64 v[13:14], 3, v[9:10]
	v_add_co_u32 v13, s0, v11, v13
	s_delay_alu instid0(VALU_DEP_1)
	v_add_co_ci_u32_e64 v14, s0, v12, v14, s0
	global_store_b64 v[13:14], v[7:8], off
.LBB1095_5:
	s_or_b32 exec_lo, exec_lo, s1
	v_add_nc_u32_e32 v7, 16, v9
	s_delay_alu instid0(VALU_DEP_1) | instskip(NEXT) | instid1(VALU_DEP_1)
	v_cmp_le_i32_e64 s0, v7, v0
	s_and_b32 s1, vcc_lo, s0
	s_delay_alu instid0(SALU_CYCLE_1)
	s_and_saveexec_b32 s0, s1
	s_cbranch_execz .LBB1095_7
; %bb.6:
	v_ashrrev_i32_e32 v8, 31, v7
	s_delay_alu instid0(VALU_DEP_1) | instskip(NEXT) | instid1(VALU_DEP_1)
	v_lshlrev_b64 v[13:14], 3, v[7:8]
	v_add_co_u32 v10, vcc_lo, v11, v13
	s_delay_alu instid0(VALU_DEP_2)
	v_add_co_ci_u32_e32 v11, vcc_lo, v12, v14, vcc_lo
	global_store_b64 v[10:11], v[5:6], off
.LBB1095_7:
	s_or_b32 exec_lo, exec_lo, s0
	v_add_nc_u32_e32 v0, 16, v0
	s_delay_alu instid0(VALU_DEP_1) | instskip(SKIP_3) | instid1(VALU_DEP_4)
	v_ashrrev_i32_e32 v8, 31, v0
	v_mul_lo_u32 v10, v0, s5
	v_mad_u64_u32 v[5:6], null, v0, s4, 0
	v_cmp_gt_i32_e32 vcc_lo, s2, v0
	v_mul_lo_u32 v8, v8, s4
	v_cmp_le_i32_e64 s0, v9, v0
	s_delay_alu instid0(VALU_DEP_1) | instskip(NEXT) | instid1(VALU_DEP_2)
	s_and_b32 s0, vcc_lo, s0
	v_add3_u32 v6, v6, v10, v8
	s_delay_alu instid0(VALU_DEP_1) | instskip(NEXT) | instid1(VALU_DEP_1)
	v_lshlrev_b64 v[5:6], 3, v[5:6]
	v_add_co_u32 v5, s1, s3, v5
	s_delay_alu instid0(VALU_DEP_1)
	v_add_co_ci_u32_e64 v6, s1, s6, v6, s1
	s_and_saveexec_b32 s1, s0
	s_cbranch_execz .LBB1095_9
; %bb.8:
	v_ashrrev_i32_e32 v10, 31, v9
	s_delay_alu instid0(VALU_DEP_1) | instskip(NEXT) | instid1(VALU_DEP_1)
	v_lshlrev_b64 v[8:9], 3, v[9:10]
	v_add_co_u32 v8, s0, v5, v8
	s_delay_alu instid0(VALU_DEP_1)
	v_add_co_ci_u32_e64 v9, s0, v6, v9, s0
	global_store_b64 v[8:9], v[3:4], off
.LBB1095_9:
	s_or_b32 exec_lo, exec_lo, s1
	v_cmp_le_i32_e64 s0, v7, v0
	s_delay_alu instid0(VALU_DEP_1) | instskip(NEXT) | instid1(SALU_CYCLE_1)
	s_and_b32 s0, vcc_lo, s0
	s_and_saveexec_b32 s1, s0
	s_cbranch_execz .LBB1095_11
; %bb.10:
	v_ashrrev_i32_e32 v8, 31, v7
	s_delay_alu instid0(VALU_DEP_1) | instskip(NEXT) | instid1(VALU_DEP_1)
	v_lshlrev_b64 v[3:4], 3, v[7:8]
	v_add_co_u32 v3, vcc_lo, v5, v3
	s_delay_alu instid0(VALU_DEP_2)
	v_add_co_ci_u32_e32 v4, vcc_lo, v6, v4, vcc_lo
	global_store_b64 v[3:4], v[1:2], off
.LBB1095_11:
	s_nop 0
	s_sendmsg sendmsg(MSG_DEALLOC_VGPRS)
	s_endpgm
	.section	.rodata,"a",@progbits
	.p2align	6, 0x0
	.amdhsa_kernel _ZL37rocblas_syrkx_herkx_restricted_kernelIl19rocblas_complex_numIfELi16ELi32ELi8ELi1ELi0ELb0ELc84ELc85EKS1_S1_EviT_PT9_S3_lS5_S3_lPT10_S3_li
		.amdhsa_group_segment_fixed_size 4096
		.amdhsa_private_segment_fixed_size 0
		.amdhsa_kernarg_size 92
		.amdhsa_user_sgpr_count 13
		.amdhsa_user_sgpr_dispatch_ptr 0
		.amdhsa_user_sgpr_queue_ptr 0
		.amdhsa_user_sgpr_kernarg_segment_ptr 1
		.amdhsa_user_sgpr_dispatch_id 0
		.amdhsa_user_sgpr_private_segment_size 0
		.amdhsa_wavefront_size32 1
		.amdhsa_uses_dynamic_stack 0
		.amdhsa_enable_private_segment 0
		.amdhsa_system_sgpr_workgroup_id_x 1
		.amdhsa_system_sgpr_workgroup_id_y 1
		.amdhsa_system_sgpr_workgroup_id_z 1
		.amdhsa_system_sgpr_workgroup_info 0
		.amdhsa_system_vgpr_workitem_id 1
		.amdhsa_next_free_vgpr 92
		.amdhsa_next_free_sgpr 32
		.amdhsa_reserve_vcc 1
		.amdhsa_float_round_mode_32 0
		.amdhsa_float_round_mode_16_64 0
		.amdhsa_float_denorm_mode_32 3
		.amdhsa_float_denorm_mode_16_64 3
		.amdhsa_dx10_clamp 1
		.amdhsa_ieee_mode 1
		.amdhsa_fp16_overflow 0
		.amdhsa_workgroup_processor_mode 1
		.amdhsa_memory_ordered 1
		.amdhsa_forward_progress 0
		.amdhsa_shared_vgpr_count 0
		.amdhsa_exception_fp_ieee_invalid_op 0
		.amdhsa_exception_fp_denorm_src 0
		.amdhsa_exception_fp_ieee_div_zero 0
		.amdhsa_exception_fp_ieee_overflow 0
		.amdhsa_exception_fp_ieee_underflow 0
		.amdhsa_exception_fp_ieee_inexact 0
		.amdhsa_exception_int_div_zero 0
	.end_amdhsa_kernel
	.section	.text._ZL37rocblas_syrkx_herkx_restricted_kernelIl19rocblas_complex_numIfELi16ELi32ELi8ELi1ELi0ELb0ELc84ELc85EKS1_S1_EviT_PT9_S3_lS5_S3_lPT10_S3_li,"axG",@progbits,_ZL37rocblas_syrkx_herkx_restricted_kernelIl19rocblas_complex_numIfELi16ELi32ELi8ELi1ELi0ELb0ELc84ELc85EKS1_S1_EviT_PT9_S3_lS5_S3_lPT10_S3_li,comdat
.Lfunc_end1095:
	.size	_ZL37rocblas_syrkx_herkx_restricted_kernelIl19rocblas_complex_numIfELi16ELi32ELi8ELi1ELi0ELb0ELc84ELc85EKS1_S1_EviT_PT9_S3_lS5_S3_lPT10_S3_li, .Lfunc_end1095-_ZL37rocblas_syrkx_herkx_restricted_kernelIl19rocblas_complex_numIfELi16ELi32ELi8ELi1ELi0ELb0ELc84ELc85EKS1_S1_EviT_PT9_S3_lS5_S3_lPT10_S3_li
                                        ; -- End function
	.section	.AMDGPU.csdata,"",@progbits
; Kernel info:
; codeLenInByte = 2120
; NumSgprs: 34
; NumVgprs: 92
; ScratchSize: 0
; MemoryBound: 0
; FloatMode: 240
; IeeeMode: 1
; LDSByteSize: 4096 bytes/workgroup (compile time only)
; SGPRBlocks: 4
; VGPRBlocks: 11
; NumSGPRsForWavesPerEU: 34
; NumVGPRsForWavesPerEU: 92
; Occupancy: 16
; WaveLimiterHint : 1
; COMPUTE_PGM_RSRC2:SCRATCH_EN: 0
; COMPUTE_PGM_RSRC2:USER_SGPR: 13
; COMPUTE_PGM_RSRC2:TRAP_HANDLER: 0
; COMPUTE_PGM_RSRC2:TGID_X_EN: 1
; COMPUTE_PGM_RSRC2:TGID_Y_EN: 1
; COMPUTE_PGM_RSRC2:TGID_Z_EN: 1
; COMPUTE_PGM_RSRC2:TIDIG_COMP_CNT: 1
	.section	.text._ZL37rocblas_syrkx_herkx_restricted_kernelIl19rocblas_complex_numIfELi16ELi32ELi8ELi1ELi0ELb0ELc67ELc85EKS1_S1_EviT_PT9_S3_lS5_S3_lPT10_S3_li,"axG",@progbits,_ZL37rocblas_syrkx_herkx_restricted_kernelIl19rocblas_complex_numIfELi16ELi32ELi8ELi1ELi0ELb0ELc67ELc85EKS1_S1_EviT_PT9_S3_lS5_S3_lPT10_S3_li,comdat
	.globl	_ZL37rocblas_syrkx_herkx_restricted_kernelIl19rocblas_complex_numIfELi16ELi32ELi8ELi1ELi0ELb0ELc67ELc85EKS1_S1_EviT_PT9_S3_lS5_S3_lPT10_S3_li ; -- Begin function _ZL37rocblas_syrkx_herkx_restricted_kernelIl19rocblas_complex_numIfELi16ELi32ELi8ELi1ELi0ELb0ELc67ELc85EKS1_S1_EviT_PT9_S3_lS5_S3_lPT10_S3_li
	.p2align	8
	.type	_ZL37rocblas_syrkx_herkx_restricted_kernelIl19rocblas_complex_numIfELi16ELi32ELi8ELi1ELi0ELb0ELc67ELc85EKS1_S1_EviT_PT9_S3_lS5_S3_lPT10_S3_li,@function
_ZL37rocblas_syrkx_herkx_restricted_kernelIl19rocblas_complex_numIfELi16ELi32ELi8ELi1ELi0ELb0ELc67ELc85EKS1_S1_EviT_PT9_S3_lS5_S3_lPT10_S3_li: ; @_ZL37rocblas_syrkx_herkx_restricted_kernelIl19rocblas_complex_numIfELi16ELi32ELi8ELi1ELi0ELb0ELc67ELc85EKS1_S1_EviT_PT9_S3_lS5_S3_lPT10_S3_li
; %bb.0:
	s_load_b512 s[16:31], s[0:1], 0x8
	v_dual_mov_b32 v7, 0 :: v_dual_mov_b32 v8, 0
	v_dual_mov_b32 v5, 0 :: v_dual_mov_b32 v6, 0
	;; [unrolled: 1-line block ×4, first 2 shown]
	v_and_b32_e32 v13, 0x3ff, v0
	v_bfe_u32 v0, v0, 10, 10
	s_lshl_b32 s8, s13, 5
	s_lshl_b32 s9, s14, 5
	s_waitcnt lgkmcnt(0)
	v_cmp_lt_i64_e64 s2, s[16:17], 1
	s_delay_alu instid0(VALU_DEP_1)
	s_and_b32 vcc_lo, exec_lo, s2
	s_cbranch_vccnz .LBB1096_3
; %bb.1:
	v_lshl_add_u32 v3, v0, 4, v13
	v_dual_mov_b32 v2, 0 :: v_dual_and_b32 v1, 7, v13
	s_mul_i32 s3, s23, s15
	s_mul_hi_u32 s4, s22, s15
	s_delay_alu instid0(VALU_DEP_2)
	v_and_b32_e32 v9, 31, v3
	v_lshrrev_b32_e32 v10, 3, v3
	v_mov_b32_e32 v4, v2
	v_lshrrev_b32_e32 v3, 5, v3
	v_lshlrev_b32_e32 v12, 3, v1
	v_add_nc_u32_e32 v7, s8, v9
	v_add_nc_u32_e32 v11, s9, v10
	v_lshlrev_b32_e32 v9, 3, v9
	s_mul_i32 s2, s22, s15
	s_add_i32 s3, s4, s3
	v_ashrrev_i32_e32 v8, 31, v7
	v_ashrrev_i32_e32 v15, 31, v11
	v_mad_u64_u32 v[5:6], null, s20, v7, v[3:4]
	v_mul_lo_u32 v4, s21, v7
	s_delay_alu instid0(VALU_DEP_4)
	v_mul_lo_u32 v16, s20, v8
	v_mul_lo_u32 v17, v11, s27
	v_mad_u64_u32 v[7:8], null, v11, s26, v[1:2]
	v_mul_lo_u32 v1, v15, s26
	s_lshl_b64 s[2:3], s[2:3], 3
	v_lshl_or_b32 v15, v3, 8, v9
	s_add_u32 s4, s18, s2
	v_add3_u32 v6, v4, v6, v16
	s_mul_i32 s2, s29, s15
	s_mul_hi_u32 s5, s28, s15
	s_addc_u32 s6, s19, s3
	v_add3_u32 v8, v1, v8, v17
	v_lshlrev_b64 v[3:4], 3, v[5:6]
	s_add_i32 s3, s5, s2
	s_mul_i32 s2, s28, s15
	v_lshl_or_b32 v10, v10, 6, v12
	v_lshlrev_b64 v[5:6], 3, v[7:8]
	v_mov_b32_e32 v8, v2
	s_lshl_b64 s[2:3], s[2:3], 3
	v_add_co_u32 v1, vcc_lo, s4, v3
	s_add_u32 s2, s24, s2
	v_add_co_ci_u32_e32 v3, vcc_lo, s6, v4, vcc_lo
	s_addc_u32 s3, s25, s3
	v_add_co_u32 v4, vcc_lo, s2, v5
	v_add_co_ci_u32_e32 v5, vcc_lo, s3, v6, vcc_lo
	v_add_co_u32 v9, vcc_lo, v1, 4
	v_add_nc_u32_e32 v16, 0x800, v10
	v_add_co_ci_u32_e32 v10, vcc_lo, 0, v3, vcc_lo
	v_add_co_u32 v11, vcc_lo, v4, 4
	v_dual_mov_b32 v1, v2 :: v_dual_lshlrev_b32 v14, 3, v13
	v_lshl_add_u32 v17, v0, 6, 0x800
	v_add_co_ci_u32_e32 v12, vcc_lo, 0, v5, vcc_lo
	v_mov_b32_e32 v4, v2
	v_mov_b32_e32 v3, v2
	;; [unrolled: 1-line block ×5, first 2 shown]
	s_mov_b64 s[2:3], 0
.LBB1096_2:                             ; =>This Inner Loop Header: Depth=1
	global_load_b64 v[18:19], v[9:10], off offset:-4
	global_load_b64 v[20:21], v[11:12], off offset:-4
	s_add_u32 s2, s2, 8
	v_add_co_u32 v9, vcc_lo, v9, 64
	s_addc_u32 s3, s3, 0
	v_add_co_ci_u32_e32 v10, vcc_lo, 0, v10, vcc_lo
	v_cmp_ge_u64_e64 s4, s[2:3], s[16:17]
	v_add_co_u32 v11, vcc_lo, v11, 64
	v_add_co_ci_u32_e32 v12, vcc_lo, 0, v12, vcc_lo
	s_waitcnt vmcnt(1)
	ds_store_b64 v15, v[18:19]
	s_waitcnt vmcnt(0)
	ds_store_b64 v16, v[20:21]
	s_waitcnt lgkmcnt(0)
	s_barrier
	buffer_gl0_inv
	ds_load_2addr_b64 v[18:21], v14 offset1:16
	ds_load_b128 v[22:25], v17
	ds_load_b128 v[26:29], v17 offset:1024
	ds_load_b128 v[30:33], v17 offset:16
	ds_load_b128 v[34:37], v17 offset:32
	ds_load_b128 v[38:41], v17 offset:48
	ds_load_2addr_b64 v[42:45], v14 offset0:32 offset1:48
	ds_load_2addr_b64 v[46:49], v14 offset0:64 offset1:80
	ds_load_b128 v[50:53], v17 offset:1040
	ds_load_2addr_b64 v[54:57], v14 offset0:96 offset1:112
	ds_load_2addr_b64 v[58:61], v14 offset0:128 offset1:144
	;; [unrolled: 1-line block ×4, first 2 shown]
	ds_load_b128 v[70:73], v17 offset:1056
	ds_load_b128 v[74:77], v17 offset:1072
	ds_load_2addr_b64 v[78:81], v14 offset0:224 offset1:240
	s_and_b32 vcc_lo, exec_lo, s4
	s_waitcnt lgkmcnt(0)
	s_barrier
	buffer_gl0_inv
	v_dual_mul_f32 v82, v23, v19 :: v_dual_mul_f32 v85, v22, v21
	v_dual_mul_f32 v83, v22, v19 :: v_dual_mul_f32 v84, v23, v21
	v_mul_f32_e32 v86, v27, v19
	v_dual_mul_f32 v19, v26, v19 :: v_dual_mul_f32 v90, v25, v45
	v_dual_mul_f32 v87, v27, v21 :: v_dual_mul_f32 v88, v25, v43
	v_mul_f32_e32 v21, v26, v21
	v_mul_f32_e32 v89, v24, v43
	;; [unrolled: 1-line block ×3, first 2 shown]
	v_fma_f32 v82, v22, v18, -v82
	v_fmac_f32_e32 v83, v23, v18
	v_fma_f32 v22, v22, v20, -v84
	v_dual_fmac_f32 v85, v23, v20 :: v_dual_mul_f32 v84, v30, v47
	v_fma_f32 v23, v26, v18, -v86
	v_fmac_f32_e32 v19, v27, v18
	v_fma_f32 v18, v26, v20, -v87
	v_dual_mul_f32 v26, v28, v43 :: v_dual_fmac_f32 v21, v27, v20
	v_mul_f32_e32 v20, v29, v43
	v_mul_f32_e32 v27, v29, v45
	v_dual_mul_f32 v43, v28, v45 :: v_dual_fmac_f32 v84, v31, v46
	v_fma_f32 v45, v24, v42, -v88
	v_fma_f32 v24, v24, v44, -v90
	v_dual_fmac_f32 v91, v25, v44 :: v_dual_mul_f32 v90, v32, v57
	v_dual_mul_f32 v86, v31, v49 :: v_dual_fmac_f32 v89, v25, v42
	v_dual_mul_f32 v25, v31, v47 :: v_dual_mul_f32 v88, v33, v57
	v_fma_f32 v20, v28, v42, -v20
	v_fmac_f32_e32 v26, v29, v42
	v_fma_f32 v27, v28, v44, -v27
	v_dual_fmac_f32 v43, v29, v44 :: v_dual_mul_f32 v28, v51, v47
	v_dual_mul_f32 v29, v50, v47 :: v_dual_mul_f32 v42, v51, v49
	v_mul_f32_e32 v44, v50, v49
	v_mul_f32_e32 v87, v30, v49
	;; [unrolled: 1-line block ×3, first 2 shown]
	v_dual_mul_f32 v49, v32, v55 :: v_dual_fmac_f32 v90, v33, v56
	v_fma_f32 v25, v30, v46, -v25
	v_fma_f32 v30, v30, v48, -v86
	;; [unrolled: 1-line block ×3, first 2 shown]
	v_fmac_f32_e32 v44, v51, v48
	v_fmac_f32_e32 v87, v31, v48
	v_fma_f32 v31, v50, v48, -v42
	v_mul_f32_e32 v42, v53, v55
	v_mul_f32_e32 v48, v53, v57
	v_dual_mul_f32 v50, v52, v57 :: v_dual_fmac_f32 v29, v51, v46
	v_mul_f32_e32 v46, v52, v55
	v_fma_f32 v47, v32, v54, -v47
	v_fmac_f32_e32 v49, v33, v54
	v_fma_f32 v32, v32, v56, -v88
	s_delay_alu instid0(VALU_DEP_4)
	v_dual_mul_f32 v33, v35, v59 :: v_dual_fmac_f32 v46, v53, v54
	v_mul_f32_e32 v51, v34, v59
	v_mul_f32_e32 v55, v35, v61
	v_fma_f32 v42, v52, v54, -v42
	v_fma_f32 v48, v52, v56, -v48
	v_fmac_f32_e32 v50, v53, v56
	v_mul_f32_e32 v52, v71, v59
	v_dual_mul_f32 v53, v70, v59 :: v_dual_mul_f32 v86, v37, v65
	v_mul_f32_e32 v54, v71, v61
	v_dual_mul_f32 v56, v70, v61 :: v_dual_mul_f32 v59, v37, v63
	v_mul_f32_e32 v57, v34, v61
	v_mul_f32_e32 v61, v36, v63
	v_dual_mul_f32 v88, v36, v65 :: v_dual_fmac_f32 v51, v35, v58
	v_fma_f32 v33, v34, v58, -v33
	v_fmac_f32_e32 v53, v71, v58
	v_fmac_f32_e32 v56, v71, v60
	s_delay_alu instid0(VALU_DEP_4)
	v_fmac_f32_e32 v88, v37, v64
	v_fmac_f32_e32 v57, v35, v60
	v_fma_f32 v35, v70, v58, -v52
	v_fma_f32 v52, v70, v60, -v54
	v_mul_f32_e32 v54, v73, v63
	v_fma_f32 v34, v34, v60, -v55
	v_mul_f32_e32 v60, v72, v65
	v_dual_mul_f32 v55, v72, v63 :: v_dual_mul_f32 v70, v38, v69
	v_mul_f32_e32 v58, v73, v65
	v_fma_f32 v59, v36, v62, -v59
	v_fmac_f32_e32 v61, v37, v62
	v_fma_f32 v36, v36, v64, -v86
	v_dual_mul_f32 v37, v39, v67 :: v_dual_fmac_f32 v60, v73, v64
	v_dual_mul_f32 v63, v38, v67 :: v_dual_mul_f32 v86, v40, v81
	v_mul_f32_e32 v65, v39, v69
	v_fma_f32 v54, v72, v62, -v54
	v_fmac_f32_e32 v55, v73, v62
	v_fma_f32 v58, v72, v64, -v58
	v_mul_f32_e32 v72, v40, v79
	v_mul_f32_e32 v62, v75, v67
	v_dual_mul_f32 v64, v74, v67 :: v_dual_mul_f32 v67, v75, v69
	v_dual_mul_f32 v69, v74, v69 :: v_dual_fmac_f32 v70, v39, v68
	s_delay_alu instid0(VALU_DEP_2)
	v_dual_mul_f32 v71, v41, v79 :: v_dual_fmac_f32 v64, v75, v66
	v_fma_f32 v37, v38, v66, -v37
	v_fmac_f32_e32 v63, v39, v66
	v_fma_f32 v39, v74, v66, -v62
	v_dual_mul_f32 v66, v76, v79 :: v_dual_mul_f32 v73, v41, v81
	v_add_f32_e32 v8, v8, v83
	v_fma_f32 v38, v38, v68, -v65
	v_fma_f32 v62, v74, v68, -v67
	v_dual_fmac_f32 v69, v75, v68 :: v_dual_fmac_f32 v72, v41, v78
	v_dual_mul_f32 v65, v77, v79 :: v_dual_add_f32 v6, v6, v85
	v_dual_mul_f32 v67, v77, v81 :: v_dual_add_f32 v4, v4, v19
	v_mul_f32_e32 v68, v76, v81
	v_dual_fmac_f32 v86, v41, v80 :: v_dual_add_f32 v7, v7, v82
	v_dual_fmac_f32 v66, v77, v78 :: v_dual_add_f32 v3, v3, v23
	v_dual_add_f32 v5, v5, v22 :: v_dual_add_f32 v2, v2, v21
	v_dual_add_f32 v1, v1, v18 :: v_dual_add_f32 v8, v8, v89
	s_delay_alu instid0(VALU_DEP_4) | instskip(NEXT) | instid1(VALU_DEP_3)
	v_dual_fmac_f32 v68, v77, v80 :: v_dual_add_f32 v7, v7, v45
	v_dual_add_f32 v5, v5, v24 :: v_dual_add_f32 v6, v6, v91
	v_dual_add_f32 v3, v3, v20 :: v_dual_add_f32 v4, v4, v26
	s_delay_alu instid0(VALU_DEP_4) | instskip(NEXT) | instid1(VALU_DEP_4)
	v_dual_add_f32 v1, v1, v27 :: v_dual_add_f32 v8, v8, v84
	v_dual_add_f32 v2, v2, v43 :: v_dual_add_f32 v7, v7, v25
	s_delay_alu instid0(VALU_DEP_4) | instskip(NEXT) | instid1(VALU_DEP_4)
	v_dual_add_f32 v5, v5, v30 :: v_dual_add_f32 v6, v6, v87
	v_dual_add_f32 v3, v3, v28 :: v_dual_add_f32 v4, v4, v29
	s_delay_alu instid0(VALU_DEP_3) | instskip(NEXT) | instid1(VALU_DEP_4)
	v_dual_add_f32 v1, v1, v31 :: v_dual_add_f32 v2, v2, v44
	v_dual_add_f32 v7, v7, v47 :: v_dual_add_f32 v8, v8, v49
	s_delay_alu instid0(VALU_DEP_4) | instskip(NEXT) | instid1(VALU_DEP_4)
	v_dual_add_f32 v5, v5, v32 :: v_dual_add_f32 v6, v6, v90
	v_add_f32_e32 v3, v3, v42
	s_delay_alu instid0(VALU_DEP_4) | instskip(NEXT) | instid1(VALU_DEP_4)
	v_dual_add_f32 v4, v4, v46 :: v_dual_add_f32 v1, v1, v48
	v_dual_add_f32 v2, v2, v50 :: v_dual_add_f32 v7, v7, v33
	s_delay_alu instid0(VALU_DEP_4) | instskip(NEXT) | instid1(VALU_DEP_4)
	v_dual_add_f32 v8, v8, v51 :: v_dual_add_f32 v5, v5, v34
	v_dual_add_f32 v6, v6, v57 :: v_dual_add_f32 v3, v3, v35
	s_delay_alu instid0(VALU_DEP_4) | instskip(NEXT) | instid1(VALU_DEP_3)
	v_dual_add_f32 v4, v4, v53 :: v_dual_add_f32 v1, v1, v52
	v_add_f32_e32 v8, v8, v61
	v_dual_add_f32 v2, v2, v56 :: v_dual_add_f32 v7, v7, v59
	s_delay_alu instid0(VALU_DEP_3) | instskip(SKIP_1) | instid1(VALU_DEP_3)
	v_dual_add_f32 v5, v5, v36 :: v_dual_add_f32 v4, v4, v55
	v_dual_add_f32 v6, v6, v88 :: v_dual_add_f32 v3, v3, v54
	;; [unrolled: 1-line block ×3, first 2 shown]
	v_fma_f32 v71, v40, v78, -v71
	v_fma_f32 v40, v40, v80, -v73
	;; [unrolled: 1-line block ×4, first 2 shown]
	v_dual_add_f32 v7, v7, v37 :: v_dual_add_f32 v8, v8, v63
	v_dual_add_f32 v5, v5, v38 :: v_dual_add_f32 v4, v4, v64
	v_dual_add_f32 v6, v6, v70 :: v_dual_add_f32 v3, v3, v39
	v_dual_add_f32 v1, v1, v62 :: v_dual_add_f32 v2, v2, v69
	s_delay_alu instid0(VALU_DEP_4) | instskip(NEXT) | instid1(VALU_DEP_3)
	v_dual_add_f32 v7, v7, v71 :: v_dual_add_f32 v8, v8, v72
	v_dual_add_f32 v5, v5, v40 :: v_dual_add_f32 v6, v6, v86
	s_delay_alu instid0(VALU_DEP_4) | instskip(NEXT) | instid1(VALU_DEP_4)
	v_dual_add_f32 v3, v3, v41 :: v_dual_add_f32 v4, v4, v66
	v_dual_add_f32 v1, v1, v65 :: v_dual_add_f32 v2, v2, v68
	s_cbranch_vccz .LBB1096_2
.LBB1096_3:
	s_clause 0x1
	s_load_b128 s[4:7], s[0:1], 0x48
	s_load_b32 s2, s[0:1], 0x0
	v_add_nc_u32_e32 v0, s9, v0
	s_delay_alu instid0(VALU_DEP_1) | instskip(SKIP_1) | instid1(VALU_DEP_1)
	v_ashrrev_i32_e32 v9, 31, v0
	s_waitcnt lgkmcnt(0)
	v_mul_lo_u32 v12, v9, s4
	v_mul_lo_u32 v14, v0, s5
	v_mad_u64_u32 v[10:11], null, v0, s4, 0
	s_mul_i32 s1, s15, s7
	s_mul_hi_u32 s3, s15, s6
	s_mul_i32 s6, s15, s6
	s_add_i32 s7, s3, s1
	v_add_nc_u32_e32 v9, s8, v13
	s_lshl_b64 s[6:7], s[6:7], 3
	s_delay_alu instid0(VALU_DEP_2)
	v_add3_u32 v11, v11, v14, v12
	s_add_u32 s3, s30, s6
	v_cmp_gt_i32_e32 vcc_lo, s2, v0
	v_cmp_le_i32_e64 s0, v9, v0
	s_addc_u32 s6, s31, s7
	v_lshlrev_b64 v[11:12], 3, v[10:11]
	s_delay_alu instid0(VALU_DEP_2) | instskip(NEXT) | instid1(VALU_DEP_1)
	s_and_b32 s0, vcc_lo, s0
	v_add_co_u32 v11, s1, s3, v11
	s_delay_alu instid0(VALU_DEP_1)
	v_add_co_ci_u32_e64 v12, s1, s6, v12, s1
	s_and_saveexec_b32 s1, s0
	s_cbranch_execz .LBB1096_5
; %bb.4:
	v_ashrrev_i32_e32 v10, 31, v9
	s_delay_alu instid0(VALU_DEP_1) | instskip(NEXT) | instid1(VALU_DEP_1)
	v_lshlrev_b64 v[13:14], 3, v[9:10]
	v_add_co_u32 v13, s0, v11, v13
	s_delay_alu instid0(VALU_DEP_1)
	v_add_co_ci_u32_e64 v14, s0, v12, v14, s0
	global_store_b64 v[13:14], v[7:8], off
.LBB1096_5:
	s_or_b32 exec_lo, exec_lo, s1
	v_add_nc_u32_e32 v7, 16, v9
	s_delay_alu instid0(VALU_DEP_1) | instskip(NEXT) | instid1(VALU_DEP_1)
	v_cmp_le_i32_e64 s0, v7, v0
	s_and_b32 s1, vcc_lo, s0
	s_delay_alu instid0(SALU_CYCLE_1)
	s_and_saveexec_b32 s0, s1
	s_cbranch_execz .LBB1096_7
; %bb.6:
	v_ashrrev_i32_e32 v8, 31, v7
	s_delay_alu instid0(VALU_DEP_1) | instskip(NEXT) | instid1(VALU_DEP_1)
	v_lshlrev_b64 v[13:14], 3, v[7:8]
	v_add_co_u32 v10, vcc_lo, v11, v13
	s_delay_alu instid0(VALU_DEP_2)
	v_add_co_ci_u32_e32 v11, vcc_lo, v12, v14, vcc_lo
	global_store_b64 v[10:11], v[5:6], off
.LBB1096_7:
	s_or_b32 exec_lo, exec_lo, s0
	v_add_nc_u32_e32 v0, 16, v0
	s_delay_alu instid0(VALU_DEP_1) | instskip(SKIP_3) | instid1(VALU_DEP_4)
	v_ashrrev_i32_e32 v8, 31, v0
	v_mul_lo_u32 v10, v0, s5
	v_mad_u64_u32 v[5:6], null, v0, s4, 0
	v_cmp_gt_i32_e32 vcc_lo, s2, v0
	v_mul_lo_u32 v8, v8, s4
	v_cmp_le_i32_e64 s0, v9, v0
	s_delay_alu instid0(VALU_DEP_1) | instskip(NEXT) | instid1(VALU_DEP_2)
	s_and_b32 s0, vcc_lo, s0
	v_add3_u32 v6, v6, v10, v8
	s_delay_alu instid0(VALU_DEP_1) | instskip(NEXT) | instid1(VALU_DEP_1)
	v_lshlrev_b64 v[5:6], 3, v[5:6]
	v_add_co_u32 v5, s1, s3, v5
	s_delay_alu instid0(VALU_DEP_1)
	v_add_co_ci_u32_e64 v6, s1, s6, v6, s1
	s_and_saveexec_b32 s1, s0
	s_cbranch_execz .LBB1096_9
; %bb.8:
	v_ashrrev_i32_e32 v10, 31, v9
	s_delay_alu instid0(VALU_DEP_1) | instskip(NEXT) | instid1(VALU_DEP_1)
	v_lshlrev_b64 v[8:9], 3, v[9:10]
	v_add_co_u32 v8, s0, v5, v8
	s_delay_alu instid0(VALU_DEP_1)
	v_add_co_ci_u32_e64 v9, s0, v6, v9, s0
	global_store_b64 v[8:9], v[3:4], off
.LBB1096_9:
	s_or_b32 exec_lo, exec_lo, s1
	v_cmp_le_i32_e64 s0, v7, v0
	s_delay_alu instid0(VALU_DEP_1) | instskip(NEXT) | instid1(SALU_CYCLE_1)
	s_and_b32 s0, vcc_lo, s0
	s_and_saveexec_b32 s1, s0
	s_cbranch_execz .LBB1096_11
; %bb.10:
	v_ashrrev_i32_e32 v8, 31, v7
	s_delay_alu instid0(VALU_DEP_1) | instskip(NEXT) | instid1(VALU_DEP_1)
	v_lshlrev_b64 v[3:4], 3, v[7:8]
	v_add_co_u32 v3, vcc_lo, v5, v3
	s_delay_alu instid0(VALU_DEP_2)
	v_add_co_ci_u32_e32 v4, vcc_lo, v6, v4, vcc_lo
	global_store_b64 v[3:4], v[1:2], off
.LBB1096_11:
	s_nop 0
	s_sendmsg sendmsg(MSG_DEALLOC_VGPRS)
	s_endpgm
	.section	.rodata,"a",@progbits
	.p2align	6, 0x0
	.amdhsa_kernel _ZL37rocblas_syrkx_herkx_restricted_kernelIl19rocblas_complex_numIfELi16ELi32ELi8ELi1ELi0ELb0ELc67ELc85EKS1_S1_EviT_PT9_S3_lS5_S3_lPT10_S3_li
		.amdhsa_group_segment_fixed_size 4096
		.amdhsa_private_segment_fixed_size 0
		.amdhsa_kernarg_size 92
		.amdhsa_user_sgpr_count 13
		.amdhsa_user_sgpr_dispatch_ptr 0
		.amdhsa_user_sgpr_queue_ptr 0
		.amdhsa_user_sgpr_kernarg_segment_ptr 1
		.amdhsa_user_sgpr_dispatch_id 0
		.amdhsa_user_sgpr_private_segment_size 0
		.amdhsa_wavefront_size32 1
		.amdhsa_uses_dynamic_stack 0
		.amdhsa_enable_private_segment 0
		.amdhsa_system_sgpr_workgroup_id_x 1
		.amdhsa_system_sgpr_workgroup_id_y 1
		.amdhsa_system_sgpr_workgroup_id_z 1
		.amdhsa_system_sgpr_workgroup_info 0
		.amdhsa_system_vgpr_workitem_id 1
		.amdhsa_next_free_vgpr 92
		.amdhsa_next_free_sgpr 32
		.amdhsa_reserve_vcc 1
		.amdhsa_float_round_mode_32 0
		.amdhsa_float_round_mode_16_64 0
		.amdhsa_float_denorm_mode_32 3
		.amdhsa_float_denorm_mode_16_64 3
		.amdhsa_dx10_clamp 1
		.amdhsa_ieee_mode 1
		.amdhsa_fp16_overflow 0
		.amdhsa_workgroup_processor_mode 1
		.amdhsa_memory_ordered 1
		.amdhsa_forward_progress 0
		.amdhsa_shared_vgpr_count 0
		.amdhsa_exception_fp_ieee_invalid_op 0
		.amdhsa_exception_fp_denorm_src 0
		.amdhsa_exception_fp_ieee_div_zero 0
		.amdhsa_exception_fp_ieee_overflow 0
		.amdhsa_exception_fp_ieee_underflow 0
		.amdhsa_exception_fp_ieee_inexact 0
		.amdhsa_exception_int_div_zero 0
	.end_amdhsa_kernel
	.section	.text._ZL37rocblas_syrkx_herkx_restricted_kernelIl19rocblas_complex_numIfELi16ELi32ELi8ELi1ELi0ELb0ELc67ELc85EKS1_S1_EviT_PT9_S3_lS5_S3_lPT10_S3_li,"axG",@progbits,_ZL37rocblas_syrkx_herkx_restricted_kernelIl19rocblas_complex_numIfELi16ELi32ELi8ELi1ELi0ELb0ELc67ELc85EKS1_S1_EviT_PT9_S3_lS5_S3_lPT10_S3_li,comdat
.Lfunc_end1096:
	.size	_ZL37rocblas_syrkx_herkx_restricted_kernelIl19rocblas_complex_numIfELi16ELi32ELi8ELi1ELi0ELb0ELc67ELc85EKS1_S1_EviT_PT9_S3_lS5_S3_lPT10_S3_li, .Lfunc_end1096-_ZL37rocblas_syrkx_herkx_restricted_kernelIl19rocblas_complex_numIfELi16ELi32ELi8ELi1ELi0ELb0ELc67ELc85EKS1_S1_EviT_PT9_S3_lS5_S3_lPT10_S3_li
                                        ; -- End function
	.section	.AMDGPU.csdata,"",@progbits
; Kernel info:
; codeLenInByte = 2120
; NumSgprs: 34
; NumVgprs: 92
; ScratchSize: 0
; MemoryBound: 0
; FloatMode: 240
; IeeeMode: 1
; LDSByteSize: 4096 bytes/workgroup (compile time only)
; SGPRBlocks: 4
; VGPRBlocks: 11
; NumSGPRsForWavesPerEU: 34
; NumVGPRsForWavesPerEU: 92
; Occupancy: 16
; WaveLimiterHint : 1
; COMPUTE_PGM_RSRC2:SCRATCH_EN: 0
; COMPUTE_PGM_RSRC2:USER_SGPR: 13
; COMPUTE_PGM_RSRC2:TRAP_HANDLER: 0
; COMPUTE_PGM_RSRC2:TGID_X_EN: 1
; COMPUTE_PGM_RSRC2:TGID_Y_EN: 1
; COMPUTE_PGM_RSRC2:TGID_Z_EN: 1
; COMPUTE_PGM_RSRC2:TIDIG_COMP_CNT: 1
	.section	.text._ZL37rocblas_syrkx_herkx_restricted_kernelIl19rocblas_complex_numIfELi16ELi32ELi8ELi1ELi0ELb0ELc78ELc85EKS1_S1_EviT_PT9_S3_lS5_S3_lPT10_S3_li,"axG",@progbits,_ZL37rocblas_syrkx_herkx_restricted_kernelIl19rocblas_complex_numIfELi16ELi32ELi8ELi1ELi0ELb0ELc78ELc85EKS1_S1_EviT_PT9_S3_lS5_S3_lPT10_S3_li,comdat
	.globl	_ZL37rocblas_syrkx_herkx_restricted_kernelIl19rocblas_complex_numIfELi16ELi32ELi8ELi1ELi0ELb0ELc78ELc85EKS1_S1_EviT_PT9_S3_lS5_S3_lPT10_S3_li ; -- Begin function _ZL37rocblas_syrkx_herkx_restricted_kernelIl19rocblas_complex_numIfELi16ELi32ELi8ELi1ELi0ELb0ELc78ELc85EKS1_S1_EviT_PT9_S3_lS5_S3_lPT10_S3_li
	.p2align	8
	.type	_ZL37rocblas_syrkx_herkx_restricted_kernelIl19rocblas_complex_numIfELi16ELi32ELi8ELi1ELi0ELb0ELc78ELc85EKS1_S1_EviT_PT9_S3_lS5_S3_lPT10_S3_li,@function
_ZL37rocblas_syrkx_herkx_restricted_kernelIl19rocblas_complex_numIfELi16ELi32ELi8ELi1ELi0ELb0ELc78ELc85EKS1_S1_EviT_PT9_S3_lS5_S3_lPT10_S3_li: ; @_ZL37rocblas_syrkx_herkx_restricted_kernelIl19rocblas_complex_numIfELi16ELi32ELi8ELi1ELi0ELb0ELc78ELc85EKS1_S1_EviT_PT9_S3_lS5_S3_lPT10_S3_li
; %bb.0:
	s_load_b512 s[16:31], s[0:1], 0x8
	v_dual_mov_b32 v7, 0 :: v_dual_mov_b32 v8, 0
	v_dual_mov_b32 v5, 0 :: v_dual_mov_b32 v6, 0
	v_dual_mov_b32 v3, 0 :: v_dual_mov_b32 v4, 0
	v_dual_mov_b32 v1, 0 :: v_dual_mov_b32 v2, 0
	v_and_b32_e32 v13, 0x3ff, v0
	v_bfe_u32 v0, v0, 10, 10
	s_lshl_b32 s8, s13, 5
	s_lshl_b32 s9, s14, 5
	s_waitcnt lgkmcnt(0)
	v_cmp_lt_i64_e64 s2, s[16:17], 1
	s_delay_alu instid0(VALU_DEP_1)
	s_and_b32 vcc_lo, exec_lo, s2
	s_cbranch_vccnz .LBB1097_3
; %bb.1:
	v_lshl_add_u32 v2, v0, 4, v13
	v_and_b32_e32 v10, 7, v13
	s_mul_i32 s3, s23, s15
	s_mul_hi_u32 s5, s22, s15
	s_mul_i32 s2, s22, s15
	v_and_b32_e32 v8, 31, v2
	v_lshrrev_b32_e32 v9, 3, v2
	v_lshrrev_b32_e32 v11, 5, v2
	s_add_i32 s3, s5, s3
	s_mul_i32 s6, s29, s15
	v_add_nc_u32_e32 v1, s8, v8
	v_add_nc_u32_e32 v3, s9, v9
	s_lshl_b64 s[2:3], s[2:3], 3
	s_mul_hi_u32 s7, s28, s15
	s_add_u32 s10, s18, s2
	v_ashrrev_i32_e32 v2, 31, v1
	v_ashrrev_i32_e32 v4, 31, v3
	s_mul_i32 s4, s28, s15
	s_addc_u32 s11, s19, s3
	s_add_i32 s5, s7, s6
	v_mad_u64_u32 v[5:6], null, v11, s20, v[1:2]
	v_mad_u64_u32 v[1:2], null, v10, s26, v[3:4]
	s_lshl_b64 s[4:5], s[4:5], 3
	s_lshl_b64 s[2:3], s[20:21], 6
	v_lshlrev_b32_e32 v12, 3, v10
	s_add_u32 s4, s24, s4
	s_delay_alu instid0(VALU_DEP_3)
	v_mov_b32_e32 v3, v6
	s_addc_u32 s5, s25, s5
	v_lshlrev_b32_e32 v14, 3, v13
	v_lshl_add_u32 v15, v0, 6, 0x800
	s_mov_b64 s[6:7], 0
	v_mad_u64_u32 v[6:7], null, v11, s21, v[3:4]
	v_mad_u64_u32 v[3:4], null, v10, s27, v[2:3]
	s_delay_alu instid0(VALU_DEP_1) | instskip(NEXT) | instid1(VALU_DEP_3)
	v_dual_mov_b32 v2, v3 :: v_dual_lshlrev_b32 v7, 3, v8
	v_lshlrev_b64 v[3:4], 3, v[5:6]
	v_mov_b32_e32 v5, 0
	v_lshl_or_b32 v8, v9, 6, v12
	v_mov_b32_e32 v6, 0
	v_lshlrev_b64 v[1:2], 3, v[1:2]
	v_add_co_u32 v3, vcc_lo, s10, v3
	v_add_co_ci_u32_e32 v4, vcc_lo, s11, v4, vcc_lo
	s_delay_alu instid0(VALU_DEP_3) | instskip(NEXT) | instid1(VALU_DEP_4)
	v_add_co_u32 v1, vcc_lo, s4, v1
	v_add_co_ci_u32_e32 v2, vcc_lo, s5, v2, vcc_lo
	s_delay_alu instid0(VALU_DEP_4) | instskip(NEXT) | instid1(VALU_DEP_4)
	v_add_co_u32 v9, vcc_lo, v3, 4
	v_add_co_ci_u32_e32 v10, vcc_lo, 0, v4, vcc_lo
	v_mov_b32_e32 v4, 0
	v_lshl_or_b32 v16, v11, 8, v7
	v_add_co_u32 v11, vcc_lo, v1, 4
	v_add_nc_u32_e32 v17, 0x800, v8
	v_add_co_ci_u32_e32 v12, vcc_lo, 0, v2, vcc_lo
	v_dual_mov_b32 v2, 0 :: v_dual_mov_b32 v1, 0
	v_dual_mov_b32 v3, 0 :: v_dual_mov_b32 v8, 0
	v_mov_b32_e32 v7, 0
	s_lshl_b64 s[4:5], s[26:27], 6
.LBB1097_2:                             ; =>This Inner Loop Header: Depth=1
	global_load_b64 v[18:19], v[9:10], off offset:-4
	global_load_b64 v[20:21], v[11:12], off offset:-4
	s_add_u32 s6, s6, 8
	v_add_co_u32 v9, vcc_lo, v9, s2
	s_addc_u32 s7, s7, 0
	v_add_co_ci_u32_e32 v10, vcc_lo, s3, v10, vcc_lo
	v_cmp_ge_u64_e64 s10, s[6:7], s[16:17]
	v_add_co_u32 v11, vcc_lo, v11, s4
	v_add_co_ci_u32_e32 v12, vcc_lo, s5, v12, vcc_lo
	s_waitcnt vmcnt(1)
	ds_store_b64 v16, v[18:19]
	s_waitcnt vmcnt(0)
	ds_store_b64 v17, v[20:21]
	s_waitcnt lgkmcnt(0)
	s_barrier
	buffer_gl0_inv
	ds_load_2addr_b64 v[18:21], v14 offset1:16
	ds_load_b128 v[22:25], v15
	ds_load_b128 v[26:29], v15 offset:1024
	ds_load_b128 v[30:33], v15 offset:16
	;; [unrolled: 1-line block ×4, first 2 shown]
	ds_load_2addr_b64 v[42:45], v14 offset0:32 offset1:48
	ds_load_2addr_b64 v[46:49], v14 offset0:64 offset1:80
	ds_load_b128 v[50:53], v15 offset:1040
	ds_load_2addr_b64 v[54:57], v14 offset0:96 offset1:112
	ds_load_2addr_b64 v[58:61], v14 offset0:128 offset1:144
	;; [unrolled: 1-line block ×4, first 2 shown]
	ds_load_b128 v[70:73], v15 offset:1056
	ds_load_b128 v[74:77], v15 offset:1072
	ds_load_2addr_b64 v[78:81], v14 offset0:224 offset1:240
	s_and_b32 vcc_lo, exec_lo, s10
	s_waitcnt lgkmcnt(0)
	s_barrier
	buffer_gl0_inv
	v_dual_mul_f32 v82, v23, v19 :: v_dual_mul_f32 v85, v22, v21
	v_dual_mul_f32 v83, v22, v19 :: v_dual_mul_f32 v84, v23, v21
	v_mul_f32_e32 v86, v27, v19
	v_dual_mul_f32 v19, v26, v19 :: v_dual_mul_f32 v90, v25, v45
	v_dual_mul_f32 v87, v27, v21 :: v_dual_mul_f32 v88, v25, v43
	v_mul_f32_e32 v21, v26, v21
	v_mul_f32_e32 v89, v24, v43
	;; [unrolled: 1-line block ×3, first 2 shown]
	v_fma_f32 v82, v22, v18, -v82
	v_fmac_f32_e32 v83, v23, v18
	v_fma_f32 v22, v22, v20, -v84
	v_dual_fmac_f32 v85, v23, v20 :: v_dual_mul_f32 v84, v30, v47
	v_fma_f32 v23, v26, v18, -v86
	v_fmac_f32_e32 v19, v27, v18
	v_fma_f32 v18, v26, v20, -v87
	v_dual_mul_f32 v26, v28, v43 :: v_dual_fmac_f32 v21, v27, v20
	v_mul_f32_e32 v20, v29, v43
	v_mul_f32_e32 v27, v29, v45
	v_dual_mul_f32 v43, v28, v45 :: v_dual_fmac_f32 v84, v31, v46
	v_fma_f32 v45, v24, v42, -v88
	v_fma_f32 v24, v24, v44, -v90
	v_dual_fmac_f32 v91, v25, v44 :: v_dual_mul_f32 v90, v32, v57
	v_dual_mul_f32 v86, v31, v49 :: v_dual_fmac_f32 v89, v25, v42
	v_dual_mul_f32 v25, v31, v47 :: v_dual_mul_f32 v88, v33, v57
	v_fma_f32 v20, v28, v42, -v20
	v_fmac_f32_e32 v26, v29, v42
	v_fma_f32 v27, v28, v44, -v27
	v_dual_fmac_f32 v43, v29, v44 :: v_dual_mul_f32 v28, v51, v47
	v_dual_mul_f32 v29, v50, v47 :: v_dual_mul_f32 v42, v51, v49
	v_mul_f32_e32 v44, v50, v49
	v_mul_f32_e32 v87, v30, v49
	;; [unrolled: 1-line block ×3, first 2 shown]
	v_dual_mul_f32 v49, v32, v55 :: v_dual_fmac_f32 v90, v33, v56
	v_fma_f32 v25, v30, v46, -v25
	v_fma_f32 v30, v30, v48, -v86
	;; [unrolled: 1-line block ×3, first 2 shown]
	v_fmac_f32_e32 v44, v51, v48
	v_fmac_f32_e32 v87, v31, v48
	v_fma_f32 v31, v50, v48, -v42
	v_mul_f32_e32 v42, v53, v55
	v_mul_f32_e32 v48, v53, v57
	v_dual_mul_f32 v50, v52, v57 :: v_dual_fmac_f32 v29, v51, v46
	v_mul_f32_e32 v46, v52, v55
	v_fma_f32 v47, v32, v54, -v47
	v_fmac_f32_e32 v49, v33, v54
	v_fma_f32 v32, v32, v56, -v88
	s_delay_alu instid0(VALU_DEP_4)
	v_dual_mul_f32 v33, v35, v59 :: v_dual_fmac_f32 v46, v53, v54
	v_mul_f32_e32 v51, v34, v59
	v_mul_f32_e32 v55, v35, v61
	v_fma_f32 v42, v52, v54, -v42
	v_fma_f32 v48, v52, v56, -v48
	v_fmac_f32_e32 v50, v53, v56
	v_mul_f32_e32 v52, v71, v59
	v_dual_mul_f32 v53, v70, v59 :: v_dual_mul_f32 v86, v37, v65
	v_mul_f32_e32 v54, v71, v61
	v_dual_mul_f32 v56, v70, v61 :: v_dual_mul_f32 v59, v37, v63
	v_mul_f32_e32 v57, v34, v61
	v_mul_f32_e32 v61, v36, v63
	v_dual_mul_f32 v88, v36, v65 :: v_dual_fmac_f32 v51, v35, v58
	v_fma_f32 v33, v34, v58, -v33
	v_fmac_f32_e32 v53, v71, v58
	v_fmac_f32_e32 v56, v71, v60
	s_delay_alu instid0(VALU_DEP_4)
	v_fmac_f32_e32 v88, v37, v64
	v_fmac_f32_e32 v57, v35, v60
	v_fma_f32 v35, v70, v58, -v52
	v_fma_f32 v52, v70, v60, -v54
	v_mul_f32_e32 v54, v73, v63
	v_fma_f32 v34, v34, v60, -v55
	v_mul_f32_e32 v60, v72, v65
	v_dual_mul_f32 v55, v72, v63 :: v_dual_mul_f32 v70, v38, v69
	v_mul_f32_e32 v58, v73, v65
	v_fma_f32 v59, v36, v62, -v59
	v_fmac_f32_e32 v61, v37, v62
	v_fma_f32 v36, v36, v64, -v86
	v_dual_mul_f32 v37, v39, v67 :: v_dual_fmac_f32 v60, v73, v64
	v_dual_mul_f32 v63, v38, v67 :: v_dual_mul_f32 v86, v40, v81
	v_mul_f32_e32 v65, v39, v69
	v_fma_f32 v54, v72, v62, -v54
	v_fmac_f32_e32 v55, v73, v62
	v_fma_f32 v58, v72, v64, -v58
	v_mul_f32_e32 v72, v40, v79
	v_mul_f32_e32 v62, v75, v67
	v_dual_mul_f32 v64, v74, v67 :: v_dual_mul_f32 v67, v75, v69
	v_dual_mul_f32 v69, v74, v69 :: v_dual_fmac_f32 v70, v39, v68
	s_delay_alu instid0(VALU_DEP_2)
	v_dual_mul_f32 v71, v41, v79 :: v_dual_fmac_f32 v64, v75, v66
	v_fma_f32 v37, v38, v66, -v37
	v_fmac_f32_e32 v63, v39, v66
	v_fma_f32 v39, v74, v66, -v62
	v_dual_mul_f32 v66, v76, v79 :: v_dual_mul_f32 v73, v41, v81
	v_add_f32_e32 v8, v8, v83
	v_fma_f32 v38, v38, v68, -v65
	v_fma_f32 v62, v74, v68, -v67
	v_dual_fmac_f32 v69, v75, v68 :: v_dual_fmac_f32 v72, v41, v78
	v_dual_mul_f32 v65, v77, v79 :: v_dual_add_f32 v6, v6, v85
	v_dual_mul_f32 v67, v77, v81 :: v_dual_add_f32 v4, v4, v19
	v_mul_f32_e32 v68, v76, v81
	v_dual_fmac_f32 v86, v41, v80 :: v_dual_add_f32 v7, v7, v82
	v_dual_fmac_f32 v66, v77, v78 :: v_dual_add_f32 v3, v3, v23
	v_dual_add_f32 v5, v5, v22 :: v_dual_add_f32 v2, v2, v21
	v_dual_add_f32 v1, v1, v18 :: v_dual_add_f32 v8, v8, v89
	s_delay_alu instid0(VALU_DEP_4) | instskip(NEXT) | instid1(VALU_DEP_3)
	v_dual_fmac_f32 v68, v77, v80 :: v_dual_add_f32 v7, v7, v45
	v_dual_add_f32 v5, v5, v24 :: v_dual_add_f32 v6, v6, v91
	v_dual_add_f32 v3, v3, v20 :: v_dual_add_f32 v4, v4, v26
	s_delay_alu instid0(VALU_DEP_4) | instskip(NEXT) | instid1(VALU_DEP_4)
	v_dual_add_f32 v1, v1, v27 :: v_dual_add_f32 v8, v8, v84
	v_dual_add_f32 v2, v2, v43 :: v_dual_add_f32 v7, v7, v25
	s_delay_alu instid0(VALU_DEP_4) | instskip(NEXT) | instid1(VALU_DEP_4)
	v_dual_add_f32 v5, v5, v30 :: v_dual_add_f32 v6, v6, v87
	v_dual_add_f32 v3, v3, v28 :: v_dual_add_f32 v4, v4, v29
	s_delay_alu instid0(VALU_DEP_3) | instskip(NEXT) | instid1(VALU_DEP_4)
	v_dual_add_f32 v1, v1, v31 :: v_dual_add_f32 v2, v2, v44
	v_dual_add_f32 v7, v7, v47 :: v_dual_add_f32 v8, v8, v49
	s_delay_alu instid0(VALU_DEP_4) | instskip(NEXT) | instid1(VALU_DEP_4)
	v_dual_add_f32 v5, v5, v32 :: v_dual_add_f32 v6, v6, v90
	v_add_f32_e32 v3, v3, v42
	s_delay_alu instid0(VALU_DEP_4) | instskip(NEXT) | instid1(VALU_DEP_4)
	v_dual_add_f32 v4, v4, v46 :: v_dual_add_f32 v1, v1, v48
	v_dual_add_f32 v2, v2, v50 :: v_dual_add_f32 v7, v7, v33
	s_delay_alu instid0(VALU_DEP_4) | instskip(NEXT) | instid1(VALU_DEP_4)
	v_dual_add_f32 v8, v8, v51 :: v_dual_add_f32 v5, v5, v34
	v_dual_add_f32 v6, v6, v57 :: v_dual_add_f32 v3, v3, v35
	s_delay_alu instid0(VALU_DEP_4) | instskip(NEXT) | instid1(VALU_DEP_3)
	v_dual_add_f32 v4, v4, v53 :: v_dual_add_f32 v1, v1, v52
	v_add_f32_e32 v8, v8, v61
	v_dual_add_f32 v2, v2, v56 :: v_dual_add_f32 v7, v7, v59
	s_delay_alu instid0(VALU_DEP_3) | instskip(SKIP_1) | instid1(VALU_DEP_3)
	v_dual_add_f32 v5, v5, v36 :: v_dual_add_f32 v4, v4, v55
	v_dual_add_f32 v6, v6, v88 :: v_dual_add_f32 v3, v3, v54
	;; [unrolled: 1-line block ×3, first 2 shown]
	v_fma_f32 v71, v40, v78, -v71
	v_fma_f32 v40, v40, v80, -v73
	;; [unrolled: 1-line block ×4, first 2 shown]
	v_dual_add_f32 v7, v7, v37 :: v_dual_add_f32 v8, v8, v63
	v_dual_add_f32 v5, v5, v38 :: v_dual_add_f32 v4, v4, v64
	;; [unrolled: 1-line block ×4, first 2 shown]
	s_delay_alu instid0(VALU_DEP_4) | instskip(NEXT) | instid1(VALU_DEP_3)
	v_dual_add_f32 v7, v7, v71 :: v_dual_add_f32 v8, v8, v72
	v_dual_add_f32 v5, v5, v40 :: v_dual_add_f32 v6, v6, v86
	s_delay_alu instid0(VALU_DEP_4) | instskip(NEXT) | instid1(VALU_DEP_4)
	v_dual_add_f32 v3, v3, v41 :: v_dual_add_f32 v4, v4, v66
	v_dual_add_f32 v1, v1, v65 :: v_dual_add_f32 v2, v2, v68
	s_cbranch_vccz .LBB1097_2
.LBB1097_3:
	s_clause 0x1
	s_load_b128 s[4:7], s[0:1], 0x48
	s_load_b32 s2, s[0:1], 0x0
	v_add_nc_u32_e32 v0, s9, v0
	s_delay_alu instid0(VALU_DEP_1) | instskip(SKIP_1) | instid1(VALU_DEP_1)
	v_ashrrev_i32_e32 v9, 31, v0
	s_waitcnt lgkmcnt(0)
	v_mul_lo_u32 v12, v9, s4
	v_mul_lo_u32 v14, v0, s5
	v_mad_u64_u32 v[10:11], null, v0, s4, 0
	s_mul_i32 s1, s15, s7
	s_mul_hi_u32 s3, s15, s6
	s_mul_i32 s6, s15, s6
	s_add_i32 s7, s3, s1
	v_add_nc_u32_e32 v9, s8, v13
	s_lshl_b64 s[6:7], s[6:7], 3
	s_delay_alu instid0(VALU_DEP_2)
	v_add3_u32 v11, v11, v14, v12
	s_add_u32 s3, s30, s6
	v_cmp_gt_i32_e32 vcc_lo, s2, v0
	v_cmp_le_i32_e64 s0, v9, v0
	s_addc_u32 s6, s31, s7
	v_lshlrev_b64 v[11:12], 3, v[10:11]
	s_delay_alu instid0(VALU_DEP_2) | instskip(NEXT) | instid1(VALU_DEP_1)
	s_and_b32 s0, vcc_lo, s0
	v_add_co_u32 v11, s1, s3, v11
	s_delay_alu instid0(VALU_DEP_1)
	v_add_co_ci_u32_e64 v12, s1, s6, v12, s1
	s_and_saveexec_b32 s1, s0
	s_cbranch_execz .LBB1097_5
; %bb.4:
	v_ashrrev_i32_e32 v10, 31, v9
	s_delay_alu instid0(VALU_DEP_1) | instskip(NEXT) | instid1(VALU_DEP_1)
	v_lshlrev_b64 v[13:14], 3, v[9:10]
	v_add_co_u32 v13, s0, v11, v13
	s_delay_alu instid0(VALU_DEP_1)
	v_add_co_ci_u32_e64 v14, s0, v12, v14, s0
	global_store_b64 v[13:14], v[7:8], off
.LBB1097_5:
	s_or_b32 exec_lo, exec_lo, s1
	v_add_nc_u32_e32 v7, 16, v9
	s_delay_alu instid0(VALU_DEP_1) | instskip(NEXT) | instid1(VALU_DEP_1)
	v_cmp_le_i32_e64 s0, v7, v0
	s_and_b32 s1, vcc_lo, s0
	s_delay_alu instid0(SALU_CYCLE_1)
	s_and_saveexec_b32 s0, s1
	s_cbranch_execz .LBB1097_7
; %bb.6:
	v_ashrrev_i32_e32 v8, 31, v7
	s_delay_alu instid0(VALU_DEP_1) | instskip(NEXT) | instid1(VALU_DEP_1)
	v_lshlrev_b64 v[13:14], 3, v[7:8]
	v_add_co_u32 v10, vcc_lo, v11, v13
	s_delay_alu instid0(VALU_DEP_2)
	v_add_co_ci_u32_e32 v11, vcc_lo, v12, v14, vcc_lo
	global_store_b64 v[10:11], v[5:6], off
.LBB1097_7:
	s_or_b32 exec_lo, exec_lo, s0
	v_add_nc_u32_e32 v0, 16, v0
	s_delay_alu instid0(VALU_DEP_1) | instskip(SKIP_3) | instid1(VALU_DEP_4)
	v_ashrrev_i32_e32 v8, 31, v0
	v_mul_lo_u32 v10, v0, s5
	v_mad_u64_u32 v[5:6], null, v0, s4, 0
	v_cmp_gt_i32_e32 vcc_lo, s2, v0
	v_mul_lo_u32 v8, v8, s4
	v_cmp_le_i32_e64 s0, v9, v0
	s_delay_alu instid0(VALU_DEP_1) | instskip(NEXT) | instid1(VALU_DEP_2)
	s_and_b32 s0, vcc_lo, s0
	v_add3_u32 v6, v6, v10, v8
	s_delay_alu instid0(VALU_DEP_1) | instskip(NEXT) | instid1(VALU_DEP_1)
	v_lshlrev_b64 v[5:6], 3, v[5:6]
	v_add_co_u32 v5, s1, s3, v5
	s_delay_alu instid0(VALU_DEP_1)
	v_add_co_ci_u32_e64 v6, s1, s6, v6, s1
	s_and_saveexec_b32 s1, s0
	s_cbranch_execz .LBB1097_9
; %bb.8:
	v_ashrrev_i32_e32 v10, 31, v9
	s_delay_alu instid0(VALU_DEP_1) | instskip(NEXT) | instid1(VALU_DEP_1)
	v_lshlrev_b64 v[8:9], 3, v[9:10]
	v_add_co_u32 v8, s0, v5, v8
	s_delay_alu instid0(VALU_DEP_1)
	v_add_co_ci_u32_e64 v9, s0, v6, v9, s0
	global_store_b64 v[8:9], v[3:4], off
.LBB1097_9:
	s_or_b32 exec_lo, exec_lo, s1
	v_cmp_le_i32_e64 s0, v7, v0
	s_delay_alu instid0(VALU_DEP_1) | instskip(NEXT) | instid1(SALU_CYCLE_1)
	s_and_b32 s0, vcc_lo, s0
	s_and_saveexec_b32 s1, s0
	s_cbranch_execz .LBB1097_11
; %bb.10:
	v_ashrrev_i32_e32 v8, 31, v7
	s_delay_alu instid0(VALU_DEP_1) | instskip(NEXT) | instid1(VALU_DEP_1)
	v_lshlrev_b64 v[3:4], 3, v[7:8]
	v_add_co_u32 v3, vcc_lo, v5, v3
	s_delay_alu instid0(VALU_DEP_2)
	v_add_co_ci_u32_e32 v4, vcc_lo, v6, v4, vcc_lo
	global_store_b64 v[3:4], v[1:2], off
.LBB1097_11:
	s_nop 0
	s_sendmsg sendmsg(MSG_DEALLOC_VGPRS)
	s_endpgm
	.section	.rodata,"a",@progbits
	.p2align	6, 0x0
	.amdhsa_kernel _ZL37rocblas_syrkx_herkx_restricted_kernelIl19rocblas_complex_numIfELi16ELi32ELi8ELi1ELi0ELb0ELc78ELc85EKS1_S1_EviT_PT9_S3_lS5_S3_lPT10_S3_li
		.amdhsa_group_segment_fixed_size 4096
		.amdhsa_private_segment_fixed_size 0
		.amdhsa_kernarg_size 92
		.amdhsa_user_sgpr_count 13
		.amdhsa_user_sgpr_dispatch_ptr 0
		.amdhsa_user_sgpr_queue_ptr 0
		.amdhsa_user_sgpr_kernarg_segment_ptr 1
		.amdhsa_user_sgpr_dispatch_id 0
		.amdhsa_user_sgpr_private_segment_size 0
		.amdhsa_wavefront_size32 1
		.amdhsa_uses_dynamic_stack 0
		.amdhsa_enable_private_segment 0
		.amdhsa_system_sgpr_workgroup_id_x 1
		.amdhsa_system_sgpr_workgroup_id_y 1
		.amdhsa_system_sgpr_workgroup_id_z 1
		.amdhsa_system_sgpr_workgroup_info 0
		.amdhsa_system_vgpr_workitem_id 1
		.amdhsa_next_free_vgpr 92
		.amdhsa_next_free_sgpr 32
		.amdhsa_reserve_vcc 1
		.amdhsa_float_round_mode_32 0
		.amdhsa_float_round_mode_16_64 0
		.amdhsa_float_denorm_mode_32 3
		.amdhsa_float_denorm_mode_16_64 3
		.amdhsa_dx10_clamp 1
		.amdhsa_ieee_mode 1
		.amdhsa_fp16_overflow 0
		.amdhsa_workgroup_processor_mode 1
		.amdhsa_memory_ordered 1
		.amdhsa_forward_progress 0
		.amdhsa_shared_vgpr_count 0
		.amdhsa_exception_fp_ieee_invalid_op 0
		.amdhsa_exception_fp_denorm_src 0
		.amdhsa_exception_fp_ieee_div_zero 0
		.amdhsa_exception_fp_ieee_overflow 0
		.amdhsa_exception_fp_ieee_underflow 0
		.amdhsa_exception_fp_ieee_inexact 0
		.amdhsa_exception_int_div_zero 0
	.end_amdhsa_kernel
	.section	.text._ZL37rocblas_syrkx_herkx_restricted_kernelIl19rocblas_complex_numIfELi16ELi32ELi8ELi1ELi0ELb0ELc78ELc85EKS1_S1_EviT_PT9_S3_lS5_S3_lPT10_S3_li,"axG",@progbits,_ZL37rocblas_syrkx_herkx_restricted_kernelIl19rocblas_complex_numIfELi16ELi32ELi8ELi1ELi0ELb0ELc78ELc85EKS1_S1_EviT_PT9_S3_lS5_S3_lPT10_S3_li,comdat
.Lfunc_end1097:
	.size	_ZL37rocblas_syrkx_herkx_restricted_kernelIl19rocblas_complex_numIfELi16ELi32ELi8ELi1ELi0ELb0ELc78ELc85EKS1_S1_EviT_PT9_S3_lS5_S3_lPT10_S3_li, .Lfunc_end1097-_ZL37rocblas_syrkx_herkx_restricted_kernelIl19rocblas_complex_numIfELi16ELi32ELi8ELi1ELi0ELb0ELc78ELc85EKS1_S1_EviT_PT9_S3_lS5_S3_lPT10_S3_li
                                        ; -- End function
	.section	.AMDGPU.csdata,"",@progbits
; Kernel info:
; codeLenInByte = 2108
; NumSgprs: 34
; NumVgprs: 92
; ScratchSize: 0
; MemoryBound: 0
; FloatMode: 240
; IeeeMode: 1
; LDSByteSize: 4096 bytes/workgroup (compile time only)
; SGPRBlocks: 4
; VGPRBlocks: 11
; NumSGPRsForWavesPerEU: 34
; NumVGPRsForWavesPerEU: 92
; Occupancy: 16
; WaveLimiterHint : 1
; COMPUTE_PGM_RSRC2:SCRATCH_EN: 0
; COMPUTE_PGM_RSRC2:USER_SGPR: 13
; COMPUTE_PGM_RSRC2:TRAP_HANDLER: 0
; COMPUTE_PGM_RSRC2:TGID_X_EN: 1
; COMPUTE_PGM_RSRC2:TGID_Y_EN: 1
; COMPUTE_PGM_RSRC2:TGID_Z_EN: 1
; COMPUTE_PGM_RSRC2:TIDIG_COMP_CNT: 1
	.section	.text._ZL37rocblas_syrkx_herkx_restricted_kernelIl19rocblas_complex_numIfELi16ELi32ELi8ELin1ELi0ELb0ELc84ELc76EKS1_S1_EviT_PT9_S3_lS5_S3_lPT10_S3_li,"axG",@progbits,_ZL37rocblas_syrkx_herkx_restricted_kernelIl19rocblas_complex_numIfELi16ELi32ELi8ELin1ELi0ELb0ELc84ELc76EKS1_S1_EviT_PT9_S3_lS5_S3_lPT10_S3_li,comdat
	.globl	_ZL37rocblas_syrkx_herkx_restricted_kernelIl19rocblas_complex_numIfELi16ELi32ELi8ELin1ELi0ELb0ELc84ELc76EKS1_S1_EviT_PT9_S3_lS5_S3_lPT10_S3_li ; -- Begin function _ZL37rocblas_syrkx_herkx_restricted_kernelIl19rocblas_complex_numIfELi16ELi32ELi8ELin1ELi0ELb0ELc84ELc76EKS1_S1_EviT_PT9_S3_lS5_S3_lPT10_S3_li
	.p2align	8
	.type	_ZL37rocblas_syrkx_herkx_restricted_kernelIl19rocblas_complex_numIfELi16ELi32ELi8ELin1ELi0ELb0ELc84ELc76EKS1_S1_EviT_PT9_S3_lS5_S3_lPT10_S3_li,@function
_ZL37rocblas_syrkx_herkx_restricted_kernelIl19rocblas_complex_numIfELi16ELi32ELi8ELin1ELi0ELb0ELc84ELc76EKS1_S1_EviT_PT9_S3_lS5_S3_lPT10_S3_li: ; @_ZL37rocblas_syrkx_herkx_restricted_kernelIl19rocblas_complex_numIfELi16ELi32ELi8ELin1ELi0ELb0ELc84ELc76EKS1_S1_EviT_PT9_S3_lS5_S3_lPT10_S3_li
; %bb.0:
	s_load_b512 s[16:31], s[0:1], 0x8
	v_dual_mov_b32 v15, 0 :: v_dual_mov_b32 v16, 0
	v_dual_mov_b32 v13, 0 :: v_dual_mov_b32 v12, 0
	;; [unrolled: 1-line block ×4, first 2 shown]
	v_and_b32_e32 v6, 0x3ff, v0
	v_bfe_u32 v7, v0, 10, 10
	s_lshl_b32 s8, s13, 5
	s_lshl_b32 s9, s14, 5
	s_waitcnt lgkmcnt(0)
	v_cmp_lt_i64_e64 s2, s[16:17], 1
	s_delay_alu instid0(VALU_DEP_1)
	s_and_b32 vcc_lo, exec_lo, s2
	s_cbranch_vccnz .LBB1098_3
; %bb.1:
	v_lshl_add_u32 v2, v7, 4, v6
	v_dual_mov_b32 v1, 0 :: v_dual_and_b32 v0, 7, v6
	s_mul_i32 s3, s23, s15
	s_mul_hi_u32 s4, s22, s15
	s_delay_alu instid0(VALU_DEP_2)
	v_and_b32_e32 v10, 31, v2
	v_lshrrev_b32_e32 v12, 3, v2
	v_mov_b32_e32 v3, v1
	v_lshrrev_b32_e32 v2, 5, v2
	v_lshlrev_b32_e32 v14, 3, v0
	v_add_nc_u32_e32 v8, s8, v10
	v_add_nc_u32_e32 v13, s9, v12
	s_mul_i32 s2, s22, s15
	s_add_i32 s3, s4, s3
	s_mul_hi_u32 s5, s28, s15
	v_ashrrev_i32_e32 v9, 31, v8
	v_mad_u64_u32 v[4:5], null, s20, v8, v[2:3]
	v_mul_lo_u32 v3, s21, v8
	s_lshl_b64 s[2:3], s[2:3], 3
	s_delay_alu instid0(VALU_DEP_3)
	v_mul_lo_u32 v16, s20, v9
	v_mad_u64_u32 v[8:9], null, v13, s26, v[0:1]
	v_lshlrev_b32_e32 v0, 3, v10
	v_lshl_or_b32 v10, v12, 6, v14
	s_add_u32 s4, s18, s2
	s_mul_i32 s2, s29, s15
	s_addc_u32 s6, s19, s3
	s_delay_alu instid0(VALU_DEP_4)
	v_add3_u32 v5, v3, v5, v16
	v_add_nc_u32_e32 v14, 0x800, v10
	v_mov_b32_e32 v10, v1
	v_ashrrev_i32_e32 v15, 31, v13
	v_mul_lo_u32 v17, v13, s27
	s_add_i32 s3, s5, s2
	s_mul_i32 s2, s28, s15
	v_lshlrev_b32_e32 v11, 3, v6
	v_mul_lo_u32 v13, v15, s26
	v_mov_b32_e32 v15, v1
	v_lshl_or_b32 v0, v2, 8, v0
	v_lshlrev_b64 v[2:3], 3, v[4:5]
	s_lshl_b64 s[2:3], s[2:3], 3
	v_mov_b32_e32 v12, v1
	s_add_u32 s2, s24, s2
	s_addc_u32 s3, s25, s3
	v_add3_u32 v9, v13, v9, v17
	v_add_co_u32 v2, vcc_lo, s4, v2
	v_add_co_ci_u32_e32 v3, vcc_lo, s6, v3, vcc_lo
	s_delay_alu instid0(VALU_DEP_3)
	v_lshlrev_b64 v[4:5], 3, v[8:9]
	v_mov_b32_e32 v8, v1
	v_lshl_add_u32 v17, v7, 6, 0x800
	v_mov_b32_e32 v9, v1
	v_mov_b32_e32 v13, v1
	;; [unrolled: 1-line block ×3, first 2 shown]
	v_add_co_u32 v4, vcc_lo, s2, v4
	v_add_co_ci_u32_e32 v5, vcc_lo, s3, v5, vcc_lo
	v_add_co_u32 v2, vcc_lo, v2, 4
	v_add_co_ci_u32_e32 v3, vcc_lo, 0, v3, vcc_lo
	s_delay_alu instid0(VALU_DEP_4) | instskip(NEXT) | instid1(VALU_DEP_4)
	v_add_co_u32 v4, vcc_lo, v4, 4
	v_add_co_ci_u32_e32 v5, vcc_lo, 0, v5, vcc_lo
	s_mov_b64 s[2:3], 0
.LBB1098_2:                             ; =>This Inner Loop Header: Depth=1
	global_load_b64 v[18:19], v[2:3], off offset:-4
	global_load_b64 v[20:21], v[4:5], off offset:-4
	s_add_u32 s2, s2, 8
	v_add_co_u32 v2, vcc_lo, v2, 64
	s_addc_u32 s3, s3, 0
	v_add_co_ci_u32_e32 v3, vcc_lo, 0, v3, vcc_lo
	v_cmp_ge_u64_e64 s4, s[2:3], s[16:17]
	v_add_co_u32 v4, vcc_lo, v4, 64
	v_add_co_ci_u32_e32 v5, vcc_lo, 0, v5, vcc_lo
	s_waitcnt vmcnt(1)
	ds_store_b64 v0, v[18:19]
	s_waitcnt vmcnt(0)
	ds_store_b64 v14, v[20:21]
	s_waitcnt lgkmcnt(0)
	s_barrier
	buffer_gl0_inv
	ds_load_2addr_b64 v[18:21], v11 offset1:16
	ds_load_b128 v[22:25], v17
	ds_load_b128 v[26:29], v17 offset:1024
	ds_load_b128 v[30:33], v17 offset:16
	;; [unrolled: 1-line block ×4, first 2 shown]
	ds_load_2addr_b64 v[42:45], v11 offset0:32 offset1:48
	ds_load_2addr_b64 v[46:49], v11 offset0:64 offset1:80
	ds_load_b128 v[50:53], v17 offset:1040
	ds_load_2addr_b64 v[54:57], v11 offset0:96 offset1:112
	ds_load_2addr_b64 v[58:61], v11 offset0:128 offset1:144
	ds_load_2addr_b64 v[62:65], v11 offset0:160 offset1:176
	ds_load_2addr_b64 v[66:69], v11 offset0:192 offset1:208
	ds_load_b128 v[70:73], v17 offset:1056
	ds_load_b128 v[74:77], v17 offset:1072
	ds_load_2addr_b64 v[78:81], v11 offset0:224 offset1:240
	s_and_b32 vcc_lo, exec_lo, s4
	s_waitcnt lgkmcnt(0)
	s_barrier
	buffer_gl0_inv
	v_dual_mul_f32 v82, v23, v19 :: v_dual_mul_f32 v85, v22, v21
	v_dual_mul_f32 v83, v22, v19 :: v_dual_mul_f32 v84, v23, v21
	v_mul_f32_e32 v86, v27, v19
	v_dual_mul_f32 v19, v26, v19 :: v_dual_mul_f32 v90, v25, v45
	v_dual_mul_f32 v87, v27, v21 :: v_dual_mul_f32 v88, v25, v43
	v_mul_f32_e32 v21, v26, v21
	v_fma_f32 v82, v22, v18, -v82
	v_fmac_f32_e32 v83, v23, v18
	v_fma_f32 v22, v22, v20, -v84
	v_fmac_f32_e32 v85, v23, v20
	v_fma_f32 v23, v26, v18, -v86
	v_dual_fmac_f32 v19, v27, v18 :: v_dual_mul_f32 v86, v30, v47
	v_fma_f32 v18, v26, v20, -v87
	v_dual_fmac_f32 v21, v27, v20 :: v_dual_mul_f32 v20, v24, v45
	v_mul_f32_e32 v89, v24, v43
	v_mul_f32_e32 v26, v29, v43
	;; [unrolled: 1-line block ×4, first 2 shown]
	v_fmac_f32_e32 v20, v25, v44
	v_fmac_f32_e32 v89, v25, v42
	v_dual_mul_f32 v25, v28, v45 :: v_dual_fmac_f32 v86, v31, v46
	v_fma_f32 v84, v24, v42, -v88
	v_fma_f32 v24, v24, v44, -v90
	v_dual_mul_f32 v45, v31, v47 :: v_dual_mul_f32 v90, v33, v57
	v_fma_f32 v26, v28, v42, -v26
	v_fma_f32 v28, v28, v44, -v43
	v_fmac_f32_e32 v25, v29, v44
	v_dual_mul_f32 v43, v50, v47 :: v_dual_mul_f32 v44, v51, v49
	v_dual_fmac_f32 v27, v29, v42 :: v_dual_mul_f32 v42, v51, v47
	v_dual_mul_f32 v88, v32, v55 :: v_dual_mul_f32 v29, v30, v49
	v_mul_f32_e32 v87, v31, v49
	v_fma_f32 v45, v30, v46, -v45
	v_add_f32_e32 v16, v16, v83
	s_delay_alu instid0(VALU_DEP_4)
	v_dual_fmac_f32 v88, v33, v54 :: v_dual_fmac_f32 v29, v31, v48
	v_fma_f32 v31, v50, v46, -v42
	v_fma_f32 v42, v50, v48, -v44
	v_mul_f32_e32 v44, v32, v57
	v_mul_f32_e32 v47, v50, v49
	v_dual_mul_f32 v50, v53, v57 :: v_dual_fmac_f32 v43, v51, v46
	v_mul_f32_e32 v46, v53, v55
	v_mul_f32_e32 v49, v33, v55
	v_fma_f32 v30, v30, v48, -v87
	v_fmac_f32_e32 v44, v33, v56
	v_dual_fmac_f32 v47, v51, v48 :: v_dual_mul_f32 v48, v52, v55
	v_mul_f32_e32 v33, v52, v57
	v_fma_f32 v46, v52, v54, -v46
	v_fma_f32 v50, v52, v56, -v50
	v_mul_f32_e32 v52, v34, v61
	v_fma_f32 v49, v32, v54, -v49
	v_fma_f32 v32, v32, v56, -v90
	v_dual_mul_f32 v51, v35, v59 :: v_dual_fmac_f32 v48, v53, v54
	v_mul_f32_e32 v54, v70, v59
	v_dual_mul_f32 v55, v34, v59 :: v_dual_fmac_f32 v52, v35, v60
	v_fmac_f32_e32 v33, v53, v56
	v_mul_f32_e32 v53, v71, v59
	v_mul_f32_e32 v56, v71, v61
	;; [unrolled: 1-line block ×3, first 2 shown]
	v_fmac_f32_e32 v54, v71, v58
	v_fmac_f32_e32 v55, v35, v58
	v_fma_f32 v35, v70, v58, -v53
	v_fma_f32 v53, v70, v60, -v56
	v_mul_f32_e32 v56, v36, v65
	v_mul_f32_e32 v59, v70, v61
	v_fma_f32 v51, v34, v58, -v51
	v_mul_f32_e32 v58, v72, v63
	v_mul_f32_e32 v87, v36, v63
	v_mul_f32_e32 v61, v37, v63
	v_mul_f32_e32 v90, v37, v65
	v_fma_f32 v34, v34, v60, -v57
	v_mul_f32_e32 v57, v73, v63
	v_fmac_f32_e32 v56, v37, v64
	v_dual_fmac_f32 v59, v71, v60 :: v_dual_mul_f32 v60, v73, v65
	v_mul_f32_e32 v63, v39, v67
	v_mul_f32_e32 v70, v39, v69
	v_fmac_f32_e32 v58, v73, v62
	v_fmac_f32_e32 v87, v37, v62
	v_mul_f32_e32 v37, v72, v65
	v_fma_f32 v61, v36, v62, -v61
	v_fma_f32 v36, v36, v64, -v90
	v_mul_f32_e32 v65, v38, v67
	v_fma_f32 v57, v72, v62, -v57
	v_fma_f32 v60, v72, v64, -v60
	v_dual_fmac_f32 v37, v73, v64 :: v_dual_mul_f32 v62, v38, v69
	v_mul_f32_e32 v64, v75, v67
	v_fma_f32 v63, v38, v66, -v63
	v_fma_f32 v38, v38, v68, -v70
	v_mul_f32_e32 v70, v76, v79
	v_mul_f32_e32 v67, v74, v67
	v_dual_add_f32 v10, v10, v19 :: v_dual_add_f32 v15, v15, v82
	s_delay_alu instid0(VALU_DEP_3) | instskip(NEXT) | instid1(VALU_DEP_2)
	v_dual_mul_f32 v71, v75, v69 :: v_dual_fmac_f32 v70, v77, v78
	v_dual_fmac_f32 v67, v75, v66 :: v_dual_add_f32 v10, v10, v27
	v_dual_mul_f32 v69, v74, v69 :: v_dual_add_f32 v8, v8, v18
	v_dual_fmac_f32 v65, v39, v66 :: v_dual_add_f32 v12, v12, v85
	v_fmac_f32_e32 v62, v39, v68
	v_fma_f32 v39, v74, v66, -v64
	v_mul_f32_e32 v66, v40, v81
	v_dual_add_f32 v1, v1, v21 :: v_dual_add_f32 v10, v10, v43
	v_mul_f32_e32 v73, v40, v79
	v_mul_f32_e32 v72, v41, v79
	;; [unrolled: 1-line block ×3, first 2 shown]
	v_fma_f32 v64, v74, v68, -v71
	v_add_f32_e32 v10, v10, v48
	v_dual_fmac_f32 v69, v75, v68 :: v_dual_add_f32 v16, v16, v89
	v_dual_mul_f32 v71, v77, v81 :: v_dual_add_f32 v12, v12, v20
	v_dual_fmac_f32 v73, v41, v78 :: v_dual_add_f32 v8, v8, v28
	v_dual_fmac_f32 v66, v41, v80 :: v_dual_mul_f32 v41, v76, v81
	v_add_f32_e32 v10, v10, v54
	s_delay_alu instid0(VALU_DEP_4) | instskip(NEXT) | instid1(VALU_DEP_4)
	v_dual_add_f32 v13, v13, v22 :: v_dual_add_f32 v12, v12, v29
	v_dual_add_f32 v9, v9, v23 :: v_dual_add_f32 v8, v8, v42
	s_delay_alu instid0(VALU_DEP_4) | instskip(SKIP_1) | instid1(VALU_DEP_3)
	v_dual_fmac_f32 v41, v77, v80 :: v_dual_add_f32 v16, v16, v86
	v_add_f32_e32 v15, v15, v84
	v_add_f32_e32 v9, v9, v26
	v_dual_add_f32 v1, v1, v25 :: v_dual_add_f32 v12, v12, v44
	s_delay_alu instid0(VALU_DEP_4) | instskip(SKIP_1) | instid1(VALU_DEP_3)
	v_add_f32_e32 v16, v16, v88
	v_dual_add_f32 v13, v13, v24 :: v_dual_add_f32 v8, v8, v50
	v_dual_add_f32 v15, v15, v45 :: v_dual_add_f32 v12, v12, v52
	v_add_f32_e32 v9, v9, v31
	v_dual_add_f32 v1, v1, v47 :: v_dual_add_f32 v10, v10, v58
	s_delay_alu instid0(VALU_DEP_4) | instskip(SKIP_2) | instid1(VALU_DEP_3)
	v_dual_add_f32 v16, v16, v55 :: v_dual_add_f32 v13, v13, v30
	v_add_f32_e32 v8, v8, v53
	v_dual_add_f32 v15, v15, v49 :: v_dual_add_f32 v12, v12, v56
	v_dual_add_f32 v16, v16, v87 :: v_dual_add_f32 v13, v13, v32
	s_delay_alu instid0(VALU_DEP_3) | instskip(NEXT) | instid1(VALU_DEP_3)
	v_dual_add_f32 v9, v9, v46 :: v_dual_add_f32 v8, v8, v60
	v_dual_add_f32 v1, v1, v33 :: v_dual_add_f32 v12, v12, v62
	s_delay_alu instid0(VALU_DEP_3) | instskip(NEXT) | instid1(VALU_DEP_3)
	v_dual_add_f32 v15, v15, v51 :: v_dual_add_f32 v16, v16, v65
	v_dual_add_f32 v8, v8, v64 :: v_dual_add_f32 v13, v13, v34
	v_add_f32_e32 v10, v10, v67
	s_delay_alu instid0(VALU_DEP_3)
	v_dual_add_f32 v9, v9, v35 :: v_dual_add_f32 v16, v16, v73
	v_dual_add_f32 v1, v1, v59 :: v_dual_add_f32 v12, v12, v66
	v_mul_f32_e32 v68, v77, v79
	v_fma_f32 v71, v76, v80, -v71
	v_dual_add_f32 v15, v15, v61 :: v_dual_add_f32 v10, v10, v70
	v_add_f32_e32 v13, v13, v36
	s_delay_alu instid0(VALU_DEP_3)
	v_dual_add_f32 v9, v9, v57 :: v_dual_add_f32 v8, v8, v71
	v_add_f32_e32 v1, v1, v37
	v_fma_f32 v72, v40, v78, -v72
	v_fma_f32 v40, v40, v80, -v90
	;; [unrolled: 1-line block ×3, first 2 shown]
	v_add_f32_e32 v15, v15, v63
	v_add_f32_e32 v13, v13, v38
	;; [unrolled: 1-line block ×4, first 2 shown]
	s_delay_alu instid0(VALU_DEP_4) | instskip(NEXT) | instid1(VALU_DEP_4)
	v_add_f32_e32 v15, v15, v72
	v_add_f32_e32 v13, v13, v40
	s_delay_alu instid0(VALU_DEP_4) | instskip(NEXT) | instid1(VALU_DEP_4)
	v_add_f32_e32 v9, v9, v68
	v_add_f32_e32 v1, v1, v41
	s_cbranch_vccz .LBB1098_2
.LBB1098_3:
	s_load_b128 s[4:7], s[0:1], 0x48
	v_add_nc_u32_e32 v0, s9, v7
	s_load_b32 s9, s[0:1], 0x0
	s_delay_alu instid0(VALU_DEP_1) | instskip(SKIP_1) | instid1(VALU_DEP_1)
	v_ashrrev_i32_e32 v2, 31, v0
	s_waitcnt lgkmcnt(0)
	v_mul_lo_u32 v5, v2, s4
	v_mul_lo_u32 v7, v0, s5
	v_mad_u64_u32 v[3:4], null, v0, s4, 0
	s_mul_i32 s1, s15, s7
	s_mul_hi_u32 s3, s15, s6
	s_mul_i32 s2, s15, s6
	s_add_i32 s3, s3, s1
	v_add_nc_u32_e32 v2, s8, v6
	s_lshl_b64 s[2:3], s[2:3], 3
	s_delay_alu instid0(VALU_DEP_2)
	v_add3_u32 v4, v4, v7, v5
	s_add_u32 s2, s30, s2
	s_addc_u32 s3, s31, s3
	v_cmp_le_i32_e64 s0, v0, v2
	v_cmp_gt_i32_e32 vcc_lo, s9, v2
	v_lshlrev_b64 v[3:4], 3, v[3:4]
	s_delay_alu instid0(VALU_DEP_3) | instskip(NEXT) | instid1(VALU_DEP_1)
	s_and_b32 s0, s0, vcc_lo
	v_add_co_u32 v6, s1, s2, v3
	s_delay_alu instid0(VALU_DEP_1)
	v_add_co_ci_u32_e64 v7, s1, s3, v4, s1
	s_and_saveexec_b32 s1, s0
	s_cbranch_execz .LBB1098_5
; %bb.4:
	v_ashrrev_i32_e32 v3, 31, v2
	v_xor_b32_e32 v14, 0x80000000, v15
	v_xor_b32_e32 v15, 0x80000000, v16
	s_delay_alu instid0(VALU_DEP_3) | instskip(NEXT) | instid1(VALU_DEP_1)
	v_lshlrev_b64 v[3:4], 3, v[2:3]
	v_add_co_u32 v3, s0, v6, v3
	s_delay_alu instid0(VALU_DEP_1)
	v_add_co_ci_u32_e64 v4, s0, v7, v4, s0
	global_store_b64 v[3:4], v[14:15], off
.LBB1098_5:
	s_or_b32 exec_lo, exec_lo, s1
	v_add_nc_u32_e32 v4, 16, v2
	s_delay_alu instid0(VALU_DEP_1) | instskip(SKIP_1) | instid1(VALU_DEP_1)
	v_cmp_le_i32_e64 s1, v0, v4
	v_cmp_gt_i32_e64 s0, s9, v4
	s_and_b32 s1, s1, s0
	s_delay_alu instid0(SALU_CYCLE_1)
	s_and_saveexec_b32 s6, s1
	s_cbranch_execz .LBB1098_7
; %bb.6:
	v_ashrrev_i32_e32 v5, 31, v4
	v_xor_b32_e32 v11, 0x80000000, v13
	v_xor_b32_e32 v12, 0x80000000, v12
	s_delay_alu instid0(VALU_DEP_3) | instskip(NEXT) | instid1(VALU_DEP_1)
	v_lshlrev_b64 v[14:15], 3, v[4:5]
	v_add_co_u32 v5, s1, v6, v14
	s_delay_alu instid0(VALU_DEP_1)
	v_add_co_ci_u32_e64 v6, s1, v7, v15, s1
	global_store_b64 v[5:6], v[11:12], off
.LBB1098_7:
	s_or_b32 exec_lo, exec_lo, s6
	v_add_nc_u32_e32 v5, 16, v0
	s_delay_alu instid0(VALU_DEP_1) | instskip(SKIP_3) | instid1(VALU_DEP_4)
	v_ashrrev_i32_e32 v0, 31, v5
	v_mul_lo_u32 v3, v5, s5
	v_mad_u64_u32 v[6:7], null, v5, s4, 0
	v_cmp_le_i32_e64 s1, v5, v2
	v_mul_lo_u32 v0, v0, s4
	s_delay_alu instid0(VALU_DEP_1) | instskip(NEXT) | instid1(VALU_DEP_1)
	v_add3_u32 v7, v7, v3, v0
	v_lshlrev_b64 v[6:7], 3, v[6:7]
	s_delay_alu instid0(VALU_DEP_1) | instskip(NEXT) | instid1(VALU_DEP_1)
	v_add_co_u32 v0, s2, s2, v6
	v_add_co_ci_u32_e64 v6, s2, s3, v7, s2
	s_and_b32 s2, s1, vcc_lo
	s_delay_alu instid0(SALU_CYCLE_1)
	s_and_saveexec_b32 s1, s2
	s_cbranch_execz .LBB1098_9
; %bb.8:
	v_ashrrev_i32_e32 v3, 31, v2
	v_xor_b32_e32 v9, 0x80000000, v9
	v_xor_b32_e32 v10, 0x80000000, v10
	s_delay_alu instid0(VALU_DEP_3) | instskip(NEXT) | instid1(VALU_DEP_1)
	v_lshlrev_b64 v[2:3], 3, v[2:3]
	v_add_co_u32 v2, vcc_lo, v0, v2
	s_delay_alu instid0(VALU_DEP_2)
	v_add_co_ci_u32_e32 v3, vcc_lo, v6, v3, vcc_lo
	global_store_b64 v[2:3], v[9:10], off
.LBB1098_9:
	s_or_b32 exec_lo, exec_lo, s1
	v_cmp_le_i32_e32 vcc_lo, v5, v4
	s_and_b32 s0, vcc_lo, s0
	s_delay_alu instid0(SALU_CYCLE_1)
	s_and_saveexec_b32 s1, s0
	s_cbranch_execz .LBB1098_11
; %bb.10:
	v_ashrrev_i32_e32 v5, 31, v4
	s_delay_alu instid0(VALU_DEP_1) | instskip(SKIP_2) | instid1(VALU_DEP_3)
	v_lshlrev_b64 v[2:3], 3, v[4:5]
	v_xor_b32_e32 v4, 0x80000000, v8
	v_xor_b32_e32 v5, 0x80000000, v1
	v_add_co_u32 v0, vcc_lo, v0, v2
	s_delay_alu instid0(VALU_DEP_4)
	v_add_co_ci_u32_e32 v1, vcc_lo, v6, v3, vcc_lo
	global_store_b64 v[0:1], v[4:5], off
.LBB1098_11:
	s_nop 0
	s_sendmsg sendmsg(MSG_DEALLOC_VGPRS)
	s_endpgm
	.section	.rodata,"a",@progbits
	.p2align	6, 0x0
	.amdhsa_kernel _ZL37rocblas_syrkx_herkx_restricted_kernelIl19rocblas_complex_numIfELi16ELi32ELi8ELin1ELi0ELb0ELc84ELc76EKS1_S1_EviT_PT9_S3_lS5_S3_lPT10_S3_li
		.amdhsa_group_segment_fixed_size 4096
		.amdhsa_private_segment_fixed_size 0
		.amdhsa_kernarg_size 92
		.amdhsa_user_sgpr_count 13
		.amdhsa_user_sgpr_dispatch_ptr 0
		.amdhsa_user_sgpr_queue_ptr 0
		.amdhsa_user_sgpr_kernarg_segment_ptr 1
		.amdhsa_user_sgpr_dispatch_id 0
		.amdhsa_user_sgpr_private_segment_size 0
		.amdhsa_wavefront_size32 1
		.amdhsa_uses_dynamic_stack 0
		.amdhsa_enable_private_segment 0
		.amdhsa_system_sgpr_workgroup_id_x 1
		.amdhsa_system_sgpr_workgroup_id_y 1
		.amdhsa_system_sgpr_workgroup_id_z 1
		.amdhsa_system_sgpr_workgroup_info 0
		.amdhsa_system_vgpr_workitem_id 1
		.amdhsa_next_free_vgpr 91
		.amdhsa_next_free_sgpr 32
		.amdhsa_reserve_vcc 1
		.amdhsa_float_round_mode_32 0
		.amdhsa_float_round_mode_16_64 0
		.amdhsa_float_denorm_mode_32 3
		.amdhsa_float_denorm_mode_16_64 3
		.amdhsa_dx10_clamp 1
		.amdhsa_ieee_mode 1
		.amdhsa_fp16_overflow 0
		.amdhsa_workgroup_processor_mode 1
		.amdhsa_memory_ordered 1
		.amdhsa_forward_progress 0
		.amdhsa_shared_vgpr_count 0
		.amdhsa_exception_fp_ieee_invalid_op 0
		.amdhsa_exception_fp_denorm_src 0
		.amdhsa_exception_fp_ieee_div_zero 0
		.amdhsa_exception_fp_ieee_overflow 0
		.amdhsa_exception_fp_ieee_underflow 0
		.amdhsa_exception_fp_ieee_inexact 0
		.amdhsa_exception_int_div_zero 0
	.end_amdhsa_kernel
	.section	.text._ZL37rocblas_syrkx_herkx_restricted_kernelIl19rocblas_complex_numIfELi16ELi32ELi8ELin1ELi0ELb0ELc84ELc76EKS1_S1_EviT_PT9_S3_lS5_S3_lPT10_S3_li,"axG",@progbits,_ZL37rocblas_syrkx_herkx_restricted_kernelIl19rocblas_complex_numIfELi16ELi32ELi8ELin1ELi0ELb0ELc84ELc76EKS1_S1_EviT_PT9_S3_lS5_S3_lPT10_S3_li,comdat
.Lfunc_end1098:
	.size	_ZL37rocblas_syrkx_herkx_restricted_kernelIl19rocblas_complex_numIfELi16ELi32ELi8ELin1ELi0ELb0ELc84ELc76EKS1_S1_EviT_PT9_S3_lS5_S3_lPT10_S3_li, .Lfunc_end1098-_ZL37rocblas_syrkx_herkx_restricted_kernelIl19rocblas_complex_numIfELi16ELi32ELi8ELin1ELi0ELb0ELc84ELc76EKS1_S1_EviT_PT9_S3_lS5_S3_lPT10_S3_li
                                        ; -- End function
	.section	.AMDGPU.csdata,"",@progbits
; Kernel info:
; codeLenInByte = 2184
; NumSgprs: 34
; NumVgprs: 91
; ScratchSize: 0
; MemoryBound: 0
; FloatMode: 240
; IeeeMode: 1
; LDSByteSize: 4096 bytes/workgroup (compile time only)
; SGPRBlocks: 4
; VGPRBlocks: 11
; NumSGPRsForWavesPerEU: 34
; NumVGPRsForWavesPerEU: 91
; Occupancy: 16
; WaveLimiterHint : 1
; COMPUTE_PGM_RSRC2:SCRATCH_EN: 0
; COMPUTE_PGM_RSRC2:USER_SGPR: 13
; COMPUTE_PGM_RSRC2:TRAP_HANDLER: 0
; COMPUTE_PGM_RSRC2:TGID_X_EN: 1
; COMPUTE_PGM_RSRC2:TGID_Y_EN: 1
; COMPUTE_PGM_RSRC2:TGID_Z_EN: 1
; COMPUTE_PGM_RSRC2:TIDIG_COMP_CNT: 1
	.section	.text._ZL37rocblas_syrkx_herkx_restricted_kernelIl19rocblas_complex_numIfELi16ELi32ELi8ELin1ELi0ELb0ELc67ELc76EKS1_S1_EviT_PT9_S3_lS5_S3_lPT10_S3_li,"axG",@progbits,_ZL37rocblas_syrkx_herkx_restricted_kernelIl19rocblas_complex_numIfELi16ELi32ELi8ELin1ELi0ELb0ELc67ELc76EKS1_S1_EviT_PT9_S3_lS5_S3_lPT10_S3_li,comdat
	.globl	_ZL37rocblas_syrkx_herkx_restricted_kernelIl19rocblas_complex_numIfELi16ELi32ELi8ELin1ELi0ELb0ELc67ELc76EKS1_S1_EviT_PT9_S3_lS5_S3_lPT10_S3_li ; -- Begin function _ZL37rocblas_syrkx_herkx_restricted_kernelIl19rocblas_complex_numIfELi16ELi32ELi8ELin1ELi0ELb0ELc67ELc76EKS1_S1_EviT_PT9_S3_lS5_S3_lPT10_S3_li
	.p2align	8
	.type	_ZL37rocblas_syrkx_herkx_restricted_kernelIl19rocblas_complex_numIfELi16ELi32ELi8ELin1ELi0ELb0ELc67ELc76EKS1_S1_EviT_PT9_S3_lS5_S3_lPT10_S3_li,@function
_ZL37rocblas_syrkx_herkx_restricted_kernelIl19rocblas_complex_numIfELi16ELi32ELi8ELin1ELi0ELb0ELc67ELc76EKS1_S1_EviT_PT9_S3_lS5_S3_lPT10_S3_li: ; @_ZL37rocblas_syrkx_herkx_restricted_kernelIl19rocblas_complex_numIfELi16ELi32ELi8ELin1ELi0ELb0ELc67ELc76EKS1_S1_EviT_PT9_S3_lS5_S3_lPT10_S3_li
; %bb.0:
	s_load_b512 s[16:31], s[0:1], 0x8
	v_dual_mov_b32 v15, 0 :: v_dual_mov_b32 v16, 0
	v_dual_mov_b32 v13, 0 :: v_dual_mov_b32 v12, 0
	;; [unrolled: 1-line block ×4, first 2 shown]
	v_and_b32_e32 v6, 0x3ff, v0
	v_bfe_u32 v7, v0, 10, 10
	s_lshl_b32 s8, s13, 5
	s_lshl_b32 s9, s14, 5
	s_waitcnt lgkmcnt(0)
	v_cmp_lt_i64_e64 s2, s[16:17], 1
	s_delay_alu instid0(VALU_DEP_1)
	s_and_b32 vcc_lo, exec_lo, s2
	s_cbranch_vccnz .LBB1099_3
; %bb.1:
	v_lshl_add_u32 v2, v7, 4, v6
	v_dual_mov_b32 v1, 0 :: v_dual_and_b32 v0, 7, v6
	s_mul_i32 s3, s23, s15
	s_mul_hi_u32 s4, s22, s15
	s_delay_alu instid0(VALU_DEP_2)
	v_and_b32_e32 v10, 31, v2
	v_lshrrev_b32_e32 v12, 3, v2
	v_mov_b32_e32 v3, v1
	v_lshrrev_b32_e32 v2, 5, v2
	v_lshlrev_b32_e32 v14, 3, v0
	v_add_nc_u32_e32 v8, s8, v10
	v_add_nc_u32_e32 v13, s9, v12
	s_mul_i32 s2, s22, s15
	s_add_i32 s3, s4, s3
	s_mul_hi_u32 s5, s28, s15
	v_ashrrev_i32_e32 v9, 31, v8
	v_mad_u64_u32 v[4:5], null, s20, v8, v[2:3]
	v_mul_lo_u32 v3, s21, v8
	s_lshl_b64 s[2:3], s[2:3], 3
	s_delay_alu instid0(VALU_DEP_3)
	v_mul_lo_u32 v16, s20, v9
	v_mad_u64_u32 v[8:9], null, v13, s26, v[0:1]
	v_lshlrev_b32_e32 v0, 3, v10
	v_lshl_or_b32 v10, v12, 6, v14
	s_add_u32 s4, s18, s2
	s_mul_i32 s2, s29, s15
	s_addc_u32 s6, s19, s3
	s_delay_alu instid0(VALU_DEP_4)
	v_add3_u32 v5, v3, v5, v16
	v_add_nc_u32_e32 v14, 0x800, v10
	v_mov_b32_e32 v10, v1
	v_ashrrev_i32_e32 v15, 31, v13
	v_mul_lo_u32 v17, v13, s27
	s_add_i32 s3, s5, s2
	s_mul_i32 s2, s28, s15
	v_lshlrev_b32_e32 v11, 3, v6
	v_mul_lo_u32 v13, v15, s26
	v_mov_b32_e32 v15, v1
	v_lshl_or_b32 v0, v2, 8, v0
	v_lshlrev_b64 v[2:3], 3, v[4:5]
	s_lshl_b64 s[2:3], s[2:3], 3
	v_mov_b32_e32 v12, v1
	s_add_u32 s2, s24, s2
	s_addc_u32 s3, s25, s3
	v_add3_u32 v9, v13, v9, v17
	v_add_co_u32 v2, vcc_lo, s4, v2
	v_add_co_ci_u32_e32 v3, vcc_lo, s6, v3, vcc_lo
	s_delay_alu instid0(VALU_DEP_3)
	v_lshlrev_b64 v[4:5], 3, v[8:9]
	v_mov_b32_e32 v8, v1
	v_lshl_add_u32 v17, v7, 6, 0x800
	v_mov_b32_e32 v9, v1
	v_mov_b32_e32 v13, v1
	;; [unrolled: 1-line block ×3, first 2 shown]
	v_add_co_u32 v4, vcc_lo, s2, v4
	v_add_co_ci_u32_e32 v5, vcc_lo, s3, v5, vcc_lo
	v_add_co_u32 v2, vcc_lo, v2, 4
	v_add_co_ci_u32_e32 v3, vcc_lo, 0, v3, vcc_lo
	s_delay_alu instid0(VALU_DEP_4) | instskip(NEXT) | instid1(VALU_DEP_4)
	v_add_co_u32 v4, vcc_lo, v4, 4
	v_add_co_ci_u32_e32 v5, vcc_lo, 0, v5, vcc_lo
	s_mov_b64 s[2:3], 0
.LBB1099_2:                             ; =>This Inner Loop Header: Depth=1
	global_load_b64 v[18:19], v[2:3], off offset:-4
	global_load_b64 v[20:21], v[4:5], off offset:-4
	s_add_u32 s2, s2, 8
	v_add_co_u32 v2, vcc_lo, v2, 64
	s_addc_u32 s3, s3, 0
	v_add_co_ci_u32_e32 v3, vcc_lo, 0, v3, vcc_lo
	v_cmp_ge_u64_e64 s4, s[2:3], s[16:17]
	v_add_co_u32 v4, vcc_lo, v4, 64
	v_add_co_ci_u32_e32 v5, vcc_lo, 0, v5, vcc_lo
	s_waitcnt vmcnt(1)
	ds_store_b64 v0, v[18:19]
	s_waitcnt vmcnt(0)
	ds_store_b64 v14, v[20:21]
	s_waitcnt lgkmcnt(0)
	s_barrier
	buffer_gl0_inv
	ds_load_2addr_b64 v[18:21], v11 offset1:16
	ds_load_b128 v[22:25], v17
	ds_load_b128 v[26:29], v17 offset:1024
	ds_load_b128 v[30:33], v17 offset:16
	;; [unrolled: 1-line block ×4, first 2 shown]
	ds_load_2addr_b64 v[42:45], v11 offset0:32 offset1:48
	ds_load_2addr_b64 v[46:49], v11 offset0:64 offset1:80
	ds_load_b128 v[50:53], v17 offset:1040
	ds_load_2addr_b64 v[54:57], v11 offset0:96 offset1:112
	ds_load_2addr_b64 v[58:61], v11 offset0:128 offset1:144
	;; [unrolled: 1-line block ×4, first 2 shown]
	ds_load_b128 v[70:73], v17 offset:1056
	ds_load_b128 v[74:77], v17 offset:1072
	ds_load_2addr_b64 v[78:81], v11 offset0:224 offset1:240
	s_and_b32 vcc_lo, exec_lo, s4
	s_waitcnt lgkmcnt(0)
	s_barrier
	buffer_gl0_inv
	v_dual_mul_f32 v82, v23, v19 :: v_dual_mul_f32 v85, v22, v21
	v_dual_mul_f32 v83, v22, v19 :: v_dual_mul_f32 v84, v23, v21
	v_mul_f32_e32 v86, v27, v19
	v_dual_mul_f32 v19, v26, v19 :: v_dual_mul_f32 v90, v25, v45
	v_dual_mul_f32 v87, v27, v21 :: v_dual_mul_f32 v88, v25, v43
	v_mul_f32_e32 v21, v26, v21
	v_fma_f32 v82, v22, v18, -v82
	v_fmac_f32_e32 v83, v23, v18
	v_fma_f32 v22, v22, v20, -v84
	v_fmac_f32_e32 v85, v23, v20
	v_fma_f32 v23, v26, v18, -v86
	v_dual_fmac_f32 v19, v27, v18 :: v_dual_mul_f32 v86, v30, v47
	v_fma_f32 v18, v26, v20, -v87
	v_dual_fmac_f32 v21, v27, v20 :: v_dual_mul_f32 v20, v24, v45
	v_mul_f32_e32 v89, v24, v43
	v_mul_f32_e32 v26, v29, v43
	;; [unrolled: 1-line block ×4, first 2 shown]
	v_fmac_f32_e32 v20, v25, v44
	v_fmac_f32_e32 v89, v25, v42
	v_dual_mul_f32 v25, v28, v45 :: v_dual_fmac_f32 v86, v31, v46
	v_fma_f32 v84, v24, v42, -v88
	v_fma_f32 v24, v24, v44, -v90
	v_dual_mul_f32 v45, v31, v47 :: v_dual_mul_f32 v90, v33, v57
	v_fma_f32 v26, v28, v42, -v26
	v_fma_f32 v28, v28, v44, -v43
	v_fmac_f32_e32 v25, v29, v44
	v_dual_mul_f32 v43, v50, v47 :: v_dual_mul_f32 v44, v51, v49
	v_dual_fmac_f32 v27, v29, v42 :: v_dual_mul_f32 v42, v51, v47
	v_dual_mul_f32 v88, v32, v55 :: v_dual_mul_f32 v29, v30, v49
	v_mul_f32_e32 v87, v31, v49
	v_fma_f32 v45, v30, v46, -v45
	v_add_f32_e32 v16, v16, v83
	s_delay_alu instid0(VALU_DEP_4)
	v_dual_fmac_f32 v88, v33, v54 :: v_dual_fmac_f32 v29, v31, v48
	v_fma_f32 v31, v50, v46, -v42
	v_fma_f32 v42, v50, v48, -v44
	v_mul_f32_e32 v44, v32, v57
	v_mul_f32_e32 v47, v50, v49
	v_dual_mul_f32 v50, v53, v57 :: v_dual_fmac_f32 v43, v51, v46
	v_mul_f32_e32 v46, v53, v55
	v_mul_f32_e32 v49, v33, v55
	v_fma_f32 v30, v30, v48, -v87
	v_fmac_f32_e32 v44, v33, v56
	v_dual_fmac_f32 v47, v51, v48 :: v_dual_mul_f32 v48, v52, v55
	v_mul_f32_e32 v33, v52, v57
	v_fma_f32 v46, v52, v54, -v46
	v_fma_f32 v50, v52, v56, -v50
	v_mul_f32_e32 v52, v34, v61
	v_fma_f32 v49, v32, v54, -v49
	v_fma_f32 v32, v32, v56, -v90
	v_dual_mul_f32 v51, v35, v59 :: v_dual_fmac_f32 v48, v53, v54
	v_mul_f32_e32 v54, v70, v59
	v_dual_mul_f32 v55, v34, v59 :: v_dual_fmac_f32 v52, v35, v60
	v_fmac_f32_e32 v33, v53, v56
	v_mul_f32_e32 v53, v71, v59
	v_mul_f32_e32 v56, v71, v61
	;; [unrolled: 1-line block ×3, first 2 shown]
	v_fmac_f32_e32 v54, v71, v58
	v_fmac_f32_e32 v55, v35, v58
	v_fma_f32 v35, v70, v58, -v53
	v_fma_f32 v53, v70, v60, -v56
	v_mul_f32_e32 v56, v36, v65
	v_mul_f32_e32 v59, v70, v61
	v_fma_f32 v51, v34, v58, -v51
	v_mul_f32_e32 v58, v72, v63
	v_mul_f32_e32 v87, v36, v63
	v_mul_f32_e32 v61, v37, v63
	v_mul_f32_e32 v90, v37, v65
	v_fma_f32 v34, v34, v60, -v57
	v_mul_f32_e32 v57, v73, v63
	v_fmac_f32_e32 v56, v37, v64
	v_dual_fmac_f32 v59, v71, v60 :: v_dual_mul_f32 v60, v73, v65
	v_mul_f32_e32 v63, v39, v67
	v_mul_f32_e32 v70, v39, v69
	v_fmac_f32_e32 v58, v73, v62
	v_fmac_f32_e32 v87, v37, v62
	v_mul_f32_e32 v37, v72, v65
	v_fma_f32 v61, v36, v62, -v61
	v_fma_f32 v36, v36, v64, -v90
	v_mul_f32_e32 v65, v38, v67
	v_fma_f32 v57, v72, v62, -v57
	v_fma_f32 v60, v72, v64, -v60
	v_dual_fmac_f32 v37, v73, v64 :: v_dual_mul_f32 v62, v38, v69
	v_mul_f32_e32 v64, v75, v67
	v_fma_f32 v63, v38, v66, -v63
	v_fma_f32 v38, v38, v68, -v70
	v_mul_f32_e32 v70, v76, v79
	v_mul_f32_e32 v67, v74, v67
	v_dual_add_f32 v10, v10, v19 :: v_dual_add_f32 v15, v15, v82
	s_delay_alu instid0(VALU_DEP_3) | instskip(NEXT) | instid1(VALU_DEP_2)
	v_dual_mul_f32 v71, v75, v69 :: v_dual_fmac_f32 v70, v77, v78
	v_dual_fmac_f32 v67, v75, v66 :: v_dual_add_f32 v10, v10, v27
	v_dual_mul_f32 v69, v74, v69 :: v_dual_add_f32 v8, v8, v18
	v_dual_fmac_f32 v65, v39, v66 :: v_dual_add_f32 v12, v12, v85
	v_fmac_f32_e32 v62, v39, v68
	v_fma_f32 v39, v74, v66, -v64
	v_mul_f32_e32 v66, v40, v81
	v_dual_add_f32 v1, v1, v21 :: v_dual_add_f32 v10, v10, v43
	v_mul_f32_e32 v73, v40, v79
	v_mul_f32_e32 v72, v41, v79
	v_mul_f32_e32 v90, v41, v81
	v_fma_f32 v64, v74, v68, -v71
	v_add_f32_e32 v10, v10, v48
	v_dual_fmac_f32 v69, v75, v68 :: v_dual_add_f32 v16, v16, v89
	v_dual_mul_f32 v71, v77, v81 :: v_dual_add_f32 v12, v12, v20
	v_dual_fmac_f32 v73, v41, v78 :: v_dual_add_f32 v8, v8, v28
	v_dual_fmac_f32 v66, v41, v80 :: v_dual_mul_f32 v41, v76, v81
	v_add_f32_e32 v10, v10, v54
	s_delay_alu instid0(VALU_DEP_4) | instskip(NEXT) | instid1(VALU_DEP_4)
	v_dual_add_f32 v13, v13, v22 :: v_dual_add_f32 v12, v12, v29
	v_dual_add_f32 v9, v9, v23 :: v_dual_add_f32 v8, v8, v42
	s_delay_alu instid0(VALU_DEP_4) | instskip(SKIP_1) | instid1(VALU_DEP_3)
	v_dual_fmac_f32 v41, v77, v80 :: v_dual_add_f32 v16, v16, v86
	v_add_f32_e32 v15, v15, v84
	v_add_f32_e32 v9, v9, v26
	v_dual_add_f32 v1, v1, v25 :: v_dual_add_f32 v12, v12, v44
	s_delay_alu instid0(VALU_DEP_4) | instskip(SKIP_1) | instid1(VALU_DEP_3)
	v_add_f32_e32 v16, v16, v88
	v_dual_add_f32 v13, v13, v24 :: v_dual_add_f32 v8, v8, v50
	v_dual_add_f32 v15, v15, v45 :: v_dual_add_f32 v12, v12, v52
	v_add_f32_e32 v9, v9, v31
	v_dual_add_f32 v1, v1, v47 :: v_dual_add_f32 v10, v10, v58
	s_delay_alu instid0(VALU_DEP_4) | instskip(SKIP_2) | instid1(VALU_DEP_3)
	v_dual_add_f32 v16, v16, v55 :: v_dual_add_f32 v13, v13, v30
	v_add_f32_e32 v8, v8, v53
	v_dual_add_f32 v15, v15, v49 :: v_dual_add_f32 v12, v12, v56
	v_dual_add_f32 v16, v16, v87 :: v_dual_add_f32 v13, v13, v32
	s_delay_alu instid0(VALU_DEP_3) | instskip(NEXT) | instid1(VALU_DEP_3)
	v_dual_add_f32 v9, v9, v46 :: v_dual_add_f32 v8, v8, v60
	v_dual_add_f32 v1, v1, v33 :: v_dual_add_f32 v12, v12, v62
	s_delay_alu instid0(VALU_DEP_3) | instskip(NEXT) | instid1(VALU_DEP_3)
	v_dual_add_f32 v15, v15, v51 :: v_dual_add_f32 v16, v16, v65
	v_dual_add_f32 v8, v8, v64 :: v_dual_add_f32 v13, v13, v34
	v_add_f32_e32 v10, v10, v67
	s_delay_alu instid0(VALU_DEP_3)
	v_dual_add_f32 v9, v9, v35 :: v_dual_add_f32 v16, v16, v73
	v_dual_add_f32 v1, v1, v59 :: v_dual_add_f32 v12, v12, v66
	v_mul_f32_e32 v68, v77, v79
	v_fma_f32 v71, v76, v80, -v71
	v_dual_add_f32 v15, v15, v61 :: v_dual_add_f32 v10, v10, v70
	v_add_f32_e32 v13, v13, v36
	s_delay_alu instid0(VALU_DEP_3)
	v_dual_add_f32 v9, v9, v57 :: v_dual_add_f32 v8, v8, v71
	v_add_f32_e32 v1, v1, v37
	v_fma_f32 v72, v40, v78, -v72
	v_fma_f32 v40, v40, v80, -v90
	;; [unrolled: 1-line block ×3, first 2 shown]
	v_add_f32_e32 v15, v15, v63
	v_add_f32_e32 v13, v13, v38
	;; [unrolled: 1-line block ×4, first 2 shown]
	s_delay_alu instid0(VALU_DEP_4) | instskip(NEXT) | instid1(VALU_DEP_4)
	v_add_f32_e32 v15, v15, v72
	v_add_f32_e32 v13, v13, v40
	s_delay_alu instid0(VALU_DEP_4) | instskip(NEXT) | instid1(VALU_DEP_4)
	v_add_f32_e32 v9, v9, v68
	v_add_f32_e32 v1, v1, v41
	s_cbranch_vccz .LBB1099_2
.LBB1099_3:
	s_load_b128 s[4:7], s[0:1], 0x48
	v_add_nc_u32_e32 v0, s9, v7
	s_load_b32 s9, s[0:1], 0x0
	s_delay_alu instid0(VALU_DEP_1) | instskip(SKIP_1) | instid1(VALU_DEP_1)
	v_ashrrev_i32_e32 v2, 31, v0
	s_waitcnt lgkmcnt(0)
	v_mul_lo_u32 v5, v2, s4
	v_mul_lo_u32 v7, v0, s5
	v_mad_u64_u32 v[3:4], null, v0, s4, 0
	s_mul_i32 s1, s15, s7
	s_mul_hi_u32 s3, s15, s6
	s_mul_i32 s2, s15, s6
	s_add_i32 s3, s3, s1
	v_add_nc_u32_e32 v2, s8, v6
	s_lshl_b64 s[2:3], s[2:3], 3
	s_delay_alu instid0(VALU_DEP_2)
	v_add3_u32 v4, v4, v7, v5
	s_add_u32 s2, s30, s2
	s_addc_u32 s3, s31, s3
	v_cmp_le_i32_e64 s0, v0, v2
	v_cmp_gt_i32_e32 vcc_lo, s9, v2
	v_lshlrev_b64 v[3:4], 3, v[3:4]
	s_delay_alu instid0(VALU_DEP_3) | instskip(NEXT) | instid1(VALU_DEP_1)
	s_and_b32 s0, s0, vcc_lo
	v_add_co_u32 v6, s1, s2, v3
	s_delay_alu instid0(VALU_DEP_1)
	v_add_co_ci_u32_e64 v7, s1, s3, v4, s1
	s_and_saveexec_b32 s1, s0
	s_cbranch_execz .LBB1099_5
; %bb.4:
	v_ashrrev_i32_e32 v3, 31, v2
	v_xor_b32_e32 v14, 0x80000000, v15
	v_xor_b32_e32 v15, 0x80000000, v16
	s_delay_alu instid0(VALU_DEP_3) | instskip(NEXT) | instid1(VALU_DEP_1)
	v_lshlrev_b64 v[3:4], 3, v[2:3]
	v_add_co_u32 v3, s0, v6, v3
	s_delay_alu instid0(VALU_DEP_1)
	v_add_co_ci_u32_e64 v4, s0, v7, v4, s0
	global_store_b64 v[3:4], v[14:15], off
.LBB1099_5:
	s_or_b32 exec_lo, exec_lo, s1
	v_add_nc_u32_e32 v4, 16, v2
	s_delay_alu instid0(VALU_DEP_1) | instskip(SKIP_1) | instid1(VALU_DEP_1)
	v_cmp_le_i32_e64 s1, v0, v4
	v_cmp_gt_i32_e64 s0, s9, v4
	s_and_b32 s1, s1, s0
	s_delay_alu instid0(SALU_CYCLE_1)
	s_and_saveexec_b32 s6, s1
	s_cbranch_execz .LBB1099_7
; %bb.6:
	v_ashrrev_i32_e32 v5, 31, v4
	v_xor_b32_e32 v11, 0x80000000, v13
	v_xor_b32_e32 v12, 0x80000000, v12
	s_delay_alu instid0(VALU_DEP_3) | instskip(NEXT) | instid1(VALU_DEP_1)
	v_lshlrev_b64 v[14:15], 3, v[4:5]
	v_add_co_u32 v5, s1, v6, v14
	s_delay_alu instid0(VALU_DEP_1)
	v_add_co_ci_u32_e64 v6, s1, v7, v15, s1
	global_store_b64 v[5:6], v[11:12], off
.LBB1099_7:
	s_or_b32 exec_lo, exec_lo, s6
	v_add_nc_u32_e32 v5, 16, v0
	s_delay_alu instid0(VALU_DEP_1) | instskip(SKIP_3) | instid1(VALU_DEP_4)
	v_ashrrev_i32_e32 v0, 31, v5
	v_mul_lo_u32 v3, v5, s5
	v_mad_u64_u32 v[6:7], null, v5, s4, 0
	v_cmp_le_i32_e64 s1, v5, v2
	v_mul_lo_u32 v0, v0, s4
	s_delay_alu instid0(VALU_DEP_1) | instskip(NEXT) | instid1(VALU_DEP_1)
	v_add3_u32 v7, v7, v3, v0
	v_lshlrev_b64 v[6:7], 3, v[6:7]
	s_delay_alu instid0(VALU_DEP_1) | instskip(NEXT) | instid1(VALU_DEP_1)
	v_add_co_u32 v0, s2, s2, v6
	v_add_co_ci_u32_e64 v6, s2, s3, v7, s2
	s_and_b32 s2, s1, vcc_lo
	s_delay_alu instid0(SALU_CYCLE_1)
	s_and_saveexec_b32 s1, s2
	s_cbranch_execz .LBB1099_9
; %bb.8:
	v_ashrrev_i32_e32 v3, 31, v2
	v_xor_b32_e32 v9, 0x80000000, v9
	v_xor_b32_e32 v10, 0x80000000, v10
	s_delay_alu instid0(VALU_DEP_3) | instskip(NEXT) | instid1(VALU_DEP_1)
	v_lshlrev_b64 v[2:3], 3, v[2:3]
	v_add_co_u32 v2, vcc_lo, v0, v2
	s_delay_alu instid0(VALU_DEP_2)
	v_add_co_ci_u32_e32 v3, vcc_lo, v6, v3, vcc_lo
	global_store_b64 v[2:3], v[9:10], off
.LBB1099_9:
	s_or_b32 exec_lo, exec_lo, s1
	v_cmp_le_i32_e32 vcc_lo, v5, v4
	s_and_b32 s0, vcc_lo, s0
	s_delay_alu instid0(SALU_CYCLE_1)
	s_and_saveexec_b32 s1, s0
	s_cbranch_execz .LBB1099_11
; %bb.10:
	v_ashrrev_i32_e32 v5, 31, v4
	s_delay_alu instid0(VALU_DEP_1) | instskip(SKIP_2) | instid1(VALU_DEP_3)
	v_lshlrev_b64 v[2:3], 3, v[4:5]
	v_xor_b32_e32 v4, 0x80000000, v8
	v_xor_b32_e32 v5, 0x80000000, v1
	v_add_co_u32 v0, vcc_lo, v0, v2
	s_delay_alu instid0(VALU_DEP_4)
	v_add_co_ci_u32_e32 v1, vcc_lo, v6, v3, vcc_lo
	global_store_b64 v[0:1], v[4:5], off
.LBB1099_11:
	s_nop 0
	s_sendmsg sendmsg(MSG_DEALLOC_VGPRS)
	s_endpgm
	.section	.rodata,"a",@progbits
	.p2align	6, 0x0
	.amdhsa_kernel _ZL37rocblas_syrkx_herkx_restricted_kernelIl19rocblas_complex_numIfELi16ELi32ELi8ELin1ELi0ELb0ELc67ELc76EKS1_S1_EviT_PT9_S3_lS5_S3_lPT10_S3_li
		.amdhsa_group_segment_fixed_size 4096
		.amdhsa_private_segment_fixed_size 0
		.amdhsa_kernarg_size 92
		.amdhsa_user_sgpr_count 13
		.amdhsa_user_sgpr_dispatch_ptr 0
		.amdhsa_user_sgpr_queue_ptr 0
		.amdhsa_user_sgpr_kernarg_segment_ptr 1
		.amdhsa_user_sgpr_dispatch_id 0
		.amdhsa_user_sgpr_private_segment_size 0
		.amdhsa_wavefront_size32 1
		.amdhsa_uses_dynamic_stack 0
		.amdhsa_enable_private_segment 0
		.amdhsa_system_sgpr_workgroup_id_x 1
		.amdhsa_system_sgpr_workgroup_id_y 1
		.amdhsa_system_sgpr_workgroup_id_z 1
		.amdhsa_system_sgpr_workgroup_info 0
		.amdhsa_system_vgpr_workitem_id 1
		.amdhsa_next_free_vgpr 91
		.amdhsa_next_free_sgpr 32
		.amdhsa_reserve_vcc 1
		.amdhsa_float_round_mode_32 0
		.amdhsa_float_round_mode_16_64 0
		.amdhsa_float_denorm_mode_32 3
		.amdhsa_float_denorm_mode_16_64 3
		.amdhsa_dx10_clamp 1
		.amdhsa_ieee_mode 1
		.amdhsa_fp16_overflow 0
		.amdhsa_workgroup_processor_mode 1
		.amdhsa_memory_ordered 1
		.amdhsa_forward_progress 0
		.amdhsa_shared_vgpr_count 0
		.amdhsa_exception_fp_ieee_invalid_op 0
		.amdhsa_exception_fp_denorm_src 0
		.amdhsa_exception_fp_ieee_div_zero 0
		.amdhsa_exception_fp_ieee_overflow 0
		.amdhsa_exception_fp_ieee_underflow 0
		.amdhsa_exception_fp_ieee_inexact 0
		.amdhsa_exception_int_div_zero 0
	.end_amdhsa_kernel
	.section	.text._ZL37rocblas_syrkx_herkx_restricted_kernelIl19rocblas_complex_numIfELi16ELi32ELi8ELin1ELi0ELb0ELc67ELc76EKS1_S1_EviT_PT9_S3_lS5_S3_lPT10_S3_li,"axG",@progbits,_ZL37rocblas_syrkx_herkx_restricted_kernelIl19rocblas_complex_numIfELi16ELi32ELi8ELin1ELi0ELb0ELc67ELc76EKS1_S1_EviT_PT9_S3_lS5_S3_lPT10_S3_li,comdat
.Lfunc_end1099:
	.size	_ZL37rocblas_syrkx_herkx_restricted_kernelIl19rocblas_complex_numIfELi16ELi32ELi8ELin1ELi0ELb0ELc67ELc76EKS1_S1_EviT_PT9_S3_lS5_S3_lPT10_S3_li, .Lfunc_end1099-_ZL37rocblas_syrkx_herkx_restricted_kernelIl19rocblas_complex_numIfELi16ELi32ELi8ELin1ELi0ELb0ELc67ELc76EKS1_S1_EviT_PT9_S3_lS5_S3_lPT10_S3_li
                                        ; -- End function
	.section	.AMDGPU.csdata,"",@progbits
; Kernel info:
; codeLenInByte = 2184
; NumSgprs: 34
; NumVgprs: 91
; ScratchSize: 0
; MemoryBound: 0
; FloatMode: 240
; IeeeMode: 1
; LDSByteSize: 4096 bytes/workgroup (compile time only)
; SGPRBlocks: 4
; VGPRBlocks: 11
; NumSGPRsForWavesPerEU: 34
; NumVGPRsForWavesPerEU: 91
; Occupancy: 16
; WaveLimiterHint : 1
; COMPUTE_PGM_RSRC2:SCRATCH_EN: 0
; COMPUTE_PGM_RSRC2:USER_SGPR: 13
; COMPUTE_PGM_RSRC2:TRAP_HANDLER: 0
; COMPUTE_PGM_RSRC2:TGID_X_EN: 1
; COMPUTE_PGM_RSRC2:TGID_Y_EN: 1
; COMPUTE_PGM_RSRC2:TGID_Z_EN: 1
; COMPUTE_PGM_RSRC2:TIDIG_COMP_CNT: 1
	.section	.text._ZL37rocblas_syrkx_herkx_restricted_kernelIl19rocblas_complex_numIfELi16ELi32ELi8ELin1ELi0ELb0ELc78ELc76EKS1_S1_EviT_PT9_S3_lS5_S3_lPT10_S3_li,"axG",@progbits,_ZL37rocblas_syrkx_herkx_restricted_kernelIl19rocblas_complex_numIfELi16ELi32ELi8ELin1ELi0ELb0ELc78ELc76EKS1_S1_EviT_PT9_S3_lS5_S3_lPT10_S3_li,comdat
	.globl	_ZL37rocblas_syrkx_herkx_restricted_kernelIl19rocblas_complex_numIfELi16ELi32ELi8ELin1ELi0ELb0ELc78ELc76EKS1_S1_EviT_PT9_S3_lS5_S3_lPT10_S3_li ; -- Begin function _ZL37rocblas_syrkx_herkx_restricted_kernelIl19rocblas_complex_numIfELi16ELi32ELi8ELin1ELi0ELb0ELc78ELc76EKS1_S1_EviT_PT9_S3_lS5_S3_lPT10_S3_li
	.p2align	8
	.type	_ZL37rocblas_syrkx_herkx_restricted_kernelIl19rocblas_complex_numIfELi16ELi32ELi8ELin1ELi0ELb0ELc78ELc76EKS1_S1_EviT_PT9_S3_lS5_S3_lPT10_S3_li,@function
_ZL37rocblas_syrkx_herkx_restricted_kernelIl19rocblas_complex_numIfELi16ELi32ELi8ELin1ELi0ELb0ELc78ELc76EKS1_S1_EviT_PT9_S3_lS5_S3_lPT10_S3_li: ; @_ZL37rocblas_syrkx_herkx_restricted_kernelIl19rocblas_complex_numIfELi16ELi32ELi8ELin1ELi0ELb0ELc78ELc76EKS1_S1_EviT_PT9_S3_lS5_S3_lPT10_S3_li
; %bb.0:
	s_load_b512 s[16:31], s[0:1], 0x8
	v_dual_mov_b32 v14, 0 :: v_dual_mov_b32 v15, 0
	v_dual_mov_b32 v13, 0 :: v_dual_mov_b32 v12, 0
	v_dual_mov_b32 v8, 0 :: v_dual_mov_b32 v9, 0
	v_dual_mov_b32 v7, 0 :: v_dual_and_b32 v4, 0x3ff, v0
	v_bfe_u32 v5, v0, 10, 10
	v_mov_b32_e32 v6, 0
	s_lshl_b32 s8, s13, 5
	s_lshl_b32 s9, s14, 5
	s_waitcnt lgkmcnt(0)
	v_cmp_lt_i64_e64 s2, s[16:17], 1
	s_delay_alu instid0(VALU_DEP_1)
	s_and_b32 vcc_lo, exec_lo, s2
	s_cbranch_vccnz .LBB1100_3
; %bb.1:
	v_lshl_add_u32 v1, v5, 4, v4
	v_and_b32_e32 v13, 7, v4
	s_mul_i32 s3, s23, s15
	s_mul_hi_u32 s5, s22, s15
	s_mul_i32 s2, s22, s15
	v_and_b32_e32 v9, 31, v1
	v_lshrrev_b32_e32 v12, 3, v1
	v_lshrrev_b32_e32 v14, 5, v1
	s_add_i32 s3, s5, s3
	s_mul_i32 s6, s29, s15
	v_add_nc_u32_e32 v0, s8, v9
	v_add_nc_u32_e32 v2, s9, v12
	s_lshl_b64 s[2:3], s[2:3], 3
	s_mul_hi_u32 s7, s28, s15
	s_add_u32 s10, s18, s2
	v_ashrrev_i32_e32 v1, 31, v0
	v_ashrrev_i32_e32 v3, 31, v2
	s_mul_i32 s4, s28, s15
	s_addc_u32 s11, s19, s3
	s_add_i32 s5, s7, s6
	v_mad_u64_u32 v[6:7], null, v14, s20, v[0:1]
	v_mad_u64_u32 v[0:1], null, v13, s26, v[2:3]
	s_lshl_b64 s[4:5], s[4:5], 3
	s_lshl_b64 s[2:3], s[20:21], 6
	s_add_u32 s4, s24, s4
	s_addc_u32 s5, s25, s5
	s_delay_alu instid0(VALU_DEP_2) | instskip(SKIP_3) | instid1(VALU_DEP_3)
	v_mov_b32_e32 v2, v7
	v_lshlrev_b32_e32 v10, 3, v4
	v_lshl_add_u32 v11, v5, 6, 0x800
	s_mov_b64 s[6:7], 0
	v_mad_u64_u32 v[7:8], null, v14, s21, v[2:3]
	v_mad_u64_u32 v[2:3], null, v13, s27, v[1:2]
	s_delay_alu instid0(VALU_DEP_1) | instskip(NEXT) | instid1(VALU_DEP_3)
	v_dual_mov_b32 v1, v2 :: v_dual_lshlrev_b32 v8, 3, v9
	v_lshlrev_b64 v[2:3], 3, v[6:7]
	s_delay_alu instid0(VALU_DEP_2) | instskip(NEXT) | instid1(VALU_DEP_2)
	v_lshlrev_b64 v[0:1], 3, v[0:1]
	v_add_co_u32 v2, vcc_lo, s10, v2
	s_delay_alu instid0(VALU_DEP_3) | instskip(NEXT) | instid1(VALU_DEP_3)
	v_add_co_ci_u32_e32 v3, vcc_lo, s11, v3, vcc_lo
	v_add_co_u32 v6, vcc_lo, s4, v0
	s_delay_alu instid0(VALU_DEP_4) | instskip(NEXT) | instid1(VALU_DEP_4)
	v_add_co_ci_u32_e32 v7, vcc_lo, s5, v1, vcc_lo
	v_add_co_u32 v0, vcc_lo, v2, 4
	s_delay_alu instid0(VALU_DEP_4) | instskip(NEXT) | instid1(VALU_DEP_4)
	v_add_co_ci_u32_e32 v1, vcc_lo, 0, v3, vcc_lo
	v_add_co_u32 v2, vcc_lo, v6, 4
	v_dual_mov_b32 v6, 0 :: v_dual_lshlrev_b32 v15, 3, v13
	v_mov_b32_e32 v13, 0
	v_lshl_or_b32 v16, v14, 8, v8
	v_mov_b32_e32 v8, 0
	v_add_co_ci_u32_e32 v3, vcc_lo, 0, v7, vcc_lo
	v_lshl_or_b32 v9, v12, 6, v15
	v_dual_mov_b32 v7, 0 :: v_dual_mov_b32 v12, 0
	v_dual_mov_b32 v15, 0 :: v_dual_mov_b32 v14, 0
	s_delay_alu instid0(VALU_DEP_3)
	v_add_nc_u32_e32 v17, 0x800, v9
	v_mov_b32_e32 v9, 0
	s_lshl_b64 s[4:5], s[26:27], 6
.LBB1100_2:                             ; =>This Inner Loop Header: Depth=1
	global_load_b64 v[18:19], v[0:1], off offset:-4
	global_load_b64 v[20:21], v[2:3], off offset:-4
	s_add_u32 s6, s6, 8
	v_add_co_u32 v0, vcc_lo, v0, s2
	s_addc_u32 s7, s7, 0
	v_add_co_ci_u32_e32 v1, vcc_lo, s3, v1, vcc_lo
	v_cmp_ge_u64_e64 s10, s[6:7], s[16:17]
	v_add_co_u32 v2, vcc_lo, v2, s4
	v_add_co_ci_u32_e32 v3, vcc_lo, s5, v3, vcc_lo
	s_waitcnt vmcnt(1)
	ds_store_b64 v16, v[18:19]
	s_waitcnt vmcnt(0)
	ds_store_b64 v17, v[20:21]
	s_waitcnt lgkmcnt(0)
	s_barrier
	buffer_gl0_inv
	ds_load_2addr_b64 v[18:21], v10 offset1:16
	ds_load_b128 v[22:25], v11
	ds_load_b128 v[26:29], v11 offset:1024
	ds_load_b128 v[30:33], v11 offset:16
	;; [unrolled: 1-line block ×4, first 2 shown]
	ds_load_2addr_b64 v[42:45], v10 offset0:32 offset1:48
	ds_load_2addr_b64 v[46:49], v10 offset0:64 offset1:80
	ds_load_b128 v[50:53], v11 offset:1040
	ds_load_2addr_b64 v[54:57], v10 offset0:96 offset1:112
	ds_load_2addr_b64 v[58:61], v10 offset0:128 offset1:144
	;; [unrolled: 1-line block ×4, first 2 shown]
	ds_load_b128 v[70:73], v11 offset:1056
	ds_load_b128 v[74:77], v11 offset:1072
	ds_load_2addr_b64 v[78:81], v10 offset0:224 offset1:240
	s_and_b32 vcc_lo, exec_lo, s10
	s_waitcnt lgkmcnt(0)
	s_barrier
	buffer_gl0_inv
	v_dual_mul_f32 v82, v23, v19 :: v_dual_mul_f32 v85, v22, v21
	v_dual_mul_f32 v83, v22, v19 :: v_dual_mul_f32 v84, v23, v21
	v_mul_f32_e32 v86, v27, v19
	v_dual_mul_f32 v19, v26, v19 :: v_dual_mul_f32 v90, v25, v45
	v_dual_mul_f32 v87, v27, v21 :: v_dual_mul_f32 v88, v25, v43
	v_mul_f32_e32 v21, v26, v21
	v_mul_f32_e32 v89, v24, v43
	;; [unrolled: 1-line block ×3, first 2 shown]
	v_fma_f32 v82, v22, v18, -v82
	v_fmac_f32_e32 v83, v23, v18
	v_fma_f32 v22, v22, v20, -v84
	v_dual_fmac_f32 v85, v23, v20 :: v_dual_mul_f32 v84, v30, v47
	v_fma_f32 v23, v26, v18, -v86
	v_fmac_f32_e32 v19, v27, v18
	v_fma_f32 v18, v26, v20, -v87
	v_dual_mul_f32 v26, v28, v43 :: v_dual_fmac_f32 v21, v27, v20
	v_mul_f32_e32 v20, v29, v43
	v_mul_f32_e32 v27, v29, v45
	v_dual_mul_f32 v43, v28, v45 :: v_dual_fmac_f32 v84, v31, v46
	v_fma_f32 v45, v24, v42, -v88
	v_fma_f32 v24, v24, v44, -v90
	v_dual_fmac_f32 v91, v25, v44 :: v_dual_mul_f32 v90, v32, v57
	v_dual_mul_f32 v86, v31, v49 :: v_dual_fmac_f32 v89, v25, v42
	v_dual_mul_f32 v25, v31, v47 :: v_dual_mul_f32 v88, v33, v57
	v_fma_f32 v20, v28, v42, -v20
	v_fmac_f32_e32 v26, v29, v42
	v_fma_f32 v27, v28, v44, -v27
	v_dual_fmac_f32 v43, v29, v44 :: v_dual_mul_f32 v28, v51, v47
	v_dual_mul_f32 v29, v50, v47 :: v_dual_mul_f32 v42, v51, v49
	v_mul_f32_e32 v44, v50, v49
	v_mul_f32_e32 v87, v30, v49
	;; [unrolled: 1-line block ×3, first 2 shown]
	v_dual_mul_f32 v49, v32, v55 :: v_dual_fmac_f32 v90, v33, v56
	v_fma_f32 v25, v30, v46, -v25
	v_fma_f32 v30, v30, v48, -v86
	;; [unrolled: 1-line block ×3, first 2 shown]
	v_fmac_f32_e32 v44, v51, v48
	v_fmac_f32_e32 v87, v31, v48
	v_fma_f32 v31, v50, v48, -v42
	v_mul_f32_e32 v42, v53, v55
	v_mul_f32_e32 v48, v53, v57
	v_dual_mul_f32 v50, v52, v57 :: v_dual_fmac_f32 v29, v51, v46
	v_mul_f32_e32 v46, v52, v55
	v_fma_f32 v47, v32, v54, -v47
	v_fmac_f32_e32 v49, v33, v54
	v_fma_f32 v32, v32, v56, -v88
	s_delay_alu instid0(VALU_DEP_4)
	v_dual_mul_f32 v33, v35, v59 :: v_dual_fmac_f32 v46, v53, v54
	v_mul_f32_e32 v51, v34, v59
	v_mul_f32_e32 v55, v35, v61
	v_fma_f32 v42, v52, v54, -v42
	v_fma_f32 v48, v52, v56, -v48
	v_fmac_f32_e32 v50, v53, v56
	v_mul_f32_e32 v52, v71, v59
	v_dual_mul_f32 v53, v70, v59 :: v_dual_mul_f32 v86, v37, v65
	v_mul_f32_e32 v54, v71, v61
	v_dual_mul_f32 v56, v70, v61 :: v_dual_mul_f32 v59, v37, v63
	v_mul_f32_e32 v57, v34, v61
	v_mul_f32_e32 v61, v36, v63
	v_dual_mul_f32 v88, v36, v65 :: v_dual_fmac_f32 v51, v35, v58
	v_fma_f32 v33, v34, v58, -v33
	v_fmac_f32_e32 v53, v71, v58
	v_fmac_f32_e32 v56, v71, v60
	s_delay_alu instid0(VALU_DEP_4)
	v_fmac_f32_e32 v88, v37, v64
	v_fmac_f32_e32 v57, v35, v60
	v_fma_f32 v35, v70, v58, -v52
	v_fma_f32 v52, v70, v60, -v54
	v_mul_f32_e32 v54, v73, v63
	v_fma_f32 v34, v34, v60, -v55
	v_mul_f32_e32 v60, v72, v65
	v_dual_mul_f32 v55, v72, v63 :: v_dual_mul_f32 v70, v38, v69
	v_mul_f32_e32 v58, v73, v65
	v_fma_f32 v59, v36, v62, -v59
	v_fmac_f32_e32 v61, v37, v62
	v_fma_f32 v36, v36, v64, -v86
	v_dual_mul_f32 v37, v39, v67 :: v_dual_fmac_f32 v60, v73, v64
	v_dual_mul_f32 v63, v38, v67 :: v_dual_mul_f32 v86, v40, v81
	v_mul_f32_e32 v65, v39, v69
	v_fma_f32 v54, v72, v62, -v54
	v_fmac_f32_e32 v55, v73, v62
	v_fma_f32 v58, v72, v64, -v58
	v_mul_f32_e32 v72, v40, v79
	v_mul_f32_e32 v62, v75, v67
	v_dual_mul_f32 v64, v74, v67 :: v_dual_mul_f32 v67, v75, v69
	v_dual_mul_f32 v69, v74, v69 :: v_dual_fmac_f32 v70, v39, v68
	s_delay_alu instid0(VALU_DEP_2)
	v_dual_mul_f32 v71, v41, v79 :: v_dual_fmac_f32 v64, v75, v66
	v_fma_f32 v37, v38, v66, -v37
	v_fmac_f32_e32 v63, v39, v66
	v_fma_f32 v38, v38, v68, -v65
	v_fma_f32 v39, v74, v66, -v62
	v_dual_fmac_f32 v69, v75, v68 :: v_dual_fmac_f32 v72, v41, v78
	v_mul_f32_e32 v66, v76, v79
	v_fma_f32 v62, v74, v68, -v67
	v_mul_f32_e32 v68, v76, v81
	v_dual_mul_f32 v73, v41, v81 :: v_dual_add_f32 v14, v14, v82
	v_dual_mul_f32 v65, v77, v79 :: v_dual_add_f32 v12, v12, v85
	;; [unrolled: 1-line block ×3, first 2 shown]
	v_dual_fmac_f32 v86, v41, v80 :: v_dual_add_f32 v15, v15, v83
	v_dual_fmac_f32 v68, v77, v80 :: v_dual_add_f32 v7, v7, v18
	v_dual_add_f32 v13, v13, v22 :: v_dual_add_f32 v6, v6, v21
	v_dual_add_f32 v9, v9, v19 :: v_dual_add_f32 v14, v14, v45
	s_delay_alu instid0(VALU_DEP_4) | instskip(NEXT) | instid1(VALU_DEP_3)
	v_dual_fmac_f32 v66, v77, v78 :: v_dual_add_f32 v15, v15, v89
	v_dual_add_f32 v13, v13, v24 :: v_dual_add_f32 v12, v12, v91
	s_delay_alu instid0(VALU_DEP_3) | instskip(NEXT) | instid1(VALU_DEP_4)
	v_dual_add_f32 v8, v8, v20 :: v_dual_add_f32 v9, v9, v26
	v_dual_add_f32 v7, v7, v27 :: v_dual_add_f32 v14, v14, v25
	s_delay_alu instid0(VALU_DEP_4) | instskip(NEXT) | instid1(VALU_DEP_4)
	v_dual_add_f32 v6, v6, v43 :: v_dual_add_f32 v15, v15, v84
	v_dual_add_f32 v13, v13, v30 :: v_dual_add_f32 v12, v12, v87
	s_delay_alu instid0(VALU_DEP_4) | instskip(NEXT) | instid1(VALU_DEP_3)
	v_dual_add_f32 v8, v8, v28 :: v_dual_add_f32 v9, v9, v29
	v_dual_add_f32 v7, v7, v31 :: v_dual_add_f32 v6, v6, v44
	s_delay_alu instid0(VALU_DEP_4) | instskip(NEXT) | instid1(VALU_DEP_4)
	v_dual_add_f32 v14, v14, v47 :: v_dual_add_f32 v15, v15, v49
	v_dual_add_f32 v13, v13, v32 :: v_dual_add_f32 v12, v12, v90
	s_delay_alu instid0(VALU_DEP_3) | instskip(NEXT) | instid1(VALU_DEP_3)
	v_dual_add_f32 v8, v8, v42 :: v_dual_add_f32 v7, v7, v48
	v_dual_add_f32 v9, v9, v46 :: v_dual_add_f32 v14, v14, v33
	s_delay_alu instid0(VALU_DEP_4) | instskip(NEXT) | instid1(VALU_DEP_4)
	v_dual_add_f32 v6, v6, v50 :: v_dual_add_f32 v15, v15, v51
	v_dual_add_f32 v13, v13, v34 :: v_dual_add_f32 v12, v12, v57
	s_delay_alu instid0(VALU_DEP_3) | instskip(NEXT) | instid1(VALU_DEP_4)
	v_dual_add_f32 v8, v8, v35 :: v_dual_add_f32 v9, v9, v53
	v_dual_add_f32 v7, v7, v52 :: v_dual_add_f32 v14, v14, v59
	s_delay_alu instid0(VALU_DEP_4) | instskip(NEXT) | instid1(VALU_DEP_3)
	v_dual_add_f32 v6, v6, v56 :: v_dual_add_f32 v15, v15, v61
	v_dual_add_f32 v13, v13, v36 :: v_dual_add_f32 v8, v8, v54
	s_delay_alu instid0(VALU_DEP_4) | instskip(NEXT) | instid1(VALU_DEP_3)
	v_dual_add_f32 v12, v12, v88 :: v_dual_add_f32 v9, v9, v55
	v_dual_add_f32 v7, v7, v58 :: v_dual_add_f32 v6, v6, v60
	v_fma_f32 v71, v40, v78, -v71
	v_fma_f32 v40, v40, v80, -v73
	;; [unrolled: 1-line block ×4, first 2 shown]
	v_dual_add_f32 v14, v14, v37 :: v_dual_add_f32 v15, v15, v63
	v_dual_add_f32 v13, v13, v38 :: v_dual_add_f32 v8, v8, v39
	;; [unrolled: 1-line block ×4, first 2 shown]
	s_delay_alu instid0(VALU_DEP_4) | instskip(NEXT) | instid1(VALU_DEP_3)
	v_dual_add_f32 v14, v14, v71 :: v_dual_add_f32 v15, v15, v72
	v_dual_add_f32 v13, v13, v40 :: v_dual_add_f32 v12, v12, v86
	s_delay_alu instid0(VALU_DEP_4) | instskip(NEXT) | instid1(VALU_DEP_4)
	v_dual_add_f32 v8, v8, v41 :: v_dual_add_f32 v9, v9, v66
	v_dual_add_f32 v7, v7, v65 :: v_dual_add_f32 v6, v6, v68
	s_cbranch_vccz .LBB1100_2
.LBB1100_3:
	s_load_b128 s[4:7], s[0:1], 0x48
	v_add_nc_u32_e32 v5, s9, v5
	s_load_b32 s9, s[0:1], 0x0
	s_delay_alu instid0(VALU_DEP_1) | instskip(SKIP_1) | instid1(VALU_DEP_1)
	v_ashrrev_i32_e32 v0, 31, v5
	s_waitcnt lgkmcnt(0)
	v_mul_lo_u32 v3, v0, s4
	v_mul_lo_u32 v10, v5, s5
	v_mad_u64_u32 v[1:2], null, v5, s4, 0
	s_mul_i32 s1, s15, s7
	s_mul_hi_u32 s3, s15, s6
	s_mul_i32 s2, s15, s6
	s_add_i32 s3, s3, s1
	v_add_nc_u32_e32 v0, s8, v4
	s_lshl_b64 s[2:3], s[2:3], 3
	s_delay_alu instid0(VALU_DEP_2)
	v_add3_u32 v2, v2, v10, v3
	s_add_u32 s2, s30, s2
	s_addc_u32 s3, s31, s3
	v_cmp_le_i32_e64 s0, v5, v0
	v_cmp_gt_i32_e32 vcc_lo, s9, v0
	v_lshlrev_b64 v[1:2], 3, v[1:2]
	s_delay_alu instid0(VALU_DEP_3) | instskip(NEXT) | instid1(VALU_DEP_1)
	s_and_b32 s0, s0, vcc_lo
	v_add_co_u32 v4, s1, s2, v1
	s_delay_alu instid0(VALU_DEP_1)
	v_add_co_ci_u32_e64 v10, s1, s3, v2, s1
	s_and_saveexec_b32 s1, s0
	s_cbranch_execz .LBB1100_5
; %bb.4:
	v_ashrrev_i32_e32 v1, 31, v0
	v_xor_b32_e32 v14, 0x80000000, v14
	v_xor_b32_e32 v15, 0x80000000, v15
	s_delay_alu instid0(VALU_DEP_3) | instskip(NEXT) | instid1(VALU_DEP_1)
	v_lshlrev_b64 v[1:2], 3, v[0:1]
	v_add_co_u32 v1, s0, v4, v1
	s_delay_alu instid0(VALU_DEP_1)
	v_add_co_ci_u32_e64 v2, s0, v10, v2, s0
	global_store_b64 v[1:2], v[14:15], off
.LBB1100_5:
	s_or_b32 exec_lo, exec_lo, s1
	v_add_nc_u32_e32 v2, 16, v0
	s_delay_alu instid0(VALU_DEP_1) | instskip(SKIP_1) | instid1(VALU_DEP_1)
	v_cmp_le_i32_e64 s1, v5, v2
	v_cmp_gt_i32_e64 s0, s9, v2
	s_and_b32 s1, s1, s0
	s_delay_alu instid0(SALU_CYCLE_1)
	s_and_saveexec_b32 s6, s1
	s_cbranch_execz .LBB1100_7
; %bb.6:
	v_ashrrev_i32_e32 v3, 31, v2
	v_xor_b32_e32 v11, 0x80000000, v13
	v_xor_b32_e32 v12, 0x80000000, v12
	s_delay_alu instid0(VALU_DEP_3) | instskip(NEXT) | instid1(VALU_DEP_1)
	v_lshlrev_b64 v[14:15], 3, v[2:3]
	v_add_co_u32 v3, s1, v4, v14
	s_delay_alu instid0(VALU_DEP_1)
	v_add_co_ci_u32_e64 v4, s1, v10, v15, s1
	global_store_b64 v[3:4], v[11:12], off
.LBB1100_7:
	s_or_b32 exec_lo, exec_lo, s6
	v_add_nc_u32_e32 v3, 16, v5
	s_delay_alu instid0(VALU_DEP_1) | instskip(SKIP_3) | instid1(VALU_DEP_4)
	v_ashrrev_i32_e32 v1, 31, v3
	v_mul_lo_u32 v10, v3, s5
	v_mad_u64_u32 v[4:5], null, v3, s4, 0
	v_cmp_le_i32_e64 s1, v3, v0
	v_mul_lo_u32 v1, v1, s4
	s_delay_alu instid0(VALU_DEP_1) | instskip(NEXT) | instid1(VALU_DEP_1)
	v_add3_u32 v5, v5, v10, v1
	v_lshlrev_b64 v[4:5], 3, v[4:5]
	s_delay_alu instid0(VALU_DEP_1) | instskip(NEXT) | instid1(VALU_DEP_1)
	v_add_co_u32 v4, s2, s2, v4
	v_add_co_ci_u32_e64 v5, s2, s3, v5, s2
	s_and_b32 s2, s1, vcc_lo
	s_delay_alu instid0(SALU_CYCLE_1)
	s_and_saveexec_b32 s1, s2
	s_cbranch_execz .LBB1100_9
; %bb.8:
	v_ashrrev_i32_e32 v1, 31, v0
	v_xor_b32_e32 v8, 0x80000000, v8
	v_xor_b32_e32 v9, 0x80000000, v9
	s_delay_alu instid0(VALU_DEP_3) | instskip(NEXT) | instid1(VALU_DEP_1)
	v_lshlrev_b64 v[0:1], 3, v[0:1]
	v_add_co_u32 v0, vcc_lo, v4, v0
	s_delay_alu instid0(VALU_DEP_2)
	v_add_co_ci_u32_e32 v1, vcc_lo, v5, v1, vcc_lo
	global_store_b64 v[0:1], v[8:9], off
.LBB1100_9:
	s_or_b32 exec_lo, exec_lo, s1
	v_cmp_le_i32_e32 vcc_lo, v3, v2
	s_and_b32 s0, vcc_lo, s0
	s_delay_alu instid0(SALU_CYCLE_1)
	s_and_saveexec_b32 s1, s0
	s_cbranch_execz .LBB1100_11
; %bb.10:
	v_ashrrev_i32_e32 v3, 31, v2
	s_delay_alu instid0(VALU_DEP_1) | instskip(SKIP_2) | instid1(VALU_DEP_3)
	v_lshlrev_b64 v[0:1], 3, v[2:3]
	v_xor_b32_e32 v2, 0x80000000, v7
	v_xor_b32_e32 v3, 0x80000000, v6
	v_add_co_u32 v0, vcc_lo, v4, v0
	s_delay_alu instid0(VALU_DEP_4)
	v_add_co_ci_u32_e32 v1, vcc_lo, v5, v1, vcc_lo
	global_store_b64 v[0:1], v[2:3], off
.LBB1100_11:
	s_nop 0
	s_sendmsg sendmsg(MSG_DEALLOC_VGPRS)
	s_endpgm
	.section	.rodata,"a",@progbits
	.p2align	6, 0x0
	.amdhsa_kernel _ZL37rocblas_syrkx_herkx_restricted_kernelIl19rocblas_complex_numIfELi16ELi32ELi8ELin1ELi0ELb0ELc78ELc76EKS1_S1_EviT_PT9_S3_lS5_S3_lPT10_S3_li
		.amdhsa_group_segment_fixed_size 4096
		.amdhsa_private_segment_fixed_size 0
		.amdhsa_kernarg_size 92
		.amdhsa_user_sgpr_count 13
		.amdhsa_user_sgpr_dispatch_ptr 0
		.amdhsa_user_sgpr_queue_ptr 0
		.amdhsa_user_sgpr_kernarg_segment_ptr 1
		.amdhsa_user_sgpr_dispatch_id 0
		.amdhsa_user_sgpr_private_segment_size 0
		.amdhsa_wavefront_size32 1
		.amdhsa_uses_dynamic_stack 0
		.amdhsa_enable_private_segment 0
		.amdhsa_system_sgpr_workgroup_id_x 1
		.amdhsa_system_sgpr_workgroup_id_y 1
		.amdhsa_system_sgpr_workgroup_id_z 1
		.amdhsa_system_sgpr_workgroup_info 0
		.amdhsa_system_vgpr_workitem_id 1
		.amdhsa_next_free_vgpr 92
		.amdhsa_next_free_sgpr 32
		.amdhsa_reserve_vcc 1
		.amdhsa_float_round_mode_32 0
		.amdhsa_float_round_mode_16_64 0
		.amdhsa_float_denorm_mode_32 3
		.amdhsa_float_denorm_mode_16_64 3
		.amdhsa_dx10_clamp 1
		.amdhsa_ieee_mode 1
		.amdhsa_fp16_overflow 0
		.amdhsa_workgroup_processor_mode 1
		.amdhsa_memory_ordered 1
		.amdhsa_forward_progress 0
		.amdhsa_shared_vgpr_count 0
		.amdhsa_exception_fp_ieee_invalid_op 0
		.amdhsa_exception_fp_denorm_src 0
		.amdhsa_exception_fp_ieee_div_zero 0
		.amdhsa_exception_fp_ieee_overflow 0
		.amdhsa_exception_fp_ieee_underflow 0
		.amdhsa_exception_fp_ieee_inexact 0
		.amdhsa_exception_int_div_zero 0
	.end_amdhsa_kernel
	.section	.text._ZL37rocblas_syrkx_herkx_restricted_kernelIl19rocblas_complex_numIfELi16ELi32ELi8ELin1ELi0ELb0ELc78ELc76EKS1_S1_EviT_PT9_S3_lS5_S3_lPT10_S3_li,"axG",@progbits,_ZL37rocblas_syrkx_herkx_restricted_kernelIl19rocblas_complex_numIfELi16ELi32ELi8ELin1ELi0ELb0ELc78ELc76EKS1_S1_EviT_PT9_S3_lS5_S3_lPT10_S3_li,comdat
.Lfunc_end1100:
	.size	_ZL37rocblas_syrkx_herkx_restricted_kernelIl19rocblas_complex_numIfELi16ELi32ELi8ELin1ELi0ELb0ELc78ELc76EKS1_S1_EviT_PT9_S3_lS5_S3_lPT10_S3_li, .Lfunc_end1100-_ZL37rocblas_syrkx_herkx_restricted_kernelIl19rocblas_complex_numIfELi16ELi32ELi8ELin1ELi0ELb0ELc78ELc76EKS1_S1_EviT_PT9_S3_lS5_S3_lPT10_S3_li
                                        ; -- End function
	.section	.AMDGPU.csdata,"",@progbits
; Kernel info:
; codeLenInByte = 2184
; NumSgprs: 34
; NumVgprs: 92
; ScratchSize: 0
; MemoryBound: 0
; FloatMode: 240
; IeeeMode: 1
; LDSByteSize: 4096 bytes/workgroup (compile time only)
; SGPRBlocks: 4
; VGPRBlocks: 11
; NumSGPRsForWavesPerEU: 34
; NumVGPRsForWavesPerEU: 92
; Occupancy: 16
; WaveLimiterHint : 1
; COMPUTE_PGM_RSRC2:SCRATCH_EN: 0
; COMPUTE_PGM_RSRC2:USER_SGPR: 13
; COMPUTE_PGM_RSRC2:TRAP_HANDLER: 0
; COMPUTE_PGM_RSRC2:TGID_X_EN: 1
; COMPUTE_PGM_RSRC2:TGID_Y_EN: 1
; COMPUTE_PGM_RSRC2:TGID_Z_EN: 1
; COMPUTE_PGM_RSRC2:TIDIG_COMP_CNT: 1
	.section	.text._ZL37rocblas_syrkx_herkx_restricted_kernelIl19rocblas_complex_numIfELi16ELi32ELi8ELin1ELi0ELb0ELc84ELc85EKS1_S1_EviT_PT9_S3_lS5_S3_lPT10_S3_li,"axG",@progbits,_ZL37rocblas_syrkx_herkx_restricted_kernelIl19rocblas_complex_numIfELi16ELi32ELi8ELin1ELi0ELb0ELc84ELc85EKS1_S1_EviT_PT9_S3_lS5_S3_lPT10_S3_li,comdat
	.globl	_ZL37rocblas_syrkx_herkx_restricted_kernelIl19rocblas_complex_numIfELi16ELi32ELi8ELin1ELi0ELb0ELc84ELc85EKS1_S1_EviT_PT9_S3_lS5_S3_lPT10_S3_li ; -- Begin function _ZL37rocblas_syrkx_herkx_restricted_kernelIl19rocblas_complex_numIfELi16ELi32ELi8ELin1ELi0ELb0ELc84ELc85EKS1_S1_EviT_PT9_S3_lS5_S3_lPT10_S3_li
	.p2align	8
	.type	_ZL37rocblas_syrkx_herkx_restricted_kernelIl19rocblas_complex_numIfELi16ELi32ELi8ELin1ELi0ELb0ELc84ELc85EKS1_S1_EviT_PT9_S3_lS5_S3_lPT10_S3_li,@function
_ZL37rocblas_syrkx_herkx_restricted_kernelIl19rocblas_complex_numIfELi16ELi32ELi8ELin1ELi0ELb0ELc84ELc85EKS1_S1_EviT_PT9_S3_lS5_S3_lPT10_S3_li: ; @_ZL37rocblas_syrkx_herkx_restricted_kernelIl19rocblas_complex_numIfELi16ELi32ELi8ELin1ELi0ELb0ELc84ELc85EKS1_S1_EviT_PT9_S3_lS5_S3_lPT10_S3_li
; %bb.0:
	s_load_b512 s[16:31], s[0:1], 0x8
	v_dual_mov_b32 v15, 0 :: v_dual_mov_b32 v16, 0
	v_dual_mov_b32 v13, 0 :: v_dual_mov_b32 v12, 0
	;; [unrolled: 1-line block ×4, first 2 shown]
	v_and_b32_e32 v6, 0x3ff, v0
	v_bfe_u32 v7, v0, 10, 10
	s_lshl_b32 s8, s13, 5
	s_lshl_b32 s9, s14, 5
	s_waitcnt lgkmcnt(0)
	v_cmp_lt_i64_e64 s2, s[16:17], 1
	s_delay_alu instid0(VALU_DEP_1)
	s_and_b32 vcc_lo, exec_lo, s2
	s_cbranch_vccnz .LBB1101_3
; %bb.1:
	v_lshl_add_u32 v2, v7, 4, v6
	v_dual_mov_b32 v1, 0 :: v_dual_and_b32 v0, 7, v6
	s_mul_i32 s3, s23, s15
	s_mul_hi_u32 s4, s22, s15
	s_delay_alu instid0(VALU_DEP_2)
	v_and_b32_e32 v10, 31, v2
	v_lshrrev_b32_e32 v12, 3, v2
	v_mov_b32_e32 v3, v1
	v_lshrrev_b32_e32 v2, 5, v2
	v_lshlrev_b32_e32 v14, 3, v0
	v_add_nc_u32_e32 v8, s8, v10
	v_add_nc_u32_e32 v13, s9, v12
	s_mul_i32 s2, s22, s15
	s_add_i32 s3, s4, s3
	s_mul_hi_u32 s5, s28, s15
	v_ashrrev_i32_e32 v9, 31, v8
	v_mad_u64_u32 v[4:5], null, s20, v8, v[2:3]
	v_mul_lo_u32 v3, s21, v8
	s_lshl_b64 s[2:3], s[2:3], 3
	s_delay_alu instid0(VALU_DEP_3)
	v_mul_lo_u32 v16, s20, v9
	v_mad_u64_u32 v[8:9], null, v13, s26, v[0:1]
	v_lshlrev_b32_e32 v0, 3, v10
	v_lshl_or_b32 v10, v12, 6, v14
	s_add_u32 s4, s18, s2
	s_mul_i32 s2, s29, s15
	s_addc_u32 s6, s19, s3
	s_delay_alu instid0(VALU_DEP_4)
	v_add3_u32 v5, v3, v5, v16
	v_add_nc_u32_e32 v14, 0x800, v10
	v_mov_b32_e32 v10, v1
	v_ashrrev_i32_e32 v15, 31, v13
	v_mul_lo_u32 v17, v13, s27
	s_add_i32 s3, s5, s2
	s_mul_i32 s2, s28, s15
	v_lshlrev_b32_e32 v11, 3, v6
	v_mul_lo_u32 v13, v15, s26
	v_mov_b32_e32 v15, v1
	v_lshl_or_b32 v0, v2, 8, v0
	v_lshlrev_b64 v[2:3], 3, v[4:5]
	s_lshl_b64 s[2:3], s[2:3], 3
	v_mov_b32_e32 v12, v1
	s_add_u32 s2, s24, s2
	s_addc_u32 s3, s25, s3
	v_add3_u32 v9, v13, v9, v17
	v_add_co_u32 v2, vcc_lo, s4, v2
	v_add_co_ci_u32_e32 v3, vcc_lo, s6, v3, vcc_lo
	s_delay_alu instid0(VALU_DEP_3)
	v_lshlrev_b64 v[4:5], 3, v[8:9]
	v_mov_b32_e32 v8, v1
	v_lshl_add_u32 v17, v7, 6, 0x800
	v_mov_b32_e32 v9, v1
	v_mov_b32_e32 v13, v1
	;; [unrolled: 1-line block ×3, first 2 shown]
	v_add_co_u32 v4, vcc_lo, s2, v4
	v_add_co_ci_u32_e32 v5, vcc_lo, s3, v5, vcc_lo
	v_add_co_u32 v2, vcc_lo, v2, 4
	v_add_co_ci_u32_e32 v3, vcc_lo, 0, v3, vcc_lo
	s_delay_alu instid0(VALU_DEP_4) | instskip(NEXT) | instid1(VALU_DEP_4)
	v_add_co_u32 v4, vcc_lo, v4, 4
	v_add_co_ci_u32_e32 v5, vcc_lo, 0, v5, vcc_lo
	s_mov_b64 s[2:3], 0
.LBB1101_2:                             ; =>This Inner Loop Header: Depth=1
	global_load_b64 v[18:19], v[2:3], off offset:-4
	global_load_b64 v[20:21], v[4:5], off offset:-4
	s_add_u32 s2, s2, 8
	v_add_co_u32 v2, vcc_lo, v2, 64
	s_addc_u32 s3, s3, 0
	v_add_co_ci_u32_e32 v3, vcc_lo, 0, v3, vcc_lo
	v_cmp_ge_u64_e64 s4, s[2:3], s[16:17]
	v_add_co_u32 v4, vcc_lo, v4, 64
	v_add_co_ci_u32_e32 v5, vcc_lo, 0, v5, vcc_lo
	s_waitcnt vmcnt(1)
	ds_store_b64 v0, v[18:19]
	s_waitcnt vmcnt(0)
	ds_store_b64 v14, v[20:21]
	s_waitcnt lgkmcnt(0)
	s_barrier
	buffer_gl0_inv
	ds_load_2addr_b64 v[18:21], v11 offset1:16
	ds_load_b128 v[22:25], v17
	ds_load_b128 v[26:29], v17 offset:1024
	ds_load_b128 v[30:33], v17 offset:16
	;; [unrolled: 1-line block ×4, first 2 shown]
	ds_load_2addr_b64 v[42:45], v11 offset0:32 offset1:48
	ds_load_2addr_b64 v[46:49], v11 offset0:64 offset1:80
	ds_load_b128 v[50:53], v17 offset:1040
	ds_load_2addr_b64 v[54:57], v11 offset0:96 offset1:112
	ds_load_2addr_b64 v[58:61], v11 offset0:128 offset1:144
	;; [unrolled: 1-line block ×4, first 2 shown]
	ds_load_b128 v[70:73], v17 offset:1056
	ds_load_b128 v[74:77], v17 offset:1072
	ds_load_2addr_b64 v[78:81], v11 offset0:224 offset1:240
	s_and_b32 vcc_lo, exec_lo, s4
	s_waitcnt lgkmcnt(0)
	s_barrier
	buffer_gl0_inv
	v_dual_mul_f32 v82, v23, v19 :: v_dual_mul_f32 v85, v22, v21
	v_dual_mul_f32 v83, v22, v19 :: v_dual_mul_f32 v84, v23, v21
	v_mul_f32_e32 v86, v27, v19
	v_dual_mul_f32 v19, v26, v19 :: v_dual_mul_f32 v90, v25, v45
	v_dual_mul_f32 v87, v27, v21 :: v_dual_mul_f32 v88, v25, v43
	v_mul_f32_e32 v21, v26, v21
	v_fma_f32 v82, v22, v18, -v82
	v_fmac_f32_e32 v83, v23, v18
	v_fma_f32 v22, v22, v20, -v84
	v_fmac_f32_e32 v85, v23, v20
	v_fma_f32 v23, v26, v18, -v86
	v_dual_fmac_f32 v19, v27, v18 :: v_dual_mul_f32 v86, v30, v47
	v_fma_f32 v18, v26, v20, -v87
	v_dual_fmac_f32 v21, v27, v20 :: v_dual_mul_f32 v20, v24, v45
	v_mul_f32_e32 v89, v24, v43
	v_mul_f32_e32 v26, v29, v43
	;; [unrolled: 1-line block ×4, first 2 shown]
	v_fmac_f32_e32 v20, v25, v44
	v_fmac_f32_e32 v89, v25, v42
	v_dual_mul_f32 v25, v28, v45 :: v_dual_fmac_f32 v86, v31, v46
	v_fma_f32 v84, v24, v42, -v88
	v_fma_f32 v24, v24, v44, -v90
	v_dual_mul_f32 v45, v31, v47 :: v_dual_mul_f32 v90, v33, v57
	v_fma_f32 v26, v28, v42, -v26
	v_fma_f32 v28, v28, v44, -v43
	v_fmac_f32_e32 v25, v29, v44
	v_dual_mul_f32 v43, v50, v47 :: v_dual_mul_f32 v44, v51, v49
	v_dual_fmac_f32 v27, v29, v42 :: v_dual_mul_f32 v42, v51, v47
	v_dual_mul_f32 v88, v32, v55 :: v_dual_mul_f32 v29, v30, v49
	v_mul_f32_e32 v87, v31, v49
	v_fma_f32 v45, v30, v46, -v45
	v_add_f32_e32 v16, v16, v83
	s_delay_alu instid0(VALU_DEP_4)
	v_dual_fmac_f32 v88, v33, v54 :: v_dual_fmac_f32 v29, v31, v48
	v_fma_f32 v31, v50, v46, -v42
	v_fma_f32 v42, v50, v48, -v44
	v_mul_f32_e32 v44, v32, v57
	v_mul_f32_e32 v47, v50, v49
	v_dual_mul_f32 v50, v53, v57 :: v_dual_fmac_f32 v43, v51, v46
	v_mul_f32_e32 v46, v53, v55
	v_mul_f32_e32 v49, v33, v55
	v_fma_f32 v30, v30, v48, -v87
	v_fmac_f32_e32 v44, v33, v56
	v_dual_fmac_f32 v47, v51, v48 :: v_dual_mul_f32 v48, v52, v55
	v_mul_f32_e32 v33, v52, v57
	v_fma_f32 v46, v52, v54, -v46
	v_fma_f32 v50, v52, v56, -v50
	v_mul_f32_e32 v52, v34, v61
	v_fma_f32 v49, v32, v54, -v49
	v_fma_f32 v32, v32, v56, -v90
	v_dual_mul_f32 v51, v35, v59 :: v_dual_fmac_f32 v48, v53, v54
	v_mul_f32_e32 v54, v70, v59
	v_dual_mul_f32 v55, v34, v59 :: v_dual_fmac_f32 v52, v35, v60
	v_fmac_f32_e32 v33, v53, v56
	v_mul_f32_e32 v53, v71, v59
	v_mul_f32_e32 v56, v71, v61
	;; [unrolled: 1-line block ×3, first 2 shown]
	v_fmac_f32_e32 v54, v71, v58
	v_fmac_f32_e32 v55, v35, v58
	v_fma_f32 v35, v70, v58, -v53
	v_fma_f32 v53, v70, v60, -v56
	v_mul_f32_e32 v56, v36, v65
	v_mul_f32_e32 v59, v70, v61
	v_fma_f32 v51, v34, v58, -v51
	v_mul_f32_e32 v58, v72, v63
	v_mul_f32_e32 v87, v36, v63
	v_mul_f32_e32 v61, v37, v63
	v_mul_f32_e32 v90, v37, v65
	v_fma_f32 v34, v34, v60, -v57
	v_mul_f32_e32 v57, v73, v63
	v_fmac_f32_e32 v56, v37, v64
	v_dual_fmac_f32 v59, v71, v60 :: v_dual_mul_f32 v60, v73, v65
	v_mul_f32_e32 v63, v39, v67
	v_mul_f32_e32 v70, v39, v69
	v_fmac_f32_e32 v58, v73, v62
	v_fmac_f32_e32 v87, v37, v62
	v_mul_f32_e32 v37, v72, v65
	v_fma_f32 v61, v36, v62, -v61
	v_fma_f32 v36, v36, v64, -v90
	v_mul_f32_e32 v65, v38, v67
	v_fma_f32 v57, v72, v62, -v57
	v_fma_f32 v60, v72, v64, -v60
	v_dual_fmac_f32 v37, v73, v64 :: v_dual_mul_f32 v62, v38, v69
	v_mul_f32_e32 v64, v75, v67
	v_fma_f32 v63, v38, v66, -v63
	v_fma_f32 v38, v38, v68, -v70
	v_mul_f32_e32 v70, v76, v79
	v_mul_f32_e32 v67, v74, v67
	v_dual_add_f32 v10, v10, v19 :: v_dual_add_f32 v15, v15, v82
	s_delay_alu instid0(VALU_DEP_3) | instskip(NEXT) | instid1(VALU_DEP_2)
	v_dual_mul_f32 v71, v75, v69 :: v_dual_fmac_f32 v70, v77, v78
	v_dual_fmac_f32 v67, v75, v66 :: v_dual_add_f32 v10, v10, v27
	v_dual_mul_f32 v69, v74, v69 :: v_dual_add_f32 v8, v8, v18
	v_dual_fmac_f32 v65, v39, v66 :: v_dual_add_f32 v12, v12, v85
	v_fmac_f32_e32 v62, v39, v68
	v_fma_f32 v39, v74, v66, -v64
	v_mul_f32_e32 v66, v40, v81
	v_dual_add_f32 v1, v1, v21 :: v_dual_add_f32 v10, v10, v43
	v_mul_f32_e32 v73, v40, v79
	v_mul_f32_e32 v72, v41, v79
	;; [unrolled: 1-line block ×3, first 2 shown]
	v_fma_f32 v64, v74, v68, -v71
	v_add_f32_e32 v10, v10, v48
	v_dual_fmac_f32 v69, v75, v68 :: v_dual_add_f32 v16, v16, v89
	v_dual_mul_f32 v71, v77, v81 :: v_dual_add_f32 v12, v12, v20
	v_dual_fmac_f32 v73, v41, v78 :: v_dual_add_f32 v8, v8, v28
	v_dual_fmac_f32 v66, v41, v80 :: v_dual_mul_f32 v41, v76, v81
	v_add_f32_e32 v10, v10, v54
	s_delay_alu instid0(VALU_DEP_4) | instskip(NEXT) | instid1(VALU_DEP_4)
	v_dual_add_f32 v13, v13, v22 :: v_dual_add_f32 v12, v12, v29
	v_dual_add_f32 v9, v9, v23 :: v_dual_add_f32 v8, v8, v42
	s_delay_alu instid0(VALU_DEP_4) | instskip(SKIP_1) | instid1(VALU_DEP_3)
	v_dual_fmac_f32 v41, v77, v80 :: v_dual_add_f32 v16, v16, v86
	v_add_f32_e32 v15, v15, v84
	v_add_f32_e32 v9, v9, v26
	v_dual_add_f32 v1, v1, v25 :: v_dual_add_f32 v12, v12, v44
	s_delay_alu instid0(VALU_DEP_4) | instskip(SKIP_1) | instid1(VALU_DEP_3)
	v_add_f32_e32 v16, v16, v88
	v_dual_add_f32 v13, v13, v24 :: v_dual_add_f32 v8, v8, v50
	v_dual_add_f32 v15, v15, v45 :: v_dual_add_f32 v12, v12, v52
	v_add_f32_e32 v9, v9, v31
	v_dual_add_f32 v1, v1, v47 :: v_dual_add_f32 v10, v10, v58
	s_delay_alu instid0(VALU_DEP_4) | instskip(SKIP_2) | instid1(VALU_DEP_3)
	v_dual_add_f32 v16, v16, v55 :: v_dual_add_f32 v13, v13, v30
	v_add_f32_e32 v8, v8, v53
	v_dual_add_f32 v15, v15, v49 :: v_dual_add_f32 v12, v12, v56
	v_dual_add_f32 v16, v16, v87 :: v_dual_add_f32 v13, v13, v32
	s_delay_alu instid0(VALU_DEP_3) | instskip(NEXT) | instid1(VALU_DEP_3)
	v_dual_add_f32 v9, v9, v46 :: v_dual_add_f32 v8, v8, v60
	v_dual_add_f32 v1, v1, v33 :: v_dual_add_f32 v12, v12, v62
	s_delay_alu instid0(VALU_DEP_3) | instskip(NEXT) | instid1(VALU_DEP_3)
	v_dual_add_f32 v15, v15, v51 :: v_dual_add_f32 v16, v16, v65
	v_dual_add_f32 v8, v8, v64 :: v_dual_add_f32 v13, v13, v34
	v_add_f32_e32 v10, v10, v67
	s_delay_alu instid0(VALU_DEP_3)
	v_dual_add_f32 v9, v9, v35 :: v_dual_add_f32 v16, v16, v73
	v_dual_add_f32 v1, v1, v59 :: v_dual_add_f32 v12, v12, v66
	v_mul_f32_e32 v68, v77, v79
	v_fma_f32 v71, v76, v80, -v71
	v_dual_add_f32 v15, v15, v61 :: v_dual_add_f32 v10, v10, v70
	v_add_f32_e32 v13, v13, v36
	s_delay_alu instid0(VALU_DEP_3)
	v_dual_add_f32 v9, v9, v57 :: v_dual_add_f32 v8, v8, v71
	v_add_f32_e32 v1, v1, v37
	v_fma_f32 v72, v40, v78, -v72
	v_fma_f32 v40, v40, v80, -v90
	;; [unrolled: 1-line block ×3, first 2 shown]
	v_add_f32_e32 v15, v15, v63
	v_add_f32_e32 v13, v13, v38
	;; [unrolled: 1-line block ×4, first 2 shown]
	s_delay_alu instid0(VALU_DEP_4) | instskip(NEXT) | instid1(VALU_DEP_4)
	v_add_f32_e32 v15, v15, v72
	v_add_f32_e32 v13, v13, v40
	s_delay_alu instid0(VALU_DEP_4) | instskip(NEXT) | instid1(VALU_DEP_4)
	v_add_f32_e32 v9, v9, v68
	v_add_f32_e32 v1, v1, v41
	s_cbranch_vccz .LBB1101_2
.LBB1101_3:
	s_clause 0x1
	s_load_b128 s[4:7], s[0:1], 0x48
	s_load_b32 s2, s[0:1], 0x0
	v_add_nc_u32_e32 v0, s9, v7
	s_delay_alu instid0(VALU_DEP_1) | instskip(SKIP_1) | instid1(VALU_DEP_1)
	v_ashrrev_i32_e32 v2, 31, v0
	s_waitcnt lgkmcnt(0)
	v_mul_lo_u32 v5, v2, s4
	v_mul_lo_u32 v7, v0, s5
	v_mad_u64_u32 v[3:4], null, v0, s4, 0
	s_mul_i32 s1, s15, s7
	s_mul_hi_u32 s3, s15, s6
	s_mul_i32 s6, s15, s6
	s_add_i32 s7, s3, s1
	v_add_nc_u32_e32 v2, s8, v6
	s_lshl_b64 s[6:7], s[6:7], 3
	s_delay_alu instid0(VALU_DEP_2)
	v_add3_u32 v4, v4, v7, v5
	s_add_u32 s3, s30, s6
	v_cmp_gt_i32_e32 vcc_lo, s2, v0
	v_cmp_le_i32_e64 s0, v2, v0
	s_addc_u32 s6, s31, s7
	v_lshlrev_b64 v[3:4], 3, v[3:4]
	s_delay_alu instid0(VALU_DEP_2) | instskip(NEXT) | instid1(VALU_DEP_1)
	s_and_b32 s0, vcc_lo, s0
	v_add_co_u32 v6, s1, s3, v3
	s_delay_alu instid0(VALU_DEP_1)
	v_add_co_ci_u32_e64 v7, s1, s6, v4, s1
	s_and_saveexec_b32 s1, s0
	s_cbranch_execz .LBB1101_5
; %bb.4:
	v_ashrrev_i32_e32 v3, 31, v2
	v_xor_b32_e32 v14, 0x80000000, v15
	v_xor_b32_e32 v15, 0x80000000, v16
	s_delay_alu instid0(VALU_DEP_3) | instskip(NEXT) | instid1(VALU_DEP_1)
	v_lshlrev_b64 v[3:4], 3, v[2:3]
	v_add_co_u32 v3, s0, v6, v3
	s_delay_alu instid0(VALU_DEP_1)
	v_add_co_ci_u32_e64 v4, s0, v7, v4, s0
	global_store_b64 v[3:4], v[14:15], off
.LBB1101_5:
	s_or_b32 exec_lo, exec_lo, s1
	v_add_nc_u32_e32 v4, 16, v2
	s_delay_alu instid0(VALU_DEP_1) | instskip(NEXT) | instid1(VALU_DEP_1)
	v_cmp_le_i32_e64 s0, v4, v0
	s_and_b32 s1, vcc_lo, s0
	s_delay_alu instid0(SALU_CYCLE_1)
	s_and_saveexec_b32 s0, s1
	s_cbranch_execz .LBB1101_7
; %bb.6:
	v_ashrrev_i32_e32 v5, 31, v4
	v_xor_b32_e32 v11, 0x80000000, v13
	v_xor_b32_e32 v12, 0x80000000, v12
	s_delay_alu instid0(VALU_DEP_3) | instskip(NEXT) | instid1(VALU_DEP_1)
	v_lshlrev_b64 v[14:15], 3, v[4:5]
	v_add_co_u32 v5, vcc_lo, v6, v14
	s_delay_alu instid0(VALU_DEP_2)
	v_add_co_ci_u32_e32 v6, vcc_lo, v7, v15, vcc_lo
	global_store_b64 v[5:6], v[11:12], off
.LBB1101_7:
	s_or_b32 exec_lo, exec_lo, s0
	v_add_nc_u32_e32 v5, 16, v0
	s_delay_alu instid0(VALU_DEP_1) | instskip(SKIP_3) | instid1(VALU_DEP_4)
	v_ashrrev_i32_e32 v0, 31, v5
	v_mul_lo_u32 v3, v5, s5
	v_mad_u64_u32 v[6:7], null, v5, s4, 0
	v_cmp_gt_i32_e32 vcc_lo, s2, v5
	v_mul_lo_u32 v0, v0, s4
	v_cmp_le_i32_e64 s0, v2, v5
	s_delay_alu instid0(VALU_DEP_1) | instskip(NEXT) | instid1(VALU_DEP_2)
	s_and_b32 s0, vcc_lo, s0
	v_add3_u32 v7, v7, v3, v0
	s_delay_alu instid0(VALU_DEP_1) | instskip(NEXT) | instid1(VALU_DEP_1)
	v_lshlrev_b64 v[6:7], 3, v[6:7]
	v_add_co_u32 v0, s1, s3, v6
	s_delay_alu instid0(VALU_DEP_1)
	v_add_co_ci_u32_e64 v6, s1, s6, v7, s1
	s_and_saveexec_b32 s1, s0
	s_cbranch_execz .LBB1101_9
; %bb.8:
	v_ashrrev_i32_e32 v3, 31, v2
	v_xor_b32_e32 v9, 0x80000000, v9
	v_xor_b32_e32 v10, 0x80000000, v10
	s_delay_alu instid0(VALU_DEP_3) | instskip(NEXT) | instid1(VALU_DEP_1)
	v_lshlrev_b64 v[2:3], 3, v[2:3]
	v_add_co_u32 v2, s0, v0, v2
	s_delay_alu instid0(VALU_DEP_1)
	v_add_co_ci_u32_e64 v3, s0, v6, v3, s0
	global_store_b64 v[2:3], v[9:10], off
.LBB1101_9:
	s_or_b32 exec_lo, exec_lo, s1
	v_cmp_le_i32_e64 s0, v4, v5
	s_delay_alu instid0(VALU_DEP_1) | instskip(NEXT) | instid1(SALU_CYCLE_1)
	s_and_b32 s0, vcc_lo, s0
	s_and_saveexec_b32 s1, s0
	s_cbranch_execz .LBB1101_11
; %bb.10:
	v_ashrrev_i32_e32 v5, 31, v4
	s_delay_alu instid0(VALU_DEP_1) | instskip(SKIP_2) | instid1(VALU_DEP_3)
	v_lshlrev_b64 v[2:3], 3, v[4:5]
	v_xor_b32_e32 v4, 0x80000000, v8
	v_xor_b32_e32 v5, 0x80000000, v1
	v_add_co_u32 v0, vcc_lo, v0, v2
	s_delay_alu instid0(VALU_DEP_4)
	v_add_co_ci_u32_e32 v1, vcc_lo, v6, v3, vcc_lo
	global_store_b64 v[0:1], v[4:5], off
.LBB1101_11:
	s_nop 0
	s_sendmsg sendmsg(MSG_DEALLOC_VGPRS)
	s_endpgm
	.section	.rodata,"a",@progbits
	.p2align	6, 0x0
	.amdhsa_kernel _ZL37rocblas_syrkx_herkx_restricted_kernelIl19rocblas_complex_numIfELi16ELi32ELi8ELin1ELi0ELb0ELc84ELc85EKS1_S1_EviT_PT9_S3_lS5_S3_lPT10_S3_li
		.amdhsa_group_segment_fixed_size 4096
		.amdhsa_private_segment_fixed_size 0
		.amdhsa_kernarg_size 92
		.amdhsa_user_sgpr_count 13
		.amdhsa_user_sgpr_dispatch_ptr 0
		.amdhsa_user_sgpr_queue_ptr 0
		.amdhsa_user_sgpr_kernarg_segment_ptr 1
		.amdhsa_user_sgpr_dispatch_id 0
		.amdhsa_user_sgpr_private_segment_size 0
		.amdhsa_wavefront_size32 1
		.amdhsa_uses_dynamic_stack 0
		.amdhsa_enable_private_segment 0
		.amdhsa_system_sgpr_workgroup_id_x 1
		.amdhsa_system_sgpr_workgroup_id_y 1
		.amdhsa_system_sgpr_workgroup_id_z 1
		.amdhsa_system_sgpr_workgroup_info 0
		.amdhsa_system_vgpr_workitem_id 1
		.amdhsa_next_free_vgpr 91
		.amdhsa_next_free_sgpr 32
		.amdhsa_reserve_vcc 1
		.amdhsa_float_round_mode_32 0
		.amdhsa_float_round_mode_16_64 0
		.amdhsa_float_denorm_mode_32 3
		.amdhsa_float_denorm_mode_16_64 3
		.amdhsa_dx10_clamp 1
		.amdhsa_ieee_mode 1
		.amdhsa_fp16_overflow 0
		.amdhsa_workgroup_processor_mode 1
		.amdhsa_memory_ordered 1
		.amdhsa_forward_progress 0
		.amdhsa_shared_vgpr_count 0
		.amdhsa_exception_fp_ieee_invalid_op 0
		.amdhsa_exception_fp_denorm_src 0
		.amdhsa_exception_fp_ieee_div_zero 0
		.amdhsa_exception_fp_ieee_overflow 0
		.amdhsa_exception_fp_ieee_underflow 0
		.amdhsa_exception_fp_ieee_inexact 0
		.amdhsa_exception_int_div_zero 0
	.end_amdhsa_kernel
	.section	.text._ZL37rocblas_syrkx_herkx_restricted_kernelIl19rocblas_complex_numIfELi16ELi32ELi8ELin1ELi0ELb0ELc84ELc85EKS1_S1_EviT_PT9_S3_lS5_S3_lPT10_S3_li,"axG",@progbits,_ZL37rocblas_syrkx_herkx_restricted_kernelIl19rocblas_complex_numIfELi16ELi32ELi8ELin1ELi0ELb0ELc84ELc85EKS1_S1_EviT_PT9_S3_lS5_S3_lPT10_S3_li,comdat
.Lfunc_end1101:
	.size	_ZL37rocblas_syrkx_herkx_restricted_kernelIl19rocblas_complex_numIfELi16ELi32ELi8ELin1ELi0ELb0ELc84ELc85EKS1_S1_EviT_PT9_S3_lS5_S3_lPT10_S3_li, .Lfunc_end1101-_ZL37rocblas_syrkx_herkx_restricted_kernelIl19rocblas_complex_numIfELi16ELi32ELi8ELin1ELi0ELb0ELc84ELc85EKS1_S1_EviT_PT9_S3_lS5_S3_lPT10_S3_li
                                        ; -- End function
	.section	.AMDGPU.csdata,"",@progbits
; Kernel info:
; codeLenInByte = 2188
; NumSgprs: 34
; NumVgprs: 91
; ScratchSize: 0
; MemoryBound: 0
; FloatMode: 240
; IeeeMode: 1
; LDSByteSize: 4096 bytes/workgroup (compile time only)
; SGPRBlocks: 4
; VGPRBlocks: 11
; NumSGPRsForWavesPerEU: 34
; NumVGPRsForWavesPerEU: 91
; Occupancy: 16
; WaveLimiterHint : 1
; COMPUTE_PGM_RSRC2:SCRATCH_EN: 0
; COMPUTE_PGM_RSRC2:USER_SGPR: 13
; COMPUTE_PGM_RSRC2:TRAP_HANDLER: 0
; COMPUTE_PGM_RSRC2:TGID_X_EN: 1
; COMPUTE_PGM_RSRC2:TGID_Y_EN: 1
; COMPUTE_PGM_RSRC2:TGID_Z_EN: 1
; COMPUTE_PGM_RSRC2:TIDIG_COMP_CNT: 1
	.section	.text._ZL37rocblas_syrkx_herkx_restricted_kernelIl19rocblas_complex_numIfELi16ELi32ELi8ELin1ELi0ELb0ELc67ELc85EKS1_S1_EviT_PT9_S3_lS5_S3_lPT10_S3_li,"axG",@progbits,_ZL37rocblas_syrkx_herkx_restricted_kernelIl19rocblas_complex_numIfELi16ELi32ELi8ELin1ELi0ELb0ELc67ELc85EKS1_S1_EviT_PT9_S3_lS5_S3_lPT10_S3_li,comdat
	.globl	_ZL37rocblas_syrkx_herkx_restricted_kernelIl19rocblas_complex_numIfELi16ELi32ELi8ELin1ELi0ELb0ELc67ELc85EKS1_S1_EviT_PT9_S3_lS5_S3_lPT10_S3_li ; -- Begin function _ZL37rocblas_syrkx_herkx_restricted_kernelIl19rocblas_complex_numIfELi16ELi32ELi8ELin1ELi0ELb0ELc67ELc85EKS1_S1_EviT_PT9_S3_lS5_S3_lPT10_S3_li
	.p2align	8
	.type	_ZL37rocblas_syrkx_herkx_restricted_kernelIl19rocblas_complex_numIfELi16ELi32ELi8ELin1ELi0ELb0ELc67ELc85EKS1_S1_EviT_PT9_S3_lS5_S3_lPT10_S3_li,@function
_ZL37rocblas_syrkx_herkx_restricted_kernelIl19rocblas_complex_numIfELi16ELi32ELi8ELin1ELi0ELb0ELc67ELc85EKS1_S1_EviT_PT9_S3_lS5_S3_lPT10_S3_li: ; @_ZL37rocblas_syrkx_herkx_restricted_kernelIl19rocblas_complex_numIfELi16ELi32ELi8ELin1ELi0ELb0ELc67ELc85EKS1_S1_EviT_PT9_S3_lS5_S3_lPT10_S3_li
; %bb.0:
	s_load_b512 s[16:31], s[0:1], 0x8
	v_dual_mov_b32 v15, 0 :: v_dual_mov_b32 v16, 0
	v_dual_mov_b32 v13, 0 :: v_dual_mov_b32 v12, 0
	;; [unrolled: 1-line block ×4, first 2 shown]
	v_and_b32_e32 v6, 0x3ff, v0
	v_bfe_u32 v7, v0, 10, 10
	s_lshl_b32 s8, s13, 5
	s_lshl_b32 s9, s14, 5
	s_waitcnt lgkmcnt(0)
	v_cmp_lt_i64_e64 s2, s[16:17], 1
	s_delay_alu instid0(VALU_DEP_1)
	s_and_b32 vcc_lo, exec_lo, s2
	s_cbranch_vccnz .LBB1102_3
; %bb.1:
	v_lshl_add_u32 v2, v7, 4, v6
	v_dual_mov_b32 v1, 0 :: v_dual_and_b32 v0, 7, v6
	s_mul_i32 s3, s23, s15
	s_mul_hi_u32 s4, s22, s15
	s_delay_alu instid0(VALU_DEP_2)
	v_and_b32_e32 v10, 31, v2
	v_lshrrev_b32_e32 v12, 3, v2
	v_mov_b32_e32 v3, v1
	v_lshrrev_b32_e32 v2, 5, v2
	v_lshlrev_b32_e32 v14, 3, v0
	v_add_nc_u32_e32 v8, s8, v10
	v_add_nc_u32_e32 v13, s9, v12
	s_mul_i32 s2, s22, s15
	s_add_i32 s3, s4, s3
	s_mul_hi_u32 s5, s28, s15
	v_ashrrev_i32_e32 v9, 31, v8
	v_mad_u64_u32 v[4:5], null, s20, v8, v[2:3]
	v_mul_lo_u32 v3, s21, v8
	s_lshl_b64 s[2:3], s[2:3], 3
	s_delay_alu instid0(VALU_DEP_3)
	v_mul_lo_u32 v16, s20, v9
	v_mad_u64_u32 v[8:9], null, v13, s26, v[0:1]
	v_lshlrev_b32_e32 v0, 3, v10
	v_lshl_or_b32 v10, v12, 6, v14
	s_add_u32 s4, s18, s2
	s_mul_i32 s2, s29, s15
	s_addc_u32 s6, s19, s3
	s_delay_alu instid0(VALU_DEP_4)
	v_add3_u32 v5, v3, v5, v16
	v_add_nc_u32_e32 v14, 0x800, v10
	v_mov_b32_e32 v10, v1
	v_ashrrev_i32_e32 v15, 31, v13
	v_mul_lo_u32 v17, v13, s27
	s_add_i32 s3, s5, s2
	s_mul_i32 s2, s28, s15
	v_lshlrev_b32_e32 v11, 3, v6
	v_mul_lo_u32 v13, v15, s26
	v_mov_b32_e32 v15, v1
	v_lshl_or_b32 v0, v2, 8, v0
	v_lshlrev_b64 v[2:3], 3, v[4:5]
	s_lshl_b64 s[2:3], s[2:3], 3
	v_mov_b32_e32 v12, v1
	s_add_u32 s2, s24, s2
	s_addc_u32 s3, s25, s3
	v_add3_u32 v9, v13, v9, v17
	v_add_co_u32 v2, vcc_lo, s4, v2
	v_add_co_ci_u32_e32 v3, vcc_lo, s6, v3, vcc_lo
	s_delay_alu instid0(VALU_DEP_3)
	v_lshlrev_b64 v[4:5], 3, v[8:9]
	v_mov_b32_e32 v8, v1
	v_lshl_add_u32 v17, v7, 6, 0x800
	v_mov_b32_e32 v9, v1
	v_mov_b32_e32 v13, v1
	;; [unrolled: 1-line block ×3, first 2 shown]
	v_add_co_u32 v4, vcc_lo, s2, v4
	v_add_co_ci_u32_e32 v5, vcc_lo, s3, v5, vcc_lo
	v_add_co_u32 v2, vcc_lo, v2, 4
	v_add_co_ci_u32_e32 v3, vcc_lo, 0, v3, vcc_lo
	s_delay_alu instid0(VALU_DEP_4) | instskip(NEXT) | instid1(VALU_DEP_4)
	v_add_co_u32 v4, vcc_lo, v4, 4
	v_add_co_ci_u32_e32 v5, vcc_lo, 0, v5, vcc_lo
	s_mov_b64 s[2:3], 0
.LBB1102_2:                             ; =>This Inner Loop Header: Depth=1
	global_load_b64 v[18:19], v[2:3], off offset:-4
	global_load_b64 v[20:21], v[4:5], off offset:-4
	s_add_u32 s2, s2, 8
	v_add_co_u32 v2, vcc_lo, v2, 64
	s_addc_u32 s3, s3, 0
	v_add_co_ci_u32_e32 v3, vcc_lo, 0, v3, vcc_lo
	v_cmp_ge_u64_e64 s4, s[2:3], s[16:17]
	v_add_co_u32 v4, vcc_lo, v4, 64
	v_add_co_ci_u32_e32 v5, vcc_lo, 0, v5, vcc_lo
	s_waitcnt vmcnt(1)
	ds_store_b64 v0, v[18:19]
	s_waitcnt vmcnt(0)
	ds_store_b64 v14, v[20:21]
	s_waitcnt lgkmcnt(0)
	s_barrier
	buffer_gl0_inv
	ds_load_2addr_b64 v[18:21], v11 offset1:16
	ds_load_b128 v[22:25], v17
	ds_load_b128 v[26:29], v17 offset:1024
	ds_load_b128 v[30:33], v17 offset:16
	;; [unrolled: 1-line block ×4, first 2 shown]
	ds_load_2addr_b64 v[42:45], v11 offset0:32 offset1:48
	ds_load_2addr_b64 v[46:49], v11 offset0:64 offset1:80
	ds_load_b128 v[50:53], v17 offset:1040
	ds_load_2addr_b64 v[54:57], v11 offset0:96 offset1:112
	ds_load_2addr_b64 v[58:61], v11 offset0:128 offset1:144
	;; [unrolled: 1-line block ×4, first 2 shown]
	ds_load_b128 v[70:73], v17 offset:1056
	ds_load_b128 v[74:77], v17 offset:1072
	ds_load_2addr_b64 v[78:81], v11 offset0:224 offset1:240
	s_and_b32 vcc_lo, exec_lo, s4
	s_waitcnt lgkmcnt(0)
	s_barrier
	buffer_gl0_inv
	v_dual_mul_f32 v82, v23, v19 :: v_dual_mul_f32 v85, v22, v21
	v_dual_mul_f32 v83, v22, v19 :: v_dual_mul_f32 v84, v23, v21
	v_mul_f32_e32 v86, v27, v19
	v_dual_mul_f32 v19, v26, v19 :: v_dual_mul_f32 v90, v25, v45
	v_dual_mul_f32 v87, v27, v21 :: v_dual_mul_f32 v88, v25, v43
	v_mul_f32_e32 v21, v26, v21
	v_fma_f32 v82, v22, v18, -v82
	v_fmac_f32_e32 v83, v23, v18
	v_fma_f32 v22, v22, v20, -v84
	v_fmac_f32_e32 v85, v23, v20
	v_fma_f32 v23, v26, v18, -v86
	v_dual_fmac_f32 v19, v27, v18 :: v_dual_mul_f32 v86, v30, v47
	v_fma_f32 v18, v26, v20, -v87
	v_dual_fmac_f32 v21, v27, v20 :: v_dual_mul_f32 v20, v24, v45
	v_mul_f32_e32 v89, v24, v43
	v_mul_f32_e32 v26, v29, v43
	;; [unrolled: 1-line block ×4, first 2 shown]
	v_fmac_f32_e32 v20, v25, v44
	v_fmac_f32_e32 v89, v25, v42
	v_dual_mul_f32 v25, v28, v45 :: v_dual_fmac_f32 v86, v31, v46
	v_fma_f32 v84, v24, v42, -v88
	v_fma_f32 v24, v24, v44, -v90
	v_dual_mul_f32 v45, v31, v47 :: v_dual_mul_f32 v90, v33, v57
	v_fma_f32 v26, v28, v42, -v26
	v_fma_f32 v28, v28, v44, -v43
	v_fmac_f32_e32 v25, v29, v44
	v_dual_mul_f32 v43, v50, v47 :: v_dual_mul_f32 v44, v51, v49
	v_dual_fmac_f32 v27, v29, v42 :: v_dual_mul_f32 v42, v51, v47
	v_dual_mul_f32 v88, v32, v55 :: v_dual_mul_f32 v29, v30, v49
	v_mul_f32_e32 v87, v31, v49
	v_fma_f32 v45, v30, v46, -v45
	v_add_f32_e32 v16, v16, v83
	s_delay_alu instid0(VALU_DEP_4)
	v_dual_fmac_f32 v88, v33, v54 :: v_dual_fmac_f32 v29, v31, v48
	v_fma_f32 v31, v50, v46, -v42
	v_fma_f32 v42, v50, v48, -v44
	v_mul_f32_e32 v44, v32, v57
	v_mul_f32_e32 v47, v50, v49
	v_dual_mul_f32 v50, v53, v57 :: v_dual_fmac_f32 v43, v51, v46
	v_mul_f32_e32 v46, v53, v55
	v_mul_f32_e32 v49, v33, v55
	v_fma_f32 v30, v30, v48, -v87
	v_fmac_f32_e32 v44, v33, v56
	v_dual_fmac_f32 v47, v51, v48 :: v_dual_mul_f32 v48, v52, v55
	v_mul_f32_e32 v33, v52, v57
	v_fma_f32 v46, v52, v54, -v46
	v_fma_f32 v50, v52, v56, -v50
	v_mul_f32_e32 v52, v34, v61
	v_fma_f32 v49, v32, v54, -v49
	v_fma_f32 v32, v32, v56, -v90
	v_dual_mul_f32 v51, v35, v59 :: v_dual_fmac_f32 v48, v53, v54
	v_mul_f32_e32 v54, v70, v59
	v_dual_mul_f32 v55, v34, v59 :: v_dual_fmac_f32 v52, v35, v60
	v_fmac_f32_e32 v33, v53, v56
	v_mul_f32_e32 v53, v71, v59
	v_mul_f32_e32 v56, v71, v61
	;; [unrolled: 1-line block ×3, first 2 shown]
	v_fmac_f32_e32 v54, v71, v58
	v_fmac_f32_e32 v55, v35, v58
	v_fma_f32 v35, v70, v58, -v53
	v_fma_f32 v53, v70, v60, -v56
	v_mul_f32_e32 v56, v36, v65
	v_mul_f32_e32 v59, v70, v61
	v_fma_f32 v51, v34, v58, -v51
	v_mul_f32_e32 v58, v72, v63
	v_mul_f32_e32 v87, v36, v63
	;; [unrolled: 1-line block ×4, first 2 shown]
	v_fma_f32 v34, v34, v60, -v57
	v_mul_f32_e32 v57, v73, v63
	v_fmac_f32_e32 v56, v37, v64
	v_dual_fmac_f32 v59, v71, v60 :: v_dual_mul_f32 v60, v73, v65
	v_mul_f32_e32 v63, v39, v67
	v_mul_f32_e32 v70, v39, v69
	v_fmac_f32_e32 v58, v73, v62
	v_fmac_f32_e32 v87, v37, v62
	v_mul_f32_e32 v37, v72, v65
	v_fma_f32 v61, v36, v62, -v61
	v_fma_f32 v36, v36, v64, -v90
	v_mul_f32_e32 v65, v38, v67
	v_fma_f32 v57, v72, v62, -v57
	v_fma_f32 v60, v72, v64, -v60
	v_dual_fmac_f32 v37, v73, v64 :: v_dual_mul_f32 v62, v38, v69
	v_mul_f32_e32 v64, v75, v67
	v_fma_f32 v63, v38, v66, -v63
	v_fma_f32 v38, v38, v68, -v70
	v_mul_f32_e32 v70, v76, v79
	v_mul_f32_e32 v67, v74, v67
	v_dual_add_f32 v10, v10, v19 :: v_dual_add_f32 v15, v15, v82
	s_delay_alu instid0(VALU_DEP_3) | instskip(NEXT) | instid1(VALU_DEP_2)
	v_dual_mul_f32 v71, v75, v69 :: v_dual_fmac_f32 v70, v77, v78
	v_dual_fmac_f32 v67, v75, v66 :: v_dual_add_f32 v10, v10, v27
	v_dual_mul_f32 v69, v74, v69 :: v_dual_add_f32 v8, v8, v18
	v_dual_fmac_f32 v65, v39, v66 :: v_dual_add_f32 v12, v12, v85
	v_fmac_f32_e32 v62, v39, v68
	v_fma_f32 v39, v74, v66, -v64
	v_mul_f32_e32 v66, v40, v81
	v_dual_add_f32 v1, v1, v21 :: v_dual_add_f32 v10, v10, v43
	v_mul_f32_e32 v73, v40, v79
	v_mul_f32_e32 v72, v41, v79
	;; [unrolled: 1-line block ×3, first 2 shown]
	v_fma_f32 v64, v74, v68, -v71
	v_add_f32_e32 v10, v10, v48
	v_dual_fmac_f32 v69, v75, v68 :: v_dual_add_f32 v16, v16, v89
	v_dual_mul_f32 v71, v77, v81 :: v_dual_add_f32 v12, v12, v20
	v_dual_fmac_f32 v73, v41, v78 :: v_dual_add_f32 v8, v8, v28
	v_dual_fmac_f32 v66, v41, v80 :: v_dual_mul_f32 v41, v76, v81
	v_add_f32_e32 v10, v10, v54
	s_delay_alu instid0(VALU_DEP_4) | instskip(NEXT) | instid1(VALU_DEP_4)
	v_dual_add_f32 v13, v13, v22 :: v_dual_add_f32 v12, v12, v29
	v_dual_add_f32 v9, v9, v23 :: v_dual_add_f32 v8, v8, v42
	s_delay_alu instid0(VALU_DEP_4) | instskip(SKIP_1) | instid1(VALU_DEP_3)
	v_dual_fmac_f32 v41, v77, v80 :: v_dual_add_f32 v16, v16, v86
	v_add_f32_e32 v15, v15, v84
	v_add_f32_e32 v9, v9, v26
	v_dual_add_f32 v1, v1, v25 :: v_dual_add_f32 v12, v12, v44
	s_delay_alu instid0(VALU_DEP_4) | instskip(SKIP_1) | instid1(VALU_DEP_3)
	v_add_f32_e32 v16, v16, v88
	v_dual_add_f32 v13, v13, v24 :: v_dual_add_f32 v8, v8, v50
	v_dual_add_f32 v15, v15, v45 :: v_dual_add_f32 v12, v12, v52
	v_add_f32_e32 v9, v9, v31
	v_dual_add_f32 v1, v1, v47 :: v_dual_add_f32 v10, v10, v58
	s_delay_alu instid0(VALU_DEP_4) | instskip(SKIP_2) | instid1(VALU_DEP_3)
	v_dual_add_f32 v16, v16, v55 :: v_dual_add_f32 v13, v13, v30
	v_add_f32_e32 v8, v8, v53
	v_dual_add_f32 v15, v15, v49 :: v_dual_add_f32 v12, v12, v56
	v_dual_add_f32 v16, v16, v87 :: v_dual_add_f32 v13, v13, v32
	s_delay_alu instid0(VALU_DEP_3) | instskip(NEXT) | instid1(VALU_DEP_3)
	v_dual_add_f32 v9, v9, v46 :: v_dual_add_f32 v8, v8, v60
	v_dual_add_f32 v1, v1, v33 :: v_dual_add_f32 v12, v12, v62
	s_delay_alu instid0(VALU_DEP_3) | instskip(NEXT) | instid1(VALU_DEP_3)
	v_dual_add_f32 v15, v15, v51 :: v_dual_add_f32 v16, v16, v65
	v_dual_add_f32 v8, v8, v64 :: v_dual_add_f32 v13, v13, v34
	v_add_f32_e32 v10, v10, v67
	s_delay_alu instid0(VALU_DEP_3)
	v_dual_add_f32 v9, v9, v35 :: v_dual_add_f32 v16, v16, v73
	v_dual_add_f32 v1, v1, v59 :: v_dual_add_f32 v12, v12, v66
	v_mul_f32_e32 v68, v77, v79
	v_fma_f32 v71, v76, v80, -v71
	v_dual_add_f32 v15, v15, v61 :: v_dual_add_f32 v10, v10, v70
	v_add_f32_e32 v13, v13, v36
	s_delay_alu instid0(VALU_DEP_3)
	v_dual_add_f32 v9, v9, v57 :: v_dual_add_f32 v8, v8, v71
	v_add_f32_e32 v1, v1, v37
	v_fma_f32 v72, v40, v78, -v72
	v_fma_f32 v40, v40, v80, -v90
	;; [unrolled: 1-line block ×3, first 2 shown]
	v_add_f32_e32 v15, v15, v63
	v_add_f32_e32 v13, v13, v38
	v_add_f32_e32 v9, v9, v39
	v_add_f32_e32 v1, v1, v69
	s_delay_alu instid0(VALU_DEP_4) | instskip(NEXT) | instid1(VALU_DEP_4)
	v_add_f32_e32 v15, v15, v72
	v_add_f32_e32 v13, v13, v40
	s_delay_alu instid0(VALU_DEP_4) | instskip(NEXT) | instid1(VALU_DEP_4)
	v_add_f32_e32 v9, v9, v68
	v_add_f32_e32 v1, v1, v41
	s_cbranch_vccz .LBB1102_2
.LBB1102_3:
	s_clause 0x1
	s_load_b128 s[4:7], s[0:1], 0x48
	s_load_b32 s2, s[0:1], 0x0
	v_add_nc_u32_e32 v0, s9, v7
	s_delay_alu instid0(VALU_DEP_1) | instskip(SKIP_1) | instid1(VALU_DEP_1)
	v_ashrrev_i32_e32 v2, 31, v0
	s_waitcnt lgkmcnt(0)
	v_mul_lo_u32 v5, v2, s4
	v_mul_lo_u32 v7, v0, s5
	v_mad_u64_u32 v[3:4], null, v0, s4, 0
	s_mul_i32 s1, s15, s7
	s_mul_hi_u32 s3, s15, s6
	s_mul_i32 s6, s15, s6
	s_add_i32 s7, s3, s1
	v_add_nc_u32_e32 v2, s8, v6
	s_lshl_b64 s[6:7], s[6:7], 3
	s_delay_alu instid0(VALU_DEP_2)
	v_add3_u32 v4, v4, v7, v5
	s_add_u32 s3, s30, s6
	v_cmp_gt_i32_e32 vcc_lo, s2, v0
	v_cmp_le_i32_e64 s0, v2, v0
	s_addc_u32 s6, s31, s7
	v_lshlrev_b64 v[3:4], 3, v[3:4]
	s_delay_alu instid0(VALU_DEP_2) | instskip(NEXT) | instid1(VALU_DEP_1)
	s_and_b32 s0, vcc_lo, s0
	v_add_co_u32 v6, s1, s3, v3
	s_delay_alu instid0(VALU_DEP_1)
	v_add_co_ci_u32_e64 v7, s1, s6, v4, s1
	s_and_saveexec_b32 s1, s0
	s_cbranch_execz .LBB1102_5
; %bb.4:
	v_ashrrev_i32_e32 v3, 31, v2
	v_xor_b32_e32 v14, 0x80000000, v15
	v_xor_b32_e32 v15, 0x80000000, v16
	s_delay_alu instid0(VALU_DEP_3) | instskip(NEXT) | instid1(VALU_DEP_1)
	v_lshlrev_b64 v[3:4], 3, v[2:3]
	v_add_co_u32 v3, s0, v6, v3
	s_delay_alu instid0(VALU_DEP_1)
	v_add_co_ci_u32_e64 v4, s0, v7, v4, s0
	global_store_b64 v[3:4], v[14:15], off
.LBB1102_5:
	s_or_b32 exec_lo, exec_lo, s1
	v_add_nc_u32_e32 v4, 16, v2
	s_delay_alu instid0(VALU_DEP_1) | instskip(NEXT) | instid1(VALU_DEP_1)
	v_cmp_le_i32_e64 s0, v4, v0
	s_and_b32 s1, vcc_lo, s0
	s_delay_alu instid0(SALU_CYCLE_1)
	s_and_saveexec_b32 s0, s1
	s_cbranch_execz .LBB1102_7
; %bb.6:
	v_ashrrev_i32_e32 v5, 31, v4
	v_xor_b32_e32 v11, 0x80000000, v13
	v_xor_b32_e32 v12, 0x80000000, v12
	s_delay_alu instid0(VALU_DEP_3) | instskip(NEXT) | instid1(VALU_DEP_1)
	v_lshlrev_b64 v[14:15], 3, v[4:5]
	v_add_co_u32 v5, vcc_lo, v6, v14
	s_delay_alu instid0(VALU_DEP_2)
	v_add_co_ci_u32_e32 v6, vcc_lo, v7, v15, vcc_lo
	global_store_b64 v[5:6], v[11:12], off
.LBB1102_7:
	s_or_b32 exec_lo, exec_lo, s0
	v_add_nc_u32_e32 v5, 16, v0
	s_delay_alu instid0(VALU_DEP_1) | instskip(SKIP_3) | instid1(VALU_DEP_4)
	v_ashrrev_i32_e32 v0, 31, v5
	v_mul_lo_u32 v3, v5, s5
	v_mad_u64_u32 v[6:7], null, v5, s4, 0
	v_cmp_gt_i32_e32 vcc_lo, s2, v5
	v_mul_lo_u32 v0, v0, s4
	v_cmp_le_i32_e64 s0, v2, v5
	s_delay_alu instid0(VALU_DEP_1) | instskip(NEXT) | instid1(VALU_DEP_2)
	s_and_b32 s0, vcc_lo, s0
	v_add3_u32 v7, v7, v3, v0
	s_delay_alu instid0(VALU_DEP_1) | instskip(NEXT) | instid1(VALU_DEP_1)
	v_lshlrev_b64 v[6:7], 3, v[6:7]
	v_add_co_u32 v0, s1, s3, v6
	s_delay_alu instid0(VALU_DEP_1)
	v_add_co_ci_u32_e64 v6, s1, s6, v7, s1
	s_and_saveexec_b32 s1, s0
	s_cbranch_execz .LBB1102_9
; %bb.8:
	v_ashrrev_i32_e32 v3, 31, v2
	v_xor_b32_e32 v9, 0x80000000, v9
	v_xor_b32_e32 v10, 0x80000000, v10
	s_delay_alu instid0(VALU_DEP_3) | instskip(NEXT) | instid1(VALU_DEP_1)
	v_lshlrev_b64 v[2:3], 3, v[2:3]
	v_add_co_u32 v2, s0, v0, v2
	s_delay_alu instid0(VALU_DEP_1)
	v_add_co_ci_u32_e64 v3, s0, v6, v3, s0
	global_store_b64 v[2:3], v[9:10], off
.LBB1102_9:
	s_or_b32 exec_lo, exec_lo, s1
	v_cmp_le_i32_e64 s0, v4, v5
	s_delay_alu instid0(VALU_DEP_1) | instskip(NEXT) | instid1(SALU_CYCLE_1)
	s_and_b32 s0, vcc_lo, s0
	s_and_saveexec_b32 s1, s0
	s_cbranch_execz .LBB1102_11
; %bb.10:
	v_ashrrev_i32_e32 v5, 31, v4
	s_delay_alu instid0(VALU_DEP_1) | instskip(SKIP_2) | instid1(VALU_DEP_3)
	v_lshlrev_b64 v[2:3], 3, v[4:5]
	v_xor_b32_e32 v4, 0x80000000, v8
	v_xor_b32_e32 v5, 0x80000000, v1
	v_add_co_u32 v0, vcc_lo, v0, v2
	s_delay_alu instid0(VALU_DEP_4)
	v_add_co_ci_u32_e32 v1, vcc_lo, v6, v3, vcc_lo
	global_store_b64 v[0:1], v[4:5], off
.LBB1102_11:
	s_nop 0
	s_sendmsg sendmsg(MSG_DEALLOC_VGPRS)
	s_endpgm
	.section	.rodata,"a",@progbits
	.p2align	6, 0x0
	.amdhsa_kernel _ZL37rocblas_syrkx_herkx_restricted_kernelIl19rocblas_complex_numIfELi16ELi32ELi8ELin1ELi0ELb0ELc67ELc85EKS1_S1_EviT_PT9_S3_lS5_S3_lPT10_S3_li
		.amdhsa_group_segment_fixed_size 4096
		.amdhsa_private_segment_fixed_size 0
		.amdhsa_kernarg_size 92
		.amdhsa_user_sgpr_count 13
		.amdhsa_user_sgpr_dispatch_ptr 0
		.amdhsa_user_sgpr_queue_ptr 0
		.amdhsa_user_sgpr_kernarg_segment_ptr 1
		.amdhsa_user_sgpr_dispatch_id 0
		.amdhsa_user_sgpr_private_segment_size 0
		.amdhsa_wavefront_size32 1
		.amdhsa_uses_dynamic_stack 0
		.amdhsa_enable_private_segment 0
		.amdhsa_system_sgpr_workgroup_id_x 1
		.amdhsa_system_sgpr_workgroup_id_y 1
		.amdhsa_system_sgpr_workgroup_id_z 1
		.amdhsa_system_sgpr_workgroup_info 0
		.amdhsa_system_vgpr_workitem_id 1
		.amdhsa_next_free_vgpr 91
		.amdhsa_next_free_sgpr 32
		.amdhsa_reserve_vcc 1
		.amdhsa_float_round_mode_32 0
		.amdhsa_float_round_mode_16_64 0
		.amdhsa_float_denorm_mode_32 3
		.amdhsa_float_denorm_mode_16_64 3
		.amdhsa_dx10_clamp 1
		.amdhsa_ieee_mode 1
		.amdhsa_fp16_overflow 0
		.amdhsa_workgroup_processor_mode 1
		.amdhsa_memory_ordered 1
		.amdhsa_forward_progress 0
		.amdhsa_shared_vgpr_count 0
		.amdhsa_exception_fp_ieee_invalid_op 0
		.amdhsa_exception_fp_denorm_src 0
		.amdhsa_exception_fp_ieee_div_zero 0
		.amdhsa_exception_fp_ieee_overflow 0
		.amdhsa_exception_fp_ieee_underflow 0
		.amdhsa_exception_fp_ieee_inexact 0
		.amdhsa_exception_int_div_zero 0
	.end_amdhsa_kernel
	.section	.text._ZL37rocblas_syrkx_herkx_restricted_kernelIl19rocblas_complex_numIfELi16ELi32ELi8ELin1ELi0ELb0ELc67ELc85EKS1_S1_EviT_PT9_S3_lS5_S3_lPT10_S3_li,"axG",@progbits,_ZL37rocblas_syrkx_herkx_restricted_kernelIl19rocblas_complex_numIfELi16ELi32ELi8ELin1ELi0ELb0ELc67ELc85EKS1_S1_EviT_PT9_S3_lS5_S3_lPT10_S3_li,comdat
.Lfunc_end1102:
	.size	_ZL37rocblas_syrkx_herkx_restricted_kernelIl19rocblas_complex_numIfELi16ELi32ELi8ELin1ELi0ELb0ELc67ELc85EKS1_S1_EviT_PT9_S3_lS5_S3_lPT10_S3_li, .Lfunc_end1102-_ZL37rocblas_syrkx_herkx_restricted_kernelIl19rocblas_complex_numIfELi16ELi32ELi8ELin1ELi0ELb0ELc67ELc85EKS1_S1_EviT_PT9_S3_lS5_S3_lPT10_S3_li
                                        ; -- End function
	.section	.AMDGPU.csdata,"",@progbits
; Kernel info:
; codeLenInByte = 2188
; NumSgprs: 34
; NumVgprs: 91
; ScratchSize: 0
; MemoryBound: 0
; FloatMode: 240
; IeeeMode: 1
; LDSByteSize: 4096 bytes/workgroup (compile time only)
; SGPRBlocks: 4
; VGPRBlocks: 11
; NumSGPRsForWavesPerEU: 34
; NumVGPRsForWavesPerEU: 91
; Occupancy: 16
; WaveLimiterHint : 1
; COMPUTE_PGM_RSRC2:SCRATCH_EN: 0
; COMPUTE_PGM_RSRC2:USER_SGPR: 13
; COMPUTE_PGM_RSRC2:TRAP_HANDLER: 0
; COMPUTE_PGM_RSRC2:TGID_X_EN: 1
; COMPUTE_PGM_RSRC2:TGID_Y_EN: 1
; COMPUTE_PGM_RSRC2:TGID_Z_EN: 1
; COMPUTE_PGM_RSRC2:TIDIG_COMP_CNT: 1
	.section	.text._ZL37rocblas_syrkx_herkx_restricted_kernelIl19rocblas_complex_numIfELi16ELi32ELi8ELin1ELi0ELb0ELc78ELc85EKS1_S1_EviT_PT9_S3_lS5_S3_lPT10_S3_li,"axG",@progbits,_ZL37rocblas_syrkx_herkx_restricted_kernelIl19rocblas_complex_numIfELi16ELi32ELi8ELin1ELi0ELb0ELc78ELc85EKS1_S1_EviT_PT9_S3_lS5_S3_lPT10_S3_li,comdat
	.globl	_ZL37rocblas_syrkx_herkx_restricted_kernelIl19rocblas_complex_numIfELi16ELi32ELi8ELin1ELi0ELb0ELc78ELc85EKS1_S1_EviT_PT9_S3_lS5_S3_lPT10_S3_li ; -- Begin function _ZL37rocblas_syrkx_herkx_restricted_kernelIl19rocblas_complex_numIfELi16ELi32ELi8ELin1ELi0ELb0ELc78ELc85EKS1_S1_EviT_PT9_S3_lS5_S3_lPT10_S3_li
	.p2align	8
	.type	_ZL37rocblas_syrkx_herkx_restricted_kernelIl19rocblas_complex_numIfELi16ELi32ELi8ELin1ELi0ELb0ELc78ELc85EKS1_S1_EviT_PT9_S3_lS5_S3_lPT10_S3_li,@function
_ZL37rocblas_syrkx_herkx_restricted_kernelIl19rocblas_complex_numIfELi16ELi32ELi8ELin1ELi0ELb0ELc78ELc85EKS1_S1_EviT_PT9_S3_lS5_S3_lPT10_S3_li: ; @_ZL37rocblas_syrkx_herkx_restricted_kernelIl19rocblas_complex_numIfELi16ELi32ELi8ELin1ELi0ELb0ELc78ELc85EKS1_S1_EviT_PT9_S3_lS5_S3_lPT10_S3_li
; %bb.0:
	s_load_b512 s[16:31], s[0:1], 0x8
	v_dual_mov_b32 v14, 0 :: v_dual_mov_b32 v15, 0
	v_dual_mov_b32 v13, 0 :: v_dual_mov_b32 v12, 0
	v_dual_mov_b32 v8, 0 :: v_dual_mov_b32 v9, 0
	v_dual_mov_b32 v7, 0 :: v_dual_and_b32 v4, 0x3ff, v0
	v_bfe_u32 v5, v0, 10, 10
	v_mov_b32_e32 v6, 0
	s_lshl_b32 s8, s13, 5
	s_lshl_b32 s9, s14, 5
	s_waitcnt lgkmcnt(0)
	v_cmp_lt_i64_e64 s2, s[16:17], 1
	s_delay_alu instid0(VALU_DEP_1)
	s_and_b32 vcc_lo, exec_lo, s2
	s_cbranch_vccnz .LBB1103_3
; %bb.1:
	v_lshl_add_u32 v1, v5, 4, v4
	v_and_b32_e32 v13, 7, v4
	s_mul_i32 s3, s23, s15
	s_mul_hi_u32 s5, s22, s15
	s_mul_i32 s2, s22, s15
	v_and_b32_e32 v9, 31, v1
	v_lshrrev_b32_e32 v12, 3, v1
	v_lshrrev_b32_e32 v14, 5, v1
	s_add_i32 s3, s5, s3
	s_mul_i32 s6, s29, s15
	v_add_nc_u32_e32 v0, s8, v9
	v_add_nc_u32_e32 v2, s9, v12
	s_lshl_b64 s[2:3], s[2:3], 3
	s_mul_hi_u32 s7, s28, s15
	s_add_u32 s10, s18, s2
	v_ashrrev_i32_e32 v1, 31, v0
	v_ashrrev_i32_e32 v3, 31, v2
	s_mul_i32 s4, s28, s15
	s_addc_u32 s11, s19, s3
	s_add_i32 s5, s7, s6
	v_mad_u64_u32 v[6:7], null, v14, s20, v[0:1]
	v_mad_u64_u32 v[0:1], null, v13, s26, v[2:3]
	s_lshl_b64 s[4:5], s[4:5], 3
	s_lshl_b64 s[2:3], s[20:21], 6
	s_add_u32 s4, s24, s4
	s_addc_u32 s5, s25, s5
	s_delay_alu instid0(VALU_DEP_2) | instskip(SKIP_3) | instid1(VALU_DEP_3)
	v_mov_b32_e32 v2, v7
	v_lshlrev_b32_e32 v10, 3, v4
	v_lshl_add_u32 v11, v5, 6, 0x800
	s_mov_b64 s[6:7], 0
	v_mad_u64_u32 v[7:8], null, v14, s21, v[2:3]
	v_mad_u64_u32 v[2:3], null, v13, s27, v[1:2]
	s_delay_alu instid0(VALU_DEP_1) | instskip(NEXT) | instid1(VALU_DEP_3)
	v_dual_mov_b32 v1, v2 :: v_dual_lshlrev_b32 v8, 3, v9
	v_lshlrev_b64 v[2:3], 3, v[6:7]
	s_delay_alu instid0(VALU_DEP_2) | instskip(NEXT) | instid1(VALU_DEP_2)
	v_lshlrev_b64 v[0:1], 3, v[0:1]
	v_add_co_u32 v2, vcc_lo, s10, v2
	s_delay_alu instid0(VALU_DEP_3) | instskip(NEXT) | instid1(VALU_DEP_3)
	v_add_co_ci_u32_e32 v3, vcc_lo, s11, v3, vcc_lo
	v_add_co_u32 v6, vcc_lo, s4, v0
	s_delay_alu instid0(VALU_DEP_4) | instskip(NEXT) | instid1(VALU_DEP_4)
	v_add_co_ci_u32_e32 v7, vcc_lo, s5, v1, vcc_lo
	v_add_co_u32 v0, vcc_lo, v2, 4
	s_delay_alu instid0(VALU_DEP_4) | instskip(NEXT) | instid1(VALU_DEP_4)
	v_add_co_ci_u32_e32 v1, vcc_lo, 0, v3, vcc_lo
	v_add_co_u32 v2, vcc_lo, v6, 4
	v_dual_mov_b32 v6, 0 :: v_dual_lshlrev_b32 v15, 3, v13
	v_mov_b32_e32 v13, 0
	v_lshl_or_b32 v16, v14, 8, v8
	v_mov_b32_e32 v8, 0
	v_add_co_ci_u32_e32 v3, vcc_lo, 0, v7, vcc_lo
	v_lshl_or_b32 v9, v12, 6, v15
	v_dual_mov_b32 v7, 0 :: v_dual_mov_b32 v12, 0
	v_dual_mov_b32 v15, 0 :: v_dual_mov_b32 v14, 0
	s_delay_alu instid0(VALU_DEP_3)
	v_add_nc_u32_e32 v17, 0x800, v9
	v_mov_b32_e32 v9, 0
	s_lshl_b64 s[4:5], s[26:27], 6
.LBB1103_2:                             ; =>This Inner Loop Header: Depth=1
	global_load_b64 v[18:19], v[0:1], off offset:-4
	global_load_b64 v[20:21], v[2:3], off offset:-4
	s_add_u32 s6, s6, 8
	v_add_co_u32 v0, vcc_lo, v0, s2
	s_addc_u32 s7, s7, 0
	v_add_co_ci_u32_e32 v1, vcc_lo, s3, v1, vcc_lo
	v_cmp_ge_u64_e64 s10, s[6:7], s[16:17]
	v_add_co_u32 v2, vcc_lo, v2, s4
	v_add_co_ci_u32_e32 v3, vcc_lo, s5, v3, vcc_lo
	s_waitcnt vmcnt(1)
	ds_store_b64 v16, v[18:19]
	s_waitcnt vmcnt(0)
	ds_store_b64 v17, v[20:21]
	s_waitcnt lgkmcnt(0)
	s_barrier
	buffer_gl0_inv
	ds_load_2addr_b64 v[18:21], v10 offset1:16
	ds_load_b128 v[22:25], v11
	ds_load_b128 v[26:29], v11 offset:1024
	ds_load_b128 v[30:33], v11 offset:16
	;; [unrolled: 1-line block ×4, first 2 shown]
	ds_load_2addr_b64 v[42:45], v10 offset0:32 offset1:48
	ds_load_2addr_b64 v[46:49], v10 offset0:64 offset1:80
	ds_load_b128 v[50:53], v11 offset:1040
	ds_load_2addr_b64 v[54:57], v10 offset0:96 offset1:112
	ds_load_2addr_b64 v[58:61], v10 offset0:128 offset1:144
	;; [unrolled: 1-line block ×4, first 2 shown]
	ds_load_b128 v[70:73], v11 offset:1056
	ds_load_b128 v[74:77], v11 offset:1072
	ds_load_2addr_b64 v[78:81], v10 offset0:224 offset1:240
	s_and_b32 vcc_lo, exec_lo, s10
	s_waitcnt lgkmcnt(0)
	s_barrier
	buffer_gl0_inv
	v_dual_mul_f32 v82, v23, v19 :: v_dual_mul_f32 v85, v22, v21
	v_dual_mul_f32 v83, v22, v19 :: v_dual_mul_f32 v84, v23, v21
	v_mul_f32_e32 v86, v27, v19
	v_dual_mul_f32 v19, v26, v19 :: v_dual_mul_f32 v90, v25, v45
	v_dual_mul_f32 v87, v27, v21 :: v_dual_mul_f32 v88, v25, v43
	v_mul_f32_e32 v21, v26, v21
	v_mul_f32_e32 v89, v24, v43
	;; [unrolled: 1-line block ×3, first 2 shown]
	v_fma_f32 v82, v22, v18, -v82
	v_fmac_f32_e32 v83, v23, v18
	v_fma_f32 v22, v22, v20, -v84
	v_dual_fmac_f32 v85, v23, v20 :: v_dual_mul_f32 v84, v30, v47
	v_fma_f32 v23, v26, v18, -v86
	v_fmac_f32_e32 v19, v27, v18
	v_fma_f32 v18, v26, v20, -v87
	v_dual_mul_f32 v26, v28, v43 :: v_dual_fmac_f32 v21, v27, v20
	v_mul_f32_e32 v20, v29, v43
	v_mul_f32_e32 v27, v29, v45
	v_dual_mul_f32 v43, v28, v45 :: v_dual_fmac_f32 v84, v31, v46
	v_fma_f32 v45, v24, v42, -v88
	v_fma_f32 v24, v24, v44, -v90
	v_dual_fmac_f32 v91, v25, v44 :: v_dual_mul_f32 v90, v32, v57
	v_dual_mul_f32 v86, v31, v49 :: v_dual_fmac_f32 v89, v25, v42
	v_dual_mul_f32 v25, v31, v47 :: v_dual_mul_f32 v88, v33, v57
	v_fma_f32 v20, v28, v42, -v20
	v_fmac_f32_e32 v26, v29, v42
	v_fma_f32 v27, v28, v44, -v27
	v_dual_fmac_f32 v43, v29, v44 :: v_dual_mul_f32 v28, v51, v47
	v_dual_mul_f32 v29, v50, v47 :: v_dual_mul_f32 v42, v51, v49
	v_mul_f32_e32 v44, v50, v49
	v_mul_f32_e32 v87, v30, v49
	;; [unrolled: 1-line block ×3, first 2 shown]
	v_dual_mul_f32 v49, v32, v55 :: v_dual_fmac_f32 v90, v33, v56
	v_fma_f32 v25, v30, v46, -v25
	v_fma_f32 v30, v30, v48, -v86
	;; [unrolled: 1-line block ×3, first 2 shown]
	v_fmac_f32_e32 v44, v51, v48
	v_fmac_f32_e32 v87, v31, v48
	v_fma_f32 v31, v50, v48, -v42
	v_mul_f32_e32 v42, v53, v55
	v_mul_f32_e32 v48, v53, v57
	v_dual_mul_f32 v50, v52, v57 :: v_dual_fmac_f32 v29, v51, v46
	v_mul_f32_e32 v46, v52, v55
	v_fma_f32 v47, v32, v54, -v47
	v_fmac_f32_e32 v49, v33, v54
	v_fma_f32 v32, v32, v56, -v88
	s_delay_alu instid0(VALU_DEP_4)
	v_dual_mul_f32 v33, v35, v59 :: v_dual_fmac_f32 v46, v53, v54
	v_mul_f32_e32 v51, v34, v59
	v_mul_f32_e32 v55, v35, v61
	v_fma_f32 v42, v52, v54, -v42
	v_fma_f32 v48, v52, v56, -v48
	v_fmac_f32_e32 v50, v53, v56
	v_mul_f32_e32 v52, v71, v59
	v_dual_mul_f32 v53, v70, v59 :: v_dual_mul_f32 v86, v37, v65
	v_mul_f32_e32 v54, v71, v61
	v_dual_mul_f32 v56, v70, v61 :: v_dual_mul_f32 v59, v37, v63
	v_mul_f32_e32 v57, v34, v61
	v_mul_f32_e32 v61, v36, v63
	v_dual_mul_f32 v88, v36, v65 :: v_dual_fmac_f32 v51, v35, v58
	v_fma_f32 v33, v34, v58, -v33
	v_fmac_f32_e32 v53, v71, v58
	v_fmac_f32_e32 v56, v71, v60
	s_delay_alu instid0(VALU_DEP_4)
	v_fmac_f32_e32 v88, v37, v64
	v_fmac_f32_e32 v57, v35, v60
	v_fma_f32 v35, v70, v58, -v52
	v_fma_f32 v52, v70, v60, -v54
	v_mul_f32_e32 v54, v73, v63
	v_fma_f32 v34, v34, v60, -v55
	v_mul_f32_e32 v60, v72, v65
	v_dual_mul_f32 v55, v72, v63 :: v_dual_mul_f32 v70, v38, v69
	v_mul_f32_e32 v58, v73, v65
	v_fma_f32 v59, v36, v62, -v59
	v_fmac_f32_e32 v61, v37, v62
	v_fma_f32 v36, v36, v64, -v86
	v_dual_mul_f32 v37, v39, v67 :: v_dual_fmac_f32 v60, v73, v64
	v_dual_mul_f32 v63, v38, v67 :: v_dual_mul_f32 v86, v40, v81
	v_mul_f32_e32 v65, v39, v69
	v_fma_f32 v54, v72, v62, -v54
	v_fmac_f32_e32 v55, v73, v62
	v_fma_f32 v58, v72, v64, -v58
	v_mul_f32_e32 v72, v40, v79
	v_mul_f32_e32 v62, v75, v67
	v_dual_mul_f32 v64, v74, v67 :: v_dual_mul_f32 v67, v75, v69
	v_dual_mul_f32 v69, v74, v69 :: v_dual_fmac_f32 v70, v39, v68
	s_delay_alu instid0(VALU_DEP_2)
	v_dual_mul_f32 v71, v41, v79 :: v_dual_fmac_f32 v64, v75, v66
	v_fma_f32 v37, v38, v66, -v37
	v_fmac_f32_e32 v63, v39, v66
	v_fma_f32 v38, v38, v68, -v65
	v_fma_f32 v39, v74, v66, -v62
	v_dual_fmac_f32 v69, v75, v68 :: v_dual_fmac_f32 v72, v41, v78
	v_mul_f32_e32 v66, v76, v79
	v_fma_f32 v62, v74, v68, -v67
	v_mul_f32_e32 v68, v76, v81
	v_dual_mul_f32 v73, v41, v81 :: v_dual_add_f32 v14, v14, v82
	v_dual_mul_f32 v65, v77, v79 :: v_dual_add_f32 v12, v12, v85
	;; [unrolled: 1-line block ×3, first 2 shown]
	v_dual_fmac_f32 v86, v41, v80 :: v_dual_add_f32 v15, v15, v83
	v_dual_fmac_f32 v68, v77, v80 :: v_dual_add_f32 v7, v7, v18
	v_dual_add_f32 v13, v13, v22 :: v_dual_add_f32 v6, v6, v21
	v_dual_add_f32 v9, v9, v19 :: v_dual_add_f32 v14, v14, v45
	s_delay_alu instid0(VALU_DEP_4) | instskip(NEXT) | instid1(VALU_DEP_3)
	v_dual_fmac_f32 v66, v77, v78 :: v_dual_add_f32 v15, v15, v89
	v_dual_add_f32 v13, v13, v24 :: v_dual_add_f32 v12, v12, v91
	s_delay_alu instid0(VALU_DEP_3) | instskip(NEXT) | instid1(VALU_DEP_4)
	v_dual_add_f32 v8, v8, v20 :: v_dual_add_f32 v9, v9, v26
	v_dual_add_f32 v7, v7, v27 :: v_dual_add_f32 v14, v14, v25
	s_delay_alu instid0(VALU_DEP_4) | instskip(NEXT) | instid1(VALU_DEP_4)
	v_dual_add_f32 v6, v6, v43 :: v_dual_add_f32 v15, v15, v84
	v_dual_add_f32 v13, v13, v30 :: v_dual_add_f32 v12, v12, v87
	s_delay_alu instid0(VALU_DEP_4) | instskip(NEXT) | instid1(VALU_DEP_3)
	v_dual_add_f32 v8, v8, v28 :: v_dual_add_f32 v9, v9, v29
	v_dual_add_f32 v7, v7, v31 :: v_dual_add_f32 v6, v6, v44
	s_delay_alu instid0(VALU_DEP_4) | instskip(NEXT) | instid1(VALU_DEP_4)
	v_dual_add_f32 v14, v14, v47 :: v_dual_add_f32 v15, v15, v49
	v_dual_add_f32 v13, v13, v32 :: v_dual_add_f32 v12, v12, v90
	s_delay_alu instid0(VALU_DEP_3) | instskip(NEXT) | instid1(VALU_DEP_3)
	v_dual_add_f32 v8, v8, v42 :: v_dual_add_f32 v7, v7, v48
	v_dual_add_f32 v9, v9, v46 :: v_dual_add_f32 v14, v14, v33
	s_delay_alu instid0(VALU_DEP_4) | instskip(NEXT) | instid1(VALU_DEP_4)
	v_dual_add_f32 v6, v6, v50 :: v_dual_add_f32 v15, v15, v51
	v_dual_add_f32 v13, v13, v34 :: v_dual_add_f32 v12, v12, v57
	s_delay_alu instid0(VALU_DEP_3) | instskip(NEXT) | instid1(VALU_DEP_4)
	v_dual_add_f32 v8, v8, v35 :: v_dual_add_f32 v9, v9, v53
	v_dual_add_f32 v7, v7, v52 :: v_dual_add_f32 v14, v14, v59
	s_delay_alu instid0(VALU_DEP_4) | instskip(NEXT) | instid1(VALU_DEP_3)
	v_dual_add_f32 v6, v6, v56 :: v_dual_add_f32 v15, v15, v61
	v_dual_add_f32 v13, v13, v36 :: v_dual_add_f32 v8, v8, v54
	s_delay_alu instid0(VALU_DEP_4) | instskip(NEXT) | instid1(VALU_DEP_3)
	v_dual_add_f32 v12, v12, v88 :: v_dual_add_f32 v9, v9, v55
	v_dual_add_f32 v7, v7, v58 :: v_dual_add_f32 v6, v6, v60
	v_fma_f32 v71, v40, v78, -v71
	v_fma_f32 v40, v40, v80, -v73
	;; [unrolled: 1-line block ×4, first 2 shown]
	v_dual_add_f32 v14, v14, v37 :: v_dual_add_f32 v15, v15, v63
	v_dual_add_f32 v13, v13, v38 :: v_dual_add_f32 v8, v8, v39
	;; [unrolled: 1-line block ×4, first 2 shown]
	s_delay_alu instid0(VALU_DEP_4) | instskip(NEXT) | instid1(VALU_DEP_3)
	v_dual_add_f32 v14, v14, v71 :: v_dual_add_f32 v15, v15, v72
	v_dual_add_f32 v13, v13, v40 :: v_dual_add_f32 v12, v12, v86
	s_delay_alu instid0(VALU_DEP_4) | instskip(NEXT) | instid1(VALU_DEP_4)
	v_dual_add_f32 v8, v8, v41 :: v_dual_add_f32 v9, v9, v66
	v_dual_add_f32 v7, v7, v65 :: v_dual_add_f32 v6, v6, v68
	s_cbranch_vccz .LBB1103_2
.LBB1103_3:
	s_clause 0x1
	s_load_b128 s[4:7], s[0:1], 0x48
	s_load_b32 s2, s[0:1], 0x0
	v_add_nc_u32_e32 v5, s9, v5
	s_delay_alu instid0(VALU_DEP_1) | instskip(SKIP_1) | instid1(VALU_DEP_1)
	v_ashrrev_i32_e32 v0, 31, v5
	s_waitcnt lgkmcnt(0)
	v_mul_lo_u32 v3, v0, s4
	v_mul_lo_u32 v10, v5, s5
	v_mad_u64_u32 v[1:2], null, v5, s4, 0
	s_mul_i32 s1, s15, s7
	s_mul_hi_u32 s3, s15, s6
	s_mul_i32 s6, s15, s6
	s_add_i32 s7, s3, s1
	v_add_nc_u32_e32 v0, s8, v4
	s_lshl_b64 s[6:7], s[6:7], 3
	s_delay_alu instid0(VALU_DEP_2)
	v_add3_u32 v2, v2, v10, v3
	s_add_u32 s3, s30, s6
	v_cmp_gt_i32_e32 vcc_lo, s2, v5
	v_cmp_le_i32_e64 s0, v0, v5
	s_addc_u32 s6, s31, s7
	v_lshlrev_b64 v[1:2], 3, v[1:2]
	s_delay_alu instid0(VALU_DEP_2) | instskip(NEXT) | instid1(VALU_DEP_1)
	s_and_b32 s0, vcc_lo, s0
	v_add_co_u32 v4, s1, s3, v1
	s_delay_alu instid0(VALU_DEP_1)
	v_add_co_ci_u32_e64 v10, s1, s6, v2, s1
	s_and_saveexec_b32 s1, s0
	s_cbranch_execz .LBB1103_5
; %bb.4:
	v_ashrrev_i32_e32 v1, 31, v0
	v_xor_b32_e32 v14, 0x80000000, v14
	v_xor_b32_e32 v15, 0x80000000, v15
	s_delay_alu instid0(VALU_DEP_3) | instskip(NEXT) | instid1(VALU_DEP_1)
	v_lshlrev_b64 v[1:2], 3, v[0:1]
	v_add_co_u32 v1, s0, v4, v1
	s_delay_alu instid0(VALU_DEP_1)
	v_add_co_ci_u32_e64 v2, s0, v10, v2, s0
	global_store_b64 v[1:2], v[14:15], off
.LBB1103_5:
	s_or_b32 exec_lo, exec_lo, s1
	v_add_nc_u32_e32 v2, 16, v0
	s_delay_alu instid0(VALU_DEP_1) | instskip(NEXT) | instid1(VALU_DEP_1)
	v_cmp_le_i32_e64 s0, v2, v5
	s_and_b32 s1, vcc_lo, s0
	s_delay_alu instid0(SALU_CYCLE_1)
	s_and_saveexec_b32 s0, s1
	s_cbranch_execz .LBB1103_7
; %bb.6:
	v_ashrrev_i32_e32 v3, 31, v2
	v_xor_b32_e32 v11, 0x80000000, v13
	v_xor_b32_e32 v12, 0x80000000, v12
	s_delay_alu instid0(VALU_DEP_3) | instskip(NEXT) | instid1(VALU_DEP_1)
	v_lshlrev_b64 v[14:15], 3, v[2:3]
	v_add_co_u32 v3, vcc_lo, v4, v14
	s_delay_alu instid0(VALU_DEP_2)
	v_add_co_ci_u32_e32 v4, vcc_lo, v10, v15, vcc_lo
	global_store_b64 v[3:4], v[11:12], off
.LBB1103_7:
	s_or_b32 exec_lo, exec_lo, s0
	v_add_nc_u32_e32 v3, 16, v5
	s_delay_alu instid0(VALU_DEP_1) | instskip(SKIP_3) | instid1(VALU_DEP_4)
	v_ashrrev_i32_e32 v1, 31, v3
	v_mul_lo_u32 v10, v3, s5
	v_mad_u64_u32 v[4:5], null, v3, s4, 0
	v_cmp_gt_i32_e32 vcc_lo, s2, v3
	v_mul_lo_u32 v1, v1, s4
	v_cmp_le_i32_e64 s0, v0, v3
	s_delay_alu instid0(VALU_DEP_1) | instskip(NEXT) | instid1(VALU_DEP_2)
	s_and_b32 s0, vcc_lo, s0
	v_add3_u32 v5, v5, v10, v1
	s_delay_alu instid0(VALU_DEP_1) | instskip(NEXT) | instid1(VALU_DEP_1)
	v_lshlrev_b64 v[4:5], 3, v[4:5]
	v_add_co_u32 v4, s1, s3, v4
	s_delay_alu instid0(VALU_DEP_1)
	v_add_co_ci_u32_e64 v5, s1, s6, v5, s1
	s_and_saveexec_b32 s1, s0
	s_cbranch_execz .LBB1103_9
; %bb.8:
	v_ashrrev_i32_e32 v1, 31, v0
	v_xor_b32_e32 v8, 0x80000000, v8
	v_xor_b32_e32 v9, 0x80000000, v9
	s_delay_alu instid0(VALU_DEP_3) | instskip(NEXT) | instid1(VALU_DEP_1)
	v_lshlrev_b64 v[0:1], 3, v[0:1]
	v_add_co_u32 v0, s0, v4, v0
	s_delay_alu instid0(VALU_DEP_1)
	v_add_co_ci_u32_e64 v1, s0, v5, v1, s0
	global_store_b64 v[0:1], v[8:9], off
.LBB1103_9:
	s_or_b32 exec_lo, exec_lo, s1
	v_cmp_le_i32_e64 s0, v2, v3
	s_delay_alu instid0(VALU_DEP_1) | instskip(NEXT) | instid1(SALU_CYCLE_1)
	s_and_b32 s0, vcc_lo, s0
	s_and_saveexec_b32 s1, s0
	s_cbranch_execz .LBB1103_11
; %bb.10:
	v_ashrrev_i32_e32 v3, 31, v2
	s_delay_alu instid0(VALU_DEP_1) | instskip(SKIP_2) | instid1(VALU_DEP_3)
	v_lshlrev_b64 v[0:1], 3, v[2:3]
	v_xor_b32_e32 v2, 0x80000000, v7
	v_xor_b32_e32 v3, 0x80000000, v6
	v_add_co_u32 v0, vcc_lo, v4, v0
	s_delay_alu instid0(VALU_DEP_4)
	v_add_co_ci_u32_e32 v1, vcc_lo, v5, v1, vcc_lo
	global_store_b64 v[0:1], v[2:3], off
.LBB1103_11:
	s_nop 0
	s_sendmsg sendmsg(MSG_DEALLOC_VGPRS)
	s_endpgm
	.section	.rodata,"a",@progbits
	.p2align	6, 0x0
	.amdhsa_kernel _ZL37rocblas_syrkx_herkx_restricted_kernelIl19rocblas_complex_numIfELi16ELi32ELi8ELin1ELi0ELb0ELc78ELc85EKS1_S1_EviT_PT9_S3_lS5_S3_lPT10_S3_li
		.amdhsa_group_segment_fixed_size 4096
		.amdhsa_private_segment_fixed_size 0
		.amdhsa_kernarg_size 92
		.amdhsa_user_sgpr_count 13
		.amdhsa_user_sgpr_dispatch_ptr 0
		.amdhsa_user_sgpr_queue_ptr 0
		.amdhsa_user_sgpr_kernarg_segment_ptr 1
		.amdhsa_user_sgpr_dispatch_id 0
		.amdhsa_user_sgpr_private_segment_size 0
		.amdhsa_wavefront_size32 1
		.amdhsa_uses_dynamic_stack 0
		.amdhsa_enable_private_segment 0
		.amdhsa_system_sgpr_workgroup_id_x 1
		.amdhsa_system_sgpr_workgroup_id_y 1
		.amdhsa_system_sgpr_workgroup_id_z 1
		.amdhsa_system_sgpr_workgroup_info 0
		.amdhsa_system_vgpr_workitem_id 1
		.amdhsa_next_free_vgpr 92
		.amdhsa_next_free_sgpr 32
		.amdhsa_reserve_vcc 1
		.amdhsa_float_round_mode_32 0
		.amdhsa_float_round_mode_16_64 0
		.amdhsa_float_denorm_mode_32 3
		.amdhsa_float_denorm_mode_16_64 3
		.amdhsa_dx10_clamp 1
		.amdhsa_ieee_mode 1
		.amdhsa_fp16_overflow 0
		.amdhsa_workgroup_processor_mode 1
		.amdhsa_memory_ordered 1
		.amdhsa_forward_progress 0
		.amdhsa_shared_vgpr_count 0
		.amdhsa_exception_fp_ieee_invalid_op 0
		.amdhsa_exception_fp_denorm_src 0
		.amdhsa_exception_fp_ieee_div_zero 0
		.amdhsa_exception_fp_ieee_overflow 0
		.amdhsa_exception_fp_ieee_underflow 0
		.amdhsa_exception_fp_ieee_inexact 0
		.amdhsa_exception_int_div_zero 0
	.end_amdhsa_kernel
	.section	.text._ZL37rocblas_syrkx_herkx_restricted_kernelIl19rocblas_complex_numIfELi16ELi32ELi8ELin1ELi0ELb0ELc78ELc85EKS1_S1_EviT_PT9_S3_lS5_S3_lPT10_S3_li,"axG",@progbits,_ZL37rocblas_syrkx_herkx_restricted_kernelIl19rocblas_complex_numIfELi16ELi32ELi8ELin1ELi0ELb0ELc78ELc85EKS1_S1_EviT_PT9_S3_lS5_S3_lPT10_S3_li,comdat
.Lfunc_end1103:
	.size	_ZL37rocblas_syrkx_herkx_restricted_kernelIl19rocblas_complex_numIfELi16ELi32ELi8ELin1ELi0ELb0ELc78ELc85EKS1_S1_EviT_PT9_S3_lS5_S3_lPT10_S3_li, .Lfunc_end1103-_ZL37rocblas_syrkx_herkx_restricted_kernelIl19rocblas_complex_numIfELi16ELi32ELi8ELin1ELi0ELb0ELc78ELc85EKS1_S1_EviT_PT9_S3_lS5_S3_lPT10_S3_li
                                        ; -- End function
	.section	.AMDGPU.csdata,"",@progbits
; Kernel info:
; codeLenInByte = 2188
; NumSgprs: 34
; NumVgprs: 92
; ScratchSize: 0
; MemoryBound: 0
; FloatMode: 240
; IeeeMode: 1
; LDSByteSize: 4096 bytes/workgroup (compile time only)
; SGPRBlocks: 4
; VGPRBlocks: 11
; NumSGPRsForWavesPerEU: 34
; NumVGPRsForWavesPerEU: 92
; Occupancy: 16
; WaveLimiterHint : 1
; COMPUTE_PGM_RSRC2:SCRATCH_EN: 0
; COMPUTE_PGM_RSRC2:USER_SGPR: 13
; COMPUTE_PGM_RSRC2:TRAP_HANDLER: 0
; COMPUTE_PGM_RSRC2:TGID_X_EN: 1
; COMPUTE_PGM_RSRC2:TGID_Y_EN: 1
; COMPUTE_PGM_RSRC2:TGID_Z_EN: 1
; COMPUTE_PGM_RSRC2:TIDIG_COMP_CNT: 1
	.section	.text._ZL37rocblas_syrkx_herkx_restricted_kernelIl19rocblas_complex_numIfELi16ELi32ELi8ELb1ELb0ELc84ELc76EKS1_S1_EviT_T0_PT8_S3_lS6_S3_lS4_PT9_S3_li,"axG",@progbits,_ZL37rocblas_syrkx_herkx_restricted_kernelIl19rocblas_complex_numIfELi16ELi32ELi8ELb1ELb0ELc84ELc76EKS1_S1_EviT_T0_PT8_S3_lS6_S3_lS4_PT9_S3_li,comdat
	.globl	_ZL37rocblas_syrkx_herkx_restricted_kernelIl19rocblas_complex_numIfELi16ELi32ELi8ELb1ELb0ELc84ELc76EKS1_S1_EviT_T0_PT8_S3_lS6_S3_lS4_PT9_S3_li ; -- Begin function _ZL37rocblas_syrkx_herkx_restricted_kernelIl19rocblas_complex_numIfELi16ELi32ELi8ELb1ELb0ELc84ELc76EKS1_S1_EviT_T0_PT8_S3_lS6_S3_lS4_PT9_S3_li
	.p2align	8
	.type	_ZL37rocblas_syrkx_herkx_restricted_kernelIl19rocblas_complex_numIfELi16ELi32ELi8ELb1ELb0ELc84ELc76EKS1_S1_EviT_T0_PT8_S3_lS6_S3_lS4_PT9_S3_li,@function
_ZL37rocblas_syrkx_herkx_restricted_kernelIl19rocblas_complex_numIfELi16ELi32ELi8ELb1ELb0ELc84ELc76EKS1_S1_EviT_T0_PT8_S3_lS6_S3_lS4_PT9_S3_li: ; @_ZL37rocblas_syrkx_herkx_restricted_kernelIl19rocblas_complex_numIfELi16ELi32ELi8ELb1ELb0ELc84ELc76EKS1_S1_EviT_T0_PT8_S3_lS6_S3_lS4_PT9_S3_li
; %bb.0:
	s_load_b512 s[16:31], s[0:1], 0x8
	v_dual_mov_b32 v15, 0 :: v_dual_mov_b32 v16, 0
	v_dual_mov_b32 v12, 0 :: v_dual_mov_b32 v13, 0
	;; [unrolled: 1-line block ×3, first 2 shown]
	v_dual_mov_b32 v7, 0 :: v_dual_and_b32 v6, 0x3ff, v0
	v_bfe_u32 v8, v0, 10, 10
	v_mov_b32_e32 v1, 0
	s_lshl_b32 s8, s13, 5
	s_lshl_b32 s9, s14, 5
	s_waitcnt lgkmcnt(0)
	v_cmp_lt_i64_e64 s2, s[16:17], 1
	s_delay_alu instid0(VALU_DEP_1)
	s_and_b32 vcc_lo, exec_lo, s2
	s_cbranch_vccnz .LBB1104_3
; %bb.1:
	v_lshl_add_u32 v2, v8, 4, v6
	v_dual_mov_b32 v1, 0 :: v_dual_and_b32 v0, 7, v6
	s_mul_i32 s3, s25, s15
	s_mul_hi_u32 s4, s24, s15
	s_delay_alu instid0(VALU_DEP_2) | instskip(SKIP_3) | instid1(VALU_DEP_4)
	v_and_b32_e32 v7, 31, v2
	v_lshrrev_b32_e32 v12, 3, v2
	v_lshrrev_b32_e32 v2, 5, v2
	v_dual_mov_b32 v3, v1 :: v_dual_lshlrev_b32 v14, 3, v0
	v_add_nc_u32_e32 v9, s8, v7
	s_delay_alu instid0(VALU_DEP_4)
	v_add_nc_u32_e32 v13, s9, v12
	s_mul_i32 s2, s24, s15
	s_add_i32 s3, s4, s3
	s_mul_hi_u32 s5, s30, s15
	v_ashrrev_i32_e32 v10, 31, v9
	v_ashrrev_i32_e32 v15, 31, v13
	v_mad_u64_u32 v[4:5], null, s22, v9, v[2:3]
	v_mul_lo_u32 v3, s23, v9
	s_delay_alu instid0(VALU_DEP_4)
	v_mul_lo_u32 v16, s22, v10
	v_mul_lo_u32 v17, v13, s29
	v_mad_u64_u32 v[9:10], null, v13, s28, v[0:1]
	v_mul_lo_u32 v13, v15, s28
	v_lshlrev_b32_e32 v0, 3, v7
	v_lshl_or_b32 v7, v12, 6, v14
	s_lshl_b64 s[2:3], s[2:3], 3
	v_add3_u32 v5, v3, v5, v16
	s_add_u32 s4, s20, s2
	s_mul_i32 s2, s31, s15
	v_add_nc_u32_e32 v14, 0x800, v7
	v_add3_u32 v10, v13, v10, v17
	v_mov_b32_e32 v7, v1
	v_lshl_or_b32 v0, v2, 8, v0
	v_lshlrev_b64 v[2:3], 3, v[4:5]
	s_addc_u32 s6, s21, s3
	s_add_i32 s3, s5, s2
	s_mul_i32 s2, s30, s15
	v_lshlrev_b64 v[4:5], 3, v[9:10]
	v_mov_b32_e32 v9, v1
	s_lshl_b64 s[2:3], s[2:3], 3
	v_add_co_u32 v2, vcc_lo, s4, v2
	s_add_u32 s2, s26, s2
	v_add_co_ci_u32_e32 v3, vcc_lo, s6, v3, vcc_lo
	s_addc_u32 s3, s27, s3
	v_add_co_u32 v4, vcc_lo, s2, v4
	v_add_co_ci_u32_e32 v5, vcc_lo, s3, v5, vcc_lo
	v_add_co_u32 v2, vcc_lo, v2, 4
	v_add_co_ci_u32_e32 v3, vcc_lo, 0, v3, vcc_lo
	s_delay_alu instid0(VALU_DEP_4)
	v_add_co_u32 v4, vcc_lo, v4, 4
	v_dual_mov_b32 v10, v1 :: v_dual_lshlrev_b32 v11, 3, v6
	v_lshl_add_u32 v17, v8, 6, 0x800
	v_add_co_ci_u32_e32 v5, vcc_lo, 0, v5, vcc_lo
	v_mov_b32_e32 v13, v1
	v_mov_b32_e32 v12, v1
	;; [unrolled: 1-line block ×4, first 2 shown]
	s_mov_b64 s[2:3], 0
.LBB1104_2:                             ; =>This Inner Loop Header: Depth=1
	global_load_b64 v[18:19], v[2:3], off offset:-4
	global_load_b64 v[20:21], v[4:5], off offset:-4
	s_add_u32 s2, s2, 8
	v_add_co_u32 v2, vcc_lo, v2, 64
	s_addc_u32 s3, s3, 0
	v_add_co_ci_u32_e32 v3, vcc_lo, 0, v3, vcc_lo
	v_cmp_ge_u64_e64 s4, s[2:3], s[16:17]
	v_add_co_u32 v4, vcc_lo, v4, 64
	v_add_co_ci_u32_e32 v5, vcc_lo, 0, v5, vcc_lo
	s_waitcnt vmcnt(1)
	ds_store_b64 v0, v[18:19]
	s_waitcnt vmcnt(0)
	ds_store_b64 v14, v[20:21]
	s_waitcnt lgkmcnt(0)
	s_barrier
	buffer_gl0_inv
	ds_load_2addr_b64 v[18:21], v11 offset1:16
	ds_load_b128 v[22:25], v17
	ds_load_b128 v[26:29], v17 offset:1024
	ds_load_b128 v[30:33], v17 offset:16
	;; [unrolled: 1-line block ×4, first 2 shown]
	ds_load_2addr_b64 v[42:45], v11 offset0:32 offset1:48
	ds_load_2addr_b64 v[46:49], v11 offset0:64 offset1:80
	ds_load_b128 v[50:53], v17 offset:1040
	ds_load_2addr_b64 v[54:57], v11 offset0:96 offset1:112
	ds_load_2addr_b64 v[58:61], v11 offset0:128 offset1:144
	;; [unrolled: 1-line block ×4, first 2 shown]
	ds_load_b128 v[70:73], v17 offset:1056
	ds_load_b128 v[74:77], v17 offset:1072
	ds_load_2addr_b64 v[78:81], v11 offset0:224 offset1:240
	s_and_b32 vcc_lo, exec_lo, s4
	s_waitcnt lgkmcnt(0)
	s_barrier
	buffer_gl0_inv
	v_dual_mul_f32 v82, v23, v19 :: v_dual_mul_f32 v85, v22, v21
	v_dual_mul_f32 v83, v22, v19 :: v_dual_mul_f32 v84, v23, v21
	v_mul_f32_e32 v86, v27, v19
	v_dual_mul_f32 v19, v26, v19 :: v_dual_mul_f32 v90, v25, v45
	v_dual_mul_f32 v87, v27, v21 :: v_dual_mul_f32 v88, v25, v43
	v_mul_f32_e32 v21, v26, v21
	v_fma_f32 v82, v22, v18, -v82
	v_fmac_f32_e32 v83, v23, v18
	v_fma_f32 v22, v22, v20, -v84
	v_fmac_f32_e32 v85, v23, v20
	v_fma_f32 v23, v26, v18, -v86
	v_dual_fmac_f32 v19, v27, v18 :: v_dual_mul_f32 v86, v30, v47
	v_fma_f32 v18, v26, v20, -v87
	v_dual_fmac_f32 v21, v27, v20 :: v_dual_mul_f32 v20, v24, v45
	v_mul_f32_e32 v89, v24, v43
	v_mul_f32_e32 v26, v29, v43
	v_mul_f32_e32 v27, v28, v43
	v_mul_f32_e32 v43, v29, v45
	v_fmac_f32_e32 v20, v25, v44
	v_fmac_f32_e32 v89, v25, v42
	v_dual_mul_f32 v25, v28, v45 :: v_dual_fmac_f32 v86, v31, v46
	v_fma_f32 v84, v24, v42, -v88
	v_fma_f32 v24, v24, v44, -v90
	v_dual_mul_f32 v45, v31, v47 :: v_dual_mul_f32 v90, v33, v57
	v_fma_f32 v26, v28, v42, -v26
	v_fma_f32 v28, v28, v44, -v43
	v_fmac_f32_e32 v25, v29, v44
	v_dual_mul_f32 v43, v50, v47 :: v_dual_mul_f32 v44, v51, v49
	v_dual_fmac_f32 v27, v29, v42 :: v_dual_mul_f32 v42, v51, v47
	v_dual_mul_f32 v88, v32, v55 :: v_dual_mul_f32 v29, v30, v49
	v_mul_f32_e32 v87, v31, v49
	v_fma_f32 v45, v30, v46, -v45
	v_add_f32_e32 v10, v10, v19
	s_delay_alu instid0(VALU_DEP_4)
	v_dual_fmac_f32 v88, v33, v54 :: v_dual_fmac_f32 v29, v31, v48
	v_fma_f32 v31, v50, v46, -v42
	v_fma_f32 v42, v50, v48, -v44
	v_mul_f32_e32 v44, v32, v57
	v_mul_f32_e32 v47, v50, v49
	v_dual_mul_f32 v50, v53, v57 :: v_dual_fmac_f32 v43, v51, v46
	v_mul_f32_e32 v46, v53, v55
	v_mul_f32_e32 v49, v33, v55
	v_fma_f32 v30, v30, v48, -v87
	v_fmac_f32_e32 v44, v33, v56
	v_dual_fmac_f32 v47, v51, v48 :: v_dual_mul_f32 v48, v52, v55
	v_mul_f32_e32 v33, v52, v57
	v_fma_f32 v46, v52, v54, -v46
	v_fma_f32 v50, v52, v56, -v50
	v_mul_f32_e32 v52, v34, v61
	v_fma_f32 v49, v32, v54, -v49
	v_fma_f32 v32, v32, v56, -v90
	v_dual_mul_f32 v51, v35, v59 :: v_dual_fmac_f32 v48, v53, v54
	v_mul_f32_e32 v54, v70, v59
	v_dual_mul_f32 v55, v34, v59 :: v_dual_fmac_f32 v52, v35, v60
	v_fmac_f32_e32 v33, v53, v56
	v_mul_f32_e32 v53, v71, v59
	v_mul_f32_e32 v56, v71, v61
	;; [unrolled: 1-line block ×3, first 2 shown]
	v_fmac_f32_e32 v54, v71, v58
	v_fmac_f32_e32 v55, v35, v58
	v_fma_f32 v35, v70, v58, -v53
	v_fma_f32 v53, v70, v60, -v56
	v_mul_f32_e32 v56, v36, v65
	v_mul_f32_e32 v59, v70, v61
	v_fma_f32 v51, v34, v58, -v51
	v_mul_f32_e32 v58, v72, v63
	v_mul_f32_e32 v87, v36, v63
	;; [unrolled: 1-line block ×4, first 2 shown]
	v_fma_f32 v34, v34, v60, -v57
	v_mul_f32_e32 v57, v73, v63
	v_fmac_f32_e32 v56, v37, v64
	v_dual_fmac_f32 v59, v71, v60 :: v_dual_mul_f32 v60, v73, v65
	v_fmac_f32_e32 v58, v73, v62
	v_fmac_f32_e32 v87, v37, v62
	v_mul_f32_e32 v37, v72, v65
	v_mul_f32_e32 v65, v38, v67
	v_fma_f32 v61, v36, v62, -v61
	v_mul_f32_e32 v63, v39, v67
	v_mul_f32_e32 v70, v39, v69
	v_fma_f32 v57, v72, v62, -v57
	v_mul_f32_e32 v62, v38, v69
	v_dual_mul_f32 v71, v75, v69 :: v_dual_add_f32 v16, v16, v83
	v_dual_mul_f32 v69, v74, v69 :: v_dual_add_f32 v12, v12, v22
	v_fmac_f32_e32 v65, v39, v66
	v_fma_f32 v36, v36, v64, -v90
	v_fma_f32 v60, v72, v64, -v60
	v_dual_fmac_f32 v37, v73, v64 :: v_dual_mul_f32 v64, v75, v67
	v_fma_f32 v63, v38, v66, -v63
	v_fma_f32 v38, v38, v68, -v70
	v_mul_f32_e32 v70, v76, v79
	v_mul_f32_e32 v67, v74, v67
	v_dual_fmac_f32 v69, v75, v68 :: v_dual_add_f32 v10, v10, v27
	v_fmac_f32_e32 v62, v39, v68
	v_fma_f32 v39, v74, v66, -v64
	v_fmac_f32_e32 v70, v77, v78
	v_dual_fmac_f32 v67, v75, v66 :: v_dual_add_f32 v16, v16, v89
	v_dual_mul_f32 v66, v40, v81 :: v_dual_add_f32 v15, v15, v82
	v_add_f32_e32 v10, v10, v43
	v_mul_f32_e32 v73, v40, v79
	v_mul_f32_e32 v72, v41, v79
	;; [unrolled: 1-line block ×3, first 2 shown]
	v_fma_f32 v64, v74, v68, -v71
	v_dual_add_f32 v10, v10, v48 :: v_dual_mul_f32 v71, v77, v81
	v_add_f32_e32 v12, v12, v24
	v_fmac_f32_e32 v66, v41, v80
	v_dual_add_f32 v13, v13, v85 :: v_dual_add_f32 v16, v16, v86
	v_fmac_f32_e32 v73, v41, v78
	v_dual_mul_f32 v41, v76, v81 :: v_dual_add_f32 v10, v10, v54
	v_dual_add_f32 v12, v12, v30 :: v_dual_add_f32 v9, v9, v23
	s_delay_alu instid0(VALU_DEP_4) | instskip(NEXT) | instid1(VALU_DEP_3)
	v_add_f32_e32 v16, v16, v88
	v_fmac_f32_e32 v41, v77, v80
	s_delay_alu instid0(VALU_DEP_3) | instskip(NEXT) | instid1(VALU_DEP_3)
	v_dual_add_f32 v7, v7, v18 :: v_dual_add_f32 v12, v12, v32
	v_dual_add_f32 v1, v1, v21 :: v_dual_add_f32 v16, v16, v55
	v_add_f32_e32 v15, v15, v84
	v_dual_add_f32 v13, v13, v20 :: v_dual_add_f32 v10, v10, v58
	s_delay_alu instid0(VALU_DEP_4) | instskip(NEXT) | instid1(VALU_DEP_4)
	v_add_f32_e32 v12, v12, v34
	v_dual_add_f32 v9, v9, v26 :: v_dual_add_f32 v16, v16, v87
	v_add_f32_e32 v7, v7, v28
	v_fma_f32 v72, v40, v78, -v72
	s_delay_alu instid0(VALU_DEP_4)
	v_dual_add_f32 v12, v12, v36 :: v_dual_add_f32 v1, v1, v25
	v_fma_f32 v40, v40, v80, -v90
	v_dual_add_f32 v15, v15, v45 :: v_dual_add_f32 v10, v10, v67
	v_dual_add_f32 v16, v16, v65 :: v_dual_add_f32 v9, v9, v31
	v_add_f32_e32 v7, v7, v42
	v_dual_add_f32 v12, v12, v38 :: v_dual_add_f32 v13, v13, v29
	s_delay_alu instid0(VALU_DEP_4) | instskip(SKIP_1) | instid1(VALU_DEP_4)
	v_dual_add_f32 v1, v1, v47 :: v_dual_add_f32 v10, v10, v70
	v_add_f32_e32 v15, v15, v49
	v_dual_add_f32 v7, v7, v50 :: v_dual_add_f32 v16, v16, v73
	v_add_f32_e32 v9, v9, v46
	s_delay_alu instid0(VALU_DEP_4) | instskip(SKIP_2) | instid1(VALU_DEP_4)
	v_dual_add_f32 v1, v1, v33 :: v_dual_add_f32 v12, v12, v40
	v_add_f32_e32 v13, v13, v44
	v_add_f32_e32 v15, v15, v51
	;; [unrolled: 1-line block ×6, first 2 shown]
	v_dual_mul_f32 v68, v77, v79 :: v_dual_add_f32 v15, v15, v61
	v_add_f32_e32 v9, v9, v57
	v_add_f32_e32 v7, v7, v60
	s_delay_alu instid0(VALU_DEP_4)
	v_add_f32_e32 v13, v13, v56
	v_add_f32_e32 v1, v1, v37
	v_fma_f32 v68, v76, v78, -v68
	v_fma_f32 v71, v76, v80, -v71
	v_add_f32_e32 v15, v15, v63
	v_add_f32_e32 v13, v13, v62
	;; [unrolled: 1-line block ×10, first 2 shown]
	s_cbranch_vccz .LBB1104_2
.LBB1104_3:
	s_load_b128 s[4:7], s[0:1], 0x50
	v_add_nc_u32_e32 v0, s9, v8
	s_clause 0x1
	s_load_b32 s9, s[0:1], 0x0
	s_load_b64 s[2:3], s[0:1], 0x60
	s_delay_alu instid0(VALU_DEP_1) | instskip(SKIP_1) | instid1(VALU_DEP_1)
	v_ashrrev_i32_e32 v2, 31, v0
	s_waitcnt lgkmcnt(0)
	v_mul_lo_u32 v5, v2, s6
	v_mul_lo_u32 v8, v0, s7
	v_mad_u64_u32 v[3:4], null, v0, s6, 0
	s_mul_i32 s1, s15, s3
	s_mul_hi_u32 s3, s15, s2
	s_mul_i32 s2, s15, s2
	s_add_i32 s3, s3, s1
	v_add_nc_u32_e32 v2, s8, v6
	s_lshl_b64 s[2:3], s[2:3], 3
	s_delay_alu instid0(VALU_DEP_2)
	v_add3_u32 v4, v4, v8, v5
	s_add_u32 s2, s4, s2
	s_addc_u32 s3, s5, s3
	v_cmp_le_i32_e64 s0, v0, v2
	v_cmp_gt_i32_e32 vcc_lo, s9, v2
	v_lshlrev_b64 v[3:4], 3, v[3:4]
	s_delay_alu instid0(VALU_DEP_3) | instskip(NEXT) | instid1(VALU_DEP_1)
	s_and_b32 s0, s0, vcc_lo
	v_add_co_u32 v6, s1, s2, v3
	s_delay_alu instid0(VALU_DEP_1)
	v_add_co_ci_u32_e64 v8, s1, s3, v4, s1
	s_and_saveexec_b32 s1, s0
	s_cbranch_execz .LBB1104_5
; %bb.4:
	v_ashrrev_i32_e32 v3, 31, v2
	v_mul_f32_e32 v4, s18, v16
	v_mul_f32_e32 v5, s19, v16
	s_delay_alu instid0(VALU_DEP_3) | instskip(NEXT) | instid1(VALU_DEP_3)
	v_lshlrev_b64 v[16:17], 3, v[2:3]
	v_fmac_f32_e32 v4, s19, v15
	s_delay_alu instid0(VALU_DEP_3) | instskip(NEXT) | instid1(VALU_DEP_3)
	v_fma_f32 v3, v15, s18, -v5
	v_add_co_u32 v14, s0, v6, v16
	s_delay_alu instid0(VALU_DEP_1)
	v_add_co_ci_u32_e64 v15, s0, v8, v17, s0
	global_store_b64 v[14:15], v[3:4], off
.LBB1104_5:
	s_or_b32 exec_lo, exec_lo, s1
	v_add_nc_u32_e32 v4, 16, v2
	s_delay_alu instid0(VALU_DEP_1) | instskip(SKIP_1) | instid1(VALU_DEP_1)
	v_cmp_le_i32_e64 s1, v0, v4
	v_cmp_gt_i32_e64 s0, s9, v4
	s_and_b32 s1, s1, s0
	s_delay_alu instid0(SALU_CYCLE_1)
	s_and_saveexec_b32 s4, s1
	s_cbranch_execz .LBB1104_7
; %bb.6:
	v_ashrrev_i32_e32 v5, 31, v4
	v_mul_f32_e32 v14, s18, v13
	v_mul_f32_e32 v3, s19, v13
	s_delay_alu instid0(VALU_DEP_3) | instskip(NEXT) | instid1(VALU_DEP_3)
	v_lshlrev_b64 v[15:16], 3, v[4:5]
	v_fmac_f32_e32 v14, s19, v12
	s_delay_alu instid0(VALU_DEP_3) | instskip(NEXT) | instid1(VALU_DEP_3)
	v_fma_f32 v13, v12, s18, -v3
	v_add_co_u32 v5, s1, v6, v15
	s_delay_alu instid0(VALU_DEP_1)
	v_add_co_ci_u32_e64 v6, s1, v8, v16, s1
	global_store_b64 v[5:6], v[13:14], off
.LBB1104_7:
	s_or_b32 exec_lo, exec_lo, s4
	v_add_nc_u32_e32 v5, 16, v0
	s_delay_alu instid0(VALU_DEP_1) | instskip(SKIP_3) | instid1(VALU_DEP_4)
	v_ashrrev_i32_e32 v0, 31, v5
	v_mul_lo_u32 v3, v5, s7
	v_mad_u64_u32 v[11:12], null, v5, s6, 0
	v_cmp_le_i32_e64 s1, v5, v2
	v_mul_lo_u32 v0, v0, s6
	s_delay_alu instid0(VALU_DEP_1) | instskip(NEXT) | instid1(VALU_DEP_1)
	v_add3_u32 v12, v12, v3, v0
	v_lshlrev_b64 v[11:12], 3, v[11:12]
	s_delay_alu instid0(VALU_DEP_1) | instskip(NEXT) | instid1(VALU_DEP_1)
	v_add_co_u32 v0, s2, s2, v11
	v_add_co_ci_u32_e64 v6, s2, s3, v12, s2
	s_and_b32 s2, s1, vcc_lo
	s_delay_alu instid0(SALU_CYCLE_1)
	s_and_saveexec_b32 s1, s2
	s_cbranch_execz .LBB1104_9
; %bb.8:
	v_ashrrev_i32_e32 v3, 31, v2
	v_mul_f32_e32 v11, s18, v10
	v_mul_f32_e32 v8, s19, v10
	s_delay_alu instid0(VALU_DEP_3) | instskip(NEXT) | instid1(VALU_DEP_3)
	v_lshlrev_b64 v[2:3], 3, v[2:3]
	v_fmac_f32_e32 v11, s19, v9
	s_delay_alu instid0(VALU_DEP_3) | instskip(NEXT) | instid1(VALU_DEP_3)
	v_fma_f32 v10, v9, s18, -v8
	v_add_co_u32 v2, vcc_lo, v0, v2
	s_delay_alu instid0(VALU_DEP_4)
	v_add_co_ci_u32_e32 v3, vcc_lo, v6, v3, vcc_lo
	global_store_b64 v[2:3], v[10:11], off
.LBB1104_9:
	s_or_b32 exec_lo, exec_lo, s1
	v_cmp_le_i32_e32 vcc_lo, v5, v4
	s_and_b32 s0, vcc_lo, s0
	s_delay_alu instid0(SALU_CYCLE_1)
	s_and_saveexec_b32 s1, s0
	s_cbranch_execz .LBB1104_11
; %bb.10:
	v_ashrrev_i32_e32 v5, 31, v4
	v_mul_f32_e32 v8, s19, v1
	v_mul_f32_e32 v2, s18, v1
	s_delay_alu instid0(VALU_DEP_3) | instskip(NEXT) | instid1(VALU_DEP_3)
	v_lshlrev_b64 v[3:4], 3, v[4:5]
	v_fma_f32 v1, v7, s18, -v8
	s_delay_alu instid0(VALU_DEP_3) | instskip(NEXT) | instid1(VALU_DEP_3)
	v_fmac_f32_e32 v2, s19, v7
	v_add_co_u32 v3, vcc_lo, v0, v3
	s_delay_alu instid0(VALU_DEP_4)
	v_add_co_ci_u32_e32 v4, vcc_lo, v6, v4, vcc_lo
	global_store_b64 v[3:4], v[1:2], off
.LBB1104_11:
	s_nop 0
	s_sendmsg sendmsg(MSG_DEALLOC_VGPRS)
	s_endpgm
	.section	.rodata,"a",@progbits
	.p2align	6, 0x0
	.amdhsa_kernel _ZL37rocblas_syrkx_herkx_restricted_kernelIl19rocblas_complex_numIfELi16ELi32ELi8ELb1ELb0ELc84ELc76EKS1_S1_EviT_T0_PT8_S3_lS6_S3_lS4_PT9_S3_li
		.amdhsa_group_segment_fixed_size 4096
		.amdhsa_private_segment_fixed_size 0
		.amdhsa_kernarg_size 108
		.amdhsa_user_sgpr_count 13
		.amdhsa_user_sgpr_dispatch_ptr 0
		.amdhsa_user_sgpr_queue_ptr 0
		.amdhsa_user_sgpr_kernarg_segment_ptr 1
		.amdhsa_user_sgpr_dispatch_id 0
		.amdhsa_user_sgpr_private_segment_size 0
		.amdhsa_wavefront_size32 1
		.amdhsa_uses_dynamic_stack 0
		.amdhsa_enable_private_segment 0
		.amdhsa_system_sgpr_workgroup_id_x 1
		.amdhsa_system_sgpr_workgroup_id_y 1
		.amdhsa_system_sgpr_workgroup_id_z 1
		.amdhsa_system_sgpr_workgroup_info 0
		.amdhsa_system_vgpr_workitem_id 1
		.amdhsa_next_free_vgpr 91
		.amdhsa_next_free_sgpr 32
		.amdhsa_reserve_vcc 1
		.amdhsa_float_round_mode_32 0
		.amdhsa_float_round_mode_16_64 0
		.amdhsa_float_denorm_mode_32 3
		.amdhsa_float_denorm_mode_16_64 3
		.amdhsa_dx10_clamp 1
		.amdhsa_ieee_mode 1
		.amdhsa_fp16_overflow 0
		.amdhsa_workgroup_processor_mode 1
		.amdhsa_memory_ordered 1
		.amdhsa_forward_progress 0
		.amdhsa_shared_vgpr_count 0
		.amdhsa_exception_fp_ieee_invalid_op 0
		.amdhsa_exception_fp_denorm_src 0
		.amdhsa_exception_fp_ieee_div_zero 0
		.amdhsa_exception_fp_ieee_overflow 0
		.amdhsa_exception_fp_ieee_underflow 0
		.amdhsa_exception_fp_ieee_inexact 0
		.amdhsa_exception_int_div_zero 0
	.end_amdhsa_kernel
	.section	.text._ZL37rocblas_syrkx_herkx_restricted_kernelIl19rocblas_complex_numIfELi16ELi32ELi8ELb1ELb0ELc84ELc76EKS1_S1_EviT_T0_PT8_S3_lS6_S3_lS4_PT9_S3_li,"axG",@progbits,_ZL37rocblas_syrkx_herkx_restricted_kernelIl19rocblas_complex_numIfELi16ELi32ELi8ELb1ELb0ELc84ELc76EKS1_S1_EviT_T0_PT8_S3_lS6_S3_lS4_PT9_S3_li,comdat
.Lfunc_end1104:
	.size	_ZL37rocblas_syrkx_herkx_restricted_kernelIl19rocblas_complex_numIfELi16ELi32ELi8ELb1ELb0ELc84ELc76EKS1_S1_EviT_T0_PT8_S3_lS6_S3_lS4_PT9_S3_li, .Lfunc_end1104-_ZL37rocblas_syrkx_herkx_restricted_kernelIl19rocblas_complex_numIfELi16ELi32ELi8ELb1ELb0ELc84ELc76EKS1_S1_EviT_T0_PT8_S3_lS6_S3_lS4_PT9_S3_li
                                        ; -- End function
	.section	.AMDGPU.csdata,"",@progbits
; Kernel info:
; codeLenInByte = 2208
; NumSgprs: 34
; NumVgprs: 91
; ScratchSize: 0
; MemoryBound: 0
; FloatMode: 240
; IeeeMode: 1
; LDSByteSize: 4096 bytes/workgroup (compile time only)
; SGPRBlocks: 4
; VGPRBlocks: 11
; NumSGPRsForWavesPerEU: 34
; NumVGPRsForWavesPerEU: 91
; Occupancy: 16
; WaveLimiterHint : 1
; COMPUTE_PGM_RSRC2:SCRATCH_EN: 0
; COMPUTE_PGM_RSRC2:USER_SGPR: 13
; COMPUTE_PGM_RSRC2:TRAP_HANDLER: 0
; COMPUTE_PGM_RSRC2:TGID_X_EN: 1
; COMPUTE_PGM_RSRC2:TGID_Y_EN: 1
; COMPUTE_PGM_RSRC2:TGID_Z_EN: 1
; COMPUTE_PGM_RSRC2:TIDIG_COMP_CNT: 1
	.section	.text._ZL37rocblas_syrkx_herkx_restricted_kernelIl19rocblas_complex_numIfELi16ELi32ELi8ELb1ELb0ELc67ELc76EKS1_S1_EviT_T0_PT8_S3_lS6_S3_lS4_PT9_S3_li,"axG",@progbits,_ZL37rocblas_syrkx_herkx_restricted_kernelIl19rocblas_complex_numIfELi16ELi32ELi8ELb1ELb0ELc67ELc76EKS1_S1_EviT_T0_PT8_S3_lS6_S3_lS4_PT9_S3_li,comdat
	.globl	_ZL37rocblas_syrkx_herkx_restricted_kernelIl19rocblas_complex_numIfELi16ELi32ELi8ELb1ELb0ELc67ELc76EKS1_S1_EviT_T0_PT8_S3_lS6_S3_lS4_PT9_S3_li ; -- Begin function _ZL37rocblas_syrkx_herkx_restricted_kernelIl19rocblas_complex_numIfELi16ELi32ELi8ELb1ELb0ELc67ELc76EKS1_S1_EviT_T0_PT8_S3_lS6_S3_lS4_PT9_S3_li
	.p2align	8
	.type	_ZL37rocblas_syrkx_herkx_restricted_kernelIl19rocblas_complex_numIfELi16ELi32ELi8ELb1ELb0ELc67ELc76EKS1_S1_EviT_T0_PT8_S3_lS6_S3_lS4_PT9_S3_li,@function
_ZL37rocblas_syrkx_herkx_restricted_kernelIl19rocblas_complex_numIfELi16ELi32ELi8ELb1ELb0ELc67ELc76EKS1_S1_EviT_T0_PT8_S3_lS6_S3_lS4_PT9_S3_li: ; @_ZL37rocblas_syrkx_herkx_restricted_kernelIl19rocblas_complex_numIfELi16ELi32ELi8ELb1ELb0ELc67ELc76EKS1_S1_EviT_T0_PT8_S3_lS6_S3_lS4_PT9_S3_li
; %bb.0:
	s_load_b512 s[16:31], s[0:1], 0x8
	v_dual_mov_b32 v15, 0 :: v_dual_mov_b32 v16, 0
	v_dual_mov_b32 v12, 0 :: v_dual_mov_b32 v13, 0
	;; [unrolled: 1-line block ×3, first 2 shown]
	v_dual_mov_b32 v7, 0 :: v_dual_and_b32 v6, 0x3ff, v0
	v_bfe_u32 v8, v0, 10, 10
	v_mov_b32_e32 v1, 0
	s_lshl_b32 s8, s13, 5
	s_lshl_b32 s9, s14, 5
	s_waitcnt lgkmcnt(0)
	v_cmp_lt_i64_e64 s2, s[16:17], 1
	s_delay_alu instid0(VALU_DEP_1)
	s_and_b32 vcc_lo, exec_lo, s2
	s_cbranch_vccnz .LBB1105_3
; %bb.1:
	v_lshl_add_u32 v2, v8, 4, v6
	v_dual_mov_b32 v1, 0 :: v_dual_and_b32 v0, 7, v6
	s_mul_i32 s3, s25, s15
	s_mul_hi_u32 s4, s24, s15
	s_delay_alu instid0(VALU_DEP_2) | instskip(SKIP_3) | instid1(VALU_DEP_4)
	v_and_b32_e32 v7, 31, v2
	v_lshrrev_b32_e32 v12, 3, v2
	v_lshrrev_b32_e32 v2, 5, v2
	v_dual_mov_b32 v3, v1 :: v_dual_lshlrev_b32 v14, 3, v0
	v_add_nc_u32_e32 v9, s8, v7
	s_delay_alu instid0(VALU_DEP_4)
	v_add_nc_u32_e32 v13, s9, v12
	s_mul_i32 s2, s24, s15
	s_add_i32 s3, s4, s3
	s_mul_hi_u32 s5, s30, s15
	v_ashrrev_i32_e32 v10, 31, v9
	v_ashrrev_i32_e32 v15, 31, v13
	v_mad_u64_u32 v[4:5], null, s22, v9, v[2:3]
	v_mul_lo_u32 v3, s23, v9
	s_delay_alu instid0(VALU_DEP_4)
	v_mul_lo_u32 v16, s22, v10
	v_mul_lo_u32 v17, v13, s29
	v_mad_u64_u32 v[9:10], null, v13, s28, v[0:1]
	v_mul_lo_u32 v13, v15, s28
	v_lshlrev_b32_e32 v0, 3, v7
	v_lshl_or_b32 v7, v12, 6, v14
	s_lshl_b64 s[2:3], s[2:3], 3
	v_add3_u32 v5, v3, v5, v16
	s_add_u32 s4, s20, s2
	s_mul_i32 s2, s31, s15
	v_add_nc_u32_e32 v14, 0x800, v7
	v_add3_u32 v10, v13, v10, v17
	v_mov_b32_e32 v7, v1
	v_lshl_or_b32 v0, v2, 8, v0
	v_lshlrev_b64 v[2:3], 3, v[4:5]
	s_addc_u32 s6, s21, s3
	s_add_i32 s3, s5, s2
	s_mul_i32 s2, s30, s15
	v_lshlrev_b64 v[4:5], 3, v[9:10]
	v_mov_b32_e32 v9, v1
	s_lshl_b64 s[2:3], s[2:3], 3
	v_add_co_u32 v2, vcc_lo, s4, v2
	s_add_u32 s2, s26, s2
	v_add_co_ci_u32_e32 v3, vcc_lo, s6, v3, vcc_lo
	s_addc_u32 s3, s27, s3
	v_add_co_u32 v4, vcc_lo, s2, v4
	v_add_co_ci_u32_e32 v5, vcc_lo, s3, v5, vcc_lo
	v_add_co_u32 v2, vcc_lo, v2, 4
	v_add_co_ci_u32_e32 v3, vcc_lo, 0, v3, vcc_lo
	s_delay_alu instid0(VALU_DEP_4)
	v_add_co_u32 v4, vcc_lo, v4, 4
	v_dual_mov_b32 v10, v1 :: v_dual_lshlrev_b32 v11, 3, v6
	v_lshl_add_u32 v17, v8, 6, 0x800
	v_add_co_ci_u32_e32 v5, vcc_lo, 0, v5, vcc_lo
	v_mov_b32_e32 v13, v1
	v_mov_b32_e32 v12, v1
	v_mov_b32_e32 v16, v1
	v_mov_b32_e32 v15, v1
	s_mov_b64 s[2:3], 0
.LBB1105_2:                             ; =>This Inner Loop Header: Depth=1
	global_load_b64 v[18:19], v[2:3], off offset:-4
	global_load_b64 v[20:21], v[4:5], off offset:-4
	s_add_u32 s2, s2, 8
	v_add_co_u32 v2, vcc_lo, v2, 64
	s_addc_u32 s3, s3, 0
	v_add_co_ci_u32_e32 v3, vcc_lo, 0, v3, vcc_lo
	v_cmp_ge_u64_e64 s4, s[2:3], s[16:17]
	v_add_co_u32 v4, vcc_lo, v4, 64
	v_add_co_ci_u32_e32 v5, vcc_lo, 0, v5, vcc_lo
	s_waitcnt vmcnt(1)
	ds_store_b64 v0, v[18:19]
	s_waitcnt vmcnt(0)
	ds_store_b64 v14, v[20:21]
	s_waitcnt lgkmcnt(0)
	s_barrier
	buffer_gl0_inv
	ds_load_2addr_b64 v[18:21], v11 offset1:16
	ds_load_b128 v[22:25], v17
	ds_load_b128 v[26:29], v17 offset:1024
	ds_load_b128 v[30:33], v17 offset:16
	;; [unrolled: 1-line block ×4, first 2 shown]
	ds_load_2addr_b64 v[42:45], v11 offset0:32 offset1:48
	ds_load_2addr_b64 v[46:49], v11 offset0:64 offset1:80
	ds_load_b128 v[50:53], v17 offset:1040
	ds_load_2addr_b64 v[54:57], v11 offset0:96 offset1:112
	ds_load_2addr_b64 v[58:61], v11 offset0:128 offset1:144
	;; [unrolled: 1-line block ×4, first 2 shown]
	ds_load_b128 v[70:73], v17 offset:1056
	ds_load_b128 v[74:77], v17 offset:1072
	ds_load_2addr_b64 v[78:81], v11 offset0:224 offset1:240
	s_and_b32 vcc_lo, exec_lo, s4
	s_waitcnt lgkmcnt(0)
	s_barrier
	buffer_gl0_inv
	v_dual_mul_f32 v82, v23, v19 :: v_dual_mul_f32 v85, v22, v21
	v_dual_mul_f32 v83, v22, v19 :: v_dual_mul_f32 v84, v23, v21
	v_mul_f32_e32 v86, v27, v19
	v_dual_mul_f32 v19, v26, v19 :: v_dual_mul_f32 v90, v25, v45
	v_dual_mul_f32 v87, v27, v21 :: v_dual_mul_f32 v88, v25, v43
	v_mul_f32_e32 v21, v26, v21
	v_fma_f32 v82, v22, v18, -v82
	v_fmac_f32_e32 v83, v23, v18
	v_fma_f32 v22, v22, v20, -v84
	v_fmac_f32_e32 v85, v23, v20
	v_fma_f32 v23, v26, v18, -v86
	v_dual_fmac_f32 v19, v27, v18 :: v_dual_mul_f32 v86, v30, v47
	v_fma_f32 v18, v26, v20, -v87
	v_dual_fmac_f32 v21, v27, v20 :: v_dual_mul_f32 v20, v24, v45
	v_mul_f32_e32 v89, v24, v43
	v_mul_f32_e32 v26, v29, v43
	;; [unrolled: 1-line block ×4, first 2 shown]
	v_fmac_f32_e32 v20, v25, v44
	v_fmac_f32_e32 v89, v25, v42
	v_dual_mul_f32 v25, v28, v45 :: v_dual_fmac_f32 v86, v31, v46
	v_fma_f32 v84, v24, v42, -v88
	v_fma_f32 v24, v24, v44, -v90
	v_dual_mul_f32 v45, v31, v47 :: v_dual_mul_f32 v90, v33, v57
	v_fma_f32 v26, v28, v42, -v26
	v_fma_f32 v28, v28, v44, -v43
	v_fmac_f32_e32 v25, v29, v44
	v_dual_mul_f32 v43, v50, v47 :: v_dual_mul_f32 v44, v51, v49
	v_dual_fmac_f32 v27, v29, v42 :: v_dual_mul_f32 v42, v51, v47
	v_dual_mul_f32 v88, v32, v55 :: v_dual_mul_f32 v29, v30, v49
	v_mul_f32_e32 v87, v31, v49
	v_fma_f32 v45, v30, v46, -v45
	v_add_f32_e32 v10, v10, v19
	s_delay_alu instid0(VALU_DEP_4)
	v_dual_fmac_f32 v88, v33, v54 :: v_dual_fmac_f32 v29, v31, v48
	v_fma_f32 v31, v50, v46, -v42
	v_fma_f32 v42, v50, v48, -v44
	v_mul_f32_e32 v44, v32, v57
	v_mul_f32_e32 v47, v50, v49
	v_dual_mul_f32 v50, v53, v57 :: v_dual_fmac_f32 v43, v51, v46
	v_mul_f32_e32 v46, v53, v55
	v_mul_f32_e32 v49, v33, v55
	v_fma_f32 v30, v30, v48, -v87
	v_fmac_f32_e32 v44, v33, v56
	v_dual_fmac_f32 v47, v51, v48 :: v_dual_mul_f32 v48, v52, v55
	v_mul_f32_e32 v33, v52, v57
	v_fma_f32 v46, v52, v54, -v46
	v_fma_f32 v50, v52, v56, -v50
	v_mul_f32_e32 v52, v34, v61
	v_fma_f32 v49, v32, v54, -v49
	v_fma_f32 v32, v32, v56, -v90
	v_dual_mul_f32 v51, v35, v59 :: v_dual_fmac_f32 v48, v53, v54
	v_mul_f32_e32 v54, v70, v59
	v_dual_mul_f32 v55, v34, v59 :: v_dual_fmac_f32 v52, v35, v60
	v_fmac_f32_e32 v33, v53, v56
	v_mul_f32_e32 v53, v71, v59
	v_mul_f32_e32 v56, v71, v61
	;; [unrolled: 1-line block ×3, first 2 shown]
	v_fmac_f32_e32 v54, v71, v58
	v_fmac_f32_e32 v55, v35, v58
	v_fma_f32 v35, v70, v58, -v53
	v_fma_f32 v53, v70, v60, -v56
	v_mul_f32_e32 v56, v36, v65
	v_mul_f32_e32 v59, v70, v61
	v_fma_f32 v51, v34, v58, -v51
	v_mul_f32_e32 v58, v72, v63
	v_mul_f32_e32 v87, v36, v63
	;; [unrolled: 1-line block ×4, first 2 shown]
	v_fma_f32 v34, v34, v60, -v57
	v_mul_f32_e32 v57, v73, v63
	v_fmac_f32_e32 v56, v37, v64
	v_dual_fmac_f32 v59, v71, v60 :: v_dual_mul_f32 v60, v73, v65
	v_fmac_f32_e32 v58, v73, v62
	v_fmac_f32_e32 v87, v37, v62
	v_mul_f32_e32 v37, v72, v65
	v_mul_f32_e32 v65, v38, v67
	v_fma_f32 v61, v36, v62, -v61
	v_mul_f32_e32 v63, v39, v67
	v_mul_f32_e32 v70, v39, v69
	v_fma_f32 v57, v72, v62, -v57
	v_mul_f32_e32 v62, v38, v69
	v_dual_mul_f32 v71, v75, v69 :: v_dual_add_f32 v16, v16, v83
	v_dual_mul_f32 v69, v74, v69 :: v_dual_add_f32 v12, v12, v22
	v_fmac_f32_e32 v65, v39, v66
	v_fma_f32 v36, v36, v64, -v90
	v_fma_f32 v60, v72, v64, -v60
	v_dual_fmac_f32 v37, v73, v64 :: v_dual_mul_f32 v64, v75, v67
	v_fma_f32 v63, v38, v66, -v63
	v_fma_f32 v38, v38, v68, -v70
	v_mul_f32_e32 v70, v76, v79
	v_mul_f32_e32 v67, v74, v67
	v_dual_fmac_f32 v69, v75, v68 :: v_dual_add_f32 v10, v10, v27
	v_fmac_f32_e32 v62, v39, v68
	v_fma_f32 v39, v74, v66, -v64
	v_fmac_f32_e32 v70, v77, v78
	v_dual_fmac_f32 v67, v75, v66 :: v_dual_add_f32 v16, v16, v89
	v_dual_mul_f32 v66, v40, v81 :: v_dual_add_f32 v15, v15, v82
	v_add_f32_e32 v10, v10, v43
	v_mul_f32_e32 v73, v40, v79
	v_mul_f32_e32 v72, v41, v79
	;; [unrolled: 1-line block ×3, first 2 shown]
	v_fma_f32 v64, v74, v68, -v71
	v_dual_add_f32 v10, v10, v48 :: v_dual_mul_f32 v71, v77, v81
	v_add_f32_e32 v12, v12, v24
	v_fmac_f32_e32 v66, v41, v80
	v_dual_add_f32 v13, v13, v85 :: v_dual_add_f32 v16, v16, v86
	v_fmac_f32_e32 v73, v41, v78
	v_dual_mul_f32 v41, v76, v81 :: v_dual_add_f32 v10, v10, v54
	v_dual_add_f32 v12, v12, v30 :: v_dual_add_f32 v9, v9, v23
	s_delay_alu instid0(VALU_DEP_4) | instskip(NEXT) | instid1(VALU_DEP_3)
	v_add_f32_e32 v16, v16, v88
	v_fmac_f32_e32 v41, v77, v80
	s_delay_alu instid0(VALU_DEP_3) | instskip(NEXT) | instid1(VALU_DEP_3)
	v_dual_add_f32 v7, v7, v18 :: v_dual_add_f32 v12, v12, v32
	v_dual_add_f32 v1, v1, v21 :: v_dual_add_f32 v16, v16, v55
	v_add_f32_e32 v15, v15, v84
	v_dual_add_f32 v13, v13, v20 :: v_dual_add_f32 v10, v10, v58
	s_delay_alu instid0(VALU_DEP_4) | instskip(NEXT) | instid1(VALU_DEP_4)
	v_add_f32_e32 v12, v12, v34
	v_dual_add_f32 v9, v9, v26 :: v_dual_add_f32 v16, v16, v87
	v_add_f32_e32 v7, v7, v28
	v_fma_f32 v72, v40, v78, -v72
	s_delay_alu instid0(VALU_DEP_4)
	v_dual_add_f32 v12, v12, v36 :: v_dual_add_f32 v1, v1, v25
	v_fma_f32 v40, v40, v80, -v90
	v_dual_add_f32 v15, v15, v45 :: v_dual_add_f32 v10, v10, v67
	v_dual_add_f32 v16, v16, v65 :: v_dual_add_f32 v9, v9, v31
	v_add_f32_e32 v7, v7, v42
	v_dual_add_f32 v12, v12, v38 :: v_dual_add_f32 v13, v13, v29
	s_delay_alu instid0(VALU_DEP_4) | instskip(SKIP_1) | instid1(VALU_DEP_4)
	v_dual_add_f32 v1, v1, v47 :: v_dual_add_f32 v10, v10, v70
	v_add_f32_e32 v15, v15, v49
	v_dual_add_f32 v7, v7, v50 :: v_dual_add_f32 v16, v16, v73
	v_add_f32_e32 v9, v9, v46
	s_delay_alu instid0(VALU_DEP_4) | instskip(SKIP_2) | instid1(VALU_DEP_4)
	v_dual_add_f32 v1, v1, v33 :: v_dual_add_f32 v12, v12, v40
	v_add_f32_e32 v13, v13, v44
	v_add_f32_e32 v15, v15, v51
	;; [unrolled: 1-line block ×6, first 2 shown]
	v_dual_mul_f32 v68, v77, v79 :: v_dual_add_f32 v15, v15, v61
	v_add_f32_e32 v9, v9, v57
	v_add_f32_e32 v7, v7, v60
	s_delay_alu instid0(VALU_DEP_4)
	v_add_f32_e32 v13, v13, v56
	v_add_f32_e32 v1, v1, v37
	v_fma_f32 v68, v76, v78, -v68
	v_fma_f32 v71, v76, v80, -v71
	v_add_f32_e32 v15, v15, v63
	v_add_f32_e32 v13, v13, v62
	;; [unrolled: 1-line block ×10, first 2 shown]
	s_cbranch_vccz .LBB1105_2
.LBB1105_3:
	s_load_b128 s[4:7], s[0:1], 0x50
	v_add_nc_u32_e32 v0, s9, v8
	s_clause 0x1
	s_load_b32 s9, s[0:1], 0x0
	s_load_b64 s[2:3], s[0:1], 0x60
	s_delay_alu instid0(VALU_DEP_1) | instskip(SKIP_1) | instid1(VALU_DEP_1)
	v_ashrrev_i32_e32 v2, 31, v0
	s_waitcnt lgkmcnt(0)
	v_mul_lo_u32 v5, v2, s6
	v_mul_lo_u32 v8, v0, s7
	v_mad_u64_u32 v[3:4], null, v0, s6, 0
	s_mul_i32 s1, s15, s3
	s_mul_hi_u32 s3, s15, s2
	s_mul_i32 s2, s15, s2
	s_add_i32 s3, s3, s1
	v_add_nc_u32_e32 v2, s8, v6
	s_lshl_b64 s[2:3], s[2:3], 3
	s_delay_alu instid0(VALU_DEP_2)
	v_add3_u32 v4, v4, v8, v5
	s_add_u32 s2, s4, s2
	s_addc_u32 s3, s5, s3
	v_cmp_le_i32_e64 s0, v0, v2
	v_cmp_gt_i32_e32 vcc_lo, s9, v2
	v_lshlrev_b64 v[3:4], 3, v[3:4]
	s_delay_alu instid0(VALU_DEP_3) | instskip(NEXT) | instid1(VALU_DEP_1)
	s_and_b32 s0, s0, vcc_lo
	v_add_co_u32 v6, s1, s2, v3
	s_delay_alu instid0(VALU_DEP_1)
	v_add_co_ci_u32_e64 v8, s1, s3, v4, s1
	s_and_saveexec_b32 s1, s0
	s_cbranch_execz .LBB1105_5
; %bb.4:
	v_ashrrev_i32_e32 v3, 31, v2
	v_mul_f32_e32 v4, s18, v16
	v_mul_f32_e32 v5, s19, v16
	s_delay_alu instid0(VALU_DEP_3) | instskip(NEXT) | instid1(VALU_DEP_3)
	v_lshlrev_b64 v[16:17], 3, v[2:3]
	v_fmac_f32_e32 v4, s19, v15
	s_delay_alu instid0(VALU_DEP_3) | instskip(NEXT) | instid1(VALU_DEP_3)
	v_fma_f32 v3, v15, s18, -v5
	v_add_co_u32 v14, s0, v6, v16
	s_delay_alu instid0(VALU_DEP_1)
	v_add_co_ci_u32_e64 v15, s0, v8, v17, s0
	global_store_b64 v[14:15], v[3:4], off
.LBB1105_5:
	s_or_b32 exec_lo, exec_lo, s1
	v_add_nc_u32_e32 v4, 16, v2
	s_delay_alu instid0(VALU_DEP_1) | instskip(SKIP_1) | instid1(VALU_DEP_1)
	v_cmp_le_i32_e64 s1, v0, v4
	v_cmp_gt_i32_e64 s0, s9, v4
	s_and_b32 s1, s1, s0
	s_delay_alu instid0(SALU_CYCLE_1)
	s_and_saveexec_b32 s4, s1
	s_cbranch_execz .LBB1105_7
; %bb.6:
	v_ashrrev_i32_e32 v5, 31, v4
	v_mul_f32_e32 v14, s18, v13
	v_mul_f32_e32 v3, s19, v13
	s_delay_alu instid0(VALU_DEP_3) | instskip(NEXT) | instid1(VALU_DEP_3)
	v_lshlrev_b64 v[15:16], 3, v[4:5]
	v_fmac_f32_e32 v14, s19, v12
	s_delay_alu instid0(VALU_DEP_3) | instskip(NEXT) | instid1(VALU_DEP_3)
	v_fma_f32 v13, v12, s18, -v3
	v_add_co_u32 v5, s1, v6, v15
	s_delay_alu instid0(VALU_DEP_1)
	v_add_co_ci_u32_e64 v6, s1, v8, v16, s1
	global_store_b64 v[5:6], v[13:14], off
.LBB1105_7:
	s_or_b32 exec_lo, exec_lo, s4
	v_add_nc_u32_e32 v5, 16, v0
	s_delay_alu instid0(VALU_DEP_1) | instskip(SKIP_3) | instid1(VALU_DEP_4)
	v_ashrrev_i32_e32 v0, 31, v5
	v_mul_lo_u32 v3, v5, s7
	v_mad_u64_u32 v[11:12], null, v5, s6, 0
	v_cmp_le_i32_e64 s1, v5, v2
	v_mul_lo_u32 v0, v0, s6
	s_delay_alu instid0(VALU_DEP_1) | instskip(NEXT) | instid1(VALU_DEP_1)
	v_add3_u32 v12, v12, v3, v0
	v_lshlrev_b64 v[11:12], 3, v[11:12]
	s_delay_alu instid0(VALU_DEP_1) | instskip(NEXT) | instid1(VALU_DEP_1)
	v_add_co_u32 v0, s2, s2, v11
	v_add_co_ci_u32_e64 v6, s2, s3, v12, s2
	s_and_b32 s2, s1, vcc_lo
	s_delay_alu instid0(SALU_CYCLE_1)
	s_and_saveexec_b32 s1, s2
	s_cbranch_execz .LBB1105_9
; %bb.8:
	v_ashrrev_i32_e32 v3, 31, v2
	v_mul_f32_e32 v11, s18, v10
	v_mul_f32_e32 v8, s19, v10
	s_delay_alu instid0(VALU_DEP_3) | instskip(NEXT) | instid1(VALU_DEP_3)
	v_lshlrev_b64 v[2:3], 3, v[2:3]
	v_fmac_f32_e32 v11, s19, v9
	s_delay_alu instid0(VALU_DEP_3) | instskip(NEXT) | instid1(VALU_DEP_3)
	v_fma_f32 v10, v9, s18, -v8
	v_add_co_u32 v2, vcc_lo, v0, v2
	s_delay_alu instid0(VALU_DEP_4)
	v_add_co_ci_u32_e32 v3, vcc_lo, v6, v3, vcc_lo
	global_store_b64 v[2:3], v[10:11], off
.LBB1105_9:
	s_or_b32 exec_lo, exec_lo, s1
	v_cmp_le_i32_e32 vcc_lo, v5, v4
	s_and_b32 s0, vcc_lo, s0
	s_delay_alu instid0(SALU_CYCLE_1)
	s_and_saveexec_b32 s1, s0
	s_cbranch_execz .LBB1105_11
; %bb.10:
	v_ashrrev_i32_e32 v5, 31, v4
	v_mul_f32_e32 v8, s19, v1
	v_mul_f32_e32 v2, s18, v1
	s_delay_alu instid0(VALU_DEP_3) | instskip(NEXT) | instid1(VALU_DEP_3)
	v_lshlrev_b64 v[3:4], 3, v[4:5]
	v_fma_f32 v1, v7, s18, -v8
	s_delay_alu instid0(VALU_DEP_3) | instskip(NEXT) | instid1(VALU_DEP_3)
	v_fmac_f32_e32 v2, s19, v7
	v_add_co_u32 v3, vcc_lo, v0, v3
	s_delay_alu instid0(VALU_DEP_4)
	v_add_co_ci_u32_e32 v4, vcc_lo, v6, v4, vcc_lo
	global_store_b64 v[3:4], v[1:2], off
.LBB1105_11:
	s_nop 0
	s_sendmsg sendmsg(MSG_DEALLOC_VGPRS)
	s_endpgm
	.section	.rodata,"a",@progbits
	.p2align	6, 0x0
	.amdhsa_kernel _ZL37rocblas_syrkx_herkx_restricted_kernelIl19rocblas_complex_numIfELi16ELi32ELi8ELb1ELb0ELc67ELc76EKS1_S1_EviT_T0_PT8_S3_lS6_S3_lS4_PT9_S3_li
		.amdhsa_group_segment_fixed_size 4096
		.amdhsa_private_segment_fixed_size 0
		.amdhsa_kernarg_size 108
		.amdhsa_user_sgpr_count 13
		.amdhsa_user_sgpr_dispatch_ptr 0
		.amdhsa_user_sgpr_queue_ptr 0
		.amdhsa_user_sgpr_kernarg_segment_ptr 1
		.amdhsa_user_sgpr_dispatch_id 0
		.amdhsa_user_sgpr_private_segment_size 0
		.amdhsa_wavefront_size32 1
		.amdhsa_uses_dynamic_stack 0
		.amdhsa_enable_private_segment 0
		.amdhsa_system_sgpr_workgroup_id_x 1
		.amdhsa_system_sgpr_workgroup_id_y 1
		.amdhsa_system_sgpr_workgroup_id_z 1
		.amdhsa_system_sgpr_workgroup_info 0
		.amdhsa_system_vgpr_workitem_id 1
		.amdhsa_next_free_vgpr 91
		.amdhsa_next_free_sgpr 32
		.amdhsa_reserve_vcc 1
		.amdhsa_float_round_mode_32 0
		.amdhsa_float_round_mode_16_64 0
		.amdhsa_float_denorm_mode_32 3
		.amdhsa_float_denorm_mode_16_64 3
		.amdhsa_dx10_clamp 1
		.amdhsa_ieee_mode 1
		.amdhsa_fp16_overflow 0
		.amdhsa_workgroup_processor_mode 1
		.amdhsa_memory_ordered 1
		.amdhsa_forward_progress 0
		.amdhsa_shared_vgpr_count 0
		.amdhsa_exception_fp_ieee_invalid_op 0
		.amdhsa_exception_fp_denorm_src 0
		.amdhsa_exception_fp_ieee_div_zero 0
		.amdhsa_exception_fp_ieee_overflow 0
		.amdhsa_exception_fp_ieee_underflow 0
		.amdhsa_exception_fp_ieee_inexact 0
		.amdhsa_exception_int_div_zero 0
	.end_amdhsa_kernel
	.section	.text._ZL37rocblas_syrkx_herkx_restricted_kernelIl19rocblas_complex_numIfELi16ELi32ELi8ELb1ELb0ELc67ELc76EKS1_S1_EviT_T0_PT8_S3_lS6_S3_lS4_PT9_S3_li,"axG",@progbits,_ZL37rocblas_syrkx_herkx_restricted_kernelIl19rocblas_complex_numIfELi16ELi32ELi8ELb1ELb0ELc67ELc76EKS1_S1_EviT_T0_PT8_S3_lS6_S3_lS4_PT9_S3_li,comdat
.Lfunc_end1105:
	.size	_ZL37rocblas_syrkx_herkx_restricted_kernelIl19rocblas_complex_numIfELi16ELi32ELi8ELb1ELb0ELc67ELc76EKS1_S1_EviT_T0_PT8_S3_lS6_S3_lS4_PT9_S3_li, .Lfunc_end1105-_ZL37rocblas_syrkx_herkx_restricted_kernelIl19rocblas_complex_numIfELi16ELi32ELi8ELb1ELb0ELc67ELc76EKS1_S1_EviT_T0_PT8_S3_lS6_S3_lS4_PT9_S3_li
                                        ; -- End function
	.section	.AMDGPU.csdata,"",@progbits
; Kernel info:
; codeLenInByte = 2208
; NumSgprs: 34
; NumVgprs: 91
; ScratchSize: 0
; MemoryBound: 0
; FloatMode: 240
; IeeeMode: 1
; LDSByteSize: 4096 bytes/workgroup (compile time only)
; SGPRBlocks: 4
; VGPRBlocks: 11
; NumSGPRsForWavesPerEU: 34
; NumVGPRsForWavesPerEU: 91
; Occupancy: 16
; WaveLimiterHint : 1
; COMPUTE_PGM_RSRC2:SCRATCH_EN: 0
; COMPUTE_PGM_RSRC2:USER_SGPR: 13
; COMPUTE_PGM_RSRC2:TRAP_HANDLER: 0
; COMPUTE_PGM_RSRC2:TGID_X_EN: 1
; COMPUTE_PGM_RSRC2:TGID_Y_EN: 1
; COMPUTE_PGM_RSRC2:TGID_Z_EN: 1
; COMPUTE_PGM_RSRC2:TIDIG_COMP_CNT: 1
	.section	.text._ZL37rocblas_syrkx_herkx_restricted_kernelIl19rocblas_complex_numIfELi16ELi32ELi8ELb1ELb0ELc78ELc76EKS1_S1_EviT_T0_PT8_S3_lS6_S3_lS4_PT9_S3_li,"axG",@progbits,_ZL37rocblas_syrkx_herkx_restricted_kernelIl19rocblas_complex_numIfELi16ELi32ELi8ELb1ELb0ELc78ELc76EKS1_S1_EviT_T0_PT8_S3_lS6_S3_lS4_PT9_S3_li,comdat
	.globl	_ZL37rocblas_syrkx_herkx_restricted_kernelIl19rocblas_complex_numIfELi16ELi32ELi8ELb1ELb0ELc78ELc76EKS1_S1_EviT_T0_PT8_S3_lS6_S3_lS4_PT9_S3_li ; -- Begin function _ZL37rocblas_syrkx_herkx_restricted_kernelIl19rocblas_complex_numIfELi16ELi32ELi8ELb1ELb0ELc78ELc76EKS1_S1_EviT_T0_PT8_S3_lS6_S3_lS4_PT9_S3_li
	.p2align	8
	.type	_ZL37rocblas_syrkx_herkx_restricted_kernelIl19rocblas_complex_numIfELi16ELi32ELi8ELb1ELb0ELc78ELc76EKS1_S1_EviT_T0_PT8_S3_lS6_S3_lS4_PT9_S3_li,@function
_ZL37rocblas_syrkx_herkx_restricted_kernelIl19rocblas_complex_numIfELi16ELi32ELi8ELb1ELb0ELc78ELc76EKS1_S1_EviT_T0_PT8_S3_lS6_S3_lS4_PT9_S3_li: ; @_ZL37rocblas_syrkx_herkx_restricted_kernelIl19rocblas_complex_numIfELi16ELi32ELi8ELb1ELb0ELc78ELc76EKS1_S1_EviT_T0_PT8_S3_lS6_S3_lS4_PT9_S3_li
; %bb.0:
	s_load_b512 s[16:31], s[0:1], 0x8
	v_dual_mov_b32 v14, 0 :: v_dual_mov_b32 v15, 0
	v_dual_mov_b32 v12, 0 :: v_dual_mov_b32 v13, 0
	;; [unrolled: 1-line block ×4, first 2 shown]
	v_and_b32_e32 v4, 0x3ff, v0
	v_bfe_u32 v5, v0, 10, 10
	s_lshl_b32 s8, s13, 5
	s_lshl_b32 s9, s14, 5
	s_waitcnt lgkmcnt(0)
	v_cmp_lt_i64_e64 s2, s[16:17], 1
	s_delay_alu instid0(VALU_DEP_1)
	s_and_b32 vcc_lo, exec_lo, s2
	s_cbranch_vccnz .LBB1106_3
; %bb.1:
	v_lshl_add_u32 v1, v5, 4, v4
	v_and_b32_e32 v13, 7, v4
	s_mul_i32 s3, s25, s15
	s_mul_hi_u32 s5, s24, s15
	s_mul_i32 s2, s24, s15
	v_and_b32_e32 v9, 31, v1
	v_lshrrev_b32_e32 v12, 3, v1
	v_lshrrev_b32_e32 v14, 5, v1
	s_add_i32 s3, s5, s3
	s_mul_i32 s6, s31, s15
	v_add_nc_u32_e32 v0, s8, v9
	v_add_nc_u32_e32 v2, s9, v12
	s_lshl_b64 s[2:3], s[2:3], 3
	s_mul_hi_u32 s7, s30, s15
	s_add_u32 s10, s20, s2
	v_ashrrev_i32_e32 v1, 31, v0
	v_ashrrev_i32_e32 v3, 31, v2
	s_mul_i32 s4, s30, s15
	s_addc_u32 s11, s21, s3
	s_add_i32 s5, s7, s6
	v_mad_u64_u32 v[6:7], null, v14, s22, v[0:1]
	v_mad_u64_u32 v[0:1], null, v13, s28, v[2:3]
	s_lshl_b64 s[4:5], s[4:5], 3
	s_lshl_b64 s[2:3], s[22:23], 6
	s_add_u32 s4, s26, s4
	s_addc_u32 s5, s27, s5
	s_delay_alu instid0(VALU_DEP_2) | instskip(SKIP_3) | instid1(VALU_DEP_3)
	v_mov_b32_e32 v2, v7
	v_lshlrev_b32_e32 v10, 3, v4
	v_lshl_add_u32 v11, v5, 6, 0x800
	s_mov_b64 s[6:7], 0
	v_mad_u64_u32 v[7:8], null, v14, s23, v[2:3]
	v_mad_u64_u32 v[2:3], null, v13, s29, v[1:2]
	s_delay_alu instid0(VALU_DEP_1) | instskip(NEXT) | instid1(VALU_DEP_3)
	v_dual_mov_b32 v1, v2 :: v_dual_lshlrev_b32 v8, 3, v9
	v_lshlrev_b64 v[2:3], 3, v[6:7]
	s_delay_alu instid0(VALU_DEP_2) | instskip(NEXT) | instid1(VALU_DEP_2)
	v_lshlrev_b64 v[0:1], 3, v[0:1]
	v_add_co_u32 v2, vcc_lo, s10, v2
	s_delay_alu instid0(VALU_DEP_3) | instskip(NEXT) | instid1(VALU_DEP_3)
	v_add_co_ci_u32_e32 v3, vcc_lo, s11, v3, vcc_lo
	v_add_co_u32 v6, vcc_lo, s4, v0
	s_delay_alu instid0(VALU_DEP_4) | instskip(NEXT) | instid1(VALU_DEP_4)
	v_add_co_ci_u32_e32 v7, vcc_lo, s5, v1, vcc_lo
	v_add_co_u32 v0, vcc_lo, v2, 4
	s_delay_alu instid0(VALU_DEP_4) | instskip(NEXT) | instid1(VALU_DEP_4)
	v_add_co_ci_u32_e32 v1, vcc_lo, 0, v3, vcc_lo
	v_add_co_u32 v2, vcc_lo, v6, 4
	v_dual_mov_b32 v6, 0 :: v_dual_lshlrev_b32 v15, 3, v13
	v_mov_b32_e32 v13, 0
	v_lshl_or_b32 v16, v14, 8, v8
	v_mov_b32_e32 v8, 0
	v_add_co_ci_u32_e32 v3, vcc_lo, 0, v7, vcc_lo
	v_lshl_or_b32 v9, v12, 6, v15
	v_dual_mov_b32 v7, 0 :: v_dual_mov_b32 v12, 0
	v_dual_mov_b32 v15, 0 :: v_dual_mov_b32 v14, 0
	s_delay_alu instid0(VALU_DEP_3)
	v_add_nc_u32_e32 v17, 0x800, v9
	v_mov_b32_e32 v9, 0
	s_lshl_b64 s[4:5], s[28:29], 6
.LBB1106_2:                             ; =>This Inner Loop Header: Depth=1
	global_load_b64 v[18:19], v[0:1], off offset:-4
	global_load_b64 v[20:21], v[2:3], off offset:-4
	s_add_u32 s6, s6, 8
	v_add_co_u32 v0, vcc_lo, v0, s2
	s_addc_u32 s7, s7, 0
	v_add_co_ci_u32_e32 v1, vcc_lo, s3, v1, vcc_lo
	v_cmp_ge_u64_e64 s10, s[6:7], s[16:17]
	v_add_co_u32 v2, vcc_lo, v2, s4
	v_add_co_ci_u32_e32 v3, vcc_lo, s5, v3, vcc_lo
	s_waitcnt vmcnt(1)
	ds_store_b64 v16, v[18:19]
	s_waitcnt vmcnt(0)
	ds_store_b64 v17, v[20:21]
	s_waitcnt lgkmcnt(0)
	s_barrier
	buffer_gl0_inv
	ds_load_2addr_b64 v[18:21], v10 offset1:16
	ds_load_b128 v[22:25], v11
	ds_load_b128 v[26:29], v11 offset:1024
	ds_load_b128 v[30:33], v11 offset:16
	;; [unrolled: 1-line block ×4, first 2 shown]
	ds_load_2addr_b64 v[42:45], v10 offset0:32 offset1:48
	ds_load_2addr_b64 v[46:49], v10 offset0:64 offset1:80
	ds_load_b128 v[50:53], v11 offset:1040
	ds_load_2addr_b64 v[54:57], v10 offset0:96 offset1:112
	ds_load_2addr_b64 v[58:61], v10 offset0:128 offset1:144
	;; [unrolled: 1-line block ×4, first 2 shown]
	ds_load_b128 v[70:73], v11 offset:1056
	ds_load_b128 v[74:77], v11 offset:1072
	ds_load_2addr_b64 v[78:81], v10 offset0:224 offset1:240
	s_and_b32 vcc_lo, exec_lo, s10
	s_waitcnt lgkmcnt(0)
	s_barrier
	buffer_gl0_inv
	v_dual_mul_f32 v82, v23, v19 :: v_dual_mul_f32 v85, v22, v21
	v_dual_mul_f32 v83, v22, v19 :: v_dual_mul_f32 v84, v23, v21
	v_mul_f32_e32 v86, v27, v19
	v_dual_mul_f32 v19, v26, v19 :: v_dual_mul_f32 v90, v25, v45
	v_dual_mul_f32 v87, v27, v21 :: v_dual_mul_f32 v88, v25, v43
	v_mul_f32_e32 v21, v26, v21
	v_mul_f32_e32 v89, v24, v43
	v_mul_f32_e32 v91, v24, v45
	v_fma_f32 v82, v22, v18, -v82
	v_fmac_f32_e32 v83, v23, v18
	v_fma_f32 v22, v22, v20, -v84
	v_dual_fmac_f32 v85, v23, v20 :: v_dual_mul_f32 v84, v30, v47
	v_fma_f32 v23, v26, v18, -v86
	v_fmac_f32_e32 v19, v27, v18
	v_fma_f32 v18, v26, v20, -v87
	v_dual_mul_f32 v26, v28, v43 :: v_dual_fmac_f32 v21, v27, v20
	v_mul_f32_e32 v20, v29, v43
	v_mul_f32_e32 v27, v29, v45
	v_dual_mul_f32 v43, v28, v45 :: v_dual_fmac_f32 v84, v31, v46
	v_fma_f32 v45, v24, v42, -v88
	v_fma_f32 v24, v24, v44, -v90
	v_dual_fmac_f32 v91, v25, v44 :: v_dual_mul_f32 v90, v32, v57
	v_dual_mul_f32 v86, v31, v49 :: v_dual_fmac_f32 v89, v25, v42
	v_dual_mul_f32 v25, v31, v47 :: v_dual_mul_f32 v88, v33, v57
	v_fma_f32 v20, v28, v42, -v20
	v_fmac_f32_e32 v26, v29, v42
	v_fma_f32 v27, v28, v44, -v27
	v_dual_fmac_f32 v43, v29, v44 :: v_dual_mul_f32 v28, v51, v47
	v_dual_mul_f32 v29, v50, v47 :: v_dual_mul_f32 v42, v51, v49
	v_mul_f32_e32 v44, v50, v49
	v_mul_f32_e32 v87, v30, v49
	;; [unrolled: 1-line block ×3, first 2 shown]
	v_dual_mul_f32 v49, v32, v55 :: v_dual_fmac_f32 v90, v33, v56
	v_fma_f32 v25, v30, v46, -v25
	v_fma_f32 v30, v30, v48, -v86
	;; [unrolled: 1-line block ×3, first 2 shown]
	v_fmac_f32_e32 v44, v51, v48
	v_fmac_f32_e32 v87, v31, v48
	v_fma_f32 v31, v50, v48, -v42
	v_mul_f32_e32 v42, v53, v55
	v_mul_f32_e32 v48, v53, v57
	v_dual_mul_f32 v50, v52, v57 :: v_dual_fmac_f32 v29, v51, v46
	v_mul_f32_e32 v46, v52, v55
	v_fma_f32 v47, v32, v54, -v47
	v_fmac_f32_e32 v49, v33, v54
	v_fma_f32 v32, v32, v56, -v88
	s_delay_alu instid0(VALU_DEP_4)
	v_dual_mul_f32 v33, v35, v59 :: v_dual_fmac_f32 v46, v53, v54
	v_mul_f32_e32 v51, v34, v59
	v_mul_f32_e32 v55, v35, v61
	v_fma_f32 v42, v52, v54, -v42
	v_fma_f32 v48, v52, v56, -v48
	v_fmac_f32_e32 v50, v53, v56
	v_mul_f32_e32 v52, v71, v59
	v_dual_mul_f32 v53, v70, v59 :: v_dual_mul_f32 v86, v37, v65
	v_mul_f32_e32 v54, v71, v61
	v_dual_mul_f32 v56, v70, v61 :: v_dual_mul_f32 v59, v37, v63
	v_mul_f32_e32 v57, v34, v61
	v_mul_f32_e32 v61, v36, v63
	v_dual_mul_f32 v88, v36, v65 :: v_dual_fmac_f32 v51, v35, v58
	v_fma_f32 v33, v34, v58, -v33
	v_fmac_f32_e32 v53, v71, v58
	v_fmac_f32_e32 v56, v71, v60
	s_delay_alu instid0(VALU_DEP_4)
	v_fmac_f32_e32 v88, v37, v64
	v_fmac_f32_e32 v57, v35, v60
	v_fma_f32 v35, v70, v58, -v52
	v_fma_f32 v52, v70, v60, -v54
	v_mul_f32_e32 v54, v73, v63
	v_fma_f32 v34, v34, v60, -v55
	v_mul_f32_e32 v60, v72, v65
	v_dual_mul_f32 v55, v72, v63 :: v_dual_mul_f32 v70, v38, v69
	v_mul_f32_e32 v58, v73, v65
	v_fma_f32 v59, v36, v62, -v59
	v_fmac_f32_e32 v61, v37, v62
	v_fma_f32 v36, v36, v64, -v86
	v_dual_mul_f32 v37, v39, v67 :: v_dual_fmac_f32 v60, v73, v64
	v_dual_mul_f32 v63, v38, v67 :: v_dual_mul_f32 v86, v40, v81
	v_mul_f32_e32 v65, v39, v69
	v_fma_f32 v54, v72, v62, -v54
	v_fmac_f32_e32 v55, v73, v62
	v_fma_f32 v58, v72, v64, -v58
	v_mul_f32_e32 v72, v40, v79
	v_mul_f32_e32 v62, v75, v67
	v_dual_mul_f32 v64, v74, v67 :: v_dual_mul_f32 v67, v75, v69
	v_dual_mul_f32 v69, v74, v69 :: v_dual_fmac_f32 v70, v39, v68
	s_delay_alu instid0(VALU_DEP_2)
	v_dual_mul_f32 v71, v41, v79 :: v_dual_fmac_f32 v64, v75, v66
	v_fma_f32 v37, v38, v66, -v37
	v_fmac_f32_e32 v63, v39, v66
	v_fma_f32 v39, v74, v66, -v62
	v_dual_mul_f32 v66, v76, v79 :: v_dual_mul_f32 v73, v41, v81
	v_add_f32_e32 v14, v14, v82
	v_fma_f32 v38, v38, v68, -v65
	v_fma_f32 v62, v74, v68, -v67
	v_dual_fmac_f32 v69, v75, v68 :: v_dual_fmac_f32 v72, v41, v78
	v_dual_mul_f32 v65, v77, v79 :: v_dual_add_f32 v12, v12, v22
	v_dual_mul_f32 v67, v77, v81 :: v_dual_add_f32 v8, v8, v23
	v_mul_f32_e32 v68, v76, v81
	v_dual_fmac_f32 v86, v41, v80 :: v_dual_add_f32 v15, v15, v83
	v_dual_fmac_f32 v66, v77, v78 :: v_dual_add_f32 v7, v7, v21
	v_dual_add_f32 v13, v13, v85 :: v_dual_add_f32 v6, v6, v18
	v_dual_add_f32 v9, v9, v19 :: v_dual_add_f32 v14, v14, v45
	s_delay_alu instid0(VALU_DEP_4) | instskip(NEXT) | instid1(VALU_DEP_3)
	v_dual_fmac_f32 v68, v77, v80 :: v_dual_add_f32 v15, v15, v89
	v_dual_add_f32 v12, v12, v24 :: v_dual_add_f32 v13, v13, v91
	s_delay_alu instid0(VALU_DEP_3) | instskip(NEXT) | instid1(VALU_DEP_3)
	v_dual_add_f32 v8, v8, v20 :: v_dual_add_f32 v9, v9, v26
	v_dual_add_f32 v6, v6, v27 :: v_dual_add_f32 v15, v15, v84
	;; [unrolled: 1-line block ×3, first 2 shown]
	s_delay_alu instid0(VALU_DEP_4) | instskip(NEXT) | instid1(VALU_DEP_4)
	v_dual_add_f32 v12, v12, v30 :: v_dual_add_f32 v13, v13, v87
	v_dual_add_f32 v8, v8, v28 :: v_dual_add_f32 v9, v9, v29
	s_delay_alu instid0(VALU_DEP_3) | instskip(NEXT) | instid1(VALU_DEP_4)
	v_dual_add_f32 v6, v6, v31 :: v_dual_add_f32 v7, v7, v44
	v_dual_add_f32 v14, v14, v47 :: v_dual_add_f32 v15, v15, v49
	s_delay_alu instid0(VALU_DEP_4) | instskip(NEXT) | instid1(VALU_DEP_4)
	v_dual_add_f32 v12, v12, v32 :: v_dual_add_f32 v13, v13, v90
	v_add_f32_e32 v8, v8, v42
	s_delay_alu instid0(VALU_DEP_4) | instskip(NEXT) | instid1(VALU_DEP_4)
	v_dual_add_f32 v9, v9, v46 :: v_dual_add_f32 v6, v6, v48
	v_dual_add_f32 v7, v7, v50 :: v_dual_add_f32 v14, v14, v33
	s_delay_alu instid0(VALU_DEP_4) | instskip(NEXT) | instid1(VALU_DEP_4)
	v_dual_add_f32 v15, v15, v51 :: v_dual_add_f32 v12, v12, v34
	v_dual_add_f32 v13, v13, v57 :: v_dual_add_f32 v8, v8, v35
	s_delay_alu instid0(VALU_DEP_4) | instskip(NEXT) | instid1(VALU_DEP_3)
	v_dual_add_f32 v9, v9, v53 :: v_dual_add_f32 v6, v6, v52
	v_add_f32_e32 v15, v15, v61
	v_dual_add_f32 v7, v7, v56 :: v_dual_add_f32 v14, v14, v59
	s_delay_alu instid0(VALU_DEP_3) | instskip(SKIP_1) | instid1(VALU_DEP_3)
	v_dual_add_f32 v12, v12, v36 :: v_dual_add_f32 v9, v9, v55
	v_dual_add_f32 v13, v13, v88 :: v_dual_add_f32 v8, v8, v54
	;; [unrolled: 1-line block ×3, first 2 shown]
	v_fma_f32 v71, v40, v78, -v71
	v_fma_f32 v40, v40, v80, -v73
	;; [unrolled: 1-line block ×4, first 2 shown]
	v_dual_add_f32 v14, v14, v37 :: v_dual_add_f32 v15, v15, v63
	v_dual_add_f32 v12, v12, v38 :: v_dual_add_f32 v9, v9, v64
	;; [unrolled: 1-line block ×4, first 2 shown]
	s_delay_alu instid0(VALU_DEP_4) | instskip(NEXT) | instid1(VALU_DEP_3)
	v_dual_add_f32 v14, v14, v71 :: v_dual_add_f32 v15, v15, v72
	v_dual_add_f32 v12, v12, v40 :: v_dual_add_f32 v13, v13, v86
	s_delay_alu instid0(VALU_DEP_4) | instskip(NEXT) | instid1(VALU_DEP_4)
	v_dual_add_f32 v8, v8, v41 :: v_dual_add_f32 v9, v9, v66
	v_dual_add_f32 v6, v6, v65 :: v_dual_add_f32 v7, v7, v68
	s_cbranch_vccz .LBB1106_2
.LBB1106_3:
	s_load_b128 s[4:7], s[0:1], 0x50
	v_add_nc_u32_e32 v5, s9, v5
	s_clause 0x1
	s_load_b32 s9, s[0:1], 0x0
	s_load_b64 s[2:3], s[0:1], 0x60
	s_delay_alu instid0(VALU_DEP_1) | instskip(SKIP_1) | instid1(VALU_DEP_1)
	v_ashrrev_i32_e32 v0, 31, v5
	s_waitcnt lgkmcnt(0)
	v_mul_lo_u32 v3, v0, s6
	v_mul_lo_u32 v10, v5, s7
	v_mad_u64_u32 v[1:2], null, v5, s6, 0
	s_mul_i32 s1, s15, s3
	s_mul_hi_u32 s3, s15, s2
	s_mul_i32 s2, s15, s2
	s_add_i32 s3, s3, s1
	v_add_nc_u32_e32 v0, s8, v4
	s_lshl_b64 s[2:3], s[2:3], 3
	s_delay_alu instid0(VALU_DEP_2)
	v_add3_u32 v2, v2, v10, v3
	s_add_u32 s2, s4, s2
	s_addc_u32 s3, s5, s3
	v_cmp_le_i32_e64 s0, v5, v0
	v_cmp_gt_i32_e32 vcc_lo, s9, v0
	v_lshlrev_b64 v[1:2], 3, v[1:2]
	s_delay_alu instid0(VALU_DEP_3) | instskip(NEXT) | instid1(VALU_DEP_1)
	s_and_b32 s0, s0, vcc_lo
	v_add_co_u32 v4, s1, s2, v1
	s_delay_alu instid0(VALU_DEP_1)
	v_add_co_ci_u32_e64 v10, s1, s3, v2, s1
	s_and_saveexec_b32 s1, s0
	s_cbranch_execz .LBB1106_5
; %bb.4:
	v_ashrrev_i32_e32 v1, 31, v0
	v_mul_f32_e32 v2, s18, v15
	v_mul_f32_e32 v3, s19, v15
	s_delay_alu instid0(VALU_DEP_3) | instskip(NEXT) | instid1(VALU_DEP_3)
	v_lshlrev_b64 v[15:16], 3, v[0:1]
	v_fmac_f32_e32 v2, s19, v14
	s_delay_alu instid0(VALU_DEP_3) | instskip(NEXT) | instid1(VALU_DEP_3)
	v_fma_f32 v1, v14, s18, -v3
	v_add_co_u32 v14, s0, v4, v15
	s_delay_alu instid0(VALU_DEP_1)
	v_add_co_ci_u32_e64 v15, s0, v10, v16, s0
	global_store_b64 v[14:15], v[1:2], off
.LBB1106_5:
	s_or_b32 exec_lo, exec_lo, s1
	v_add_nc_u32_e32 v2, 16, v0
	s_delay_alu instid0(VALU_DEP_1) | instskip(SKIP_1) | instid1(VALU_DEP_1)
	v_cmp_le_i32_e64 s1, v5, v2
	v_cmp_gt_i32_e64 s0, s9, v2
	s_and_b32 s1, s1, s0
	s_delay_alu instid0(SALU_CYCLE_1)
	s_and_saveexec_b32 s4, s1
	s_cbranch_execz .LBB1106_7
; %bb.6:
	v_ashrrev_i32_e32 v3, 31, v2
	v_mul_f32_e32 v14, s18, v13
	v_mul_f32_e32 v1, s19, v13
	s_delay_alu instid0(VALU_DEP_3) | instskip(NEXT) | instid1(VALU_DEP_3)
	v_lshlrev_b64 v[15:16], 3, v[2:3]
	v_fmac_f32_e32 v14, s19, v12
	s_delay_alu instid0(VALU_DEP_3) | instskip(NEXT) | instid1(VALU_DEP_3)
	v_fma_f32 v13, v12, s18, -v1
	v_add_co_u32 v3, s1, v4, v15
	s_delay_alu instid0(VALU_DEP_1)
	v_add_co_ci_u32_e64 v4, s1, v10, v16, s1
	global_store_b64 v[3:4], v[13:14], off
.LBB1106_7:
	s_or_b32 exec_lo, exec_lo, s4
	v_add_nc_u32_e32 v3, 16, v5
	s_delay_alu instid0(VALU_DEP_1) | instskip(SKIP_3) | instid1(VALU_DEP_4)
	v_ashrrev_i32_e32 v1, 31, v3
	v_mul_lo_u32 v10, v3, s7
	v_mad_u64_u32 v[4:5], null, v3, s6, 0
	v_cmp_le_i32_e64 s1, v3, v0
	v_mul_lo_u32 v1, v1, s6
	s_delay_alu instid0(VALU_DEP_1) | instskip(NEXT) | instid1(VALU_DEP_1)
	v_add3_u32 v5, v5, v10, v1
	v_lshlrev_b64 v[4:5], 3, v[4:5]
	s_delay_alu instid0(VALU_DEP_1) | instskip(NEXT) | instid1(VALU_DEP_1)
	v_add_co_u32 v4, s2, s2, v4
	v_add_co_ci_u32_e64 v5, s2, s3, v5, s2
	s_and_b32 s2, s1, vcc_lo
	s_delay_alu instid0(SALU_CYCLE_1)
	s_and_saveexec_b32 s1, s2
	s_cbranch_execz .LBB1106_9
; %bb.8:
	v_ashrrev_i32_e32 v1, 31, v0
	v_mul_f32_e32 v10, s18, v9
	v_mul_f32_e32 v11, s19, v9
	s_delay_alu instid0(VALU_DEP_3) | instskip(NEXT) | instid1(VALU_DEP_3)
	v_lshlrev_b64 v[0:1], 3, v[0:1]
	v_fmac_f32_e32 v10, s19, v8
	s_delay_alu instid0(VALU_DEP_3) | instskip(NEXT) | instid1(VALU_DEP_3)
	v_fma_f32 v9, v8, s18, -v11
	v_add_co_u32 v0, vcc_lo, v4, v0
	s_delay_alu instid0(VALU_DEP_4)
	v_add_co_ci_u32_e32 v1, vcc_lo, v5, v1, vcc_lo
	global_store_b64 v[0:1], v[9:10], off
.LBB1106_9:
	s_or_b32 exec_lo, exec_lo, s1
	v_cmp_le_i32_e32 vcc_lo, v3, v2
	s_and_b32 s0, vcc_lo, s0
	s_delay_alu instid0(SALU_CYCLE_1)
	s_and_saveexec_b32 s1, s0
	s_cbranch_execz .LBB1106_11
; %bb.10:
	v_ashrrev_i32_e32 v3, 31, v2
	v_mul_f32_e32 v1, s18, v7
	v_mul_f32_e32 v0, s19, v7
	s_delay_alu instid0(VALU_DEP_3) | instskip(NEXT) | instid1(VALU_DEP_3)
	v_lshlrev_b64 v[2:3], 3, v[2:3]
	v_fmac_f32_e32 v1, s19, v6
	s_delay_alu instid0(VALU_DEP_3) | instskip(NEXT) | instid1(VALU_DEP_3)
	v_fma_f32 v0, v6, s18, -v0
	v_add_co_u32 v2, vcc_lo, v4, v2
	s_delay_alu instid0(VALU_DEP_4)
	v_add_co_ci_u32_e32 v3, vcc_lo, v5, v3, vcc_lo
	global_store_b64 v[2:3], v[0:1], off
.LBB1106_11:
	s_nop 0
	s_sendmsg sendmsg(MSG_DEALLOC_VGPRS)
	s_endpgm
	.section	.rodata,"a",@progbits
	.p2align	6, 0x0
	.amdhsa_kernel _ZL37rocblas_syrkx_herkx_restricted_kernelIl19rocblas_complex_numIfELi16ELi32ELi8ELb1ELb0ELc78ELc76EKS1_S1_EviT_T0_PT8_S3_lS6_S3_lS4_PT9_S3_li
		.amdhsa_group_segment_fixed_size 4096
		.amdhsa_private_segment_fixed_size 0
		.amdhsa_kernarg_size 108
		.amdhsa_user_sgpr_count 13
		.amdhsa_user_sgpr_dispatch_ptr 0
		.amdhsa_user_sgpr_queue_ptr 0
		.amdhsa_user_sgpr_kernarg_segment_ptr 1
		.amdhsa_user_sgpr_dispatch_id 0
		.amdhsa_user_sgpr_private_segment_size 0
		.amdhsa_wavefront_size32 1
		.amdhsa_uses_dynamic_stack 0
		.amdhsa_enable_private_segment 0
		.amdhsa_system_sgpr_workgroup_id_x 1
		.amdhsa_system_sgpr_workgroup_id_y 1
		.amdhsa_system_sgpr_workgroup_id_z 1
		.amdhsa_system_sgpr_workgroup_info 0
		.amdhsa_system_vgpr_workitem_id 1
		.amdhsa_next_free_vgpr 92
		.amdhsa_next_free_sgpr 32
		.amdhsa_reserve_vcc 1
		.amdhsa_float_round_mode_32 0
		.amdhsa_float_round_mode_16_64 0
		.amdhsa_float_denorm_mode_32 3
		.amdhsa_float_denorm_mode_16_64 3
		.amdhsa_dx10_clamp 1
		.amdhsa_ieee_mode 1
		.amdhsa_fp16_overflow 0
		.amdhsa_workgroup_processor_mode 1
		.amdhsa_memory_ordered 1
		.amdhsa_forward_progress 0
		.amdhsa_shared_vgpr_count 0
		.amdhsa_exception_fp_ieee_invalid_op 0
		.amdhsa_exception_fp_denorm_src 0
		.amdhsa_exception_fp_ieee_div_zero 0
		.amdhsa_exception_fp_ieee_overflow 0
		.amdhsa_exception_fp_ieee_underflow 0
		.amdhsa_exception_fp_ieee_inexact 0
		.amdhsa_exception_int_div_zero 0
	.end_amdhsa_kernel
	.section	.text._ZL37rocblas_syrkx_herkx_restricted_kernelIl19rocblas_complex_numIfELi16ELi32ELi8ELb1ELb0ELc78ELc76EKS1_S1_EviT_T0_PT8_S3_lS6_S3_lS4_PT9_S3_li,"axG",@progbits,_ZL37rocblas_syrkx_herkx_restricted_kernelIl19rocblas_complex_numIfELi16ELi32ELi8ELb1ELb0ELc78ELc76EKS1_S1_EviT_T0_PT8_S3_lS6_S3_lS4_PT9_S3_li,comdat
.Lfunc_end1106:
	.size	_ZL37rocblas_syrkx_herkx_restricted_kernelIl19rocblas_complex_numIfELi16ELi32ELi8ELb1ELb0ELc78ELc76EKS1_S1_EviT_T0_PT8_S3_lS6_S3_lS4_PT9_S3_li, .Lfunc_end1106-_ZL37rocblas_syrkx_herkx_restricted_kernelIl19rocblas_complex_numIfELi16ELi32ELi8ELb1ELb0ELc78ELc76EKS1_S1_EviT_T0_PT8_S3_lS6_S3_lS4_PT9_S3_li
                                        ; -- End function
	.section	.AMDGPU.csdata,"",@progbits
; Kernel info:
; codeLenInByte = 2224
; NumSgprs: 34
; NumVgprs: 92
; ScratchSize: 0
; MemoryBound: 0
; FloatMode: 240
; IeeeMode: 1
; LDSByteSize: 4096 bytes/workgroup (compile time only)
; SGPRBlocks: 4
; VGPRBlocks: 11
; NumSGPRsForWavesPerEU: 34
; NumVGPRsForWavesPerEU: 92
; Occupancy: 16
; WaveLimiterHint : 1
; COMPUTE_PGM_RSRC2:SCRATCH_EN: 0
; COMPUTE_PGM_RSRC2:USER_SGPR: 13
; COMPUTE_PGM_RSRC2:TRAP_HANDLER: 0
; COMPUTE_PGM_RSRC2:TGID_X_EN: 1
; COMPUTE_PGM_RSRC2:TGID_Y_EN: 1
; COMPUTE_PGM_RSRC2:TGID_Z_EN: 1
; COMPUTE_PGM_RSRC2:TIDIG_COMP_CNT: 1
	.section	.text._ZL37rocblas_syrkx_herkx_restricted_kernelIl19rocblas_complex_numIfELi16ELi32ELi8ELb1ELb0ELc84ELc85EKS1_S1_EviT_T0_PT8_S3_lS6_S3_lS4_PT9_S3_li,"axG",@progbits,_ZL37rocblas_syrkx_herkx_restricted_kernelIl19rocblas_complex_numIfELi16ELi32ELi8ELb1ELb0ELc84ELc85EKS1_S1_EviT_T0_PT8_S3_lS6_S3_lS4_PT9_S3_li,comdat
	.globl	_ZL37rocblas_syrkx_herkx_restricted_kernelIl19rocblas_complex_numIfELi16ELi32ELi8ELb1ELb0ELc84ELc85EKS1_S1_EviT_T0_PT8_S3_lS6_S3_lS4_PT9_S3_li ; -- Begin function _ZL37rocblas_syrkx_herkx_restricted_kernelIl19rocblas_complex_numIfELi16ELi32ELi8ELb1ELb0ELc84ELc85EKS1_S1_EviT_T0_PT8_S3_lS6_S3_lS4_PT9_S3_li
	.p2align	8
	.type	_ZL37rocblas_syrkx_herkx_restricted_kernelIl19rocblas_complex_numIfELi16ELi32ELi8ELb1ELb0ELc84ELc85EKS1_S1_EviT_T0_PT8_S3_lS6_S3_lS4_PT9_S3_li,@function
_ZL37rocblas_syrkx_herkx_restricted_kernelIl19rocblas_complex_numIfELi16ELi32ELi8ELb1ELb0ELc84ELc85EKS1_S1_EviT_T0_PT8_S3_lS6_S3_lS4_PT9_S3_li: ; @_ZL37rocblas_syrkx_herkx_restricted_kernelIl19rocblas_complex_numIfELi16ELi32ELi8ELb1ELb0ELc84ELc85EKS1_S1_EviT_T0_PT8_S3_lS6_S3_lS4_PT9_S3_li
; %bb.0:
	s_load_b512 s[16:31], s[0:1], 0x8
	v_dual_mov_b32 v15, 0 :: v_dual_mov_b32 v16, 0
	v_dual_mov_b32 v12, 0 :: v_dual_mov_b32 v13, 0
	;; [unrolled: 1-line block ×3, first 2 shown]
	v_dual_mov_b32 v7, 0 :: v_dual_and_b32 v6, 0x3ff, v0
	v_bfe_u32 v8, v0, 10, 10
	v_mov_b32_e32 v1, 0
	s_lshl_b32 s8, s13, 5
	s_lshl_b32 s9, s14, 5
	s_waitcnt lgkmcnt(0)
	v_cmp_lt_i64_e64 s2, s[16:17], 1
	s_delay_alu instid0(VALU_DEP_1)
	s_and_b32 vcc_lo, exec_lo, s2
	s_cbranch_vccnz .LBB1107_3
; %bb.1:
	v_lshl_add_u32 v2, v8, 4, v6
	v_dual_mov_b32 v1, 0 :: v_dual_and_b32 v0, 7, v6
	s_mul_i32 s3, s25, s15
	s_mul_hi_u32 s4, s24, s15
	s_delay_alu instid0(VALU_DEP_2) | instskip(SKIP_3) | instid1(VALU_DEP_4)
	v_and_b32_e32 v7, 31, v2
	v_lshrrev_b32_e32 v12, 3, v2
	v_lshrrev_b32_e32 v2, 5, v2
	v_dual_mov_b32 v3, v1 :: v_dual_lshlrev_b32 v14, 3, v0
	v_add_nc_u32_e32 v9, s8, v7
	s_delay_alu instid0(VALU_DEP_4)
	v_add_nc_u32_e32 v13, s9, v12
	s_mul_i32 s2, s24, s15
	s_add_i32 s3, s4, s3
	s_mul_hi_u32 s5, s30, s15
	v_ashrrev_i32_e32 v10, 31, v9
	v_ashrrev_i32_e32 v15, 31, v13
	v_mad_u64_u32 v[4:5], null, s22, v9, v[2:3]
	v_mul_lo_u32 v3, s23, v9
	s_delay_alu instid0(VALU_DEP_4)
	v_mul_lo_u32 v16, s22, v10
	v_mul_lo_u32 v17, v13, s29
	v_mad_u64_u32 v[9:10], null, v13, s28, v[0:1]
	v_mul_lo_u32 v13, v15, s28
	v_lshlrev_b32_e32 v0, 3, v7
	v_lshl_or_b32 v7, v12, 6, v14
	s_lshl_b64 s[2:3], s[2:3], 3
	v_add3_u32 v5, v3, v5, v16
	s_add_u32 s4, s20, s2
	s_mul_i32 s2, s31, s15
	v_add_nc_u32_e32 v14, 0x800, v7
	v_add3_u32 v10, v13, v10, v17
	v_mov_b32_e32 v7, v1
	v_lshl_or_b32 v0, v2, 8, v0
	v_lshlrev_b64 v[2:3], 3, v[4:5]
	s_addc_u32 s6, s21, s3
	s_add_i32 s3, s5, s2
	s_mul_i32 s2, s30, s15
	v_lshlrev_b64 v[4:5], 3, v[9:10]
	v_mov_b32_e32 v9, v1
	s_lshl_b64 s[2:3], s[2:3], 3
	v_add_co_u32 v2, vcc_lo, s4, v2
	s_add_u32 s2, s26, s2
	v_add_co_ci_u32_e32 v3, vcc_lo, s6, v3, vcc_lo
	s_addc_u32 s3, s27, s3
	v_add_co_u32 v4, vcc_lo, s2, v4
	v_add_co_ci_u32_e32 v5, vcc_lo, s3, v5, vcc_lo
	v_add_co_u32 v2, vcc_lo, v2, 4
	v_add_co_ci_u32_e32 v3, vcc_lo, 0, v3, vcc_lo
	s_delay_alu instid0(VALU_DEP_4)
	v_add_co_u32 v4, vcc_lo, v4, 4
	v_dual_mov_b32 v10, v1 :: v_dual_lshlrev_b32 v11, 3, v6
	v_lshl_add_u32 v17, v8, 6, 0x800
	v_add_co_ci_u32_e32 v5, vcc_lo, 0, v5, vcc_lo
	v_mov_b32_e32 v13, v1
	v_mov_b32_e32 v12, v1
	;; [unrolled: 1-line block ×4, first 2 shown]
	s_mov_b64 s[2:3], 0
.LBB1107_2:                             ; =>This Inner Loop Header: Depth=1
	global_load_b64 v[18:19], v[2:3], off offset:-4
	global_load_b64 v[20:21], v[4:5], off offset:-4
	s_add_u32 s2, s2, 8
	v_add_co_u32 v2, vcc_lo, v2, 64
	s_addc_u32 s3, s3, 0
	v_add_co_ci_u32_e32 v3, vcc_lo, 0, v3, vcc_lo
	v_cmp_ge_u64_e64 s4, s[2:3], s[16:17]
	v_add_co_u32 v4, vcc_lo, v4, 64
	v_add_co_ci_u32_e32 v5, vcc_lo, 0, v5, vcc_lo
	s_waitcnt vmcnt(1)
	ds_store_b64 v0, v[18:19]
	s_waitcnt vmcnt(0)
	ds_store_b64 v14, v[20:21]
	s_waitcnt lgkmcnt(0)
	s_barrier
	buffer_gl0_inv
	ds_load_2addr_b64 v[18:21], v11 offset1:16
	ds_load_b128 v[22:25], v17
	ds_load_b128 v[26:29], v17 offset:1024
	ds_load_b128 v[30:33], v17 offset:16
	;; [unrolled: 1-line block ×4, first 2 shown]
	ds_load_2addr_b64 v[42:45], v11 offset0:32 offset1:48
	ds_load_2addr_b64 v[46:49], v11 offset0:64 offset1:80
	ds_load_b128 v[50:53], v17 offset:1040
	ds_load_2addr_b64 v[54:57], v11 offset0:96 offset1:112
	ds_load_2addr_b64 v[58:61], v11 offset0:128 offset1:144
	;; [unrolled: 1-line block ×4, first 2 shown]
	ds_load_b128 v[70:73], v17 offset:1056
	ds_load_b128 v[74:77], v17 offset:1072
	ds_load_2addr_b64 v[78:81], v11 offset0:224 offset1:240
	s_and_b32 vcc_lo, exec_lo, s4
	s_waitcnt lgkmcnt(0)
	s_barrier
	buffer_gl0_inv
	v_dual_mul_f32 v82, v23, v19 :: v_dual_mul_f32 v85, v22, v21
	v_dual_mul_f32 v83, v22, v19 :: v_dual_mul_f32 v84, v23, v21
	v_mul_f32_e32 v86, v27, v19
	v_dual_mul_f32 v19, v26, v19 :: v_dual_mul_f32 v90, v25, v45
	v_dual_mul_f32 v87, v27, v21 :: v_dual_mul_f32 v88, v25, v43
	v_mul_f32_e32 v21, v26, v21
	v_fma_f32 v82, v22, v18, -v82
	v_fmac_f32_e32 v83, v23, v18
	v_fma_f32 v22, v22, v20, -v84
	v_fmac_f32_e32 v85, v23, v20
	v_fma_f32 v23, v26, v18, -v86
	v_dual_fmac_f32 v19, v27, v18 :: v_dual_mul_f32 v86, v30, v47
	v_fma_f32 v18, v26, v20, -v87
	v_dual_fmac_f32 v21, v27, v20 :: v_dual_mul_f32 v20, v24, v45
	v_mul_f32_e32 v89, v24, v43
	v_mul_f32_e32 v26, v29, v43
	;; [unrolled: 1-line block ×4, first 2 shown]
	v_fmac_f32_e32 v20, v25, v44
	v_fmac_f32_e32 v89, v25, v42
	v_dual_mul_f32 v25, v28, v45 :: v_dual_fmac_f32 v86, v31, v46
	v_fma_f32 v84, v24, v42, -v88
	v_fma_f32 v24, v24, v44, -v90
	v_dual_mul_f32 v45, v31, v47 :: v_dual_mul_f32 v90, v33, v57
	v_fma_f32 v26, v28, v42, -v26
	v_fma_f32 v28, v28, v44, -v43
	v_fmac_f32_e32 v25, v29, v44
	v_dual_mul_f32 v43, v50, v47 :: v_dual_mul_f32 v44, v51, v49
	v_dual_fmac_f32 v27, v29, v42 :: v_dual_mul_f32 v42, v51, v47
	v_dual_mul_f32 v88, v32, v55 :: v_dual_mul_f32 v29, v30, v49
	v_mul_f32_e32 v87, v31, v49
	v_fma_f32 v45, v30, v46, -v45
	v_add_f32_e32 v10, v10, v19
	s_delay_alu instid0(VALU_DEP_4)
	v_dual_fmac_f32 v88, v33, v54 :: v_dual_fmac_f32 v29, v31, v48
	v_fma_f32 v31, v50, v46, -v42
	v_fma_f32 v42, v50, v48, -v44
	v_mul_f32_e32 v44, v32, v57
	v_mul_f32_e32 v47, v50, v49
	v_dual_mul_f32 v50, v53, v57 :: v_dual_fmac_f32 v43, v51, v46
	v_mul_f32_e32 v46, v53, v55
	v_mul_f32_e32 v49, v33, v55
	v_fma_f32 v30, v30, v48, -v87
	v_fmac_f32_e32 v44, v33, v56
	v_dual_fmac_f32 v47, v51, v48 :: v_dual_mul_f32 v48, v52, v55
	v_mul_f32_e32 v33, v52, v57
	v_fma_f32 v46, v52, v54, -v46
	v_fma_f32 v50, v52, v56, -v50
	v_mul_f32_e32 v52, v34, v61
	v_fma_f32 v49, v32, v54, -v49
	v_fma_f32 v32, v32, v56, -v90
	v_dual_mul_f32 v51, v35, v59 :: v_dual_fmac_f32 v48, v53, v54
	v_mul_f32_e32 v54, v70, v59
	v_dual_mul_f32 v55, v34, v59 :: v_dual_fmac_f32 v52, v35, v60
	v_fmac_f32_e32 v33, v53, v56
	v_mul_f32_e32 v53, v71, v59
	v_mul_f32_e32 v56, v71, v61
	;; [unrolled: 1-line block ×3, first 2 shown]
	v_fmac_f32_e32 v54, v71, v58
	v_fmac_f32_e32 v55, v35, v58
	v_fma_f32 v35, v70, v58, -v53
	v_fma_f32 v53, v70, v60, -v56
	v_mul_f32_e32 v56, v36, v65
	v_mul_f32_e32 v59, v70, v61
	v_fma_f32 v51, v34, v58, -v51
	v_mul_f32_e32 v58, v72, v63
	v_mul_f32_e32 v87, v36, v63
	v_mul_f32_e32 v61, v37, v63
	v_mul_f32_e32 v90, v37, v65
	v_fma_f32 v34, v34, v60, -v57
	v_mul_f32_e32 v57, v73, v63
	v_fmac_f32_e32 v56, v37, v64
	v_dual_fmac_f32 v59, v71, v60 :: v_dual_mul_f32 v60, v73, v65
	v_fmac_f32_e32 v58, v73, v62
	v_fmac_f32_e32 v87, v37, v62
	v_mul_f32_e32 v37, v72, v65
	v_mul_f32_e32 v65, v38, v67
	v_fma_f32 v61, v36, v62, -v61
	v_mul_f32_e32 v63, v39, v67
	v_mul_f32_e32 v70, v39, v69
	v_fma_f32 v57, v72, v62, -v57
	v_mul_f32_e32 v62, v38, v69
	v_dual_mul_f32 v71, v75, v69 :: v_dual_add_f32 v16, v16, v83
	v_dual_mul_f32 v69, v74, v69 :: v_dual_add_f32 v12, v12, v22
	v_fmac_f32_e32 v65, v39, v66
	v_fma_f32 v36, v36, v64, -v90
	v_fma_f32 v60, v72, v64, -v60
	v_dual_fmac_f32 v37, v73, v64 :: v_dual_mul_f32 v64, v75, v67
	v_fma_f32 v63, v38, v66, -v63
	v_fma_f32 v38, v38, v68, -v70
	v_mul_f32_e32 v70, v76, v79
	v_mul_f32_e32 v67, v74, v67
	v_dual_fmac_f32 v69, v75, v68 :: v_dual_add_f32 v10, v10, v27
	v_fmac_f32_e32 v62, v39, v68
	v_fma_f32 v39, v74, v66, -v64
	v_fmac_f32_e32 v70, v77, v78
	v_dual_fmac_f32 v67, v75, v66 :: v_dual_add_f32 v16, v16, v89
	v_dual_mul_f32 v66, v40, v81 :: v_dual_add_f32 v15, v15, v82
	v_add_f32_e32 v10, v10, v43
	v_mul_f32_e32 v73, v40, v79
	v_mul_f32_e32 v72, v41, v79
	;; [unrolled: 1-line block ×3, first 2 shown]
	v_fma_f32 v64, v74, v68, -v71
	v_dual_add_f32 v10, v10, v48 :: v_dual_mul_f32 v71, v77, v81
	v_add_f32_e32 v12, v12, v24
	v_fmac_f32_e32 v66, v41, v80
	v_dual_add_f32 v13, v13, v85 :: v_dual_add_f32 v16, v16, v86
	v_fmac_f32_e32 v73, v41, v78
	v_dual_mul_f32 v41, v76, v81 :: v_dual_add_f32 v10, v10, v54
	v_dual_add_f32 v12, v12, v30 :: v_dual_add_f32 v9, v9, v23
	s_delay_alu instid0(VALU_DEP_4) | instskip(NEXT) | instid1(VALU_DEP_3)
	v_add_f32_e32 v16, v16, v88
	v_fmac_f32_e32 v41, v77, v80
	s_delay_alu instid0(VALU_DEP_3) | instskip(NEXT) | instid1(VALU_DEP_3)
	v_dual_add_f32 v7, v7, v18 :: v_dual_add_f32 v12, v12, v32
	v_dual_add_f32 v1, v1, v21 :: v_dual_add_f32 v16, v16, v55
	v_add_f32_e32 v15, v15, v84
	v_dual_add_f32 v13, v13, v20 :: v_dual_add_f32 v10, v10, v58
	s_delay_alu instid0(VALU_DEP_4) | instskip(NEXT) | instid1(VALU_DEP_4)
	v_add_f32_e32 v12, v12, v34
	v_dual_add_f32 v9, v9, v26 :: v_dual_add_f32 v16, v16, v87
	v_add_f32_e32 v7, v7, v28
	v_fma_f32 v72, v40, v78, -v72
	s_delay_alu instid0(VALU_DEP_4)
	v_dual_add_f32 v12, v12, v36 :: v_dual_add_f32 v1, v1, v25
	v_fma_f32 v40, v40, v80, -v90
	v_dual_add_f32 v15, v15, v45 :: v_dual_add_f32 v10, v10, v67
	v_dual_add_f32 v16, v16, v65 :: v_dual_add_f32 v9, v9, v31
	v_add_f32_e32 v7, v7, v42
	v_dual_add_f32 v12, v12, v38 :: v_dual_add_f32 v13, v13, v29
	s_delay_alu instid0(VALU_DEP_4) | instskip(SKIP_1) | instid1(VALU_DEP_4)
	v_dual_add_f32 v1, v1, v47 :: v_dual_add_f32 v10, v10, v70
	v_add_f32_e32 v15, v15, v49
	v_dual_add_f32 v7, v7, v50 :: v_dual_add_f32 v16, v16, v73
	v_add_f32_e32 v9, v9, v46
	s_delay_alu instid0(VALU_DEP_4) | instskip(SKIP_2) | instid1(VALU_DEP_4)
	v_dual_add_f32 v1, v1, v33 :: v_dual_add_f32 v12, v12, v40
	v_add_f32_e32 v13, v13, v44
	v_add_f32_e32 v15, v15, v51
	;; [unrolled: 1-line block ×6, first 2 shown]
	v_dual_mul_f32 v68, v77, v79 :: v_dual_add_f32 v15, v15, v61
	v_add_f32_e32 v9, v9, v57
	v_add_f32_e32 v7, v7, v60
	s_delay_alu instid0(VALU_DEP_4)
	v_add_f32_e32 v13, v13, v56
	v_add_f32_e32 v1, v1, v37
	v_fma_f32 v68, v76, v78, -v68
	v_fma_f32 v71, v76, v80, -v71
	v_add_f32_e32 v15, v15, v63
	v_add_f32_e32 v13, v13, v62
	;; [unrolled: 1-line block ×10, first 2 shown]
	s_cbranch_vccz .LBB1107_2
.LBB1107_3:
	s_clause 0x1
	s_load_b128 s[4:7], s[0:1], 0x50
	s_load_b32 s2, s[0:1], 0x0
	v_add_nc_u32_e32 v0, s9, v8
	s_load_b64 s[10:11], s[0:1], 0x60
	s_delay_alu instid0(VALU_DEP_1) | instskip(SKIP_1) | instid1(VALU_DEP_1)
	v_ashrrev_i32_e32 v2, 31, v0
	s_waitcnt lgkmcnt(0)
	v_mul_lo_u32 v5, v2, s6
	v_mul_lo_u32 v8, v0, s7
	v_mad_u64_u32 v[3:4], null, v0, s6, 0
	s_mul_i32 s1, s15, s11
	s_mul_hi_u32 s3, s15, s10
	v_add_nc_u32_e32 v2, s8, v6
	s_mul_i32 s8, s15, s10
	s_add_i32 s9, s3, s1
	v_cmp_gt_i32_e32 vcc_lo, s2, v0
	s_delay_alu instid0(VALU_DEP_3)
	v_add3_u32 v4, v4, v8, v5
	s_lshl_b64 s[8:9], s[8:9], 3
	v_cmp_le_i32_e64 s0, v2, v0
	s_add_u32 s3, s4, s8
	s_addc_u32 s4, s5, s9
	v_lshlrev_b64 v[3:4], 3, v[3:4]
	s_delay_alu instid0(VALU_DEP_2) | instskip(NEXT) | instid1(VALU_DEP_1)
	s_and_b32 s0, vcc_lo, s0
	v_add_co_u32 v6, s1, s3, v3
	s_delay_alu instid0(VALU_DEP_1)
	v_add_co_ci_u32_e64 v8, s1, s4, v4, s1
	s_and_saveexec_b32 s1, s0
	s_cbranch_execz .LBB1107_5
; %bb.4:
	v_ashrrev_i32_e32 v3, 31, v2
	v_mul_f32_e32 v4, s18, v16
	v_mul_f32_e32 v5, s19, v16
	s_delay_alu instid0(VALU_DEP_3) | instskip(NEXT) | instid1(VALU_DEP_3)
	v_lshlrev_b64 v[16:17], 3, v[2:3]
	v_fmac_f32_e32 v4, s19, v15
	s_delay_alu instid0(VALU_DEP_3) | instskip(NEXT) | instid1(VALU_DEP_3)
	v_fma_f32 v3, v15, s18, -v5
	v_add_co_u32 v14, s0, v6, v16
	s_delay_alu instid0(VALU_DEP_1)
	v_add_co_ci_u32_e64 v15, s0, v8, v17, s0
	global_store_b64 v[14:15], v[3:4], off
.LBB1107_5:
	s_or_b32 exec_lo, exec_lo, s1
	v_add_nc_u32_e32 v4, 16, v2
	s_delay_alu instid0(VALU_DEP_1) | instskip(NEXT) | instid1(VALU_DEP_1)
	v_cmp_le_i32_e64 s0, v4, v0
	s_and_b32 s1, vcc_lo, s0
	s_delay_alu instid0(SALU_CYCLE_1)
	s_and_saveexec_b32 s0, s1
	s_cbranch_execz .LBB1107_7
; %bb.6:
	v_ashrrev_i32_e32 v5, 31, v4
	v_mul_f32_e32 v14, s18, v13
	v_mul_f32_e32 v3, s19, v13
	s_delay_alu instid0(VALU_DEP_3) | instskip(NEXT) | instid1(VALU_DEP_3)
	v_lshlrev_b64 v[15:16], 3, v[4:5]
	v_fmac_f32_e32 v14, s19, v12
	s_delay_alu instid0(VALU_DEP_3) | instskip(NEXT) | instid1(VALU_DEP_3)
	v_fma_f32 v13, v12, s18, -v3
	v_add_co_u32 v5, vcc_lo, v6, v15
	s_delay_alu instid0(VALU_DEP_4)
	v_add_co_ci_u32_e32 v6, vcc_lo, v8, v16, vcc_lo
	global_store_b64 v[5:6], v[13:14], off
.LBB1107_7:
	s_or_b32 exec_lo, exec_lo, s0
	v_add_nc_u32_e32 v5, 16, v0
	s_delay_alu instid0(VALU_DEP_1) | instskip(SKIP_3) | instid1(VALU_DEP_4)
	v_ashrrev_i32_e32 v0, 31, v5
	v_mul_lo_u32 v3, v5, s7
	v_mad_u64_u32 v[11:12], null, v5, s6, 0
	v_cmp_gt_i32_e32 vcc_lo, s2, v5
	v_mul_lo_u32 v0, v0, s6
	v_cmp_le_i32_e64 s0, v2, v5
	s_delay_alu instid0(VALU_DEP_1) | instskip(NEXT) | instid1(VALU_DEP_2)
	s_and_b32 s0, vcc_lo, s0
	v_add3_u32 v12, v12, v3, v0
	s_delay_alu instid0(VALU_DEP_1) | instskip(NEXT) | instid1(VALU_DEP_1)
	v_lshlrev_b64 v[11:12], 3, v[11:12]
	v_add_co_u32 v0, s1, s3, v11
	s_delay_alu instid0(VALU_DEP_1)
	v_add_co_ci_u32_e64 v6, s1, s4, v12, s1
	s_and_saveexec_b32 s1, s0
	s_cbranch_execz .LBB1107_9
; %bb.8:
	v_ashrrev_i32_e32 v3, 31, v2
	v_mul_f32_e32 v11, s18, v10
	v_mul_f32_e32 v8, s19, v10
	s_delay_alu instid0(VALU_DEP_3) | instskip(NEXT) | instid1(VALU_DEP_3)
	v_lshlrev_b64 v[2:3], 3, v[2:3]
	v_fmac_f32_e32 v11, s19, v9
	s_delay_alu instid0(VALU_DEP_3) | instskip(NEXT) | instid1(VALU_DEP_3)
	v_fma_f32 v10, v9, s18, -v8
	v_add_co_u32 v2, s0, v0, v2
	s_delay_alu instid0(VALU_DEP_1)
	v_add_co_ci_u32_e64 v3, s0, v6, v3, s0
	global_store_b64 v[2:3], v[10:11], off
.LBB1107_9:
	s_or_b32 exec_lo, exec_lo, s1
	v_cmp_le_i32_e64 s0, v4, v5
	s_delay_alu instid0(VALU_DEP_1) | instskip(NEXT) | instid1(SALU_CYCLE_1)
	s_and_b32 s0, vcc_lo, s0
	s_and_saveexec_b32 s1, s0
	s_cbranch_execz .LBB1107_11
; %bb.10:
	v_ashrrev_i32_e32 v5, 31, v4
	v_mul_f32_e32 v8, s19, v1
	v_mul_f32_e32 v2, s18, v1
	s_delay_alu instid0(VALU_DEP_3) | instskip(NEXT) | instid1(VALU_DEP_3)
	v_lshlrev_b64 v[3:4], 3, v[4:5]
	v_fma_f32 v1, v7, s18, -v8
	s_delay_alu instid0(VALU_DEP_3) | instskip(NEXT) | instid1(VALU_DEP_3)
	v_fmac_f32_e32 v2, s19, v7
	v_add_co_u32 v3, vcc_lo, v0, v3
	s_delay_alu instid0(VALU_DEP_4)
	v_add_co_ci_u32_e32 v4, vcc_lo, v6, v4, vcc_lo
	global_store_b64 v[3:4], v[1:2], off
.LBB1107_11:
	s_nop 0
	s_sendmsg sendmsg(MSG_DEALLOC_VGPRS)
	s_endpgm
	.section	.rodata,"a",@progbits
	.p2align	6, 0x0
	.amdhsa_kernel _ZL37rocblas_syrkx_herkx_restricted_kernelIl19rocblas_complex_numIfELi16ELi32ELi8ELb1ELb0ELc84ELc85EKS1_S1_EviT_T0_PT8_S3_lS6_S3_lS4_PT9_S3_li
		.amdhsa_group_segment_fixed_size 4096
		.amdhsa_private_segment_fixed_size 0
		.amdhsa_kernarg_size 108
		.amdhsa_user_sgpr_count 13
		.amdhsa_user_sgpr_dispatch_ptr 0
		.amdhsa_user_sgpr_queue_ptr 0
		.amdhsa_user_sgpr_kernarg_segment_ptr 1
		.amdhsa_user_sgpr_dispatch_id 0
		.amdhsa_user_sgpr_private_segment_size 0
		.amdhsa_wavefront_size32 1
		.amdhsa_uses_dynamic_stack 0
		.amdhsa_enable_private_segment 0
		.amdhsa_system_sgpr_workgroup_id_x 1
		.amdhsa_system_sgpr_workgroup_id_y 1
		.amdhsa_system_sgpr_workgroup_id_z 1
		.amdhsa_system_sgpr_workgroup_info 0
		.amdhsa_system_vgpr_workitem_id 1
		.amdhsa_next_free_vgpr 91
		.amdhsa_next_free_sgpr 32
		.amdhsa_reserve_vcc 1
		.amdhsa_float_round_mode_32 0
		.amdhsa_float_round_mode_16_64 0
		.amdhsa_float_denorm_mode_32 3
		.amdhsa_float_denorm_mode_16_64 3
		.amdhsa_dx10_clamp 1
		.amdhsa_ieee_mode 1
		.amdhsa_fp16_overflow 0
		.amdhsa_workgroup_processor_mode 1
		.amdhsa_memory_ordered 1
		.amdhsa_forward_progress 0
		.amdhsa_shared_vgpr_count 0
		.amdhsa_exception_fp_ieee_invalid_op 0
		.amdhsa_exception_fp_denorm_src 0
		.amdhsa_exception_fp_ieee_div_zero 0
		.amdhsa_exception_fp_ieee_overflow 0
		.amdhsa_exception_fp_ieee_underflow 0
		.amdhsa_exception_fp_ieee_inexact 0
		.amdhsa_exception_int_div_zero 0
	.end_amdhsa_kernel
	.section	.text._ZL37rocblas_syrkx_herkx_restricted_kernelIl19rocblas_complex_numIfELi16ELi32ELi8ELb1ELb0ELc84ELc85EKS1_S1_EviT_T0_PT8_S3_lS6_S3_lS4_PT9_S3_li,"axG",@progbits,_ZL37rocblas_syrkx_herkx_restricted_kernelIl19rocblas_complex_numIfELi16ELi32ELi8ELb1ELb0ELc84ELc85EKS1_S1_EviT_T0_PT8_S3_lS6_S3_lS4_PT9_S3_li,comdat
.Lfunc_end1107:
	.size	_ZL37rocblas_syrkx_herkx_restricted_kernelIl19rocblas_complex_numIfELi16ELi32ELi8ELb1ELb0ELc84ELc85EKS1_S1_EviT_T0_PT8_S3_lS6_S3_lS4_PT9_S3_li, .Lfunc_end1107-_ZL37rocblas_syrkx_herkx_restricted_kernelIl19rocblas_complex_numIfELi16ELi32ELi8ELb1ELb0ELc84ELc85EKS1_S1_EviT_T0_PT8_S3_lS6_S3_lS4_PT9_S3_li
                                        ; -- End function
	.section	.AMDGPU.csdata,"",@progbits
; Kernel info:
; codeLenInByte = 2208
; NumSgprs: 34
; NumVgprs: 91
; ScratchSize: 0
; MemoryBound: 0
; FloatMode: 240
; IeeeMode: 1
; LDSByteSize: 4096 bytes/workgroup (compile time only)
; SGPRBlocks: 4
; VGPRBlocks: 11
; NumSGPRsForWavesPerEU: 34
; NumVGPRsForWavesPerEU: 91
; Occupancy: 16
; WaveLimiterHint : 1
; COMPUTE_PGM_RSRC2:SCRATCH_EN: 0
; COMPUTE_PGM_RSRC2:USER_SGPR: 13
; COMPUTE_PGM_RSRC2:TRAP_HANDLER: 0
; COMPUTE_PGM_RSRC2:TGID_X_EN: 1
; COMPUTE_PGM_RSRC2:TGID_Y_EN: 1
; COMPUTE_PGM_RSRC2:TGID_Z_EN: 1
; COMPUTE_PGM_RSRC2:TIDIG_COMP_CNT: 1
	.section	.text._ZL37rocblas_syrkx_herkx_restricted_kernelIl19rocblas_complex_numIfELi16ELi32ELi8ELb1ELb0ELc67ELc85EKS1_S1_EviT_T0_PT8_S3_lS6_S3_lS4_PT9_S3_li,"axG",@progbits,_ZL37rocblas_syrkx_herkx_restricted_kernelIl19rocblas_complex_numIfELi16ELi32ELi8ELb1ELb0ELc67ELc85EKS1_S1_EviT_T0_PT8_S3_lS6_S3_lS4_PT9_S3_li,comdat
	.globl	_ZL37rocblas_syrkx_herkx_restricted_kernelIl19rocblas_complex_numIfELi16ELi32ELi8ELb1ELb0ELc67ELc85EKS1_S1_EviT_T0_PT8_S3_lS6_S3_lS4_PT9_S3_li ; -- Begin function _ZL37rocblas_syrkx_herkx_restricted_kernelIl19rocblas_complex_numIfELi16ELi32ELi8ELb1ELb0ELc67ELc85EKS1_S1_EviT_T0_PT8_S3_lS6_S3_lS4_PT9_S3_li
	.p2align	8
	.type	_ZL37rocblas_syrkx_herkx_restricted_kernelIl19rocblas_complex_numIfELi16ELi32ELi8ELb1ELb0ELc67ELc85EKS1_S1_EviT_T0_PT8_S3_lS6_S3_lS4_PT9_S3_li,@function
_ZL37rocblas_syrkx_herkx_restricted_kernelIl19rocblas_complex_numIfELi16ELi32ELi8ELb1ELb0ELc67ELc85EKS1_S1_EviT_T0_PT8_S3_lS6_S3_lS4_PT9_S3_li: ; @_ZL37rocblas_syrkx_herkx_restricted_kernelIl19rocblas_complex_numIfELi16ELi32ELi8ELb1ELb0ELc67ELc85EKS1_S1_EviT_T0_PT8_S3_lS6_S3_lS4_PT9_S3_li
; %bb.0:
	s_load_b512 s[16:31], s[0:1], 0x8
	v_dual_mov_b32 v15, 0 :: v_dual_mov_b32 v16, 0
	v_dual_mov_b32 v12, 0 :: v_dual_mov_b32 v13, 0
	;; [unrolled: 1-line block ×3, first 2 shown]
	v_dual_mov_b32 v7, 0 :: v_dual_and_b32 v6, 0x3ff, v0
	v_bfe_u32 v8, v0, 10, 10
	v_mov_b32_e32 v1, 0
	s_lshl_b32 s8, s13, 5
	s_lshl_b32 s9, s14, 5
	s_waitcnt lgkmcnt(0)
	v_cmp_lt_i64_e64 s2, s[16:17], 1
	s_delay_alu instid0(VALU_DEP_1)
	s_and_b32 vcc_lo, exec_lo, s2
	s_cbranch_vccnz .LBB1108_3
; %bb.1:
	v_lshl_add_u32 v2, v8, 4, v6
	v_dual_mov_b32 v1, 0 :: v_dual_and_b32 v0, 7, v6
	s_mul_i32 s3, s25, s15
	s_mul_hi_u32 s4, s24, s15
	s_delay_alu instid0(VALU_DEP_2) | instskip(SKIP_3) | instid1(VALU_DEP_4)
	v_and_b32_e32 v7, 31, v2
	v_lshrrev_b32_e32 v12, 3, v2
	v_lshrrev_b32_e32 v2, 5, v2
	v_dual_mov_b32 v3, v1 :: v_dual_lshlrev_b32 v14, 3, v0
	v_add_nc_u32_e32 v9, s8, v7
	s_delay_alu instid0(VALU_DEP_4)
	v_add_nc_u32_e32 v13, s9, v12
	s_mul_i32 s2, s24, s15
	s_add_i32 s3, s4, s3
	s_mul_hi_u32 s5, s30, s15
	v_ashrrev_i32_e32 v10, 31, v9
	v_ashrrev_i32_e32 v15, 31, v13
	v_mad_u64_u32 v[4:5], null, s22, v9, v[2:3]
	v_mul_lo_u32 v3, s23, v9
	s_delay_alu instid0(VALU_DEP_4)
	v_mul_lo_u32 v16, s22, v10
	v_mul_lo_u32 v17, v13, s29
	v_mad_u64_u32 v[9:10], null, v13, s28, v[0:1]
	v_mul_lo_u32 v13, v15, s28
	v_lshlrev_b32_e32 v0, 3, v7
	v_lshl_or_b32 v7, v12, 6, v14
	s_lshl_b64 s[2:3], s[2:3], 3
	v_add3_u32 v5, v3, v5, v16
	s_add_u32 s4, s20, s2
	s_mul_i32 s2, s31, s15
	v_add_nc_u32_e32 v14, 0x800, v7
	v_add3_u32 v10, v13, v10, v17
	v_mov_b32_e32 v7, v1
	v_lshl_or_b32 v0, v2, 8, v0
	v_lshlrev_b64 v[2:3], 3, v[4:5]
	s_addc_u32 s6, s21, s3
	s_add_i32 s3, s5, s2
	s_mul_i32 s2, s30, s15
	v_lshlrev_b64 v[4:5], 3, v[9:10]
	v_mov_b32_e32 v9, v1
	s_lshl_b64 s[2:3], s[2:3], 3
	v_add_co_u32 v2, vcc_lo, s4, v2
	s_add_u32 s2, s26, s2
	v_add_co_ci_u32_e32 v3, vcc_lo, s6, v3, vcc_lo
	s_addc_u32 s3, s27, s3
	v_add_co_u32 v4, vcc_lo, s2, v4
	v_add_co_ci_u32_e32 v5, vcc_lo, s3, v5, vcc_lo
	v_add_co_u32 v2, vcc_lo, v2, 4
	v_add_co_ci_u32_e32 v3, vcc_lo, 0, v3, vcc_lo
	s_delay_alu instid0(VALU_DEP_4)
	v_add_co_u32 v4, vcc_lo, v4, 4
	v_dual_mov_b32 v10, v1 :: v_dual_lshlrev_b32 v11, 3, v6
	v_lshl_add_u32 v17, v8, 6, 0x800
	v_add_co_ci_u32_e32 v5, vcc_lo, 0, v5, vcc_lo
	v_mov_b32_e32 v13, v1
	v_mov_b32_e32 v12, v1
	;; [unrolled: 1-line block ×4, first 2 shown]
	s_mov_b64 s[2:3], 0
.LBB1108_2:                             ; =>This Inner Loop Header: Depth=1
	global_load_b64 v[18:19], v[2:3], off offset:-4
	global_load_b64 v[20:21], v[4:5], off offset:-4
	s_add_u32 s2, s2, 8
	v_add_co_u32 v2, vcc_lo, v2, 64
	s_addc_u32 s3, s3, 0
	v_add_co_ci_u32_e32 v3, vcc_lo, 0, v3, vcc_lo
	v_cmp_ge_u64_e64 s4, s[2:3], s[16:17]
	v_add_co_u32 v4, vcc_lo, v4, 64
	v_add_co_ci_u32_e32 v5, vcc_lo, 0, v5, vcc_lo
	s_waitcnt vmcnt(1)
	ds_store_b64 v0, v[18:19]
	s_waitcnt vmcnt(0)
	ds_store_b64 v14, v[20:21]
	s_waitcnt lgkmcnt(0)
	s_barrier
	buffer_gl0_inv
	ds_load_2addr_b64 v[18:21], v11 offset1:16
	ds_load_b128 v[22:25], v17
	ds_load_b128 v[26:29], v17 offset:1024
	ds_load_b128 v[30:33], v17 offset:16
	;; [unrolled: 1-line block ×4, first 2 shown]
	ds_load_2addr_b64 v[42:45], v11 offset0:32 offset1:48
	ds_load_2addr_b64 v[46:49], v11 offset0:64 offset1:80
	ds_load_b128 v[50:53], v17 offset:1040
	ds_load_2addr_b64 v[54:57], v11 offset0:96 offset1:112
	ds_load_2addr_b64 v[58:61], v11 offset0:128 offset1:144
	;; [unrolled: 1-line block ×4, first 2 shown]
	ds_load_b128 v[70:73], v17 offset:1056
	ds_load_b128 v[74:77], v17 offset:1072
	ds_load_2addr_b64 v[78:81], v11 offset0:224 offset1:240
	s_and_b32 vcc_lo, exec_lo, s4
	s_waitcnt lgkmcnt(0)
	s_barrier
	buffer_gl0_inv
	v_dual_mul_f32 v82, v23, v19 :: v_dual_mul_f32 v85, v22, v21
	v_dual_mul_f32 v83, v22, v19 :: v_dual_mul_f32 v84, v23, v21
	v_mul_f32_e32 v86, v27, v19
	v_dual_mul_f32 v19, v26, v19 :: v_dual_mul_f32 v90, v25, v45
	v_dual_mul_f32 v87, v27, v21 :: v_dual_mul_f32 v88, v25, v43
	v_mul_f32_e32 v21, v26, v21
	v_fma_f32 v82, v22, v18, -v82
	v_fmac_f32_e32 v83, v23, v18
	v_fma_f32 v22, v22, v20, -v84
	v_fmac_f32_e32 v85, v23, v20
	v_fma_f32 v23, v26, v18, -v86
	v_dual_fmac_f32 v19, v27, v18 :: v_dual_mul_f32 v86, v30, v47
	v_fma_f32 v18, v26, v20, -v87
	v_dual_fmac_f32 v21, v27, v20 :: v_dual_mul_f32 v20, v24, v45
	v_mul_f32_e32 v89, v24, v43
	v_mul_f32_e32 v26, v29, v43
	;; [unrolled: 1-line block ×4, first 2 shown]
	v_fmac_f32_e32 v20, v25, v44
	v_fmac_f32_e32 v89, v25, v42
	v_dual_mul_f32 v25, v28, v45 :: v_dual_fmac_f32 v86, v31, v46
	v_fma_f32 v84, v24, v42, -v88
	v_fma_f32 v24, v24, v44, -v90
	v_dual_mul_f32 v45, v31, v47 :: v_dual_mul_f32 v90, v33, v57
	v_fma_f32 v26, v28, v42, -v26
	v_fma_f32 v28, v28, v44, -v43
	v_fmac_f32_e32 v25, v29, v44
	v_dual_mul_f32 v43, v50, v47 :: v_dual_mul_f32 v44, v51, v49
	v_dual_fmac_f32 v27, v29, v42 :: v_dual_mul_f32 v42, v51, v47
	v_dual_mul_f32 v88, v32, v55 :: v_dual_mul_f32 v29, v30, v49
	v_mul_f32_e32 v87, v31, v49
	v_fma_f32 v45, v30, v46, -v45
	v_add_f32_e32 v10, v10, v19
	s_delay_alu instid0(VALU_DEP_4)
	v_dual_fmac_f32 v88, v33, v54 :: v_dual_fmac_f32 v29, v31, v48
	v_fma_f32 v31, v50, v46, -v42
	v_fma_f32 v42, v50, v48, -v44
	v_mul_f32_e32 v44, v32, v57
	v_mul_f32_e32 v47, v50, v49
	v_dual_mul_f32 v50, v53, v57 :: v_dual_fmac_f32 v43, v51, v46
	v_mul_f32_e32 v46, v53, v55
	v_mul_f32_e32 v49, v33, v55
	v_fma_f32 v30, v30, v48, -v87
	v_fmac_f32_e32 v44, v33, v56
	v_dual_fmac_f32 v47, v51, v48 :: v_dual_mul_f32 v48, v52, v55
	v_mul_f32_e32 v33, v52, v57
	v_fma_f32 v46, v52, v54, -v46
	v_fma_f32 v50, v52, v56, -v50
	v_mul_f32_e32 v52, v34, v61
	v_fma_f32 v49, v32, v54, -v49
	v_fma_f32 v32, v32, v56, -v90
	v_dual_mul_f32 v51, v35, v59 :: v_dual_fmac_f32 v48, v53, v54
	v_mul_f32_e32 v54, v70, v59
	v_dual_mul_f32 v55, v34, v59 :: v_dual_fmac_f32 v52, v35, v60
	v_fmac_f32_e32 v33, v53, v56
	v_mul_f32_e32 v53, v71, v59
	v_mul_f32_e32 v56, v71, v61
	;; [unrolled: 1-line block ×3, first 2 shown]
	v_fmac_f32_e32 v54, v71, v58
	v_fmac_f32_e32 v55, v35, v58
	v_fma_f32 v35, v70, v58, -v53
	v_fma_f32 v53, v70, v60, -v56
	v_mul_f32_e32 v56, v36, v65
	v_mul_f32_e32 v59, v70, v61
	v_fma_f32 v51, v34, v58, -v51
	v_mul_f32_e32 v58, v72, v63
	v_mul_f32_e32 v87, v36, v63
	;; [unrolled: 1-line block ×4, first 2 shown]
	v_fma_f32 v34, v34, v60, -v57
	v_mul_f32_e32 v57, v73, v63
	v_fmac_f32_e32 v56, v37, v64
	v_dual_fmac_f32 v59, v71, v60 :: v_dual_mul_f32 v60, v73, v65
	v_fmac_f32_e32 v58, v73, v62
	v_fmac_f32_e32 v87, v37, v62
	v_mul_f32_e32 v37, v72, v65
	v_mul_f32_e32 v65, v38, v67
	v_fma_f32 v61, v36, v62, -v61
	v_mul_f32_e32 v63, v39, v67
	v_mul_f32_e32 v70, v39, v69
	v_fma_f32 v57, v72, v62, -v57
	v_mul_f32_e32 v62, v38, v69
	v_dual_mul_f32 v71, v75, v69 :: v_dual_add_f32 v16, v16, v83
	v_dual_mul_f32 v69, v74, v69 :: v_dual_add_f32 v12, v12, v22
	v_fmac_f32_e32 v65, v39, v66
	v_fma_f32 v36, v36, v64, -v90
	v_fma_f32 v60, v72, v64, -v60
	v_dual_fmac_f32 v37, v73, v64 :: v_dual_mul_f32 v64, v75, v67
	v_fma_f32 v63, v38, v66, -v63
	v_fma_f32 v38, v38, v68, -v70
	v_mul_f32_e32 v70, v76, v79
	v_mul_f32_e32 v67, v74, v67
	v_dual_fmac_f32 v69, v75, v68 :: v_dual_add_f32 v10, v10, v27
	v_fmac_f32_e32 v62, v39, v68
	v_fma_f32 v39, v74, v66, -v64
	v_fmac_f32_e32 v70, v77, v78
	v_dual_fmac_f32 v67, v75, v66 :: v_dual_add_f32 v16, v16, v89
	v_dual_mul_f32 v66, v40, v81 :: v_dual_add_f32 v15, v15, v82
	v_add_f32_e32 v10, v10, v43
	v_mul_f32_e32 v73, v40, v79
	v_mul_f32_e32 v72, v41, v79
	;; [unrolled: 1-line block ×3, first 2 shown]
	v_fma_f32 v64, v74, v68, -v71
	v_dual_add_f32 v10, v10, v48 :: v_dual_mul_f32 v71, v77, v81
	v_add_f32_e32 v12, v12, v24
	v_fmac_f32_e32 v66, v41, v80
	v_dual_add_f32 v13, v13, v85 :: v_dual_add_f32 v16, v16, v86
	v_fmac_f32_e32 v73, v41, v78
	v_dual_mul_f32 v41, v76, v81 :: v_dual_add_f32 v10, v10, v54
	v_dual_add_f32 v12, v12, v30 :: v_dual_add_f32 v9, v9, v23
	s_delay_alu instid0(VALU_DEP_4) | instskip(NEXT) | instid1(VALU_DEP_3)
	v_add_f32_e32 v16, v16, v88
	v_fmac_f32_e32 v41, v77, v80
	s_delay_alu instid0(VALU_DEP_3) | instskip(NEXT) | instid1(VALU_DEP_3)
	v_dual_add_f32 v7, v7, v18 :: v_dual_add_f32 v12, v12, v32
	v_dual_add_f32 v1, v1, v21 :: v_dual_add_f32 v16, v16, v55
	v_add_f32_e32 v15, v15, v84
	v_dual_add_f32 v13, v13, v20 :: v_dual_add_f32 v10, v10, v58
	s_delay_alu instid0(VALU_DEP_4) | instskip(NEXT) | instid1(VALU_DEP_4)
	v_add_f32_e32 v12, v12, v34
	v_dual_add_f32 v9, v9, v26 :: v_dual_add_f32 v16, v16, v87
	v_add_f32_e32 v7, v7, v28
	v_fma_f32 v72, v40, v78, -v72
	s_delay_alu instid0(VALU_DEP_4)
	v_dual_add_f32 v12, v12, v36 :: v_dual_add_f32 v1, v1, v25
	v_fma_f32 v40, v40, v80, -v90
	v_dual_add_f32 v15, v15, v45 :: v_dual_add_f32 v10, v10, v67
	v_dual_add_f32 v16, v16, v65 :: v_dual_add_f32 v9, v9, v31
	v_add_f32_e32 v7, v7, v42
	v_dual_add_f32 v12, v12, v38 :: v_dual_add_f32 v13, v13, v29
	s_delay_alu instid0(VALU_DEP_4) | instskip(SKIP_1) | instid1(VALU_DEP_4)
	v_dual_add_f32 v1, v1, v47 :: v_dual_add_f32 v10, v10, v70
	v_add_f32_e32 v15, v15, v49
	v_dual_add_f32 v7, v7, v50 :: v_dual_add_f32 v16, v16, v73
	v_add_f32_e32 v9, v9, v46
	s_delay_alu instid0(VALU_DEP_4) | instskip(SKIP_2) | instid1(VALU_DEP_4)
	v_dual_add_f32 v1, v1, v33 :: v_dual_add_f32 v12, v12, v40
	v_add_f32_e32 v13, v13, v44
	v_add_f32_e32 v15, v15, v51
	;; [unrolled: 1-line block ×6, first 2 shown]
	v_dual_mul_f32 v68, v77, v79 :: v_dual_add_f32 v15, v15, v61
	v_add_f32_e32 v9, v9, v57
	v_add_f32_e32 v7, v7, v60
	s_delay_alu instid0(VALU_DEP_4)
	v_add_f32_e32 v13, v13, v56
	v_add_f32_e32 v1, v1, v37
	v_fma_f32 v68, v76, v78, -v68
	v_fma_f32 v71, v76, v80, -v71
	v_add_f32_e32 v15, v15, v63
	v_add_f32_e32 v13, v13, v62
	;; [unrolled: 1-line block ×10, first 2 shown]
	s_cbranch_vccz .LBB1108_2
.LBB1108_3:
	s_clause 0x1
	s_load_b128 s[4:7], s[0:1], 0x50
	s_load_b32 s2, s[0:1], 0x0
	v_add_nc_u32_e32 v0, s9, v8
	s_load_b64 s[10:11], s[0:1], 0x60
	s_delay_alu instid0(VALU_DEP_1) | instskip(SKIP_1) | instid1(VALU_DEP_1)
	v_ashrrev_i32_e32 v2, 31, v0
	s_waitcnt lgkmcnt(0)
	v_mul_lo_u32 v5, v2, s6
	v_mul_lo_u32 v8, v0, s7
	v_mad_u64_u32 v[3:4], null, v0, s6, 0
	s_mul_i32 s1, s15, s11
	s_mul_hi_u32 s3, s15, s10
	v_add_nc_u32_e32 v2, s8, v6
	s_mul_i32 s8, s15, s10
	s_add_i32 s9, s3, s1
	v_cmp_gt_i32_e32 vcc_lo, s2, v0
	s_delay_alu instid0(VALU_DEP_3)
	v_add3_u32 v4, v4, v8, v5
	s_lshl_b64 s[8:9], s[8:9], 3
	v_cmp_le_i32_e64 s0, v2, v0
	s_add_u32 s3, s4, s8
	s_addc_u32 s4, s5, s9
	v_lshlrev_b64 v[3:4], 3, v[3:4]
	s_delay_alu instid0(VALU_DEP_2) | instskip(NEXT) | instid1(VALU_DEP_1)
	s_and_b32 s0, vcc_lo, s0
	v_add_co_u32 v6, s1, s3, v3
	s_delay_alu instid0(VALU_DEP_1)
	v_add_co_ci_u32_e64 v8, s1, s4, v4, s1
	s_and_saveexec_b32 s1, s0
	s_cbranch_execz .LBB1108_5
; %bb.4:
	v_ashrrev_i32_e32 v3, 31, v2
	v_mul_f32_e32 v4, s18, v16
	v_mul_f32_e32 v5, s19, v16
	s_delay_alu instid0(VALU_DEP_3) | instskip(NEXT) | instid1(VALU_DEP_3)
	v_lshlrev_b64 v[16:17], 3, v[2:3]
	v_fmac_f32_e32 v4, s19, v15
	s_delay_alu instid0(VALU_DEP_3) | instskip(NEXT) | instid1(VALU_DEP_3)
	v_fma_f32 v3, v15, s18, -v5
	v_add_co_u32 v14, s0, v6, v16
	s_delay_alu instid0(VALU_DEP_1)
	v_add_co_ci_u32_e64 v15, s0, v8, v17, s0
	global_store_b64 v[14:15], v[3:4], off
.LBB1108_5:
	s_or_b32 exec_lo, exec_lo, s1
	v_add_nc_u32_e32 v4, 16, v2
	s_delay_alu instid0(VALU_DEP_1) | instskip(NEXT) | instid1(VALU_DEP_1)
	v_cmp_le_i32_e64 s0, v4, v0
	s_and_b32 s1, vcc_lo, s0
	s_delay_alu instid0(SALU_CYCLE_1)
	s_and_saveexec_b32 s0, s1
	s_cbranch_execz .LBB1108_7
; %bb.6:
	v_ashrrev_i32_e32 v5, 31, v4
	v_mul_f32_e32 v14, s18, v13
	v_mul_f32_e32 v3, s19, v13
	s_delay_alu instid0(VALU_DEP_3) | instskip(NEXT) | instid1(VALU_DEP_3)
	v_lshlrev_b64 v[15:16], 3, v[4:5]
	v_fmac_f32_e32 v14, s19, v12
	s_delay_alu instid0(VALU_DEP_3) | instskip(NEXT) | instid1(VALU_DEP_3)
	v_fma_f32 v13, v12, s18, -v3
	v_add_co_u32 v5, vcc_lo, v6, v15
	s_delay_alu instid0(VALU_DEP_4)
	v_add_co_ci_u32_e32 v6, vcc_lo, v8, v16, vcc_lo
	global_store_b64 v[5:6], v[13:14], off
.LBB1108_7:
	s_or_b32 exec_lo, exec_lo, s0
	v_add_nc_u32_e32 v5, 16, v0
	s_delay_alu instid0(VALU_DEP_1) | instskip(SKIP_3) | instid1(VALU_DEP_4)
	v_ashrrev_i32_e32 v0, 31, v5
	v_mul_lo_u32 v3, v5, s7
	v_mad_u64_u32 v[11:12], null, v5, s6, 0
	v_cmp_gt_i32_e32 vcc_lo, s2, v5
	v_mul_lo_u32 v0, v0, s6
	v_cmp_le_i32_e64 s0, v2, v5
	s_delay_alu instid0(VALU_DEP_1) | instskip(NEXT) | instid1(VALU_DEP_2)
	s_and_b32 s0, vcc_lo, s0
	v_add3_u32 v12, v12, v3, v0
	s_delay_alu instid0(VALU_DEP_1) | instskip(NEXT) | instid1(VALU_DEP_1)
	v_lshlrev_b64 v[11:12], 3, v[11:12]
	v_add_co_u32 v0, s1, s3, v11
	s_delay_alu instid0(VALU_DEP_1)
	v_add_co_ci_u32_e64 v6, s1, s4, v12, s1
	s_and_saveexec_b32 s1, s0
	s_cbranch_execz .LBB1108_9
; %bb.8:
	v_ashrrev_i32_e32 v3, 31, v2
	v_mul_f32_e32 v11, s18, v10
	v_mul_f32_e32 v8, s19, v10
	s_delay_alu instid0(VALU_DEP_3) | instskip(NEXT) | instid1(VALU_DEP_3)
	v_lshlrev_b64 v[2:3], 3, v[2:3]
	v_fmac_f32_e32 v11, s19, v9
	s_delay_alu instid0(VALU_DEP_3) | instskip(NEXT) | instid1(VALU_DEP_3)
	v_fma_f32 v10, v9, s18, -v8
	v_add_co_u32 v2, s0, v0, v2
	s_delay_alu instid0(VALU_DEP_1)
	v_add_co_ci_u32_e64 v3, s0, v6, v3, s0
	global_store_b64 v[2:3], v[10:11], off
.LBB1108_9:
	s_or_b32 exec_lo, exec_lo, s1
	v_cmp_le_i32_e64 s0, v4, v5
	s_delay_alu instid0(VALU_DEP_1) | instskip(NEXT) | instid1(SALU_CYCLE_1)
	s_and_b32 s0, vcc_lo, s0
	s_and_saveexec_b32 s1, s0
	s_cbranch_execz .LBB1108_11
; %bb.10:
	v_ashrrev_i32_e32 v5, 31, v4
	v_mul_f32_e32 v8, s19, v1
	v_mul_f32_e32 v2, s18, v1
	s_delay_alu instid0(VALU_DEP_3) | instskip(NEXT) | instid1(VALU_DEP_3)
	v_lshlrev_b64 v[3:4], 3, v[4:5]
	v_fma_f32 v1, v7, s18, -v8
	s_delay_alu instid0(VALU_DEP_3) | instskip(NEXT) | instid1(VALU_DEP_3)
	v_fmac_f32_e32 v2, s19, v7
	v_add_co_u32 v3, vcc_lo, v0, v3
	s_delay_alu instid0(VALU_DEP_4)
	v_add_co_ci_u32_e32 v4, vcc_lo, v6, v4, vcc_lo
	global_store_b64 v[3:4], v[1:2], off
.LBB1108_11:
	s_nop 0
	s_sendmsg sendmsg(MSG_DEALLOC_VGPRS)
	s_endpgm
	.section	.rodata,"a",@progbits
	.p2align	6, 0x0
	.amdhsa_kernel _ZL37rocblas_syrkx_herkx_restricted_kernelIl19rocblas_complex_numIfELi16ELi32ELi8ELb1ELb0ELc67ELc85EKS1_S1_EviT_T0_PT8_S3_lS6_S3_lS4_PT9_S3_li
		.amdhsa_group_segment_fixed_size 4096
		.amdhsa_private_segment_fixed_size 0
		.amdhsa_kernarg_size 108
		.amdhsa_user_sgpr_count 13
		.amdhsa_user_sgpr_dispatch_ptr 0
		.amdhsa_user_sgpr_queue_ptr 0
		.amdhsa_user_sgpr_kernarg_segment_ptr 1
		.amdhsa_user_sgpr_dispatch_id 0
		.amdhsa_user_sgpr_private_segment_size 0
		.amdhsa_wavefront_size32 1
		.amdhsa_uses_dynamic_stack 0
		.amdhsa_enable_private_segment 0
		.amdhsa_system_sgpr_workgroup_id_x 1
		.amdhsa_system_sgpr_workgroup_id_y 1
		.amdhsa_system_sgpr_workgroup_id_z 1
		.amdhsa_system_sgpr_workgroup_info 0
		.amdhsa_system_vgpr_workitem_id 1
		.amdhsa_next_free_vgpr 91
		.amdhsa_next_free_sgpr 32
		.amdhsa_reserve_vcc 1
		.amdhsa_float_round_mode_32 0
		.amdhsa_float_round_mode_16_64 0
		.amdhsa_float_denorm_mode_32 3
		.amdhsa_float_denorm_mode_16_64 3
		.amdhsa_dx10_clamp 1
		.amdhsa_ieee_mode 1
		.amdhsa_fp16_overflow 0
		.amdhsa_workgroup_processor_mode 1
		.amdhsa_memory_ordered 1
		.amdhsa_forward_progress 0
		.amdhsa_shared_vgpr_count 0
		.amdhsa_exception_fp_ieee_invalid_op 0
		.amdhsa_exception_fp_denorm_src 0
		.amdhsa_exception_fp_ieee_div_zero 0
		.amdhsa_exception_fp_ieee_overflow 0
		.amdhsa_exception_fp_ieee_underflow 0
		.amdhsa_exception_fp_ieee_inexact 0
		.amdhsa_exception_int_div_zero 0
	.end_amdhsa_kernel
	.section	.text._ZL37rocblas_syrkx_herkx_restricted_kernelIl19rocblas_complex_numIfELi16ELi32ELi8ELb1ELb0ELc67ELc85EKS1_S1_EviT_T0_PT8_S3_lS6_S3_lS4_PT9_S3_li,"axG",@progbits,_ZL37rocblas_syrkx_herkx_restricted_kernelIl19rocblas_complex_numIfELi16ELi32ELi8ELb1ELb0ELc67ELc85EKS1_S1_EviT_T0_PT8_S3_lS6_S3_lS4_PT9_S3_li,comdat
.Lfunc_end1108:
	.size	_ZL37rocblas_syrkx_herkx_restricted_kernelIl19rocblas_complex_numIfELi16ELi32ELi8ELb1ELb0ELc67ELc85EKS1_S1_EviT_T0_PT8_S3_lS6_S3_lS4_PT9_S3_li, .Lfunc_end1108-_ZL37rocblas_syrkx_herkx_restricted_kernelIl19rocblas_complex_numIfELi16ELi32ELi8ELb1ELb0ELc67ELc85EKS1_S1_EviT_T0_PT8_S3_lS6_S3_lS4_PT9_S3_li
                                        ; -- End function
	.section	.AMDGPU.csdata,"",@progbits
; Kernel info:
; codeLenInByte = 2208
; NumSgprs: 34
; NumVgprs: 91
; ScratchSize: 0
; MemoryBound: 0
; FloatMode: 240
; IeeeMode: 1
; LDSByteSize: 4096 bytes/workgroup (compile time only)
; SGPRBlocks: 4
; VGPRBlocks: 11
; NumSGPRsForWavesPerEU: 34
; NumVGPRsForWavesPerEU: 91
; Occupancy: 16
; WaveLimiterHint : 1
; COMPUTE_PGM_RSRC2:SCRATCH_EN: 0
; COMPUTE_PGM_RSRC2:USER_SGPR: 13
; COMPUTE_PGM_RSRC2:TRAP_HANDLER: 0
; COMPUTE_PGM_RSRC2:TGID_X_EN: 1
; COMPUTE_PGM_RSRC2:TGID_Y_EN: 1
; COMPUTE_PGM_RSRC2:TGID_Z_EN: 1
; COMPUTE_PGM_RSRC2:TIDIG_COMP_CNT: 1
	.section	.text._ZL37rocblas_syrkx_herkx_restricted_kernelIl19rocblas_complex_numIfELi16ELi32ELi8ELb1ELb0ELc78ELc85EKS1_S1_EviT_T0_PT8_S3_lS6_S3_lS4_PT9_S3_li,"axG",@progbits,_ZL37rocblas_syrkx_herkx_restricted_kernelIl19rocblas_complex_numIfELi16ELi32ELi8ELb1ELb0ELc78ELc85EKS1_S1_EviT_T0_PT8_S3_lS6_S3_lS4_PT9_S3_li,comdat
	.globl	_ZL37rocblas_syrkx_herkx_restricted_kernelIl19rocblas_complex_numIfELi16ELi32ELi8ELb1ELb0ELc78ELc85EKS1_S1_EviT_T0_PT8_S3_lS6_S3_lS4_PT9_S3_li ; -- Begin function _ZL37rocblas_syrkx_herkx_restricted_kernelIl19rocblas_complex_numIfELi16ELi32ELi8ELb1ELb0ELc78ELc85EKS1_S1_EviT_T0_PT8_S3_lS6_S3_lS4_PT9_S3_li
	.p2align	8
	.type	_ZL37rocblas_syrkx_herkx_restricted_kernelIl19rocblas_complex_numIfELi16ELi32ELi8ELb1ELb0ELc78ELc85EKS1_S1_EviT_T0_PT8_S3_lS6_S3_lS4_PT9_S3_li,@function
_ZL37rocblas_syrkx_herkx_restricted_kernelIl19rocblas_complex_numIfELi16ELi32ELi8ELb1ELb0ELc78ELc85EKS1_S1_EviT_T0_PT8_S3_lS6_S3_lS4_PT9_S3_li: ; @_ZL37rocblas_syrkx_herkx_restricted_kernelIl19rocblas_complex_numIfELi16ELi32ELi8ELb1ELb0ELc78ELc85EKS1_S1_EviT_T0_PT8_S3_lS6_S3_lS4_PT9_S3_li
; %bb.0:
	s_load_b512 s[16:31], s[0:1], 0x8
	v_dual_mov_b32 v14, 0 :: v_dual_mov_b32 v15, 0
	v_dual_mov_b32 v12, 0 :: v_dual_mov_b32 v13, 0
	;; [unrolled: 1-line block ×4, first 2 shown]
	v_and_b32_e32 v4, 0x3ff, v0
	v_bfe_u32 v5, v0, 10, 10
	s_lshl_b32 s8, s13, 5
	s_lshl_b32 s9, s14, 5
	s_waitcnt lgkmcnt(0)
	v_cmp_lt_i64_e64 s2, s[16:17], 1
	s_delay_alu instid0(VALU_DEP_1)
	s_and_b32 vcc_lo, exec_lo, s2
	s_cbranch_vccnz .LBB1109_3
; %bb.1:
	v_lshl_add_u32 v1, v5, 4, v4
	v_and_b32_e32 v13, 7, v4
	s_mul_i32 s3, s25, s15
	s_mul_hi_u32 s5, s24, s15
	s_mul_i32 s2, s24, s15
	v_and_b32_e32 v9, 31, v1
	v_lshrrev_b32_e32 v12, 3, v1
	v_lshrrev_b32_e32 v14, 5, v1
	s_add_i32 s3, s5, s3
	s_mul_i32 s6, s31, s15
	v_add_nc_u32_e32 v0, s8, v9
	v_add_nc_u32_e32 v2, s9, v12
	s_lshl_b64 s[2:3], s[2:3], 3
	s_mul_hi_u32 s7, s30, s15
	s_add_u32 s10, s20, s2
	v_ashrrev_i32_e32 v1, 31, v0
	v_ashrrev_i32_e32 v3, 31, v2
	s_mul_i32 s4, s30, s15
	s_addc_u32 s11, s21, s3
	s_add_i32 s5, s7, s6
	v_mad_u64_u32 v[6:7], null, v14, s22, v[0:1]
	v_mad_u64_u32 v[0:1], null, v13, s28, v[2:3]
	s_lshl_b64 s[4:5], s[4:5], 3
	s_lshl_b64 s[2:3], s[22:23], 6
	s_add_u32 s4, s26, s4
	s_addc_u32 s5, s27, s5
	s_delay_alu instid0(VALU_DEP_2) | instskip(SKIP_3) | instid1(VALU_DEP_3)
	v_mov_b32_e32 v2, v7
	v_lshlrev_b32_e32 v10, 3, v4
	v_lshl_add_u32 v11, v5, 6, 0x800
	s_mov_b64 s[6:7], 0
	v_mad_u64_u32 v[7:8], null, v14, s23, v[2:3]
	v_mad_u64_u32 v[2:3], null, v13, s29, v[1:2]
	s_delay_alu instid0(VALU_DEP_1) | instskip(NEXT) | instid1(VALU_DEP_3)
	v_dual_mov_b32 v1, v2 :: v_dual_lshlrev_b32 v8, 3, v9
	v_lshlrev_b64 v[2:3], 3, v[6:7]
	s_delay_alu instid0(VALU_DEP_2) | instskip(NEXT) | instid1(VALU_DEP_2)
	v_lshlrev_b64 v[0:1], 3, v[0:1]
	v_add_co_u32 v2, vcc_lo, s10, v2
	s_delay_alu instid0(VALU_DEP_3) | instskip(NEXT) | instid1(VALU_DEP_3)
	v_add_co_ci_u32_e32 v3, vcc_lo, s11, v3, vcc_lo
	v_add_co_u32 v6, vcc_lo, s4, v0
	s_delay_alu instid0(VALU_DEP_4) | instskip(NEXT) | instid1(VALU_DEP_4)
	v_add_co_ci_u32_e32 v7, vcc_lo, s5, v1, vcc_lo
	v_add_co_u32 v0, vcc_lo, v2, 4
	s_delay_alu instid0(VALU_DEP_4) | instskip(NEXT) | instid1(VALU_DEP_4)
	v_add_co_ci_u32_e32 v1, vcc_lo, 0, v3, vcc_lo
	v_add_co_u32 v2, vcc_lo, v6, 4
	v_dual_mov_b32 v6, 0 :: v_dual_lshlrev_b32 v15, 3, v13
	v_mov_b32_e32 v13, 0
	v_lshl_or_b32 v16, v14, 8, v8
	v_mov_b32_e32 v8, 0
	v_add_co_ci_u32_e32 v3, vcc_lo, 0, v7, vcc_lo
	v_lshl_or_b32 v9, v12, 6, v15
	v_dual_mov_b32 v7, 0 :: v_dual_mov_b32 v12, 0
	v_dual_mov_b32 v15, 0 :: v_dual_mov_b32 v14, 0
	s_delay_alu instid0(VALU_DEP_3)
	v_add_nc_u32_e32 v17, 0x800, v9
	v_mov_b32_e32 v9, 0
	s_lshl_b64 s[4:5], s[28:29], 6
.LBB1109_2:                             ; =>This Inner Loop Header: Depth=1
	global_load_b64 v[18:19], v[0:1], off offset:-4
	global_load_b64 v[20:21], v[2:3], off offset:-4
	s_add_u32 s6, s6, 8
	v_add_co_u32 v0, vcc_lo, v0, s2
	s_addc_u32 s7, s7, 0
	v_add_co_ci_u32_e32 v1, vcc_lo, s3, v1, vcc_lo
	v_cmp_ge_u64_e64 s10, s[6:7], s[16:17]
	v_add_co_u32 v2, vcc_lo, v2, s4
	v_add_co_ci_u32_e32 v3, vcc_lo, s5, v3, vcc_lo
	s_waitcnt vmcnt(1)
	ds_store_b64 v16, v[18:19]
	s_waitcnt vmcnt(0)
	ds_store_b64 v17, v[20:21]
	s_waitcnt lgkmcnt(0)
	s_barrier
	buffer_gl0_inv
	ds_load_2addr_b64 v[18:21], v10 offset1:16
	ds_load_b128 v[22:25], v11
	ds_load_b128 v[26:29], v11 offset:1024
	ds_load_b128 v[30:33], v11 offset:16
	ds_load_b128 v[34:37], v11 offset:32
	ds_load_b128 v[38:41], v11 offset:48
	ds_load_2addr_b64 v[42:45], v10 offset0:32 offset1:48
	ds_load_2addr_b64 v[46:49], v10 offset0:64 offset1:80
	ds_load_b128 v[50:53], v11 offset:1040
	ds_load_2addr_b64 v[54:57], v10 offset0:96 offset1:112
	ds_load_2addr_b64 v[58:61], v10 offset0:128 offset1:144
	ds_load_2addr_b64 v[62:65], v10 offset0:160 offset1:176
	ds_load_2addr_b64 v[66:69], v10 offset0:192 offset1:208
	ds_load_b128 v[70:73], v11 offset:1056
	ds_load_b128 v[74:77], v11 offset:1072
	ds_load_2addr_b64 v[78:81], v10 offset0:224 offset1:240
	s_and_b32 vcc_lo, exec_lo, s10
	s_waitcnt lgkmcnt(0)
	s_barrier
	buffer_gl0_inv
	v_dual_mul_f32 v82, v23, v19 :: v_dual_mul_f32 v85, v22, v21
	v_dual_mul_f32 v83, v22, v19 :: v_dual_mul_f32 v84, v23, v21
	v_mul_f32_e32 v86, v27, v19
	v_dual_mul_f32 v19, v26, v19 :: v_dual_mul_f32 v90, v25, v45
	v_dual_mul_f32 v87, v27, v21 :: v_dual_mul_f32 v88, v25, v43
	v_mul_f32_e32 v21, v26, v21
	v_mul_f32_e32 v89, v24, v43
	;; [unrolled: 1-line block ×3, first 2 shown]
	v_fma_f32 v82, v22, v18, -v82
	v_fmac_f32_e32 v83, v23, v18
	v_fma_f32 v22, v22, v20, -v84
	v_dual_fmac_f32 v85, v23, v20 :: v_dual_mul_f32 v84, v30, v47
	v_fma_f32 v23, v26, v18, -v86
	v_fmac_f32_e32 v19, v27, v18
	v_fma_f32 v18, v26, v20, -v87
	v_dual_mul_f32 v26, v28, v43 :: v_dual_fmac_f32 v21, v27, v20
	v_mul_f32_e32 v20, v29, v43
	v_mul_f32_e32 v27, v29, v45
	v_dual_mul_f32 v43, v28, v45 :: v_dual_fmac_f32 v84, v31, v46
	v_fma_f32 v45, v24, v42, -v88
	v_fma_f32 v24, v24, v44, -v90
	v_dual_fmac_f32 v91, v25, v44 :: v_dual_mul_f32 v90, v32, v57
	v_dual_mul_f32 v86, v31, v49 :: v_dual_fmac_f32 v89, v25, v42
	v_dual_mul_f32 v25, v31, v47 :: v_dual_mul_f32 v88, v33, v57
	v_fma_f32 v20, v28, v42, -v20
	v_fmac_f32_e32 v26, v29, v42
	v_fma_f32 v27, v28, v44, -v27
	v_dual_fmac_f32 v43, v29, v44 :: v_dual_mul_f32 v28, v51, v47
	v_dual_mul_f32 v29, v50, v47 :: v_dual_mul_f32 v42, v51, v49
	v_mul_f32_e32 v44, v50, v49
	v_mul_f32_e32 v87, v30, v49
	;; [unrolled: 1-line block ×3, first 2 shown]
	v_dual_mul_f32 v49, v32, v55 :: v_dual_fmac_f32 v90, v33, v56
	v_fma_f32 v25, v30, v46, -v25
	v_fma_f32 v30, v30, v48, -v86
	;; [unrolled: 1-line block ×3, first 2 shown]
	v_fmac_f32_e32 v44, v51, v48
	v_fmac_f32_e32 v87, v31, v48
	v_fma_f32 v31, v50, v48, -v42
	v_mul_f32_e32 v42, v53, v55
	v_mul_f32_e32 v48, v53, v57
	v_dual_mul_f32 v50, v52, v57 :: v_dual_fmac_f32 v29, v51, v46
	v_mul_f32_e32 v46, v52, v55
	v_fma_f32 v47, v32, v54, -v47
	v_fmac_f32_e32 v49, v33, v54
	v_fma_f32 v32, v32, v56, -v88
	s_delay_alu instid0(VALU_DEP_4)
	v_dual_mul_f32 v33, v35, v59 :: v_dual_fmac_f32 v46, v53, v54
	v_mul_f32_e32 v51, v34, v59
	v_mul_f32_e32 v55, v35, v61
	v_fma_f32 v42, v52, v54, -v42
	v_fma_f32 v48, v52, v56, -v48
	v_fmac_f32_e32 v50, v53, v56
	v_mul_f32_e32 v52, v71, v59
	v_dual_mul_f32 v53, v70, v59 :: v_dual_mul_f32 v86, v37, v65
	v_mul_f32_e32 v54, v71, v61
	v_dual_mul_f32 v56, v70, v61 :: v_dual_mul_f32 v59, v37, v63
	v_mul_f32_e32 v57, v34, v61
	v_mul_f32_e32 v61, v36, v63
	v_dual_mul_f32 v88, v36, v65 :: v_dual_fmac_f32 v51, v35, v58
	v_fma_f32 v33, v34, v58, -v33
	v_fmac_f32_e32 v53, v71, v58
	v_fmac_f32_e32 v56, v71, v60
	s_delay_alu instid0(VALU_DEP_4)
	v_fmac_f32_e32 v88, v37, v64
	v_fmac_f32_e32 v57, v35, v60
	v_fma_f32 v35, v70, v58, -v52
	v_fma_f32 v52, v70, v60, -v54
	v_mul_f32_e32 v54, v73, v63
	v_fma_f32 v34, v34, v60, -v55
	v_mul_f32_e32 v60, v72, v65
	v_dual_mul_f32 v55, v72, v63 :: v_dual_mul_f32 v70, v38, v69
	v_mul_f32_e32 v58, v73, v65
	v_fma_f32 v59, v36, v62, -v59
	v_fmac_f32_e32 v61, v37, v62
	v_fma_f32 v36, v36, v64, -v86
	v_dual_mul_f32 v37, v39, v67 :: v_dual_fmac_f32 v60, v73, v64
	v_dual_mul_f32 v63, v38, v67 :: v_dual_mul_f32 v86, v40, v81
	v_mul_f32_e32 v65, v39, v69
	v_fma_f32 v54, v72, v62, -v54
	v_fmac_f32_e32 v55, v73, v62
	v_fma_f32 v58, v72, v64, -v58
	v_mul_f32_e32 v72, v40, v79
	v_mul_f32_e32 v62, v75, v67
	v_dual_mul_f32 v64, v74, v67 :: v_dual_mul_f32 v67, v75, v69
	v_dual_mul_f32 v69, v74, v69 :: v_dual_fmac_f32 v70, v39, v68
	s_delay_alu instid0(VALU_DEP_2)
	v_dual_mul_f32 v71, v41, v79 :: v_dual_fmac_f32 v64, v75, v66
	v_fma_f32 v37, v38, v66, -v37
	v_fmac_f32_e32 v63, v39, v66
	v_fma_f32 v39, v74, v66, -v62
	v_dual_mul_f32 v66, v76, v79 :: v_dual_mul_f32 v73, v41, v81
	v_add_f32_e32 v14, v14, v82
	v_fma_f32 v38, v38, v68, -v65
	v_fma_f32 v62, v74, v68, -v67
	v_dual_fmac_f32 v69, v75, v68 :: v_dual_fmac_f32 v72, v41, v78
	v_dual_mul_f32 v65, v77, v79 :: v_dual_add_f32 v12, v12, v22
	v_dual_mul_f32 v67, v77, v81 :: v_dual_add_f32 v8, v8, v23
	v_mul_f32_e32 v68, v76, v81
	v_dual_fmac_f32 v86, v41, v80 :: v_dual_add_f32 v15, v15, v83
	v_dual_fmac_f32 v66, v77, v78 :: v_dual_add_f32 v7, v7, v21
	v_dual_add_f32 v13, v13, v85 :: v_dual_add_f32 v6, v6, v18
	v_dual_add_f32 v9, v9, v19 :: v_dual_add_f32 v14, v14, v45
	s_delay_alu instid0(VALU_DEP_4) | instskip(NEXT) | instid1(VALU_DEP_3)
	v_dual_fmac_f32 v68, v77, v80 :: v_dual_add_f32 v15, v15, v89
	v_dual_add_f32 v12, v12, v24 :: v_dual_add_f32 v13, v13, v91
	s_delay_alu instid0(VALU_DEP_3) | instskip(NEXT) | instid1(VALU_DEP_3)
	v_dual_add_f32 v8, v8, v20 :: v_dual_add_f32 v9, v9, v26
	v_dual_add_f32 v6, v6, v27 :: v_dual_add_f32 v15, v15, v84
	;; [unrolled: 1-line block ×3, first 2 shown]
	s_delay_alu instid0(VALU_DEP_4) | instskip(NEXT) | instid1(VALU_DEP_4)
	v_dual_add_f32 v12, v12, v30 :: v_dual_add_f32 v13, v13, v87
	v_dual_add_f32 v8, v8, v28 :: v_dual_add_f32 v9, v9, v29
	s_delay_alu instid0(VALU_DEP_3) | instskip(NEXT) | instid1(VALU_DEP_4)
	v_dual_add_f32 v6, v6, v31 :: v_dual_add_f32 v7, v7, v44
	v_dual_add_f32 v14, v14, v47 :: v_dual_add_f32 v15, v15, v49
	s_delay_alu instid0(VALU_DEP_4) | instskip(NEXT) | instid1(VALU_DEP_4)
	v_dual_add_f32 v12, v12, v32 :: v_dual_add_f32 v13, v13, v90
	v_add_f32_e32 v8, v8, v42
	s_delay_alu instid0(VALU_DEP_4) | instskip(NEXT) | instid1(VALU_DEP_4)
	v_dual_add_f32 v9, v9, v46 :: v_dual_add_f32 v6, v6, v48
	v_dual_add_f32 v7, v7, v50 :: v_dual_add_f32 v14, v14, v33
	s_delay_alu instid0(VALU_DEP_4) | instskip(NEXT) | instid1(VALU_DEP_4)
	v_dual_add_f32 v15, v15, v51 :: v_dual_add_f32 v12, v12, v34
	v_dual_add_f32 v13, v13, v57 :: v_dual_add_f32 v8, v8, v35
	s_delay_alu instid0(VALU_DEP_4) | instskip(NEXT) | instid1(VALU_DEP_3)
	v_dual_add_f32 v9, v9, v53 :: v_dual_add_f32 v6, v6, v52
	v_add_f32_e32 v15, v15, v61
	v_dual_add_f32 v7, v7, v56 :: v_dual_add_f32 v14, v14, v59
	s_delay_alu instid0(VALU_DEP_3) | instskip(SKIP_1) | instid1(VALU_DEP_3)
	v_dual_add_f32 v12, v12, v36 :: v_dual_add_f32 v9, v9, v55
	v_dual_add_f32 v13, v13, v88 :: v_dual_add_f32 v8, v8, v54
	;; [unrolled: 1-line block ×3, first 2 shown]
	v_fma_f32 v71, v40, v78, -v71
	v_fma_f32 v40, v40, v80, -v73
	;; [unrolled: 1-line block ×4, first 2 shown]
	v_dual_add_f32 v14, v14, v37 :: v_dual_add_f32 v15, v15, v63
	v_dual_add_f32 v12, v12, v38 :: v_dual_add_f32 v9, v9, v64
	;; [unrolled: 1-line block ×4, first 2 shown]
	s_delay_alu instid0(VALU_DEP_4) | instskip(NEXT) | instid1(VALU_DEP_3)
	v_dual_add_f32 v14, v14, v71 :: v_dual_add_f32 v15, v15, v72
	v_dual_add_f32 v12, v12, v40 :: v_dual_add_f32 v13, v13, v86
	s_delay_alu instid0(VALU_DEP_4) | instskip(NEXT) | instid1(VALU_DEP_4)
	v_dual_add_f32 v8, v8, v41 :: v_dual_add_f32 v9, v9, v66
	v_dual_add_f32 v6, v6, v65 :: v_dual_add_f32 v7, v7, v68
	s_cbranch_vccz .LBB1109_2
.LBB1109_3:
	s_clause 0x1
	s_load_b128 s[4:7], s[0:1], 0x50
	s_load_b32 s2, s[0:1], 0x0
	v_add_nc_u32_e32 v5, s9, v5
	s_load_b64 s[10:11], s[0:1], 0x60
	s_delay_alu instid0(VALU_DEP_1) | instskip(SKIP_1) | instid1(VALU_DEP_1)
	v_ashrrev_i32_e32 v0, 31, v5
	s_waitcnt lgkmcnt(0)
	v_mul_lo_u32 v3, v0, s6
	v_mul_lo_u32 v10, v5, s7
	v_mad_u64_u32 v[1:2], null, v5, s6, 0
	s_mul_i32 s1, s15, s11
	s_mul_hi_u32 s3, s15, s10
	v_add_nc_u32_e32 v0, s8, v4
	s_mul_i32 s8, s15, s10
	s_add_i32 s9, s3, s1
	v_cmp_gt_i32_e32 vcc_lo, s2, v5
	s_delay_alu instid0(VALU_DEP_3)
	v_add3_u32 v2, v2, v10, v3
	s_lshl_b64 s[8:9], s[8:9], 3
	v_cmp_le_i32_e64 s0, v0, v5
	s_add_u32 s3, s4, s8
	s_addc_u32 s4, s5, s9
	v_lshlrev_b64 v[1:2], 3, v[1:2]
	s_delay_alu instid0(VALU_DEP_2) | instskip(NEXT) | instid1(VALU_DEP_1)
	s_and_b32 s0, vcc_lo, s0
	v_add_co_u32 v4, s1, s3, v1
	s_delay_alu instid0(VALU_DEP_1)
	v_add_co_ci_u32_e64 v10, s1, s4, v2, s1
	s_and_saveexec_b32 s1, s0
	s_cbranch_execz .LBB1109_5
; %bb.4:
	v_ashrrev_i32_e32 v1, 31, v0
	v_mul_f32_e32 v2, s18, v15
	v_mul_f32_e32 v3, s19, v15
	s_delay_alu instid0(VALU_DEP_3) | instskip(NEXT) | instid1(VALU_DEP_3)
	v_lshlrev_b64 v[15:16], 3, v[0:1]
	v_fmac_f32_e32 v2, s19, v14
	s_delay_alu instid0(VALU_DEP_3) | instskip(NEXT) | instid1(VALU_DEP_3)
	v_fma_f32 v1, v14, s18, -v3
	v_add_co_u32 v14, s0, v4, v15
	s_delay_alu instid0(VALU_DEP_1)
	v_add_co_ci_u32_e64 v15, s0, v10, v16, s0
	global_store_b64 v[14:15], v[1:2], off
.LBB1109_5:
	s_or_b32 exec_lo, exec_lo, s1
	v_add_nc_u32_e32 v2, 16, v0
	s_delay_alu instid0(VALU_DEP_1) | instskip(NEXT) | instid1(VALU_DEP_1)
	v_cmp_le_i32_e64 s0, v2, v5
	s_and_b32 s1, vcc_lo, s0
	s_delay_alu instid0(SALU_CYCLE_1)
	s_and_saveexec_b32 s0, s1
	s_cbranch_execz .LBB1109_7
; %bb.6:
	v_ashrrev_i32_e32 v3, 31, v2
	v_mul_f32_e32 v14, s18, v13
	v_mul_f32_e32 v1, s19, v13
	s_delay_alu instid0(VALU_DEP_3) | instskip(NEXT) | instid1(VALU_DEP_3)
	v_lshlrev_b64 v[15:16], 3, v[2:3]
	v_fmac_f32_e32 v14, s19, v12
	s_delay_alu instid0(VALU_DEP_3) | instskip(NEXT) | instid1(VALU_DEP_3)
	v_fma_f32 v13, v12, s18, -v1
	v_add_co_u32 v3, vcc_lo, v4, v15
	s_delay_alu instid0(VALU_DEP_4)
	v_add_co_ci_u32_e32 v4, vcc_lo, v10, v16, vcc_lo
	global_store_b64 v[3:4], v[13:14], off
.LBB1109_7:
	s_or_b32 exec_lo, exec_lo, s0
	v_add_nc_u32_e32 v3, 16, v5
	s_delay_alu instid0(VALU_DEP_1) | instskip(SKIP_3) | instid1(VALU_DEP_4)
	v_ashrrev_i32_e32 v1, 31, v3
	v_mul_lo_u32 v10, v3, s7
	v_mad_u64_u32 v[4:5], null, v3, s6, 0
	v_cmp_gt_i32_e32 vcc_lo, s2, v3
	v_mul_lo_u32 v1, v1, s6
	v_cmp_le_i32_e64 s0, v0, v3
	s_delay_alu instid0(VALU_DEP_1) | instskip(NEXT) | instid1(VALU_DEP_2)
	s_and_b32 s0, vcc_lo, s0
	v_add3_u32 v5, v5, v10, v1
	s_delay_alu instid0(VALU_DEP_1) | instskip(NEXT) | instid1(VALU_DEP_1)
	v_lshlrev_b64 v[4:5], 3, v[4:5]
	v_add_co_u32 v4, s1, s3, v4
	s_delay_alu instid0(VALU_DEP_1)
	v_add_co_ci_u32_e64 v5, s1, s4, v5, s1
	s_and_saveexec_b32 s1, s0
	s_cbranch_execz .LBB1109_9
; %bb.8:
	v_ashrrev_i32_e32 v1, 31, v0
	v_mul_f32_e32 v10, s18, v9
	v_mul_f32_e32 v11, s19, v9
	s_delay_alu instid0(VALU_DEP_3) | instskip(NEXT) | instid1(VALU_DEP_3)
	v_lshlrev_b64 v[0:1], 3, v[0:1]
	v_fmac_f32_e32 v10, s19, v8
	s_delay_alu instid0(VALU_DEP_3) | instskip(NEXT) | instid1(VALU_DEP_3)
	v_fma_f32 v9, v8, s18, -v11
	v_add_co_u32 v0, s0, v4, v0
	s_delay_alu instid0(VALU_DEP_1)
	v_add_co_ci_u32_e64 v1, s0, v5, v1, s0
	global_store_b64 v[0:1], v[9:10], off
.LBB1109_9:
	s_or_b32 exec_lo, exec_lo, s1
	v_cmp_le_i32_e64 s0, v2, v3
	s_delay_alu instid0(VALU_DEP_1) | instskip(NEXT) | instid1(SALU_CYCLE_1)
	s_and_b32 s0, vcc_lo, s0
	s_and_saveexec_b32 s1, s0
	s_cbranch_execz .LBB1109_11
; %bb.10:
	v_ashrrev_i32_e32 v3, 31, v2
	v_mul_f32_e32 v1, s18, v7
	v_mul_f32_e32 v0, s19, v7
	s_delay_alu instid0(VALU_DEP_3) | instskip(NEXT) | instid1(VALU_DEP_3)
	v_lshlrev_b64 v[2:3], 3, v[2:3]
	v_fmac_f32_e32 v1, s19, v6
	s_delay_alu instid0(VALU_DEP_3) | instskip(NEXT) | instid1(VALU_DEP_3)
	v_fma_f32 v0, v6, s18, -v0
	v_add_co_u32 v2, vcc_lo, v4, v2
	s_delay_alu instid0(VALU_DEP_4)
	v_add_co_ci_u32_e32 v3, vcc_lo, v5, v3, vcc_lo
	global_store_b64 v[2:3], v[0:1], off
.LBB1109_11:
	s_nop 0
	s_sendmsg sendmsg(MSG_DEALLOC_VGPRS)
	s_endpgm
	.section	.rodata,"a",@progbits
	.p2align	6, 0x0
	.amdhsa_kernel _ZL37rocblas_syrkx_herkx_restricted_kernelIl19rocblas_complex_numIfELi16ELi32ELi8ELb1ELb0ELc78ELc85EKS1_S1_EviT_T0_PT8_S3_lS6_S3_lS4_PT9_S3_li
		.amdhsa_group_segment_fixed_size 4096
		.amdhsa_private_segment_fixed_size 0
		.amdhsa_kernarg_size 108
		.amdhsa_user_sgpr_count 13
		.amdhsa_user_sgpr_dispatch_ptr 0
		.amdhsa_user_sgpr_queue_ptr 0
		.amdhsa_user_sgpr_kernarg_segment_ptr 1
		.amdhsa_user_sgpr_dispatch_id 0
		.amdhsa_user_sgpr_private_segment_size 0
		.amdhsa_wavefront_size32 1
		.amdhsa_uses_dynamic_stack 0
		.amdhsa_enable_private_segment 0
		.amdhsa_system_sgpr_workgroup_id_x 1
		.amdhsa_system_sgpr_workgroup_id_y 1
		.amdhsa_system_sgpr_workgroup_id_z 1
		.amdhsa_system_sgpr_workgroup_info 0
		.amdhsa_system_vgpr_workitem_id 1
		.amdhsa_next_free_vgpr 92
		.amdhsa_next_free_sgpr 32
		.amdhsa_reserve_vcc 1
		.amdhsa_float_round_mode_32 0
		.amdhsa_float_round_mode_16_64 0
		.amdhsa_float_denorm_mode_32 3
		.amdhsa_float_denorm_mode_16_64 3
		.amdhsa_dx10_clamp 1
		.amdhsa_ieee_mode 1
		.amdhsa_fp16_overflow 0
		.amdhsa_workgroup_processor_mode 1
		.amdhsa_memory_ordered 1
		.amdhsa_forward_progress 0
		.amdhsa_shared_vgpr_count 0
		.amdhsa_exception_fp_ieee_invalid_op 0
		.amdhsa_exception_fp_denorm_src 0
		.amdhsa_exception_fp_ieee_div_zero 0
		.amdhsa_exception_fp_ieee_overflow 0
		.amdhsa_exception_fp_ieee_underflow 0
		.amdhsa_exception_fp_ieee_inexact 0
		.amdhsa_exception_int_div_zero 0
	.end_amdhsa_kernel
	.section	.text._ZL37rocblas_syrkx_herkx_restricted_kernelIl19rocblas_complex_numIfELi16ELi32ELi8ELb1ELb0ELc78ELc85EKS1_S1_EviT_T0_PT8_S3_lS6_S3_lS4_PT9_S3_li,"axG",@progbits,_ZL37rocblas_syrkx_herkx_restricted_kernelIl19rocblas_complex_numIfELi16ELi32ELi8ELb1ELb0ELc78ELc85EKS1_S1_EviT_T0_PT8_S3_lS6_S3_lS4_PT9_S3_li,comdat
.Lfunc_end1109:
	.size	_ZL37rocblas_syrkx_herkx_restricted_kernelIl19rocblas_complex_numIfELi16ELi32ELi8ELb1ELb0ELc78ELc85EKS1_S1_EviT_T0_PT8_S3_lS6_S3_lS4_PT9_S3_li, .Lfunc_end1109-_ZL37rocblas_syrkx_herkx_restricted_kernelIl19rocblas_complex_numIfELi16ELi32ELi8ELb1ELb0ELc78ELc85EKS1_S1_EviT_T0_PT8_S3_lS6_S3_lS4_PT9_S3_li
                                        ; -- End function
	.section	.AMDGPU.csdata,"",@progbits
; Kernel info:
; codeLenInByte = 2224
; NumSgprs: 34
; NumVgprs: 92
; ScratchSize: 0
; MemoryBound: 0
; FloatMode: 240
; IeeeMode: 1
; LDSByteSize: 4096 bytes/workgroup (compile time only)
; SGPRBlocks: 4
; VGPRBlocks: 11
; NumSGPRsForWavesPerEU: 34
; NumVGPRsForWavesPerEU: 92
; Occupancy: 16
; WaveLimiterHint : 1
; COMPUTE_PGM_RSRC2:SCRATCH_EN: 0
; COMPUTE_PGM_RSRC2:USER_SGPR: 13
; COMPUTE_PGM_RSRC2:TRAP_HANDLER: 0
; COMPUTE_PGM_RSRC2:TGID_X_EN: 1
; COMPUTE_PGM_RSRC2:TGID_Y_EN: 1
; COMPUTE_PGM_RSRC2:TGID_Z_EN: 1
; COMPUTE_PGM_RSRC2:TIDIG_COMP_CNT: 1
	.section	.text._ZL37rocblas_syrkx_herkx_restricted_kernelIl19rocblas_complex_numIfELi16ELi32ELi8ELb0ELb0ELc84ELc76EKS1_S1_EviT_T0_PT8_S3_lS6_S3_lS4_PT9_S3_li,"axG",@progbits,_ZL37rocblas_syrkx_herkx_restricted_kernelIl19rocblas_complex_numIfELi16ELi32ELi8ELb0ELb0ELc84ELc76EKS1_S1_EviT_T0_PT8_S3_lS6_S3_lS4_PT9_S3_li,comdat
	.globl	_ZL37rocblas_syrkx_herkx_restricted_kernelIl19rocblas_complex_numIfELi16ELi32ELi8ELb0ELb0ELc84ELc76EKS1_S1_EviT_T0_PT8_S3_lS6_S3_lS4_PT9_S3_li ; -- Begin function _ZL37rocblas_syrkx_herkx_restricted_kernelIl19rocblas_complex_numIfELi16ELi32ELi8ELb0ELb0ELc84ELc76EKS1_S1_EviT_T0_PT8_S3_lS6_S3_lS4_PT9_S3_li
	.p2align	8
	.type	_ZL37rocblas_syrkx_herkx_restricted_kernelIl19rocblas_complex_numIfELi16ELi32ELi8ELb0ELb0ELc84ELc76EKS1_S1_EviT_T0_PT8_S3_lS6_S3_lS4_PT9_S3_li,@function
_ZL37rocblas_syrkx_herkx_restricted_kernelIl19rocblas_complex_numIfELi16ELi32ELi8ELb0ELb0ELc84ELc76EKS1_S1_EviT_T0_PT8_S3_lS6_S3_lS4_PT9_S3_li: ; @_ZL37rocblas_syrkx_herkx_restricted_kernelIl19rocblas_complex_numIfELi16ELi32ELi8ELb0ELb0ELc84ELc76EKS1_S1_EviT_T0_PT8_S3_lS6_S3_lS4_PT9_S3_li
; %bb.0:
	s_load_b512 s[16:31], s[0:1], 0x8
	v_dual_mov_b32 v14, 0 :: v_dual_mov_b32 v11, 0
	v_dual_mov_b32 v16, 0 :: v_dual_mov_b32 v9, 0
	v_dual_mov_b32 v12, 0 :: v_dual_and_b32 v7, 0x3ff, v0
	v_dual_mov_b32 v10, 0 :: v_dual_mov_b32 v1, 0
	v_mov_b32_e32 v6, 0
	v_bfe_u32 v8, v0, 10, 10
	s_lshl_b32 s12, s13, 5
	s_lshl_b32 s13, s14, 5
	s_waitcnt lgkmcnt(0)
	v_cmp_lt_i64_e64 s2, s[16:17], 1
	s_delay_alu instid0(VALU_DEP_1)
	s_and_b32 vcc_lo, exec_lo, s2
	s_cbranch_vccnz .LBB1110_3
; %bb.1:
	v_lshl_add_u32 v2, v8, 4, v7
	v_dual_mov_b32 v1, 0 :: v_dual_and_b32 v0, 7, v7
	s_mul_i32 s3, s25, s15
	s_mul_hi_u32 s4, s24, s15
	s_delay_alu instid0(VALU_DEP_2)
	v_and_b32_e32 v6, 31, v2
	v_lshrrev_b32_e32 v11, 3, v2
	v_mov_b32_e32 v3, v1
	v_lshrrev_b32_e32 v2, 5, v2
	v_lshlrev_b32_e32 v14, 3, v0
	v_add_nc_u32_e32 v9, s12, v6
	v_add_nc_u32_e32 v12, s13, v11
	s_mul_i32 s2, s24, s15
	s_add_i32 s3, s4, s3
	s_mul_hi_u32 s5, s30, s15
	v_ashrrev_i32_e32 v10, 31, v9
	v_ashrrev_i32_e32 v15, 31, v12
	v_mad_u64_u32 v[4:5], null, s22, v9, v[2:3]
	v_mul_lo_u32 v3, s23, v9
	s_delay_alu instid0(VALU_DEP_4)
	v_mul_lo_u32 v16, s22, v10
	v_mul_lo_u32 v17, v12, s29
	v_mad_u64_u32 v[9:10], null, v12, s28, v[0:1]
	v_mul_lo_u32 v12, v15, s28
	v_lshlrev_b32_e32 v0, 3, v6
	s_lshl_b64 s[2:3], s[2:3], 3
	v_lshl_or_b32 v6, v11, 6, v14
	v_add3_u32 v5, v3, v5, v16
	s_add_u32 s4, s20, s2
	v_lshl_or_b32 v0, v2, 8, v0
	s_mul_i32 s2, s31, s15
	v_add3_u32 v10, v12, v10, v17
	v_lshlrev_b64 v[2:3], 3, v[4:5]
	s_addc_u32 s6, s21, s3
	s_add_i32 s3, s5, s2
	s_mul_i32 s2, s30, s15
	v_lshlrev_b64 v[4:5], 3, v[9:10]
	v_mov_b32_e32 v9, v1
	s_lshl_b64 s[2:3], s[2:3], 3
	v_add_co_u32 v2, vcc_lo, s4, v2
	s_add_u32 s2, s26, s2
	v_add_co_ci_u32_e32 v3, vcc_lo, s6, v3, vcc_lo
	s_addc_u32 s3, s27, s3
	v_add_co_u32 v4, vcc_lo, s2, v4
	v_add_co_ci_u32_e32 v5, vcc_lo, s3, v5, vcc_lo
	v_add_co_u32 v2, vcc_lo, v2, 4
	v_add_co_ci_u32_e32 v3, vcc_lo, 0, v3, vcc_lo
	s_delay_alu instid0(VALU_DEP_4)
	v_add_co_u32 v4, vcc_lo, v4, 4
	v_lshlrev_b32_e32 v13, 3, v7
	v_dual_mov_b32 v12, v1 :: v_dual_add_nc_u32 v15, 0x800, v6
	v_lshl_add_u32 v17, v8, 6, 0x800
	v_add_co_ci_u32_e32 v5, vcc_lo, 0, v5, vcc_lo
	v_mov_b32_e32 v6, v1
	v_mov_b32_e32 v10, v1
	;; [unrolled: 1-line block ×5, first 2 shown]
	s_mov_b64 s[2:3], 0
.LBB1110_2:                             ; =>This Inner Loop Header: Depth=1
	global_load_b64 v[18:19], v[2:3], off offset:-4
	global_load_b64 v[20:21], v[4:5], off offset:-4
	s_add_u32 s2, s2, 8
	v_add_co_u32 v2, vcc_lo, v2, 64
	s_addc_u32 s3, s3, 0
	v_add_co_ci_u32_e32 v3, vcc_lo, 0, v3, vcc_lo
	v_cmp_ge_u64_e64 s4, s[2:3], s[16:17]
	v_add_co_u32 v4, vcc_lo, v4, 64
	v_add_co_ci_u32_e32 v5, vcc_lo, 0, v5, vcc_lo
	s_waitcnt vmcnt(1)
	ds_store_b64 v0, v[18:19]
	s_waitcnt vmcnt(0)
	ds_store_b64 v15, v[20:21]
	s_waitcnt lgkmcnt(0)
	s_barrier
	buffer_gl0_inv
	ds_load_2addr_b64 v[18:21], v13 offset1:16
	ds_load_b128 v[22:25], v17
	ds_load_b128 v[26:29], v17 offset:1024
	ds_load_b128 v[30:33], v17 offset:16
	;; [unrolled: 1-line block ×4, first 2 shown]
	ds_load_2addr_b64 v[42:45], v13 offset0:32 offset1:48
	ds_load_2addr_b64 v[46:49], v13 offset0:64 offset1:80
	ds_load_b128 v[50:53], v17 offset:1040
	ds_load_2addr_b64 v[54:57], v13 offset0:96 offset1:112
	ds_load_2addr_b64 v[58:61], v13 offset0:128 offset1:144
	;; [unrolled: 1-line block ×4, first 2 shown]
	ds_load_b128 v[70:73], v17 offset:1056
	ds_load_b128 v[74:77], v17 offset:1072
	ds_load_2addr_b64 v[78:81], v13 offset0:224 offset1:240
	s_and_b32 vcc_lo, exec_lo, s4
	s_waitcnt lgkmcnt(0)
	s_barrier
	buffer_gl0_inv
	v_dual_mul_f32 v82, v23, v19 :: v_dual_mul_f32 v85, v22, v21
	v_dual_mul_f32 v83, v22, v19 :: v_dual_mul_f32 v84, v23, v21
	v_mul_f32_e32 v86, v27, v19
	v_dual_mul_f32 v19, v26, v19 :: v_dual_mul_f32 v90, v25, v45
	v_dual_mul_f32 v87, v27, v21 :: v_dual_mul_f32 v88, v25, v43
	v_mul_f32_e32 v21, v26, v21
	v_fma_f32 v82, v22, v18, -v82
	v_fmac_f32_e32 v83, v23, v18
	v_fma_f32 v22, v22, v20, -v84
	v_fmac_f32_e32 v85, v23, v20
	v_fma_f32 v23, v26, v18, -v86
	v_dual_fmac_f32 v19, v27, v18 :: v_dual_mul_f32 v86, v30, v47
	v_fma_f32 v18, v26, v20, -v87
	v_dual_fmac_f32 v21, v27, v20 :: v_dual_mul_f32 v20, v24, v45
	v_mul_f32_e32 v89, v24, v43
	v_mul_f32_e32 v26, v29, v43
	;; [unrolled: 1-line block ×4, first 2 shown]
	v_fmac_f32_e32 v20, v25, v44
	v_fmac_f32_e32 v89, v25, v42
	v_dual_mul_f32 v25, v28, v45 :: v_dual_fmac_f32 v86, v31, v46
	v_fma_f32 v84, v24, v42, -v88
	v_fma_f32 v24, v24, v44, -v90
	v_dual_mul_f32 v45, v31, v47 :: v_dual_mul_f32 v90, v33, v57
	v_fma_f32 v26, v28, v42, -v26
	v_fma_f32 v28, v28, v44, -v43
	v_fmac_f32_e32 v25, v29, v44
	v_dual_mul_f32 v43, v50, v47 :: v_dual_mul_f32 v44, v51, v49
	v_dual_fmac_f32 v27, v29, v42 :: v_dual_mul_f32 v42, v51, v47
	v_dual_mul_f32 v88, v32, v55 :: v_dual_mul_f32 v29, v30, v49
	v_mul_f32_e32 v87, v31, v49
	v_fma_f32 v45, v30, v46, -v45
	v_add_f32_e32 v14, v14, v82
	s_delay_alu instid0(VALU_DEP_4)
	v_dual_fmac_f32 v88, v33, v54 :: v_dual_fmac_f32 v29, v31, v48
	v_fma_f32 v31, v50, v46, -v42
	v_fma_f32 v42, v50, v48, -v44
	v_mul_f32_e32 v44, v32, v57
	v_mul_f32_e32 v47, v50, v49
	v_dual_mul_f32 v50, v53, v57 :: v_dual_fmac_f32 v43, v51, v46
	v_mul_f32_e32 v46, v53, v55
	v_mul_f32_e32 v49, v33, v55
	v_fma_f32 v30, v30, v48, -v87
	v_fmac_f32_e32 v44, v33, v56
	v_dual_fmac_f32 v47, v51, v48 :: v_dual_mul_f32 v48, v52, v55
	v_mul_f32_e32 v33, v52, v57
	v_fma_f32 v46, v52, v54, -v46
	v_fma_f32 v50, v52, v56, -v50
	v_mul_f32_e32 v52, v34, v61
	v_fma_f32 v49, v32, v54, -v49
	v_fma_f32 v32, v32, v56, -v90
	v_dual_mul_f32 v51, v35, v59 :: v_dual_fmac_f32 v48, v53, v54
	v_mul_f32_e32 v54, v70, v59
	v_dual_mul_f32 v55, v34, v59 :: v_dual_fmac_f32 v52, v35, v60
	v_fmac_f32_e32 v33, v53, v56
	v_mul_f32_e32 v53, v71, v59
	v_mul_f32_e32 v56, v71, v61
	;; [unrolled: 1-line block ×3, first 2 shown]
	v_fmac_f32_e32 v54, v71, v58
	v_fmac_f32_e32 v55, v35, v58
	v_fma_f32 v35, v70, v58, -v53
	v_fma_f32 v53, v70, v60, -v56
	v_mul_f32_e32 v56, v36, v65
	v_mul_f32_e32 v59, v70, v61
	v_fma_f32 v51, v34, v58, -v51
	v_mul_f32_e32 v58, v72, v63
	v_mul_f32_e32 v87, v36, v63
	;; [unrolled: 1-line block ×4, first 2 shown]
	v_fma_f32 v34, v34, v60, -v57
	v_mul_f32_e32 v57, v73, v63
	v_fmac_f32_e32 v56, v37, v64
	v_dual_fmac_f32 v59, v71, v60 :: v_dual_mul_f32 v60, v73, v65
	v_mul_f32_e32 v63, v39, v67
	v_mul_f32_e32 v70, v39, v69
	v_fmac_f32_e32 v58, v73, v62
	v_fmac_f32_e32 v87, v37, v62
	v_mul_f32_e32 v37, v72, v65
	v_fma_f32 v61, v36, v62, -v61
	v_fma_f32 v36, v36, v64, -v90
	v_mul_f32_e32 v65, v38, v67
	v_fma_f32 v57, v72, v62, -v57
	v_fma_f32 v60, v72, v64, -v60
	v_dual_fmac_f32 v37, v73, v64 :: v_dual_mul_f32 v62, v38, v69
	v_mul_f32_e32 v64, v75, v67
	v_fma_f32 v63, v38, v66, -v63
	v_fma_f32 v38, v38, v68, -v70
	v_mul_f32_e32 v70, v76, v79
	v_mul_f32_e32 v67, v74, v67
	;; [unrolled: 1-line block ×3, first 2 shown]
	v_dual_mul_f32 v69, v74, v69 :: v_dual_add_f32 v16, v16, v83
	v_dual_mul_f32 v73, v40, v79 :: v_dual_add_f32 v6, v6, v18
	v_dual_fmac_f32 v65, v39, v66 :: v_dual_add_f32 v12, v12, v85
	v_fmac_f32_e32 v62, v39, v68
	v_fma_f32 v39, v74, v66, -v64
	v_fmac_f32_e32 v70, v77, v78
	v_dual_fmac_f32 v67, v75, v66 :: v_dual_add_f32 v10, v10, v19
	v_mul_f32_e32 v66, v40, v81
	v_mul_f32_e32 v72, v41, v79
	v_mul_f32_e32 v90, v41, v81
	v_fma_f32 v64, v74, v68, -v71
	v_dual_fmac_f32 v69, v75, v68 :: v_dual_add_f32 v16, v16, v89
	v_dual_mul_f32 v71, v77, v81 :: v_dual_add_f32 v14, v14, v84
	v_dual_fmac_f32 v73, v41, v78 :: v_dual_add_f32 v12, v12, v20
	v_dual_fmac_f32 v66, v41, v80 :: v_dual_mul_f32 v41, v76, v81
	v_dual_add_f32 v10, v10, v27 :: v_dual_add_f32 v11, v11, v22
	v_dual_add_f32 v6, v6, v28 :: v_dual_add_f32 v9, v9, v23
	;; [unrolled: 1-line block ×3, first 2 shown]
	s_delay_alu instid0(VALU_DEP_3) | instskip(NEXT) | instid1(VALU_DEP_4)
	v_dual_add_f32 v10, v10, v43 :: v_dual_fmac_f32 v41, v77, v80
	v_dual_add_f32 v14, v14, v45 :: v_dual_add_f32 v11, v11, v24
	s_delay_alu instid0(VALU_DEP_4) | instskip(NEXT) | instid1(VALU_DEP_4)
	v_dual_add_f32 v12, v12, v29 :: v_dual_add_f32 v9, v9, v26
	v_dual_add_f32 v1, v1, v25 :: v_dual_add_f32 v6, v6, v42
	s_delay_alu instid0(VALU_DEP_3) | instskip(NEXT) | instid1(VALU_DEP_3)
	v_dual_add_f32 v11, v11, v30 :: v_dual_add_f32 v16, v16, v88
	v_dual_add_f32 v14, v14, v49 :: v_dual_add_f32 v9, v9, v31
	s_delay_alu instid0(VALU_DEP_3) | instskip(SKIP_1) | instid1(VALU_DEP_4)
	v_dual_add_f32 v12, v12, v44 :: v_dual_add_f32 v1, v1, v47
	v_add_f32_e32 v10, v10, v48
	v_dual_add_f32 v11, v11, v32 :: v_dual_add_f32 v6, v6, v50
	s_delay_alu instid0(VALU_DEP_4) | instskip(NEXT) | instid1(VALU_DEP_4)
	v_dual_add_f32 v9, v9, v46 :: v_dual_add_f32 v14, v14, v51
	v_dual_add_f32 v1, v1, v33 :: v_dual_add_f32 v16, v16, v55
	s_delay_alu instid0(VALU_DEP_3) | instskip(NEXT) | instid1(VALU_DEP_3)
	v_dual_add_f32 v11, v11, v34 :: v_dual_add_f32 v12, v12, v52
	v_dual_add_f32 v9, v9, v35 :: v_dual_add_f32 v10, v10, v54
	s_delay_alu instid0(VALU_DEP_3) | instskip(SKIP_1) | instid1(VALU_DEP_4)
	v_dual_add_f32 v6, v6, v53 :: v_dual_add_f32 v1, v1, v59
	v_mul_f32_e32 v68, v77, v79
	v_dual_add_f32 v14, v14, v61 :: v_dual_add_f32 v11, v11, v36
	s_delay_alu instid0(VALU_DEP_4) | instskip(NEXT) | instid1(VALU_DEP_4)
	v_dual_add_f32 v16, v16, v87 :: v_dual_add_f32 v9, v9, v57
	v_dual_add_f32 v12, v12, v56 :: v_dual_add_f32 v1, v1, v37
	v_add_f32_e32 v10, v10, v58
	s_delay_alu instid0(VALU_DEP_4)
	v_dual_add_f32 v6, v6, v60 :: v_dual_add_f32 v11, v11, v38
	v_fma_f32 v72, v40, v78, -v72
	v_fma_f32 v40, v40, v80, -v90
	;; [unrolled: 1-line block ×4, first 2 shown]
	v_dual_add_f32 v14, v14, v63 :: v_dual_add_f32 v1, v1, v69
	s_delay_alu instid0(VALU_DEP_4) | instskip(SKIP_1) | instid1(VALU_DEP_3)
	v_dual_add_f32 v16, v16, v65 :: v_dual_add_f32 v11, v11, v40
	v_dual_add_f32 v9, v9, v39 :: v_dual_add_f32 v12, v12, v62
	;; [unrolled: 1-line block ×3, first 2 shown]
	v_add_f32_e32 v6, v6, v64
	v_add_f32_e32 v14, v14, v72
	s_delay_alu instid0(VALU_DEP_4)
	v_dual_add_f32 v16, v16, v73 :: v_dual_add_f32 v9, v9, v68
	v_add_f32_e32 v12, v12, v66
	v_add_f32_e32 v10, v10, v70
	;; [unrolled: 1-line block ×3, first 2 shown]
	s_cbranch_vccz .LBB1110_2
.LBB1110_3:
	s_load_b256 s[4:11], s[0:1], 0x48
	v_add_nc_u32_e32 v0, s13, v8
	s_load_b32 s13, s[0:1], 0x0
	s_delay_alu instid0(VALU_DEP_1) | instskip(SKIP_3) | instid1(VALU_DEP_3)
	v_ashrrev_i32_e32 v2, 31, v0
	s_waitcnt lgkmcnt(0)
	v_mul_lo_u32 v5, v0, s9
	v_mad_u64_u32 v[3:4], null, v0, s8, 0
	v_mul_lo_u32 v2, v2, s8
	s_mul_i32 s1, s15, s11
	s_mul_hi_u32 s2, s15, s10
	s_mul_i32 s0, s15, s10
	s_add_i32 s1, s2, s1
	s_delay_alu instid0(SALU_CYCLE_1) | instskip(NEXT) | instid1(VALU_DEP_1)
	s_lshl_b64 s[2:3], s[0:1], 3
	v_add3_u32 v4, v4, v5, v2
	v_add_nc_u32_e32 v2, s12, v7
	s_add_u32 s2, s6, s2
	s_addc_u32 s3, s7, s3
	s_delay_alu instid0(VALU_DEP_2) | instskip(NEXT) | instid1(VALU_DEP_2)
	v_lshlrev_b64 v[3:4], 3, v[3:4]
	v_cmp_le_i32_e64 s0, v0, v2
	v_cmp_gt_i32_e32 vcc_lo, s13, v2
	s_delay_alu instid0(VALU_DEP_3) | instskip(NEXT) | instid1(VALU_DEP_1)
	v_add_co_u32 v7, s1, s2, v3
	v_add_co_ci_u32_e64 v8, s1, s3, v4, s1
	s_delay_alu instid0(VALU_DEP_4) | instskip(NEXT) | instid1(SALU_CYCLE_1)
	s_and_b32 s0, s0, vcc_lo
	s_and_saveexec_b32 s1, s0
	s_cbranch_execz .LBB1110_5
; %bb.4:
	v_ashrrev_i32_e32 v3, 31, v2
	s_delay_alu instid0(VALU_DEP_1) | instskip(NEXT) | instid1(VALU_DEP_1)
	v_lshlrev_b64 v[3:4], 3, v[2:3]
	v_add_co_u32 v3, s0, v7, v3
	s_delay_alu instid0(VALU_DEP_1) | instskip(SKIP_4) | instid1(VALU_DEP_2)
	v_add_co_ci_u32_e64 v4, s0, v8, v4, s0
	global_load_b64 v[17:18], v[3:4], off
	v_mul_f32_e32 v5, s19, v16
	s_waitcnt vmcnt(0)
	v_dual_mul_f32 v15, s18, v16 :: v_dual_mul_f32 v16, s4, v18
	v_fma_f32 v5, v14, s18, -v5
	s_delay_alu instid0(VALU_DEP_2) | instskip(NEXT) | instid1(VALU_DEP_1)
	v_dual_fmac_f32 v16, s5, v17 :: v_dual_fmac_f32 v15, s19, v14
	v_dual_mul_f32 v13, s5, v18 :: v_dual_add_f32 v14, v15, v16
	s_delay_alu instid0(VALU_DEP_1) | instskip(NEXT) | instid1(VALU_DEP_1)
	v_fma_f32 v13, v17, s4, -v13
	v_add_f32_e32 v13, v5, v13
	global_store_b64 v[3:4], v[13:14], off
.LBB1110_5:
	s_or_b32 exec_lo, exec_lo, s1
	v_add_nc_u32_e32 v4, 16, v2
	s_delay_alu instid0(VALU_DEP_1) | instskip(SKIP_1) | instid1(VALU_DEP_1)
	v_cmp_le_i32_e64 s1, v0, v4
	v_cmp_gt_i32_e64 s0, s13, v4
	s_and_b32 s1, s1, s0
	s_delay_alu instid0(SALU_CYCLE_1)
	s_and_saveexec_b32 s6, s1
	s_cbranch_execz .LBB1110_7
; %bb.6:
	v_ashrrev_i32_e32 v5, 31, v4
	s_delay_alu instid0(VALU_DEP_1) | instskip(NEXT) | instid1(VALU_DEP_1)
	v_lshlrev_b64 v[13:14], 3, v[4:5]
	v_add_co_u32 v7, s1, v7, v13
	s_delay_alu instid0(VALU_DEP_1)
	v_add_co_ci_u32_e64 v8, s1, v8, v14, s1
	global_load_b64 v[13:14], v[7:8], off
	v_mul_f32_e32 v3, s19, v12
	s_waitcnt vmcnt(0)
	v_dual_mul_f32 v5, s18, v12 :: v_dual_mul_f32 v12, s5, v14
	v_mul_f32_e32 v14, s4, v14
	s_delay_alu instid0(VALU_DEP_3) | instskip(NEXT) | instid1(VALU_DEP_3)
	v_fma_f32 v3, v11, s18, -v3
	v_fmac_f32_e32 v5, s19, v11
	s_delay_alu instid0(VALU_DEP_4) | instskip(NEXT) | instid1(VALU_DEP_1)
	v_fma_f32 v11, v13, s4, -v12
	v_dual_fmac_f32 v14, s5, v13 :: v_dual_add_f32 v11, v3, v11
	s_delay_alu instid0(VALU_DEP_1)
	v_add_f32_e32 v12, v5, v14
	global_store_b64 v[7:8], v[11:12], off
.LBB1110_7:
	s_or_b32 exec_lo, exec_lo, s6
	v_add_nc_u32_e32 v5, 16, v0
	s_delay_alu instid0(VALU_DEP_1) | instskip(SKIP_3) | instid1(VALU_DEP_4)
	v_ashrrev_i32_e32 v0, 31, v5
	v_mul_lo_u32 v3, v5, s9
	v_mad_u64_u32 v[7:8], null, v5, s8, 0
	v_cmp_le_i32_e64 s1, v5, v2
	v_mul_lo_u32 v0, v0, s8
	s_delay_alu instid0(VALU_DEP_1) | instskip(NEXT) | instid1(VALU_DEP_1)
	v_add3_u32 v8, v8, v3, v0
	v_lshlrev_b64 v[7:8], 3, v[7:8]
	s_delay_alu instid0(VALU_DEP_1) | instskip(NEXT) | instid1(VALU_DEP_1)
	v_add_co_u32 v0, s2, s2, v7
	v_add_co_ci_u32_e64 v7, s2, s3, v8, s2
	s_and_b32 s2, s1, vcc_lo
	s_delay_alu instid0(SALU_CYCLE_1)
	s_and_saveexec_b32 s1, s2
	s_cbranch_execz .LBB1110_9
; %bb.8:
	v_ashrrev_i32_e32 v3, 31, v2
	s_delay_alu instid0(VALU_DEP_1) | instskip(NEXT) | instid1(VALU_DEP_1)
	v_lshlrev_b64 v[2:3], 3, v[2:3]
	v_add_co_u32 v2, vcc_lo, v0, v2
	s_delay_alu instid0(VALU_DEP_2) | instskip(SKIP_4) | instid1(VALU_DEP_1)
	v_add_co_ci_u32_e32 v3, vcc_lo, v7, v3, vcc_lo
	global_load_b64 v[11:12], v[2:3], off
	v_mul_f32_e32 v8, s19, v10
	v_mul_f32_e32 v10, s18, v10
	s_waitcnt vmcnt(0)
	v_dual_fmac_f32 v10, s19, v9 :: v_dual_mul_f32 v13, s5, v12
	v_mul_f32_e32 v12, s4, v12
	v_fma_f32 v8, v9, s18, -v8
	s_delay_alu instid0(VALU_DEP_3) | instskip(NEXT) | instid1(VALU_DEP_3)
	v_fma_f32 v9, v11, s4, -v13
	v_fmac_f32_e32 v12, s5, v11
	s_delay_alu instid0(VALU_DEP_1)
	v_dual_add_f32 v8, v8, v9 :: v_dual_add_f32 v9, v10, v12
	global_store_b64 v[2:3], v[8:9], off
.LBB1110_9:
	s_or_b32 exec_lo, exec_lo, s1
	v_cmp_le_i32_e32 vcc_lo, v5, v4
	s_and_b32 s0, vcc_lo, s0
	s_delay_alu instid0(SALU_CYCLE_1)
	s_and_saveexec_b32 s1, s0
	s_cbranch_execz .LBB1110_11
; %bb.10:
	v_ashrrev_i32_e32 v5, 31, v4
	s_delay_alu instid0(VALU_DEP_1) | instskip(NEXT) | instid1(VALU_DEP_1)
	v_lshlrev_b64 v[2:3], 3, v[4:5]
	v_add_co_u32 v2, vcc_lo, v0, v2
	s_delay_alu instid0(VALU_DEP_2)
	v_add_co_ci_u32_e32 v3, vcc_lo, v7, v3, vcc_lo
	v_mul_f32_e32 v0, s19, v1
	v_mul_f32_e32 v1, s18, v1
	global_load_b64 v[4:5], v[2:3], off
	v_fmac_f32_e32 v1, s19, v6
	v_fma_f32 v0, v6, s18, -v0
	s_waitcnt vmcnt(0)
	v_mul_f32_e32 v7, s5, v5
	v_mul_f32_e32 v5, s4, v5
	s_delay_alu instid0(VALU_DEP_2) | instskip(NEXT) | instid1(VALU_DEP_1)
	v_fma_f32 v6, v4, s4, -v7
	v_dual_fmac_f32 v5, s5, v4 :: v_dual_add_f32 v0, v0, v6
	s_delay_alu instid0(VALU_DEP_1)
	v_add_f32_e32 v1, v1, v5
	global_store_b64 v[2:3], v[0:1], off
.LBB1110_11:
	s_nop 0
	s_sendmsg sendmsg(MSG_DEALLOC_VGPRS)
	s_endpgm
	.section	.rodata,"a",@progbits
	.p2align	6, 0x0
	.amdhsa_kernel _ZL37rocblas_syrkx_herkx_restricted_kernelIl19rocblas_complex_numIfELi16ELi32ELi8ELb0ELb0ELc84ELc76EKS1_S1_EviT_T0_PT8_S3_lS6_S3_lS4_PT9_S3_li
		.amdhsa_group_segment_fixed_size 4096
		.amdhsa_private_segment_fixed_size 0
		.amdhsa_kernarg_size 108
		.amdhsa_user_sgpr_count 13
		.amdhsa_user_sgpr_dispatch_ptr 0
		.amdhsa_user_sgpr_queue_ptr 0
		.amdhsa_user_sgpr_kernarg_segment_ptr 1
		.amdhsa_user_sgpr_dispatch_id 0
		.amdhsa_user_sgpr_private_segment_size 0
		.amdhsa_wavefront_size32 1
		.amdhsa_uses_dynamic_stack 0
		.amdhsa_enable_private_segment 0
		.amdhsa_system_sgpr_workgroup_id_x 1
		.amdhsa_system_sgpr_workgroup_id_y 1
		.amdhsa_system_sgpr_workgroup_id_z 1
		.amdhsa_system_sgpr_workgroup_info 0
		.amdhsa_system_vgpr_workitem_id 1
		.amdhsa_next_free_vgpr 91
		.amdhsa_next_free_sgpr 32
		.amdhsa_reserve_vcc 1
		.amdhsa_float_round_mode_32 0
		.amdhsa_float_round_mode_16_64 0
		.amdhsa_float_denorm_mode_32 3
		.amdhsa_float_denorm_mode_16_64 3
		.amdhsa_dx10_clamp 1
		.amdhsa_ieee_mode 1
		.amdhsa_fp16_overflow 0
		.amdhsa_workgroup_processor_mode 1
		.amdhsa_memory_ordered 1
		.amdhsa_forward_progress 0
		.amdhsa_shared_vgpr_count 0
		.amdhsa_exception_fp_ieee_invalid_op 0
		.amdhsa_exception_fp_denorm_src 0
		.amdhsa_exception_fp_ieee_div_zero 0
		.amdhsa_exception_fp_ieee_overflow 0
		.amdhsa_exception_fp_ieee_underflow 0
		.amdhsa_exception_fp_ieee_inexact 0
		.amdhsa_exception_int_div_zero 0
	.end_amdhsa_kernel
	.section	.text._ZL37rocblas_syrkx_herkx_restricted_kernelIl19rocblas_complex_numIfELi16ELi32ELi8ELb0ELb0ELc84ELc76EKS1_S1_EviT_T0_PT8_S3_lS6_S3_lS4_PT9_S3_li,"axG",@progbits,_ZL37rocblas_syrkx_herkx_restricted_kernelIl19rocblas_complex_numIfELi16ELi32ELi8ELb0ELb0ELc84ELc76EKS1_S1_EviT_T0_PT8_S3_lS6_S3_lS4_PT9_S3_li,comdat
.Lfunc_end1110:
	.size	_ZL37rocblas_syrkx_herkx_restricted_kernelIl19rocblas_complex_numIfELi16ELi32ELi8ELb0ELb0ELc84ELc76EKS1_S1_EviT_T0_PT8_S3_lS6_S3_lS4_PT9_S3_li, .Lfunc_end1110-_ZL37rocblas_syrkx_herkx_restricted_kernelIl19rocblas_complex_numIfELi16ELi32ELi8ELb0ELb0ELc84ELc76EKS1_S1_EviT_T0_PT8_S3_lS6_S3_lS4_PT9_S3_li
                                        ; -- End function
	.section	.AMDGPU.csdata,"",@progbits
; Kernel info:
; codeLenInByte = 2392
; NumSgprs: 34
; NumVgprs: 91
; ScratchSize: 0
; MemoryBound: 0
; FloatMode: 240
; IeeeMode: 1
; LDSByteSize: 4096 bytes/workgroup (compile time only)
; SGPRBlocks: 4
; VGPRBlocks: 11
; NumSGPRsForWavesPerEU: 34
; NumVGPRsForWavesPerEU: 91
; Occupancy: 16
; WaveLimiterHint : 0
; COMPUTE_PGM_RSRC2:SCRATCH_EN: 0
; COMPUTE_PGM_RSRC2:USER_SGPR: 13
; COMPUTE_PGM_RSRC2:TRAP_HANDLER: 0
; COMPUTE_PGM_RSRC2:TGID_X_EN: 1
; COMPUTE_PGM_RSRC2:TGID_Y_EN: 1
; COMPUTE_PGM_RSRC2:TGID_Z_EN: 1
; COMPUTE_PGM_RSRC2:TIDIG_COMP_CNT: 1
	.section	.text._ZL37rocblas_syrkx_herkx_restricted_kernelIl19rocblas_complex_numIfELi16ELi32ELi8ELb0ELb0ELc67ELc76EKS1_S1_EviT_T0_PT8_S3_lS6_S3_lS4_PT9_S3_li,"axG",@progbits,_ZL37rocblas_syrkx_herkx_restricted_kernelIl19rocblas_complex_numIfELi16ELi32ELi8ELb0ELb0ELc67ELc76EKS1_S1_EviT_T0_PT8_S3_lS6_S3_lS4_PT9_S3_li,comdat
	.globl	_ZL37rocblas_syrkx_herkx_restricted_kernelIl19rocblas_complex_numIfELi16ELi32ELi8ELb0ELb0ELc67ELc76EKS1_S1_EviT_T0_PT8_S3_lS6_S3_lS4_PT9_S3_li ; -- Begin function _ZL37rocblas_syrkx_herkx_restricted_kernelIl19rocblas_complex_numIfELi16ELi32ELi8ELb0ELb0ELc67ELc76EKS1_S1_EviT_T0_PT8_S3_lS6_S3_lS4_PT9_S3_li
	.p2align	8
	.type	_ZL37rocblas_syrkx_herkx_restricted_kernelIl19rocblas_complex_numIfELi16ELi32ELi8ELb0ELb0ELc67ELc76EKS1_S1_EviT_T0_PT8_S3_lS6_S3_lS4_PT9_S3_li,@function
_ZL37rocblas_syrkx_herkx_restricted_kernelIl19rocblas_complex_numIfELi16ELi32ELi8ELb0ELb0ELc67ELc76EKS1_S1_EviT_T0_PT8_S3_lS6_S3_lS4_PT9_S3_li: ; @_ZL37rocblas_syrkx_herkx_restricted_kernelIl19rocblas_complex_numIfELi16ELi32ELi8ELb0ELb0ELc67ELc76EKS1_S1_EviT_T0_PT8_S3_lS6_S3_lS4_PT9_S3_li
; %bb.0:
	s_load_b512 s[16:31], s[0:1], 0x8
	v_dual_mov_b32 v14, 0 :: v_dual_mov_b32 v11, 0
	v_dual_mov_b32 v16, 0 :: v_dual_mov_b32 v9, 0
	v_dual_mov_b32 v12, 0 :: v_dual_and_b32 v7, 0x3ff, v0
	v_dual_mov_b32 v10, 0 :: v_dual_mov_b32 v1, 0
	v_mov_b32_e32 v6, 0
	v_bfe_u32 v8, v0, 10, 10
	s_lshl_b32 s12, s13, 5
	s_lshl_b32 s13, s14, 5
	s_waitcnt lgkmcnt(0)
	v_cmp_lt_i64_e64 s2, s[16:17], 1
	s_delay_alu instid0(VALU_DEP_1)
	s_and_b32 vcc_lo, exec_lo, s2
	s_cbranch_vccnz .LBB1111_3
; %bb.1:
	v_lshl_add_u32 v2, v8, 4, v7
	v_dual_mov_b32 v1, 0 :: v_dual_and_b32 v0, 7, v7
	s_mul_i32 s3, s25, s15
	s_mul_hi_u32 s4, s24, s15
	s_delay_alu instid0(VALU_DEP_2)
	v_and_b32_e32 v6, 31, v2
	v_lshrrev_b32_e32 v11, 3, v2
	v_mov_b32_e32 v3, v1
	v_lshrrev_b32_e32 v2, 5, v2
	v_lshlrev_b32_e32 v14, 3, v0
	v_add_nc_u32_e32 v9, s12, v6
	v_add_nc_u32_e32 v12, s13, v11
	s_mul_i32 s2, s24, s15
	s_add_i32 s3, s4, s3
	s_mul_hi_u32 s5, s30, s15
	v_ashrrev_i32_e32 v10, 31, v9
	v_ashrrev_i32_e32 v15, 31, v12
	v_mad_u64_u32 v[4:5], null, s22, v9, v[2:3]
	v_mul_lo_u32 v3, s23, v9
	s_delay_alu instid0(VALU_DEP_4)
	v_mul_lo_u32 v16, s22, v10
	v_mul_lo_u32 v17, v12, s29
	v_mad_u64_u32 v[9:10], null, v12, s28, v[0:1]
	v_mul_lo_u32 v12, v15, s28
	v_lshlrev_b32_e32 v0, 3, v6
	s_lshl_b64 s[2:3], s[2:3], 3
	v_lshl_or_b32 v6, v11, 6, v14
	v_add3_u32 v5, v3, v5, v16
	s_add_u32 s4, s20, s2
	v_lshl_or_b32 v0, v2, 8, v0
	s_mul_i32 s2, s31, s15
	v_add3_u32 v10, v12, v10, v17
	v_lshlrev_b64 v[2:3], 3, v[4:5]
	s_addc_u32 s6, s21, s3
	s_add_i32 s3, s5, s2
	s_mul_i32 s2, s30, s15
	v_lshlrev_b64 v[4:5], 3, v[9:10]
	v_mov_b32_e32 v9, v1
	s_lshl_b64 s[2:3], s[2:3], 3
	v_add_co_u32 v2, vcc_lo, s4, v2
	s_add_u32 s2, s26, s2
	v_add_co_ci_u32_e32 v3, vcc_lo, s6, v3, vcc_lo
	s_addc_u32 s3, s27, s3
	v_add_co_u32 v4, vcc_lo, s2, v4
	v_add_co_ci_u32_e32 v5, vcc_lo, s3, v5, vcc_lo
	v_add_co_u32 v2, vcc_lo, v2, 4
	v_add_co_ci_u32_e32 v3, vcc_lo, 0, v3, vcc_lo
	s_delay_alu instid0(VALU_DEP_4)
	v_add_co_u32 v4, vcc_lo, v4, 4
	v_lshlrev_b32_e32 v13, 3, v7
	v_dual_mov_b32 v12, v1 :: v_dual_add_nc_u32 v15, 0x800, v6
	v_lshl_add_u32 v17, v8, 6, 0x800
	v_add_co_ci_u32_e32 v5, vcc_lo, 0, v5, vcc_lo
	v_mov_b32_e32 v6, v1
	v_mov_b32_e32 v10, v1
	;; [unrolled: 1-line block ×5, first 2 shown]
	s_mov_b64 s[2:3], 0
.LBB1111_2:                             ; =>This Inner Loop Header: Depth=1
	global_load_b64 v[18:19], v[2:3], off offset:-4
	global_load_b64 v[20:21], v[4:5], off offset:-4
	s_add_u32 s2, s2, 8
	v_add_co_u32 v2, vcc_lo, v2, 64
	s_addc_u32 s3, s3, 0
	v_add_co_ci_u32_e32 v3, vcc_lo, 0, v3, vcc_lo
	v_cmp_ge_u64_e64 s4, s[2:3], s[16:17]
	v_add_co_u32 v4, vcc_lo, v4, 64
	v_add_co_ci_u32_e32 v5, vcc_lo, 0, v5, vcc_lo
	s_waitcnt vmcnt(1)
	ds_store_b64 v0, v[18:19]
	s_waitcnt vmcnt(0)
	ds_store_b64 v15, v[20:21]
	s_waitcnt lgkmcnt(0)
	s_barrier
	buffer_gl0_inv
	ds_load_2addr_b64 v[18:21], v13 offset1:16
	ds_load_b128 v[22:25], v17
	ds_load_b128 v[26:29], v17 offset:1024
	ds_load_b128 v[30:33], v17 offset:16
	;; [unrolled: 1-line block ×4, first 2 shown]
	ds_load_2addr_b64 v[42:45], v13 offset0:32 offset1:48
	ds_load_2addr_b64 v[46:49], v13 offset0:64 offset1:80
	ds_load_b128 v[50:53], v17 offset:1040
	ds_load_2addr_b64 v[54:57], v13 offset0:96 offset1:112
	ds_load_2addr_b64 v[58:61], v13 offset0:128 offset1:144
	;; [unrolled: 1-line block ×4, first 2 shown]
	ds_load_b128 v[70:73], v17 offset:1056
	ds_load_b128 v[74:77], v17 offset:1072
	ds_load_2addr_b64 v[78:81], v13 offset0:224 offset1:240
	s_and_b32 vcc_lo, exec_lo, s4
	s_waitcnt lgkmcnt(0)
	s_barrier
	buffer_gl0_inv
	v_dual_mul_f32 v82, v23, v19 :: v_dual_mul_f32 v85, v22, v21
	v_dual_mul_f32 v83, v22, v19 :: v_dual_mul_f32 v84, v23, v21
	v_mul_f32_e32 v86, v27, v19
	v_dual_mul_f32 v19, v26, v19 :: v_dual_mul_f32 v90, v25, v45
	v_dual_mul_f32 v87, v27, v21 :: v_dual_mul_f32 v88, v25, v43
	v_mul_f32_e32 v21, v26, v21
	v_fma_f32 v82, v22, v18, -v82
	v_fmac_f32_e32 v83, v23, v18
	v_fma_f32 v22, v22, v20, -v84
	v_fmac_f32_e32 v85, v23, v20
	v_fma_f32 v23, v26, v18, -v86
	v_dual_fmac_f32 v19, v27, v18 :: v_dual_mul_f32 v86, v30, v47
	v_fma_f32 v18, v26, v20, -v87
	v_dual_fmac_f32 v21, v27, v20 :: v_dual_mul_f32 v20, v24, v45
	v_mul_f32_e32 v89, v24, v43
	v_mul_f32_e32 v26, v29, v43
	;; [unrolled: 1-line block ×4, first 2 shown]
	v_fmac_f32_e32 v20, v25, v44
	v_fmac_f32_e32 v89, v25, v42
	v_dual_mul_f32 v25, v28, v45 :: v_dual_fmac_f32 v86, v31, v46
	v_fma_f32 v84, v24, v42, -v88
	v_fma_f32 v24, v24, v44, -v90
	v_dual_mul_f32 v45, v31, v47 :: v_dual_mul_f32 v90, v33, v57
	v_fma_f32 v26, v28, v42, -v26
	v_fma_f32 v28, v28, v44, -v43
	v_fmac_f32_e32 v25, v29, v44
	v_dual_mul_f32 v43, v50, v47 :: v_dual_mul_f32 v44, v51, v49
	v_dual_fmac_f32 v27, v29, v42 :: v_dual_mul_f32 v42, v51, v47
	v_dual_mul_f32 v88, v32, v55 :: v_dual_mul_f32 v29, v30, v49
	v_mul_f32_e32 v87, v31, v49
	v_fma_f32 v45, v30, v46, -v45
	v_add_f32_e32 v14, v14, v82
	s_delay_alu instid0(VALU_DEP_4)
	v_dual_fmac_f32 v88, v33, v54 :: v_dual_fmac_f32 v29, v31, v48
	v_fma_f32 v31, v50, v46, -v42
	v_fma_f32 v42, v50, v48, -v44
	v_mul_f32_e32 v44, v32, v57
	v_mul_f32_e32 v47, v50, v49
	v_dual_mul_f32 v50, v53, v57 :: v_dual_fmac_f32 v43, v51, v46
	v_mul_f32_e32 v46, v53, v55
	v_mul_f32_e32 v49, v33, v55
	v_fma_f32 v30, v30, v48, -v87
	v_fmac_f32_e32 v44, v33, v56
	v_dual_fmac_f32 v47, v51, v48 :: v_dual_mul_f32 v48, v52, v55
	v_mul_f32_e32 v33, v52, v57
	v_fma_f32 v46, v52, v54, -v46
	v_fma_f32 v50, v52, v56, -v50
	v_mul_f32_e32 v52, v34, v61
	v_fma_f32 v49, v32, v54, -v49
	v_fma_f32 v32, v32, v56, -v90
	v_dual_mul_f32 v51, v35, v59 :: v_dual_fmac_f32 v48, v53, v54
	v_mul_f32_e32 v54, v70, v59
	v_dual_mul_f32 v55, v34, v59 :: v_dual_fmac_f32 v52, v35, v60
	v_fmac_f32_e32 v33, v53, v56
	v_mul_f32_e32 v53, v71, v59
	v_mul_f32_e32 v56, v71, v61
	;; [unrolled: 1-line block ×3, first 2 shown]
	v_fmac_f32_e32 v54, v71, v58
	v_fmac_f32_e32 v55, v35, v58
	v_fma_f32 v35, v70, v58, -v53
	v_fma_f32 v53, v70, v60, -v56
	v_mul_f32_e32 v56, v36, v65
	v_mul_f32_e32 v59, v70, v61
	v_fma_f32 v51, v34, v58, -v51
	v_mul_f32_e32 v58, v72, v63
	v_mul_f32_e32 v87, v36, v63
	;; [unrolled: 1-line block ×4, first 2 shown]
	v_fma_f32 v34, v34, v60, -v57
	v_mul_f32_e32 v57, v73, v63
	v_fmac_f32_e32 v56, v37, v64
	v_dual_fmac_f32 v59, v71, v60 :: v_dual_mul_f32 v60, v73, v65
	v_mul_f32_e32 v63, v39, v67
	v_mul_f32_e32 v70, v39, v69
	v_fmac_f32_e32 v58, v73, v62
	v_fmac_f32_e32 v87, v37, v62
	v_mul_f32_e32 v37, v72, v65
	v_fma_f32 v61, v36, v62, -v61
	v_fma_f32 v36, v36, v64, -v90
	v_mul_f32_e32 v65, v38, v67
	v_fma_f32 v57, v72, v62, -v57
	v_fma_f32 v60, v72, v64, -v60
	v_dual_fmac_f32 v37, v73, v64 :: v_dual_mul_f32 v62, v38, v69
	v_mul_f32_e32 v64, v75, v67
	v_fma_f32 v63, v38, v66, -v63
	v_fma_f32 v38, v38, v68, -v70
	v_mul_f32_e32 v70, v76, v79
	v_mul_f32_e32 v67, v74, v67
	;; [unrolled: 1-line block ×3, first 2 shown]
	v_dual_mul_f32 v69, v74, v69 :: v_dual_add_f32 v16, v16, v83
	v_dual_mul_f32 v73, v40, v79 :: v_dual_add_f32 v6, v6, v18
	v_dual_fmac_f32 v65, v39, v66 :: v_dual_add_f32 v12, v12, v85
	v_fmac_f32_e32 v62, v39, v68
	v_fma_f32 v39, v74, v66, -v64
	v_fmac_f32_e32 v70, v77, v78
	v_dual_fmac_f32 v67, v75, v66 :: v_dual_add_f32 v10, v10, v19
	v_mul_f32_e32 v66, v40, v81
	v_mul_f32_e32 v72, v41, v79
	;; [unrolled: 1-line block ×3, first 2 shown]
	v_fma_f32 v64, v74, v68, -v71
	v_dual_fmac_f32 v69, v75, v68 :: v_dual_add_f32 v16, v16, v89
	v_dual_mul_f32 v71, v77, v81 :: v_dual_add_f32 v14, v14, v84
	v_dual_fmac_f32 v73, v41, v78 :: v_dual_add_f32 v12, v12, v20
	v_dual_fmac_f32 v66, v41, v80 :: v_dual_mul_f32 v41, v76, v81
	v_dual_add_f32 v10, v10, v27 :: v_dual_add_f32 v11, v11, v22
	v_dual_add_f32 v6, v6, v28 :: v_dual_add_f32 v9, v9, v23
	;; [unrolled: 1-line block ×3, first 2 shown]
	s_delay_alu instid0(VALU_DEP_3) | instskip(NEXT) | instid1(VALU_DEP_4)
	v_dual_add_f32 v10, v10, v43 :: v_dual_fmac_f32 v41, v77, v80
	v_dual_add_f32 v14, v14, v45 :: v_dual_add_f32 v11, v11, v24
	s_delay_alu instid0(VALU_DEP_4) | instskip(NEXT) | instid1(VALU_DEP_4)
	v_dual_add_f32 v12, v12, v29 :: v_dual_add_f32 v9, v9, v26
	v_dual_add_f32 v1, v1, v25 :: v_dual_add_f32 v6, v6, v42
	s_delay_alu instid0(VALU_DEP_3) | instskip(NEXT) | instid1(VALU_DEP_3)
	v_dual_add_f32 v11, v11, v30 :: v_dual_add_f32 v16, v16, v88
	v_dual_add_f32 v14, v14, v49 :: v_dual_add_f32 v9, v9, v31
	s_delay_alu instid0(VALU_DEP_3) | instskip(SKIP_1) | instid1(VALU_DEP_4)
	v_dual_add_f32 v12, v12, v44 :: v_dual_add_f32 v1, v1, v47
	v_add_f32_e32 v10, v10, v48
	v_dual_add_f32 v11, v11, v32 :: v_dual_add_f32 v6, v6, v50
	s_delay_alu instid0(VALU_DEP_4) | instskip(NEXT) | instid1(VALU_DEP_4)
	v_dual_add_f32 v9, v9, v46 :: v_dual_add_f32 v14, v14, v51
	v_dual_add_f32 v1, v1, v33 :: v_dual_add_f32 v16, v16, v55
	s_delay_alu instid0(VALU_DEP_3) | instskip(NEXT) | instid1(VALU_DEP_3)
	v_dual_add_f32 v11, v11, v34 :: v_dual_add_f32 v12, v12, v52
	v_dual_add_f32 v9, v9, v35 :: v_dual_add_f32 v10, v10, v54
	s_delay_alu instid0(VALU_DEP_3) | instskip(SKIP_1) | instid1(VALU_DEP_4)
	v_dual_add_f32 v6, v6, v53 :: v_dual_add_f32 v1, v1, v59
	v_mul_f32_e32 v68, v77, v79
	v_dual_add_f32 v14, v14, v61 :: v_dual_add_f32 v11, v11, v36
	s_delay_alu instid0(VALU_DEP_4) | instskip(NEXT) | instid1(VALU_DEP_4)
	v_dual_add_f32 v16, v16, v87 :: v_dual_add_f32 v9, v9, v57
	v_dual_add_f32 v12, v12, v56 :: v_dual_add_f32 v1, v1, v37
	v_add_f32_e32 v10, v10, v58
	s_delay_alu instid0(VALU_DEP_4)
	v_dual_add_f32 v6, v6, v60 :: v_dual_add_f32 v11, v11, v38
	v_fma_f32 v72, v40, v78, -v72
	v_fma_f32 v40, v40, v80, -v90
	;; [unrolled: 1-line block ×4, first 2 shown]
	v_dual_add_f32 v14, v14, v63 :: v_dual_add_f32 v1, v1, v69
	s_delay_alu instid0(VALU_DEP_4) | instskip(SKIP_1) | instid1(VALU_DEP_3)
	v_dual_add_f32 v16, v16, v65 :: v_dual_add_f32 v11, v11, v40
	v_dual_add_f32 v9, v9, v39 :: v_dual_add_f32 v12, v12, v62
	;; [unrolled: 1-line block ×3, first 2 shown]
	v_add_f32_e32 v6, v6, v64
	v_add_f32_e32 v14, v14, v72
	s_delay_alu instid0(VALU_DEP_4)
	v_dual_add_f32 v16, v16, v73 :: v_dual_add_f32 v9, v9, v68
	v_add_f32_e32 v12, v12, v66
	v_add_f32_e32 v10, v10, v70
	;; [unrolled: 1-line block ×3, first 2 shown]
	s_cbranch_vccz .LBB1111_2
.LBB1111_3:
	s_load_b256 s[4:11], s[0:1], 0x48
	v_add_nc_u32_e32 v0, s13, v8
	s_load_b32 s13, s[0:1], 0x0
	s_delay_alu instid0(VALU_DEP_1) | instskip(SKIP_3) | instid1(VALU_DEP_3)
	v_ashrrev_i32_e32 v2, 31, v0
	s_waitcnt lgkmcnt(0)
	v_mul_lo_u32 v5, v0, s9
	v_mad_u64_u32 v[3:4], null, v0, s8, 0
	v_mul_lo_u32 v2, v2, s8
	s_mul_i32 s1, s15, s11
	s_mul_hi_u32 s2, s15, s10
	s_mul_i32 s0, s15, s10
	s_add_i32 s1, s2, s1
	s_delay_alu instid0(SALU_CYCLE_1) | instskip(NEXT) | instid1(VALU_DEP_1)
	s_lshl_b64 s[2:3], s[0:1], 3
	v_add3_u32 v4, v4, v5, v2
	v_add_nc_u32_e32 v2, s12, v7
	s_add_u32 s2, s6, s2
	s_addc_u32 s3, s7, s3
	s_delay_alu instid0(VALU_DEP_2) | instskip(NEXT) | instid1(VALU_DEP_2)
	v_lshlrev_b64 v[3:4], 3, v[3:4]
	v_cmp_le_i32_e64 s0, v0, v2
	v_cmp_gt_i32_e32 vcc_lo, s13, v2
	s_delay_alu instid0(VALU_DEP_3) | instskip(NEXT) | instid1(VALU_DEP_1)
	v_add_co_u32 v7, s1, s2, v3
	v_add_co_ci_u32_e64 v8, s1, s3, v4, s1
	s_delay_alu instid0(VALU_DEP_4) | instskip(NEXT) | instid1(SALU_CYCLE_1)
	s_and_b32 s0, s0, vcc_lo
	s_and_saveexec_b32 s1, s0
	s_cbranch_execz .LBB1111_5
; %bb.4:
	v_ashrrev_i32_e32 v3, 31, v2
	s_delay_alu instid0(VALU_DEP_1) | instskip(NEXT) | instid1(VALU_DEP_1)
	v_lshlrev_b64 v[3:4], 3, v[2:3]
	v_add_co_u32 v3, s0, v7, v3
	s_delay_alu instid0(VALU_DEP_1) | instskip(SKIP_4) | instid1(VALU_DEP_2)
	v_add_co_ci_u32_e64 v4, s0, v8, v4, s0
	global_load_b64 v[17:18], v[3:4], off
	v_mul_f32_e32 v5, s19, v16
	s_waitcnt vmcnt(0)
	v_dual_mul_f32 v15, s18, v16 :: v_dual_mul_f32 v16, s4, v18
	v_fma_f32 v5, v14, s18, -v5
	s_delay_alu instid0(VALU_DEP_2) | instskip(NEXT) | instid1(VALU_DEP_1)
	v_dual_fmac_f32 v16, s5, v17 :: v_dual_fmac_f32 v15, s19, v14
	v_dual_mul_f32 v13, s5, v18 :: v_dual_add_f32 v14, v15, v16
	s_delay_alu instid0(VALU_DEP_1) | instskip(NEXT) | instid1(VALU_DEP_1)
	v_fma_f32 v13, v17, s4, -v13
	v_add_f32_e32 v13, v5, v13
	global_store_b64 v[3:4], v[13:14], off
.LBB1111_5:
	s_or_b32 exec_lo, exec_lo, s1
	v_add_nc_u32_e32 v4, 16, v2
	s_delay_alu instid0(VALU_DEP_1) | instskip(SKIP_1) | instid1(VALU_DEP_1)
	v_cmp_le_i32_e64 s1, v0, v4
	v_cmp_gt_i32_e64 s0, s13, v4
	s_and_b32 s1, s1, s0
	s_delay_alu instid0(SALU_CYCLE_1)
	s_and_saveexec_b32 s6, s1
	s_cbranch_execz .LBB1111_7
; %bb.6:
	v_ashrrev_i32_e32 v5, 31, v4
	s_delay_alu instid0(VALU_DEP_1) | instskip(NEXT) | instid1(VALU_DEP_1)
	v_lshlrev_b64 v[13:14], 3, v[4:5]
	v_add_co_u32 v7, s1, v7, v13
	s_delay_alu instid0(VALU_DEP_1)
	v_add_co_ci_u32_e64 v8, s1, v8, v14, s1
	global_load_b64 v[13:14], v[7:8], off
	v_mul_f32_e32 v3, s19, v12
	s_waitcnt vmcnt(0)
	v_dual_mul_f32 v5, s18, v12 :: v_dual_mul_f32 v12, s5, v14
	v_mul_f32_e32 v14, s4, v14
	s_delay_alu instid0(VALU_DEP_3) | instskip(NEXT) | instid1(VALU_DEP_3)
	v_fma_f32 v3, v11, s18, -v3
	v_fmac_f32_e32 v5, s19, v11
	s_delay_alu instid0(VALU_DEP_4) | instskip(NEXT) | instid1(VALU_DEP_1)
	v_fma_f32 v11, v13, s4, -v12
	v_dual_fmac_f32 v14, s5, v13 :: v_dual_add_f32 v11, v3, v11
	s_delay_alu instid0(VALU_DEP_1)
	v_add_f32_e32 v12, v5, v14
	global_store_b64 v[7:8], v[11:12], off
.LBB1111_7:
	s_or_b32 exec_lo, exec_lo, s6
	v_add_nc_u32_e32 v5, 16, v0
	s_delay_alu instid0(VALU_DEP_1) | instskip(SKIP_3) | instid1(VALU_DEP_4)
	v_ashrrev_i32_e32 v0, 31, v5
	v_mul_lo_u32 v3, v5, s9
	v_mad_u64_u32 v[7:8], null, v5, s8, 0
	v_cmp_le_i32_e64 s1, v5, v2
	v_mul_lo_u32 v0, v0, s8
	s_delay_alu instid0(VALU_DEP_1) | instskip(NEXT) | instid1(VALU_DEP_1)
	v_add3_u32 v8, v8, v3, v0
	v_lshlrev_b64 v[7:8], 3, v[7:8]
	s_delay_alu instid0(VALU_DEP_1) | instskip(NEXT) | instid1(VALU_DEP_1)
	v_add_co_u32 v0, s2, s2, v7
	v_add_co_ci_u32_e64 v7, s2, s3, v8, s2
	s_and_b32 s2, s1, vcc_lo
	s_delay_alu instid0(SALU_CYCLE_1)
	s_and_saveexec_b32 s1, s2
	s_cbranch_execz .LBB1111_9
; %bb.8:
	v_ashrrev_i32_e32 v3, 31, v2
	s_delay_alu instid0(VALU_DEP_1) | instskip(NEXT) | instid1(VALU_DEP_1)
	v_lshlrev_b64 v[2:3], 3, v[2:3]
	v_add_co_u32 v2, vcc_lo, v0, v2
	s_delay_alu instid0(VALU_DEP_2) | instskip(SKIP_4) | instid1(VALU_DEP_1)
	v_add_co_ci_u32_e32 v3, vcc_lo, v7, v3, vcc_lo
	global_load_b64 v[11:12], v[2:3], off
	v_mul_f32_e32 v8, s19, v10
	v_mul_f32_e32 v10, s18, v10
	s_waitcnt vmcnt(0)
	v_dual_fmac_f32 v10, s19, v9 :: v_dual_mul_f32 v13, s5, v12
	v_mul_f32_e32 v12, s4, v12
	v_fma_f32 v8, v9, s18, -v8
	s_delay_alu instid0(VALU_DEP_3) | instskip(NEXT) | instid1(VALU_DEP_3)
	v_fma_f32 v9, v11, s4, -v13
	v_fmac_f32_e32 v12, s5, v11
	s_delay_alu instid0(VALU_DEP_1)
	v_dual_add_f32 v8, v8, v9 :: v_dual_add_f32 v9, v10, v12
	global_store_b64 v[2:3], v[8:9], off
.LBB1111_9:
	s_or_b32 exec_lo, exec_lo, s1
	v_cmp_le_i32_e32 vcc_lo, v5, v4
	s_and_b32 s0, vcc_lo, s0
	s_delay_alu instid0(SALU_CYCLE_1)
	s_and_saveexec_b32 s1, s0
	s_cbranch_execz .LBB1111_11
; %bb.10:
	v_ashrrev_i32_e32 v5, 31, v4
	s_delay_alu instid0(VALU_DEP_1) | instskip(NEXT) | instid1(VALU_DEP_1)
	v_lshlrev_b64 v[2:3], 3, v[4:5]
	v_add_co_u32 v2, vcc_lo, v0, v2
	s_delay_alu instid0(VALU_DEP_2)
	v_add_co_ci_u32_e32 v3, vcc_lo, v7, v3, vcc_lo
	v_mul_f32_e32 v0, s19, v1
	v_mul_f32_e32 v1, s18, v1
	global_load_b64 v[4:5], v[2:3], off
	v_fmac_f32_e32 v1, s19, v6
	v_fma_f32 v0, v6, s18, -v0
	s_waitcnt vmcnt(0)
	v_mul_f32_e32 v7, s5, v5
	v_mul_f32_e32 v5, s4, v5
	s_delay_alu instid0(VALU_DEP_2) | instskip(NEXT) | instid1(VALU_DEP_1)
	v_fma_f32 v6, v4, s4, -v7
	v_dual_fmac_f32 v5, s5, v4 :: v_dual_add_f32 v0, v0, v6
	s_delay_alu instid0(VALU_DEP_1)
	v_add_f32_e32 v1, v1, v5
	global_store_b64 v[2:3], v[0:1], off
.LBB1111_11:
	s_nop 0
	s_sendmsg sendmsg(MSG_DEALLOC_VGPRS)
	s_endpgm
	.section	.rodata,"a",@progbits
	.p2align	6, 0x0
	.amdhsa_kernel _ZL37rocblas_syrkx_herkx_restricted_kernelIl19rocblas_complex_numIfELi16ELi32ELi8ELb0ELb0ELc67ELc76EKS1_S1_EviT_T0_PT8_S3_lS6_S3_lS4_PT9_S3_li
		.amdhsa_group_segment_fixed_size 4096
		.amdhsa_private_segment_fixed_size 0
		.amdhsa_kernarg_size 108
		.amdhsa_user_sgpr_count 13
		.amdhsa_user_sgpr_dispatch_ptr 0
		.amdhsa_user_sgpr_queue_ptr 0
		.amdhsa_user_sgpr_kernarg_segment_ptr 1
		.amdhsa_user_sgpr_dispatch_id 0
		.amdhsa_user_sgpr_private_segment_size 0
		.amdhsa_wavefront_size32 1
		.amdhsa_uses_dynamic_stack 0
		.amdhsa_enable_private_segment 0
		.amdhsa_system_sgpr_workgroup_id_x 1
		.amdhsa_system_sgpr_workgroup_id_y 1
		.amdhsa_system_sgpr_workgroup_id_z 1
		.amdhsa_system_sgpr_workgroup_info 0
		.amdhsa_system_vgpr_workitem_id 1
		.amdhsa_next_free_vgpr 91
		.amdhsa_next_free_sgpr 32
		.amdhsa_reserve_vcc 1
		.amdhsa_float_round_mode_32 0
		.amdhsa_float_round_mode_16_64 0
		.amdhsa_float_denorm_mode_32 3
		.amdhsa_float_denorm_mode_16_64 3
		.amdhsa_dx10_clamp 1
		.amdhsa_ieee_mode 1
		.amdhsa_fp16_overflow 0
		.amdhsa_workgroup_processor_mode 1
		.amdhsa_memory_ordered 1
		.amdhsa_forward_progress 0
		.amdhsa_shared_vgpr_count 0
		.amdhsa_exception_fp_ieee_invalid_op 0
		.amdhsa_exception_fp_denorm_src 0
		.amdhsa_exception_fp_ieee_div_zero 0
		.amdhsa_exception_fp_ieee_overflow 0
		.amdhsa_exception_fp_ieee_underflow 0
		.amdhsa_exception_fp_ieee_inexact 0
		.amdhsa_exception_int_div_zero 0
	.end_amdhsa_kernel
	.section	.text._ZL37rocblas_syrkx_herkx_restricted_kernelIl19rocblas_complex_numIfELi16ELi32ELi8ELb0ELb0ELc67ELc76EKS1_S1_EviT_T0_PT8_S3_lS6_S3_lS4_PT9_S3_li,"axG",@progbits,_ZL37rocblas_syrkx_herkx_restricted_kernelIl19rocblas_complex_numIfELi16ELi32ELi8ELb0ELb0ELc67ELc76EKS1_S1_EviT_T0_PT8_S3_lS6_S3_lS4_PT9_S3_li,comdat
.Lfunc_end1111:
	.size	_ZL37rocblas_syrkx_herkx_restricted_kernelIl19rocblas_complex_numIfELi16ELi32ELi8ELb0ELb0ELc67ELc76EKS1_S1_EviT_T0_PT8_S3_lS6_S3_lS4_PT9_S3_li, .Lfunc_end1111-_ZL37rocblas_syrkx_herkx_restricted_kernelIl19rocblas_complex_numIfELi16ELi32ELi8ELb0ELb0ELc67ELc76EKS1_S1_EviT_T0_PT8_S3_lS6_S3_lS4_PT9_S3_li
                                        ; -- End function
	.section	.AMDGPU.csdata,"",@progbits
; Kernel info:
; codeLenInByte = 2392
; NumSgprs: 34
; NumVgprs: 91
; ScratchSize: 0
; MemoryBound: 0
; FloatMode: 240
; IeeeMode: 1
; LDSByteSize: 4096 bytes/workgroup (compile time only)
; SGPRBlocks: 4
; VGPRBlocks: 11
; NumSGPRsForWavesPerEU: 34
; NumVGPRsForWavesPerEU: 91
; Occupancy: 16
; WaveLimiterHint : 0
; COMPUTE_PGM_RSRC2:SCRATCH_EN: 0
; COMPUTE_PGM_RSRC2:USER_SGPR: 13
; COMPUTE_PGM_RSRC2:TRAP_HANDLER: 0
; COMPUTE_PGM_RSRC2:TGID_X_EN: 1
; COMPUTE_PGM_RSRC2:TGID_Y_EN: 1
; COMPUTE_PGM_RSRC2:TGID_Z_EN: 1
; COMPUTE_PGM_RSRC2:TIDIG_COMP_CNT: 1
	.section	.text._ZL37rocblas_syrkx_herkx_restricted_kernelIl19rocblas_complex_numIfELi16ELi32ELi8ELb0ELb0ELc78ELc76EKS1_S1_EviT_T0_PT8_S3_lS6_S3_lS4_PT9_S3_li,"axG",@progbits,_ZL37rocblas_syrkx_herkx_restricted_kernelIl19rocblas_complex_numIfELi16ELi32ELi8ELb0ELb0ELc78ELc76EKS1_S1_EviT_T0_PT8_S3_lS6_S3_lS4_PT9_S3_li,comdat
	.globl	_ZL37rocblas_syrkx_herkx_restricted_kernelIl19rocblas_complex_numIfELi16ELi32ELi8ELb0ELb0ELc78ELc76EKS1_S1_EviT_T0_PT8_S3_lS6_S3_lS4_PT9_S3_li ; -- Begin function _ZL37rocblas_syrkx_herkx_restricted_kernelIl19rocblas_complex_numIfELi16ELi32ELi8ELb0ELb0ELc78ELc76EKS1_S1_EviT_T0_PT8_S3_lS6_S3_lS4_PT9_S3_li
	.p2align	8
	.type	_ZL37rocblas_syrkx_herkx_restricted_kernelIl19rocblas_complex_numIfELi16ELi32ELi8ELb0ELb0ELc78ELc76EKS1_S1_EviT_T0_PT8_S3_lS6_S3_lS4_PT9_S3_li,@function
_ZL37rocblas_syrkx_herkx_restricted_kernelIl19rocblas_complex_numIfELi16ELi32ELi8ELb0ELb0ELc78ELc76EKS1_S1_EviT_T0_PT8_S3_lS6_S3_lS4_PT9_S3_li: ; @_ZL37rocblas_syrkx_herkx_restricted_kernelIl19rocblas_complex_numIfELi16ELi32ELi8ELb0ELb0ELc78ELc76EKS1_S1_EviT_T0_PT8_S3_lS6_S3_lS4_PT9_S3_li
; %bb.0:
	s_load_b512 s[16:31], s[0:1], 0x8
	v_dual_mov_b32 v14, 0 :: v_dual_mov_b32 v15, 0
	v_dual_mov_b32 v10, 0 :: v_dual_mov_b32 v11, 0
	;; [unrolled: 1-line block ×4, first 2 shown]
	v_and_b32_e32 v6, 0x3ff, v0
	v_bfe_u32 v7, v0, 10, 10
	s_lshl_b32 s12, s13, 5
	s_lshl_b32 s13, s14, 5
	s_waitcnt lgkmcnt(0)
	v_cmp_lt_i64_e64 s2, s[16:17], 1
	s_delay_alu instid0(VALU_DEP_1)
	s_and_b32 vcc_lo, exec_lo, s2
	s_cbranch_vccnz .LBB1112_3
; %bb.1:
	v_lshl_add_u32 v1, v7, 4, v6
	v_and_b32_e32 v14, 7, v6
	s_mul_i32 s3, s25, s15
	s_mul_hi_u32 s5, s24, s15
	s_mul_i32 s2, s24, s15
	v_and_b32_e32 v10, 31, v1
	v_lshrrev_b32_e32 v11, 3, v1
	v_lshrrev_b32_e32 v15, 5, v1
	s_add_i32 s3, s5, s3
	s_mul_i32 s6, s31, s15
	v_add_nc_u32_e32 v0, s12, v10
	v_add_nc_u32_e32 v2, s13, v11
	s_lshl_b64 s[2:3], s[2:3], 3
	s_mul_hi_u32 s7, s30, s15
	s_add_u32 s8, s20, s2
	v_ashrrev_i32_e32 v1, 31, v0
	v_ashrrev_i32_e32 v3, 31, v2
	s_mul_i32 s4, s30, s15
	s_addc_u32 s9, s21, s3
	s_add_i32 s5, s7, s6
	v_mad_u64_u32 v[4:5], null, v15, s22, v[0:1]
	v_mad_u64_u32 v[0:1], null, v14, s28, v[2:3]
	s_lshl_b64 s[4:5], s[4:5], 3
	s_lshl_b64 s[2:3], s[22:23], 6
	s_add_u32 s4, s26, s4
	s_addc_u32 s5, s27, s5
	s_delay_alu instid0(VALU_DEP_2) | instskip(SKIP_3) | instid1(VALU_DEP_3)
	v_mov_b32_e32 v2, v5
	v_lshlrev_b32_e32 v12, 3, v6
	v_lshl_add_u32 v13, v7, 6, 0x800
	s_mov_b64 s[6:7], 0
	v_mad_u64_u32 v[8:9], null, v15, s23, v[2:3]
	v_mad_u64_u32 v[2:3], null, v14, s29, v[1:2]
	s_delay_alu instid0(VALU_DEP_2) | instskip(NEXT) | instid1(VALU_DEP_2)
	v_dual_mov_b32 v5, v8 :: v_dual_lshlrev_b32 v8, 3, v10
	v_dual_mov_b32 v1, v2 :: v_dual_lshlrev_b32 v16, 3, v14
	v_mov_b32_e32 v10, 0
	s_delay_alu instid0(VALU_DEP_3) | instskip(SKIP_1) | instid1(VALU_DEP_4)
	v_lshlrev_b64 v[2:3], 3, v[4:5]
	v_mov_b32_e32 v14, 0
	v_lshlrev_b64 v[0:1], 3, v[0:1]
	v_lshl_or_b32 v9, v11, 6, v16
	v_lshl_or_b32 v16, v15, 8, v8
	v_mov_b32_e32 v15, 0
	v_add_co_u32 v2, vcc_lo, s8, v2
	v_add_co_ci_u32_e32 v3, vcc_lo, s9, v3, vcc_lo
	v_add_co_u32 v4, vcc_lo, s4, v0
	v_add_co_ci_u32_e32 v5, vcc_lo, s5, v1, vcc_lo
	s_delay_alu instid0(VALU_DEP_4) | instskip(NEXT) | instid1(VALU_DEP_4)
	v_add_co_u32 v0, vcc_lo, v2, 4
	v_add_co_ci_u32_e32 v1, vcc_lo, 0, v3, vcc_lo
	s_delay_alu instid0(VALU_DEP_4)
	v_add_co_u32 v2, vcc_lo, v4, 4
	v_add_nc_u32_e32 v17, 0x800, v9
	v_add_co_ci_u32_e32 v3, vcc_lo, 0, v5, vcc_lo
	v_dual_mov_b32 v5, 0 :: v_dual_mov_b32 v4, 0
	v_dual_mov_b32 v9, 0 :: v_dual_mov_b32 v8, 0
	v_mov_b32_e32 v11, 0
	s_lshl_b64 s[4:5], s[28:29], 6
.LBB1112_2:                             ; =>This Inner Loop Header: Depth=1
	global_load_b64 v[18:19], v[0:1], off offset:-4
	global_load_b64 v[20:21], v[2:3], off offset:-4
	s_add_u32 s6, s6, 8
	v_add_co_u32 v0, vcc_lo, v0, s2
	s_addc_u32 s7, s7, 0
	v_add_co_ci_u32_e32 v1, vcc_lo, s3, v1, vcc_lo
	v_cmp_ge_u64_e64 s8, s[6:7], s[16:17]
	v_add_co_u32 v2, vcc_lo, v2, s4
	v_add_co_ci_u32_e32 v3, vcc_lo, s5, v3, vcc_lo
	s_waitcnt vmcnt(1)
	ds_store_b64 v16, v[18:19]
	s_waitcnt vmcnt(0)
	ds_store_b64 v17, v[20:21]
	s_waitcnt lgkmcnt(0)
	s_barrier
	buffer_gl0_inv
	ds_load_2addr_b64 v[18:21], v12 offset1:16
	ds_load_b128 v[22:25], v13
	ds_load_b128 v[26:29], v13 offset:1024
	ds_load_b128 v[30:33], v13 offset:16
	;; [unrolled: 1-line block ×4, first 2 shown]
	ds_load_2addr_b64 v[42:45], v12 offset0:32 offset1:48
	ds_load_2addr_b64 v[46:49], v12 offset0:64 offset1:80
	ds_load_b128 v[50:53], v13 offset:1040
	ds_load_2addr_b64 v[54:57], v12 offset0:96 offset1:112
	ds_load_2addr_b64 v[58:61], v12 offset0:128 offset1:144
	;; [unrolled: 1-line block ×4, first 2 shown]
	ds_load_b128 v[70:73], v13 offset:1056
	ds_load_b128 v[74:77], v13 offset:1072
	ds_load_2addr_b64 v[78:81], v12 offset0:224 offset1:240
	s_and_b32 vcc_lo, exec_lo, s8
	s_waitcnt lgkmcnt(0)
	s_barrier
	buffer_gl0_inv
	v_dual_mul_f32 v82, v23, v19 :: v_dual_mul_f32 v85, v22, v21
	v_dual_mul_f32 v83, v22, v19 :: v_dual_mul_f32 v84, v23, v21
	v_mul_f32_e32 v86, v27, v19
	v_dual_mul_f32 v19, v26, v19 :: v_dual_mul_f32 v90, v25, v45
	v_dual_mul_f32 v87, v27, v21 :: v_dual_mul_f32 v88, v25, v43
	v_mul_f32_e32 v21, v26, v21
	v_mul_f32_e32 v89, v24, v43
	;; [unrolled: 1-line block ×3, first 2 shown]
	v_fma_f32 v82, v22, v18, -v82
	v_fmac_f32_e32 v83, v23, v18
	v_fma_f32 v22, v22, v20, -v84
	v_dual_fmac_f32 v85, v23, v20 :: v_dual_mul_f32 v84, v30, v47
	v_fma_f32 v23, v26, v18, -v86
	v_fmac_f32_e32 v19, v27, v18
	v_fma_f32 v18, v26, v20, -v87
	v_dual_mul_f32 v26, v28, v43 :: v_dual_fmac_f32 v21, v27, v20
	v_mul_f32_e32 v20, v29, v43
	v_mul_f32_e32 v27, v29, v45
	v_dual_mul_f32 v43, v28, v45 :: v_dual_fmac_f32 v84, v31, v46
	v_fma_f32 v45, v24, v42, -v88
	v_fma_f32 v24, v24, v44, -v90
	v_dual_fmac_f32 v91, v25, v44 :: v_dual_mul_f32 v90, v32, v57
	v_dual_mul_f32 v86, v31, v49 :: v_dual_fmac_f32 v89, v25, v42
	v_dual_mul_f32 v25, v31, v47 :: v_dual_mul_f32 v88, v33, v57
	v_fma_f32 v20, v28, v42, -v20
	v_fmac_f32_e32 v26, v29, v42
	v_fma_f32 v27, v28, v44, -v27
	v_dual_fmac_f32 v43, v29, v44 :: v_dual_mul_f32 v28, v51, v47
	v_dual_mul_f32 v29, v50, v47 :: v_dual_mul_f32 v42, v51, v49
	v_mul_f32_e32 v44, v50, v49
	v_mul_f32_e32 v87, v30, v49
	;; [unrolled: 1-line block ×3, first 2 shown]
	v_dual_mul_f32 v49, v32, v55 :: v_dual_fmac_f32 v90, v33, v56
	v_fma_f32 v25, v30, v46, -v25
	v_fma_f32 v30, v30, v48, -v86
	;; [unrolled: 1-line block ×3, first 2 shown]
	v_fmac_f32_e32 v44, v51, v48
	v_fmac_f32_e32 v87, v31, v48
	v_fma_f32 v31, v50, v48, -v42
	v_mul_f32_e32 v42, v53, v55
	v_mul_f32_e32 v48, v53, v57
	v_dual_mul_f32 v50, v52, v57 :: v_dual_fmac_f32 v29, v51, v46
	v_mul_f32_e32 v46, v52, v55
	v_fma_f32 v47, v32, v54, -v47
	v_fmac_f32_e32 v49, v33, v54
	v_fma_f32 v32, v32, v56, -v88
	s_delay_alu instid0(VALU_DEP_4)
	v_dual_mul_f32 v33, v35, v59 :: v_dual_fmac_f32 v46, v53, v54
	v_mul_f32_e32 v51, v34, v59
	v_mul_f32_e32 v55, v35, v61
	v_fma_f32 v42, v52, v54, -v42
	v_fma_f32 v48, v52, v56, -v48
	v_fmac_f32_e32 v50, v53, v56
	v_mul_f32_e32 v52, v71, v59
	v_dual_mul_f32 v53, v70, v59 :: v_dual_mul_f32 v86, v37, v65
	v_mul_f32_e32 v54, v71, v61
	v_dual_mul_f32 v56, v70, v61 :: v_dual_mul_f32 v59, v37, v63
	v_mul_f32_e32 v57, v34, v61
	v_mul_f32_e32 v61, v36, v63
	v_dual_mul_f32 v88, v36, v65 :: v_dual_fmac_f32 v51, v35, v58
	v_fma_f32 v33, v34, v58, -v33
	v_fmac_f32_e32 v53, v71, v58
	v_fmac_f32_e32 v56, v71, v60
	s_delay_alu instid0(VALU_DEP_4)
	v_fmac_f32_e32 v88, v37, v64
	v_fmac_f32_e32 v57, v35, v60
	v_fma_f32 v35, v70, v58, -v52
	v_fma_f32 v52, v70, v60, -v54
	v_mul_f32_e32 v54, v73, v63
	v_fma_f32 v34, v34, v60, -v55
	v_mul_f32_e32 v60, v72, v65
	v_dual_mul_f32 v55, v72, v63 :: v_dual_mul_f32 v70, v38, v69
	v_mul_f32_e32 v58, v73, v65
	v_fma_f32 v59, v36, v62, -v59
	v_fmac_f32_e32 v61, v37, v62
	v_fma_f32 v36, v36, v64, -v86
	v_dual_mul_f32 v37, v39, v67 :: v_dual_fmac_f32 v60, v73, v64
	v_dual_mul_f32 v63, v38, v67 :: v_dual_mul_f32 v86, v40, v81
	v_mul_f32_e32 v65, v39, v69
	v_fma_f32 v54, v72, v62, -v54
	v_fmac_f32_e32 v55, v73, v62
	v_fma_f32 v58, v72, v64, -v58
	v_mul_f32_e32 v72, v40, v79
	v_mul_f32_e32 v62, v75, v67
	v_dual_mul_f32 v64, v74, v67 :: v_dual_mul_f32 v67, v75, v69
	v_dual_mul_f32 v69, v74, v69 :: v_dual_fmac_f32 v70, v39, v68
	s_delay_alu instid0(VALU_DEP_2)
	v_dual_mul_f32 v71, v41, v79 :: v_dual_fmac_f32 v64, v75, v66
	v_fma_f32 v37, v38, v66, -v37
	v_fmac_f32_e32 v63, v39, v66
	v_fma_f32 v39, v74, v66, -v62
	v_dual_mul_f32 v66, v76, v79 :: v_dual_mul_f32 v73, v41, v81
	v_add_f32_e32 v14, v14, v82
	v_fma_f32 v38, v38, v68, -v65
	v_fma_f32 v62, v74, v68, -v67
	v_dual_fmac_f32 v69, v75, v68 :: v_dual_fmac_f32 v72, v41, v78
	v_dual_mul_f32 v65, v77, v79 :: v_dual_add_f32 v10, v10, v22
	v_dual_mul_f32 v67, v77, v81 :: v_dual_add_f32 v8, v8, v23
	v_mul_f32_e32 v68, v76, v81
	v_dual_fmac_f32 v86, v41, v80 :: v_dual_add_f32 v15, v15, v83
	v_dual_fmac_f32 v66, v77, v78 :: v_dual_add_f32 v11, v11, v85
	v_dual_add_f32 v9, v9, v19 :: v_dual_add_f32 v4, v4, v18
	v_dual_add_f32 v5, v5, v21 :: v_dual_add_f32 v10, v10, v24
	s_delay_alu instid0(VALU_DEP_4) | instskip(NEXT) | instid1(VALU_DEP_4)
	v_dual_fmac_f32 v68, v77, v80 :: v_dual_add_f32 v15, v15, v89
	v_dual_add_f32 v14, v14, v45 :: v_dual_add_f32 v11, v11, v91
	s_delay_alu instid0(VALU_DEP_4) | instskip(NEXT) | instid1(VALU_DEP_3)
	v_dual_add_f32 v8, v8, v20 :: v_dual_add_f32 v9, v9, v26
	v_dual_add_f32 v4, v4, v27 :: v_dual_add_f32 v15, v15, v84
	s_delay_alu instid0(VALU_DEP_3) | instskip(NEXT) | instid1(VALU_DEP_4)
	v_dual_add_f32 v5, v5, v43 :: v_dual_add_f32 v14, v14, v25
	v_dual_add_f32 v10, v10, v30 :: v_dual_add_f32 v11, v11, v87
	s_delay_alu instid0(VALU_DEP_4) | instskip(NEXT) | instid1(VALU_DEP_3)
	v_dual_add_f32 v8, v8, v28 :: v_dual_add_f32 v9, v9, v29
	v_dual_add_f32 v4, v4, v31 :: v_dual_add_f32 v5, v5, v44
	s_delay_alu instid0(VALU_DEP_4) | instskip(NEXT) | instid1(VALU_DEP_4)
	v_dual_add_f32 v14, v14, v47 :: v_dual_add_f32 v15, v15, v49
	v_dual_add_f32 v10, v10, v32 :: v_dual_add_f32 v11, v11, v90
	s_delay_alu instid0(VALU_DEP_4) | instskip(NEXT) | instid1(VALU_DEP_4)
	v_add_f32_e32 v8, v8, v42
	v_dual_add_f32 v9, v9, v46 :: v_dual_add_f32 v4, v4, v48
	s_delay_alu instid0(VALU_DEP_4) | instskip(NEXT) | instid1(VALU_DEP_4)
	v_dual_add_f32 v5, v5, v50 :: v_dual_add_f32 v14, v14, v33
	v_dual_add_f32 v15, v15, v51 :: v_dual_add_f32 v10, v10, v34
	s_delay_alu instid0(VALU_DEP_4) | instskip(NEXT) | instid1(VALU_DEP_4)
	v_dual_add_f32 v11, v11, v57 :: v_dual_add_f32 v8, v8, v35
	v_dual_add_f32 v9, v9, v53 :: v_dual_add_f32 v4, v4, v52
	s_delay_alu instid0(VALU_DEP_3) | instskip(SKIP_1) | instid1(VALU_DEP_3)
	v_add_f32_e32 v15, v15, v61
	v_dual_add_f32 v5, v5, v56 :: v_dual_add_f32 v14, v14, v59
	v_dual_add_f32 v10, v10, v36 :: v_dual_add_f32 v9, v9, v55
	;; [unrolled: 1-line block ×3, first 2 shown]
	s_delay_alu instid0(VALU_DEP_3)
	v_dual_add_f32 v4, v4, v58 :: v_dual_add_f32 v5, v5, v60
	v_fma_f32 v71, v40, v78, -v71
	v_fma_f32 v40, v40, v80, -v73
	;; [unrolled: 1-line block ×4, first 2 shown]
	v_dual_add_f32 v14, v14, v37 :: v_dual_add_f32 v15, v15, v63
	v_dual_add_f32 v10, v10, v38 :: v_dual_add_f32 v9, v9, v64
	;; [unrolled: 1-line block ×4, first 2 shown]
	s_delay_alu instid0(VALU_DEP_4) | instskip(NEXT) | instid1(VALU_DEP_3)
	v_dual_add_f32 v14, v14, v71 :: v_dual_add_f32 v15, v15, v72
	v_dual_add_f32 v10, v10, v40 :: v_dual_add_f32 v11, v11, v86
	s_delay_alu instid0(VALU_DEP_4) | instskip(NEXT) | instid1(VALU_DEP_4)
	v_dual_add_f32 v8, v8, v41 :: v_dual_add_f32 v9, v9, v66
	v_dual_add_f32 v4, v4, v65 :: v_dual_add_f32 v5, v5, v68
	s_cbranch_vccz .LBB1112_2
.LBB1112_3:
	s_load_b256 s[4:11], s[0:1], 0x48
	v_add_nc_u32_e32 v7, s13, v7
	s_load_b32 s13, s[0:1], 0x0
	s_delay_alu instid0(VALU_DEP_1) | instskip(SKIP_3) | instid1(VALU_DEP_3)
	v_ashrrev_i32_e32 v0, 31, v7
	s_waitcnt lgkmcnt(0)
	v_mul_lo_u32 v3, v7, s9
	v_mad_u64_u32 v[1:2], null, v7, s8, 0
	v_mul_lo_u32 v0, v0, s8
	s_mul_i32 s1, s15, s11
	s_mul_hi_u32 s2, s15, s10
	s_mul_i32 s0, s15, s10
	s_add_i32 s1, s2, s1
	s_delay_alu instid0(SALU_CYCLE_1) | instskip(NEXT) | instid1(VALU_DEP_1)
	s_lshl_b64 s[2:3], s[0:1], 3
	v_add3_u32 v2, v2, v3, v0
	v_add_nc_u32_e32 v0, s12, v6
	s_add_u32 s2, s6, s2
	s_addc_u32 s3, s7, s3
	s_delay_alu instid0(VALU_DEP_2) | instskip(NEXT) | instid1(VALU_DEP_2)
	v_lshlrev_b64 v[1:2], 3, v[1:2]
	v_cmp_le_i32_e64 s0, v7, v0
	v_cmp_gt_i32_e32 vcc_lo, s13, v0
	s_delay_alu instid0(VALU_DEP_3) | instskip(NEXT) | instid1(VALU_DEP_1)
	v_add_co_u32 v6, s1, s2, v1
	v_add_co_ci_u32_e64 v12, s1, s3, v2, s1
	s_delay_alu instid0(VALU_DEP_4) | instskip(NEXT) | instid1(SALU_CYCLE_1)
	s_and_b32 s0, s0, vcc_lo
	s_and_saveexec_b32 s1, s0
	s_cbranch_execz .LBB1112_5
; %bb.4:
	v_ashrrev_i32_e32 v1, 31, v0
	s_delay_alu instid0(VALU_DEP_1) | instskip(NEXT) | instid1(VALU_DEP_1)
	v_lshlrev_b64 v[1:2], 3, v[0:1]
	v_add_co_u32 v1, s0, v6, v1
	s_delay_alu instid0(VALU_DEP_1) | instskip(SKIP_4) | instid1(VALU_DEP_2)
	v_add_co_ci_u32_e64 v2, s0, v12, v2, s0
	global_load_b64 v[16:17], v[1:2], off
	s_waitcnt vmcnt(0)
	v_mul_f32_e32 v13, s5, v17
	v_mul_f32_e32 v17, s4, v17
	v_fma_f32 v13, v16, s4, -v13
	s_delay_alu instid0(VALU_DEP_2) | instskip(SKIP_2) | instid1(VALU_DEP_2)
	v_fmac_f32_e32 v17, s5, v16
	v_mul_f32_e32 v3, s19, v15
	v_mul_f32_e32 v15, s18, v15
	v_fma_f32 v3, v14, s18, -v3
	s_delay_alu instid0(VALU_DEP_2) | instskip(NEXT) | instid1(VALU_DEP_2)
	v_fmac_f32_e32 v15, s19, v14
	v_add_f32_e32 v13, v3, v13
	s_delay_alu instid0(VALU_DEP_2)
	v_add_f32_e32 v14, v15, v17
	global_store_b64 v[1:2], v[13:14], off
.LBB1112_5:
	s_or_b32 exec_lo, exec_lo, s1
	v_add_nc_u32_e32 v2, 16, v0
	s_delay_alu instid0(VALU_DEP_1) | instskip(SKIP_1) | instid1(VALU_DEP_1)
	v_cmp_le_i32_e64 s1, v7, v2
	v_cmp_gt_i32_e64 s0, s13, v2
	s_and_b32 s1, s1, s0
	s_delay_alu instid0(SALU_CYCLE_1)
	s_and_saveexec_b32 s6, s1
	s_cbranch_execz .LBB1112_7
; %bb.6:
	v_ashrrev_i32_e32 v3, 31, v2
	s_delay_alu instid0(VALU_DEP_1) | instskip(NEXT) | instid1(VALU_DEP_1)
	v_lshlrev_b64 v[13:14], 3, v[2:3]
	v_add_co_u32 v13, s1, v6, v13
	s_delay_alu instid0(VALU_DEP_1) | instskip(SKIP_3) | instid1(VALU_DEP_1)
	v_add_co_ci_u32_e64 v14, s1, v12, v14, s1
	global_load_b64 v[15:16], v[13:14], off
	s_waitcnt vmcnt(0)
	v_dual_mul_f32 v1, s19, v11 :: v_dual_mul_f32 v6, s5, v16
	v_fma_f32 v1, v10, s18, -v1
	s_delay_alu instid0(VALU_DEP_2) | instskip(SKIP_2) | instid1(VALU_DEP_2)
	v_fma_f32 v6, v15, s4, -v6
	v_mul_f32_e32 v3, s18, v11
	v_mul_f32_e32 v11, s4, v16
	v_fmac_f32_e32 v3, s19, v10
	s_delay_alu instid0(VALU_DEP_2) | instskip(NEXT) | instid1(VALU_DEP_1)
	v_dual_add_f32 v10, v1, v6 :: v_dual_fmac_f32 v11, s5, v15
	v_add_f32_e32 v11, v3, v11
	global_store_b64 v[13:14], v[10:11], off
.LBB1112_7:
	s_or_b32 exec_lo, exec_lo, s6
	v_add_nc_u32_e32 v3, 16, v7
	s_delay_alu instid0(VALU_DEP_1) | instskip(SKIP_3) | instid1(VALU_DEP_4)
	v_ashrrev_i32_e32 v1, 31, v3
	v_mul_lo_u32 v10, v3, s9
	v_mad_u64_u32 v[6:7], null, v3, s8, 0
	v_cmp_le_i32_e64 s1, v3, v0
	v_mul_lo_u32 v1, v1, s8
	s_delay_alu instid0(VALU_DEP_1) | instskip(NEXT) | instid1(VALU_DEP_1)
	v_add3_u32 v7, v7, v10, v1
	v_lshlrev_b64 v[6:7], 3, v[6:7]
	s_delay_alu instid0(VALU_DEP_1) | instskip(NEXT) | instid1(VALU_DEP_1)
	v_add_co_u32 v6, s2, s2, v6
	v_add_co_ci_u32_e64 v7, s2, s3, v7, s2
	s_and_b32 s2, s1, vcc_lo
	s_delay_alu instid0(SALU_CYCLE_1)
	s_and_saveexec_b32 s1, s2
	s_cbranch_execz .LBB1112_9
; %bb.8:
	v_ashrrev_i32_e32 v1, 31, v0
	s_delay_alu instid0(VALU_DEP_1) | instskip(NEXT) | instid1(VALU_DEP_1)
	v_lshlrev_b64 v[0:1], 3, v[0:1]
	v_add_co_u32 v0, vcc_lo, v6, v0
	s_delay_alu instid0(VALU_DEP_2) | instskip(SKIP_4) | instid1(VALU_DEP_2)
	v_add_co_ci_u32_e32 v1, vcc_lo, v7, v1, vcc_lo
	global_load_b64 v[10:11], v[0:1], off
	s_waitcnt vmcnt(0)
	v_dual_mul_f32 v12, s19, v9 :: v_dual_mul_f32 v13, s5, v11
	v_mul_f32_e32 v11, s4, v11
	v_fma_f32 v12, v8, s18, -v12
	v_mul_f32_e32 v9, s18, v9
	s_delay_alu instid0(VALU_DEP_3) | instskip(NEXT) | instid1(VALU_DEP_2)
	v_fmac_f32_e32 v11, s5, v10
	v_fmac_f32_e32 v9, s19, v8
	v_fma_f32 v8, v10, s4, -v13
	s_delay_alu instid0(VALU_DEP_1)
	v_dual_add_f32 v9, v9, v11 :: v_dual_add_f32 v8, v12, v8
	global_store_b64 v[0:1], v[8:9], off
.LBB1112_9:
	s_or_b32 exec_lo, exec_lo, s1
	v_cmp_le_i32_e32 vcc_lo, v3, v2
	s_and_b32 s0, vcc_lo, s0
	s_delay_alu instid0(SALU_CYCLE_1)
	s_and_saveexec_b32 s1, s0
	s_cbranch_execz .LBB1112_11
; %bb.10:
	v_ashrrev_i32_e32 v3, 31, v2
	s_delay_alu instid0(VALU_DEP_1) | instskip(NEXT) | instid1(VALU_DEP_1)
	v_lshlrev_b64 v[0:1], 3, v[2:3]
	v_add_co_u32 v0, vcc_lo, v6, v0
	s_delay_alu instid0(VALU_DEP_2) | instskip(SKIP_4) | instid1(VALU_DEP_2)
	v_add_co_ci_u32_e32 v1, vcc_lo, v7, v1, vcc_lo
	global_load_b64 v[2:3], v[0:1], off
	s_waitcnt vmcnt(0)
	v_dual_mul_f32 v6, s19, v5 :: v_dual_mul_f32 v7, s5, v3
	v_mul_f32_e32 v3, s4, v3
	v_fma_f32 v6, v4, s18, -v6
	v_mul_f32_e32 v5, s18, v5
	s_delay_alu instid0(VALU_DEP_3) | instskip(NEXT) | instid1(VALU_DEP_2)
	v_fmac_f32_e32 v3, s5, v2
	v_fmac_f32_e32 v5, s19, v4
	v_fma_f32 v4, v2, s4, -v7
	s_delay_alu instid0(VALU_DEP_1)
	v_dual_add_f32 v3, v5, v3 :: v_dual_add_f32 v2, v6, v4
	global_store_b64 v[0:1], v[2:3], off
.LBB1112_11:
	s_nop 0
	s_sendmsg sendmsg(MSG_DEALLOC_VGPRS)
	s_endpgm
	.section	.rodata,"a",@progbits
	.p2align	6, 0x0
	.amdhsa_kernel _ZL37rocblas_syrkx_herkx_restricted_kernelIl19rocblas_complex_numIfELi16ELi32ELi8ELb0ELb0ELc78ELc76EKS1_S1_EviT_T0_PT8_S3_lS6_S3_lS4_PT9_S3_li
		.amdhsa_group_segment_fixed_size 4096
		.amdhsa_private_segment_fixed_size 0
		.amdhsa_kernarg_size 108
		.amdhsa_user_sgpr_count 13
		.amdhsa_user_sgpr_dispatch_ptr 0
		.amdhsa_user_sgpr_queue_ptr 0
		.amdhsa_user_sgpr_kernarg_segment_ptr 1
		.amdhsa_user_sgpr_dispatch_id 0
		.amdhsa_user_sgpr_private_segment_size 0
		.amdhsa_wavefront_size32 1
		.amdhsa_uses_dynamic_stack 0
		.amdhsa_enable_private_segment 0
		.amdhsa_system_sgpr_workgroup_id_x 1
		.amdhsa_system_sgpr_workgroup_id_y 1
		.amdhsa_system_sgpr_workgroup_id_z 1
		.amdhsa_system_sgpr_workgroup_info 0
		.amdhsa_system_vgpr_workitem_id 1
		.amdhsa_next_free_vgpr 92
		.amdhsa_next_free_sgpr 32
		.amdhsa_reserve_vcc 1
		.amdhsa_float_round_mode_32 0
		.amdhsa_float_round_mode_16_64 0
		.amdhsa_float_denorm_mode_32 3
		.amdhsa_float_denorm_mode_16_64 3
		.amdhsa_dx10_clamp 1
		.amdhsa_ieee_mode 1
		.amdhsa_fp16_overflow 0
		.amdhsa_workgroup_processor_mode 1
		.amdhsa_memory_ordered 1
		.amdhsa_forward_progress 0
		.amdhsa_shared_vgpr_count 0
		.amdhsa_exception_fp_ieee_invalid_op 0
		.amdhsa_exception_fp_denorm_src 0
		.amdhsa_exception_fp_ieee_div_zero 0
		.amdhsa_exception_fp_ieee_overflow 0
		.amdhsa_exception_fp_ieee_underflow 0
		.amdhsa_exception_fp_ieee_inexact 0
		.amdhsa_exception_int_div_zero 0
	.end_amdhsa_kernel
	.section	.text._ZL37rocblas_syrkx_herkx_restricted_kernelIl19rocblas_complex_numIfELi16ELi32ELi8ELb0ELb0ELc78ELc76EKS1_S1_EviT_T0_PT8_S3_lS6_S3_lS4_PT9_S3_li,"axG",@progbits,_ZL37rocblas_syrkx_herkx_restricted_kernelIl19rocblas_complex_numIfELi16ELi32ELi8ELb0ELb0ELc78ELc76EKS1_S1_EviT_T0_PT8_S3_lS6_S3_lS4_PT9_S3_li,comdat
.Lfunc_end1112:
	.size	_ZL37rocblas_syrkx_herkx_restricted_kernelIl19rocblas_complex_numIfELi16ELi32ELi8ELb0ELb0ELc78ELc76EKS1_S1_EviT_T0_PT8_S3_lS6_S3_lS4_PT9_S3_li, .Lfunc_end1112-_ZL37rocblas_syrkx_herkx_restricted_kernelIl19rocblas_complex_numIfELi16ELi32ELi8ELb0ELb0ELc78ELc76EKS1_S1_EviT_T0_PT8_S3_lS6_S3_lS4_PT9_S3_li
                                        ; -- End function
	.section	.AMDGPU.csdata,"",@progbits
; Kernel info:
; codeLenInByte = 2396
; NumSgprs: 34
; NumVgprs: 92
; ScratchSize: 0
; MemoryBound: 0
; FloatMode: 240
; IeeeMode: 1
; LDSByteSize: 4096 bytes/workgroup (compile time only)
; SGPRBlocks: 4
; VGPRBlocks: 11
; NumSGPRsForWavesPerEU: 34
; NumVGPRsForWavesPerEU: 92
; Occupancy: 16
; WaveLimiterHint : 0
; COMPUTE_PGM_RSRC2:SCRATCH_EN: 0
; COMPUTE_PGM_RSRC2:USER_SGPR: 13
; COMPUTE_PGM_RSRC2:TRAP_HANDLER: 0
; COMPUTE_PGM_RSRC2:TGID_X_EN: 1
; COMPUTE_PGM_RSRC2:TGID_Y_EN: 1
; COMPUTE_PGM_RSRC2:TGID_Z_EN: 1
; COMPUTE_PGM_RSRC2:TIDIG_COMP_CNT: 1
	.section	.text._ZL37rocblas_syrkx_herkx_restricted_kernelIl19rocblas_complex_numIfELi16ELi32ELi8ELb0ELb0ELc84ELc85EKS1_S1_EviT_T0_PT8_S3_lS6_S3_lS4_PT9_S3_li,"axG",@progbits,_ZL37rocblas_syrkx_herkx_restricted_kernelIl19rocblas_complex_numIfELi16ELi32ELi8ELb0ELb0ELc84ELc85EKS1_S1_EviT_T0_PT8_S3_lS6_S3_lS4_PT9_S3_li,comdat
	.globl	_ZL37rocblas_syrkx_herkx_restricted_kernelIl19rocblas_complex_numIfELi16ELi32ELi8ELb0ELb0ELc84ELc85EKS1_S1_EviT_T0_PT8_S3_lS6_S3_lS4_PT9_S3_li ; -- Begin function _ZL37rocblas_syrkx_herkx_restricted_kernelIl19rocblas_complex_numIfELi16ELi32ELi8ELb0ELb0ELc84ELc85EKS1_S1_EviT_T0_PT8_S3_lS6_S3_lS4_PT9_S3_li
	.p2align	8
	.type	_ZL37rocblas_syrkx_herkx_restricted_kernelIl19rocblas_complex_numIfELi16ELi32ELi8ELb0ELb0ELc84ELc85EKS1_S1_EviT_T0_PT8_S3_lS6_S3_lS4_PT9_S3_li,@function
_ZL37rocblas_syrkx_herkx_restricted_kernelIl19rocblas_complex_numIfELi16ELi32ELi8ELb0ELb0ELc84ELc85EKS1_S1_EviT_T0_PT8_S3_lS6_S3_lS4_PT9_S3_li: ; @_ZL37rocblas_syrkx_herkx_restricted_kernelIl19rocblas_complex_numIfELi16ELi32ELi8ELb0ELb0ELc84ELc85EKS1_S1_EviT_T0_PT8_S3_lS6_S3_lS4_PT9_S3_li
; %bb.0:
	s_load_b512 s[16:31], s[0:1], 0x8
	v_dual_mov_b32 v14, 0 :: v_dual_mov_b32 v11, 0
	v_dual_mov_b32 v16, 0 :: v_dual_mov_b32 v9, 0
	v_dual_mov_b32 v12, 0 :: v_dual_and_b32 v7, 0x3ff, v0
	v_dual_mov_b32 v10, 0 :: v_dual_mov_b32 v1, 0
	v_mov_b32_e32 v6, 0
	v_bfe_u32 v8, v0, 10, 10
	s_lshl_b32 s12, s13, 5
	s_lshl_b32 s13, s14, 5
	s_waitcnt lgkmcnt(0)
	v_cmp_lt_i64_e64 s2, s[16:17], 1
	s_delay_alu instid0(VALU_DEP_1)
	s_and_b32 vcc_lo, exec_lo, s2
	s_cbranch_vccnz .LBB1113_3
; %bb.1:
	v_lshl_add_u32 v2, v8, 4, v7
	v_dual_mov_b32 v1, 0 :: v_dual_and_b32 v0, 7, v7
	s_mul_i32 s3, s25, s15
	s_mul_hi_u32 s4, s24, s15
	s_delay_alu instid0(VALU_DEP_2)
	v_and_b32_e32 v6, 31, v2
	v_lshrrev_b32_e32 v11, 3, v2
	v_mov_b32_e32 v3, v1
	v_lshrrev_b32_e32 v2, 5, v2
	v_lshlrev_b32_e32 v14, 3, v0
	v_add_nc_u32_e32 v9, s12, v6
	v_add_nc_u32_e32 v12, s13, v11
	s_mul_i32 s2, s24, s15
	s_add_i32 s3, s4, s3
	s_mul_hi_u32 s5, s30, s15
	v_ashrrev_i32_e32 v10, 31, v9
	v_ashrrev_i32_e32 v15, 31, v12
	v_mad_u64_u32 v[4:5], null, s22, v9, v[2:3]
	v_mul_lo_u32 v3, s23, v9
	s_delay_alu instid0(VALU_DEP_4)
	v_mul_lo_u32 v16, s22, v10
	v_mul_lo_u32 v17, v12, s29
	v_mad_u64_u32 v[9:10], null, v12, s28, v[0:1]
	v_mul_lo_u32 v12, v15, s28
	v_lshlrev_b32_e32 v0, 3, v6
	s_lshl_b64 s[2:3], s[2:3], 3
	v_lshl_or_b32 v6, v11, 6, v14
	v_add3_u32 v5, v3, v5, v16
	s_add_u32 s4, s20, s2
	v_lshl_or_b32 v0, v2, 8, v0
	s_mul_i32 s2, s31, s15
	v_add3_u32 v10, v12, v10, v17
	v_lshlrev_b64 v[2:3], 3, v[4:5]
	s_addc_u32 s6, s21, s3
	s_add_i32 s3, s5, s2
	s_mul_i32 s2, s30, s15
	v_lshlrev_b64 v[4:5], 3, v[9:10]
	v_mov_b32_e32 v9, v1
	s_lshl_b64 s[2:3], s[2:3], 3
	v_add_co_u32 v2, vcc_lo, s4, v2
	s_add_u32 s2, s26, s2
	v_add_co_ci_u32_e32 v3, vcc_lo, s6, v3, vcc_lo
	s_addc_u32 s3, s27, s3
	v_add_co_u32 v4, vcc_lo, s2, v4
	v_add_co_ci_u32_e32 v5, vcc_lo, s3, v5, vcc_lo
	v_add_co_u32 v2, vcc_lo, v2, 4
	v_add_co_ci_u32_e32 v3, vcc_lo, 0, v3, vcc_lo
	s_delay_alu instid0(VALU_DEP_4)
	v_add_co_u32 v4, vcc_lo, v4, 4
	v_lshlrev_b32_e32 v13, 3, v7
	v_dual_mov_b32 v12, v1 :: v_dual_add_nc_u32 v15, 0x800, v6
	v_lshl_add_u32 v17, v8, 6, 0x800
	v_add_co_ci_u32_e32 v5, vcc_lo, 0, v5, vcc_lo
	v_mov_b32_e32 v6, v1
	v_mov_b32_e32 v10, v1
	;; [unrolled: 1-line block ×5, first 2 shown]
	s_mov_b64 s[2:3], 0
.LBB1113_2:                             ; =>This Inner Loop Header: Depth=1
	global_load_b64 v[18:19], v[2:3], off offset:-4
	global_load_b64 v[20:21], v[4:5], off offset:-4
	s_add_u32 s2, s2, 8
	v_add_co_u32 v2, vcc_lo, v2, 64
	s_addc_u32 s3, s3, 0
	v_add_co_ci_u32_e32 v3, vcc_lo, 0, v3, vcc_lo
	v_cmp_ge_u64_e64 s4, s[2:3], s[16:17]
	v_add_co_u32 v4, vcc_lo, v4, 64
	v_add_co_ci_u32_e32 v5, vcc_lo, 0, v5, vcc_lo
	s_waitcnt vmcnt(1)
	ds_store_b64 v0, v[18:19]
	s_waitcnt vmcnt(0)
	ds_store_b64 v15, v[20:21]
	s_waitcnt lgkmcnt(0)
	s_barrier
	buffer_gl0_inv
	ds_load_2addr_b64 v[18:21], v13 offset1:16
	ds_load_b128 v[22:25], v17
	ds_load_b128 v[26:29], v17 offset:1024
	ds_load_b128 v[30:33], v17 offset:16
	;; [unrolled: 1-line block ×4, first 2 shown]
	ds_load_2addr_b64 v[42:45], v13 offset0:32 offset1:48
	ds_load_2addr_b64 v[46:49], v13 offset0:64 offset1:80
	ds_load_b128 v[50:53], v17 offset:1040
	ds_load_2addr_b64 v[54:57], v13 offset0:96 offset1:112
	ds_load_2addr_b64 v[58:61], v13 offset0:128 offset1:144
	;; [unrolled: 1-line block ×4, first 2 shown]
	ds_load_b128 v[70:73], v17 offset:1056
	ds_load_b128 v[74:77], v17 offset:1072
	ds_load_2addr_b64 v[78:81], v13 offset0:224 offset1:240
	s_and_b32 vcc_lo, exec_lo, s4
	s_waitcnt lgkmcnt(0)
	s_barrier
	buffer_gl0_inv
	v_dual_mul_f32 v82, v23, v19 :: v_dual_mul_f32 v85, v22, v21
	v_dual_mul_f32 v83, v22, v19 :: v_dual_mul_f32 v84, v23, v21
	v_mul_f32_e32 v86, v27, v19
	v_dual_mul_f32 v19, v26, v19 :: v_dual_mul_f32 v90, v25, v45
	v_dual_mul_f32 v87, v27, v21 :: v_dual_mul_f32 v88, v25, v43
	v_mul_f32_e32 v21, v26, v21
	v_fma_f32 v82, v22, v18, -v82
	v_fmac_f32_e32 v83, v23, v18
	v_fma_f32 v22, v22, v20, -v84
	v_fmac_f32_e32 v85, v23, v20
	v_fma_f32 v23, v26, v18, -v86
	v_dual_fmac_f32 v19, v27, v18 :: v_dual_mul_f32 v86, v30, v47
	v_fma_f32 v18, v26, v20, -v87
	v_dual_fmac_f32 v21, v27, v20 :: v_dual_mul_f32 v20, v24, v45
	v_mul_f32_e32 v89, v24, v43
	v_mul_f32_e32 v26, v29, v43
	;; [unrolled: 1-line block ×4, first 2 shown]
	v_fmac_f32_e32 v20, v25, v44
	v_fmac_f32_e32 v89, v25, v42
	v_dual_mul_f32 v25, v28, v45 :: v_dual_fmac_f32 v86, v31, v46
	v_fma_f32 v84, v24, v42, -v88
	v_fma_f32 v24, v24, v44, -v90
	v_dual_mul_f32 v45, v31, v47 :: v_dual_mul_f32 v90, v33, v57
	v_fma_f32 v26, v28, v42, -v26
	v_fma_f32 v28, v28, v44, -v43
	v_fmac_f32_e32 v25, v29, v44
	v_dual_mul_f32 v43, v50, v47 :: v_dual_mul_f32 v44, v51, v49
	v_dual_fmac_f32 v27, v29, v42 :: v_dual_mul_f32 v42, v51, v47
	v_dual_mul_f32 v88, v32, v55 :: v_dual_mul_f32 v29, v30, v49
	v_mul_f32_e32 v87, v31, v49
	v_fma_f32 v45, v30, v46, -v45
	v_add_f32_e32 v14, v14, v82
	s_delay_alu instid0(VALU_DEP_4)
	v_dual_fmac_f32 v88, v33, v54 :: v_dual_fmac_f32 v29, v31, v48
	v_fma_f32 v31, v50, v46, -v42
	v_fma_f32 v42, v50, v48, -v44
	v_mul_f32_e32 v44, v32, v57
	v_mul_f32_e32 v47, v50, v49
	v_dual_mul_f32 v50, v53, v57 :: v_dual_fmac_f32 v43, v51, v46
	v_mul_f32_e32 v46, v53, v55
	v_mul_f32_e32 v49, v33, v55
	v_fma_f32 v30, v30, v48, -v87
	v_fmac_f32_e32 v44, v33, v56
	v_dual_fmac_f32 v47, v51, v48 :: v_dual_mul_f32 v48, v52, v55
	v_mul_f32_e32 v33, v52, v57
	v_fma_f32 v46, v52, v54, -v46
	v_fma_f32 v50, v52, v56, -v50
	v_mul_f32_e32 v52, v34, v61
	v_fma_f32 v49, v32, v54, -v49
	v_fma_f32 v32, v32, v56, -v90
	v_dual_mul_f32 v51, v35, v59 :: v_dual_fmac_f32 v48, v53, v54
	v_mul_f32_e32 v54, v70, v59
	v_dual_mul_f32 v55, v34, v59 :: v_dual_fmac_f32 v52, v35, v60
	v_fmac_f32_e32 v33, v53, v56
	v_mul_f32_e32 v53, v71, v59
	v_mul_f32_e32 v56, v71, v61
	;; [unrolled: 1-line block ×3, first 2 shown]
	v_fmac_f32_e32 v54, v71, v58
	v_fmac_f32_e32 v55, v35, v58
	v_fma_f32 v35, v70, v58, -v53
	v_fma_f32 v53, v70, v60, -v56
	v_mul_f32_e32 v56, v36, v65
	v_mul_f32_e32 v59, v70, v61
	v_fma_f32 v51, v34, v58, -v51
	v_mul_f32_e32 v58, v72, v63
	v_mul_f32_e32 v87, v36, v63
	;; [unrolled: 1-line block ×4, first 2 shown]
	v_fma_f32 v34, v34, v60, -v57
	v_mul_f32_e32 v57, v73, v63
	v_fmac_f32_e32 v56, v37, v64
	v_dual_fmac_f32 v59, v71, v60 :: v_dual_mul_f32 v60, v73, v65
	v_mul_f32_e32 v63, v39, v67
	v_mul_f32_e32 v70, v39, v69
	v_fmac_f32_e32 v58, v73, v62
	v_fmac_f32_e32 v87, v37, v62
	v_mul_f32_e32 v37, v72, v65
	v_fma_f32 v61, v36, v62, -v61
	v_fma_f32 v36, v36, v64, -v90
	v_mul_f32_e32 v65, v38, v67
	v_fma_f32 v57, v72, v62, -v57
	v_fma_f32 v60, v72, v64, -v60
	v_dual_fmac_f32 v37, v73, v64 :: v_dual_mul_f32 v62, v38, v69
	v_mul_f32_e32 v64, v75, v67
	v_fma_f32 v63, v38, v66, -v63
	v_fma_f32 v38, v38, v68, -v70
	v_mul_f32_e32 v70, v76, v79
	v_mul_f32_e32 v67, v74, v67
	;; [unrolled: 1-line block ×3, first 2 shown]
	v_dual_mul_f32 v69, v74, v69 :: v_dual_add_f32 v16, v16, v83
	v_dual_mul_f32 v73, v40, v79 :: v_dual_add_f32 v6, v6, v18
	v_dual_fmac_f32 v65, v39, v66 :: v_dual_add_f32 v12, v12, v85
	v_fmac_f32_e32 v62, v39, v68
	v_fma_f32 v39, v74, v66, -v64
	v_fmac_f32_e32 v70, v77, v78
	v_dual_fmac_f32 v67, v75, v66 :: v_dual_add_f32 v10, v10, v19
	v_mul_f32_e32 v66, v40, v81
	v_mul_f32_e32 v72, v41, v79
	;; [unrolled: 1-line block ×3, first 2 shown]
	v_fma_f32 v64, v74, v68, -v71
	v_dual_fmac_f32 v69, v75, v68 :: v_dual_add_f32 v16, v16, v89
	v_dual_mul_f32 v71, v77, v81 :: v_dual_add_f32 v14, v14, v84
	v_dual_fmac_f32 v73, v41, v78 :: v_dual_add_f32 v12, v12, v20
	v_dual_fmac_f32 v66, v41, v80 :: v_dual_mul_f32 v41, v76, v81
	v_dual_add_f32 v10, v10, v27 :: v_dual_add_f32 v11, v11, v22
	v_dual_add_f32 v6, v6, v28 :: v_dual_add_f32 v9, v9, v23
	;; [unrolled: 1-line block ×3, first 2 shown]
	s_delay_alu instid0(VALU_DEP_3) | instskip(NEXT) | instid1(VALU_DEP_4)
	v_dual_add_f32 v10, v10, v43 :: v_dual_fmac_f32 v41, v77, v80
	v_dual_add_f32 v14, v14, v45 :: v_dual_add_f32 v11, v11, v24
	s_delay_alu instid0(VALU_DEP_4) | instskip(NEXT) | instid1(VALU_DEP_4)
	v_dual_add_f32 v12, v12, v29 :: v_dual_add_f32 v9, v9, v26
	v_dual_add_f32 v1, v1, v25 :: v_dual_add_f32 v6, v6, v42
	s_delay_alu instid0(VALU_DEP_3) | instskip(NEXT) | instid1(VALU_DEP_3)
	v_dual_add_f32 v11, v11, v30 :: v_dual_add_f32 v16, v16, v88
	v_dual_add_f32 v14, v14, v49 :: v_dual_add_f32 v9, v9, v31
	s_delay_alu instid0(VALU_DEP_3) | instskip(SKIP_1) | instid1(VALU_DEP_4)
	v_dual_add_f32 v12, v12, v44 :: v_dual_add_f32 v1, v1, v47
	v_add_f32_e32 v10, v10, v48
	v_dual_add_f32 v11, v11, v32 :: v_dual_add_f32 v6, v6, v50
	s_delay_alu instid0(VALU_DEP_4) | instskip(NEXT) | instid1(VALU_DEP_4)
	v_dual_add_f32 v9, v9, v46 :: v_dual_add_f32 v14, v14, v51
	v_dual_add_f32 v1, v1, v33 :: v_dual_add_f32 v16, v16, v55
	s_delay_alu instid0(VALU_DEP_3) | instskip(NEXT) | instid1(VALU_DEP_3)
	v_dual_add_f32 v11, v11, v34 :: v_dual_add_f32 v12, v12, v52
	v_dual_add_f32 v9, v9, v35 :: v_dual_add_f32 v10, v10, v54
	s_delay_alu instid0(VALU_DEP_3) | instskip(SKIP_1) | instid1(VALU_DEP_4)
	v_dual_add_f32 v6, v6, v53 :: v_dual_add_f32 v1, v1, v59
	v_mul_f32_e32 v68, v77, v79
	v_dual_add_f32 v14, v14, v61 :: v_dual_add_f32 v11, v11, v36
	s_delay_alu instid0(VALU_DEP_4) | instskip(NEXT) | instid1(VALU_DEP_4)
	v_dual_add_f32 v16, v16, v87 :: v_dual_add_f32 v9, v9, v57
	v_dual_add_f32 v12, v12, v56 :: v_dual_add_f32 v1, v1, v37
	v_add_f32_e32 v10, v10, v58
	s_delay_alu instid0(VALU_DEP_4)
	v_dual_add_f32 v6, v6, v60 :: v_dual_add_f32 v11, v11, v38
	v_fma_f32 v72, v40, v78, -v72
	v_fma_f32 v40, v40, v80, -v90
	v_fma_f32 v68, v76, v78, -v68
	v_fma_f32 v71, v76, v80, -v71
	v_dual_add_f32 v14, v14, v63 :: v_dual_add_f32 v1, v1, v69
	s_delay_alu instid0(VALU_DEP_4) | instskip(SKIP_1) | instid1(VALU_DEP_3)
	v_dual_add_f32 v16, v16, v65 :: v_dual_add_f32 v11, v11, v40
	v_dual_add_f32 v9, v9, v39 :: v_dual_add_f32 v12, v12, v62
	;; [unrolled: 1-line block ×3, first 2 shown]
	v_add_f32_e32 v6, v6, v64
	v_add_f32_e32 v14, v14, v72
	s_delay_alu instid0(VALU_DEP_4)
	v_dual_add_f32 v16, v16, v73 :: v_dual_add_f32 v9, v9, v68
	v_add_f32_e32 v12, v12, v66
	v_add_f32_e32 v10, v10, v70
	;; [unrolled: 1-line block ×3, first 2 shown]
	s_cbranch_vccz .LBB1113_2
.LBB1113_3:
	s_load_b256 s[4:11], s[0:1], 0x48
	v_add_nc_u32_e32 v0, s13, v8
	s_load_b32 s2, s[0:1], 0x0
	s_delay_alu instid0(VALU_DEP_1) | instskip(SKIP_3) | instid1(VALU_DEP_3)
	v_ashrrev_i32_e32 v2, 31, v0
	s_waitcnt lgkmcnt(0)
	v_mul_lo_u32 v5, v0, s9
	v_mad_u64_u32 v[3:4], null, v0, s8, 0
	v_mul_lo_u32 v2, v2, s8
	s_mul_i32 s1, s15, s11
	s_mul_hi_u32 s3, s15, s10
	s_mul_i32 s0, s15, s10
	s_add_i32 s1, s3, s1
	v_cmp_gt_i32_e32 vcc_lo, s2, v0
	s_lshl_b64 s[10:11], s[0:1], 3
	s_delay_alu instid0(VALU_DEP_2) | instskip(SKIP_3) | instid1(VALU_DEP_2)
	v_add3_u32 v4, v4, v5, v2
	v_add_nc_u32_e32 v2, s12, v7
	s_add_u32 s3, s6, s10
	s_addc_u32 s6, s7, s11
	v_lshlrev_b64 v[3:4], 3, v[3:4]
	s_delay_alu instid0(VALU_DEP_2) | instskip(NEXT) | instid1(VALU_DEP_1)
	v_cmp_le_i32_e64 s0, v2, v0
	s_and_b32 s0, vcc_lo, s0
	s_delay_alu instid0(VALU_DEP_2) | instskip(NEXT) | instid1(VALU_DEP_1)
	v_add_co_u32 v7, s1, s3, v3
	v_add_co_ci_u32_e64 v8, s1, s6, v4, s1
	s_and_saveexec_b32 s1, s0
	s_cbranch_execz .LBB1113_5
; %bb.4:
	v_ashrrev_i32_e32 v3, 31, v2
	s_delay_alu instid0(VALU_DEP_1) | instskip(NEXT) | instid1(VALU_DEP_1)
	v_lshlrev_b64 v[3:4], 3, v[2:3]
	v_add_co_u32 v3, s0, v7, v3
	s_delay_alu instid0(VALU_DEP_1) | instskip(SKIP_4) | instid1(VALU_DEP_2)
	v_add_co_ci_u32_e64 v4, s0, v8, v4, s0
	global_load_b64 v[17:18], v[3:4], off
	v_mul_f32_e32 v5, s19, v16
	s_waitcnt vmcnt(0)
	v_dual_mul_f32 v15, s18, v16 :: v_dual_mul_f32 v16, s4, v18
	v_fma_f32 v5, v14, s18, -v5
	s_delay_alu instid0(VALU_DEP_2) | instskip(NEXT) | instid1(VALU_DEP_1)
	v_dual_fmac_f32 v16, s5, v17 :: v_dual_fmac_f32 v15, s19, v14
	v_dual_mul_f32 v13, s5, v18 :: v_dual_add_f32 v14, v15, v16
	s_delay_alu instid0(VALU_DEP_1) | instskip(NEXT) | instid1(VALU_DEP_1)
	v_fma_f32 v13, v17, s4, -v13
	v_add_f32_e32 v13, v5, v13
	global_store_b64 v[3:4], v[13:14], off
.LBB1113_5:
	s_or_b32 exec_lo, exec_lo, s1
	v_add_nc_u32_e32 v4, 16, v2
	s_delay_alu instid0(VALU_DEP_1) | instskip(NEXT) | instid1(VALU_DEP_1)
	v_cmp_le_i32_e64 s0, v4, v0
	s_and_b32 s1, vcc_lo, s0
	s_delay_alu instid0(SALU_CYCLE_1)
	s_and_saveexec_b32 s0, s1
	s_cbranch_execz .LBB1113_7
; %bb.6:
	v_ashrrev_i32_e32 v5, 31, v4
	s_delay_alu instid0(VALU_DEP_1) | instskip(NEXT) | instid1(VALU_DEP_1)
	v_lshlrev_b64 v[13:14], 3, v[4:5]
	v_add_co_u32 v7, vcc_lo, v7, v13
	s_delay_alu instid0(VALU_DEP_2)
	v_add_co_ci_u32_e32 v8, vcc_lo, v8, v14, vcc_lo
	global_load_b64 v[13:14], v[7:8], off
	v_mul_f32_e32 v3, s19, v12
	s_waitcnt vmcnt(0)
	v_dual_mul_f32 v5, s18, v12 :: v_dual_mul_f32 v12, s5, v14
	v_mul_f32_e32 v14, s4, v14
	s_delay_alu instid0(VALU_DEP_3) | instskip(NEXT) | instid1(VALU_DEP_3)
	v_fma_f32 v3, v11, s18, -v3
	v_fmac_f32_e32 v5, s19, v11
	s_delay_alu instid0(VALU_DEP_4) | instskip(NEXT) | instid1(VALU_DEP_1)
	v_fma_f32 v11, v13, s4, -v12
	v_dual_fmac_f32 v14, s5, v13 :: v_dual_add_f32 v11, v3, v11
	s_delay_alu instid0(VALU_DEP_1)
	v_add_f32_e32 v12, v5, v14
	global_store_b64 v[7:8], v[11:12], off
.LBB1113_7:
	s_or_b32 exec_lo, exec_lo, s0
	v_add_nc_u32_e32 v5, 16, v0
	s_delay_alu instid0(VALU_DEP_1) | instskip(SKIP_3) | instid1(VALU_DEP_4)
	v_ashrrev_i32_e32 v0, 31, v5
	v_mul_lo_u32 v3, v5, s9
	v_mad_u64_u32 v[7:8], null, v5, s8, 0
	v_cmp_gt_i32_e32 vcc_lo, s2, v5
	v_mul_lo_u32 v0, v0, s8
	v_cmp_le_i32_e64 s0, v2, v5
	s_delay_alu instid0(VALU_DEP_1) | instskip(NEXT) | instid1(VALU_DEP_2)
	s_and_b32 s0, vcc_lo, s0
	v_add3_u32 v8, v8, v3, v0
	s_delay_alu instid0(VALU_DEP_1) | instskip(NEXT) | instid1(VALU_DEP_1)
	v_lshlrev_b64 v[7:8], 3, v[7:8]
	v_add_co_u32 v0, s1, s3, v7
	s_delay_alu instid0(VALU_DEP_1)
	v_add_co_ci_u32_e64 v7, s1, s6, v8, s1
	s_and_saveexec_b32 s1, s0
	s_cbranch_execz .LBB1113_9
; %bb.8:
	v_ashrrev_i32_e32 v3, 31, v2
	s_delay_alu instid0(VALU_DEP_1) | instskip(NEXT) | instid1(VALU_DEP_1)
	v_lshlrev_b64 v[2:3], 3, v[2:3]
	v_add_co_u32 v2, s0, v0, v2
	s_delay_alu instid0(VALU_DEP_1) | instskip(SKIP_4) | instid1(VALU_DEP_1)
	v_add_co_ci_u32_e64 v3, s0, v7, v3, s0
	global_load_b64 v[11:12], v[2:3], off
	v_mul_f32_e32 v8, s19, v10
	v_mul_f32_e32 v10, s18, v10
	s_waitcnt vmcnt(0)
	v_dual_fmac_f32 v10, s19, v9 :: v_dual_mul_f32 v13, s5, v12
	v_mul_f32_e32 v12, s4, v12
	v_fma_f32 v8, v9, s18, -v8
	s_delay_alu instid0(VALU_DEP_3) | instskip(NEXT) | instid1(VALU_DEP_3)
	v_fma_f32 v9, v11, s4, -v13
	v_fmac_f32_e32 v12, s5, v11
	s_delay_alu instid0(VALU_DEP_1)
	v_dual_add_f32 v8, v8, v9 :: v_dual_add_f32 v9, v10, v12
	global_store_b64 v[2:3], v[8:9], off
.LBB1113_9:
	s_or_b32 exec_lo, exec_lo, s1
	v_cmp_le_i32_e64 s0, v4, v5
	s_delay_alu instid0(VALU_DEP_1) | instskip(NEXT) | instid1(SALU_CYCLE_1)
	s_and_b32 s0, vcc_lo, s0
	s_and_saveexec_b32 s1, s0
	s_cbranch_execz .LBB1113_11
; %bb.10:
	v_ashrrev_i32_e32 v5, 31, v4
	s_delay_alu instid0(VALU_DEP_1) | instskip(NEXT) | instid1(VALU_DEP_1)
	v_lshlrev_b64 v[2:3], 3, v[4:5]
	v_add_co_u32 v2, vcc_lo, v0, v2
	s_delay_alu instid0(VALU_DEP_2)
	v_add_co_ci_u32_e32 v3, vcc_lo, v7, v3, vcc_lo
	v_mul_f32_e32 v0, s19, v1
	v_mul_f32_e32 v1, s18, v1
	global_load_b64 v[4:5], v[2:3], off
	v_fmac_f32_e32 v1, s19, v6
	v_fma_f32 v0, v6, s18, -v0
	s_waitcnt vmcnt(0)
	v_mul_f32_e32 v7, s5, v5
	v_mul_f32_e32 v5, s4, v5
	s_delay_alu instid0(VALU_DEP_2) | instskip(NEXT) | instid1(VALU_DEP_1)
	v_fma_f32 v6, v4, s4, -v7
	v_dual_fmac_f32 v5, s5, v4 :: v_dual_add_f32 v0, v0, v6
	s_delay_alu instid0(VALU_DEP_1)
	v_add_f32_e32 v1, v1, v5
	global_store_b64 v[2:3], v[0:1], off
.LBB1113_11:
	s_nop 0
	s_sendmsg sendmsg(MSG_DEALLOC_VGPRS)
	s_endpgm
	.section	.rodata,"a",@progbits
	.p2align	6, 0x0
	.amdhsa_kernel _ZL37rocblas_syrkx_herkx_restricted_kernelIl19rocblas_complex_numIfELi16ELi32ELi8ELb0ELb0ELc84ELc85EKS1_S1_EviT_T0_PT8_S3_lS6_S3_lS4_PT9_S3_li
		.amdhsa_group_segment_fixed_size 4096
		.amdhsa_private_segment_fixed_size 0
		.amdhsa_kernarg_size 108
		.amdhsa_user_sgpr_count 13
		.amdhsa_user_sgpr_dispatch_ptr 0
		.amdhsa_user_sgpr_queue_ptr 0
		.amdhsa_user_sgpr_kernarg_segment_ptr 1
		.amdhsa_user_sgpr_dispatch_id 0
		.amdhsa_user_sgpr_private_segment_size 0
		.amdhsa_wavefront_size32 1
		.amdhsa_uses_dynamic_stack 0
		.amdhsa_enable_private_segment 0
		.amdhsa_system_sgpr_workgroup_id_x 1
		.amdhsa_system_sgpr_workgroup_id_y 1
		.amdhsa_system_sgpr_workgroup_id_z 1
		.amdhsa_system_sgpr_workgroup_info 0
		.amdhsa_system_vgpr_workitem_id 1
		.amdhsa_next_free_vgpr 91
		.amdhsa_next_free_sgpr 32
		.amdhsa_reserve_vcc 1
		.amdhsa_float_round_mode_32 0
		.amdhsa_float_round_mode_16_64 0
		.amdhsa_float_denorm_mode_32 3
		.amdhsa_float_denorm_mode_16_64 3
		.amdhsa_dx10_clamp 1
		.amdhsa_ieee_mode 1
		.amdhsa_fp16_overflow 0
		.amdhsa_workgroup_processor_mode 1
		.amdhsa_memory_ordered 1
		.amdhsa_forward_progress 0
		.amdhsa_shared_vgpr_count 0
		.amdhsa_exception_fp_ieee_invalid_op 0
		.amdhsa_exception_fp_denorm_src 0
		.amdhsa_exception_fp_ieee_div_zero 0
		.amdhsa_exception_fp_ieee_overflow 0
		.amdhsa_exception_fp_ieee_underflow 0
		.amdhsa_exception_fp_ieee_inexact 0
		.amdhsa_exception_int_div_zero 0
	.end_amdhsa_kernel
	.section	.text._ZL37rocblas_syrkx_herkx_restricted_kernelIl19rocblas_complex_numIfELi16ELi32ELi8ELb0ELb0ELc84ELc85EKS1_S1_EviT_T0_PT8_S3_lS6_S3_lS4_PT9_S3_li,"axG",@progbits,_ZL37rocblas_syrkx_herkx_restricted_kernelIl19rocblas_complex_numIfELi16ELi32ELi8ELb0ELb0ELc84ELc85EKS1_S1_EviT_T0_PT8_S3_lS6_S3_lS4_PT9_S3_li,comdat
.Lfunc_end1113:
	.size	_ZL37rocblas_syrkx_herkx_restricted_kernelIl19rocblas_complex_numIfELi16ELi32ELi8ELb0ELb0ELc84ELc85EKS1_S1_EviT_T0_PT8_S3_lS6_S3_lS4_PT9_S3_li, .Lfunc_end1113-_ZL37rocblas_syrkx_herkx_restricted_kernelIl19rocblas_complex_numIfELi16ELi32ELi8ELb0ELb0ELc84ELc85EKS1_S1_EviT_T0_PT8_S3_lS6_S3_lS4_PT9_S3_li
                                        ; -- End function
	.section	.AMDGPU.csdata,"",@progbits
; Kernel info:
; codeLenInByte = 2388
; NumSgprs: 34
; NumVgprs: 91
; ScratchSize: 0
; MemoryBound: 0
; FloatMode: 240
; IeeeMode: 1
; LDSByteSize: 4096 bytes/workgroup (compile time only)
; SGPRBlocks: 4
; VGPRBlocks: 11
; NumSGPRsForWavesPerEU: 34
; NumVGPRsForWavesPerEU: 91
; Occupancy: 16
; WaveLimiterHint : 0
; COMPUTE_PGM_RSRC2:SCRATCH_EN: 0
; COMPUTE_PGM_RSRC2:USER_SGPR: 13
; COMPUTE_PGM_RSRC2:TRAP_HANDLER: 0
; COMPUTE_PGM_RSRC2:TGID_X_EN: 1
; COMPUTE_PGM_RSRC2:TGID_Y_EN: 1
; COMPUTE_PGM_RSRC2:TGID_Z_EN: 1
; COMPUTE_PGM_RSRC2:TIDIG_COMP_CNT: 1
	.section	.text._ZL37rocblas_syrkx_herkx_restricted_kernelIl19rocblas_complex_numIfELi16ELi32ELi8ELb0ELb0ELc67ELc85EKS1_S1_EviT_T0_PT8_S3_lS6_S3_lS4_PT9_S3_li,"axG",@progbits,_ZL37rocblas_syrkx_herkx_restricted_kernelIl19rocblas_complex_numIfELi16ELi32ELi8ELb0ELb0ELc67ELc85EKS1_S1_EviT_T0_PT8_S3_lS6_S3_lS4_PT9_S3_li,comdat
	.globl	_ZL37rocblas_syrkx_herkx_restricted_kernelIl19rocblas_complex_numIfELi16ELi32ELi8ELb0ELb0ELc67ELc85EKS1_S1_EviT_T0_PT8_S3_lS6_S3_lS4_PT9_S3_li ; -- Begin function _ZL37rocblas_syrkx_herkx_restricted_kernelIl19rocblas_complex_numIfELi16ELi32ELi8ELb0ELb0ELc67ELc85EKS1_S1_EviT_T0_PT8_S3_lS6_S3_lS4_PT9_S3_li
	.p2align	8
	.type	_ZL37rocblas_syrkx_herkx_restricted_kernelIl19rocblas_complex_numIfELi16ELi32ELi8ELb0ELb0ELc67ELc85EKS1_S1_EviT_T0_PT8_S3_lS6_S3_lS4_PT9_S3_li,@function
_ZL37rocblas_syrkx_herkx_restricted_kernelIl19rocblas_complex_numIfELi16ELi32ELi8ELb0ELb0ELc67ELc85EKS1_S1_EviT_T0_PT8_S3_lS6_S3_lS4_PT9_S3_li: ; @_ZL37rocblas_syrkx_herkx_restricted_kernelIl19rocblas_complex_numIfELi16ELi32ELi8ELb0ELb0ELc67ELc85EKS1_S1_EviT_T0_PT8_S3_lS6_S3_lS4_PT9_S3_li
; %bb.0:
	s_load_b512 s[16:31], s[0:1], 0x8
	v_dual_mov_b32 v14, 0 :: v_dual_mov_b32 v11, 0
	v_dual_mov_b32 v16, 0 :: v_dual_mov_b32 v9, 0
	v_dual_mov_b32 v12, 0 :: v_dual_and_b32 v7, 0x3ff, v0
	v_dual_mov_b32 v10, 0 :: v_dual_mov_b32 v1, 0
	v_mov_b32_e32 v6, 0
	v_bfe_u32 v8, v0, 10, 10
	s_lshl_b32 s12, s13, 5
	s_lshl_b32 s13, s14, 5
	s_waitcnt lgkmcnt(0)
	v_cmp_lt_i64_e64 s2, s[16:17], 1
	s_delay_alu instid0(VALU_DEP_1)
	s_and_b32 vcc_lo, exec_lo, s2
	s_cbranch_vccnz .LBB1114_3
; %bb.1:
	v_lshl_add_u32 v2, v8, 4, v7
	v_dual_mov_b32 v1, 0 :: v_dual_and_b32 v0, 7, v7
	s_mul_i32 s3, s25, s15
	s_mul_hi_u32 s4, s24, s15
	s_delay_alu instid0(VALU_DEP_2)
	v_and_b32_e32 v6, 31, v2
	v_lshrrev_b32_e32 v11, 3, v2
	v_mov_b32_e32 v3, v1
	v_lshrrev_b32_e32 v2, 5, v2
	v_lshlrev_b32_e32 v14, 3, v0
	v_add_nc_u32_e32 v9, s12, v6
	v_add_nc_u32_e32 v12, s13, v11
	s_mul_i32 s2, s24, s15
	s_add_i32 s3, s4, s3
	s_mul_hi_u32 s5, s30, s15
	v_ashrrev_i32_e32 v10, 31, v9
	v_ashrrev_i32_e32 v15, 31, v12
	v_mad_u64_u32 v[4:5], null, s22, v9, v[2:3]
	v_mul_lo_u32 v3, s23, v9
	s_delay_alu instid0(VALU_DEP_4)
	v_mul_lo_u32 v16, s22, v10
	v_mul_lo_u32 v17, v12, s29
	v_mad_u64_u32 v[9:10], null, v12, s28, v[0:1]
	v_mul_lo_u32 v12, v15, s28
	v_lshlrev_b32_e32 v0, 3, v6
	s_lshl_b64 s[2:3], s[2:3], 3
	v_lshl_or_b32 v6, v11, 6, v14
	v_add3_u32 v5, v3, v5, v16
	s_add_u32 s4, s20, s2
	v_lshl_or_b32 v0, v2, 8, v0
	s_mul_i32 s2, s31, s15
	v_add3_u32 v10, v12, v10, v17
	v_lshlrev_b64 v[2:3], 3, v[4:5]
	s_addc_u32 s6, s21, s3
	s_add_i32 s3, s5, s2
	s_mul_i32 s2, s30, s15
	v_lshlrev_b64 v[4:5], 3, v[9:10]
	v_mov_b32_e32 v9, v1
	s_lshl_b64 s[2:3], s[2:3], 3
	v_add_co_u32 v2, vcc_lo, s4, v2
	s_add_u32 s2, s26, s2
	v_add_co_ci_u32_e32 v3, vcc_lo, s6, v3, vcc_lo
	s_addc_u32 s3, s27, s3
	v_add_co_u32 v4, vcc_lo, s2, v4
	v_add_co_ci_u32_e32 v5, vcc_lo, s3, v5, vcc_lo
	v_add_co_u32 v2, vcc_lo, v2, 4
	v_add_co_ci_u32_e32 v3, vcc_lo, 0, v3, vcc_lo
	s_delay_alu instid0(VALU_DEP_4)
	v_add_co_u32 v4, vcc_lo, v4, 4
	v_lshlrev_b32_e32 v13, 3, v7
	v_dual_mov_b32 v12, v1 :: v_dual_add_nc_u32 v15, 0x800, v6
	v_lshl_add_u32 v17, v8, 6, 0x800
	v_add_co_ci_u32_e32 v5, vcc_lo, 0, v5, vcc_lo
	v_mov_b32_e32 v6, v1
	v_mov_b32_e32 v10, v1
	;; [unrolled: 1-line block ×5, first 2 shown]
	s_mov_b64 s[2:3], 0
.LBB1114_2:                             ; =>This Inner Loop Header: Depth=1
	global_load_b64 v[18:19], v[2:3], off offset:-4
	global_load_b64 v[20:21], v[4:5], off offset:-4
	s_add_u32 s2, s2, 8
	v_add_co_u32 v2, vcc_lo, v2, 64
	s_addc_u32 s3, s3, 0
	v_add_co_ci_u32_e32 v3, vcc_lo, 0, v3, vcc_lo
	v_cmp_ge_u64_e64 s4, s[2:3], s[16:17]
	v_add_co_u32 v4, vcc_lo, v4, 64
	v_add_co_ci_u32_e32 v5, vcc_lo, 0, v5, vcc_lo
	s_waitcnt vmcnt(1)
	ds_store_b64 v0, v[18:19]
	s_waitcnt vmcnt(0)
	ds_store_b64 v15, v[20:21]
	s_waitcnt lgkmcnt(0)
	s_barrier
	buffer_gl0_inv
	ds_load_2addr_b64 v[18:21], v13 offset1:16
	ds_load_b128 v[22:25], v17
	ds_load_b128 v[26:29], v17 offset:1024
	ds_load_b128 v[30:33], v17 offset:16
	;; [unrolled: 1-line block ×4, first 2 shown]
	ds_load_2addr_b64 v[42:45], v13 offset0:32 offset1:48
	ds_load_2addr_b64 v[46:49], v13 offset0:64 offset1:80
	ds_load_b128 v[50:53], v17 offset:1040
	ds_load_2addr_b64 v[54:57], v13 offset0:96 offset1:112
	ds_load_2addr_b64 v[58:61], v13 offset0:128 offset1:144
	;; [unrolled: 1-line block ×4, first 2 shown]
	ds_load_b128 v[70:73], v17 offset:1056
	ds_load_b128 v[74:77], v17 offset:1072
	ds_load_2addr_b64 v[78:81], v13 offset0:224 offset1:240
	s_and_b32 vcc_lo, exec_lo, s4
	s_waitcnt lgkmcnt(0)
	s_barrier
	buffer_gl0_inv
	v_dual_mul_f32 v82, v23, v19 :: v_dual_mul_f32 v85, v22, v21
	v_dual_mul_f32 v83, v22, v19 :: v_dual_mul_f32 v84, v23, v21
	v_mul_f32_e32 v86, v27, v19
	v_dual_mul_f32 v19, v26, v19 :: v_dual_mul_f32 v90, v25, v45
	v_dual_mul_f32 v87, v27, v21 :: v_dual_mul_f32 v88, v25, v43
	v_mul_f32_e32 v21, v26, v21
	v_fma_f32 v82, v22, v18, -v82
	v_fmac_f32_e32 v83, v23, v18
	v_fma_f32 v22, v22, v20, -v84
	v_fmac_f32_e32 v85, v23, v20
	v_fma_f32 v23, v26, v18, -v86
	v_dual_fmac_f32 v19, v27, v18 :: v_dual_mul_f32 v86, v30, v47
	v_fma_f32 v18, v26, v20, -v87
	v_dual_fmac_f32 v21, v27, v20 :: v_dual_mul_f32 v20, v24, v45
	v_mul_f32_e32 v89, v24, v43
	v_mul_f32_e32 v26, v29, v43
	;; [unrolled: 1-line block ×4, first 2 shown]
	v_fmac_f32_e32 v20, v25, v44
	v_fmac_f32_e32 v89, v25, v42
	v_dual_mul_f32 v25, v28, v45 :: v_dual_fmac_f32 v86, v31, v46
	v_fma_f32 v84, v24, v42, -v88
	v_fma_f32 v24, v24, v44, -v90
	v_dual_mul_f32 v45, v31, v47 :: v_dual_mul_f32 v90, v33, v57
	v_fma_f32 v26, v28, v42, -v26
	v_fma_f32 v28, v28, v44, -v43
	v_fmac_f32_e32 v25, v29, v44
	v_dual_mul_f32 v43, v50, v47 :: v_dual_mul_f32 v44, v51, v49
	v_dual_fmac_f32 v27, v29, v42 :: v_dual_mul_f32 v42, v51, v47
	v_dual_mul_f32 v88, v32, v55 :: v_dual_mul_f32 v29, v30, v49
	v_mul_f32_e32 v87, v31, v49
	v_fma_f32 v45, v30, v46, -v45
	v_add_f32_e32 v14, v14, v82
	s_delay_alu instid0(VALU_DEP_4)
	v_dual_fmac_f32 v88, v33, v54 :: v_dual_fmac_f32 v29, v31, v48
	v_fma_f32 v31, v50, v46, -v42
	v_fma_f32 v42, v50, v48, -v44
	v_mul_f32_e32 v44, v32, v57
	v_mul_f32_e32 v47, v50, v49
	v_dual_mul_f32 v50, v53, v57 :: v_dual_fmac_f32 v43, v51, v46
	v_mul_f32_e32 v46, v53, v55
	v_mul_f32_e32 v49, v33, v55
	v_fma_f32 v30, v30, v48, -v87
	v_fmac_f32_e32 v44, v33, v56
	v_dual_fmac_f32 v47, v51, v48 :: v_dual_mul_f32 v48, v52, v55
	v_mul_f32_e32 v33, v52, v57
	v_fma_f32 v46, v52, v54, -v46
	v_fma_f32 v50, v52, v56, -v50
	v_mul_f32_e32 v52, v34, v61
	v_fma_f32 v49, v32, v54, -v49
	v_fma_f32 v32, v32, v56, -v90
	v_dual_mul_f32 v51, v35, v59 :: v_dual_fmac_f32 v48, v53, v54
	v_mul_f32_e32 v54, v70, v59
	v_dual_mul_f32 v55, v34, v59 :: v_dual_fmac_f32 v52, v35, v60
	v_fmac_f32_e32 v33, v53, v56
	v_mul_f32_e32 v53, v71, v59
	v_mul_f32_e32 v56, v71, v61
	;; [unrolled: 1-line block ×3, first 2 shown]
	v_fmac_f32_e32 v54, v71, v58
	v_fmac_f32_e32 v55, v35, v58
	v_fma_f32 v35, v70, v58, -v53
	v_fma_f32 v53, v70, v60, -v56
	v_mul_f32_e32 v56, v36, v65
	v_mul_f32_e32 v59, v70, v61
	v_fma_f32 v51, v34, v58, -v51
	v_mul_f32_e32 v58, v72, v63
	v_mul_f32_e32 v87, v36, v63
	;; [unrolled: 1-line block ×4, first 2 shown]
	v_fma_f32 v34, v34, v60, -v57
	v_mul_f32_e32 v57, v73, v63
	v_fmac_f32_e32 v56, v37, v64
	v_dual_fmac_f32 v59, v71, v60 :: v_dual_mul_f32 v60, v73, v65
	v_mul_f32_e32 v63, v39, v67
	v_mul_f32_e32 v70, v39, v69
	v_fmac_f32_e32 v58, v73, v62
	v_fmac_f32_e32 v87, v37, v62
	v_mul_f32_e32 v37, v72, v65
	v_fma_f32 v61, v36, v62, -v61
	v_fma_f32 v36, v36, v64, -v90
	v_mul_f32_e32 v65, v38, v67
	v_fma_f32 v57, v72, v62, -v57
	v_fma_f32 v60, v72, v64, -v60
	v_dual_fmac_f32 v37, v73, v64 :: v_dual_mul_f32 v62, v38, v69
	v_mul_f32_e32 v64, v75, v67
	v_fma_f32 v63, v38, v66, -v63
	v_fma_f32 v38, v38, v68, -v70
	v_mul_f32_e32 v70, v76, v79
	v_mul_f32_e32 v67, v74, v67
	;; [unrolled: 1-line block ×3, first 2 shown]
	v_dual_mul_f32 v69, v74, v69 :: v_dual_add_f32 v16, v16, v83
	v_dual_mul_f32 v73, v40, v79 :: v_dual_add_f32 v6, v6, v18
	v_dual_fmac_f32 v65, v39, v66 :: v_dual_add_f32 v12, v12, v85
	v_fmac_f32_e32 v62, v39, v68
	v_fma_f32 v39, v74, v66, -v64
	v_fmac_f32_e32 v70, v77, v78
	v_dual_fmac_f32 v67, v75, v66 :: v_dual_add_f32 v10, v10, v19
	v_mul_f32_e32 v66, v40, v81
	v_mul_f32_e32 v72, v41, v79
	;; [unrolled: 1-line block ×3, first 2 shown]
	v_fma_f32 v64, v74, v68, -v71
	v_dual_fmac_f32 v69, v75, v68 :: v_dual_add_f32 v16, v16, v89
	v_dual_mul_f32 v71, v77, v81 :: v_dual_add_f32 v14, v14, v84
	v_dual_fmac_f32 v73, v41, v78 :: v_dual_add_f32 v12, v12, v20
	v_dual_fmac_f32 v66, v41, v80 :: v_dual_mul_f32 v41, v76, v81
	v_dual_add_f32 v10, v10, v27 :: v_dual_add_f32 v11, v11, v22
	v_dual_add_f32 v6, v6, v28 :: v_dual_add_f32 v9, v9, v23
	;; [unrolled: 1-line block ×3, first 2 shown]
	s_delay_alu instid0(VALU_DEP_3) | instskip(NEXT) | instid1(VALU_DEP_4)
	v_dual_add_f32 v10, v10, v43 :: v_dual_fmac_f32 v41, v77, v80
	v_dual_add_f32 v14, v14, v45 :: v_dual_add_f32 v11, v11, v24
	s_delay_alu instid0(VALU_DEP_4) | instskip(NEXT) | instid1(VALU_DEP_4)
	v_dual_add_f32 v12, v12, v29 :: v_dual_add_f32 v9, v9, v26
	v_dual_add_f32 v1, v1, v25 :: v_dual_add_f32 v6, v6, v42
	s_delay_alu instid0(VALU_DEP_3) | instskip(NEXT) | instid1(VALU_DEP_3)
	v_dual_add_f32 v11, v11, v30 :: v_dual_add_f32 v16, v16, v88
	v_dual_add_f32 v14, v14, v49 :: v_dual_add_f32 v9, v9, v31
	s_delay_alu instid0(VALU_DEP_3) | instskip(SKIP_1) | instid1(VALU_DEP_4)
	v_dual_add_f32 v12, v12, v44 :: v_dual_add_f32 v1, v1, v47
	v_add_f32_e32 v10, v10, v48
	v_dual_add_f32 v11, v11, v32 :: v_dual_add_f32 v6, v6, v50
	s_delay_alu instid0(VALU_DEP_4) | instskip(NEXT) | instid1(VALU_DEP_4)
	v_dual_add_f32 v9, v9, v46 :: v_dual_add_f32 v14, v14, v51
	v_dual_add_f32 v1, v1, v33 :: v_dual_add_f32 v16, v16, v55
	s_delay_alu instid0(VALU_DEP_3) | instskip(NEXT) | instid1(VALU_DEP_3)
	v_dual_add_f32 v11, v11, v34 :: v_dual_add_f32 v12, v12, v52
	v_dual_add_f32 v9, v9, v35 :: v_dual_add_f32 v10, v10, v54
	s_delay_alu instid0(VALU_DEP_3) | instskip(SKIP_1) | instid1(VALU_DEP_4)
	v_dual_add_f32 v6, v6, v53 :: v_dual_add_f32 v1, v1, v59
	v_mul_f32_e32 v68, v77, v79
	v_dual_add_f32 v14, v14, v61 :: v_dual_add_f32 v11, v11, v36
	s_delay_alu instid0(VALU_DEP_4) | instskip(NEXT) | instid1(VALU_DEP_4)
	v_dual_add_f32 v16, v16, v87 :: v_dual_add_f32 v9, v9, v57
	v_dual_add_f32 v12, v12, v56 :: v_dual_add_f32 v1, v1, v37
	v_add_f32_e32 v10, v10, v58
	s_delay_alu instid0(VALU_DEP_4)
	v_dual_add_f32 v6, v6, v60 :: v_dual_add_f32 v11, v11, v38
	v_fma_f32 v72, v40, v78, -v72
	v_fma_f32 v40, v40, v80, -v90
	;; [unrolled: 1-line block ×4, first 2 shown]
	v_dual_add_f32 v14, v14, v63 :: v_dual_add_f32 v1, v1, v69
	s_delay_alu instid0(VALU_DEP_4) | instskip(SKIP_1) | instid1(VALU_DEP_3)
	v_dual_add_f32 v16, v16, v65 :: v_dual_add_f32 v11, v11, v40
	v_dual_add_f32 v9, v9, v39 :: v_dual_add_f32 v12, v12, v62
	;; [unrolled: 1-line block ×3, first 2 shown]
	v_add_f32_e32 v6, v6, v64
	v_add_f32_e32 v14, v14, v72
	s_delay_alu instid0(VALU_DEP_4)
	v_dual_add_f32 v16, v16, v73 :: v_dual_add_f32 v9, v9, v68
	v_add_f32_e32 v12, v12, v66
	v_add_f32_e32 v10, v10, v70
	;; [unrolled: 1-line block ×3, first 2 shown]
	s_cbranch_vccz .LBB1114_2
.LBB1114_3:
	s_load_b256 s[4:11], s[0:1], 0x48
	v_add_nc_u32_e32 v0, s13, v8
	s_load_b32 s2, s[0:1], 0x0
	s_delay_alu instid0(VALU_DEP_1) | instskip(SKIP_3) | instid1(VALU_DEP_3)
	v_ashrrev_i32_e32 v2, 31, v0
	s_waitcnt lgkmcnt(0)
	v_mul_lo_u32 v5, v0, s9
	v_mad_u64_u32 v[3:4], null, v0, s8, 0
	v_mul_lo_u32 v2, v2, s8
	s_mul_i32 s1, s15, s11
	s_mul_hi_u32 s3, s15, s10
	s_mul_i32 s0, s15, s10
	s_add_i32 s1, s3, s1
	v_cmp_gt_i32_e32 vcc_lo, s2, v0
	s_lshl_b64 s[10:11], s[0:1], 3
	s_delay_alu instid0(VALU_DEP_2) | instskip(SKIP_3) | instid1(VALU_DEP_2)
	v_add3_u32 v4, v4, v5, v2
	v_add_nc_u32_e32 v2, s12, v7
	s_add_u32 s3, s6, s10
	s_addc_u32 s6, s7, s11
	v_lshlrev_b64 v[3:4], 3, v[3:4]
	s_delay_alu instid0(VALU_DEP_2) | instskip(NEXT) | instid1(VALU_DEP_1)
	v_cmp_le_i32_e64 s0, v2, v0
	s_and_b32 s0, vcc_lo, s0
	s_delay_alu instid0(VALU_DEP_2) | instskip(NEXT) | instid1(VALU_DEP_1)
	v_add_co_u32 v7, s1, s3, v3
	v_add_co_ci_u32_e64 v8, s1, s6, v4, s1
	s_and_saveexec_b32 s1, s0
	s_cbranch_execz .LBB1114_5
; %bb.4:
	v_ashrrev_i32_e32 v3, 31, v2
	s_delay_alu instid0(VALU_DEP_1) | instskip(NEXT) | instid1(VALU_DEP_1)
	v_lshlrev_b64 v[3:4], 3, v[2:3]
	v_add_co_u32 v3, s0, v7, v3
	s_delay_alu instid0(VALU_DEP_1) | instskip(SKIP_4) | instid1(VALU_DEP_2)
	v_add_co_ci_u32_e64 v4, s0, v8, v4, s0
	global_load_b64 v[17:18], v[3:4], off
	v_mul_f32_e32 v5, s19, v16
	s_waitcnt vmcnt(0)
	v_dual_mul_f32 v15, s18, v16 :: v_dual_mul_f32 v16, s4, v18
	v_fma_f32 v5, v14, s18, -v5
	s_delay_alu instid0(VALU_DEP_2) | instskip(NEXT) | instid1(VALU_DEP_1)
	v_dual_fmac_f32 v16, s5, v17 :: v_dual_fmac_f32 v15, s19, v14
	v_dual_mul_f32 v13, s5, v18 :: v_dual_add_f32 v14, v15, v16
	s_delay_alu instid0(VALU_DEP_1) | instskip(NEXT) | instid1(VALU_DEP_1)
	v_fma_f32 v13, v17, s4, -v13
	v_add_f32_e32 v13, v5, v13
	global_store_b64 v[3:4], v[13:14], off
.LBB1114_5:
	s_or_b32 exec_lo, exec_lo, s1
	v_add_nc_u32_e32 v4, 16, v2
	s_delay_alu instid0(VALU_DEP_1) | instskip(NEXT) | instid1(VALU_DEP_1)
	v_cmp_le_i32_e64 s0, v4, v0
	s_and_b32 s1, vcc_lo, s0
	s_delay_alu instid0(SALU_CYCLE_1)
	s_and_saveexec_b32 s0, s1
	s_cbranch_execz .LBB1114_7
; %bb.6:
	v_ashrrev_i32_e32 v5, 31, v4
	s_delay_alu instid0(VALU_DEP_1) | instskip(NEXT) | instid1(VALU_DEP_1)
	v_lshlrev_b64 v[13:14], 3, v[4:5]
	v_add_co_u32 v7, vcc_lo, v7, v13
	s_delay_alu instid0(VALU_DEP_2)
	v_add_co_ci_u32_e32 v8, vcc_lo, v8, v14, vcc_lo
	global_load_b64 v[13:14], v[7:8], off
	v_mul_f32_e32 v3, s19, v12
	s_waitcnt vmcnt(0)
	v_dual_mul_f32 v5, s18, v12 :: v_dual_mul_f32 v12, s5, v14
	v_mul_f32_e32 v14, s4, v14
	s_delay_alu instid0(VALU_DEP_3) | instskip(NEXT) | instid1(VALU_DEP_3)
	v_fma_f32 v3, v11, s18, -v3
	v_fmac_f32_e32 v5, s19, v11
	s_delay_alu instid0(VALU_DEP_4) | instskip(NEXT) | instid1(VALU_DEP_1)
	v_fma_f32 v11, v13, s4, -v12
	v_dual_fmac_f32 v14, s5, v13 :: v_dual_add_f32 v11, v3, v11
	s_delay_alu instid0(VALU_DEP_1)
	v_add_f32_e32 v12, v5, v14
	global_store_b64 v[7:8], v[11:12], off
.LBB1114_7:
	s_or_b32 exec_lo, exec_lo, s0
	v_add_nc_u32_e32 v5, 16, v0
	s_delay_alu instid0(VALU_DEP_1) | instskip(SKIP_3) | instid1(VALU_DEP_4)
	v_ashrrev_i32_e32 v0, 31, v5
	v_mul_lo_u32 v3, v5, s9
	v_mad_u64_u32 v[7:8], null, v5, s8, 0
	v_cmp_gt_i32_e32 vcc_lo, s2, v5
	v_mul_lo_u32 v0, v0, s8
	v_cmp_le_i32_e64 s0, v2, v5
	s_delay_alu instid0(VALU_DEP_1) | instskip(NEXT) | instid1(VALU_DEP_2)
	s_and_b32 s0, vcc_lo, s0
	v_add3_u32 v8, v8, v3, v0
	s_delay_alu instid0(VALU_DEP_1) | instskip(NEXT) | instid1(VALU_DEP_1)
	v_lshlrev_b64 v[7:8], 3, v[7:8]
	v_add_co_u32 v0, s1, s3, v7
	s_delay_alu instid0(VALU_DEP_1)
	v_add_co_ci_u32_e64 v7, s1, s6, v8, s1
	s_and_saveexec_b32 s1, s0
	s_cbranch_execz .LBB1114_9
; %bb.8:
	v_ashrrev_i32_e32 v3, 31, v2
	s_delay_alu instid0(VALU_DEP_1) | instskip(NEXT) | instid1(VALU_DEP_1)
	v_lshlrev_b64 v[2:3], 3, v[2:3]
	v_add_co_u32 v2, s0, v0, v2
	s_delay_alu instid0(VALU_DEP_1) | instskip(SKIP_4) | instid1(VALU_DEP_1)
	v_add_co_ci_u32_e64 v3, s0, v7, v3, s0
	global_load_b64 v[11:12], v[2:3], off
	v_mul_f32_e32 v8, s19, v10
	v_mul_f32_e32 v10, s18, v10
	s_waitcnt vmcnt(0)
	v_dual_fmac_f32 v10, s19, v9 :: v_dual_mul_f32 v13, s5, v12
	v_mul_f32_e32 v12, s4, v12
	v_fma_f32 v8, v9, s18, -v8
	s_delay_alu instid0(VALU_DEP_3) | instskip(NEXT) | instid1(VALU_DEP_3)
	v_fma_f32 v9, v11, s4, -v13
	v_fmac_f32_e32 v12, s5, v11
	s_delay_alu instid0(VALU_DEP_1)
	v_dual_add_f32 v8, v8, v9 :: v_dual_add_f32 v9, v10, v12
	global_store_b64 v[2:3], v[8:9], off
.LBB1114_9:
	s_or_b32 exec_lo, exec_lo, s1
	v_cmp_le_i32_e64 s0, v4, v5
	s_delay_alu instid0(VALU_DEP_1) | instskip(NEXT) | instid1(SALU_CYCLE_1)
	s_and_b32 s0, vcc_lo, s0
	s_and_saveexec_b32 s1, s0
	s_cbranch_execz .LBB1114_11
; %bb.10:
	v_ashrrev_i32_e32 v5, 31, v4
	s_delay_alu instid0(VALU_DEP_1) | instskip(NEXT) | instid1(VALU_DEP_1)
	v_lshlrev_b64 v[2:3], 3, v[4:5]
	v_add_co_u32 v2, vcc_lo, v0, v2
	s_delay_alu instid0(VALU_DEP_2)
	v_add_co_ci_u32_e32 v3, vcc_lo, v7, v3, vcc_lo
	v_mul_f32_e32 v0, s19, v1
	v_mul_f32_e32 v1, s18, v1
	global_load_b64 v[4:5], v[2:3], off
	v_fmac_f32_e32 v1, s19, v6
	v_fma_f32 v0, v6, s18, -v0
	s_waitcnt vmcnt(0)
	v_mul_f32_e32 v7, s5, v5
	v_mul_f32_e32 v5, s4, v5
	s_delay_alu instid0(VALU_DEP_2) | instskip(NEXT) | instid1(VALU_DEP_1)
	v_fma_f32 v6, v4, s4, -v7
	v_dual_fmac_f32 v5, s5, v4 :: v_dual_add_f32 v0, v0, v6
	s_delay_alu instid0(VALU_DEP_1)
	v_add_f32_e32 v1, v1, v5
	global_store_b64 v[2:3], v[0:1], off
.LBB1114_11:
	s_nop 0
	s_sendmsg sendmsg(MSG_DEALLOC_VGPRS)
	s_endpgm
	.section	.rodata,"a",@progbits
	.p2align	6, 0x0
	.amdhsa_kernel _ZL37rocblas_syrkx_herkx_restricted_kernelIl19rocblas_complex_numIfELi16ELi32ELi8ELb0ELb0ELc67ELc85EKS1_S1_EviT_T0_PT8_S3_lS6_S3_lS4_PT9_S3_li
		.amdhsa_group_segment_fixed_size 4096
		.amdhsa_private_segment_fixed_size 0
		.amdhsa_kernarg_size 108
		.amdhsa_user_sgpr_count 13
		.amdhsa_user_sgpr_dispatch_ptr 0
		.amdhsa_user_sgpr_queue_ptr 0
		.amdhsa_user_sgpr_kernarg_segment_ptr 1
		.amdhsa_user_sgpr_dispatch_id 0
		.amdhsa_user_sgpr_private_segment_size 0
		.amdhsa_wavefront_size32 1
		.amdhsa_uses_dynamic_stack 0
		.amdhsa_enable_private_segment 0
		.amdhsa_system_sgpr_workgroup_id_x 1
		.amdhsa_system_sgpr_workgroup_id_y 1
		.amdhsa_system_sgpr_workgroup_id_z 1
		.amdhsa_system_sgpr_workgroup_info 0
		.amdhsa_system_vgpr_workitem_id 1
		.amdhsa_next_free_vgpr 91
		.amdhsa_next_free_sgpr 32
		.amdhsa_reserve_vcc 1
		.amdhsa_float_round_mode_32 0
		.amdhsa_float_round_mode_16_64 0
		.amdhsa_float_denorm_mode_32 3
		.amdhsa_float_denorm_mode_16_64 3
		.amdhsa_dx10_clamp 1
		.amdhsa_ieee_mode 1
		.amdhsa_fp16_overflow 0
		.amdhsa_workgroup_processor_mode 1
		.amdhsa_memory_ordered 1
		.amdhsa_forward_progress 0
		.amdhsa_shared_vgpr_count 0
		.amdhsa_exception_fp_ieee_invalid_op 0
		.amdhsa_exception_fp_denorm_src 0
		.amdhsa_exception_fp_ieee_div_zero 0
		.amdhsa_exception_fp_ieee_overflow 0
		.amdhsa_exception_fp_ieee_underflow 0
		.amdhsa_exception_fp_ieee_inexact 0
		.amdhsa_exception_int_div_zero 0
	.end_amdhsa_kernel
	.section	.text._ZL37rocblas_syrkx_herkx_restricted_kernelIl19rocblas_complex_numIfELi16ELi32ELi8ELb0ELb0ELc67ELc85EKS1_S1_EviT_T0_PT8_S3_lS6_S3_lS4_PT9_S3_li,"axG",@progbits,_ZL37rocblas_syrkx_herkx_restricted_kernelIl19rocblas_complex_numIfELi16ELi32ELi8ELb0ELb0ELc67ELc85EKS1_S1_EviT_T0_PT8_S3_lS6_S3_lS4_PT9_S3_li,comdat
.Lfunc_end1114:
	.size	_ZL37rocblas_syrkx_herkx_restricted_kernelIl19rocblas_complex_numIfELi16ELi32ELi8ELb0ELb0ELc67ELc85EKS1_S1_EviT_T0_PT8_S3_lS6_S3_lS4_PT9_S3_li, .Lfunc_end1114-_ZL37rocblas_syrkx_herkx_restricted_kernelIl19rocblas_complex_numIfELi16ELi32ELi8ELb0ELb0ELc67ELc85EKS1_S1_EviT_T0_PT8_S3_lS6_S3_lS4_PT9_S3_li
                                        ; -- End function
	.section	.AMDGPU.csdata,"",@progbits
; Kernel info:
; codeLenInByte = 2388
; NumSgprs: 34
; NumVgprs: 91
; ScratchSize: 0
; MemoryBound: 0
; FloatMode: 240
; IeeeMode: 1
; LDSByteSize: 4096 bytes/workgroup (compile time only)
; SGPRBlocks: 4
; VGPRBlocks: 11
; NumSGPRsForWavesPerEU: 34
; NumVGPRsForWavesPerEU: 91
; Occupancy: 16
; WaveLimiterHint : 0
; COMPUTE_PGM_RSRC2:SCRATCH_EN: 0
; COMPUTE_PGM_RSRC2:USER_SGPR: 13
; COMPUTE_PGM_RSRC2:TRAP_HANDLER: 0
; COMPUTE_PGM_RSRC2:TGID_X_EN: 1
; COMPUTE_PGM_RSRC2:TGID_Y_EN: 1
; COMPUTE_PGM_RSRC2:TGID_Z_EN: 1
; COMPUTE_PGM_RSRC2:TIDIG_COMP_CNT: 1
	.section	.text._ZL37rocblas_syrkx_herkx_restricted_kernelIl19rocblas_complex_numIfELi16ELi32ELi8ELb0ELb0ELc78ELc85EKS1_S1_EviT_T0_PT8_S3_lS6_S3_lS4_PT9_S3_li,"axG",@progbits,_ZL37rocblas_syrkx_herkx_restricted_kernelIl19rocblas_complex_numIfELi16ELi32ELi8ELb0ELb0ELc78ELc85EKS1_S1_EviT_T0_PT8_S3_lS6_S3_lS4_PT9_S3_li,comdat
	.globl	_ZL37rocblas_syrkx_herkx_restricted_kernelIl19rocblas_complex_numIfELi16ELi32ELi8ELb0ELb0ELc78ELc85EKS1_S1_EviT_T0_PT8_S3_lS6_S3_lS4_PT9_S3_li ; -- Begin function _ZL37rocblas_syrkx_herkx_restricted_kernelIl19rocblas_complex_numIfELi16ELi32ELi8ELb0ELb0ELc78ELc85EKS1_S1_EviT_T0_PT8_S3_lS6_S3_lS4_PT9_S3_li
	.p2align	8
	.type	_ZL37rocblas_syrkx_herkx_restricted_kernelIl19rocblas_complex_numIfELi16ELi32ELi8ELb0ELb0ELc78ELc85EKS1_S1_EviT_T0_PT8_S3_lS6_S3_lS4_PT9_S3_li,@function
_ZL37rocblas_syrkx_herkx_restricted_kernelIl19rocblas_complex_numIfELi16ELi32ELi8ELb0ELb0ELc78ELc85EKS1_S1_EviT_T0_PT8_S3_lS6_S3_lS4_PT9_S3_li: ; @_ZL37rocblas_syrkx_herkx_restricted_kernelIl19rocblas_complex_numIfELi16ELi32ELi8ELb0ELb0ELc78ELc85EKS1_S1_EviT_T0_PT8_S3_lS6_S3_lS4_PT9_S3_li
; %bb.0:
	s_load_b512 s[16:31], s[0:1], 0x8
	v_dual_mov_b32 v14, 0 :: v_dual_mov_b32 v15, 0
	v_dual_mov_b32 v10, 0 :: v_dual_mov_b32 v11, 0
	;; [unrolled: 1-line block ×4, first 2 shown]
	v_and_b32_e32 v6, 0x3ff, v0
	v_bfe_u32 v7, v0, 10, 10
	s_lshl_b32 s12, s13, 5
	s_lshl_b32 s13, s14, 5
	s_waitcnt lgkmcnt(0)
	v_cmp_lt_i64_e64 s2, s[16:17], 1
	s_delay_alu instid0(VALU_DEP_1)
	s_and_b32 vcc_lo, exec_lo, s2
	s_cbranch_vccnz .LBB1115_3
; %bb.1:
	v_lshl_add_u32 v1, v7, 4, v6
	v_and_b32_e32 v14, 7, v6
	s_mul_i32 s3, s25, s15
	s_mul_hi_u32 s5, s24, s15
	s_mul_i32 s2, s24, s15
	v_and_b32_e32 v10, 31, v1
	v_lshrrev_b32_e32 v11, 3, v1
	v_lshrrev_b32_e32 v15, 5, v1
	s_add_i32 s3, s5, s3
	s_mul_i32 s6, s31, s15
	v_add_nc_u32_e32 v0, s12, v10
	v_add_nc_u32_e32 v2, s13, v11
	s_lshl_b64 s[2:3], s[2:3], 3
	s_mul_hi_u32 s7, s30, s15
	s_add_u32 s8, s20, s2
	v_ashrrev_i32_e32 v1, 31, v0
	v_ashrrev_i32_e32 v3, 31, v2
	s_mul_i32 s4, s30, s15
	s_addc_u32 s9, s21, s3
	s_add_i32 s5, s7, s6
	v_mad_u64_u32 v[4:5], null, v15, s22, v[0:1]
	v_mad_u64_u32 v[0:1], null, v14, s28, v[2:3]
	s_lshl_b64 s[4:5], s[4:5], 3
	s_lshl_b64 s[2:3], s[22:23], 6
	s_add_u32 s4, s26, s4
	s_addc_u32 s5, s27, s5
	s_delay_alu instid0(VALU_DEP_2) | instskip(SKIP_3) | instid1(VALU_DEP_3)
	v_mov_b32_e32 v2, v5
	v_lshlrev_b32_e32 v12, 3, v6
	v_lshl_add_u32 v13, v7, 6, 0x800
	s_mov_b64 s[6:7], 0
	v_mad_u64_u32 v[8:9], null, v15, s23, v[2:3]
	v_mad_u64_u32 v[2:3], null, v14, s29, v[1:2]
	s_delay_alu instid0(VALU_DEP_2) | instskip(NEXT) | instid1(VALU_DEP_2)
	v_dual_mov_b32 v5, v8 :: v_dual_lshlrev_b32 v8, 3, v10
	v_dual_mov_b32 v1, v2 :: v_dual_lshlrev_b32 v16, 3, v14
	v_mov_b32_e32 v10, 0
	s_delay_alu instid0(VALU_DEP_3) | instskip(SKIP_1) | instid1(VALU_DEP_4)
	v_lshlrev_b64 v[2:3], 3, v[4:5]
	v_mov_b32_e32 v14, 0
	v_lshlrev_b64 v[0:1], 3, v[0:1]
	v_lshl_or_b32 v9, v11, 6, v16
	v_lshl_or_b32 v16, v15, 8, v8
	v_mov_b32_e32 v15, 0
	v_add_co_u32 v2, vcc_lo, s8, v2
	v_add_co_ci_u32_e32 v3, vcc_lo, s9, v3, vcc_lo
	v_add_co_u32 v4, vcc_lo, s4, v0
	v_add_co_ci_u32_e32 v5, vcc_lo, s5, v1, vcc_lo
	s_delay_alu instid0(VALU_DEP_4) | instskip(NEXT) | instid1(VALU_DEP_4)
	v_add_co_u32 v0, vcc_lo, v2, 4
	v_add_co_ci_u32_e32 v1, vcc_lo, 0, v3, vcc_lo
	s_delay_alu instid0(VALU_DEP_4)
	v_add_co_u32 v2, vcc_lo, v4, 4
	v_add_nc_u32_e32 v17, 0x800, v9
	v_add_co_ci_u32_e32 v3, vcc_lo, 0, v5, vcc_lo
	v_dual_mov_b32 v5, 0 :: v_dual_mov_b32 v4, 0
	v_dual_mov_b32 v9, 0 :: v_dual_mov_b32 v8, 0
	v_mov_b32_e32 v11, 0
	s_lshl_b64 s[4:5], s[28:29], 6
.LBB1115_2:                             ; =>This Inner Loop Header: Depth=1
	global_load_b64 v[18:19], v[0:1], off offset:-4
	global_load_b64 v[20:21], v[2:3], off offset:-4
	s_add_u32 s6, s6, 8
	v_add_co_u32 v0, vcc_lo, v0, s2
	s_addc_u32 s7, s7, 0
	v_add_co_ci_u32_e32 v1, vcc_lo, s3, v1, vcc_lo
	v_cmp_ge_u64_e64 s8, s[6:7], s[16:17]
	v_add_co_u32 v2, vcc_lo, v2, s4
	v_add_co_ci_u32_e32 v3, vcc_lo, s5, v3, vcc_lo
	s_waitcnt vmcnt(1)
	ds_store_b64 v16, v[18:19]
	s_waitcnt vmcnt(0)
	ds_store_b64 v17, v[20:21]
	s_waitcnt lgkmcnt(0)
	s_barrier
	buffer_gl0_inv
	ds_load_2addr_b64 v[18:21], v12 offset1:16
	ds_load_b128 v[22:25], v13
	ds_load_b128 v[26:29], v13 offset:1024
	ds_load_b128 v[30:33], v13 offset:16
	;; [unrolled: 1-line block ×4, first 2 shown]
	ds_load_2addr_b64 v[42:45], v12 offset0:32 offset1:48
	ds_load_2addr_b64 v[46:49], v12 offset0:64 offset1:80
	ds_load_b128 v[50:53], v13 offset:1040
	ds_load_2addr_b64 v[54:57], v12 offset0:96 offset1:112
	ds_load_2addr_b64 v[58:61], v12 offset0:128 offset1:144
	;; [unrolled: 1-line block ×4, first 2 shown]
	ds_load_b128 v[70:73], v13 offset:1056
	ds_load_b128 v[74:77], v13 offset:1072
	ds_load_2addr_b64 v[78:81], v12 offset0:224 offset1:240
	s_and_b32 vcc_lo, exec_lo, s8
	s_waitcnt lgkmcnt(0)
	s_barrier
	buffer_gl0_inv
	v_dual_mul_f32 v82, v23, v19 :: v_dual_mul_f32 v85, v22, v21
	v_dual_mul_f32 v83, v22, v19 :: v_dual_mul_f32 v84, v23, v21
	v_mul_f32_e32 v86, v27, v19
	v_dual_mul_f32 v19, v26, v19 :: v_dual_mul_f32 v90, v25, v45
	v_dual_mul_f32 v87, v27, v21 :: v_dual_mul_f32 v88, v25, v43
	v_mul_f32_e32 v21, v26, v21
	v_mul_f32_e32 v89, v24, v43
	;; [unrolled: 1-line block ×3, first 2 shown]
	v_fma_f32 v82, v22, v18, -v82
	v_fmac_f32_e32 v83, v23, v18
	v_fma_f32 v22, v22, v20, -v84
	v_dual_fmac_f32 v85, v23, v20 :: v_dual_mul_f32 v84, v30, v47
	v_fma_f32 v23, v26, v18, -v86
	v_fmac_f32_e32 v19, v27, v18
	v_fma_f32 v18, v26, v20, -v87
	v_dual_mul_f32 v26, v28, v43 :: v_dual_fmac_f32 v21, v27, v20
	v_mul_f32_e32 v20, v29, v43
	v_mul_f32_e32 v27, v29, v45
	v_dual_mul_f32 v43, v28, v45 :: v_dual_fmac_f32 v84, v31, v46
	v_fma_f32 v45, v24, v42, -v88
	v_fma_f32 v24, v24, v44, -v90
	v_dual_fmac_f32 v91, v25, v44 :: v_dual_mul_f32 v90, v32, v57
	v_dual_mul_f32 v86, v31, v49 :: v_dual_fmac_f32 v89, v25, v42
	v_dual_mul_f32 v25, v31, v47 :: v_dual_mul_f32 v88, v33, v57
	v_fma_f32 v20, v28, v42, -v20
	v_fmac_f32_e32 v26, v29, v42
	v_fma_f32 v27, v28, v44, -v27
	v_dual_fmac_f32 v43, v29, v44 :: v_dual_mul_f32 v28, v51, v47
	v_dual_mul_f32 v29, v50, v47 :: v_dual_mul_f32 v42, v51, v49
	v_mul_f32_e32 v44, v50, v49
	v_mul_f32_e32 v87, v30, v49
	;; [unrolled: 1-line block ×3, first 2 shown]
	v_dual_mul_f32 v49, v32, v55 :: v_dual_fmac_f32 v90, v33, v56
	v_fma_f32 v25, v30, v46, -v25
	v_fma_f32 v30, v30, v48, -v86
	;; [unrolled: 1-line block ×3, first 2 shown]
	v_fmac_f32_e32 v44, v51, v48
	v_fmac_f32_e32 v87, v31, v48
	v_fma_f32 v31, v50, v48, -v42
	v_mul_f32_e32 v42, v53, v55
	v_mul_f32_e32 v48, v53, v57
	v_dual_mul_f32 v50, v52, v57 :: v_dual_fmac_f32 v29, v51, v46
	v_mul_f32_e32 v46, v52, v55
	v_fma_f32 v47, v32, v54, -v47
	v_fmac_f32_e32 v49, v33, v54
	v_fma_f32 v32, v32, v56, -v88
	s_delay_alu instid0(VALU_DEP_4)
	v_dual_mul_f32 v33, v35, v59 :: v_dual_fmac_f32 v46, v53, v54
	v_mul_f32_e32 v51, v34, v59
	v_mul_f32_e32 v55, v35, v61
	v_fma_f32 v42, v52, v54, -v42
	v_fma_f32 v48, v52, v56, -v48
	v_fmac_f32_e32 v50, v53, v56
	v_mul_f32_e32 v52, v71, v59
	v_dual_mul_f32 v53, v70, v59 :: v_dual_mul_f32 v86, v37, v65
	v_mul_f32_e32 v54, v71, v61
	v_dual_mul_f32 v56, v70, v61 :: v_dual_mul_f32 v59, v37, v63
	v_mul_f32_e32 v57, v34, v61
	v_mul_f32_e32 v61, v36, v63
	v_dual_mul_f32 v88, v36, v65 :: v_dual_fmac_f32 v51, v35, v58
	v_fma_f32 v33, v34, v58, -v33
	v_fmac_f32_e32 v53, v71, v58
	v_fmac_f32_e32 v56, v71, v60
	s_delay_alu instid0(VALU_DEP_4)
	v_fmac_f32_e32 v88, v37, v64
	v_fmac_f32_e32 v57, v35, v60
	v_fma_f32 v35, v70, v58, -v52
	v_fma_f32 v52, v70, v60, -v54
	v_mul_f32_e32 v54, v73, v63
	v_fma_f32 v34, v34, v60, -v55
	v_mul_f32_e32 v60, v72, v65
	v_dual_mul_f32 v55, v72, v63 :: v_dual_mul_f32 v70, v38, v69
	v_mul_f32_e32 v58, v73, v65
	v_fma_f32 v59, v36, v62, -v59
	v_fmac_f32_e32 v61, v37, v62
	v_fma_f32 v36, v36, v64, -v86
	v_dual_mul_f32 v37, v39, v67 :: v_dual_fmac_f32 v60, v73, v64
	v_dual_mul_f32 v63, v38, v67 :: v_dual_mul_f32 v86, v40, v81
	v_mul_f32_e32 v65, v39, v69
	v_fma_f32 v54, v72, v62, -v54
	v_fmac_f32_e32 v55, v73, v62
	v_fma_f32 v58, v72, v64, -v58
	v_mul_f32_e32 v72, v40, v79
	v_mul_f32_e32 v62, v75, v67
	v_dual_mul_f32 v64, v74, v67 :: v_dual_mul_f32 v67, v75, v69
	v_dual_mul_f32 v69, v74, v69 :: v_dual_fmac_f32 v70, v39, v68
	s_delay_alu instid0(VALU_DEP_2)
	v_dual_mul_f32 v71, v41, v79 :: v_dual_fmac_f32 v64, v75, v66
	v_fma_f32 v37, v38, v66, -v37
	v_fmac_f32_e32 v63, v39, v66
	v_fma_f32 v39, v74, v66, -v62
	v_dual_mul_f32 v66, v76, v79 :: v_dual_mul_f32 v73, v41, v81
	v_add_f32_e32 v14, v14, v82
	v_fma_f32 v38, v38, v68, -v65
	v_fma_f32 v62, v74, v68, -v67
	v_dual_fmac_f32 v69, v75, v68 :: v_dual_fmac_f32 v72, v41, v78
	v_dual_mul_f32 v65, v77, v79 :: v_dual_add_f32 v10, v10, v22
	v_dual_mul_f32 v67, v77, v81 :: v_dual_add_f32 v8, v8, v23
	v_mul_f32_e32 v68, v76, v81
	v_dual_fmac_f32 v86, v41, v80 :: v_dual_add_f32 v15, v15, v83
	v_dual_fmac_f32 v66, v77, v78 :: v_dual_add_f32 v11, v11, v85
	v_dual_add_f32 v9, v9, v19 :: v_dual_add_f32 v4, v4, v18
	v_dual_add_f32 v5, v5, v21 :: v_dual_add_f32 v10, v10, v24
	s_delay_alu instid0(VALU_DEP_4) | instskip(NEXT) | instid1(VALU_DEP_4)
	v_dual_fmac_f32 v68, v77, v80 :: v_dual_add_f32 v15, v15, v89
	v_dual_add_f32 v14, v14, v45 :: v_dual_add_f32 v11, v11, v91
	s_delay_alu instid0(VALU_DEP_4) | instskip(NEXT) | instid1(VALU_DEP_3)
	v_dual_add_f32 v8, v8, v20 :: v_dual_add_f32 v9, v9, v26
	v_dual_add_f32 v4, v4, v27 :: v_dual_add_f32 v15, v15, v84
	s_delay_alu instid0(VALU_DEP_3) | instskip(NEXT) | instid1(VALU_DEP_4)
	v_dual_add_f32 v5, v5, v43 :: v_dual_add_f32 v14, v14, v25
	v_dual_add_f32 v10, v10, v30 :: v_dual_add_f32 v11, v11, v87
	s_delay_alu instid0(VALU_DEP_4) | instskip(NEXT) | instid1(VALU_DEP_3)
	v_dual_add_f32 v8, v8, v28 :: v_dual_add_f32 v9, v9, v29
	v_dual_add_f32 v4, v4, v31 :: v_dual_add_f32 v5, v5, v44
	s_delay_alu instid0(VALU_DEP_4) | instskip(NEXT) | instid1(VALU_DEP_4)
	v_dual_add_f32 v14, v14, v47 :: v_dual_add_f32 v15, v15, v49
	v_dual_add_f32 v10, v10, v32 :: v_dual_add_f32 v11, v11, v90
	s_delay_alu instid0(VALU_DEP_4) | instskip(NEXT) | instid1(VALU_DEP_4)
	v_add_f32_e32 v8, v8, v42
	v_dual_add_f32 v9, v9, v46 :: v_dual_add_f32 v4, v4, v48
	s_delay_alu instid0(VALU_DEP_4) | instskip(NEXT) | instid1(VALU_DEP_4)
	v_dual_add_f32 v5, v5, v50 :: v_dual_add_f32 v14, v14, v33
	v_dual_add_f32 v15, v15, v51 :: v_dual_add_f32 v10, v10, v34
	s_delay_alu instid0(VALU_DEP_4) | instskip(NEXT) | instid1(VALU_DEP_4)
	v_dual_add_f32 v11, v11, v57 :: v_dual_add_f32 v8, v8, v35
	v_dual_add_f32 v9, v9, v53 :: v_dual_add_f32 v4, v4, v52
	s_delay_alu instid0(VALU_DEP_3) | instskip(SKIP_1) | instid1(VALU_DEP_3)
	v_add_f32_e32 v15, v15, v61
	v_dual_add_f32 v5, v5, v56 :: v_dual_add_f32 v14, v14, v59
	v_dual_add_f32 v10, v10, v36 :: v_dual_add_f32 v9, v9, v55
	v_dual_add_f32 v11, v11, v88 :: v_dual_add_f32 v8, v8, v54
	s_delay_alu instid0(VALU_DEP_3)
	v_dual_add_f32 v4, v4, v58 :: v_dual_add_f32 v5, v5, v60
	v_fma_f32 v71, v40, v78, -v71
	v_fma_f32 v40, v40, v80, -v73
	v_fma_f32 v41, v76, v78, -v65
	v_fma_f32 v65, v76, v80, -v67
	v_dual_add_f32 v14, v14, v37 :: v_dual_add_f32 v15, v15, v63
	v_dual_add_f32 v10, v10, v38 :: v_dual_add_f32 v9, v9, v64
	v_dual_add_f32 v11, v11, v70 :: v_dual_add_f32 v8, v8, v39
	v_dual_add_f32 v4, v4, v62 :: v_dual_add_f32 v5, v5, v69
	s_delay_alu instid0(VALU_DEP_4) | instskip(NEXT) | instid1(VALU_DEP_3)
	v_dual_add_f32 v14, v14, v71 :: v_dual_add_f32 v15, v15, v72
	v_dual_add_f32 v10, v10, v40 :: v_dual_add_f32 v11, v11, v86
	s_delay_alu instid0(VALU_DEP_4) | instskip(NEXT) | instid1(VALU_DEP_4)
	v_dual_add_f32 v8, v8, v41 :: v_dual_add_f32 v9, v9, v66
	v_dual_add_f32 v4, v4, v65 :: v_dual_add_f32 v5, v5, v68
	s_cbranch_vccz .LBB1115_2
.LBB1115_3:
	s_load_b256 s[4:11], s[0:1], 0x48
	v_add_nc_u32_e32 v7, s13, v7
	s_load_b32 s2, s[0:1], 0x0
	s_delay_alu instid0(VALU_DEP_1) | instskip(SKIP_3) | instid1(VALU_DEP_3)
	v_ashrrev_i32_e32 v0, 31, v7
	s_waitcnt lgkmcnt(0)
	v_mul_lo_u32 v3, v7, s9
	v_mad_u64_u32 v[1:2], null, v7, s8, 0
	v_mul_lo_u32 v0, v0, s8
	s_mul_i32 s1, s15, s11
	s_mul_hi_u32 s3, s15, s10
	s_mul_i32 s0, s15, s10
	s_add_i32 s1, s3, s1
	v_cmp_gt_i32_e32 vcc_lo, s2, v7
	s_lshl_b64 s[10:11], s[0:1], 3
	s_delay_alu instid0(VALU_DEP_2) | instskip(SKIP_3) | instid1(VALU_DEP_2)
	v_add3_u32 v2, v2, v3, v0
	v_add_nc_u32_e32 v0, s12, v6
	s_add_u32 s3, s6, s10
	s_addc_u32 s6, s7, s11
	v_lshlrev_b64 v[1:2], 3, v[1:2]
	s_delay_alu instid0(VALU_DEP_2) | instskip(NEXT) | instid1(VALU_DEP_1)
	v_cmp_le_i32_e64 s0, v0, v7
	s_and_b32 s0, vcc_lo, s0
	s_delay_alu instid0(VALU_DEP_2) | instskip(NEXT) | instid1(VALU_DEP_1)
	v_add_co_u32 v6, s1, s3, v1
	v_add_co_ci_u32_e64 v12, s1, s6, v2, s1
	s_and_saveexec_b32 s1, s0
	s_cbranch_execz .LBB1115_5
; %bb.4:
	v_ashrrev_i32_e32 v1, 31, v0
	s_delay_alu instid0(VALU_DEP_1) | instskip(NEXT) | instid1(VALU_DEP_1)
	v_lshlrev_b64 v[1:2], 3, v[0:1]
	v_add_co_u32 v1, s0, v6, v1
	s_delay_alu instid0(VALU_DEP_1) | instskip(SKIP_4) | instid1(VALU_DEP_2)
	v_add_co_ci_u32_e64 v2, s0, v12, v2, s0
	global_load_b64 v[16:17], v[1:2], off
	s_waitcnt vmcnt(0)
	v_mul_f32_e32 v13, s5, v17
	v_mul_f32_e32 v17, s4, v17
	v_fma_f32 v13, v16, s4, -v13
	s_delay_alu instid0(VALU_DEP_2) | instskip(SKIP_2) | instid1(VALU_DEP_2)
	v_fmac_f32_e32 v17, s5, v16
	v_mul_f32_e32 v3, s19, v15
	v_mul_f32_e32 v15, s18, v15
	v_fma_f32 v3, v14, s18, -v3
	s_delay_alu instid0(VALU_DEP_2) | instskip(NEXT) | instid1(VALU_DEP_2)
	v_fmac_f32_e32 v15, s19, v14
	v_add_f32_e32 v13, v3, v13
	s_delay_alu instid0(VALU_DEP_2)
	v_add_f32_e32 v14, v15, v17
	global_store_b64 v[1:2], v[13:14], off
.LBB1115_5:
	s_or_b32 exec_lo, exec_lo, s1
	v_add_nc_u32_e32 v2, 16, v0
	s_delay_alu instid0(VALU_DEP_1) | instskip(NEXT) | instid1(VALU_DEP_1)
	v_cmp_le_i32_e64 s0, v2, v7
	s_and_b32 s1, vcc_lo, s0
	s_delay_alu instid0(SALU_CYCLE_1)
	s_and_saveexec_b32 s0, s1
	s_cbranch_execz .LBB1115_7
; %bb.6:
	v_ashrrev_i32_e32 v3, 31, v2
	s_delay_alu instid0(VALU_DEP_1) | instskip(NEXT) | instid1(VALU_DEP_1)
	v_lshlrev_b64 v[13:14], 3, v[2:3]
	v_add_co_u32 v13, vcc_lo, v6, v13
	s_delay_alu instid0(VALU_DEP_2) | instskip(SKIP_3) | instid1(VALU_DEP_1)
	v_add_co_ci_u32_e32 v14, vcc_lo, v12, v14, vcc_lo
	global_load_b64 v[15:16], v[13:14], off
	s_waitcnt vmcnt(0)
	v_dual_mul_f32 v1, s19, v11 :: v_dual_mul_f32 v6, s5, v16
	v_fma_f32 v1, v10, s18, -v1
	s_delay_alu instid0(VALU_DEP_2) | instskip(SKIP_2) | instid1(VALU_DEP_2)
	v_fma_f32 v6, v15, s4, -v6
	v_mul_f32_e32 v3, s18, v11
	v_mul_f32_e32 v11, s4, v16
	v_fmac_f32_e32 v3, s19, v10
	s_delay_alu instid0(VALU_DEP_2) | instskip(NEXT) | instid1(VALU_DEP_1)
	v_dual_add_f32 v10, v1, v6 :: v_dual_fmac_f32 v11, s5, v15
	v_add_f32_e32 v11, v3, v11
	global_store_b64 v[13:14], v[10:11], off
.LBB1115_7:
	s_or_b32 exec_lo, exec_lo, s0
	v_add_nc_u32_e32 v3, 16, v7
	s_delay_alu instid0(VALU_DEP_1) | instskip(SKIP_3) | instid1(VALU_DEP_4)
	v_ashrrev_i32_e32 v1, 31, v3
	v_mul_lo_u32 v10, v3, s9
	v_mad_u64_u32 v[6:7], null, v3, s8, 0
	v_cmp_gt_i32_e32 vcc_lo, s2, v3
	v_mul_lo_u32 v1, v1, s8
	v_cmp_le_i32_e64 s0, v0, v3
	s_delay_alu instid0(VALU_DEP_1) | instskip(NEXT) | instid1(VALU_DEP_2)
	s_and_b32 s0, vcc_lo, s0
	v_add3_u32 v7, v7, v10, v1
	s_delay_alu instid0(VALU_DEP_1) | instskip(NEXT) | instid1(VALU_DEP_1)
	v_lshlrev_b64 v[6:7], 3, v[6:7]
	v_add_co_u32 v6, s1, s3, v6
	s_delay_alu instid0(VALU_DEP_1)
	v_add_co_ci_u32_e64 v7, s1, s6, v7, s1
	s_and_saveexec_b32 s1, s0
	s_cbranch_execz .LBB1115_9
; %bb.8:
	v_ashrrev_i32_e32 v1, 31, v0
	s_delay_alu instid0(VALU_DEP_1) | instskip(NEXT) | instid1(VALU_DEP_1)
	v_lshlrev_b64 v[0:1], 3, v[0:1]
	v_add_co_u32 v0, s0, v6, v0
	s_delay_alu instid0(VALU_DEP_1) | instskip(SKIP_4) | instid1(VALU_DEP_2)
	v_add_co_ci_u32_e64 v1, s0, v7, v1, s0
	global_load_b64 v[10:11], v[0:1], off
	s_waitcnt vmcnt(0)
	v_dual_mul_f32 v12, s19, v9 :: v_dual_mul_f32 v13, s5, v11
	v_mul_f32_e32 v11, s4, v11
	v_fma_f32 v12, v8, s18, -v12
	v_mul_f32_e32 v9, s18, v9
	s_delay_alu instid0(VALU_DEP_3) | instskip(NEXT) | instid1(VALU_DEP_2)
	v_fmac_f32_e32 v11, s5, v10
	v_fmac_f32_e32 v9, s19, v8
	v_fma_f32 v8, v10, s4, -v13
	s_delay_alu instid0(VALU_DEP_1)
	v_dual_add_f32 v9, v9, v11 :: v_dual_add_f32 v8, v12, v8
	global_store_b64 v[0:1], v[8:9], off
.LBB1115_9:
	s_or_b32 exec_lo, exec_lo, s1
	v_cmp_le_i32_e64 s0, v2, v3
	s_delay_alu instid0(VALU_DEP_1) | instskip(NEXT) | instid1(SALU_CYCLE_1)
	s_and_b32 s0, vcc_lo, s0
	s_and_saveexec_b32 s1, s0
	s_cbranch_execz .LBB1115_11
; %bb.10:
	v_ashrrev_i32_e32 v3, 31, v2
	s_delay_alu instid0(VALU_DEP_1) | instskip(NEXT) | instid1(VALU_DEP_1)
	v_lshlrev_b64 v[0:1], 3, v[2:3]
	v_add_co_u32 v0, vcc_lo, v6, v0
	s_delay_alu instid0(VALU_DEP_2) | instskip(SKIP_4) | instid1(VALU_DEP_2)
	v_add_co_ci_u32_e32 v1, vcc_lo, v7, v1, vcc_lo
	global_load_b64 v[2:3], v[0:1], off
	s_waitcnt vmcnt(0)
	v_dual_mul_f32 v6, s19, v5 :: v_dual_mul_f32 v7, s5, v3
	v_mul_f32_e32 v3, s4, v3
	v_fma_f32 v6, v4, s18, -v6
	v_mul_f32_e32 v5, s18, v5
	s_delay_alu instid0(VALU_DEP_3) | instskip(NEXT) | instid1(VALU_DEP_2)
	v_fmac_f32_e32 v3, s5, v2
	v_fmac_f32_e32 v5, s19, v4
	v_fma_f32 v4, v2, s4, -v7
	s_delay_alu instid0(VALU_DEP_1)
	v_dual_add_f32 v3, v5, v3 :: v_dual_add_f32 v2, v6, v4
	global_store_b64 v[0:1], v[2:3], off
.LBB1115_11:
	s_nop 0
	s_sendmsg sendmsg(MSG_DEALLOC_VGPRS)
	s_endpgm
	.section	.rodata,"a",@progbits
	.p2align	6, 0x0
	.amdhsa_kernel _ZL37rocblas_syrkx_herkx_restricted_kernelIl19rocblas_complex_numIfELi16ELi32ELi8ELb0ELb0ELc78ELc85EKS1_S1_EviT_T0_PT8_S3_lS6_S3_lS4_PT9_S3_li
		.amdhsa_group_segment_fixed_size 4096
		.amdhsa_private_segment_fixed_size 0
		.amdhsa_kernarg_size 108
		.amdhsa_user_sgpr_count 13
		.amdhsa_user_sgpr_dispatch_ptr 0
		.amdhsa_user_sgpr_queue_ptr 0
		.amdhsa_user_sgpr_kernarg_segment_ptr 1
		.amdhsa_user_sgpr_dispatch_id 0
		.amdhsa_user_sgpr_private_segment_size 0
		.amdhsa_wavefront_size32 1
		.amdhsa_uses_dynamic_stack 0
		.amdhsa_enable_private_segment 0
		.amdhsa_system_sgpr_workgroup_id_x 1
		.amdhsa_system_sgpr_workgroup_id_y 1
		.amdhsa_system_sgpr_workgroup_id_z 1
		.amdhsa_system_sgpr_workgroup_info 0
		.amdhsa_system_vgpr_workitem_id 1
		.amdhsa_next_free_vgpr 92
		.amdhsa_next_free_sgpr 32
		.amdhsa_reserve_vcc 1
		.amdhsa_float_round_mode_32 0
		.amdhsa_float_round_mode_16_64 0
		.amdhsa_float_denorm_mode_32 3
		.amdhsa_float_denorm_mode_16_64 3
		.amdhsa_dx10_clamp 1
		.amdhsa_ieee_mode 1
		.amdhsa_fp16_overflow 0
		.amdhsa_workgroup_processor_mode 1
		.amdhsa_memory_ordered 1
		.amdhsa_forward_progress 0
		.amdhsa_shared_vgpr_count 0
		.amdhsa_exception_fp_ieee_invalid_op 0
		.amdhsa_exception_fp_denorm_src 0
		.amdhsa_exception_fp_ieee_div_zero 0
		.amdhsa_exception_fp_ieee_overflow 0
		.amdhsa_exception_fp_ieee_underflow 0
		.amdhsa_exception_fp_ieee_inexact 0
		.amdhsa_exception_int_div_zero 0
	.end_amdhsa_kernel
	.section	.text._ZL37rocblas_syrkx_herkx_restricted_kernelIl19rocblas_complex_numIfELi16ELi32ELi8ELb0ELb0ELc78ELc85EKS1_S1_EviT_T0_PT8_S3_lS6_S3_lS4_PT9_S3_li,"axG",@progbits,_ZL37rocblas_syrkx_herkx_restricted_kernelIl19rocblas_complex_numIfELi16ELi32ELi8ELb0ELb0ELc78ELc85EKS1_S1_EviT_T0_PT8_S3_lS6_S3_lS4_PT9_S3_li,comdat
.Lfunc_end1115:
	.size	_ZL37rocblas_syrkx_herkx_restricted_kernelIl19rocblas_complex_numIfELi16ELi32ELi8ELb0ELb0ELc78ELc85EKS1_S1_EviT_T0_PT8_S3_lS6_S3_lS4_PT9_S3_li, .Lfunc_end1115-_ZL37rocblas_syrkx_herkx_restricted_kernelIl19rocblas_complex_numIfELi16ELi32ELi8ELb0ELb0ELc78ELc85EKS1_S1_EviT_T0_PT8_S3_lS6_S3_lS4_PT9_S3_li
                                        ; -- End function
	.section	.AMDGPU.csdata,"",@progbits
; Kernel info:
; codeLenInByte = 2392
; NumSgprs: 34
; NumVgprs: 92
; ScratchSize: 0
; MemoryBound: 0
; FloatMode: 240
; IeeeMode: 1
; LDSByteSize: 4096 bytes/workgroup (compile time only)
; SGPRBlocks: 4
; VGPRBlocks: 11
; NumSGPRsForWavesPerEU: 34
; NumVGPRsForWavesPerEU: 92
; Occupancy: 16
; WaveLimiterHint : 0
; COMPUTE_PGM_RSRC2:SCRATCH_EN: 0
; COMPUTE_PGM_RSRC2:USER_SGPR: 13
; COMPUTE_PGM_RSRC2:TRAP_HANDLER: 0
; COMPUTE_PGM_RSRC2:TGID_X_EN: 1
; COMPUTE_PGM_RSRC2:TGID_Y_EN: 1
; COMPUTE_PGM_RSRC2:TGID_Z_EN: 1
; COMPUTE_PGM_RSRC2:TIDIG_COMP_CNT: 1
	.section	.text._ZL41rocblas_syrkx_herkx_small_restrict_kernelIl19rocblas_complex_numIfELi16ELb1ELb0ELc84ELc76EKS1_S1_EviT_T0_PT6_S3_lS6_S3_lS4_PT7_S3_li,"axG",@progbits,_ZL41rocblas_syrkx_herkx_small_restrict_kernelIl19rocblas_complex_numIfELi16ELb1ELb0ELc84ELc76EKS1_S1_EviT_T0_PT6_S3_lS6_S3_lS4_PT7_S3_li,comdat
	.globl	_ZL41rocblas_syrkx_herkx_small_restrict_kernelIl19rocblas_complex_numIfELi16ELb1ELb0ELc84ELc76EKS1_S1_EviT_T0_PT6_S3_lS6_S3_lS4_PT7_S3_li ; -- Begin function _ZL41rocblas_syrkx_herkx_small_restrict_kernelIl19rocblas_complex_numIfELi16ELb1ELb0ELc84ELc76EKS1_S1_EviT_T0_PT6_S3_lS6_S3_lS4_PT7_S3_li
	.p2align	8
	.type	_ZL41rocblas_syrkx_herkx_small_restrict_kernelIl19rocblas_complex_numIfELi16ELb1ELb0ELc84ELc76EKS1_S1_EviT_T0_PT6_S3_lS6_S3_lS4_PT7_S3_li,@function
_ZL41rocblas_syrkx_herkx_small_restrict_kernelIl19rocblas_complex_numIfELi16ELb1ELb0ELc84ELc76EKS1_S1_EviT_T0_PT6_S3_lS6_S3_lS4_PT7_S3_li: ; @_ZL41rocblas_syrkx_herkx_small_restrict_kernelIl19rocblas_complex_numIfELi16ELb1ELb0ELc84ELc76EKS1_S1_EviT_T0_PT6_S3_lS6_S3_lS4_PT7_S3_li
; %bb.0:
	s_load_b512 s[16:31], s[0:1], 0x8
	v_dual_mov_b32 v12, 0 :: v_dual_and_b32 v3, 0x3ff, v0
	v_bfe_u32 v2, v0, 10, 10
	v_mov_b32_e32 v13, 0
	s_delay_alu instid0(VALU_DEP_3) | instskip(NEXT) | instid1(VALU_DEP_3)
	v_lshl_add_u32 v0, s13, 4, v3
	v_lshl_add_u32 v6, s14, 4, v2
	s_delay_alu instid0(VALU_DEP_2) | instskip(NEXT) | instid1(VALU_DEP_2)
	v_ashrrev_i32_e32 v1, 31, v0
	v_ashrrev_i32_e32 v7, 31, v6
	s_waitcnt lgkmcnt(0)
	v_cmp_lt_i64_e64 s2, s[16:17], 1
	s_delay_alu instid0(VALU_DEP_1)
	s_and_b32 vcc_lo, exec_lo, s2
	s_cbranch_vccnz .LBB1116_3
; %bb.1:
	v_mul_lo_u32 v11, s29, v6
	v_mul_lo_u32 v14, s28, v7
	v_mad_u64_u32 v[4:5], null, s28, v6, 0
	v_lshlrev_b32_e32 v8, 3, v3
	v_mul_lo_u32 v3, s23, v0
	v_mul_lo_u32 v15, s22, v1
	v_mad_u64_u32 v[12:13], null, s22, v0, 0
	s_mul_i32 s2, s31, s15
	v_add3_u32 v5, v5, v14, v11
	s_mul_hi_u32 s3, s30, s15
	s_mul_i32 s4, s25, s15
	s_add_i32 s3, s3, s2
	s_mul_i32 s2, s30, s15
	s_delay_alu instid0(VALU_DEP_2)
	v_add3_u32 v13, v13, v15, v3
	v_lshlrev_b64 v[3:4], 3, v[4:5]
	s_lshl_b64 s[2:3], s[2:3], 3
	s_mul_hi_u32 s5, s24, s15
	v_lshlrev_b32_e32 v10, 7, v2
	v_lshlrev_b64 v[12:13], 3, v[12:13]
	s_add_i32 s5, s5, s4
	s_mul_i32 s4, s24, s15
	v_add_co_u32 v3, vcc_lo, v3, s2
	v_add_co_ci_u32_e32 v4, vcc_lo, s3, v4, vcc_lo
	s_lshl_b64 s[2:3], s[4:5], 3
	v_lshlrev_b32_e32 v2, 3, v2
	v_add_co_u32 v5, vcc_lo, v12, s2
	v_add_co_ci_u32_e32 v12, vcc_lo, s3, v13, vcc_lo
	v_mov_b32_e32 v13, 0
	v_add_co_u32 v3, vcc_lo, v3, v8
	v_add_co_ci_u32_e32 v4, vcc_lo, 0, v4, vcc_lo
	v_add_co_u32 v5, vcc_lo, v5, v2
	v_add_co_ci_u32_e32 v12, vcc_lo, 0, v12, vcc_lo
	v_add_nc_u32_e32 v9, 0x800, v10
	v_add_co_u32 v2, vcc_lo, s26, v3
	v_add_co_ci_u32_e32 v3, vcc_lo, s27, v4, vcc_lo
	v_add_co_u32 v4, vcc_lo, s20, v5
	v_add_nc_u32_e32 v10, v8, v10
	v_add_co_ci_u32_e32 v5, vcc_lo, s21, v12, vcc_lo
	v_dual_mov_b32 v12, 0 :: v_dual_add_nc_u32 v11, v9, v8
	s_mov_b64 s[2:3], 0
.LBB1116_2:                             ; =>This Inner Loop Header: Depth=1
	global_load_b64 v[14:15], v[4:5], off
	global_load_b64 v[16:17], v[2:3], off
	s_add_u32 s2, s2, 16
	v_add_co_u32 v2, vcc_lo, 0x80, v2
	s_addc_u32 s3, s3, 0
	v_add_co_ci_u32_e32 v3, vcc_lo, 0, v3, vcc_lo
	v_cmp_lt_i64_e64 s4, s[2:3], s[16:17]
	v_add_co_u32 v4, vcc_lo, 0x80, v4
	v_add_co_ci_u32_e32 v5, vcc_lo, 0, v5, vcc_lo
	s_waitcnt vmcnt(1)
	ds_store_b64 v10, v[14:15]
	s_waitcnt vmcnt(0)
	ds_store_b64 v11, v[16:17]
	s_waitcnt lgkmcnt(0)
	s_barrier
	buffer_gl0_inv
	ds_load_2addr_b64 v[14:17], v8 offset1:16
	ds_load_b128 v[18:21], v9
	ds_load_b128 v[22:25], v9 offset:16
	ds_load_2addr_b64 v[26:29], v8 offset0:32 offset1:48
	ds_load_2addr_b64 v[30:33], v8 offset0:64 offset1:80
	ds_load_b128 v[34:37], v9 offset:32
	ds_load_b128 v[38:41], v9 offset:48
	ds_load_2addr_b64 v[42:45], v8 offset0:96 offset1:112
	ds_load_2addr_b64 v[46:49], v8 offset0:128 offset1:144
	;; [unrolled: 1-line block ×3, first 2 shown]
	ds_load_b128 v[54:57], v9 offset:64
	ds_load_b128 v[58:61], v9 offset:80
	ds_load_2addr_b64 v[62:65], v8 offset0:192 offset1:208
	ds_load_2addr_b64 v[66:69], v8 offset0:224 offset1:240
	ds_load_b128 v[70:73], v9 offset:96
	ds_load_b128 v[74:77], v9 offset:112
	s_and_b32 vcc_lo, exec_lo, s4
	s_waitcnt lgkmcnt(0)
	s_barrier
	buffer_gl0_inv
	v_dual_mul_f32 v78, v19, v15 :: v_dual_mul_f32 v79, v21, v17
	v_mul_f32_e32 v15, v18, v15
	v_dual_mul_f32 v17, v20, v17 :: v_dual_mul_f32 v80, v23, v27
	v_mul_f32_e32 v27, v22, v27
	v_dual_mul_f32 v81, v25, v29 :: v_dual_mul_f32 v82, v35, v31
	v_fma_f32 v18, v18, v14, -v78
	v_mul_f32_e32 v31, v34, v31
	s_delay_alu instid0(VALU_DEP_4) | instskip(NEXT) | instid1(VALU_DEP_4)
	v_fmac_f32_e32 v27, v23, v26
	v_fma_f32 v23, v24, v28, -v81
	v_fmac_f32_e32 v15, v19, v14
	v_fma_f32 v14, v20, v16, -v79
	v_add_f32_e32 v12, v12, v18
	v_dual_mul_f32 v29, v24, v29 :: v_dual_mul_f32 v84, v39, v43
	v_mul_f32_e32 v43, v38, v43
	v_fma_f32 v22, v22, v26, -v80
	s_delay_alu instid0(VALU_DEP_4) | instskip(SKIP_2) | instid1(VALU_DEP_3)
	v_dual_add_f32 v12, v12, v14 :: v_dual_fmac_f32 v17, v21, v16
	v_dual_mul_f32 v83, v37, v33 :: v_dual_mul_f32 v86, v55, v47
	v_dual_mul_f32 v85, v41, v45 :: v_dual_mul_f32 v18, v74, v67
	v_add_f32_e32 v12, v12, v22
	v_fma_f32 v22, v34, v30, -v82
	v_mul_f32_e32 v16, v57, v49
	v_mul_f32_e32 v19, v56, v49
	v_dual_mul_f32 v33, v36, v33 :: v_dual_mul_f32 v20, v59, v51
	v_add_f32_e32 v12, v12, v23
	v_mul_f32_e32 v21, v58, v51
	v_fma_f32 v23, v36, v32, -v83
	v_mul_f32_e32 v51, v60, v53
	v_fma_f32 v16, v56, v48, -v16
	v_dual_add_f32 v12, v12, v22 :: v_dual_mul_f32 v49, v61, v53
	v_fma_f32 v22, v38, v42, -v84
	v_fma_f32 v20, v58, v50, -v20
	v_mul_f32_e32 v24, v73, v65
	s_delay_alu instid0(VALU_DEP_4) | instskip(SKIP_3) | instid1(VALU_DEP_4)
	v_add_f32_e32 v12, v12, v23
	v_mul_f32_e32 v53, v71, v63
	v_fma_f32 v23, v40, v44, -v85
	v_dual_mul_f32 v47, v54, v47 :: v_dual_mul_f32 v14, v77, v69
	v_add_f32_e32 v12, v12, v22
	v_fma_f32 v22, v54, v46, -v86
	v_fmac_f32_e32 v33, v37, v32
	v_dual_mul_f32 v45, v40, v45 :: v_dual_fmac_f32 v18, v75, v66
	s_delay_alu instid0(VALU_DEP_4) | instskip(SKIP_3) | instid1(VALU_DEP_4)
	v_add_f32_e32 v12, v12, v23
	v_mul_f32_e32 v63, v70, v63
	v_fma_f32 v14, v76, v68, -v14
	v_fmac_f32_e32 v43, v39, v42
	v_dual_fmac_f32 v45, v41, v44 :: v_dual_add_f32 v12, v12, v22
	v_add_f32_e32 v13, v13, v15
	v_fmac_f32_e32 v47, v55, v46
	v_fmac_f32_e32 v19, v57, v48
	s_delay_alu instid0(VALU_DEP_4) | instskip(SKIP_3) | instid1(VALU_DEP_4)
	v_dual_fmac_f32 v21, v59, v50 :: v_dual_add_f32 v12, v12, v16
	v_mul_f32_e32 v15, v75, v67
	v_fma_f32 v16, v60, v52, -v49
	v_fmac_f32_e32 v51, v61, v52
	v_dual_fmac_f32 v63, v71, v62 :: v_dual_add_f32 v12, v12, v20
	v_add_f32_e32 v13, v13, v17
	v_fma_f32 v15, v74, v66, -v15
	v_fmac_f32_e32 v31, v35, v30
	v_mul_f32_e32 v17, v76, v69
	v_add_f32_e32 v12, v12, v16
	v_fmac_f32_e32 v29, v25, v28
	v_fma_f32 v16, v72, v64, -v24
	v_add_f32_e32 v13, v13, v27
	v_mul_f32_e32 v25, v72, v65
	v_fmac_f32_e32 v17, v77, v68
	s_delay_alu instid0(VALU_DEP_3) | instskip(NEXT) | instid1(VALU_DEP_3)
	v_add_f32_e32 v13, v13, v29
	v_fmac_f32_e32 v25, v73, v64
	s_delay_alu instid0(VALU_DEP_2) | instskip(NEXT) | instid1(VALU_DEP_1)
	v_add_f32_e32 v13, v13, v31
	v_add_f32_e32 v13, v13, v33
	s_delay_alu instid0(VALU_DEP_1) | instskip(NEXT) | instid1(VALU_DEP_1)
	v_add_f32_e32 v13, v13, v43
	v_add_f32_e32 v13, v13, v45
	s_delay_alu instid0(VALU_DEP_1) | instskip(NEXT) | instid1(VALU_DEP_1)
	v_add_f32_e32 v13, v13, v47
	v_add_f32_e32 v13, v13, v19
	v_fma_f32 v19, v70, v62, -v53
	s_delay_alu instid0(VALU_DEP_1) | instskip(NEXT) | instid1(VALU_DEP_1)
	v_dual_add_f32 v13, v13, v21 :: v_dual_add_f32 v12, v12, v19
	v_dual_add_f32 v13, v13, v51 :: v_dual_add_f32 v12, v12, v16
	s_delay_alu instid0(VALU_DEP_1) | instskip(NEXT) | instid1(VALU_DEP_1)
	v_add_f32_e32 v13, v13, v63
	v_dual_add_f32 v12, v12, v15 :: v_dual_add_f32 v13, v13, v25
	s_delay_alu instid0(VALU_DEP_1) | instskip(NEXT) | instid1(VALU_DEP_2)
	v_add_f32_e32 v12, v12, v14
	v_add_f32_e32 v13, v13, v18
	s_delay_alu instid0(VALU_DEP_1)
	v_add_f32_e32 v13, v13, v17
	s_cbranch_vccnz .LBB1116_2
.LBB1116_3:
	s_mov_b32 s2, exec_lo
	v_cmpx_le_i32_e64 v6, v0
	s_cbranch_execz .LBB1116_5
; %bb.4:
	s_clause 0x1
	s_load_b128 s[4:7], s[0:1], 0x50
	s_load_b64 s[0:1], s[0:1], 0x60
	v_lshlrev_b64 v[0:1], 3, v[0:1]
	v_mul_f32_e32 v8, s19, v13
	v_mul_f32_e32 v4, s18, v13
	s_delay_alu instid0(VALU_DEP_1)
	v_fmac_f32_e32 v4, s19, v12
	s_waitcnt lgkmcnt(0)
	v_mul_lo_u32 v5, v6, s7
	v_mul_lo_u32 v7, v7, s6
	v_mad_u64_u32 v[2:3], null, v6, s6, 0
	s_mul_i32 s1, s15, s1
	s_mul_hi_u32 s2, s15, s0
	s_mul_i32 s0, s15, s0
	s_add_i32 s1, s2, s1
	s_delay_alu instid0(SALU_CYCLE_1) | instskip(NEXT) | instid1(VALU_DEP_1)
	s_lshl_b64 s[0:1], s[0:1], 3
	v_add3_u32 v3, v3, v5, v7
	s_add_u32 s0, s4, s0
	s_addc_u32 s1, s5, s1
	s_delay_alu instid0(VALU_DEP_1) | instskip(SKIP_1) | instid1(VALU_DEP_2)
	v_lshlrev_b64 v[5:6], 3, v[2:3]
	v_fma_f32 v3, v12, s18, -v8
	v_add_co_u32 v2, vcc_lo, s0, v5
	s_delay_alu instid0(VALU_DEP_3) | instskip(NEXT) | instid1(VALU_DEP_2)
	v_add_co_ci_u32_e32 v5, vcc_lo, s1, v6, vcc_lo
	v_add_co_u32 v0, vcc_lo, v2, v0
	s_delay_alu instid0(VALU_DEP_2)
	v_add_co_ci_u32_e32 v1, vcc_lo, v5, v1, vcc_lo
	global_store_b64 v[0:1], v[3:4], off
.LBB1116_5:
	s_nop 0
	s_sendmsg sendmsg(MSG_DEALLOC_VGPRS)
	s_endpgm
	.section	.rodata,"a",@progbits
	.p2align	6, 0x0
	.amdhsa_kernel _ZL41rocblas_syrkx_herkx_small_restrict_kernelIl19rocblas_complex_numIfELi16ELb1ELb0ELc84ELc76EKS1_S1_EviT_T0_PT6_S3_lS6_S3_lS4_PT7_S3_li
		.amdhsa_group_segment_fixed_size 4096
		.amdhsa_private_segment_fixed_size 0
		.amdhsa_kernarg_size 108
		.amdhsa_user_sgpr_count 13
		.amdhsa_user_sgpr_dispatch_ptr 0
		.amdhsa_user_sgpr_queue_ptr 0
		.amdhsa_user_sgpr_kernarg_segment_ptr 1
		.amdhsa_user_sgpr_dispatch_id 0
		.amdhsa_user_sgpr_private_segment_size 0
		.amdhsa_wavefront_size32 1
		.amdhsa_uses_dynamic_stack 0
		.amdhsa_enable_private_segment 0
		.amdhsa_system_sgpr_workgroup_id_x 1
		.amdhsa_system_sgpr_workgroup_id_y 1
		.amdhsa_system_sgpr_workgroup_id_z 1
		.amdhsa_system_sgpr_workgroup_info 0
		.amdhsa_system_vgpr_workitem_id 1
		.amdhsa_next_free_vgpr 87
		.amdhsa_next_free_sgpr 32
		.amdhsa_reserve_vcc 1
		.amdhsa_float_round_mode_32 0
		.amdhsa_float_round_mode_16_64 0
		.amdhsa_float_denorm_mode_32 3
		.amdhsa_float_denorm_mode_16_64 3
		.amdhsa_dx10_clamp 1
		.amdhsa_ieee_mode 1
		.amdhsa_fp16_overflow 0
		.amdhsa_workgroup_processor_mode 1
		.amdhsa_memory_ordered 1
		.amdhsa_forward_progress 0
		.amdhsa_shared_vgpr_count 0
		.amdhsa_exception_fp_ieee_invalid_op 0
		.amdhsa_exception_fp_denorm_src 0
		.amdhsa_exception_fp_ieee_div_zero 0
		.amdhsa_exception_fp_ieee_overflow 0
		.amdhsa_exception_fp_ieee_underflow 0
		.amdhsa_exception_fp_ieee_inexact 0
		.amdhsa_exception_int_div_zero 0
	.end_amdhsa_kernel
	.section	.text._ZL41rocblas_syrkx_herkx_small_restrict_kernelIl19rocblas_complex_numIfELi16ELb1ELb0ELc84ELc76EKS1_S1_EviT_T0_PT6_S3_lS6_S3_lS4_PT7_S3_li,"axG",@progbits,_ZL41rocblas_syrkx_herkx_small_restrict_kernelIl19rocblas_complex_numIfELi16ELb1ELb0ELc84ELc76EKS1_S1_EviT_T0_PT6_S3_lS6_S3_lS4_PT7_S3_li,comdat
.Lfunc_end1116:
	.size	_ZL41rocblas_syrkx_herkx_small_restrict_kernelIl19rocblas_complex_numIfELi16ELb1ELb0ELc84ELc76EKS1_S1_EviT_T0_PT6_S3_lS6_S3_lS4_PT7_S3_li, .Lfunc_end1116-_ZL41rocblas_syrkx_herkx_small_restrict_kernelIl19rocblas_complex_numIfELi16ELb1ELb0ELc84ELc76EKS1_S1_EviT_T0_PT6_S3_lS6_S3_lS4_PT7_S3_li
                                        ; -- End function
	.section	.AMDGPU.csdata,"",@progbits
; Kernel info:
; codeLenInByte = 1280
; NumSgprs: 34
; NumVgprs: 87
; ScratchSize: 0
; MemoryBound: 0
; FloatMode: 240
; IeeeMode: 1
; LDSByteSize: 4096 bytes/workgroup (compile time only)
; SGPRBlocks: 4
; VGPRBlocks: 10
; NumSGPRsForWavesPerEU: 34
; NumVGPRsForWavesPerEU: 87
; Occupancy: 16
; WaveLimiterHint : 0
; COMPUTE_PGM_RSRC2:SCRATCH_EN: 0
; COMPUTE_PGM_RSRC2:USER_SGPR: 13
; COMPUTE_PGM_RSRC2:TRAP_HANDLER: 0
; COMPUTE_PGM_RSRC2:TGID_X_EN: 1
; COMPUTE_PGM_RSRC2:TGID_Y_EN: 1
; COMPUTE_PGM_RSRC2:TGID_Z_EN: 1
; COMPUTE_PGM_RSRC2:TIDIG_COMP_CNT: 1
	.section	.text._ZL41rocblas_syrkx_herkx_small_restrict_kernelIl19rocblas_complex_numIfELi16ELb1ELb0ELc67ELc76EKS1_S1_EviT_T0_PT6_S3_lS6_S3_lS4_PT7_S3_li,"axG",@progbits,_ZL41rocblas_syrkx_herkx_small_restrict_kernelIl19rocblas_complex_numIfELi16ELb1ELb0ELc67ELc76EKS1_S1_EviT_T0_PT6_S3_lS6_S3_lS4_PT7_S3_li,comdat
	.globl	_ZL41rocblas_syrkx_herkx_small_restrict_kernelIl19rocblas_complex_numIfELi16ELb1ELb0ELc67ELc76EKS1_S1_EviT_T0_PT6_S3_lS6_S3_lS4_PT7_S3_li ; -- Begin function _ZL41rocblas_syrkx_herkx_small_restrict_kernelIl19rocblas_complex_numIfELi16ELb1ELb0ELc67ELc76EKS1_S1_EviT_T0_PT6_S3_lS6_S3_lS4_PT7_S3_li
	.p2align	8
	.type	_ZL41rocblas_syrkx_herkx_small_restrict_kernelIl19rocblas_complex_numIfELi16ELb1ELb0ELc67ELc76EKS1_S1_EviT_T0_PT6_S3_lS6_S3_lS4_PT7_S3_li,@function
_ZL41rocblas_syrkx_herkx_small_restrict_kernelIl19rocblas_complex_numIfELi16ELb1ELb0ELc67ELc76EKS1_S1_EviT_T0_PT6_S3_lS6_S3_lS4_PT7_S3_li: ; @_ZL41rocblas_syrkx_herkx_small_restrict_kernelIl19rocblas_complex_numIfELi16ELb1ELb0ELc67ELc76EKS1_S1_EviT_T0_PT6_S3_lS6_S3_lS4_PT7_S3_li
; %bb.0:
	s_load_b512 s[16:31], s[0:1], 0x8
	v_dual_mov_b32 v12, 0 :: v_dual_and_b32 v3, 0x3ff, v0
	v_bfe_u32 v2, v0, 10, 10
	v_mov_b32_e32 v13, 0
	s_delay_alu instid0(VALU_DEP_3) | instskip(NEXT) | instid1(VALU_DEP_3)
	v_lshl_add_u32 v0, s13, 4, v3
	v_lshl_add_u32 v6, s14, 4, v2
	s_delay_alu instid0(VALU_DEP_2) | instskip(NEXT) | instid1(VALU_DEP_2)
	v_ashrrev_i32_e32 v1, 31, v0
	v_ashrrev_i32_e32 v7, 31, v6
	s_waitcnt lgkmcnt(0)
	v_cmp_lt_i64_e64 s2, s[16:17], 1
	s_delay_alu instid0(VALU_DEP_1)
	s_and_b32 vcc_lo, exec_lo, s2
	s_cbranch_vccnz .LBB1117_3
; %bb.1:
	v_mul_lo_u32 v15, s23, v0
	v_mul_lo_u32 v16, s22, v1
	v_mad_u64_u32 v[12:13], null, s22, v0, 0
	v_mul_lo_u32 v10, s29, v6
	v_mul_lo_u32 v11, s28, v7
	v_mad_u64_u32 v[4:5], null, s28, v6, 0
	s_mul_i32 s4, s25, s15
	s_mul_hi_u32 s5, s24, s15
	s_delay_alu instid0(VALU_DEP_4) | instskip(SKIP_3) | instid1(VALU_DEP_3)
	v_add3_u32 v13, v13, v16, v15
	s_add_i32 s5, s5, s4
	s_mul_i32 s4, s24, s15
	v_lshlrev_b32_e32 v8, 3, v3
	v_add3_u32 v5, v5, v11, v10
	v_lshlrev_b64 v[12:13], 3, v[12:13]
	s_mul_i32 s2, s31, s15
	s_mul_hi_u32 s3, s30, s15
	s_lshl_b64 s[4:5], s[4:5], 3
	v_lshlrev_b64 v[3:4], 3, v[4:5]
	s_add_i32 s3, s3, s2
	s_mul_i32 s2, s30, s15
	v_add_co_u32 v5, vcc_lo, v12, s4
	v_lshlrev_b32_e32 v14, 7, v2
	s_lshl_b64 s[2:3], s[2:3], 3
	v_lshlrev_b32_e32 v2, 3, v2
	v_add_co_ci_u32_e32 v12, vcc_lo, s5, v13, vcc_lo
	v_mov_b32_e32 v13, 0
	v_add_co_u32 v3, vcc_lo, v3, s2
	v_add_co_ci_u32_e32 v4, vcc_lo, s3, v4, vcc_lo
	v_add_co_u32 v2, vcc_lo, v5, v2
	v_add_co_ci_u32_e32 v5, vcc_lo, 0, v12, vcc_lo
	s_delay_alu instid0(VALU_DEP_4) | instskip(NEXT) | instid1(VALU_DEP_4)
	v_add_co_u32 v3, vcc_lo, v3, v8
	v_add_co_ci_u32_e32 v4, vcc_lo, 0, v4, vcc_lo
	s_delay_alu instid0(VALU_DEP_4) | instskip(NEXT) | instid1(VALU_DEP_4)
	v_add_co_u32 v12, vcc_lo, v2, s20
	v_add_co_ci_u32_e32 v5, vcc_lo, s21, v5, vcc_lo
	v_add_nc_u32_e32 v9, 0x800, v14
	v_add_co_u32 v2, vcc_lo, s26, v3
	v_add_co_ci_u32_e32 v3, vcc_lo, s27, v4, vcc_lo
	v_add_co_u32 v4, vcc_lo, v12, 4
	v_mov_b32_e32 v12, 0
	v_add_nc_u32_e32 v10, v8, v14
	v_add_nc_u32_e32 v11, v9, v8
	v_add_co_ci_u32_e32 v5, vcc_lo, 0, v5, vcc_lo
	s_mov_b64 s[2:3], 0
.LBB1117_2:                             ; =>This Inner Loop Header: Depth=1
	global_load_b64 v[14:15], v[4:5], off offset:-4
	global_load_b64 v[16:17], v[2:3], off
	s_add_u32 s2, s2, 16
	v_add_co_u32 v2, vcc_lo, 0x80, v2
	s_addc_u32 s3, s3, 0
	v_add_co_ci_u32_e32 v3, vcc_lo, 0, v3, vcc_lo
	v_cmp_lt_i64_e64 s4, s[2:3], s[16:17]
	v_add_co_u32 v4, vcc_lo, 0x80, v4
	v_add_co_ci_u32_e32 v5, vcc_lo, 0, v5, vcc_lo
	s_waitcnt vmcnt(1)
	ds_store_b64 v10, v[14:15]
	s_waitcnt vmcnt(0)
	ds_store_b64 v11, v[16:17]
	s_waitcnt lgkmcnt(0)
	s_barrier
	buffer_gl0_inv
	ds_load_2addr_b64 v[14:17], v8 offset1:16
	ds_load_b128 v[18:21], v9
	ds_load_b128 v[22:25], v9 offset:16
	ds_load_2addr_b64 v[26:29], v8 offset0:32 offset1:48
	ds_load_2addr_b64 v[30:33], v8 offset0:64 offset1:80
	ds_load_b128 v[34:37], v9 offset:32
	ds_load_b128 v[38:41], v9 offset:48
	ds_load_2addr_b64 v[42:45], v8 offset0:96 offset1:112
	ds_load_2addr_b64 v[46:49], v8 offset0:128 offset1:144
	;; [unrolled: 1-line block ×3, first 2 shown]
	ds_load_b128 v[54:57], v9 offset:64
	ds_load_b128 v[58:61], v9 offset:80
	ds_load_2addr_b64 v[62:65], v8 offset0:192 offset1:208
	ds_load_2addr_b64 v[66:69], v8 offset0:224 offset1:240
	ds_load_b128 v[70:73], v9 offset:96
	ds_load_b128 v[74:77], v9 offset:112
	s_and_b32 vcc_lo, exec_lo, s4
	s_waitcnt lgkmcnt(0)
	s_barrier
	buffer_gl0_inv
	v_dual_mul_f32 v78, v19, v15 :: v_dual_mul_f32 v79, v21, v17
	v_mul_f32_e32 v15, v18, v15
	v_dual_mul_f32 v17, v20, v17 :: v_dual_mul_f32 v80, v23, v27
	v_mul_f32_e32 v27, v22, v27
	v_dual_mul_f32 v81, v25, v29 :: v_dual_mul_f32 v82, v35, v31
	v_fma_f32 v18, v18, v14, -v78
	v_mul_f32_e32 v31, v34, v31
	s_delay_alu instid0(VALU_DEP_4) | instskip(NEXT) | instid1(VALU_DEP_4)
	v_fmac_f32_e32 v27, v23, v26
	v_fma_f32 v23, v24, v28, -v81
	v_fmac_f32_e32 v15, v19, v14
	v_fma_f32 v14, v20, v16, -v79
	v_add_f32_e32 v12, v12, v18
	v_dual_mul_f32 v29, v24, v29 :: v_dual_mul_f32 v84, v39, v43
	v_mul_f32_e32 v43, v38, v43
	v_fma_f32 v22, v22, v26, -v80
	s_delay_alu instid0(VALU_DEP_4) | instskip(SKIP_2) | instid1(VALU_DEP_3)
	v_dual_add_f32 v12, v12, v14 :: v_dual_fmac_f32 v17, v21, v16
	v_dual_mul_f32 v83, v37, v33 :: v_dual_mul_f32 v86, v55, v47
	v_dual_mul_f32 v85, v41, v45 :: v_dual_mul_f32 v18, v74, v67
	v_add_f32_e32 v12, v12, v22
	v_fma_f32 v22, v34, v30, -v82
	v_mul_f32_e32 v16, v57, v49
	v_mul_f32_e32 v19, v56, v49
	v_dual_mul_f32 v33, v36, v33 :: v_dual_mul_f32 v20, v59, v51
	v_add_f32_e32 v12, v12, v23
	v_mul_f32_e32 v21, v58, v51
	v_fma_f32 v23, v36, v32, -v83
	v_mul_f32_e32 v51, v60, v53
	v_fma_f32 v16, v56, v48, -v16
	v_dual_add_f32 v12, v12, v22 :: v_dual_mul_f32 v49, v61, v53
	v_fma_f32 v22, v38, v42, -v84
	v_fma_f32 v20, v58, v50, -v20
	v_mul_f32_e32 v24, v73, v65
	s_delay_alu instid0(VALU_DEP_4) | instskip(SKIP_3) | instid1(VALU_DEP_4)
	v_add_f32_e32 v12, v12, v23
	v_mul_f32_e32 v53, v71, v63
	v_fma_f32 v23, v40, v44, -v85
	v_dual_mul_f32 v47, v54, v47 :: v_dual_mul_f32 v14, v77, v69
	v_add_f32_e32 v12, v12, v22
	v_fma_f32 v22, v54, v46, -v86
	v_fmac_f32_e32 v33, v37, v32
	v_dual_mul_f32 v45, v40, v45 :: v_dual_fmac_f32 v18, v75, v66
	s_delay_alu instid0(VALU_DEP_4) | instskip(SKIP_3) | instid1(VALU_DEP_4)
	v_add_f32_e32 v12, v12, v23
	v_mul_f32_e32 v63, v70, v63
	v_fma_f32 v14, v76, v68, -v14
	v_fmac_f32_e32 v43, v39, v42
	v_dual_fmac_f32 v45, v41, v44 :: v_dual_add_f32 v12, v12, v22
	v_add_f32_e32 v13, v13, v15
	v_fmac_f32_e32 v47, v55, v46
	v_fmac_f32_e32 v19, v57, v48
	s_delay_alu instid0(VALU_DEP_4) | instskip(SKIP_3) | instid1(VALU_DEP_4)
	v_dual_fmac_f32 v21, v59, v50 :: v_dual_add_f32 v12, v12, v16
	v_mul_f32_e32 v15, v75, v67
	v_fma_f32 v16, v60, v52, -v49
	v_fmac_f32_e32 v51, v61, v52
	v_dual_fmac_f32 v63, v71, v62 :: v_dual_add_f32 v12, v12, v20
	v_add_f32_e32 v13, v13, v17
	v_fma_f32 v15, v74, v66, -v15
	v_fmac_f32_e32 v31, v35, v30
	v_mul_f32_e32 v17, v76, v69
	v_add_f32_e32 v12, v12, v16
	v_fmac_f32_e32 v29, v25, v28
	v_fma_f32 v16, v72, v64, -v24
	v_add_f32_e32 v13, v13, v27
	v_mul_f32_e32 v25, v72, v65
	v_fmac_f32_e32 v17, v77, v68
	s_delay_alu instid0(VALU_DEP_3) | instskip(NEXT) | instid1(VALU_DEP_3)
	v_add_f32_e32 v13, v13, v29
	v_fmac_f32_e32 v25, v73, v64
	s_delay_alu instid0(VALU_DEP_2) | instskip(NEXT) | instid1(VALU_DEP_1)
	v_add_f32_e32 v13, v13, v31
	v_add_f32_e32 v13, v13, v33
	s_delay_alu instid0(VALU_DEP_1) | instskip(NEXT) | instid1(VALU_DEP_1)
	v_add_f32_e32 v13, v13, v43
	v_add_f32_e32 v13, v13, v45
	s_delay_alu instid0(VALU_DEP_1) | instskip(NEXT) | instid1(VALU_DEP_1)
	v_add_f32_e32 v13, v13, v47
	v_add_f32_e32 v13, v13, v19
	v_fma_f32 v19, v70, v62, -v53
	s_delay_alu instid0(VALU_DEP_1) | instskip(NEXT) | instid1(VALU_DEP_1)
	v_dual_add_f32 v13, v13, v21 :: v_dual_add_f32 v12, v12, v19
	v_dual_add_f32 v13, v13, v51 :: v_dual_add_f32 v12, v12, v16
	s_delay_alu instid0(VALU_DEP_1) | instskip(NEXT) | instid1(VALU_DEP_1)
	v_add_f32_e32 v13, v13, v63
	v_dual_add_f32 v12, v12, v15 :: v_dual_add_f32 v13, v13, v25
	s_delay_alu instid0(VALU_DEP_1) | instskip(NEXT) | instid1(VALU_DEP_2)
	v_add_f32_e32 v12, v12, v14
	v_add_f32_e32 v13, v13, v18
	s_delay_alu instid0(VALU_DEP_1)
	v_add_f32_e32 v13, v13, v17
	s_cbranch_vccnz .LBB1117_2
.LBB1117_3:
	s_mov_b32 s2, exec_lo
	v_cmpx_le_i32_e64 v6, v0
	s_cbranch_execz .LBB1117_5
; %bb.4:
	s_clause 0x1
	s_load_b128 s[4:7], s[0:1], 0x50
	s_load_b64 s[0:1], s[0:1], 0x60
	v_lshlrev_b64 v[0:1], 3, v[0:1]
	v_mul_f32_e32 v8, s19, v13
	v_mul_f32_e32 v4, s18, v13
	s_delay_alu instid0(VALU_DEP_1)
	v_fmac_f32_e32 v4, s19, v12
	s_waitcnt lgkmcnt(0)
	v_mul_lo_u32 v5, v6, s7
	v_mul_lo_u32 v7, v7, s6
	v_mad_u64_u32 v[2:3], null, v6, s6, 0
	s_mul_i32 s1, s15, s1
	s_mul_hi_u32 s2, s15, s0
	s_mul_i32 s0, s15, s0
	s_add_i32 s1, s2, s1
	s_delay_alu instid0(SALU_CYCLE_1) | instskip(NEXT) | instid1(VALU_DEP_1)
	s_lshl_b64 s[0:1], s[0:1], 3
	v_add3_u32 v3, v3, v5, v7
	s_add_u32 s0, s4, s0
	s_addc_u32 s1, s5, s1
	s_delay_alu instid0(VALU_DEP_1) | instskip(SKIP_1) | instid1(VALU_DEP_2)
	v_lshlrev_b64 v[5:6], 3, v[2:3]
	v_fma_f32 v3, v12, s18, -v8
	v_add_co_u32 v2, vcc_lo, s0, v5
	s_delay_alu instid0(VALU_DEP_3) | instskip(NEXT) | instid1(VALU_DEP_2)
	v_add_co_ci_u32_e32 v5, vcc_lo, s1, v6, vcc_lo
	v_add_co_u32 v0, vcc_lo, v2, v0
	s_delay_alu instid0(VALU_DEP_2)
	v_add_co_ci_u32_e32 v1, vcc_lo, v5, v1, vcc_lo
	global_store_b64 v[0:1], v[3:4], off
.LBB1117_5:
	s_nop 0
	s_sendmsg sendmsg(MSG_DEALLOC_VGPRS)
	s_endpgm
	.section	.rodata,"a",@progbits
	.p2align	6, 0x0
	.amdhsa_kernel _ZL41rocblas_syrkx_herkx_small_restrict_kernelIl19rocblas_complex_numIfELi16ELb1ELb0ELc67ELc76EKS1_S1_EviT_T0_PT6_S3_lS6_S3_lS4_PT7_S3_li
		.amdhsa_group_segment_fixed_size 4096
		.amdhsa_private_segment_fixed_size 0
		.amdhsa_kernarg_size 108
		.amdhsa_user_sgpr_count 13
		.amdhsa_user_sgpr_dispatch_ptr 0
		.amdhsa_user_sgpr_queue_ptr 0
		.amdhsa_user_sgpr_kernarg_segment_ptr 1
		.amdhsa_user_sgpr_dispatch_id 0
		.amdhsa_user_sgpr_private_segment_size 0
		.amdhsa_wavefront_size32 1
		.amdhsa_uses_dynamic_stack 0
		.amdhsa_enable_private_segment 0
		.amdhsa_system_sgpr_workgroup_id_x 1
		.amdhsa_system_sgpr_workgroup_id_y 1
		.amdhsa_system_sgpr_workgroup_id_z 1
		.amdhsa_system_sgpr_workgroup_info 0
		.amdhsa_system_vgpr_workitem_id 1
		.amdhsa_next_free_vgpr 87
		.amdhsa_next_free_sgpr 32
		.amdhsa_reserve_vcc 1
		.amdhsa_float_round_mode_32 0
		.amdhsa_float_round_mode_16_64 0
		.amdhsa_float_denorm_mode_32 3
		.amdhsa_float_denorm_mode_16_64 3
		.amdhsa_dx10_clamp 1
		.amdhsa_ieee_mode 1
		.amdhsa_fp16_overflow 0
		.amdhsa_workgroup_processor_mode 1
		.amdhsa_memory_ordered 1
		.amdhsa_forward_progress 0
		.amdhsa_shared_vgpr_count 0
		.amdhsa_exception_fp_ieee_invalid_op 0
		.amdhsa_exception_fp_denorm_src 0
		.amdhsa_exception_fp_ieee_div_zero 0
		.amdhsa_exception_fp_ieee_overflow 0
		.amdhsa_exception_fp_ieee_underflow 0
		.amdhsa_exception_fp_ieee_inexact 0
		.amdhsa_exception_int_div_zero 0
	.end_amdhsa_kernel
	.section	.text._ZL41rocblas_syrkx_herkx_small_restrict_kernelIl19rocblas_complex_numIfELi16ELb1ELb0ELc67ELc76EKS1_S1_EviT_T0_PT6_S3_lS6_S3_lS4_PT7_S3_li,"axG",@progbits,_ZL41rocblas_syrkx_herkx_small_restrict_kernelIl19rocblas_complex_numIfELi16ELb1ELb0ELc67ELc76EKS1_S1_EviT_T0_PT6_S3_lS6_S3_lS4_PT7_S3_li,comdat
.Lfunc_end1117:
	.size	_ZL41rocblas_syrkx_herkx_small_restrict_kernelIl19rocblas_complex_numIfELi16ELb1ELb0ELc67ELc76EKS1_S1_EviT_T0_PT6_S3_lS6_S3_lS4_PT7_S3_li, .Lfunc_end1117-_ZL41rocblas_syrkx_herkx_small_restrict_kernelIl19rocblas_complex_numIfELi16ELb1ELb0ELc67ELc76EKS1_S1_EviT_T0_PT6_S3_lS6_S3_lS4_PT7_S3_li
                                        ; -- End function
	.section	.AMDGPU.csdata,"",@progbits
; Kernel info:
; codeLenInByte = 1300
; NumSgprs: 34
; NumVgprs: 87
; ScratchSize: 0
; MemoryBound: 0
; FloatMode: 240
; IeeeMode: 1
; LDSByteSize: 4096 bytes/workgroup (compile time only)
; SGPRBlocks: 4
; VGPRBlocks: 10
; NumSGPRsForWavesPerEU: 34
; NumVGPRsForWavesPerEU: 87
; Occupancy: 16
; WaveLimiterHint : 0
; COMPUTE_PGM_RSRC2:SCRATCH_EN: 0
; COMPUTE_PGM_RSRC2:USER_SGPR: 13
; COMPUTE_PGM_RSRC2:TRAP_HANDLER: 0
; COMPUTE_PGM_RSRC2:TGID_X_EN: 1
; COMPUTE_PGM_RSRC2:TGID_Y_EN: 1
; COMPUTE_PGM_RSRC2:TGID_Z_EN: 1
; COMPUTE_PGM_RSRC2:TIDIG_COMP_CNT: 1
	.section	.text._ZL41rocblas_syrkx_herkx_small_restrict_kernelIl19rocblas_complex_numIfELi16ELb1ELb0ELc78ELc76EKS1_S1_EviT_T0_PT6_S3_lS6_S3_lS4_PT7_S3_li,"axG",@progbits,_ZL41rocblas_syrkx_herkx_small_restrict_kernelIl19rocblas_complex_numIfELi16ELb1ELb0ELc78ELc76EKS1_S1_EviT_T0_PT6_S3_lS6_S3_lS4_PT7_S3_li,comdat
	.globl	_ZL41rocblas_syrkx_herkx_small_restrict_kernelIl19rocblas_complex_numIfELi16ELb1ELb0ELc78ELc76EKS1_S1_EviT_T0_PT6_S3_lS6_S3_lS4_PT7_S3_li ; -- Begin function _ZL41rocblas_syrkx_herkx_small_restrict_kernelIl19rocblas_complex_numIfELi16ELb1ELb0ELc78ELc76EKS1_S1_EviT_T0_PT6_S3_lS6_S3_lS4_PT7_S3_li
	.p2align	8
	.type	_ZL41rocblas_syrkx_herkx_small_restrict_kernelIl19rocblas_complex_numIfELi16ELb1ELb0ELc78ELc76EKS1_S1_EviT_T0_PT6_S3_lS6_S3_lS4_PT7_S3_li,@function
_ZL41rocblas_syrkx_herkx_small_restrict_kernelIl19rocblas_complex_numIfELi16ELb1ELb0ELc78ELc76EKS1_S1_EviT_T0_PT6_S3_lS6_S3_lS4_PT7_S3_li: ; @_ZL41rocblas_syrkx_herkx_small_restrict_kernelIl19rocblas_complex_numIfELi16ELb1ELb0ELc78ELc76EKS1_S1_EviT_T0_PT6_S3_lS6_S3_lS4_PT7_S3_li
; %bb.0:
	s_load_b512 s[16:31], s[0:1], 0x8
	v_dual_mov_b32 v12, 0 :: v_dual_and_b32 v5, 0x3ff, v0
	v_bfe_u32 v4, v0, 10, 10
	v_mov_b32_e32 v13, 0
	s_delay_alu instid0(VALU_DEP_3) | instskip(NEXT) | instid1(VALU_DEP_3)
	v_lshl_add_u32 v0, s13, 4, v5
	v_lshl_add_u32 v2, s14, 4, v4
	s_delay_alu instid0(VALU_DEP_2) | instskip(NEXT) | instid1(VALU_DEP_2)
	v_ashrrev_i32_e32 v1, 31, v0
	v_ashrrev_i32_e32 v3, 31, v2
	s_waitcnt lgkmcnt(0)
	v_cmp_lt_i64_e64 s2, s[16:17], 1
	s_delay_alu instid0(VALU_DEP_1)
	s_and_b32 vcc_lo, exec_lo, s2
	s_cbranch_vccnz .LBB1118_3
; %bb.1:
	v_mad_u64_u32 v[6:7], null, s28, v5, 0
	v_mad_u64_u32 v[12:13], null, s22, v4, 0
	v_lshlrev_b32_e32 v8, 3, v5
	v_lshlrev_b32_e32 v11, 7, v4
	s_mul_i32 s3, s31, s15
	s_mul_hi_u32 s5, s30, s15
	s_mul_i32 s2, s30, s15
	s_delay_alu instid0(VALU_DEP_4) | instskip(NEXT) | instid1(VALU_DEP_4)
	v_mad_u64_u32 v[9:10], null, s29, v5, v[7:8]
	v_mov_b32_e32 v5, v13
	s_add_i32 s3, s5, s3
	v_lshlrev_b64 v[14:15], 3, v[2:3]
	s_lshl_b64 s[2:3], s[2:3], 3
	s_mul_i32 s6, s25, s15
	v_mad_u64_u32 v[16:17], null, s23, v4, v[5:6]
	s_delay_alu instid0(VALU_DEP_4)
	v_mov_b32_e32 v7, v9
	s_mul_hi_u32 s7, s24, s15
	s_mul_i32 s4, s24, s15
	s_add_i32 s5, s7, s6
	s_mov_b64 s[6:7], 0
	v_lshlrev_b64 v[4:5], 3, v[6:7]
	s_delay_alu instid0(VALU_DEP_3) | instskip(SKIP_1) | instid1(VALU_DEP_2)
	v_mov_b32_e32 v13, v16
	s_lshl_b64 s[4:5], s[4:5], 3
	v_add_co_u32 v6, vcc_lo, s2, v4
	s_delay_alu instid0(VALU_DEP_3) | instskip(NEXT) | instid1(VALU_DEP_3)
	v_add_co_ci_u32_e32 v7, vcc_lo, s3, v5, vcc_lo
	v_lshlrev_b64 v[4:5], 3, v[12:13]
	s_delay_alu instid0(VALU_DEP_3) | instskip(NEXT) | instid1(VALU_DEP_3)
	v_add_co_u32 v6, vcc_lo, v6, v14
	v_add_co_ci_u32_e32 v7, vcc_lo, v7, v15, vcc_lo
	s_lshl_b64 s[2:3], s[28:29], 7
	s_delay_alu instid0(VALU_DEP_3) | instskip(NEXT) | instid1(VALU_DEP_4)
	v_add_co_u32 v12, vcc_lo, s4, v4
	v_add_co_ci_u32_e32 v13, vcc_lo, s5, v5, vcc_lo
	v_lshlrev_b64 v[4:5], 3, v[0:1]
	v_add_co_u32 v6, vcc_lo, v6, s26
	v_add_co_ci_u32_e32 v7, vcc_lo, s27, v7, vcc_lo
	s_lshl_b64 s[4:5], s[22:23], 7
	s_delay_alu instid0(VALU_DEP_3) | instskip(NEXT) | instid1(VALU_DEP_4)
	v_add_co_u32 v12, vcc_lo, v12, v4
	v_add_co_ci_u32_e32 v13, vcc_lo, v13, v5, vcc_lo
	v_add_co_u32 v4, vcc_lo, v6, 4
	v_add_co_ci_u32_e32 v5, vcc_lo, 0, v7, vcc_lo
	s_delay_alu instid0(VALU_DEP_4)
	v_add_co_u32 v6, vcc_lo, s20, v12
	v_mov_b32_e32 v12, 0
	v_add_nc_u32_e32 v10, v8, v11
	v_add_nc_u32_e32 v9, 0x800, v11
	v_add_co_ci_u32_e32 v7, vcc_lo, s21, v13, vcc_lo
	v_mov_b32_e32 v13, 0
	s_delay_alu instid0(VALU_DEP_3)
	v_add_nc_u32_e32 v11, v9, v8
.LBB1118_2:                             ; =>This Inner Loop Header: Depth=1
	global_load_b64 v[14:15], v[6:7], off
	global_load_b64 v[16:17], v[4:5], off offset:-4
	s_add_u32 s6, s6, 16
	v_add_co_u32 v4, vcc_lo, v4, s2
	s_addc_u32 s7, s7, 0
	v_add_co_ci_u32_e32 v5, vcc_lo, s3, v5, vcc_lo
	v_cmp_lt_i64_e64 s8, s[6:7], s[16:17]
	v_add_co_u32 v6, vcc_lo, v6, s4
	v_add_co_ci_u32_e32 v7, vcc_lo, s5, v7, vcc_lo
	s_waitcnt vmcnt(1)
	ds_store_b64 v10, v[14:15]
	s_waitcnt vmcnt(0)
	ds_store_b64 v11, v[16:17]
	s_waitcnt lgkmcnt(0)
	s_barrier
	buffer_gl0_inv
	ds_load_2addr_b64 v[14:17], v8 offset1:16
	ds_load_b128 v[18:21], v9
	ds_load_b128 v[22:25], v9 offset:16
	ds_load_2addr_b64 v[26:29], v8 offset0:32 offset1:48
	ds_load_2addr_b64 v[30:33], v8 offset0:64 offset1:80
	ds_load_b128 v[34:37], v9 offset:32
	ds_load_b128 v[38:41], v9 offset:48
	ds_load_2addr_b64 v[42:45], v8 offset0:96 offset1:112
	ds_load_2addr_b64 v[46:49], v8 offset0:128 offset1:144
	;; [unrolled: 1-line block ×3, first 2 shown]
	ds_load_b128 v[54:57], v9 offset:64
	ds_load_b128 v[58:61], v9 offset:80
	ds_load_2addr_b64 v[62:65], v8 offset0:192 offset1:208
	ds_load_2addr_b64 v[66:69], v8 offset0:224 offset1:240
	ds_load_b128 v[70:73], v9 offset:96
	ds_load_b128 v[74:77], v9 offset:112
	s_and_b32 vcc_lo, exec_lo, s8
	s_waitcnt lgkmcnt(0)
	s_barrier
	buffer_gl0_inv
	v_dual_mul_f32 v78, v19, v15 :: v_dual_mul_f32 v79, v21, v17
	v_mul_f32_e32 v15, v18, v15
	v_dual_mul_f32 v17, v20, v17 :: v_dual_mul_f32 v80, v23, v27
	v_mul_f32_e32 v27, v22, v27
	v_dual_mul_f32 v81, v25, v29 :: v_dual_mul_f32 v82, v35, v31
	v_fma_f32 v18, v18, v14, -v78
	v_mul_f32_e32 v31, v34, v31
	s_delay_alu instid0(VALU_DEP_4) | instskip(NEXT) | instid1(VALU_DEP_4)
	v_fmac_f32_e32 v27, v23, v26
	v_fma_f32 v23, v24, v28, -v81
	v_fmac_f32_e32 v15, v19, v14
	v_fma_f32 v14, v20, v16, -v79
	v_add_f32_e32 v12, v12, v18
	v_dual_mul_f32 v29, v24, v29 :: v_dual_mul_f32 v84, v39, v43
	v_mul_f32_e32 v43, v38, v43
	v_fma_f32 v22, v22, v26, -v80
	s_delay_alu instid0(VALU_DEP_4) | instskip(SKIP_2) | instid1(VALU_DEP_3)
	v_dual_add_f32 v12, v12, v14 :: v_dual_fmac_f32 v17, v21, v16
	v_dual_mul_f32 v83, v37, v33 :: v_dual_mul_f32 v86, v55, v47
	v_dual_mul_f32 v85, v41, v45 :: v_dual_mul_f32 v18, v74, v67
	v_add_f32_e32 v12, v12, v22
	v_fma_f32 v22, v34, v30, -v82
	v_mul_f32_e32 v16, v57, v49
	v_mul_f32_e32 v19, v56, v49
	v_dual_mul_f32 v33, v36, v33 :: v_dual_mul_f32 v20, v59, v51
	v_add_f32_e32 v12, v12, v23
	v_mul_f32_e32 v21, v58, v51
	v_fma_f32 v23, v36, v32, -v83
	v_mul_f32_e32 v51, v60, v53
	v_fma_f32 v16, v56, v48, -v16
	v_dual_add_f32 v12, v12, v22 :: v_dual_mul_f32 v49, v61, v53
	v_fma_f32 v22, v38, v42, -v84
	v_fma_f32 v20, v58, v50, -v20
	v_mul_f32_e32 v24, v73, v65
	s_delay_alu instid0(VALU_DEP_4) | instskip(SKIP_3) | instid1(VALU_DEP_4)
	v_add_f32_e32 v12, v12, v23
	v_mul_f32_e32 v53, v71, v63
	v_fma_f32 v23, v40, v44, -v85
	v_dual_mul_f32 v47, v54, v47 :: v_dual_mul_f32 v14, v77, v69
	v_add_f32_e32 v12, v12, v22
	v_fma_f32 v22, v54, v46, -v86
	v_fmac_f32_e32 v33, v37, v32
	v_dual_mul_f32 v45, v40, v45 :: v_dual_fmac_f32 v18, v75, v66
	s_delay_alu instid0(VALU_DEP_4) | instskip(SKIP_3) | instid1(VALU_DEP_4)
	v_add_f32_e32 v12, v12, v23
	v_mul_f32_e32 v63, v70, v63
	v_fma_f32 v14, v76, v68, -v14
	v_fmac_f32_e32 v43, v39, v42
	v_dual_fmac_f32 v45, v41, v44 :: v_dual_add_f32 v12, v12, v22
	v_add_f32_e32 v13, v13, v15
	v_fmac_f32_e32 v47, v55, v46
	v_fmac_f32_e32 v19, v57, v48
	s_delay_alu instid0(VALU_DEP_4) | instskip(SKIP_3) | instid1(VALU_DEP_4)
	v_dual_fmac_f32 v21, v59, v50 :: v_dual_add_f32 v12, v12, v16
	v_mul_f32_e32 v15, v75, v67
	v_fma_f32 v16, v60, v52, -v49
	v_fmac_f32_e32 v51, v61, v52
	v_dual_fmac_f32 v63, v71, v62 :: v_dual_add_f32 v12, v12, v20
	v_add_f32_e32 v13, v13, v17
	v_fma_f32 v15, v74, v66, -v15
	v_fmac_f32_e32 v31, v35, v30
	v_mul_f32_e32 v17, v76, v69
	v_add_f32_e32 v12, v12, v16
	v_fmac_f32_e32 v29, v25, v28
	v_fma_f32 v16, v72, v64, -v24
	v_add_f32_e32 v13, v13, v27
	v_mul_f32_e32 v25, v72, v65
	v_fmac_f32_e32 v17, v77, v68
	s_delay_alu instid0(VALU_DEP_3) | instskip(NEXT) | instid1(VALU_DEP_3)
	v_add_f32_e32 v13, v13, v29
	v_fmac_f32_e32 v25, v73, v64
	s_delay_alu instid0(VALU_DEP_2) | instskip(NEXT) | instid1(VALU_DEP_1)
	v_add_f32_e32 v13, v13, v31
	v_add_f32_e32 v13, v13, v33
	s_delay_alu instid0(VALU_DEP_1) | instskip(NEXT) | instid1(VALU_DEP_1)
	v_add_f32_e32 v13, v13, v43
	v_add_f32_e32 v13, v13, v45
	s_delay_alu instid0(VALU_DEP_1) | instskip(NEXT) | instid1(VALU_DEP_1)
	v_add_f32_e32 v13, v13, v47
	v_add_f32_e32 v13, v13, v19
	v_fma_f32 v19, v70, v62, -v53
	s_delay_alu instid0(VALU_DEP_1) | instskip(NEXT) | instid1(VALU_DEP_1)
	v_dual_add_f32 v13, v13, v21 :: v_dual_add_f32 v12, v12, v19
	v_dual_add_f32 v13, v13, v51 :: v_dual_add_f32 v12, v12, v16
	s_delay_alu instid0(VALU_DEP_1) | instskip(NEXT) | instid1(VALU_DEP_1)
	v_add_f32_e32 v13, v13, v63
	v_dual_add_f32 v12, v12, v15 :: v_dual_add_f32 v13, v13, v25
	s_delay_alu instid0(VALU_DEP_1) | instskip(NEXT) | instid1(VALU_DEP_2)
	v_add_f32_e32 v12, v12, v14
	v_add_f32_e32 v13, v13, v18
	s_delay_alu instid0(VALU_DEP_1)
	v_add_f32_e32 v13, v13, v17
	s_cbranch_vccnz .LBB1118_2
.LBB1118_3:
	s_mov_b32 s2, exec_lo
	v_cmpx_le_i32_e64 v2, v0
	s_cbranch_execz .LBB1118_5
; %bb.4:
	s_clause 0x1
	s_load_b128 s[4:7], s[0:1], 0x50
	s_load_b64 s[0:1], s[0:1], 0x60
	v_lshlrev_b64 v[5:6], 3, v[0:1]
	s_waitcnt lgkmcnt(0)
	v_mul_lo_u32 v7, v2, s7
	v_mul_lo_u32 v8, v3, s6
	v_mad_u64_u32 v[3:4], null, v2, s6, 0
	s_mul_i32 s1, s15, s1
	s_mul_hi_u32 s2, s15, s0
	s_mul_i32 s0, s15, s0
	s_add_i32 s1, s2, s1
	v_mul_f32_e32 v2, s18, v13
	s_lshl_b64 s[0:1], s[0:1], 3
	s_delay_alu instid0(VALU_DEP_2) | instskip(SKIP_3) | instid1(VALU_DEP_2)
	v_add3_u32 v4, v4, v7, v8
	s_add_u32 s0, s4, s0
	s_addc_u32 s1, s5, s1
	v_dual_mul_f32 v9, s19, v13 :: v_dual_fmac_f32 v2, s19, v12
	v_lshlrev_b64 v[3:4], 3, v[3:4]
	s_delay_alu instid0(VALU_DEP_2) | instskip(NEXT) | instid1(VALU_DEP_2)
	v_fma_f32 v1, v12, s18, -v9
	v_add_co_u32 v0, vcc_lo, s0, v3
	s_delay_alu instid0(VALU_DEP_3) | instskip(NEXT) | instid1(VALU_DEP_2)
	v_add_co_ci_u32_e32 v4, vcc_lo, s1, v4, vcc_lo
	v_add_co_u32 v3, vcc_lo, v0, v5
	s_delay_alu instid0(VALU_DEP_2)
	v_add_co_ci_u32_e32 v4, vcc_lo, v4, v6, vcc_lo
	global_store_b64 v[3:4], v[1:2], off
.LBB1118_5:
	s_nop 0
	s_sendmsg sendmsg(MSG_DEALLOC_VGPRS)
	s_endpgm
	.section	.rodata,"a",@progbits
	.p2align	6, 0x0
	.amdhsa_kernel _ZL41rocblas_syrkx_herkx_small_restrict_kernelIl19rocblas_complex_numIfELi16ELb1ELb0ELc78ELc76EKS1_S1_EviT_T0_PT6_S3_lS6_S3_lS4_PT7_S3_li
		.amdhsa_group_segment_fixed_size 4096
		.amdhsa_private_segment_fixed_size 0
		.amdhsa_kernarg_size 108
		.amdhsa_user_sgpr_count 13
		.amdhsa_user_sgpr_dispatch_ptr 0
		.amdhsa_user_sgpr_queue_ptr 0
		.amdhsa_user_sgpr_kernarg_segment_ptr 1
		.amdhsa_user_sgpr_dispatch_id 0
		.amdhsa_user_sgpr_private_segment_size 0
		.amdhsa_wavefront_size32 1
		.amdhsa_uses_dynamic_stack 0
		.amdhsa_enable_private_segment 0
		.amdhsa_system_sgpr_workgroup_id_x 1
		.amdhsa_system_sgpr_workgroup_id_y 1
		.amdhsa_system_sgpr_workgroup_id_z 1
		.amdhsa_system_sgpr_workgroup_info 0
		.amdhsa_system_vgpr_workitem_id 1
		.amdhsa_next_free_vgpr 87
		.amdhsa_next_free_sgpr 32
		.amdhsa_reserve_vcc 1
		.amdhsa_float_round_mode_32 0
		.amdhsa_float_round_mode_16_64 0
		.amdhsa_float_denorm_mode_32 3
		.amdhsa_float_denorm_mode_16_64 3
		.amdhsa_dx10_clamp 1
		.amdhsa_ieee_mode 1
		.amdhsa_fp16_overflow 0
		.amdhsa_workgroup_processor_mode 1
		.amdhsa_memory_ordered 1
		.amdhsa_forward_progress 0
		.amdhsa_shared_vgpr_count 0
		.amdhsa_exception_fp_ieee_invalid_op 0
		.amdhsa_exception_fp_denorm_src 0
		.amdhsa_exception_fp_ieee_div_zero 0
		.amdhsa_exception_fp_ieee_overflow 0
		.amdhsa_exception_fp_ieee_underflow 0
		.amdhsa_exception_fp_ieee_inexact 0
		.amdhsa_exception_int_div_zero 0
	.end_amdhsa_kernel
	.section	.text._ZL41rocblas_syrkx_herkx_small_restrict_kernelIl19rocblas_complex_numIfELi16ELb1ELb0ELc78ELc76EKS1_S1_EviT_T0_PT6_S3_lS6_S3_lS4_PT7_S3_li,"axG",@progbits,_ZL41rocblas_syrkx_herkx_small_restrict_kernelIl19rocblas_complex_numIfELi16ELb1ELb0ELc78ELc76EKS1_S1_EviT_T0_PT6_S3_lS6_S3_lS4_PT7_S3_li,comdat
.Lfunc_end1118:
	.size	_ZL41rocblas_syrkx_herkx_small_restrict_kernelIl19rocblas_complex_numIfELi16ELb1ELb0ELc78ELc76EKS1_S1_EviT_T0_PT6_S3_lS6_S3_lS4_PT7_S3_li, .Lfunc_end1118-_ZL41rocblas_syrkx_herkx_small_restrict_kernelIl19rocblas_complex_numIfELi16ELb1ELb0ELc78ELc76EKS1_S1_EviT_T0_PT6_S3_lS6_S3_lS4_PT7_S3_li
                                        ; -- End function
	.section	.AMDGPU.csdata,"",@progbits
; Kernel info:
; codeLenInByte = 1312
; NumSgprs: 34
; NumVgprs: 87
; ScratchSize: 0
; MemoryBound: 0
; FloatMode: 240
; IeeeMode: 1
; LDSByteSize: 4096 bytes/workgroup (compile time only)
; SGPRBlocks: 4
; VGPRBlocks: 10
; NumSGPRsForWavesPerEU: 34
; NumVGPRsForWavesPerEU: 87
; Occupancy: 16
; WaveLimiterHint : 0
; COMPUTE_PGM_RSRC2:SCRATCH_EN: 0
; COMPUTE_PGM_RSRC2:USER_SGPR: 13
; COMPUTE_PGM_RSRC2:TRAP_HANDLER: 0
; COMPUTE_PGM_RSRC2:TGID_X_EN: 1
; COMPUTE_PGM_RSRC2:TGID_Y_EN: 1
; COMPUTE_PGM_RSRC2:TGID_Z_EN: 1
; COMPUTE_PGM_RSRC2:TIDIG_COMP_CNT: 1
	.section	.text._ZL41rocblas_syrkx_herkx_small_restrict_kernelIl19rocblas_complex_numIfELi16ELb1ELb0ELc84ELc85EKS1_S1_EviT_T0_PT6_S3_lS6_S3_lS4_PT7_S3_li,"axG",@progbits,_ZL41rocblas_syrkx_herkx_small_restrict_kernelIl19rocblas_complex_numIfELi16ELb1ELb0ELc84ELc85EKS1_S1_EviT_T0_PT6_S3_lS6_S3_lS4_PT7_S3_li,comdat
	.globl	_ZL41rocblas_syrkx_herkx_small_restrict_kernelIl19rocblas_complex_numIfELi16ELb1ELb0ELc84ELc85EKS1_S1_EviT_T0_PT6_S3_lS6_S3_lS4_PT7_S3_li ; -- Begin function _ZL41rocblas_syrkx_herkx_small_restrict_kernelIl19rocblas_complex_numIfELi16ELb1ELb0ELc84ELc85EKS1_S1_EviT_T0_PT6_S3_lS6_S3_lS4_PT7_S3_li
	.p2align	8
	.type	_ZL41rocblas_syrkx_herkx_small_restrict_kernelIl19rocblas_complex_numIfELi16ELb1ELb0ELc84ELc85EKS1_S1_EviT_T0_PT6_S3_lS6_S3_lS4_PT7_S3_li,@function
_ZL41rocblas_syrkx_herkx_small_restrict_kernelIl19rocblas_complex_numIfELi16ELb1ELb0ELc84ELc85EKS1_S1_EviT_T0_PT6_S3_lS6_S3_lS4_PT7_S3_li: ; @_ZL41rocblas_syrkx_herkx_small_restrict_kernelIl19rocblas_complex_numIfELi16ELb1ELb0ELc84ELc85EKS1_S1_EviT_T0_PT6_S3_lS6_S3_lS4_PT7_S3_li
; %bb.0:
	s_load_b512 s[16:31], s[0:1], 0x8
	v_dual_mov_b32 v12, 0 :: v_dual_and_b32 v3, 0x3ff, v0
	v_bfe_u32 v2, v0, 10, 10
	v_mov_b32_e32 v13, 0
	s_delay_alu instid0(VALU_DEP_3) | instskip(NEXT) | instid1(VALU_DEP_3)
	v_lshl_add_u32 v0, s13, 4, v3
	v_lshl_add_u32 v6, s14, 4, v2
	s_delay_alu instid0(VALU_DEP_2) | instskip(NEXT) | instid1(VALU_DEP_2)
	v_ashrrev_i32_e32 v1, 31, v0
	v_ashrrev_i32_e32 v7, 31, v6
	s_waitcnt lgkmcnt(0)
	v_cmp_lt_i64_e64 s2, s[16:17], 1
	s_delay_alu instid0(VALU_DEP_1)
	s_and_b32 vcc_lo, exec_lo, s2
	s_cbranch_vccnz .LBB1119_3
; %bb.1:
	v_mul_lo_u32 v11, s29, v6
	v_mul_lo_u32 v14, s28, v7
	v_mad_u64_u32 v[4:5], null, s28, v6, 0
	v_lshlrev_b32_e32 v8, 3, v3
	v_mul_lo_u32 v3, s23, v0
	v_mul_lo_u32 v15, s22, v1
	v_mad_u64_u32 v[12:13], null, s22, v0, 0
	s_mul_i32 s2, s31, s15
	v_add3_u32 v5, v5, v14, v11
	s_mul_hi_u32 s3, s30, s15
	s_mul_i32 s4, s25, s15
	s_add_i32 s3, s3, s2
	s_mul_i32 s2, s30, s15
	s_delay_alu instid0(VALU_DEP_2)
	v_add3_u32 v13, v13, v15, v3
	v_lshlrev_b64 v[3:4], 3, v[4:5]
	s_lshl_b64 s[2:3], s[2:3], 3
	s_mul_hi_u32 s5, s24, s15
	v_lshlrev_b32_e32 v10, 7, v2
	v_lshlrev_b64 v[12:13], 3, v[12:13]
	s_add_i32 s5, s5, s4
	s_mul_i32 s4, s24, s15
	v_add_co_u32 v3, vcc_lo, v3, s2
	v_add_co_ci_u32_e32 v4, vcc_lo, s3, v4, vcc_lo
	s_lshl_b64 s[2:3], s[4:5], 3
	v_lshlrev_b32_e32 v2, 3, v2
	v_add_co_u32 v5, vcc_lo, v12, s2
	v_add_co_ci_u32_e32 v12, vcc_lo, s3, v13, vcc_lo
	v_mov_b32_e32 v13, 0
	v_add_co_u32 v3, vcc_lo, v3, v8
	v_add_co_ci_u32_e32 v4, vcc_lo, 0, v4, vcc_lo
	v_add_co_u32 v5, vcc_lo, v5, v2
	v_add_co_ci_u32_e32 v12, vcc_lo, 0, v12, vcc_lo
	v_add_nc_u32_e32 v9, 0x800, v10
	v_add_co_u32 v2, vcc_lo, s26, v3
	v_add_co_ci_u32_e32 v3, vcc_lo, s27, v4, vcc_lo
	v_add_co_u32 v4, vcc_lo, s20, v5
	v_add_nc_u32_e32 v10, v8, v10
	v_add_co_ci_u32_e32 v5, vcc_lo, s21, v12, vcc_lo
	v_dual_mov_b32 v12, 0 :: v_dual_add_nc_u32 v11, v9, v8
	s_mov_b64 s[2:3], 0
.LBB1119_2:                             ; =>This Inner Loop Header: Depth=1
	global_load_b64 v[14:15], v[4:5], off
	global_load_b64 v[16:17], v[2:3], off
	s_add_u32 s2, s2, 16
	v_add_co_u32 v2, vcc_lo, 0x80, v2
	s_addc_u32 s3, s3, 0
	v_add_co_ci_u32_e32 v3, vcc_lo, 0, v3, vcc_lo
	v_cmp_lt_i64_e64 s4, s[2:3], s[16:17]
	v_add_co_u32 v4, vcc_lo, 0x80, v4
	v_add_co_ci_u32_e32 v5, vcc_lo, 0, v5, vcc_lo
	s_waitcnt vmcnt(1)
	ds_store_b64 v10, v[14:15]
	s_waitcnt vmcnt(0)
	ds_store_b64 v11, v[16:17]
	s_waitcnt lgkmcnt(0)
	s_barrier
	buffer_gl0_inv
	ds_load_2addr_b64 v[14:17], v8 offset1:16
	ds_load_b128 v[18:21], v9
	ds_load_b128 v[22:25], v9 offset:16
	ds_load_2addr_b64 v[26:29], v8 offset0:32 offset1:48
	ds_load_2addr_b64 v[30:33], v8 offset0:64 offset1:80
	ds_load_b128 v[34:37], v9 offset:32
	ds_load_b128 v[38:41], v9 offset:48
	ds_load_2addr_b64 v[42:45], v8 offset0:96 offset1:112
	ds_load_2addr_b64 v[46:49], v8 offset0:128 offset1:144
	;; [unrolled: 1-line block ×3, first 2 shown]
	ds_load_b128 v[54:57], v9 offset:64
	ds_load_b128 v[58:61], v9 offset:80
	ds_load_2addr_b64 v[62:65], v8 offset0:192 offset1:208
	ds_load_2addr_b64 v[66:69], v8 offset0:224 offset1:240
	ds_load_b128 v[70:73], v9 offset:96
	ds_load_b128 v[74:77], v9 offset:112
	s_and_b32 vcc_lo, exec_lo, s4
	s_waitcnt lgkmcnt(0)
	s_barrier
	buffer_gl0_inv
	v_dual_mul_f32 v78, v19, v15 :: v_dual_mul_f32 v79, v21, v17
	v_mul_f32_e32 v15, v18, v15
	v_dual_mul_f32 v17, v20, v17 :: v_dual_mul_f32 v80, v23, v27
	v_mul_f32_e32 v27, v22, v27
	v_dual_mul_f32 v81, v25, v29 :: v_dual_mul_f32 v82, v35, v31
	v_fma_f32 v18, v18, v14, -v78
	v_mul_f32_e32 v31, v34, v31
	s_delay_alu instid0(VALU_DEP_4) | instskip(NEXT) | instid1(VALU_DEP_4)
	v_fmac_f32_e32 v27, v23, v26
	v_fma_f32 v23, v24, v28, -v81
	v_fmac_f32_e32 v15, v19, v14
	v_fma_f32 v14, v20, v16, -v79
	v_add_f32_e32 v12, v12, v18
	v_dual_mul_f32 v29, v24, v29 :: v_dual_mul_f32 v84, v39, v43
	v_mul_f32_e32 v43, v38, v43
	v_fma_f32 v22, v22, v26, -v80
	s_delay_alu instid0(VALU_DEP_4) | instskip(SKIP_2) | instid1(VALU_DEP_3)
	v_dual_add_f32 v12, v12, v14 :: v_dual_fmac_f32 v17, v21, v16
	v_dual_mul_f32 v83, v37, v33 :: v_dual_mul_f32 v86, v55, v47
	v_dual_mul_f32 v85, v41, v45 :: v_dual_mul_f32 v18, v74, v67
	v_add_f32_e32 v12, v12, v22
	v_fma_f32 v22, v34, v30, -v82
	v_mul_f32_e32 v16, v57, v49
	v_mul_f32_e32 v19, v56, v49
	v_dual_mul_f32 v33, v36, v33 :: v_dual_mul_f32 v20, v59, v51
	v_add_f32_e32 v12, v12, v23
	v_mul_f32_e32 v21, v58, v51
	v_fma_f32 v23, v36, v32, -v83
	v_mul_f32_e32 v51, v60, v53
	v_fma_f32 v16, v56, v48, -v16
	v_dual_add_f32 v12, v12, v22 :: v_dual_mul_f32 v49, v61, v53
	v_fma_f32 v22, v38, v42, -v84
	v_fma_f32 v20, v58, v50, -v20
	v_mul_f32_e32 v24, v73, v65
	s_delay_alu instid0(VALU_DEP_4) | instskip(SKIP_3) | instid1(VALU_DEP_4)
	v_add_f32_e32 v12, v12, v23
	v_mul_f32_e32 v53, v71, v63
	v_fma_f32 v23, v40, v44, -v85
	v_dual_mul_f32 v47, v54, v47 :: v_dual_mul_f32 v14, v77, v69
	v_add_f32_e32 v12, v12, v22
	v_fma_f32 v22, v54, v46, -v86
	v_fmac_f32_e32 v33, v37, v32
	v_dual_mul_f32 v45, v40, v45 :: v_dual_fmac_f32 v18, v75, v66
	s_delay_alu instid0(VALU_DEP_4) | instskip(SKIP_3) | instid1(VALU_DEP_4)
	v_add_f32_e32 v12, v12, v23
	v_mul_f32_e32 v63, v70, v63
	v_fma_f32 v14, v76, v68, -v14
	v_fmac_f32_e32 v43, v39, v42
	v_dual_fmac_f32 v45, v41, v44 :: v_dual_add_f32 v12, v12, v22
	v_add_f32_e32 v13, v13, v15
	v_fmac_f32_e32 v47, v55, v46
	v_fmac_f32_e32 v19, v57, v48
	s_delay_alu instid0(VALU_DEP_4) | instskip(SKIP_3) | instid1(VALU_DEP_4)
	v_dual_fmac_f32 v21, v59, v50 :: v_dual_add_f32 v12, v12, v16
	v_mul_f32_e32 v15, v75, v67
	v_fma_f32 v16, v60, v52, -v49
	v_fmac_f32_e32 v51, v61, v52
	v_dual_fmac_f32 v63, v71, v62 :: v_dual_add_f32 v12, v12, v20
	v_add_f32_e32 v13, v13, v17
	v_fma_f32 v15, v74, v66, -v15
	v_fmac_f32_e32 v31, v35, v30
	v_mul_f32_e32 v17, v76, v69
	v_add_f32_e32 v12, v12, v16
	v_fmac_f32_e32 v29, v25, v28
	v_fma_f32 v16, v72, v64, -v24
	v_add_f32_e32 v13, v13, v27
	v_mul_f32_e32 v25, v72, v65
	v_fmac_f32_e32 v17, v77, v68
	s_delay_alu instid0(VALU_DEP_3) | instskip(NEXT) | instid1(VALU_DEP_3)
	v_add_f32_e32 v13, v13, v29
	v_fmac_f32_e32 v25, v73, v64
	s_delay_alu instid0(VALU_DEP_2) | instskip(NEXT) | instid1(VALU_DEP_1)
	v_add_f32_e32 v13, v13, v31
	v_add_f32_e32 v13, v13, v33
	s_delay_alu instid0(VALU_DEP_1) | instskip(NEXT) | instid1(VALU_DEP_1)
	v_add_f32_e32 v13, v13, v43
	v_add_f32_e32 v13, v13, v45
	s_delay_alu instid0(VALU_DEP_1) | instskip(NEXT) | instid1(VALU_DEP_1)
	v_add_f32_e32 v13, v13, v47
	v_add_f32_e32 v13, v13, v19
	v_fma_f32 v19, v70, v62, -v53
	s_delay_alu instid0(VALU_DEP_1) | instskip(NEXT) | instid1(VALU_DEP_1)
	v_dual_add_f32 v13, v13, v21 :: v_dual_add_f32 v12, v12, v19
	v_dual_add_f32 v13, v13, v51 :: v_dual_add_f32 v12, v12, v16
	s_delay_alu instid0(VALU_DEP_1) | instskip(NEXT) | instid1(VALU_DEP_1)
	v_add_f32_e32 v13, v13, v63
	v_dual_add_f32 v12, v12, v15 :: v_dual_add_f32 v13, v13, v25
	s_delay_alu instid0(VALU_DEP_1) | instskip(NEXT) | instid1(VALU_DEP_2)
	v_add_f32_e32 v12, v12, v14
	v_add_f32_e32 v13, v13, v18
	s_delay_alu instid0(VALU_DEP_1)
	v_add_f32_e32 v13, v13, v17
	s_cbranch_vccnz .LBB1119_2
.LBB1119_3:
	s_mov_b32 s2, exec_lo
	v_cmpx_le_i32_e64 v0, v6
	s_cbranch_execz .LBB1119_5
; %bb.4:
	s_clause 0x1
	s_load_b128 s[4:7], s[0:1], 0x50
	s_load_b64 s[0:1], s[0:1], 0x60
	v_lshlrev_b64 v[0:1], 3, v[0:1]
	v_mul_f32_e32 v8, s19, v13
	v_mul_f32_e32 v4, s18, v13
	s_delay_alu instid0(VALU_DEP_1)
	v_fmac_f32_e32 v4, s19, v12
	s_waitcnt lgkmcnt(0)
	v_mul_lo_u32 v5, v6, s7
	v_mul_lo_u32 v7, v7, s6
	v_mad_u64_u32 v[2:3], null, v6, s6, 0
	s_mul_i32 s1, s15, s1
	s_mul_hi_u32 s2, s15, s0
	s_mul_i32 s0, s15, s0
	s_add_i32 s1, s2, s1
	s_delay_alu instid0(SALU_CYCLE_1) | instskip(NEXT) | instid1(VALU_DEP_1)
	s_lshl_b64 s[0:1], s[0:1], 3
	v_add3_u32 v3, v3, v5, v7
	s_add_u32 s0, s4, s0
	s_addc_u32 s1, s5, s1
	s_delay_alu instid0(VALU_DEP_1) | instskip(SKIP_1) | instid1(VALU_DEP_2)
	v_lshlrev_b64 v[5:6], 3, v[2:3]
	v_fma_f32 v3, v12, s18, -v8
	v_add_co_u32 v2, vcc_lo, s0, v5
	s_delay_alu instid0(VALU_DEP_3) | instskip(NEXT) | instid1(VALU_DEP_2)
	v_add_co_ci_u32_e32 v5, vcc_lo, s1, v6, vcc_lo
	v_add_co_u32 v0, vcc_lo, v2, v0
	s_delay_alu instid0(VALU_DEP_2)
	v_add_co_ci_u32_e32 v1, vcc_lo, v5, v1, vcc_lo
	global_store_b64 v[0:1], v[3:4], off
.LBB1119_5:
	s_nop 0
	s_sendmsg sendmsg(MSG_DEALLOC_VGPRS)
	s_endpgm
	.section	.rodata,"a",@progbits
	.p2align	6, 0x0
	.amdhsa_kernel _ZL41rocblas_syrkx_herkx_small_restrict_kernelIl19rocblas_complex_numIfELi16ELb1ELb0ELc84ELc85EKS1_S1_EviT_T0_PT6_S3_lS6_S3_lS4_PT7_S3_li
		.amdhsa_group_segment_fixed_size 4096
		.amdhsa_private_segment_fixed_size 0
		.amdhsa_kernarg_size 108
		.amdhsa_user_sgpr_count 13
		.amdhsa_user_sgpr_dispatch_ptr 0
		.amdhsa_user_sgpr_queue_ptr 0
		.amdhsa_user_sgpr_kernarg_segment_ptr 1
		.amdhsa_user_sgpr_dispatch_id 0
		.amdhsa_user_sgpr_private_segment_size 0
		.amdhsa_wavefront_size32 1
		.amdhsa_uses_dynamic_stack 0
		.amdhsa_enable_private_segment 0
		.amdhsa_system_sgpr_workgroup_id_x 1
		.amdhsa_system_sgpr_workgroup_id_y 1
		.amdhsa_system_sgpr_workgroup_id_z 1
		.amdhsa_system_sgpr_workgroup_info 0
		.amdhsa_system_vgpr_workitem_id 1
		.amdhsa_next_free_vgpr 87
		.amdhsa_next_free_sgpr 32
		.amdhsa_reserve_vcc 1
		.amdhsa_float_round_mode_32 0
		.amdhsa_float_round_mode_16_64 0
		.amdhsa_float_denorm_mode_32 3
		.amdhsa_float_denorm_mode_16_64 3
		.amdhsa_dx10_clamp 1
		.amdhsa_ieee_mode 1
		.amdhsa_fp16_overflow 0
		.amdhsa_workgroup_processor_mode 1
		.amdhsa_memory_ordered 1
		.amdhsa_forward_progress 0
		.amdhsa_shared_vgpr_count 0
		.amdhsa_exception_fp_ieee_invalid_op 0
		.amdhsa_exception_fp_denorm_src 0
		.amdhsa_exception_fp_ieee_div_zero 0
		.amdhsa_exception_fp_ieee_overflow 0
		.amdhsa_exception_fp_ieee_underflow 0
		.amdhsa_exception_fp_ieee_inexact 0
		.amdhsa_exception_int_div_zero 0
	.end_amdhsa_kernel
	.section	.text._ZL41rocblas_syrkx_herkx_small_restrict_kernelIl19rocblas_complex_numIfELi16ELb1ELb0ELc84ELc85EKS1_S1_EviT_T0_PT6_S3_lS6_S3_lS4_PT7_S3_li,"axG",@progbits,_ZL41rocblas_syrkx_herkx_small_restrict_kernelIl19rocblas_complex_numIfELi16ELb1ELb0ELc84ELc85EKS1_S1_EviT_T0_PT6_S3_lS6_S3_lS4_PT7_S3_li,comdat
.Lfunc_end1119:
	.size	_ZL41rocblas_syrkx_herkx_small_restrict_kernelIl19rocblas_complex_numIfELi16ELb1ELb0ELc84ELc85EKS1_S1_EviT_T0_PT6_S3_lS6_S3_lS4_PT7_S3_li, .Lfunc_end1119-_ZL41rocblas_syrkx_herkx_small_restrict_kernelIl19rocblas_complex_numIfELi16ELb1ELb0ELc84ELc85EKS1_S1_EviT_T0_PT6_S3_lS6_S3_lS4_PT7_S3_li
                                        ; -- End function
	.section	.AMDGPU.csdata,"",@progbits
; Kernel info:
; codeLenInByte = 1280
; NumSgprs: 34
; NumVgprs: 87
; ScratchSize: 0
; MemoryBound: 0
; FloatMode: 240
; IeeeMode: 1
; LDSByteSize: 4096 bytes/workgroup (compile time only)
; SGPRBlocks: 4
; VGPRBlocks: 10
; NumSGPRsForWavesPerEU: 34
; NumVGPRsForWavesPerEU: 87
; Occupancy: 16
; WaveLimiterHint : 0
; COMPUTE_PGM_RSRC2:SCRATCH_EN: 0
; COMPUTE_PGM_RSRC2:USER_SGPR: 13
; COMPUTE_PGM_RSRC2:TRAP_HANDLER: 0
; COMPUTE_PGM_RSRC2:TGID_X_EN: 1
; COMPUTE_PGM_RSRC2:TGID_Y_EN: 1
; COMPUTE_PGM_RSRC2:TGID_Z_EN: 1
; COMPUTE_PGM_RSRC2:TIDIG_COMP_CNT: 1
	.section	.text._ZL41rocblas_syrkx_herkx_small_restrict_kernelIl19rocblas_complex_numIfELi16ELb1ELb0ELc67ELc85EKS1_S1_EviT_T0_PT6_S3_lS6_S3_lS4_PT7_S3_li,"axG",@progbits,_ZL41rocblas_syrkx_herkx_small_restrict_kernelIl19rocblas_complex_numIfELi16ELb1ELb0ELc67ELc85EKS1_S1_EviT_T0_PT6_S3_lS6_S3_lS4_PT7_S3_li,comdat
	.globl	_ZL41rocblas_syrkx_herkx_small_restrict_kernelIl19rocblas_complex_numIfELi16ELb1ELb0ELc67ELc85EKS1_S1_EviT_T0_PT6_S3_lS6_S3_lS4_PT7_S3_li ; -- Begin function _ZL41rocblas_syrkx_herkx_small_restrict_kernelIl19rocblas_complex_numIfELi16ELb1ELb0ELc67ELc85EKS1_S1_EviT_T0_PT6_S3_lS6_S3_lS4_PT7_S3_li
	.p2align	8
	.type	_ZL41rocblas_syrkx_herkx_small_restrict_kernelIl19rocblas_complex_numIfELi16ELb1ELb0ELc67ELc85EKS1_S1_EviT_T0_PT6_S3_lS6_S3_lS4_PT7_S3_li,@function
_ZL41rocblas_syrkx_herkx_small_restrict_kernelIl19rocblas_complex_numIfELi16ELb1ELb0ELc67ELc85EKS1_S1_EviT_T0_PT6_S3_lS6_S3_lS4_PT7_S3_li: ; @_ZL41rocblas_syrkx_herkx_small_restrict_kernelIl19rocblas_complex_numIfELi16ELb1ELb0ELc67ELc85EKS1_S1_EviT_T0_PT6_S3_lS6_S3_lS4_PT7_S3_li
; %bb.0:
	s_load_b512 s[16:31], s[0:1], 0x8
	v_dual_mov_b32 v12, 0 :: v_dual_and_b32 v3, 0x3ff, v0
	v_bfe_u32 v2, v0, 10, 10
	v_mov_b32_e32 v13, 0
	s_delay_alu instid0(VALU_DEP_3) | instskip(NEXT) | instid1(VALU_DEP_3)
	v_lshl_add_u32 v0, s13, 4, v3
	v_lshl_add_u32 v6, s14, 4, v2
	s_delay_alu instid0(VALU_DEP_2) | instskip(NEXT) | instid1(VALU_DEP_2)
	v_ashrrev_i32_e32 v1, 31, v0
	v_ashrrev_i32_e32 v7, 31, v6
	s_waitcnt lgkmcnt(0)
	v_cmp_lt_i64_e64 s2, s[16:17], 1
	s_delay_alu instid0(VALU_DEP_1)
	s_and_b32 vcc_lo, exec_lo, s2
	s_cbranch_vccnz .LBB1120_3
; %bb.1:
	v_mul_lo_u32 v15, s23, v0
	v_mul_lo_u32 v16, s22, v1
	v_mad_u64_u32 v[12:13], null, s22, v0, 0
	v_mul_lo_u32 v10, s29, v6
	v_mul_lo_u32 v11, s28, v7
	v_mad_u64_u32 v[4:5], null, s28, v6, 0
	s_mul_i32 s4, s25, s15
	s_mul_hi_u32 s5, s24, s15
	s_delay_alu instid0(VALU_DEP_4) | instskip(SKIP_3) | instid1(VALU_DEP_3)
	v_add3_u32 v13, v13, v16, v15
	s_add_i32 s5, s5, s4
	s_mul_i32 s4, s24, s15
	v_lshlrev_b32_e32 v8, 3, v3
	v_add3_u32 v5, v5, v11, v10
	v_lshlrev_b64 v[12:13], 3, v[12:13]
	s_mul_i32 s2, s31, s15
	s_mul_hi_u32 s3, s30, s15
	s_lshl_b64 s[4:5], s[4:5], 3
	v_lshlrev_b64 v[3:4], 3, v[4:5]
	s_add_i32 s3, s3, s2
	s_mul_i32 s2, s30, s15
	v_add_co_u32 v5, vcc_lo, v12, s4
	v_lshlrev_b32_e32 v14, 7, v2
	s_lshl_b64 s[2:3], s[2:3], 3
	v_lshlrev_b32_e32 v2, 3, v2
	v_add_co_ci_u32_e32 v12, vcc_lo, s5, v13, vcc_lo
	v_mov_b32_e32 v13, 0
	v_add_co_u32 v3, vcc_lo, v3, s2
	v_add_co_ci_u32_e32 v4, vcc_lo, s3, v4, vcc_lo
	v_add_co_u32 v2, vcc_lo, v5, v2
	v_add_co_ci_u32_e32 v5, vcc_lo, 0, v12, vcc_lo
	s_delay_alu instid0(VALU_DEP_4) | instskip(NEXT) | instid1(VALU_DEP_4)
	v_add_co_u32 v3, vcc_lo, v3, v8
	v_add_co_ci_u32_e32 v4, vcc_lo, 0, v4, vcc_lo
	s_delay_alu instid0(VALU_DEP_4) | instskip(NEXT) | instid1(VALU_DEP_4)
	v_add_co_u32 v12, vcc_lo, v2, s20
	v_add_co_ci_u32_e32 v5, vcc_lo, s21, v5, vcc_lo
	v_add_nc_u32_e32 v9, 0x800, v14
	v_add_co_u32 v2, vcc_lo, s26, v3
	v_add_co_ci_u32_e32 v3, vcc_lo, s27, v4, vcc_lo
	v_add_co_u32 v4, vcc_lo, v12, 4
	v_mov_b32_e32 v12, 0
	v_add_nc_u32_e32 v10, v8, v14
	v_add_nc_u32_e32 v11, v9, v8
	v_add_co_ci_u32_e32 v5, vcc_lo, 0, v5, vcc_lo
	s_mov_b64 s[2:3], 0
.LBB1120_2:                             ; =>This Inner Loop Header: Depth=1
	global_load_b64 v[14:15], v[4:5], off offset:-4
	global_load_b64 v[16:17], v[2:3], off
	s_add_u32 s2, s2, 16
	v_add_co_u32 v2, vcc_lo, 0x80, v2
	s_addc_u32 s3, s3, 0
	v_add_co_ci_u32_e32 v3, vcc_lo, 0, v3, vcc_lo
	v_cmp_lt_i64_e64 s4, s[2:3], s[16:17]
	v_add_co_u32 v4, vcc_lo, 0x80, v4
	v_add_co_ci_u32_e32 v5, vcc_lo, 0, v5, vcc_lo
	s_waitcnt vmcnt(1)
	ds_store_b64 v10, v[14:15]
	s_waitcnt vmcnt(0)
	ds_store_b64 v11, v[16:17]
	s_waitcnt lgkmcnt(0)
	s_barrier
	buffer_gl0_inv
	ds_load_2addr_b64 v[14:17], v8 offset1:16
	ds_load_b128 v[18:21], v9
	ds_load_b128 v[22:25], v9 offset:16
	ds_load_2addr_b64 v[26:29], v8 offset0:32 offset1:48
	ds_load_2addr_b64 v[30:33], v8 offset0:64 offset1:80
	ds_load_b128 v[34:37], v9 offset:32
	ds_load_b128 v[38:41], v9 offset:48
	ds_load_2addr_b64 v[42:45], v8 offset0:96 offset1:112
	ds_load_2addr_b64 v[46:49], v8 offset0:128 offset1:144
	;; [unrolled: 1-line block ×3, first 2 shown]
	ds_load_b128 v[54:57], v9 offset:64
	ds_load_b128 v[58:61], v9 offset:80
	ds_load_2addr_b64 v[62:65], v8 offset0:192 offset1:208
	ds_load_2addr_b64 v[66:69], v8 offset0:224 offset1:240
	ds_load_b128 v[70:73], v9 offset:96
	ds_load_b128 v[74:77], v9 offset:112
	s_and_b32 vcc_lo, exec_lo, s4
	s_waitcnt lgkmcnt(0)
	s_barrier
	buffer_gl0_inv
	v_dual_mul_f32 v78, v19, v15 :: v_dual_mul_f32 v79, v21, v17
	v_mul_f32_e32 v15, v18, v15
	v_dual_mul_f32 v17, v20, v17 :: v_dual_mul_f32 v80, v23, v27
	v_mul_f32_e32 v27, v22, v27
	v_dual_mul_f32 v81, v25, v29 :: v_dual_mul_f32 v82, v35, v31
	v_fma_f32 v18, v18, v14, -v78
	v_mul_f32_e32 v31, v34, v31
	s_delay_alu instid0(VALU_DEP_4) | instskip(NEXT) | instid1(VALU_DEP_4)
	v_fmac_f32_e32 v27, v23, v26
	v_fma_f32 v23, v24, v28, -v81
	v_fmac_f32_e32 v15, v19, v14
	v_fma_f32 v14, v20, v16, -v79
	v_add_f32_e32 v12, v12, v18
	v_dual_mul_f32 v29, v24, v29 :: v_dual_mul_f32 v84, v39, v43
	v_mul_f32_e32 v43, v38, v43
	v_fma_f32 v22, v22, v26, -v80
	s_delay_alu instid0(VALU_DEP_4) | instskip(SKIP_2) | instid1(VALU_DEP_3)
	v_dual_add_f32 v12, v12, v14 :: v_dual_fmac_f32 v17, v21, v16
	v_dual_mul_f32 v83, v37, v33 :: v_dual_mul_f32 v86, v55, v47
	v_dual_mul_f32 v85, v41, v45 :: v_dual_mul_f32 v18, v74, v67
	v_add_f32_e32 v12, v12, v22
	v_fma_f32 v22, v34, v30, -v82
	v_mul_f32_e32 v16, v57, v49
	v_mul_f32_e32 v19, v56, v49
	v_dual_mul_f32 v33, v36, v33 :: v_dual_mul_f32 v20, v59, v51
	v_add_f32_e32 v12, v12, v23
	v_mul_f32_e32 v21, v58, v51
	v_fma_f32 v23, v36, v32, -v83
	v_mul_f32_e32 v51, v60, v53
	v_fma_f32 v16, v56, v48, -v16
	v_dual_add_f32 v12, v12, v22 :: v_dual_mul_f32 v49, v61, v53
	v_fma_f32 v22, v38, v42, -v84
	v_fma_f32 v20, v58, v50, -v20
	v_mul_f32_e32 v24, v73, v65
	s_delay_alu instid0(VALU_DEP_4) | instskip(SKIP_3) | instid1(VALU_DEP_4)
	v_add_f32_e32 v12, v12, v23
	v_mul_f32_e32 v53, v71, v63
	v_fma_f32 v23, v40, v44, -v85
	v_dual_mul_f32 v47, v54, v47 :: v_dual_mul_f32 v14, v77, v69
	v_add_f32_e32 v12, v12, v22
	v_fma_f32 v22, v54, v46, -v86
	v_fmac_f32_e32 v33, v37, v32
	v_dual_mul_f32 v45, v40, v45 :: v_dual_fmac_f32 v18, v75, v66
	s_delay_alu instid0(VALU_DEP_4) | instskip(SKIP_3) | instid1(VALU_DEP_4)
	v_add_f32_e32 v12, v12, v23
	v_mul_f32_e32 v63, v70, v63
	v_fma_f32 v14, v76, v68, -v14
	v_fmac_f32_e32 v43, v39, v42
	v_dual_fmac_f32 v45, v41, v44 :: v_dual_add_f32 v12, v12, v22
	v_add_f32_e32 v13, v13, v15
	v_fmac_f32_e32 v47, v55, v46
	v_fmac_f32_e32 v19, v57, v48
	s_delay_alu instid0(VALU_DEP_4) | instskip(SKIP_3) | instid1(VALU_DEP_4)
	v_dual_fmac_f32 v21, v59, v50 :: v_dual_add_f32 v12, v12, v16
	v_mul_f32_e32 v15, v75, v67
	v_fma_f32 v16, v60, v52, -v49
	v_fmac_f32_e32 v51, v61, v52
	v_dual_fmac_f32 v63, v71, v62 :: v_dual_add_f32 v12, v12, v20
	v_add_f32_e32 v13, v13, v17
	v_fma_f32 v15, v74, v66, -v15
	v_fmac_f32_e32 v31, v35, v30
	v_mul_f32_e32 v17, v76, v69
	v_add_f32_e32 v12, v12, v16
	v_fmac_f32_e32 v29, v25, v28
	v_fma_f32 v16, v72, v64, -v24
	v_add_f32_e32 v13, v13, v27
	v_mul_f32_e32 v25, v72, v65
	v_fmac_f32_e32 v17, v77, v68
	s_delay_alu instid0(VALU_DEP_3) | instskip(NEXT) | instid1(VALU_DEP_3)
	v_add_f32_e32 v13, v13, v29
	v_fmac_f32_e32 v25, v73, v64
	s_delay_alu instid0(VALU_DEP_2) | instskip(NEXT) | instid1(VALU_DEP_1)
	v_add_f32_e32 v13, v13, v31
	v_add_f32_e32 v13, v13, v33
	s_delay_alu instid0(VALU_DEP_1) | instskip(NEXT) | instid1(VALU_DEP_1)
	v_add_f32_e32 v13, v13, v43
	v_add_f32_e32 v13, v13, v45
	s_delay_alu instid0(VALU_DEP_1) | instskip(NEXT) | instid1(VALU_DEP_1)
	v_add_f32_e32 v13, v13, v47
	v_add_f32_e32 v13, v13, v19
	v_fma_f32 v19, v70, v62, -v53
	s_delay_alu instid0(VALU_DEP_1) | instskip(NEXT) | instid1(VALU_DEP_1)
	v_dual_add_f32 v13, v13, v21 :: v_dual_add_f32 v12, v12, v19
	v_dual_add_f32 v13, v13, v51 :: v_dual_add_f32 v12, v12, v16
	s_delay_alu instid0(VALU_DEP_1) | instskip(NEXT) | instid1(VALU_DEP_1)
	v_add_f32_e32 v13, v13, v63
	v_dual_add_f32 v12, v12, v15 :: v_dual_add_f32 v13, v13, v25
	s_delay_alu instid0(VALU_DEP_1) | instskip(NEXT) | instid1(VALU_DEP_2)
	v_add_f32_e32 v12, v12, v14
	v_add_f32_e32 v13, v13, v18
	s_delay_alu instid0(VALU_DEP_1)
	v_add_f32_e32 v13, v13, v17
	s_cbranch_vccnz .LBB1120_2
.LBB1120_3:
	s_mov_b32 s2, exec_lo
	v_cmpx_le_i32_e64 v0, v6
	s_cbranch_execz .LBB1120_5
; %bb.4:
	s_clause 0x1
	s_load_b128 s[4:7], s[0:1], 0x50
	s_load_b64 s[0:1], s[0:1], 0x60
	v_lshlrev_b64 v[0:1], 3, v[0:1]
	v_mul_f32_e32 v8, s19, v13
	v_mul_f32_e32 v4, s18, v13
	s_delay_alu instid0(VALU_DEP_1)
	v_fmac_f32_e32 v4, s19, v12
	s_waitcnt lgkmcnt(0)
	v_mul_lo_u32 v5, v6, s7
	v_mul_lo_u32 v7, v7, s6
	v_mad_u64_u32 v[2:3], null, v6, s6, 0
	s_mul_i32 s1, s15, s1
	s_mul_hi_u32 s2, s15, s0
	s_mul_i32 s0, s15, s0
	s_add_i32 s1, s2, s1
	s_delay_alu instid0(SALU_CYCLE_1) | instskip(NEXT) | instid1(VALU_DEP_1)
	s_lshl_b64 s[0:1], s[0:1], 3
	v_add3_u32 v3, v3, v5, v7
	s_add_u32 s0, s4, s0
	s_addc_u32 s1, s5, s1
	s_delay_alu instid0(VALU_DEP_1) | instskip(SKIP_1) | instid1(VALU_DEP_2)
	v_lshlrev_b64 v[5:6], 3, v[2:3]
	v_fma_f32 v3, v12, s18, -v8
	v_add_co_u32 v2, vcc_lo, s0, v5
	s_delay_alu instid0(VALU_DEP_3) | instskip(NEXT) | instid1(VALU_DEP_2)
	v_add_co_ci_u32_e32 v5, vcc_lo, s1, v6, vcc_lo
	v_add_co_u32 v0, vcc_lo, v2, v0
	s_delay_alu instid0(VALU_DEP_2)
	v_add_co_ci_u32_e32 v1, vcc_lo, v5, v1, vcc_lo
	global_store_b64 v[0:1], v[3:4], off
.LBB1120_5:
	s_nop 0
	s_sendmsg sendmsg(MSG_DEALLOC_VGPRS)
	s_endpgm
	.section	.rodata,"a",@progbits
	.p2align	6, 0x0
	.amdhsa_kernel _ZL41rocblas_syrkx_herkx_small_restrict_kernelIl19rocblas_complex_numIfELi16ELb1ELb0ELc67ELc85EKS1_S1_EviT_T0_PT6_S3_lS6_S3_lS4_PT7_S3_li
		.amdhsa_group_segment_fixed_size 4096
		.amdhsa_private_segment_fixed_size 0
		.amdhsa_kernarg_size 108
		.amdhsa_user_sgpr_count 13
		.amdhsa_user_sgpr_dispatch_ptr 0
		.amdhsa_user_sgpr_queue_ptr 0
		.amdhsa_user_sgpr_kernarg_segment_ptr 1
		.amdhsa_user_sgpr_dispatch_id 0
		.amdhsa_user_sgpr_private_segment_size 0
		.amdhsa_wavefront_size32 1
		.amdhsa_uses_dynamic_stack 0
		.amdhsa_enable_private_segment 0
		.amdhsa_system_sgpr_workgroup_id_x 1
		.amdhsa_system_sgpr_workgroup_id_y 1
		.amdhsa_system_sgpr_workgroup_id_z 1
		.amdhsa_system_sgpr_workgroup_info 0
		.amdhsa_system_vgpr_workitem_id 1
		.amdhsa_next_free_vgpr 87
		.amdhsa_next_free_sgpr 32
		.amdhsa_reserve_vcc 1
		.amdhsa_float_round_mode_32 0
		.amdhsa_float_round_mode_16_64 0
		.amdhsa_float_denorm_mode_32 3
		.amdhsa_float_denorm_mode_16_64 3
		.amdhsa_dx10_clamp 1
		.amdhsa_ieee_mode 1
		.amdhsa_fp16_overflow 0
		.amdhsa_workgroup_processor_mode 1
		.amdhsa_memory_ordered 1
		.amdhsa_forward_progress 0
		.amdhsa_shared_vgpr_count 0
		.amdhsa_exception_fp_ieee_invalid_op 0
		.amdhsa_exception_fp_denorm_src 0
		.amdhsa_exception_fp_ieee_div_zero 0
		.amdhsa_exception_fp_ieee_overflow 0
		.amdhsa_exception_fp_ieee_underflow 0
		.amdhsa_exception_fp_ieee_inexact 0
		.amdhsa_exception_int_div_zero 0
	.end_amdhsa_kernel
	.section	.text._ZL41rocblas_syrkx_herkx_small_restrict_kernelIl19rocblas_complex_numIfELi16ELb1ELb0ELc67ELc85EKS1_S1_EviT_T0_PT6_S3_lS6_S3_lS4_PT7_S3_li,"axG",@progbits,_ZL41rocblas_syrkx_herkx_small_restrict_kernelIl19rocblas_complex_numIfELi16ELb1ELb0ELc67ELc85EKS1_S1_EviT_T0_PT6_S3_lS6_S3_lS4_PT7_S3_li,comdat
.Lfunc_end1120:
	.size	_ZL41rocblas_syrkx_herkx_small_restrict_kernelIl19rocblas_complex_numIfELi16ELb1ELb0ELc67ELc85EKS1_S1_EviT_T0_PT6_S3_lS6_S3_lS4_PT7_S3_li, .Lfunc_end1120-_ZL41rocblas_syrkx_herkx_small_restrict_kernelIl19rocblas_complex_numIfELi16ELb1ELb0ELc67ELc85EKS1_S1_EviT_T0_PT6_S3_lS6_S3_lS4_PT7_S3_li
                                        ; -- End function
	.section	.AMDGPU.csdata,"",@progbits
; Kernel info:
; codeLenInByte = 1300
; NumSgprs: 34
; NumVgprs: 87
; ScratchSize: 0
; MemoryBound: 0
; FloatMode: 240
; IeeeMode: 1
; LDSByteSize: 4096 bytes/workgroup (compile time only)
; SGPRBlocks: 4
; VGPRBlocks: 10
; NumSGPRsForWavesPerEU: 34
; NumVGPRsForWavesPerEU: 87
; Occupancy: 16
; WaveLimiterHint : 0
; COMPUTE_PGM_RSRC2:SCRATCH_EN: 0
; COMPUTE_PGM_RSRC2:USER_SGPR: 13
; COMPUTE_PGM_RSRC2:TRAP_HANDLER: 0
; COMPUTE_PGM_RSRC2:TGID_X_EN: 1
; COMPUTE_PGM_RSRC2:TGID_Y_EN: 1
; COMPUTE_PGM_RSRC2:TGID_Z_EN: 1
; COMPUTE_PGM_RSRC2:TIDIG_COMP_CNT: 1
	.section	.text._ZL41rocblas_syrkx_herkx_small_restrict_kernelIl19rocblas_complex_numIfELi16ELb1ELb0ELc78ELc85EKS1_S1_EviT_T0_PT6_S3_lS6_S3_lS4_PT7_S3_li,"axG",@progbits,_ZL41rocblas_syrkx_herkx_small_restrict_kernelIl19rocblas_complex_numIfELi16ELb1ELb0ELc78ELc85EKS1_S1_EviT_T0_PT6_S3_lS6_S3_lS4_PT7_S3_li,comdat
	.globl	_ZL41rocblas_syrkx_herkx_small_restrict_kernelIl19rocblas_complex_numIfELi16ELb1ELb0ELc78ELc85EKS1_S1_EviT_T0_PT6_S3_lS6_S3_lS4_PT7_S3_li ; -- Begin function _ZL41rocblas_syrkx_herkx_small_restrict_kernelIl19rocblas_complex_numIfELi16ELb1ELb0ELc78ELc85EKS1_S1_EviT_T0_PT6_S3_lS6_S3_lS4_PT7_S3_li
	.p2align	8
	.type	_ZL41rocblas_syrkx_herkx_small_restrict_kernelIl19rocblas_complex_numIfELi16ELb1ELb0ELc78ELc85EKS1_S1_EviT_T0_PT6_S3_lS6_S3_lS4_PT7_S3_li,@function
_ZL41rocblas_syrkx_herkx_small_restrict_kernelIl19rocblas_complex_numIfELi16ELb1ELb0ELc78ELc85EKS1_S1_EviT_T0_PT6_S3_lS6_S3_lS4_PT7_S3_li: ; @_ZL41rocblas_syrkx_herkx_small_restrict_kernelIl19rocblas_complex_numIfELi16ELb1ELb0ELc78ELc85EKS1_S1_EviT_T0_PT6_S3_lS6_S3_lS4_PT7_S3_li
; %bb.0:
	s_load_b512 s[16:31], s[0:1], 0x8
	v_dual_mov_b32 v12, 0 :: v_dual_and_b32 v5, 0x3ff, v0
	v_bfe_u32 v4, v0, 10, 10
	v_mov_b32_e32 v13, 0
	s_delay_alu instid0(VALU_DEP_3) | instskip(NEXT) | instid1(VALU_DEP_3)
	v_lshl_add_u32 v0, s13, 4, v5
	v_lshl_add_u32 v2, s14, 4, v4
	s_delay_alu instid0(VALU_DEP_2) | instskip(NEXT) | instid1(VALU_DEP_2)
	v_ashrrev_i32_e32 v1, 31, v0
	v_ashrrev_i32_e32 v3, 31, v2
	s_waitcnt lgkmcnt(0)
	v_cmp_lt_i64_e64 s2, s[16:17], 1
	s_delay_alu instid0(VALU_DEP_1)
	s_and_b32 vcc_lo, exec_lo, s2
	s_cbranch_vccnz .LBB1121_3
; %bb.1:
	v_mad_u64_u32 v[6:7], null, s28, v5, 0
	v_mad_u64_u32 v[12:13], null, s22, v4, 0
	v_lshlrev_b32_e32 v8, 3, v5
	v_lshlrev_b32_e32 v11, 7, v4
	s_mul_i32 s3, s31, s15
	s_mul_hi_u32 s5, s30, s15
	s_mul_i32 s2, s30, s15
	s_delay_alu instid0(VALU_DEP_4) | instskip(NEXT) | instid1(VALU_DEP_4)
	v_mad_u64_u32 v[9:10], null, s29, v5, v[7:8]
	v_mov_b32_e32 v5, v13
	s_add_i32 s3, s5, s3
	v_lshlrev_b64 v[14:15], 3, v[2:3]
	s_lshl_b64 s[2:3], s[2:3], 3
	s_mul_i32 s6, s25, s15
	v_mad_u64_u32 v[16:17], null, s23, v4, v[5:6]
	s_delay_alu instid0(VALU_DEP_4)
	v_mov_b32_e32 v7, v9
	s_mul_hi_u32 s7, s24, s15
	s_mul_i32 s4, s24, s15
	s_add_i32 s5, s7, s6
	s_mov_b64 s[6:7], 0
	v_lshlrev_b64 v[4:5], 3, v[6:7]
	s_delay_alu instid0(VALU_DEP_3) | instskip(SKIP_1) | instid1(VALU_DEP_2)
	v_mov_b32_e32 v13, v16
	s_lshl_b64 s[4:5], s[4:5], 3
	v_add_co_u32 v6, vcc_lo, s2, v4
	s_delay_alu instid0(VALU_DEP_3) | instskip(NEXT) | instid1(VALU_DEP_3)
	v_add_co_ci_u32_e32 v7, vcc_lo, s3, v5, vcc_lo
	v_lshlrev_b64 v[4:5], 3, v[12:13]
	s_delay_alu instid0(VALU_DEP_3) | instskip(NEXT) | instid1(VALU_DEP_3)
	v_add_co_u32 v6, vcc_lo, v6, v14
	v_add_co_ci_u32_e32 v7, vcc_lo, v7, v15, vcc_lo
	s_lshl_b64 s[2:3], s[28:29], 7
	s_delay_alu instid0(VALU_DEP_3) | instskip(NEXT) | instid1(VALU_DEP_4)
	v_add_co_u32 v12, vcc_lo, s4, v4
	v_add_co_ci_u32_e32 v13, vcc_lo, s5, v5, vcc_lo
	v_lshlrev_b64 v[4:5], 3, v[0:1]
	v_add_co_u32 v6, vcc_lo, v6, s26
	v_add_co_ci_u32_e32 v7, vcc_lo, s27, v7, vcc_lo
	s_lshl_b64 s[4:5], s[22:23], 7
	s_delay_alu instid0(VALU_DEP_3) | instskip(NEXT) | instid1(VALU_DEP_4)
	v_add_co_u32 v12, vcc_lo, v12, v4
	v_add_co_ci_u32_e32 v13, vcc_lo, v13, v5, vcc_lo
	v_add_co_u32 v4, vcc_lo, v6, 4
	v_add_co_ci_u32_e32 v5, vcc_lo, 0, v7, vcc_lo
	s_delay_alu instid0(VALU_DEP_4)
	v_add_co_u32 v6, vcc_lo, s20, v12
	v_mov_b32_e32 v12, 0
	v_add_nc_u32_e32 v10, v8, v11
	v_add_nc_u32_e32 v9, 0x800, v11
	v_add_co_ci_u32_e32 v7, vcc_lo, s21, v13, vcc_lo
	v_mov_b32_e32 v13, 0
	s_delay_alu instid0(VALU_DEP_3)
	v_add_nc_u32_e32 v11, v9, v8
.LBB1121_2:                             ; =>This Inner Loop Header: Depth=1
	global_load_b64 v[14:15], v[6:7], off
	global_load_b64 v[16:17], v[4:5], off offset:-4
	s_add_u32 s6, s6, 16
	v_add_co_u32 v4, vcc_lo, v4, s2
	s_addc_u32 s7, s7, 0
	v_add_co_ci_u32_e32 v5, vcc_lo, s3, v5, vcc_lo
	v_cmp_lt_i64_e64 s8, s[6:7], s[16:17]
	v_add_co_u32 v6, vcc_lo, v6, s4
	v_add_co_ci_u32_e32 v7, vcc_lo, s5, v7, vcc_lo
	s_waitcnt vmcnt(1)
	ds_store_b64 v10, v[14:15]
	s_waitcnt vmcnt(0)
	ds_store_b64 v11, v[16:17]
	s_waitcnt lgkmcnt(0)
	s_barrier
	buffer_gl0_inv
	ds_load_2addr_b64 v[14:17], v8 offset1:16
	ds_load_b128 v[18:21], v9
	ds_load_b128 v[22:25], v9 offset:16
	ds_load_2addr_b64 v[26:29], v8 offset0:32 offset1:48
	ds_load_2addr_b64 v[30:33], v8 offset0:64 offset1:80
	ds_load_b128 v[34:37], v9 offset:32
	ds_load_b128 v[38:41], v9 offset:48
	ds_load_2addr_b64 v[42:45], v8 offset0:96 offset1:112
	ds_load_2addr_b64 v[46:49], v8 offset0:128 offset1:144
	;; [unrolled: 1-line block ×3, first 2 shown]
	ds_load_b128 v[54:57], v9 offset:64
	ds_load_b128 v[58:61], v9 offset:80
	ds_load_2addr_b64 v[62:65], v8 offset0:192 offset1:208
	ds_load_2addr_b64 v[66:69], v8 offset0:224 offset1:240
	ds_load_b128 v[70:73], v9 offset:96
	ds_load_b128 v[74:77], v9 offset:112
	s_and_b32 vcc_lo, exec_lo, s8
	s_waitcnt lgkmcnt(0)
	s_barrier
	buffer_gl0_inv
	v_dual_mul_f32 v78, v19, v15 :: v_dual_mul_f32 v79, v21, v17
	v_mul_f32_e32 v15, v18, v15
	v_dual_mul_f32 v17, v20, v17 :: v_dual_mul_f32 v80, v23, v27
	v_mul_f32_e32 v27, v22, v27
	v_dual_mul_f32 v81, v25, v29 :: v_dual_mul_f32 v82, v35, v31
	v_fma_f32 v18, v18, v14, -v78
	v_mul_f32_e32 v31, v34, v31
	s_delay_alu instid0(VALU_DEP_4) | instskip(NEXT) | instid1(VALU_DEP_4)
	v_fmac_f32_e32 v27, v23, v26
	v_fma_f32 v23, v24, v28, -v81
	v_fmac_f32_e32 v15, v19, v14
	v_fma_f32 v14, v20, v16, -v79
	v_add_f32_e32 v12, v12, v18
	v_dual_mul_f32 v29, v24, v29 :: v_dual_mul_f32 v84, v39, v43
	v_mul_f32_e32 v43, v38, v43
	v_fma_f32 v22, v22, v26, -v80
	s_delay_alu instid0(VALU_DEP_4) | instskip(SKIP_2) | instid1(VALU_DEP_3)
	v_dual_add_f32 v12, v12, v14 :: v_dual_fmac_f32 v17, v21, v16
	v_dual_mul_f32 v83, v37, v33 :: v_dual_mul_f32 v86, v55, v47
	v_dual_mul_f32 v85, v41, v45 :: v_dual_mul_f32 v18, v74, v67
	v_add_f32_e32 v12, v12, v22
	v_fma_f32 v22, v34, v30, -v82
	v_mul_f32_e32 v16, v57, v49
	v_mul_f32_e32 v19, v56, v49
	v_dual_mul_f32 v33, v36, v33 :: v_dual_mul_f32 v20, v59, v51
	v_add_f32_e32 v12, v12, v23
	v_mul_f32_e32 v21, v58, v51
	v_fma_f32 v23, v36, v32, -v83
	v_mul_f32_e32 v51, v60, v53
	v_fma_f32 v16, v56, v48, -v16
	v_dual_add_f32 v12, v12, v22 :: v_dual_mul_f32 v49, v61, v53
	v_fma_f32 v22, v38, v42, -v84
	v_fma_f32 v20, v58, v50, -v20
	v_mul_f32_e32 v24, v73, v65
	s_delay_alu instid0(VALU_DEP_4) | instskip(SKIP_3) | instid1(VALU_DEP_4)
	v_add_f32_e32 v12, v12, v23
	v_mul_f32_e32 v53, v71, v63
	v_fma_f32 v23, v40, v44, -v85
	v_dual_mul_f32 v47, v54, v47 :: v_dual_mul_f32 v14, v77, v69
	v_add_f32_e32 v12, v12, v22
	v_fma_f32 v22, v54, v46, -v86
	v_fmac_f32_e32 v33, v37, v32
	v_dual_mul_f32 v45, v40, v45 :: v_dual_fmac_f32 v18, v75, v66
	s_delay_alu instid0(VALU_DEP_4) | instskip(SKIP_3) | instid1(VALU_DEP_4)
	v_add_f32_e32 v12, v12, v23
	v_mul_f32_e32 v63, v70, v63
	v_fma_f32 v14, v76, v68, -v14
	v_fmac_f32_e32 v43, v39, v42
	v_dual_fmac_f32 v45, v41, v44 :: v_dual_add_f32 v12, v12, v22
	v_add_f32_e32 v13, v13, v15
	v_fmac_f32_e32 v47, v55, v46
	v_fmac_f32_e32 v19, v57, v48
	s_delay_alu instid0(VALU_DEP_4) | instskip(SKIP_3) | instid1(VALU_DEP_4)
	v_dual_fmac_f32 v21, v59, v50 :: v_dual_add_f32 v12, v12, v16
	v_mul_f32_e32 v15, v75, v67
	v_fma_f32 v16, v60, v52, -v49
	v_fmac_f32_e32 v51, v61, v52
	v_dual_fmac_f32 v63, v71, v62 :: v_dual_add_f32 v12, v12, v20
	v_add_f32_e32 v13, v13, v17
	v_fma_f32 v15, v74, v66, -v15
	v_fmac_f32_e32 v31, v35, v30
	v_mul_f32_e32 v17, v76, v69
	v_add_f32_e32 v12, v12, v16
	v_fmac_f32_e32 v29, v25, v28
	v_fma_f32 v16, v72, v64, -v24
	v_add_f32_e32 v13, v13, v27
	v_mul_f32_e32 v25, v72, v65
	v_fmac_f32_e32 v17, v77, v68
	s_delay_alu instid0(VALU_DEP_3) | instskip(NEXT) | instid1(VALU_DEP_3)
	v_add_f32_e32 v13, v13, v29
	v_fmac_f32_e32 v25, v73, v64
	s_delay_alu instid0(VALU_DEP_2) | instskip(NEXT) | instid1(VALU_DEP_1)
	v_add_f32_e32 v13, v13, v31
	v_add_f32_e32 v13, v13, v33
	s_delay_alu instid0(VALU_DEP_1) | instskip(NEXT) | instid1(VALU_DEP_1)
	v_add_f32_e32 v13, v13, v43
	v_add_f32_e32 v13, v13, v45
	s_delay_alu instid0(VALU_DEP_1) | instskip(NEXT) | instid1(VALU_DEP_1)
	v_add_f32_e32 v13, v13, v47
	v_add_f32_e32 v13, v13, v19
	v_fma_f32 v19, v70, v62, -v53
	s_delay_alu instid0(VALU_DEP_1) | instskip(NEXT) | instid1(VALU_DEP_1)
	v_dual_add_f32 v13, v13, v21 :: v_dual_add_f32 v12, v12, v19
	v_dual_add_f32 v13, v13, v51 :: v_dual_add_f32 v12, v12, v16
	s_delay_alu instid0(VALU_DEP_1) | instskip(NEXT) | instid1(VALU_DEP_1)
	v_add_f32_e32 v13, v13, v63
	v_dual_add_f32 v12, v12, v15 :: v_dual_add_f32 v13, v13, v25
	s_delay_alu instid0(VALU_DEP_1) | instskip(NEXT) | instid1(VALU_DEP_2)
	v_add_f32_e32 v12, v12, v14
	v_add_f32_e32 v13, v13, v18
	s_delay_alu instid0(VALU_DEP_1)
	v_add_f32_e32 v13, v13, v17
	s_cbranch_vccnz .LBB1121_2
.LBB1121_3:
	s_mov_b32 s2, exec_lo
	v_cmpx_le_i32_e64 v0, v2
	s_cbranch_execz .LBB1121_5
; %bb.4:
	s_clause 0x1
	s_load_b128 s[4:7], s[0:1], 0x50
	s_load_b64 s[0:1], s[0:1], 0x60
	v_lshlrev_b64 v[5:6], 3, v[0:1]
	s_waitcnt lgkmcnt(0)
	v_mul_lo_u32 v7, v2, s7
	v_mul_lo_u32 v8, v3, s6
	v_mad_u64_u32 v[3:4], null, v2, s6, 0
	s_mul_i32 s1, s15, s1
	s_mul_hi_u32 s2, s15, s0
	s_mul_i32 s0, s15, s0
	s_add_i32 s1, s2, s1
	v_mul_f32_e32 v2, s18, v13
	s_lshl_b64 s[0:1], s[0:1], 3
	s_delay_alu instid0(VALU_DEP_2) | instskip(SKIP_3) | instid1(VALU_DEP_2)
	v_add3_u32 v4, v4, v7, v8
	s_add_u32 s0, s4, s0
	s_addc_u32 s1, s5, s1
	v_dual_mul_f32 v9, s19, v13 :: v_dual_fmac_f32 v2, s19, v12
	v_lshlrev_b64 v[3:4], 3, v[3:4]
	s_delay_alu instid0(VALU_DEP_2) | instskip(NEXT) | instid1(VALU_DEP_2)
	v_fma_f32 v1, v12, s18, -v9
	v_add_co_u32 v0, vcc_lo, s0, v3
	s_delay_alu instid0(VALU_DEP_3) | instskip(NEXT) | instid1(VALU_DEP_2)
	v_add_co_ci_u32_e32 v4, vcc_lo, s1, v4, vcc_lo
	v_add_co_u32 v3, vcc_lo, v0, v5
	s_delay_alu instid0(VALU_DEP_2)
	v_add_co_ci_u32_e32 v4, vcc_lo, v4, v6, vcc_lo
	global_store_b64 v[3:4], v[1:2], off
.LBB1121_5:
	s_nop 0
	s_sendmsg sendmsg(MSG_DEALLOC_VGPRS)
	s_endpgm
	.section	.rodata,"a",@progbits
	.p2align	6, 0x0
	.amdhsa_kernel _ZL41rocblas_syrkx_herkx_small_restrict_kernelIl19rocblas_complex_numIfELi16ELb1ELb0ELc78ELc85EKS1_S1_EviT_T0_PT6_S3_lS6_S3_lS4_PT7_S3_li
		.amdhsa_group_segment_fixed_size 4096
		.amdhsa_private_segment_fixed_size 0
		.amdhsa_kernarg_size 108
		.amdhsa_user_sgpr_count 13
		.amdhsa_user_sgpr_dispatch_ptr 0
		.amdhsa_user_sgpr_queue_ptr 0
		.amdhsa_user_sgpr_kernarg_segment_ptr 1
		.amdhsa_user_sgpr_dispatch_id 0
		.amdhsa_user_sgpr_private_segment_size 0
		.amdhsa_wavefront_size32 1
		.amdhsa_uses_dynamic_stack 0
		.amdhsa_enable_private_segment 0
		.amdhsa_system_sgpr_workgroup_id_x 1
		.amdhsa_system_sgpr_workgroup_id_y 1
		.amdhsa_system_sgpr_workgroup_id_z 1
		.amdhsa_system_sgpr_workgroup_info 0
		.amdhsa_system_vgpr_workitem_id 1
		.amdhsa_next_free_vgpr 87
		.amdhsa_next_free_sgpr 32
		.amdhsa_reserve_vcc 1
		.amdhsa_float_round_mode_32 0
		.amdhsa_float_round_mode_16_64 0
		.amdhsa_float_denorm_mode_32 3
		.amdhsa_float_denorm_mode_16_64 3
		.amdhsa_dx10_clamp 1
		.amdhsa_ieee_mode 1
		.amdhsa_fp16_overflow 0
		.amdhsa_workgroup_processor_mode 1
		.amdhsa_memory_ordered 1
		.amdhsa_forward_progress 0
		.amdhsa_shared_vgpr_count 0
		.amdhsa_exception_fp_ieee_invalid_op 0
		.amdhsa_exception_fp_denorm_src 0
		.amdhsa_exception_fp_ieee_div_zero 0
		.amdhsa_exception_fp_ieee_overflow 0
		.amdhsa_exception_fp_ieee_underflow 0
		.amdhsa_exception_fp_ieee_inexact 0
		.amdhsa_exception_int_div_zero 0
	.end_amdhsa_kernel
	.section	.text._ZL41rocblas_syrkx_herkx_small_restrict_kernelIl19rocblas_complex_numIfELi16ELb1ELb0ELc78ELc85EKS1_S1_EviT_T0_PT6_S3_lS6_S3_lS4_PT7_S3_li,"axG",@progbits,_ZL41rocblas_syrkx_herkx_small_restrict_kernelIl19rocblas_complex_numIfELi16ELb1ELb0ELc78ELc85EKS1_S1_EviT_T0_PT6_S3_lS6_S3_lS4_PT7_S3_li,comdat
.Lfunc_end1121:
	.size	_ZL41rocblas_syrkx_herkx_small_restrict_kernelIl19rocblas_complex_numIfELi16ELb1ELb0ELc78ELc85EKS1_S1_EviT_T0_PT6_S3_lS6_S3_lS4_PT7_S3_li, .Lfunc_end1121-_ZL41rocblas_syrkx_herkx_small_restrict_kernelIl19rocblas_complex_numIfELi16ELb1ELb0ELc78ELc85EKS1_S1_EviT_T0_PT6_S3_lS6_S3_lS4_PT7_S3_li
                                        ; -- End function
	.section	.AMDGPU.csdata,"",@progbits
; Kernel info:
; codeLenInByte = 1312
; NumSgprs: 34
; NumVgprs: 87
; ScratchSize: 0
; MemoryBound: 0
; FloatMode: 240
; IeeeMode: 1
; LDSByteSize: 4096 bytes/workgroup (compile time only)
; SGPRBlocks: 4
; VGPRBlocks: 10
; NumSGPRsForWavesPerEU: 34
; NumVGPRsForWavesPerEU: 87
; Occupancy: 16
; WaveLimiterHint : 0
; COMPUTE_PGM_RSRC2:SCRATCH_EN: 0
; COMPUTE_PGM_RSRC2:USER_SGPR: 13
; COMPUTE_PGM_RSRC2:TRAP_HANDLER: 0
; COMPUTE_PGM_RSRC2:TGID_X_EN: 1
; COMPUTE_PGM_RSRC2:TGID_Y_EN: 1
; COMPUTE_PGM_RSRC2:TGID_Z_EN: 1
; COMPUTE_PGM_RSRC2:TIDIG_COMP_CNT: 1
	.section	.text._ZL41rocblas_syrkx_herkx_small_restrict_kernelIl19rocblas_complex_numIfELi16ELb0ELb0ELc84ELc76EKS1_S1_EviT_T0_PT6_S3_lS6_S3_lS4_PT7_S3_li,"axG",@progbits,_ZL41rocblas_syrkx_herkx_small_restrict_kernelIl19rocblas_complex_numIfELi16ELb0ELb0ELc84ELc76EKS1_S1_EviT_T0_PT6_S3_lS6_S3_lS4_PT7_S3_li,comdat
	.globl	_ZL41rocblas_syrkx_herkx_small_restrict_kernelIl19rocblas_complex_numIfELi16ELb0ELb0ELc84ELc76EKS1_S1_EviT_T0_PT6_S3_lS6_S3_lS4_PT7_S3_li ; -- Begin function _ZL41rocblas_syrkx_herkx_small_restrict_kernelIl19rocblas_complex_numIfELi16ELb0ELb0ELc84ELc76EKS1_S1_EviT_T0_PT6_S3_lS6_S3_lS4_PT7_S3_li
	.p2align	8
	.type	_ZL41rocblas_syrkx_herkx_small_restrict_kernelIl19rocblas_complex_numIfELi16ELb0ELb0ELc84ELc76EKS1_S1_EviT_T0_PT6_S3_lS6_S3_lS4_PT7_S3_li,@function
_ZL41rocblas_syrkx_herkx_small_restrict_kernelIl19rocblas_complex_numIfELi16ELb0ELb0ELc84ELc76EKS1_S1_EviT_T0_PT6_S3_lS6_S3_lS4_PT7_S3_li: ; @_ZL41rocblas_syrkx_herkx_small_restrict_kernelIl19rocblas_complex_numIfELi16ELb0ELb0ELc84ELc76EKS1_S1_EviT_T0_PT6_S3_lS6_S3_lS4_PT7_S3_li
; %bb.0:
	s_load_b512 s[16:31], s[0:1], 0x8
	v_dual_mov_b32 v12, 0 :: v_dual_and_b32 v3, 0x3ff, v0
	v_bfe_u32 v2, v0, 10, 10
	v_mov_b32_e32 v13, 0
	s_delay_alu instid0(VALU_DEP_3) | instskip(NEXT) | instid1(VALU_DEP_3)
	v_lshl_add_u32 v0, s13, 4, v3
	v_lshl_add_u32 v6, s14, 4, v2
	s_delay_alu instid0(VALU_DEP_2) | instskip(NEXT) | instid1(VALU_DEP_2)
	v_ashrrev_i32_e32 v1, 31, v0
	v_ashrrev_i32_e32 v7, 31, v6
	s_waitcnt lgkmcnt(0)
	v_cmp_lt_i64_e64 s2, s[16:17], 1
	s_delay_alu instid0(VALU_DEP_1)
	s_and_b32 vcc_lo, exec_lo, s2
	s_cbranch_vccnz .LBB1122_3
; %bb.1:
	v_mul_lo_u32 v11, s29, v6
	v_mul_lo_u32 v14, s28, v7
	v_mad_u64_u32 v[4:5], null, s28, v6, 0
	v_lshlrev_b32_e32 v8, 3, v3
	v_mul_lo_u32 v3, s23, v0
	v_mul_lo_u32 v15, s22, v1
	v_mad_u64_u32 v[12:13], null, s22, v0, 0
	s_mul_i32 s2, s31, s15
	v_add3_u32 v5, v5, v14, v11
	s_mul_hi_u32 s3, s30, s15
	s_mul_i32 s4, s25, s15
	s_add_i32 s3, s3, s2
	s_mul_i32 s2, s30, s15
	s_delay_alu instid0(VALU_DEP_2)
	v_add3_u32 v13, v13, v15, v3
	v_lshlrev_b64 v[3:4], 3, v[4:5]
	s_lshl_b64 s[2:3], s[2:3], 3
	s_mul_hi_u32 s5, s24, s15
	v_lshlrev_b32_e32 v10, 7, v2
	v_lshlrev_b64 v[12:13], 3, v[12:13]
	s_add_i32 s5, s5, s4
	s_mul_i32 s4, s24, s15
	v_add_co_u32 v3, vcc_lo, v3, s2
	v_add_co_ci_u32_e32 v4, vcc_lo, s3, v4, vcc_lo
	s_lshl_b64 s[2:3], s[4:5], 3
	v_lshlrev_b32_e32 v2, 3, v2
	v_add_co_u32 v5, vcc_lo, v12, s2
	v_add_co_ci_u32_e32 v12, vcc_lo, s3, v13, vcc_lo
	v_mov_b32_e32 v13, 0
	v_add_co_u32 v3, vcc_lo, v3, v8
	v_add_co_ci_u32_e32 v4, vcc_lo, 0, v4, vcc_lo
	v_add_co_u32 v5, vcc_lo, v5, v2
	v_add_co_ci_u32_e32 v12, vcc_lo, 0, v12, vcc_lo
	v_add_nc_u32_e32 v9, 0x800, v10
	v_add_co_u32 v2, vcc_lo, s26, v3
	v_add_co_ci_u32_e32 v3, vcc_lo, s27, v4, vcc_lo
	v_add_co_u32 v4, vcc_lo, s20, v5
	v_add_nc_u32_e32 v10, v8, v10
	v_add_co_ci_u32_e32 v5, vcc_lo, s21, v12, vcc_lo
	v_dual_mov_b32 v12, 0 :: v_dual_add_nc_u32 v11, v9, v8
	s_mov_b64 s[2:3], 0
.LBB1122_2:                             ; =>This Inner Loop Header: Depth=1
	global_load_b64 v[14:15], v[4:5], off
	global_load_b64 v[16:17], v[2:3], off
	s_add_u32 s2, s2, 16
	v_add_co_u32 v2, vcc_lo, 0x80, v2
	s_addc_u32 s3, s3, 0
	v_add_co_ci_u32_e32 v3, vcc_lo, 0, v3, vcc_lo
	v_cmp_lt_i64_e64 s4, s[2:3], s[16:17]
	v_add_co_u32 v4, vcc_lo, 0x80, v4
	v_add_co_ci_u32_e32 v5, vcc_lo, 0, v5, vcc_lo
	s_waitcnt vmcnt(1)
	ds_store_b64 v10, v[14:15]
	s_waitcnt vmcnt(0)
	ds_store_b64 v11, v[16:17]
	s_waitcnt lgkmcnt(0)
	s_barrier
	buffer_gl0_inv
	ds_load_2addr_b64 v[14:17], v8 offset1:16
	ds_load_b128 v[18:21], v9
	ds_load_b128 v[22:25], v9 offset:16
	ds_load_2addr_b64 v[26:29], v8 offset0:32 offset1:48
	ds_load_2addr_b64 v[30:33], v8 offset0:64 offset1:80
	ds_load_b128 v[34:37], v9 offset:32
	ds_load_b128 v[38:41], v9 offset:48
	ds_load_2addr_b64 v[42:45], v8 offset0:96 offset1:112
	ds_load_2addr_b64 v[46:49], v8 offset0:128 offset1:144
	;; [unrolled: 1-line block ×3, first 2 shown]
	ds_load_b128 v[54:57], v9 offset:64
	ds_load_b128 v[58:61], v9 offset:80
	ds_load_2addr_b64 v[62:65], v8 offset0:192 offset1:208
	ds_load_2addr_b64 v[66:69], v8 offset0:224 offset1:240
	ds_load_b128 v[70:73], v9 offset:96
	ds_load_b128 v[74:77], v9 offset:112
	s_and_b32 vcc_lo, exec_lo, s4
	s_waitcnt lgkmcnt(0)
	s_barrier
	buffer_gl0_inv
	v_dual_mul_f32 v78, v19, v15 :: v_dual_mul_f32 v79, v21, v17
	v_mul_f32_e32 v15, v18, v15
	v_dual_mul_f32 v17, v20, v17 :: v_dual_mul_f32 v80, v23, v27
	v_mul_f32_e32 v27, v22, v27
	s_delay_alu instid0(VALU_DEP_4) | instskip(SKIP_1) | instid1(VALU_DEP_4)
	v_fma_f32 v18, v18, v14, -v78
	v_dual_mul_f32 v81, v25, v29 :: v_dual_mul_f32 v82, v35, v31
	v_fmac_f32_e32 v17, v21, v16
	s_delay_alu instid0(VALU_DEP_4) | instskip(SKIP_4) | instid1(VALU_DEP_4)
	v_fmac_f32_e32 v27, v23, v26
	v_fmac_f32_e32 v15, v19, v14
	v_mul_f32_e32 v85, v41, v45
	v_dual_mul_f32 v29, v24, v29 :: v_dual_mul_f32 v84, v39, v43
	v_mul_f32_e32 v45, v40, v45
	v_add_f32_e32 v12, v12, v15
	v_mul_f32_e32 v31, v34, v31
	v_dual_add_f32 v13, v13, v18 :: v_dual_mul_f32 v18, v74, v67
	v_mul_f32_e32 v19, v56, v49
	s_delay_alu instid0(VALU_DEP_4) | instskip(SKIP_1) | instid1(VALU_DEP_3)
	v_add_f32_e32 v12, v12, v17
	v_dual_mul_f32 v83, v37, v33 :: v_dual_mul_f32 v86, v55, v47
	v_dual_fmac_f32 v18, v75, v66 :: v_dual_fmac_f32 v19, v57, v48
	s_delay_alu instid0(VALU_DEP_3) | instskip(SKIP_3) | instid1(VALU_DEP_4)
	v_dual_fmac_f32 v29, v25, v28 :: v_dual_add_f32 v12, v12, v27
	v_mul_f32_e32 v33, v36, v33
	v_mul_f32_e32 v47, v54, v47
	v_fmac_f32_e32 v31, v35, v30
	v_dual_mul_f32 v43, v38, v43 :: v_dual_add_f32 v12, v12, v29
	v_fma_f32 v14, v20, v16, -v79
	v_dual_mul_f32 v20, v59, v51 :: v_dual_fmac_f32 v33, v37, v32
	v_mul_f32_e32 v16, v57, v49
	s_delay_alu instid0(VALU_DEP_4) | instskip(SKIP_3) | instid1(VALU_DEP_4)
	v_add_f32_e32 v12, v12, v31
	v_mul_f32_e32 v21, v58, v51
	v_add_f32_e32 v13, v13, v14
	v_dual_mul_f32 v14, v77, v69 :: v_dual_fmac_f32 v43, v39, v42
	v_add_f32_e32 v12, v12, v33
	v_mul_f32_e32 v49, v61, v53
	v_fmac_f32_e32 v45, v41, v44
	v_mul_f32_e32 v51, v60, v53
	s_delay_alu instid0(VALU_DEP_4) | instskip(SKIP_2) | instid1(VALU_DEP_4)
	v_dual_fmac_f32 v47, v55, v46 :: v_dual_add_f32 v12, v12, v43
	v_mul_f32_e32 v53, v71, v63
	v_fmac_f32_e32 v21, v59, v50
	v_fmac_f32_e32 v51, v61, v52
	v_mul_f32_e32 v25, v72, v65
	v_add_f32_e32 v12, v12, v45
	v_fma_f32 v22, v22, v26, -v80
	v_mul_f32_e32 v17, v76, v69
	v_fma_f32 v23, v24, v28, -v81
	s_delay_alu instid0(VALU_DEP_4) | instskip(SKIP_1) | instid1(VALU_DEP_4)
	v_dual_fmac_f32 v25, v73, v64 :: v_dual_add_f32 v12, v12, v47
	v_fma_f32 v16, v56, v48, -v16
	v_fmac_f32_e32 v17, v77, v68
	v_fma_f32 v20, v58, v50, -v20
	v_mul_f32_e32 v24, v73, v65
	v_add_f32_e32 v12, v12, v19
	v_mul_f32_e32 v63, v70, v63
	v_fma_f32 v19, v70, v62, -v53
	v_fma_f32 v14, v76, v68, -v14
	s_delay_alu instid0(VALU_DEP_3) | instskip(NEXT) | instid1(VALU_DEP_1)
	v_dual_add_f32 v12, v12, v21 :: v_dual_fmac_f32 v63, v71, v62
	v_add_f32_e32 v12, v12, v51
	s_delay_alu instid0(VALU_DEP_1) | instskip(NEXT) | instid1(VALU_DEP_1)
	v_add_f32_e32 v12, v12, v63
	v_dual_mul_f32 v15, v75, v67 :: v_dual_add_f32 v12, v12, v25
	s_delay_alu instid0(VALU_DEP_1) | instskip(NEXT) | instid1(VALU_DEP_2)
	v_fma_f32 v15, v74, v66, -v15
	v_add_f32_e32 v12, v12, v18
	v_add_f32_e32 v13, v13, v22
	v_fma_f32 v22, v34, v30, -v82
	s_delay_alu instid0(VALU_DEP_2) | instskip(SKIP_1) | instid1(VALU_DEP_2)
	v_dual_add_f32 v12, v12, v17 :: v_dual_add_f32 v13, v13, v23
	v_fma_f32 v23, v36, v32, -v83
	v_add_f32_e32 v13, v13, v22
	v_fma_f32 v22, v38, v42, -v84
	s_delay_alu instid0(VALU_DEP_2) | instskip(SKIP_1) | instid1(VALU_DEP_2)
	v_add_f32_e32 v13, v13, v23
	v_fma_f32 v23, v40, v44, -v85
	v_add_f32_e32 v13, v13, v22
	v_fma_f32 v22, v54, v46, -v86
	s_delay_alu instid0(VALU_DEP_2) | instskip(NEXT) | instid1(VALU_DEP_1)
	v_add_f32_e32 v13, v13, v23
	v_add_f32_e32 v13, v13, v22
	s_delay_alu instid0(VALU_DEP_1) | instskip(SKIP_1) | instid1(VALU_DEP_2)
	v_add_f32_e32 v13, v13, v16
	v_fma_f32 v16, v60, v52, -v49
	v_add_f32_e32 v13, v13, v20
	s_delay_alu instid0(VALU_DEP_1) | instskip(SKIP_1) | instid1(VALU_DEP_2)
	v_add_f32_e32 v13, v13, v16
	v_fma_f32 v16, v72, v64, -v24
	v_add_f32_e32 v13, v13, v19
	s_delay_alu instid0(VALU_DEP_1) | instskip(NEXT) | instid1(VALU_DEP_1)
	v_add_f32_e32 v13, v13, v16
	v_add_f32_e32 v13, v13, v15
	s_delay_alu instid0(VALU_DEP_1)
	v_add_f32_e32 v13, v13, v14
	s_cbranch_vccnz .LBB1122_2
.LBB1122_3:
	s_load_b256 s[0:7], s[0:1], 0x48
	s_mov_b32 s8, exec_lo
	v_cmpx_le_i32_e64 v6, v0
	s_cbranch_execz .LBB1122_5
; %bb.4:
	s_waitcnt lgkmcnt(0)
	v_mul_lo_u32 v4, v6, s5
	v_mul_lo_u32 v5, v7, s4
	v_mad_u64_u32 v[2:3], null, v6, s4, 0
	s_mul_i32 s5, s15, s7
	s_mul_hi_u32 s7, s15, s6
	s_mul_i32 s4, s15, s6
	s_add_i32 s5, s7, s5
	v_lshlrev_b64 v[0:1], 3, v[0:1]
	s_lshl_b64 s[4:5], s[4:5], 3
	s_delay_alu instid0(VALU_DEP_2) | instskip(SKIP_2) | instid1(VALU_DEP_1)
	v_add3_u32 v3, v3, v4, v5
	s_add_u32 s2, s2, s4
	s_addc_u32 s3, s3, s5
	v_lshlrev_b64 v[2:3], 3, v[2:3]
	s_delay_alu instid0(VALU_DEP_1) | instskip(NEXT) | instid1(VALU_DEP_2)
	v_add_co_u32 v2, vcc_lo, s2, v2
	v_add_co_ci_u32_e32 v3, vcc_lo, s3, v3, vcc_lo
	s_delay_alu instid0(VALU_DEP_2) | instskip(NEXT) | instid1(VALU_DEP_2)
	v_add_co_u32 v0, vcc_lo, v2, v0
	v_add_co_ci_u32_e32 v1, vcc_lo, v3, v1, vcc_lo
	global_load_b64 v[2:3], v[0:1], off
	v_mul_f32_e32 v4, s19, v12
	s_waitcnt vmcnt(0)
	v_dual_mul_f32 v5, s18, v12 :: v_dual_mul_f32 v6, s1, v3
	v_mul_f32_e32 v3, s0, v3
	s_delay_alu instid0(VALU_DEP_3) | instskip(NEXT) | instid1(VALU_DEP_3)
	v_fma_f32 v4, v13, s18, -v4
	v_fma_f32 v6, v2, s0, -v6
	s_delay_alu instid0(VALU_DEP_4) | instskip(NEXT) | instid1(VALU_DEP_4)
	v_fmac_f32_e32 v5, s19, v13
	v_fmac_f32_e32 v3, s1, v2
	s_delay_alu instid0(VALU_DEP_1)
	v_dual_add_f32 v2, v4, v6 :: v_dual_add_f32 v3, v5, v3
	global_store_b64 v[0:1], v[2:3], off
.LBB1122_5:
	s_nop 0
	s_sendmsg sendmsg(MSG_DEALLOC_VGPRS)
	s_endpgm
	.section	.rodata,"a",@progbits
	.p2align	6, 0x0
	.amdhsa_kernel _ZL41rocblas_syrkx_herkx_small_restrict_kernelIl19rocblas_complex_numIfELi16ELb0ELb0ELc84ELc76EKS1_S1_EviT_T0_PT6_S3_lS6_S3_lS4_PT7_S3_li
		.amdhsa_group_segment_fixed_size 4096
		.amdhsa_private_segment_fixed_size 0
		.amdhsa_kernarg_size 108
		.amdhsa_user_sgpr_count 13
		.amdhsa_user_sgpr_dispatch_ptr 0
		.amdhsa_user_sgpr_queue_ptr 0
		.amdhsa_user_sgpr_kernarg_segment_ptr 1
		.amdhsa_user_sgpr_dispatch_id 0
		.amdhsa_user_sgpr_private_segment_size 0
		.amdhsa_wavefront_size32 1
		.amdhsa_uses_dynamic_stack 0
		.amdhsa_enable_private_segment 0
		.amdhsa_system_sgpr_workgroup_id_x 1
		.amdhsa_system_sgpr_workgroup_id_y 1
		.amdhsa_system_sgpr_workgroup_id_z 1
		.amdhsa_system_sgpr_workgroup_info 0
		.amdhsa_system_vgpr_workitem_id 1
		.amdhsa_next_free_vgpr 87
		.amdhsa_next_free_sgpr 32
		.amdhsa_reserve_vcc 1
		.amdhsa_float_round_mode_32 0
		.amdhsa_float_round_mode_16_64 0
		.amdhsa_float_denorm_mode_32 3
		.amdhsa_float_denorm_mode_16_64 3
		.amdhsa_dx10_clamp 1
		.amdhsa_ieee_mode 1
		.amdhsa_fp16_overflow 0
		.amdhsa_workgroup_processor_mode 1
		.amdhsa_memory_ordered 1
		.amdhsa_forward_progress 0
		.amdhsa_shared_vgpr_count 0
		.amdhsa_exception_fp_ieee_invalid_op 0
		.amdhsa_exception_fp_denorm_src 0
		.amdhsa_exception_fp_ieee_div_zero 0
		.amdhsa_exception_fp_ieee_overflow 0
		.amdhsa_exception_fp_ieee_underflow 0
		.amdhsa_exception_fp_ieee_inexact 0
		.amdhsa_exception_int_div_zero 0
	.end_amdhsa_kernel
	.section	.text._ZL41rocblas_syrkx_herkx_small_restrict_kernelIl19rocblas_complex_numIfELi16ELb0ELb0ELc84ELc76EKS1_S1_EviT_T0_PT6_S3_lS6_S3_lS4_PT7_S3_li,"axG",@progbits,_ZL41rocblas_syrkx_herkx_small_restrict_kernelIl19rocblas_complex_numIfELi16ELb0ELb0ELc84ELc76EKS1_S1_EviT_T0_PT6_S3_lS6_S3_lS4_PT7_S3_li,comdat
.Lfunc_end1122:
	.size	_ZL41rocblas_syrkx_herkx_small_restrict_kernelIl19rocblas_complex_numIfELi16ELb0ELb0ELc84ELc76EKS1_S1_EviT_T0_PT6_S3_lS6_S3_lS4_PT7_S3_li, .Lfunc_end1122-_ZL41rocblas_syrkx_herkx_small_restrict_kernelIl19rocblas_complex_numIfELi16ELb0ELb0ELc84ELc76EKS1_S1_EviT_T0_PT6_S3_lS6_S3_lS4_PT7_S3_li
                                        ; -- End function
	.section	.AMDGPU.csdata,"",@progbits
; Kernel info:
; codeLenInByte = 1328
; NumSgprs: 34
; NumVgprs: 87
; ScratchSize: 0
; MemoryBound: 0
; FloatMode: 240
; IeeeMode: 1
; LDSByteSize: 4096 bytes/workgroup (compile time only)
; SGPRBlocks: 4
; VGPRBlocks: 10
; NumSGPRsForWavesPerEU: 34
; NumVGPRsForWavesPerEU: 87
; Occupancy: 16
; WaveLimiterHint : 0
; COMPUTE_PGM_RSRC2:SCRATCH_EN: 0
; COMPUTE_PGM_RSRC2:USER_SGPR: 13
; COMPUTE_PGM_RSRC2:TRAP_HANDLER: 0
; COMPUTE_PGM_RSRC2:TGID_X_EN: 1
; COMPUTE_PGM_RSRC2:TGID_Y_EN: 1
; COMPUTE_PGM_RSRC2:TGID_Z_EN: 1
; COMPUTE_PGM_RSRC2:TIDIG_COMP_CNT: 1
	.section	.text._ZL41rocblas_syrkx_herkx_small_restrict_kernelIl19rocblas_complex_numIfELi16ELb0ELb0ELc67ELc76EKS1_S1_EviT_T0_PT6_S3_lS6_S3_lS4_PT7_S3_li,"axG",@progbits,_ZL41rocblas_syrkx_herkx_small_restrict_kernelIl19rocblas_complex_numIfELi16ELb0ELb0ELc67ELc76EKS1_S1_EviT_T0_PT6_S3_lS6_S3_lS4_PT7_S3_li,comdat
	.globl	_ZL41rocblas_syrkx_herkx_small_restrict_kernelIl19rocblas_complex_numIfELi16ELb0ELb0ELc67ELc76EKS1_S1_EviT_T0_PT6_S3_lS6_S3_lS4_PT7_S3_li ; -- Begin function _ZL41rocblas_syrkx_herkx_small_restrict_kernelIl19rocblas_complex_numIfELi16ELb0ELb0ELc67ELc76EKS1_S1_EviT_T0_PT6_S3_lS6_S3_lS4_PT7_S3_li
	.p2align	8
	.type	_ZL41rocblas_syrkx_herkx_small_restrict_kernelIl19rocblas_complex_numIfELi16ELb0ELb0ELc67ELc76EKS1_S1_EviT_T0_PT6_S3_lS6_S3_lS4_PT7_S3_li,@function
_ZL41rocblas_syrkx_herkx_small_restrict_kernelIl19rocblas_complex_numIfELi16ELb0ELb0ELc67ELc76EKS1_S1_EviT_T0_PT6_S3_lS6_S3_lS4_PT7_S3_li: ; @_ZL41rocblas_syrkx_herkx_small_restrict_kernelIl19rocblas_complex_numIfELi16ELb0ELb0ELc67ELc76EKS1_S1_EviT_T0_PT6_S3_lS6_S3_lS4_PT7_S3_li
; %bb.0:
	s_load_b512 s[16:31], s[0:1], 0x8
	v_dual_mov_b32 v12, 0 :: v_dual_and_b32 v3, 0x3ff, v0
	v_bfe_u32 v2, v0, 10, 10
	v_mov_b32_e32 v13, 0
	s_delay_alu instid0(VALU_DEP_3) | instskip(NEXT) | instid1(VALU_DEP_3)
	v_lshl_add_u32 v0, s13, 4, v3
	v_lshl_add_u32 v6, s14, 4, v2
	s_delay_alu instid0(VALU_DEP_2) | instskip(NEXT) | instid1(VALU_DEP_2)
	v_ashrrev_i32_e32 v1, 31, v0
	v_ashrrev_i32_e32 v7, 31, v6
	s_waitcnt lgkmcnt(0)
	v_cmp_lt_i64_e64 s2, s[16:17], 1
	s_delay_alu instid0(VALU_DEP_1)
	s_and_b32 vcc_lo, exec_lo, s2
	s_cbranch_vccnz .LBB1123_3
; %bb.1:
	v_mul_lo_u32 v15, s23, v0
	v_mul_lo_u32 v16, s22, v1
	v_mad_u64_u32 v[12:13], null, s22, v0, 0
	v_mul_lo_u32 v10, s29, v6
	v_mul_lo_u32 v11, s28, v7
	v_mad_u64_u32 v[4:5], null, s28, v6, 0
	s_mul_i32 s4, s25, s15
	s_mul_hi_u32 s5, s24, s15
	s_delay_alu instid0(VALU_DEP_4) | instskip(SKIP_3) | instid1(VALU_DEP_3)
	v_add3_u32 v13, v13, v16, v15
	s_add_i32 s5, s5, s4
	s_mul_i32 s4, s24, s15
	v_lshlrev_b32_e32 v8, 3, v3
	v_add3_u32 v5, v5, v11, v10
	v_lshlrev_b64 v[12:13], 3, v[12:13]
	s_mul_i32 s2, s31, s15
	s_mul_hi_u32 s3, s30, s15
	s_lshl_b64 s[4:5], s[4:5], 3
	v_lshlrev_b64 v[3:4], 3, v[4:5]
	s_add_i32 s3, s3, s2
	s_mul_i32 s2, s30, s15
	v_add_co_u32 v5, vcc_lo, v12, s4
	v_lshlrev_b32_e32 v14, 7, v2
	s_lshl_b64 s[2:3], s[2:3], 3
	v_lshlrev_b32_e32 v2, 3, v2
	v_add_co_ci_u32_e32 v12, vcc_lo, s5, v13, vcc_lo
	v_mov_b32_e32 v13, 0
	v_add_co_u32 v3, vcc_lo, v3, s2
	v_add_co_ci_u32_e32 v4, vcc_lo, s3, v4, vcc_lo
	v_add_co_u32 v2, vcc_lo, v5, v2
	v_add_co_ci_u32_e32 v5, vcc_lo, 0, v12, vcc_lo
	s_delay_alu instid0(VALU_DEP_4) | instskip(NEXT) | instid1(VALU_DEP_4)
	v_add_co_u32 v3, vcc_lo, v3, v8
	v_add_co_ci_u32_e32 v4, vcc_lo, 0, v4, vcc_lo
	s_delay_alu instid0(VALU_DEP_4) | instskip(NEXT) | instid1(VALU_DEP_4)
	v_add_co_u32 v12, vcc_lo, v2, s20
	v_add_co_ci_u32_e32 v5, vcc_lo, s21, v5, vcc_lo
	v_add_nc_u32_e32 v9, 0x800, v14
	v_add_co_u32 v2, vcc_lo, s26, v3
	v_add_co_ci_u32_e32 v3, vcc_lo, s27, v4, vcc_lo
	v_add_co_u32 v4, vcc_lo, v12, 4
	v_mov_b32_e32 v12, 0
	v_add_nc_u32_e32 v10, v8, v14
	v_add_nc_u32_e32 v11, v9, v8
	v_add_co_ci_u32_e32 v5, vcc_lo, 0, v5, vcc_lo
	s_mov_b64 s[2:3], 0
.LBB1123_2:                             ; =>This Inner Loop Header: Depth=1
	global_load_b64 v[14:15], v[4:5], off offset:-4
	global_load_b64 v[16:17], v[2:3], off
	s_add_u32 s2, s2, 16
	v_add_co_u32 v2, vcc_lo, 0x80, v2
	s_addc_u32 s3, s3, 0
	v_add_co_ci_u32_e32 v3, vcc_lo, 0, v3, vcc_lo
	v_cmp_lt_i64_e64 s4, s[2:3], s[16:17]
	v_add_co_u32 v4, vcc_lo, 0x80, v4
	v_add_co_ci_u32_e32 v5, vcc_lo, 0, v5, vcc_lo
	s_waitcnt vmcnt(1)
	ds_store_b64 v10, v[14:15]
	s_waitcnt vmcnt(0)
	ds_store_b64 v11, v[16:17]
	s_waitcnt lgkmcnt(0)
	s_barrier
	buffer_gl0_inv
	ds_load_2addr_b64 v[14:17], v8 offset1:16
	ds_load_b128 v[18:21], v9
	ds_load_b128 v[22:25], v9 offset:16
	ds_load_2addr_b64 v[26:29], v8 offset0:32 offset1:48
	ds_load_2addr_b64 v[30:33], v8 offset0:64 offset1:80
	ds_load_b128 v[34:37], v9 offset:32
	ds_load_b128 v[38:41], v9 offset:48
	ds_load_2addr_b64 v[42:45], v8 offset0:96 offset1:112
	ds_load_2addr_b64 v[46:49], v8 offset0:128 offset1:144
	;; [unrolled: 1-line block ×3, first 2 shown]
	ds_load_b128 v[54:57], v9 offset:64
	ds_load_b128 v[58:61], v9 offset:80
	ds_load_2addr_b64 v[62:65], v8 offset0:192 offset1:208
	ds_load_2addr_b64 v[66:69], v8 offset0:224 offset1:240
	ds_load_b128 v[70:73], v9 offset:96
	ds_load_b128 v[74:77], v9 offset:112
	s_and_b32 vcc_lo, exec_lo, s4
	s_waitcnt lgkmcnt(0)
	s_barrier
	buffer_gl0_inv
	v_dual_mul_f32 v78, v19, v15 :: v_dual_mul_f32 v79, v21, v17
	v_mul_f32_e32 v15, v18, v15
	v_dual_mul_f32 v17, v20, v17 :: v_dual_mul_f32 v80, v23, v27
	v_mul_f32_e32 v27, v22, v27
	s_delay_alu instid0(VALU_DEP_4) | instskip(SKIP_1) | instid1(VALU_DEP_4)
	v_fma_f32 v18, v18, v14, -v78
	v_dual_mul_f32 v81, v25, v29 :: v_dual_mul_f32 v82, v35, v31
	v_fmac_f32_e32 v17, v21, v16
	s_delay_alu instid0(VALU_DEP_4) | instskip(SKIP_4) | instid1(VALU_DEP_4)
	v_fmac_f32_e32 v27, v23, v26
	v_fmac_f32_e32 v15, v19, v14
	v_mul_f32_e32 v85, v41, v45
	v_dual_mul_f32 v29, v24, v29 :: v_dual_mul_f32 v84, v39, v43
	v_mul_f32_e32 v45, v40, v45
	v_add_f32_e32 v12, v12, v15
	v_mul_f32_e32 v31, v34, v31
	v_dual_add_f32 v13, v13, v18 :: v_dual_mul_f32 v18, v74, v67
	v_mul_f32_e32 v19, v56, v49
	s_delay_alu instid0(VALU_DEP_4) | instskip(SKIP_1) | instid1(VALU_DEP_3)
	v_add_f32_e32 v12, v12, v17
	v_dual_mul_f32 v83, v37, v33 :: v_dual_mul_f32 v86, v55, v47
	v_dual_fmac_f32 v18, v75, v66 :: v_dual_fmac_f32 v19, v57, v48
	s_delay_alu instid0(VALU_DEP_3) | instskip(SKIP_3) | instid1(VALU_DEP_4)
	v_dual_fmac_f32 v29, v25, v28 :: v_dual_add_f32 v12, v12, v27
	v_mul_f32_e32 v33, v36, v33
	v_mul_f32_e32 v47, v54, v47
	v_fmac_f32_e32 v31, v35, v30
	v_dual_mul_f32 v43, v38, v43 :: v_dual_add_f32 v12, v12, v29
	v_fma_f32 v14, v20, v16, -v79
	v_dual_mul_f32 v20, v59, v51 :: v_dual_fmac_f32 v33, v37, v32
	v_mul_f32_e32 v16, v57, v49
	s_delay_alu instid0(VALU_DEP_4) | instskip(SKIP_3) | instid1(VALU_DEP_4)
	v_add_f32_e32 v12, v12, v31
	v_mul_f32_e32 v21, v58, v51
	v_add_f32_e32 v13, v13, v14
	v_dual_mul_f32 v14, v77, v69 :: v_dual_fmac_f32 v43, v39, v42
	v_add_f32_e32 v12, v12, v33
	v_mul_f32_e32 v49, v61, v53
	v_fmac_f32_e32 v45, v41, v44
	v_mul_f32_e32 v51, v60, v53
	s_delay_alu instid0(VALU_DEP_4) | instskip(SKIP_2) | instid1(VALU_DEP_4)
	v_dual_fmac_f32 v47, v55, v46 :: v_dual_add_f32 v12, v12, v43
	v_mul_f32_e32 v53, v71, v63
	v_fmac_f32_e32 v21, v59, v50
	v_fmac_f32_e32 v51, v61, v52
	v_mul_f32_e32 v25, v72, v65
	v_add_f32_e32 v12, v12, v45
	v_fma_f32 v22, v22, v26, -v80
	v_mul_f32_e32 v17, v76, v69
	v_fma_f32 v23, v24, v28, -v81
	s_delay_alu instid0(VALU_DEP_4) | instskip(SKIP_1) | instid1(VALU_DEP_4)
	v_dual_fmac_f32 v25, v73, v64 :: v_dual_add_f32 v12, v12, v47
	v_fma_f32 v16, v56, v48, -v16
	v_fmac_f32_e32 v17, v77, v68
	v_fma_f32 v20, v58, v50, -v20
	v_mul_f32_e32 v24, v73, v65
	v_add_f32_e32 v12, v12, v19
	v_mul_f32_e32 v63, v70, v63
	v_fma_f32 v19, v70, v62, -v53
	v_fma_f32 v14, v76, v68, -v14
	s_delay_alu instid0(VALU_DEP_3) | instskip(NEXT) | instid1(VALU_DEP_1)
	v_dual_add_f32 v12, v12, v21 :: v_dual_fmac_f32 v63, v71, v62
	v_add_f32_e32 v12, v12, v51
	s_delay_alu instid0(VALU_DEP_1) | instskip(NEXT) | instid1(VALU_DEP_1)
	v_add_f32_e32 v12, v12, v63
	v_dual_mul_f32 v15, v75, v67 :: v_dual_add_f32 v12, v12, v25
	s_delay_alu instid0(VALU_DEP_1) | instskip(NEXT) | instid1(VALU_DEP_2)
	v_fma_f32 v15, v74, v66, -v15
	v_add_f32_e32 v12, v12, v18
	v_add_f32_e32 v13, v13, v22
	v_fma_f32 v22, v34, v30, -v82
	s_delay_alu instid0(VALU_DEP_2) | instskip(SKIP_1) | instid1(VALU_DEP_2)
	v_dual_add_f32 v12, v12, v17 :: v_dual_add_f32 v13, v13, v23
	v_fma_f32 v23, v36, v32, -v83
	v_add_f32_e32 v13, v13, v22
	v_fma_f32 v22, v38, v42, -v84
	s_delay_alu instid0(VALU_DEP_2) | instskip(SKIP_1) | instid1(VALU_DEP_2)
	v_add_f32_e32 v13, v13, v23
	v_fma_f32 v23, v40, v44, -v85
	v_add_f32_e32 v13, v13, v22
	v_fma_f32 v22, v54, v46, -v86
	s_delay_alu instid0(VALU_DEP_2) | instskip(NEXT) | instid1(VALU_DEP_1)
	v_add_f32_e32 v13, v13, v23
	v_add_f32_e32 v13, v13, v22
	s_delay_alu instid0(VALU_DEP_1) | instskip(SKIP_1) | instid1(VALU_DEP_2)
	v_add_f32_e32 v13, v13, v16
	v_fma_f32 v16, v60, v52, -v49
	v_add_f32_e32 v13, v13, v20
	s_delay_alu instid0(VALU_DEP_1) | instskip(SKIP_1) | instid1(VALU_DEP_2)
	v_add_f32_e32 v13, v13, v16
	v_fma_f32 v16, v72, v64, -v24
	v_add_f32_e32 v13, v13, v19
	s_delay_alu instid0(VALU_DEP_1) | instskip(NEXT) | instid1(VALU_DEP_1)
	v_add_f32_e32 v13, v13, v16
	v_add_f32_e32 v13, v13, v15
	s_delay_alu instid0(VALU_DEP_1)
	v_add_f32_e32 v13, v13, v14
	s_cbranch_vccnz .LBB1123_2
.LBB1123_3:
	s_load_b256 s[0:7], s[0:1], 0x48
	s_mov_b32 s8, exec_lo
	v_cmpx_le_i32_e64 v6, v0
	s_cbranch_execz .LBB1123_5
; %bb.4:
	s_waitcnt lgkmcnt(0)
	v_mul_lo_u32 v4, v6, s5
	v_mul_lo_u32 v5, v7, s4
	v_mad_u64_u32 v[2:3], null, v6, s4, 0
	s_mul_i32 s5, s15, s7
	s_mul_hi_u32 s7, s15, s6
	s_mul_i32 s4, s15, s6
	s_add_i32 s5, s7, s5
	v_lshlrev_b64 v[0:1], 3, v[0:1]
	s_lshl_b64 s[4:5], s[4:5], 3
	s_delay_alu instid0(VALU_DEP_2) | instskip(SKIP_2) | instid1(VALU_DEP_1)
	v_add3_u32 v3, v3, v4, v5
	s_add_u32 s2, s2, s4
	s_addc_u32 s3, s3, s5
	v_lshlrev_b64 v[2:3], 3, v[2:3]
	s_delay_alu instid0(VALU_DEP_1) | instskip(NEXT) | instid1(VALU_DEP_2)
	v_add_co_u32 v2, vcc_lo, s2, v2
	v_add_co_ci_u32_e32 v3, vcc_lo, s3, v3, vcc_lo
	s_delay_alu instid0(VALU_DEP_2) | instskip(NEXT) | instid1(VALU_DEP_2)
	v_add_co_u32 v0, vcc_lo, v2, v0
	v_add_co_ci_u32_e32 v1, vcc_lo, v3, v1, vcc_lo
	global_load_b64 v[2:3], v[0:1], off
	v_mul_f32_e32 v4, s19, v12
	s_waitcnt vmcnt(0)
	v_dual_mul_f32 v5, s18, v12 :: v_dual_mul_f32 v6, s1, v3
	v_mul_f32_e32 v3, s0, v3
	s_delay_alu instid0(VALU_DEP_3) | instskip(NEXT) | instid1(VALU_DEP_3)
	v_fma_f32 v4, v13, s18, -v4
	v_fma_f32 v6, v2, s0, -v6
	s_delay_alu instid0(VALU_DEP_4) | instskip(NEXT) | instid1(VALU_DEP_4)
	v_fmac_f32_e32 v5, s19, v13
	v_fmac_f32_e32 v3, s1, v2
	s_delay_alu instid0(VALU_DEP_1)
	v_dual_add_f32 v2, v4, v6 :: v_dual_add_f32 v3, v5, v3
	global_store_b64 v[0:1], v[2:3], off
.LBB1123_5:
	s_nop 0
	s_sendmsg sendmsg(MSG_DEALLOC_VGPRS)
	s_endpgm
	.section	.rodata,"a",@progbits
	.p2align	6, 0x0
	.amdhsa_kernel _ZL41rocblas_syrkx_herkx_small_restrict_kernelIl19rocblas_complex_numIfELi16ELb0ELb0ELc67ELc76EKS1_S1_EviT_T0_PT6_S3_lS6_S3_lS4_PT7_S3_li
		.amdhsa_group_segment_fixed_size 4096
		.amdhsa_private_segment_fixed_size 0
		.amdhsa_kernarg_size 108
		.amdhsa_user_sgpr_count 13
		.amdhsa_user_sgpr_dispatch_ptr 0
		.amdhsa_user_sgpr_queue_ptr 0
		.amdhsa_user_sgpr_kernarg_segment_ptr 1
		.amdhsa_user_sgpr_dispatch_id 0
		.amdhsa_user_sgpr_private_segment_size 0
		.amdhsa_wavefront_size32 1
		.amdhsa_uses_dynamic_stack 0
		.amdhsa_enable_private_segment 0
		.amdhsa_system_sgpr_workgroup_id_x 1
		.amdhsa_system_sgpr_workgroup_id_y 1
		.amdhsa_system_sgpr_workgroup_id_z 1
		.amdhsa_system_sgpr_workgroup_info 0
		.amdhsa_system_vgpr_workitem_id 1
		.amdhsa_next_free_vgpr 87
		.amdhsa_next_free_sgpr 32
		.amdhsa_reserve_vcc 1
		.amdhsa_float_round_mode_32 0
		.amdhsa_float_round_mode_16_64 0
		.amdhsa_float_denorm_mode_32 3
		.amdhsa_float_denorm_mode_16_64 3
		.amdhsa_dx10_clamp 1
		.amdhsa_ieee_mode 1
		.amdhsa_fp16_overflow 0
		.amdhsa_workgroup_processor_mode 1
		.amdhsa_memory_ordered 1
		.amdhsa_forward_progress 0
		.amdhsa_shared_vgpr_count 0
		.amdhsa_exception_fp_ieee_invalid_op 0
		.amdhsa_exception_fp_denorm_src 0
		.amdhsa_exception_fp_ieee_div_zero 0
		.amdhsa_exception_fp_ieee_overflow 0
		.amdhsa_exception_fp_ieee_underflow 0
		.amdhsa_exception_fp_ieee_inexact 0
		.amdhsa_exception_int_div_zero 0
	.end_amdhsa_kernel
	.section	.text._ZL41rocblas_syrkx_herkx_small_restrict_kernelIl19rocblas_complex_numIfELi16ELb0ELb0ELc67ELc76EKS1_S1_EviT_T0_PT6_S3_lS6_S3_lS4_PT7_S3_li,"axG",@progbits,_ZL41rocblas_syrkx_herkx_small_restrict_kernelIl19rocblas_complex_numIfELi16ELb0ELb0ELc67ELc76EKS1_S1_EviT_T0_PT6_S3_lS6_S3_lS4_PT7_S3_li,comdat
.Lfunc_end1123:
	.size	_ZL41rocblas_syrkx_herkx_small_restrict_kernelIl19rocblas_complex_numIfELi16ELb0ELb0ELc67ELc76EKS1_S1_EviT_T0_PT6_S3_lS6_S3_lS4_PT7_S3_li, .Lfunc_end1123-_ZL41rocblas_syrkx_herkx_small_restrict_kernelIl19rocblas_complex_numIfELi16ELb0ELb0ELc67ELc76EKS1_S1_EviT_T0_PT6_S3_lS6_S3_lS4_PT7_S3_li
                                        ; -- End function
	.section	.AMDGPU.csdata,"",@progbits
; Kernel info:
; codeLenInByte = 1348
; NumSgprs: 34
; NumVgprs: 87
; ScratchSize: 0
; MemoryBound: 0
; FloatMode: 240
; IeeeMode: 1
; LDSByteSize: 4096 bytes/workgroup (compile time only)
; SGPRBlocks: 4
; VGPRBlocks: 10
; NumSGPRsForWavesPerEU: 34
; NumVGPRsForWavesPerEU: 87
; Occupancy: 16
; WaveLimiterHint : 0
; COMPUTE_PGM_RSRC2:SCRATCH_EN: 0
; COMPUTE_PGM_RSRC2:USER_SGPR: 13
; COMPUTE_PGM_RSRC2:TRAP_HANDLER: 0
; COMPUTE_PGM_RSRC2:TGID_X_EN: 1
; COMPUTE_PGM_RSRC2:TGID_Y_EN: 1
; COMPUTE_PGM_RSRC2:TGID_Z_EN: 1
; COMPUTE_PGM_RSRC2:TIDIG_COMP_CNT: 1
	.section	.text._ZL41rocblas_syrkx_herkx_small_restrict_kernelIl19rocblas_complex_numIfELi16ELb0ELb0ELc78ELc76EKS1_S1_EviT_T0_PT6_S3_lS6_S3_lS4_PT7_S3_li,"axG",@progbits,_ZL41rocblas_syrkx_herkx_small_restrict_kernelIl19rocblas_complex_numIfELi16ELb0ELb0ELc78ELc76EKS1_S1_EviT_T0_PT6_S3_lS6_S3_lS4_PT7_S3_li,comdat
	.globl	_ZL41rocblas_syrkx_herkx_small_restrict_kernelIl19rocblas_complex_numIfELi16ELb0ELb0ELc78ELc76EKS1_S1_EviT_T0_PT6_S3_lS6_S3_lS4_PT7_S3_li ; -- Begin function _ZL41rocblas_syrkx_herkx_small_restrict_kernelIl19rocblas_complex_numIfELi16ELb0ELb0ELc78ELc76EKS1_S1_EviT_T0_PT6_S3_lS6_S3_lS4_PT7_S3_li
	.p2align	8
	.type	_ZL41rocblas_syrkx_herkx_small_restrict_kernelIl19rocblas_complex_numIfELi16ELb0ELb0ELc78ELc76EKS1_S1_EviT_T0_PT6_S3_lS6_S3_lS4_PT7_S3_li,@function
_ZL41rocblas_syrkx_herkx_small_restrict_kernelIl19rocblas_complex_numIfELi16ELb0ELb0ELc78ELc76EKS1_S1_EviT_T0_PT6_S3_lS6_S3_lS4_PT7_S3_li: ; @_ZL41rocblas_syrkx_herkx_small_restrict_kernelIl19rocblas_complex_numIfELi16ELb0ELb0ELc78ELc76EKS1_S1_EviT_T0_PT6_S3_lS6_S3_lS4_PT7_S3_li
; %bb.0:
	s_load_b512 s[16:31], s[0:1], 0x8
	v_dual_mov_b32 v12, 0 :: v_dual_and_b32 v5, 0x3ff, v0
	v_bfe_u32 v4, v0, 10, 10
	v_mov_b32_e32 v13, 0
	s_delay_alu instid0(VALU_DEP_3) | instskip(NEXT) | instid1(VALU_DEP_3)
	v_lshl_add_u32 v0, s13, 4, v5
	v_lshl_add_u32 v2, s14, 4, v4
	s_delay_alu instid0(VALU_DEP_2) | instskip(NEXT) | instid1(VALU_DEP_2)
	v_ashrrev_i32_e32 v1, 31, v0
	v_ashrrev_i32_e32 v3, 31, v2
	s_waitcnt lgkmcnt(0)
	v_cmp_lt_i64_e64 s2, s[16:17], 1
	s_delay_alu instid0(VALU_DEP_1)
	s_and_b32 vcc_lo, exec_lo, s2
	s_cbranch_vccnz .LBB1124_3
; %bb.1:
	v_mad_u64_u32 v[6:7], null, s28, v5, 0
	v_mad_u64_u32 v[12:13], null, s22, v4, 0
	v_lshlrev_b32_e32 v8, 3, v5
	v_lshlrev_b32_e32 v11, 7, v4
	s_mul_i32 s3, s31, s15
	s_mul_hi_u32 s5, s30, s15
	s_mul_i32 s2, s30, s15
	s_delay_alu instid0(VALU_DEP_4) | instskip(NEXT) | instid1(VALU_DEP_4)
	v_mad_u64_u32 v[9:10], null, s29, v5, v[7:8]
	v_mov_b32_e32 v5, v13
	s_add_i32 s3, s5, s3
	v_lshlrev_b64 v[14:15], 3, v[2:3]
	s_lshl_b64 s[2:3], s[2:3], 3
	s_mul_i32 s6, s25, s15
	v_mad_u64_u32 v[16:17], null, s23, v4, v[5:6]
	s_delay_alu instid0(VALU_DEP_4)
	v_mov_b32_e32 v7, v9
	s_mul_hi_u32 s7, s24, s15
	s_mul_i32 s4, s24, s15
	s_add_i32 s5, s7, s6
	s_mov_b64 s[6:7], 0
	v_lshlrev_b64 v[4:5], 3, v[6:7]
	s_delay_alu instid0(VALU_DEP_3) | instskip(SKIP_1) | instid1(VALU_DEP_2)
	v_mov_b32_e32 v13, v16
	s_lshl_b64 s[4:5], s[4:5], 3
	v_add_co_u32 v6, vcc_lo, s2, v4
	s_delay_alu instid0(VALU_DEP_3) | instskip(NEXT) | instid1(VALU_DEP_3)
	v_add_co_ci_u32_e32 v7, vcc_lo, s3, v5, vcc_lo
	v_lshlrev_b64 v[4:5], 3, v[12:13]
	s_delay_alu instid0(VALU_DEP_3) | instskip(NEXT) | instid1(VALU_DEP_3)
	v_add_co_u32 v6, vcc_lo, v6, v14
	v_add_co_ci_u32_e32 v7, vcc_lo, v7, v15, vcc_lo
	s_lshl_b64 s[2:3], s[28:29], 7
	s_delay_alu instid0(VALU_DEP_3) | instskip(NEXT) | instid1(VALU_DEP_4)
	v_add_co_u32 v12, vcc_lo, s4, v4
	v_add_co_ci_u32_e32 v13, vcc_lo, s5, v5, vcc_lo
	v_lshlrev_b64 v[4:5], 3, v[0:1]
	v_add_co_u32 v6, vcc_lo, v6, s26
	v_add_co_ci_u32_e32 v7, vcc_lo, s27, v7, vcc_lo
	s_lshl_b64 s[4:5], s[22:23], 7
	s_delay_alu instid0(VALU_DEP_3) | instskip(NEXT) | instid1(VALU_DEP_4)
	v_add_co_u32 v12, vcc_lo, v12, v4
	v_add_co_ci_u32_e32 v13, vcc_lo, v13, v5, vcc_lo
	v_add_co_u32 v4, vcc_lo, v6, 4
	v_add_co_ci_u32_e32 v5, vcc_lo, 0, v7, vcc_lo
	s_delay_alu instid0(VALU_DEP_4)
	v_add_co_u32 v6, vcc_lo, s20, v12
	v_mov_b32_e32 v12, 0
	v_add_nc_u32_e32 v10, v8, v11
	v_add_nc_u32_e32 v9, 0x800, v11
	v_add_co_ci_u32_e32 v7, vcc_lo, s21, v13, vcc_lo
	v_mov_b32_e32 v13, 0
	s_delay_alu instid0(VALU_DEP_3)
	v_add_nc_u32_e32 v11, v9, v8
.LBB1124_2:                             ; =>This Inner Loop Header: Depth=1
	global_load_b64 v[14:15], v[6:7], off
	global_load_b64 v[16:17], v[4:5], off offset:-4
	s_add_u32 s6, s6, 16
	v_add_co_u32 v4, vcc_lo, v4, s2
	s_addc_u32 s7, s7, 0
	v_add_co_ci_u32_e32 v5, vcc_lo, s3, v5, vcc_lo
	v_cmp_lt_i64_e64 s8, s[6:7], s[16:17]
	v_add_co_u32 v6, vcc_lo, v6, s4
	v_add_co_ci_u32_e32 v7, vcc_lo, s5, v7, vcc_lo
	s_waitcnt vmcnt(1)
	ds_store_b64 v10, v[14:15]
	s_waitcnt vmcnt(0)
	ds_store_b64 v11, v[16:17]
	s_waitcnt lgkmcnt(0)
	s_barrier
	buffer_gl0_inv
	ds_load_2addr_b64 v[14:17], v8 offset1:16
	ds_load_b128 v[18:21], v9
	ds_load_b128 v[22:25], v9 offset:16
	ds_load_2addr_b64 v[26:29], v8 offset0:32 offset1:48
	ds_load_2addr_b64 v[30:33], v8 offset0:64 offset1:80
	ds_load_b128 v[34:37], v9 offset:32
	ds_load_b128 v[38:41], v9 offset:48
	ds_load_2addr_b64 v[42:45], v8 offset0:96 offset1:112
	ds_load_2addr_b64 v[46:49], v8 offset0:128 offset1:144
	ds_load_2addr_b64 v[50:53], v8 offset0:160 offset1:176
	ds_load_b128 v[54:57], v9 offset:64
	ds_load_b128 v[58:61], v9 offset:80
	ds_load_2addr_b64 v[62:65], v8 offset0:192 offset1:208
	ds_load_2addr_b64 v[66:69], v8 offset0:224 offset1:240
	ds_load_b128 v[70:73], v9 offset:96
	ds_load_b128 v[74:77], v9 offset:112
	s_and_b32 vcc_lo, exec_lo, s8
	s_waitcnt lgkmcnt(0)
	s_barrier
	buffer_gl0_inv
	v_dual_mul_f32 v78, v19, v15 :: v_dual_mul_f32 v79, v21, v17
	v_mul_f32_e32 v15, v18, v15
	v_dual_mul_f32 v17, v20, v17 :: v_dual_mul_f32 v80, v23, v27
	v_mul_f32_e32 v27, v22, v27
	s_delay_alu instid0(VALU_DEP_4) | instskip(SKIP_1) | instid1(VALU_DEP_4)
	v_fma_f32 v18, v18, v14, -v78
	v_dual_mul_f32 v81, v25, v29 :: v_dual_mul_f32 v82, v35, v31
	v_fmac_f32_e32 v17, v21, v16
	s_delay_alu instid0(VALU_DEP_4) | instskip(SKIP_4) | instid1(VALU_DEP_4)
	v_fmac_f32_e32 v27, v23, v26
	v_fmac_f32_e32 v15, v19, v14
	v_mul_f32_e32 v85, v41, v45
	v_dual_mul_f32 v29, v24, v29 :: v_dual_mul_f32 v84, v39, v43
	v_mul_f32_e32 v45, v40, v45
	v_add_f32_e32 v12, v12, v15
	v_mul_f32_e32 v31, v34, v31
	v_dual_add_f32 v13, v13, v18 :: v_dual_mul_f32 v18, v74, v67
	v_mul_f32_e32 v19, v56, v49
	s_delay_alu instid0(VALU_DEP_4) | instskip(SKIP_1) | instid1(VALU_DEP_3)
	v_add_f32_e32 v12, v12, v17
	v_dual_mul_f32 v83, v37, v33 :: v_dual_mul_f32 v86, v55, v47
	v_dual_fmac_f32 v18, v75, v66 :: v_dual_fmac_f32 v19, v57, v48
	s_delay_alu instid0(VALU_DEP_3) | instskip(SKIP_3) | instid1(VALU_DEP_4)
	v_dual_fmac_f32 v29, v25, v28 :: v_dual_add_f32 v12, v12, v27
	v_mul_f32_e32 v33, v36, v33
	v_mul_f32_e32 v47, v54, v47
	v_fmac_f32_e32 v31, v35, v30
	v_dual_mul_f32 v43, v38, v43 :: v_dual_add_f32 v12, v12, v29
	v_fma_f32 v14, v20, v16, -v79
	v_dual_mul_f32 v20, v59, v51 :: v_dual_fmac_f32 v33, v37, v32
	v_mul_f32_e32 v16, v57, v49
	s_delay_alu instid0(VALU_DEP_4) | instskip(SKIP_3) | instid1(VALU_DEP_4)
	v_add_f32_e32 v12, v12, v31
	v_mul_f32_e32 v21, v58, v51
	v_add_f32_e32 v13, v13, v14
	v_dual_mul_f32 v14, v77, v69 :: v_dual_fmac_f32 v43, v39, v42
	v_add_f32_e32 v12, v12, v33
	v_mul_f32_e32 v49, v61, v53
	v_fmac_f32_e32 v45, v41, v44
	v_mul_f32_e32 v51, v60, v53
	s_delay_alu instid0(VALU_DEP_4) | instskip(SKIP_2) | instid1(VALU_DEP_4)
	v_dual_fmac_f32 v47, v55, v46 :: v_dual_add_f32 v12, v12, v43
	v_mul_f32_e32 v53, v71, v63
	v_fmac_f32_e32 v21, v59, v50
	v_fmac_f32_e32 v51, v61, v52
	v_mul_f32_e32 v25, v72, v65
	v_add_f32_e32 v12, v12, v45
	v_fma_f32 v22, v22, v26, -v80
	v_mul_f32_e32 v17, v76, v69
	v_fma_f32 v23, v24, v28, -v81
	s_delay_alu instid0(VALU_DEP_4) | instskip(SKIP_1) | instid1(VALU_DEP_4)
	v_dual_fmac_f32 v25, v73, v64 :: v_dual_add_f32 v12, v12, v47
	v_fma_f32 v16, v56, v48, -v16
	v_fmac_f32_e32 v17, v77, v68
	v_fma_f32 v20, v58, v50, -v20
	v_mul_f32_e32 v24, v73, v65
	v_add_f32_e32 v12, v12, v19
	v_mul_f32_e32 v63, v70, v63
	v_fma_f32 v19, v70, v62, -v53
	v_fma_f32 v14, v76, v68, -v14
	s_delay_alu instid0(VALU_DEP_3) | instskip(NEXT) | instid1(VALU_DEP_1)
	v_dual_add_f32 v12, v12, v21 :: v_dual_fmac_f32 v63, v71, v62
	v_add_f32_e32 v12, v12, v51
	s_delay_alu instid0(VALU_DEP_1) | instskip(NEXT) | instid1(VALU_DEP_1)
	v_add_f32_e32 v12, v12, v63
	v_dual_mul_f32 v15, v75, v67 :: v_dual_add_f32 v12, v12, v25
	s_delay_alu instid0(VALU_DEP_1) | instskip(NEXT) | instid1(VALU_DEP_2)
	v_fma_f32 v15, v74, v66, -v15
	v_add_f32_e32 v12, v12, v18
	v_add_f32_e32 v13, v13, v22
	v_fma_f32 v22, v34, v30, -v82
	s_delay_alu instid0(VALU_DEP_2) | instskip(SKIP_1) | instid1(VALU_DEP_2)
	v_dual_add_f32 v12, v12, v17 :: v_dual_add_f32 v13, v13, v23
	v_fma_f32 v23, v36, v32, -v83
	v_add_f32_e32 v13, v13, v22
	v_fma_f32 v22, v38, v42, -v84
	s_delay_alu instid0(VALU_DEP_2) | instskip(SKIP_1) | instid1(VALU_DEP_2)
	v_add_f32_e32 v13, v13, v23
	v_fma_f32 v23, v40, v44, -v85
	v_add_f32_e32 v13, v13, v22
	v_fma_f32 v22, v54, v46, -v86
	s_delay_alu instid0(VALU_DEP_2) | instskip(NEXT) | instid1(VALU_DEP_1)
	v_add_f32_e32 v13, v13, v23
	v_add_f32_e32 v13, v13, v22
	s_delay_alu instid0(VALU_DEP_1) | instskip(SKIP_1) | instid1(VALU_DEP_2)
	v_add_f32_e32 v13, v13, v16
	v_fma_f32 v16, v60, v52, -v49
	v_add_f32_e32 v13, v13, v20
	s_delay_alu instid0(VALU_DEP_1) | instskip(SKIP_1) | instid1(VALU_DEP_2)
	v_add_f32_e32 v13, v13, v16
	v_fma_f32 v16, v72, v64, -v24
	v_add_f32_e32 v13, v13, v19
	s_delay_alu instid0(VALU_DEP_1) | instskip(NEXT) | instid1(VALU_DEP_1)
	v_add_f32_e32 v13, v13, v16
	v_add_f32_e32 v13, v13, v15
	s_delay_alu instid0(VALU_DEP_1)
	v_add_f32_e32 v13, v13, v14
	s_cbranch_vccnz .LBB1124_2
.LBB1124_3:
	s_load_b256 s[0:7], s[0:1], 0x48
	s_mov_b32 s8, exec_lo
	v_cmpx_le_i32_e64 v2, v0
	s_cbranch_execz .LBB1124_5
; %bb.4:
	s_waitcnt lgkmcnt(0)
	v_mul_lo_u32 v5, v2, s5
	v_mul_lo_u32 v6, v3, s4
	v_mad_u64_u32 v[3:4], null, v2, s4, 0
	s_mul_i32 s5, s15, s7
	s_mul_hi_u32 s7, s15, s6
	s_mul_i32 s4, s15, s6
	s_add_i32 s5, s7, s5
	v_lshlrev_b64 v[0:1], 3, v[0:1]
	s_lshl_b64 s[4:5], s[4:5], 3
	s_delay_alu instid0(VALU_DEP_2) | instskip(SKIP_2) | instid1(VALU_DEP_1)
	v_add3_u32 v4, v4, v5, v6
	s_add_u32 s2, s2, s4
	s_addc_u32 s3, s3, s5
	v_lshlrev_b64 v[2:3], 3, v[3:4]
	s_delay_alu instid0(VALU_DEP_1) | instskip(NEXT) | instid1(VALU_DEP_2)
	v_add_co_u32 v2, vcc_lo, s2, v2
	v_add_co_ci_u32_e32 v3, vcc_lo, s3, v3, vcc_lo
	s_delay_alu instid0(VALU_DEP_2) | instskip(NEXT) | instid1(VALU_DEP_2)
	v_add_co_u32 v0, vcc_lo, v2, v0
	v_add_co_ci_u32_e32 v1, vcc_lo, v3, v1, vcc_lo
	global_load_b64 v[2:3], v[0:1], off
	v_mul_f32_e32 v4, s19, v12
	s_waitcnt vmcnt(0)
	v_dual_mul_f32 v5, s18, v12 :: v_dual_mul_f32 v6, s1, v3
	v_mul_f32_e32 v3, s0, v3
	s_delay_alu instid0(VALU_DEP_3) | instskip(NEXT) | instid1(VALU_DEP_3)
	v_fma_f32 v4, v13, s18, -v4
	v_fma_f32 v6, v2, s0, -v6
	s_delay_alu instid0(VALU_DEP_4) | instskip(NEXT) | instid1(VALU_DEP_4)
	v_fmac_f32_e32 v5, s19, v13
	v_fmac_f32_e32 v3, s1, v2
	s_delay_alu instid0(VALU_DEP_1)
	v_dual_add_f32 v2, v4, v6 :: v_dual_add_f32 v3, v5, v3
	global_store_b64 v[0:1], v[2:3], off
.LBB1124_5:
	s_nop 0
	s_sendmsg sendmsg(MSG_DEALLOC_VGPRS)
	s_endpgm
	.section	.rodata,"a",@progbits
	.p2align	6, 0x0
	.amdhsa_kernel _ZL41rocblas_syrkx_herkx_small_restrict_kernelIl19rocblas_complex_numIfELi16ELb0ELb0ELc78ELc76EKS1_S1_EviT_T0_PT6_S3_lS6_S3_lS4_PT7_S3_li
		.amdhsa_group_segment_fixed_size 4096
		.amdhsa_private_segment_fixed_size 0
		.amdhsa_kernarg_size 108
		.amdhsa_user_sgpr_count 13
		.amdhsa_user_sgpr_dispatch_ptr 0
		.amdhsa_user_sgpr_queue_ptr 0
		.amdhsa_user_sgpr_kernarg_segment_ptr 1
		.amdhsa_user_sgpr_dispatch_id 0
		.amdhsa_user_sgpr_private_segment_size 0
		.amdhsa_wavefront_size32 1
		.amdhsa_uses_dynamic_stack 0
		.amdhsa_enable_private_segment 0
		.amdhsa_system_sgpr_workgroup_id_x 1
		.amdhsa_system_sgpr_workgroup_id_y 1
		.amdhsa_system_sgpr_workgroup_id_z 1
		.amdhsa_system_sgpr_workgroup_info 0
		.amdhsa_system_vgpr_workitem_id 1
		.amdhsa_next_free_vgpr 87
		.amdhsa_next_free_sgpr 32
		.amdhsa_reserve_vcc 1
		.amdhsa_float_round_mode_32 0
		.amdhsa_float_round_mode_16_64 0
		.amdhsa_float_denorm_mode_32 3
		.amdhsa_float_denorm_mode_16_64 3
		.amdhsa_dx10_clamp 1
		.amdhsa_ieee_mode 1
		.amdhsa_fp16_overflow 0
		.amdhsa_workgroup_processor_mode 1
		.amdhsa_memory_ordered 1
		.amdhsa_forward_progress 0
		.amdhsa_shared_vgpr_count 0
		.amdhsa_exception_fp_ieee_invalid_op 0
		.amdhsa_exception_fp_denorm_src 0
		.amdhsa_exception_fp_ieee_div_zero 0
		.amdhsa_exception_fp_ieee_overflow 0
		.amdhsa_exception_fp_ieee_underflow 0
		.amdhsa_exception_fp_ieee_inexact 0
		.amdhsa_exception_int_div_zero 0
	.end_amdhsa_kernel
	.section	.text._ZL41rocblas_syrkx_herkx_small_restrict_kernelIl19rocblas_complex_numIfELi16ELb0ELb0ELc78ELc76EKS1_S1_EviT_T0_PT6_S3_lS6_S3_lS4_PT7_S3_li,"axG",@progbits,_ZL41rocblas_syrkx_herkx_small_restrict_kernelIl19rocblas_complex_numIfELi16ELb0ELb0ELc78ELc76EKS1_S1_EviT_T0_PT6_S3_lS6_S3_lS4_PT7_S3_li,comdat
.Lfunc_end1124:
	.size	_ZL41rocblas_syrkx_herkx_small_restrict_kernelIl19rocblas_complex_numIfELi16ELb0ELb0ELc78ELc76EKS1_S1_EviT_T0_PT6_S3_lS6_S3_lS4_PT7_S3_li, .Lfunc_end1124-_ZL41rocblas_syrkx_herkx_small_restrict_kernelIl19rocblas_complex_numIfELi16ELb0ELb0ELc78ELc76EKS1_S1_EviT_T0_PT6_S3_lS6_S3_lS4_PT7_S3_li
                                        ; -- End function
	.section	.AMDGPU.csdata,"",@progbits
; Kernel info:
; codeLenInByte = 1364
; NumSgprs: 34
; NumVgprs: 87
; ScratchSize: 0
; MemoryBound: 0
; FloatMode: 240
; IeeeMode: 1
; LDSByteSize: 4096 bytes/workgroup (compile time only)
; SGPRBlocks: 4
; VGPRBlocks: 10
; NumSGPRsForWavesPerEU: 34
; NumVGPRsForWavesPerEU: 87
; Occupancy: 16
; WaveLimiterHint : 0
; COMPUTE_PGM_RSRC2:SCRATCH_EN: 0
; COMPUTE_PGM_RSRC2:USER_SGPR: 13
; COMPUTE_PGM_RSRC2:TRAP_HANDLER: 0
; COMPUTE_PGM_RSRC2:TGID_X_EN: 1
; COMPUTE_PGM_RSRC2:TGID_Y_EN: 1
; COMPUTE_PGM_RSRC2:TGID_Z_EN: 1
; COMPUTE_PGM_RSRC2:TIDIG_COMP_CNT: 1
	.section	.text._ZL41rocblas_syrkx_herkx_small_restrict_kernelIl19rocblas_complex_numIfELi16ELb0ELb0ELc84ELc85EKS1_S1_EviT_T0_PT6_S3_lS6_S3_lS4_PT7_S3_li,"axG",@progbits,_ZL41rocblas_syrkx_herkx_small_restrict_kernelIl19rocblas_complex_numIfELi16ELb0ELb0ELc84ELc85EKS1_S1_EviT_T0_PT6_S3_lS6_S3_lS4_PT7_S3_li,comdat
	.globl	_ZL41rocblas_syrkx_herkx_small_restrict_kernelIl19rocblas_complex_numIfELi16ELb0ELb0ELc84ELc85EKS1_S1_EviT_T0_PT6_S3_lS6_S3_lS4_PT7_S3_li ; -- Begin function _ZL41rocblas_syrkx_herkx_small_restrict_kernelIl19rocblas_complex_numIfELi16ELb0ELb0ELc84ELc85EKS1_S1_EviT_T0_PT6_S3_lS6_S3_lS4_PT7_S3_li
	.p2align	8
	.type	_ZL41rocblas_syrkx_herkx_small_restrict_kernelIl19rocblas_complex_numIfELi16ELb0ELb0ELc84ELc85EKS1_S1_EviT_T0_PT6_S3_lS6_S3_lS4_PT7_S3_li,@function
_ZL41rocblas_syrkx_herkx_small_restrict_kernelIl19rocblas_complex_numIfELi16ELb0ELb0ELc84ELc85EKS1_S1_EviT_T0_PT6_S3_lS6_S3_lS4_PT7_S3_li: ; @_ZL41rocblas_syrkx_herkx_small_restrict_kernelIl19rocblas_complex_numIfELi16ELb0ELb0ELc84ELc85EKS1_S1_EviT_T0_PT6_S3_lS6_S3_lS4_PT7_S3_li
; %bb.0:
	s_load_b512 s[16:31], s[0:1], 0x8
	v_dual_mov_b32 v12, 0 :: v_dual_and_b32 v3, 0x3ff, v0
	v_bfe_u32 v2, v0, 10, 10
	v_mov_b32_e32 v13, 0
	s_delay_alu instid0(VALU_DEP_3) | instskip(NEXT) | instid1(VALU_DEP_3)
	v_lshl_add_u32 v0, s13, 4, v3
	v_lshl_add_u32 v6, s14, 4, v2
	s_delay_alu instid0(VALU_DEP_2) | instskip(NEXT) | instid1(VALU_DEP_2)
	v_ashrrev_i32_e32 v1, 31, v0
	v_ashrrev_i32_e32 v7, 31, v6
	s_waitcnt lgkmcnt(0)
	v_cmp_lt_i64_e64 s2, s[16:17], 1
	s_delay_alu instid0(VALU_DEP_1)
	s_and_b32 vcc_lo, exec_lo, s2
	s_cbranch_vccnz .LBB1125_3
; %bb.1:
	v_mul_lo_u32 v11, s29, v6
	v_mul_lo_u32 v14, s28, v7
	v_mad_u64_u32 v[4:5], null, s28, v6, 0
	v_lshlrev_b32_e32 v8, 3, v3
	v_mul_lo_u32 v3, s23, v0
	v_mul_lo_u32 v15, s22, v1
	v_mad_u64_u32 v[12:13], null, s22, v0, 0
	s_mul_i32 s2, s31, s15
	v_add3_u32 v5, v5, v14, v11
	s_mul_hi_u32 s3, s30, s15
	s_mul_i32 s4, s25, s15
	s_add_i32 s3, s3, s2
	s_mul_i32 s2, s30, s15
	s_delay_alu instid0(VALU_DEP_2)
	v_add3_u32 v13, v13, v15, v3
	v_lshlrev_b64 v[3:4], 3, v[4:5]
	s_lshl_b64 s[2:3], s[2:3], 3
	s_mul_hi_u32 s5, s24, s15
	v_lshlrev_b32_e32 v10, 7, v2
	v_lshlrev_b64 v[12:13], 3, v[12:13]
	s_add_i32 s5, s5, s4
	s_mul_i32 s4, s24, s15
	v_add_co_u32 v3, vcc_lo, v3, s2
	v_add_co_ci_u32_e32 v4, vcc_lo, s3, v4, vcc_lo
	s_lshl_b64 s[2:3], s[4:5], 3
	v_lshlrev_b32_e32 v2, 3, v2
	v_add_co_u32 v5, vcc_lo, v12, s2
	v_add_co_ci_u32_e32 v12, vcc_lo, s3, v13, vcc_lo
	v_mov_b32_e32 v13, 0
	v_add_co_u32 v3, vcc_lo, v3, v8
	v_add_co_ci_u32_e32 v4, vcc_lo, 0, v4, vcc_lo
	v_add_co_u32 v5, vcc_lo, v5, v2
	v_add_co_ci_u32_e32 v12, vcc_lo, 0, v12, vcc_lo
	v_add_nc_u32_e32 v9, 0x800, v10
	v_add_co_u32 v2, vcc_lo, s26, v3
	v_add_co_ci_u32_e32 v3, vcc_lo, s27, v4, vcc_lo
	v_add_co_u32 v4, vcc_lo, s20, v5
	v_add_nc_u32_e32 v10, v8, v10
	v_add_co_ci_u32_e32 v5, vcc_lo, s21, v12, vcc_lo
	v_dual_mov_b32 v12, 0 :: v_dual_add_nc_u32 v11, v9, v8
	s_mov_b64 s[2:3], 0
.LBB1125_2:                             ; =>This Inner Loop Header: Depth=1
	global_load_b64 v[14:15], v[4:5], off
	global_load_b64 v[16:17], v[2:3], off
	s_add_u32 s2, s2, 16
	v_add_co_u32 v2, vcc_lo, 0x80, v2
	s_addc_u32 s3, s3, 0
	v_add_co_ci_u32_e32 v3, vcc_lo, 0, v3, vcc_lo
	v_cmp_lt_i64_e64 s4, s[2:3], s[16:17]
	v_add_co_u32 v4, vcc_lo, 0x80, v4
	v_add_co_ci_u32_e32 v5, vcc_lo, 0, v5, vcc_lo
	s_waitcnt vmcnt(1)
	ds_store_b64 v10, v[14:15]
	s_waitcnt vmcnt(0)
	ds_store_b64 v11, v[16:17]
	s_waitcnt lgkmcnt(0)
	s_barrier
	buffer_gl0_inv
	ds_load_2addr_b64 v[14:17], v8 offset1:16
	ds_load_b128 v[18:21], v9
	ds_load_b128 v[22:25], v9 offset:16
	ds_load_2addr_b64 v[26:29], v8 offset0:32 offset1:48
	ds_load_2addr_b64 v[30:33], v8 offset0:64 offset1:80
	ds_load_b128 v[34:37], v9 offset:32
	ds_load_b128 v[38:41], v9 offset:48
	ds_load_2addr_b64 v[42:45], v8 offset0:96 offset1:112
	ds_load_2addr_b64 v[46:49], v8 offset0:128 offset1:144
	;; [unrolled: 1-line block ×3, first 2 shown]
	ds_load_b128 v[54:57], v9 offset:64
	ds_load_b128 v[58:61], v9 offset:80
	ds_load_2addr_b64 v[62:65], v8 offset0:192 offset1:208
	ds_load_2addr_b64 v[66:69], v8 offset0:224 offset1:240
	ds_load_b128 v[70:73], v9 offset:96
	ds_load_b128 v[74:77], v9 offset:112
	s_and_b32 vcc_lo, exec_lo, s4
	s_waitcnt lgkmcnt(0)
	s_barrier
	buffer_gl0_inv
	v_dual_mul_f32 v78, v19, v15 :: v_dual_mul_f32 v79, v21, v17
	v_mul_f32_e32 v15, v18, v15
	v_dual_mul_f32 v17, v20, v17 :: v_dual_mul_f32 v80, v23, v27
	v_mul_f32_e32 v27, v22, v27
	s_delay_alu instid0(VALU_DEP_4) | instskip(SKIP_1) | instid1(VALU_DEP_4)
	v_fma_f32 v18, v18, v14, -v78
	v_dual_mul_f32 v81, v25, v29 :: v_dual_mul_f32 v82, v35, v31
	v_fmac_f32_e32 v17, v21, v16
	s_delay_alu instid0(VALU_DEP_4) | instskip(SKIP_4) | instid1(VALU_DEP_4)
	v_fmac_f32_e32 v27, v23, v26
	v_fmac_f32_e32 v15, v19, v14
	v_mul_f32_e32 v85, v41, v45
	v_dual_mul_f32 v29, v24, v29 :: v_dual_mul_f32 v84, v39, v43
	v_mul_f32_e32 v45, v40, v45
	v_add_f32_e32 v12, v12, v15
	v_mul_f32_e32 v31, v34, v31
	v_dual_add_f32 v13, v13, v18 :: v_dual_mul_f32 v18, v74, v67
	v_mul_f32_e32 v19, v56, v49
	s_delay_alu instid0(VALU_DEP_4) | instskip(SKIP_1) | instid1(VALU_DEP_3)
	v_add_f32_e32 v12, v12, v17
	v_dual_mul_f32 v83, v37, v33 :: v_dual_mul_f32 v86, v55, v47
	v_dual_fmac_f32 v18, v75, v66 :: v_dual_fmac_f32 v19, v57, v48
	s_delay_alu instid0(VALU_DEP_3) | instskip(SKIP_3) | instid1(VALU_DEP_4)
	v_dual_fmac_f32 v29, v25, v28 :: v_dual_add_f32 v12, v12, v27
	v_mul_f32_e32 v33, v36, v33
	v_mul_f32_e32 v47, v54, v47
	v_fmac_f32_e32 v31, v35, v30
	v_dual_mul_f32 v43, v38, v43 :: v_dual_add_f32 v12, v12, v29
	v_fma_f32 v14, v20, v16, -v79
	v_dual_mul_f32 v20, v59, v51 :: v_dual_fmac_f32 v33, v37, v32
	v_mul_f32_e32 v16, v57, v49
	s_delay_alu instid0(VALU_DEP_4) | instskip(SKIP_3) | instid1(VALU_DEP_4)
	v_add_f32_e32 v12, v12, v31
	v_mul_f32_e32 v21, v58, v51
	v_add_f32_e32 v13, v13, v14
	v_dual_mul_f32 v14, v77, v69 :: v_dual_fmac_f32 v43, v39, v42
	v_add_f32_e32 v12, v12, v33
	v_mul_f32_e32 v49, v61, v53
	v_fmac_f32_e32 v45, v41, v44
	v_mul_f32_e32 v51, v60, v53
	s_delay_alu instid0(VALU_DEP_4) | instskip(SKIP_2) | instid1(VALU_DEP_4)
	v_dual_fmac_f32 v47, v55, v46 :: v_dual_add_f32 v12, v12, v43
	v_mul_f32_e32 v53, v71, v63
	v_fmac_f32_e32 v21, v59, v50
	v_fmac_f32_e32 v51, v61, v52
	v_mul_f32_e32 v25, v72, v65
	v_add_f32_e32 v12, v12, v45
	v_fma_f32 v22, v22, v26, -v80
	v_mul_f32_e32 v17, v76, v69
	v_fma_f32 v23, v24, v28, -v81
	s_delay_alu instid0(VALU_DEP_4) | instskip(SKIP_1) | instid1(VALU_DEP_4)
	v_dual_fmac_f32 v25, v73, v64 :: v_dual_add_f32 v12, v12, v47
	v_fma_f32 v16, v56, v48, -v16
	v_fmac_f32_e32 v17, v77, v68
	v_fma_f32 v20, v58, v50, -v20
	v_mul_f32_e32 v24, v73, v65
	v_add_f32_e32 v12, v12, v19
	v_mul_f32_e32 v63, v70, v63
	v_fma_f32 v19, v70, v62, -v53
	v_fma_f32 v14, v76, v68, -v14
	s_delay_alu instid0(VALU_DEP_3) | instskip(NEXT) | instid1(VALU_DEP_1)
	v_dual_add_f32 v12, v12, v21 :: v_dual_fmac_f32 v63, v71, v62
	v_add_f32_e32 v12, v12, v51
	s_delay_alu instid0(VALU_DEP_1) | instskip(NEXT) | instid1(VALU_DEP_1)
	v_add_f32_e32 v12, v12, v63
	v_dual_mul_f32 v15, v75, v67 :: v_dual_add_f32 v12, v12, v25
	s_delay_alu instid0(VALU_DEP_1) | instskip(NEXT) | instid1(VALU_DEP_2)
	v_fma_f32 v15, v74, v66, -v15
	v_add_f32_e32 v12, v12, v18
	v_add_f32_e32 v13, v13, v22
	v_fma_f32 v22, v34, v30, -v82
	s_delay_alu instid0(VALU_DEP_2) | instskip(SKIP_1) | instid1(VALU_DEP_2)
	v_dual_add_f32 v12, v12, v17 :: v_dual_add_f32 v13, v13, v23
	v_fma_f32 v23, v36, v32, -v83
	v_add_f32_e32 v13, v13, v22
	v_fma_f32 v22, v38, v42, -v84
	s_delay_alu instid0(VALU_DEP_2) | instskip(SKIP_1) | instid1(VALU_DEP_2)
	v_add_f32_e32 v13, v13, v23
	v_fma_f32 v23, v40, v44, -v85
	v_add_f32_e32 v13, v13, v22
	v_fma_f32 v22, v54, v46, -v86
	s_delay_alu instid0(VALU_DEP_2) | instskip(NEXT) | instid1(VALU_DEP_1)
	v_add_f32_e32 v13, v13, v23
	v_add_f32_e32 v13, v13, v22
	s_delay_alu instid0(VALU_DEP_1) | instskip(SKIP_1) | instid1(VALU_DEP_2)
	v_add_f32_e32 v13, v13, v16
	v_fma_f32 v16, v60, v52, -v49
	v_add_f32_e32 v13, v13, v20
	s_delay_alu instid0(VALU_DEP_1) | instskip(SKIP_1) | instid1(VALU_DEP_2)
	v_add_f32_e32 v13, v13, v16
	v_fma_f32 v16, v72, v64, -v24
	v_add_f32_e32 v13, v13, v19
	s_delay_alu instid0(VALU_DEP_1) | instskip(NEXT) | instid1(VALU_DEP_1)
	v_add_f32_e32 v13, v13, v16
	v_add_f32_e32 v13, v13, v15
	s_delay_alu instid0(VALU_DEP_1)
	v_add_f32_e32 v13, v13, v14
	s_cbranch_vccnz .LBB1125_2
.LBB1125_3:
	s_load_b256 s[0:7], s[0:1], 0x48
	s_mov_b32 s8, exec_lo
	v_cmpx_le_i32_e64 v0, v6
	s_cbranch_execz .LBB1125_5
; %bb.4:
	s_waitcnt lgkmcnt(0)
	v_mul_lo_u32 v4, v6, s5
	v_mul_lo_u32 v5, v7, s4
	v_mad_u64_u32 v[2:3], null, v6, s4, 0
	s_mul_i32 s5, s15, s7
	s_mul_hi_u32 s7, s15, s6
	s_mul_i32 s4, s15, s6
	s_add_i32 s5, s7, s5
	v_lshlrev_b64 v[0:1], 3, v[0:1]
	s_lshl_b64 s[4:5], s[4:5], 3
	s_delay_alu instid0(VALU_DEP_2) | instskip(SKIP_2) | instid1(VALU_DEP_1)
	v_add3_u32 v3, v3, v4, v5
	s_add_u32 s2, s2, s4
	s_addc_u32 s3, s3, s5
	v_lshlrev_b64 v[2:3], 3, v[2:3]
	s_delay_alu instid0(VALU_DEP_1) | instskip(NEXT) | instid1(VALU_DEP_2)
	v_add_co_u32 v2, vcc_lo, s2, v2
	v_add_co_ci_u32_e32 v3, vcc_lo, s3, v3, vcc_lo
	s_delay_alu instid0(VALU_DEP_2) | instskip(NEXT) | instid1(VALU_DEP_2)
	v_add_co_u32 v0, vcc_lo, v2, v0
	v_add_co_ci_u32_e32 v1, vcc_lo, v3, v1, vcc_lo
	global_load_b64 v[2:3], v[0:1], off
	v_mul_f32_e32 v4, s19, v12
	s_waitcnt vmcnt(0)
	v_dual_mul_f32 v5, s18, v12 :: v_dual_mul_f32 v6, s1, v3
	v_mul_f32_e32 v3, s0, v3
	s_delay_alu instid0(VALU_DEP_3) | instskip(NEXT) | instid1(VALU_DEP_3)
	v_fma_f32 v4, v13, s18, -v4
	v_fma_f32 v6, v2, s0, -v6
	s_delay_alu instid0(VALU_DEP_4) | instskip(NEXT) | instid1(VALU_DEP_4)
	v_fmac_f32_e32 v5, s19, v13
	v_fmac_f32_e32 v3, s1, v2
	s_delay_alu instid0(VALU_DEP_1)
	v_dual_add_f32 v2, v4, v6 :: v_dual_add_f32 v3, v5, v3
	global_store_b64 v[0:1], v[2:3], off
.LBB1125_5:
	s_nop 0
	s_sendmsg sendmsg(MSG_DEALLOC_VGPRS)
	s_endpgm
	.section	.rodata,"a",@progbits
	.p2align	6, 0x0
	.amdhsa_kernel _ZL41rocblas_syrkx_herkx_small_restrict_kernelIl19rocblas_complex_numIfELi16ELb0ELb0ELc84ELc85EKS1_S1_EviT_T0_PT6_S3_lS6_S3_lS4_PT7_S3_li
		.amdhsa_group_segment_fixed_size 4096
		.amdhsa_private_segment_fixed_size 0
		.amdhsa_kernarg_size 108
		.amdhsa_user_sgpr_count 13
		.amdhsa_user_sgpr_dispatch_ptr 0
		.amdhsa_user_sgpr_queue_ptr 0
		.amdhsa_user_sgpr_kernarg_segment_ptr 1
		.amdhsa_user_sgpr_dispatch_id 0
		.amdhsa_user_sgpr_private_segment_size 0
		.amdhsa_wavefront_size32 1
		.amdhsa_uses_dynamic_stack 0
		.amdhsa_enable_private_segment 0
		.amdhsa_system_sgpr_workgroup_id_x 1
		.amdhsa_system_sgpr_workgroup_id_y 1
		.amdhsa_system_sgpr_workgroup_id_z 1
		.amdhsa_system_sgpr_workgroup_info 0
		.amdhsa_system_vgpr_workitem_id 1
		.amdhsa_next_free_vgpr 87
		.amdhsa_next_free_sgpr 32
		.amdhsa_reserve_vcc 1
		.amdhsa_float_round_mode_32 0
		.amdhsa_float_round_mode_16_64 0
		.amdhsa_float_denorm_mode_32 3
		.amdhsa_float_denorm_mode_16_64 3
		.amdhsa_dx10_clamp 1
		.amdhsa_ieee_mode 1
		.amdhsa_fp16_overflow 0
		.amdhsa_workgroup_processor_mode 1
		.amdhsa_memory_ordered 1
		.amdhsa_forward_progress 0
		.amdhsa_shared_vgpr_count 0
		.amdhsa_exception_fp_ieee_invalid_op 0
		.amdhsa_exception_fp_denorm_src 0
		.amdhsa_exception_fp_ieee_div_zero 0
		.amdhsa_exception_fp_ieee_overflow 0
		.amdhsa_exception_fp_ieee_underflow 0
		.amdhsa_exception_fp_ieee_inexact 0
		.amdhsa_exception_int_div_zero 0
	.end_amdhsa_kernel
	.section	.text._ZL41rocblas_syrkx_herkx_small_restrict_kernelIl19rocblas_complex_numIfELi16ELb0ELb0ELc84ELc85EKS1_S1_EviT_T0_PT6_S3_lS6_S3_lS4_PT7_S3_li,"axG",@progbits,_ZL41rocblas_syrkx_herkx_small_restrict_kernelIl19rocblas_complex_numIfELi16ELb0ELb0ELc84ELc85EKS1_S1_EviT_T0_PT6_S3_lS6_S3_lS4_PT7_S3_li,comdat
.Lfunc_end1125:
	.size	_ZL41rocblas_syrkx_herkx_small_restrict_kernelIl19rocblas_complex_numIfELi16ELb0ELb0ELc84ELc85EKS1_S1_EviT_T0_PT6_S3_lS6_S3_lS4_PT7_S3_li, .Lfunc_end1125-_ZL41rocblas_syrkx_herkx_small_restrict_kernelIl19rocblas_complex_numIfELi16ELb0ELb0ELc84ELc85EKS1_S1_EviT_T0_PT6_S3_lS6_S3_lS4_PT7_S3_li
                                        ; -- End function
	.section	.AMDGPU.csdata,"",@progbits
; Kernel info:
; codeLenInByte = 1328
; NumSgprs: 34
; NumVgprs: 87
; ScratchSize: 0
; MemoryBound: 0
; FloatMode: 240
; IeeeMode: 1
; LDSByteSize: 4096 bytes/workgroup (compile time only)
; SGPRBlocks: 4
; VGPRBlocks: 10
; NumSGPRsForWavesPerEU: 34
; NumVGPRsForWavesPerEU: 87
; Occupancy: 16
; WaveLimiterHint : 0
; COMPUTE_PGM_RSRC2:SCRATCH_EN: 0
; COMPUTE_PGM_RSRC2:USER_SGPR: 13
; COMPUTE_PGM_RSRC2:TRAP_HANDLER: 0
; COMPUTE_PGM_RSRC2:TGID_X_EN: 1
; COMPUTE_PGM_RSRC2:TGID_Y_EN: 1
; COMPUTE_PGM_RSRC2:TGID_Z_EN: 1
; COMPUTE_PGM_RSRC2:TIDIG_COMP_CNT: 1
	.section	.text._ZL41rocblas_syrkx_herkx_small_restrict_kernelIl19rocblas_complex_numIfELi16ELb0ELb0ELc67ELc85EKS1_S1_EviT_T0_PT6_S3_lS6_S3_lS4_PT7_S3_li,"axG",@progbits,_ZL41rocblas_syrkx_herkx_small_restrict_kernelIl19rocblas_complex_numIfELi16ELb0ELb0ELc67ELc85EKS1_S1_EviT_T0_PT6_S3_lS6_S3_lS4_PT7_S3_li,comdat
	.globl	_ZL41rocblas_syrkx_herkx_small_restrict_kernelIl19rocblas_complex_numIfELi16ELb0ELb0ELc67ELc85EKS1_S1_EviT_T0_PT6_S3_lS6_S3_lS4_PT7_S3_li ; -- Begin function _ZL41rocblas_syrkx_herkx_small_restrict_kernelIl19rocblas_complex_numIfELi16ELb0ELb0ELc67ELc85EKS1_S1_EviT_T0_PT6_S3_lS6_S3_lS4_PT7_S3_li
	.p2align	8
	.type	_ZL41rocblas_syrkx_herkx_small_restrict_kernelIl19rocblas_complex_numIfELi16ELb0ELb0ELc67ELc85EKS1_S1_EviT_T0_PT6_S3_lS6_S3_lS4_PT7_S3_li,@function
_ZL41rocblas_syrkx_herkx_small_restrict_kernelIl19rocblas_complex_numIfELi16ELb0ELb0ELc67ELc85EKS1_S1_EviT_T0_PT6_S3_lS6_S3_lS4_PT7_S3_li: ; @_ZL41rocblas_syrkx_herkx_small_restrict_kernelIl19rocblas_complex_numIfELi16ELb0ELb0ELc67ELc85EKS1_S1_EviT_T0_PT6_S3_lS6_S3_lS4_PT7_S3_li
; %bb.0:
	s_load_b512 s[16:31], s[0:1], 0x8
	v_dual_mov_b32 v12, 0 :: v_dual_and_b32 v3, 0x3ff, v0
	v_bfe_u32 v2, v0, 10, 10
	v_mov_b32_e32 v13, 0
	s_delay_alu instid0(VALU_DEP_3) | instskip(NEXT) | instid1(VALU_DEP_3)
	v_lshl_add_u32 v0, s13, 4, v3
	v_lshl_add_u32 v6, s14, 4, v2
	s_delay_alu instid0(VALU_DEP_2) | instskip(NEXT) | instid1(VALU_DEP_2)
	v_ashrrev_i32_e32 v1, 31, v0
	v_ashrrev_i32_e32 v7, 31, v6
	s_waitcnt lgkmcnt(0)
	v_cmp_lt_i64_e64 s2, s[16:17], 1
	s_delay_alu instid0(VALU_DEP_1)
	s_and_b32 vcc_lo, exec_lo, s2
	s_cbranch_vccnz .LBB1126_3
; %bb.1:
	v_mul_lo_u32 v15, s23, v0
	v_mul_lo_u32 v16, s22, v1
	v_mad_u64_u32 v[12:13], null, s22, v0, 0
	v_mul_lo_u32 v10, s29, v6
	v_mul_lo_u32 v11, s28, v7
	v_mad_u64_u32 v[4:5], null, s28, v6, 0
	s_mul_i32 s4, s25, s15
	s_mul_hi_u32 s5, s24, s15
	s_delay_alu instid0(VALU_DEP_4) | instskip(SKIP_3) | instid1(VALU_DEP_3)
	v_add3_u32 v13, v13, v16, v15
	s_add_i32 s5, s5, s4
	s_mul_i32 s4, s24, s15
	v_lshlrev_b32_e32 v8, 3, v3
	v_add3_u32 v5, v5, v11, v10
	v_lshlrev_b64 v[12:13], 3, v[12:13]
	s_mul_i32 s2, s31, s15
	s_mul_hi_u32 s3, s30, s15
	s_lshl_b64 s[4:5], s[4:5], 3
	v_lshlrev_b64 v[3:4], 3, v[4:5]
	s_add_i32 s3, s3, s2
	s_mul_i32 s2, s30, s15
	v_add_co_u32 v5, vcc_lo, v12, s4
	v_lshlrev_b32_e32 v14, 7, v2
	s_lshl_b64 s[2:3], s[2:3], 3
	v_lshlrev_b32_e32 v2, 3, v2
	v_add_co_ci_u32_e32 v12, vcc_lo, s5, v13, vcc_lo
	v_mov_b32_e32 v13, 0
	v_add_co_u32 v3, vcc_lo, v3, s2
	v_add_co_ci_u32_e32 v4, vcc_lo, s3, v4, vcc_lo
	v_add_co_u32 v2, vcc_lo, v5, v2
	v_add_co_ci_u32_e32 v5, vcc_lo, 0, v12, vcc_lo
	s_delay_alu instid0(VALU_DEP_4) | instskip(NEXT) | instid1(VALU_DEP_4)
	v_add_co_u32 v3, vcc_lo, v3, v8
	v_add_co_ci_u32_e32 v4, vcc_lo, 0, v4, vcc_lo
	s_delay_alu instid0(VALU_DEP_4) | instskip(NEXT) | instid1(VALU_DEP_4)
	v_add_co_u32 v12, vcc_lo, v2, s20
	v_add_co_ci_u32_e32 v5, vcc_lo, s21, v5, vcc_lo
	v_add_nc_u32_e32 v9, 0x800, v14
	v_add_co_u32 v2, vcc_lo, s26, v3
	v_add_co_ci_u32_e32 v3, vcc_lo, s27, v4, vcc_lo
	v_add_co_u32 v4, vcc_lo, v12, 4
	v_mov_b32_e32 v12, 0
	v_add_nc_u32_e32 v10, v8, v14
	v_add_nc_u32_e32 v11, v9, v8
	v_add_co_ci_u32_e32 v5, vcc_lo, 0, v5, vcc_lo
	s_mov_b64 s[2:3], 0
.LBB1126_2:                             ; =>This Inner Loop Header: Depth=1
	global_load_b64 v[14:15], v[4:5], off offset:-4
	global_load_b64 v[16:17], v[2:3], off
	s_add_u32 s2, s2, 16
	v_add_co_u32 v2, vcc_lo, 0x80, v2
	s_addc_u32 s3, s3, 0
	v_add_co_ci_u32_e32 v3, vcc_lo, 0, v3, vcc_lo
	v_cmp_lt_i64_e64 s4, s[2:3], s[16:17]
	v_add_co_u32 v4, vcc_lo, 0x80, v4
	v_add_co_ci_u32_e32 v5, vcc_lo, 0, v5, vcc_lo
	s_waitcnt vmcnt(1)
	ds_store_b64 v10, v[14:15]
	s_waitcnt vmcnt(0)
	ds_store_b64 v11, v[16:17]
	s_waitcnt lgkmcnt(0)
	s_barrier
	buffer_gl0_inv
	ds_load_2addr_b64 v[14:17], v8 offset1:16
	ds_load_b128 v[18:21], v9
	ds_load_b128 v[22:25], v9 offset:16
	ds_load_2addr_b64 v[26:29], v8 offset0:32 offset1:48
	ds_load_2addr_b64 v[30:33], v8 offset0:64 offset1:80
	ds_load_b128 v[34:37], v9 offset:32
	ds_load_b128 v[38:41], v9 offset:48
	ds_load_2addr_b64 v[42:45], v8 offset0:96 offset1:112
	ds_load_2addr_b64 v[46:49], v8 offset0:128 offset1:144
	;; [unrolled: 1-line block ×3, first 2 shown]
	ds_load_b128 v[54:57], v9 offset:64
	ds_load_b128 v[58:61], v9 offset:80
	ds_load_2addr_b64 v[62:65], v8 offset0:192 offset1:208
	ds_load_2addr_b64 v[66:69], v8 offset0:224 offset1:240
	ds_load_b128 v[70:73], v9 offset:96
	ds_load_b128 v[74:77], v9 offset:112
	s_and_b32 vcc_lo, exec_lo, s4
	s_waitcnt lgkmcnt(0)
	s_barrier
	buffer_gl0_inv
	v_dual_mul_f32 v78, v19, v15 :: v_dual_mul_f32 v79, v21, v17
	v_mul_f32_e32 v15, v18, v15
	v_dual_mul_f32 v17, v20, v17 :: v_dual_mul_f32 v80, v23, v27
	v_mul_f32_e32 v27, v22, v27
	s_delay_alu instid0(VALU_DEP_4) | instskip(SKIP_1) | instid1(VALU_DEP_4)
	v_fma_f32 v18, v18, v14, -v78
	v_dual_mul_f32 v81, v25, v29 :: v_dual_mul_f32 v82, v35, v31
	v_fmac_f32_e32 v17, v21, v16
	s_delay_alu instid0(VALU_DEP_4) | instskip(SKIP_4) | instid1(VALU_DEP_4)
	v_fmac_f32_e32 v27, v23, v26
	v_fmac_f32_e32 v15, v19, v14
	v_mul_f32_e32 v85, v41, v45
	v_dual_mul_f32 v29, v24, v29 :: v_dual_mul_f32 v84, v39, v43
	v_mul_f32_e32 v45, v40, v45
	v_add_f32_e32 v12, v12, v15
	v_mul_f32_e32 v31, v34, v31
	v_dual_add_f32 v13, v13, v18 :: v_dual_mul_f32 v18, v74, v67
	v_mul_f32_e32 v19, v56, v49
	s_delay_alu instid0(VALU_DEP_4) | instskip(SKIP_1) | instid1(VALU_DEP_3)
	v_add_f32_e32 v12, v12, v17
	v_dual_mul_f32 v83, v37, v33 :: v_dual_mul_f32 v86, v55, v47
	v_dual_fmac_f32 v18, v75, v66 :: v_dual_fmac_f32 v19, v57, v48
	s_delay_alu instid0(VALU_DEP_3) | instskip(SKIP_3) | instid1(VALU_DEP_4)
	v_dual_fmac_f32 v29, v25, v28 :: v_dual_add_f32 v12, v12, v27
	v_mul_f32_e32 v33, v36, v33
	v_mul_f32_e32 v47, v54, v47
	v_fmac_f32_e32 v31, v35, v30
	v_dual_mul_f32 v43, v38, v43 :: v_dual_add_f32 v12, v12, v29
	v_fma_f32 v14, v20, v16, -v79
	v_dual_mul_f32 v20, v59, v51 :: v_dual_fmac_f32 v33, v37, v32
	v_mul_f32_e32 v16, v57, v49
	s_delay_alu instid0(VALU_DEP_4) | instskip(SKIP_3) | instid1(VALU_DEP_4)
	v_add_f32_e32 v12, v12, v31
	v_mul_f32_e32 v21, v58, v51
	v_add_f32_e32 v13, v13, v14
	v_dual_mul_f32 v14, v77, v69 :: v_dual_fmac_f32 v43, v39, v42
	v_add_f32_e32 v12, v12, v33
	v_mul_f32_e32 v49, v61, v53
	v_fmac_f32_e32 v45, v41, v44
	v_mul_f32_e32 v51, v60, v53
	s_delay_alu instid0(VALU_DEP_4) | instskip(SKIP_2) | instid1(VALU_DEP_4)
	v_dual_fmac_f32 v47, v55, v46 :: v_dual_add_f32 v12, v12, v43
	v_mul_f32_e32 v53, v71, v63
	v_fmac_f32_e32 v21, v59, v50
	v_fmac_f32_e32 v51, v61, v52
	v_mul_f32_e32 v25, v72, v65
	v_add_f32_e32 v12, v12, v45
	v_fma_f32 v22, v22, v26, -v80
	v_mul_f32_e32 v17, v76, v69
	v_fma_f32 v23, v24, v28, -v81
	s_delay_alu instid0(VALU_DEP_4) | instskip(SKIP_1) | instid1(VALU_DEP_4)
	v_dual_fmac_f32 v25, v73, v64 :: v_dual_add_f32 v12, v12, v47
	v_fma_f32 v16, v56, v48, -v16
	v_fmac_f32_e32 v17, v77, v68
	v_fma_f32 v20, v58, v50, -v20
	v_mul_f32_e32 v24, v73, v65
	v_add_f32_e32 v12, v12, v19
	v_mul_f32_e32 v63, v70, v63
	v_fma_f32 v19, v70, v62, -v53
	v_fma_f32 v14, v76, v68, -v14
	s_delay_alu instid0(VALU_DEP_3) | instskip(NEXT) | instid1(VALU_DEP_1)
	v_dual_add_f32 v12, v12, v21 :: v_dual_fmac_f32 v63, v71, v62
	v_add_f32_e32 v12, v12, v51
	s_delay_alu instid0(VALU_DEP_1) | instskip(NEXT) | instid1(VALU_DEP_1)
	v_add_f32_e32 v12, v12, v63
	v_dual_mul_f32 v15, v75, v67 :: v_dual_add_f32 v12, v12, v25
	s_delay_alu instid0(VALU_DEP_1) | instskip(NEXT) | instid1(VALU_DEP_2)
	v_fma_f32 v15, v74, v66, -v15
	v_add_f32_e32 v12, v12, v18
	v_add_f32_e32 v13, v13, v22
	v_fma_f32 v22, v34, v30, -v82
	s_delay_alu instid0(VALU_DEP_2) | instskip(SKIP_1) | instid1(VALU_DEP_2)
	v_dual_add_f32 v12, v12, v17 :: v_dual_add_f32 v13, v13, v23
	v_fma_f32 v23, v36, v32, -v83
	v_add_f32_e32 v13, v13, v22
	v_fma_f32 v22, v38, v42, -v84
	s_delay_alu instid0(VALU_DEP_2) | instskip(SKIP_1) | instid1(VALU_DEP_2)
	v_add_f32_e32 v13, v13, v23
	v_fma_f32 v23, v40, v44, -v85
	v_add_f32_e32 v13, v13, v22
	v_fma_f32 v22, v54, v46, -v86
	s_delay_alu instid0(VALU_DEP_2) | instskip(NEXT) | instid1(VALU_DEP_1)
	v_add_f32_e32 v13, v13, v23
	v_add_f32_e32 v13, v13, v22
	s_delay_alu instid0(VALU_DEP_1) | instskip(SKIP_1) | instid1(VALU_DEP_2)
	v_add_f32_e32 v13, v13, v16
	v_fma_f32 v16, v60, v52, -v49
	v_add_f32_e32 v13, v13, v20
	s_delay_alu instid0(VALU_DEP_1) | instskip(SKIP_1) | instid1(VALU_DEP_2)
	v_add_f32_e32 v13, v13, v16
	v_fma_f32 v16, v72, v64, -v24
	v_add_f32_e32 v13, v13, v19
	s_delay_alu instid0(VALU_DEP_1) | instskip(NEXT) | instid1(VALU_DEP_1)
	v_add_f32_e32 v13, v13, v16
	v_add_f32_e32 v13, v13, v15
	s_delay_alu instid0(VALU_DEP_1)
	v_add_f32_e32 v13, v13, v14
	s_cbranch_vccnz .LBB1126_2
.LBB1126_3:
	s_load_b256 s[0:7], s[0:1], 0x48
	s_mov_b32 s8, exec_lo
	v_cmpx_le_i32_e64 v0, v6
	s_cbranch_execz .LBB1126_5
; %bb.4:
	s_waitcnt lgkmcnt(0)
	v_mul_lo_u32 v4, v6, s5
	v_mul_lo_u32 v5, v7, s4
	v_mad_u64_u32 v[2:3], null, v6, s4, 0
	s_mul_i32 s5, s15, s7
	s_mul_hi_u32 s7, s15, s6
	s_mul_i32 s4, s15, s6
	s_add_i32 s5, s7, s5
	v_lshlrev_b64 v[0:1], 3, v[0:1]
	s_lshl_b64 s[4:5], s[4:5], 3
	s_delay_alu instid0(VALU_DEP_2) | instskip(SKIP_2) | instid1(VALU_DEP_1)
	v_add3_u32 v3, v3, v4, v5
	s_add_u32 s2, s2, s4
	s_addc_u32 s3, s3, s5
	v_lshlrev_b64 v[2:3], 3, v[2:3]
	s_delay_alu instid0(VALU_DEP_1) | instskip(NEXT) | instid1(VALU_DEP_2)
	v_add_co_u32 v2, vcc_lo, s2, v2
	v_add_co_ci_u32_e32 v3, vcc_lo, s3, v3, vcc_lo
	s_delay_alu instid0(VALU_DEP_2) | instskip(NEXT) | instid1(VALU_DEP_2)
	v_add_co_u32 v0, vcc_lo, v2, v0
	v_add_co_ci_u32_e32 v1, vcc_lo, v3, v1, vcc_lo
	global_load_b64 v[2:3], v[0:1], off
	v_mul_f32_e32 v4, s19, v12
	s_waitcnt vmcnt(0)
	v_dual_mul_f32 v5, s18, v12 :: v_dual_mul_f32 v6, s1, v3
	v_mul_f32_e32 v3, s0, v3
	s_delay_alu instid0(VALU_DEP_3) | instskip(NEXT) | instid1(VALU_DEP_3)
	v_fma_f32 v4, v13, s18, -v4
	v_fma_f32 v6, v2, s0, -v6
	s_delay_alu instid0(VALU_DEP_4) | instskip(NEXT) | instid1(VALU_DEP_4)
	v_fmac_f32_e32 v5, s19, v13
	v_fmac_f32_e32 v3, s1, v2
	s_delay_alu instid0(VALU_DEP_1)
	v_dual_add_f32 v2, v4, v6 :: v_dual_add_f32 v3, v5, v3
	global_store_b64 v[0:1], v[2:3], off
.LBB1126_5:
	s_nop 0
	s_sendmsg sendmsg(MSG_DEALLOC_VGPRS)
	s_endpgm
	.section	.rodata,"a",@progbits
	.p2align	6, 0x0
	.amdhsa_kernel _ZL41rocblas_syrkx_herkx_small_restrict_kernelIl19rocblas_complex_numIfELi16ELb0ELb0ELc67ELc85EKS1_S1_EviT_T0_PT6_S3_lS6_S3_lS4_PT7_S3_li
		.amdhsa_group_segment_fixed_size 4096
		.amdhsa_private_segment_fixed_size 0
		.amdhsa_kernarg_size 108
		.amdhsa_user_sgpr_count 13
		.amdhsa_user_sgpr_dispatch_ptr 0
		.amdhsa_user_sgpr_queue_ptr 0
		.amdhsa_user_sgpr_kernarg_segment_ptr 1
		.amdhsa_user_sgpr_dispatch_id 0
		.amdhsa_user_sgpr_private_segment_size 0
		.amdhsa_wavefront_size32 1
		.amdhsa_uses_dynamic_stack 0
		.amdhsa_enable_private_segment 0
		.amdhsa_system_sgpr_workgroup_id_x 1
		.amdhsa_system_sgpr_workgroup_id_y 1
		.amdhsa_system_sgpr_workgroup_id_z 1
		.amdhsa_system_sgpr_workgroup_info 0
		.amdhsa_system_vgpr_workitem_id 1
		.amdhsa_next_free_vgpr 87
		.amdhsa_next_free_sgpr 32
		.amdhsa_reserve_vcc 1
		.amdhsa_float_round_mode_32 0
		.amdhsa_float_round_mode_16_64 0
		.amdhsa_float_denorm_mode_32 3
		.amdhsa_float_denorm_mode_16_64 3
		.amdhsa_dx10_clamp 1
		.amdhsa_ieee_mode 1
		.amdhsa_fp16_overflow 0
		.amdhsa_workgroup_processor_mode 1
		.amdhsa_memory_ordered 1
		.amdhsa_forward_progress 0
		.amdhsa_shared_vgpr_count 0
		.amdhsa_exception_fp_ieee_invalid_op 0
		.amdhsa_exception_fp_denorm_src 0
		.amdhsa_exception_fp_ieee_div_zero 0
		.amdhsa_exception_fp_ieee_overflow 0
		.amdhsa_exception_fp_ieee_underflow 0
		.amdhsa_exception_fp_ieee_inexact 0
		.amdhsa_exception_int_div_zero 0
	.end_amdhsa_kernel
	.section	.text._ZL41rocblas_syrkx_herkx_small_restrict_kernelIl19rocblas_complex_numIfELi16ELb0ELb0ELc67ELc85EKS1_S1_EviT_T0_PT6_S3_lS6_S3_lS4_PT7_S3_li,"axG",@progbits,_ZL41rocblas_syrkx_herkx_small_restrict_kernelIl19rocblas_complex_numIfELi16ELb0ELb0ELc67ELc85EKS1_S1_EviT_T0_PT6_S3_lS6_S3_lS4_PT7_S3_li,comdat
.Lfunc_end1126:
	.size	_ZL41rocblas_syrkx_herkx_small_restrict_kernelIl19rocblas_complex_numIfELi16ELb0ELb0ELc67ELc85EKS1_S1_EviT_T0_PT6_S3_lS6_S3_lS4_PT7_S3_li, .Lfunc_end1126-_ZL41rocblas_syrkx_herkx_small_restrict_kernelIl19rocblas_complex_numIfELi16ELb0ELb0ELc67ELc85EKS1_S1_EviT_T0_PT6_S3_lS6_S3_lS4_PT7_S3_li
                                        ; -- End function
	.section	.AMDGPU.csdata,"",@progbits
; Kernel info:
; codeLenInByte = 1348
; NumSgprs: 34
; NumVgprs: 87
; ScratchSize: 0
; MemoryBound: 0
; FloatMode: 240
; IeeeMode: 1
; LDSByteSize: 4096 bytes/workgroup (compile time only)
; SGPRBlocks: 4
; VGPRBlocks: 10
; NumSGPRsForWavesPerEU: 34
; NumVGPRsForWavesPerEU: 87
; Occupancy: 16
; WaveLimiterHint : 0
; COMPUTE_PGM_RSRC2:SCRATCH_EN: 0
; COMPUTE_PGM_RSRC2:USER_SGPR: 13
; COMPUTE_PGM_RSRC2:TRAP_HANDLER: 0
; COMPUTE_PGM_RSRC2:TGID_X_EN: 1
; COMPUTE_PGM_RSRC2:TGID_Y_EN: 1
; COMPUTE_PGM_RSRC2:TGID_Z_EN: 1
; COMPUTE_PGM_RSRC2:TIDIG_COMP_CNT: 1
	.section	.text._ZL41rocblas_syrkx_herkx_small_restrict_kernelIl19rocblas_complex_numIfELi16ELb0ELb0ELc78ELc85EKS1_S1_EviT_T0_PT6_S3_lS6_S3_lS4_PT7_S3_li,"axG",@progbits,_ZL41rocblas_syrkx_herkx_small_restrict_kernelIl19rocblas_complex_numIfELi16ELb0ELb0ELc78ELc85EKS1_S1_EviT_T0_PT6_S3_lS6_S3_lS4_PT7_S3_li,comdat
	.globl	_ZL41rocblas_syrkx_herkx_small_restrict_kernelIl19rocblas_complex_numIfELi16ELb0ELb0ELc78ELc85EKS1_S1_EviT_T0_PT6_S3_lS6_S3_lS4_PT7_S3_li ; -- Begin function _ZL41rocblas_syrkx_herkx_small_restrict_kernelIl19rocblas_complex_numIfELi16ELb0ELb0ELc78ELc85EKS1_S1_EviT_T0_PT6_S3_lS6_S3_lS4_PT7_S3_li
	.p2align	8
	.type	_ZL41rocblas_syrkx_herkx_small_restrict_kernelIl19rocblas_complex_numIfELi16ELb0ELb0ELc78ELc85EKS1_S1_EviT_T0_PT6_S3_lS6_S3_lS4_PT7_S3_li,@function
_ZL41rocblas_syrkx_herkx_small_restrict_kernelIl19rocblas_complex_numIfELi16ELb0ELb0ELc78ELc85EKS1_S1_EviT_T0_PT6_S3_lS6_S3_lS4_PT7_S3_li: ; @_ZL41rocblas_syrkx_herkx_small_restrict_kernelIl19rocblas_complex_numIfELi16ELb0ELb0ELc78ELc85EKS1_S1_EviT_T0_PT6_S3_lS6_S3_lS4_PT7_S3_li
; %bb.0:
	s_load_b512 s[16:31], s[0:1], 0x8
	v_dual_mov_b32 v12, 0 :: v_dual_and_b32 v5, 0x3ff, v0
	v_bfe_u32 v4, v0, 10, 10
	v_mov_b32_e32 v13, 0
	s_delay_alu instid0(VALU_DEP_3) | instskip(NEXT) | instid1(VALU_DEP_3)
	v_lshl_add_u32 v0, s13, 4, v5
	v_lshl_add_u32 v2, s14, 4, v4
	s_delay_alu instid0(VALU_DEP_2) | instskip(NEXT) | instid1(VALU_DEP_2)
	v_ashrrev_i32_e32 v1, 31, v0
	v_ashrrev_i32_e32 v3, 31, v2
	s_waitcnt lgkmcnt(0)
	v_cmp_lt_i64_e64 s2, s[16:17], 1
	s_delay_alu instid0(VALU_DEP_1)
	s_and_b32 vcc_lo, exec_lo, s2
	s_cbranch_vccnz .LBB1127_3
; %bb.1:
	v_mad_u64_u32 v[6:7], null, s28, v5, 0
	v_mad_u64_u32 v[12:13], null, s22, v4, 0
	v_lshlrev_b32_e32 v8, 3, v5
	v_lshlrev_b32_e32 v11, 7, v4
	s_mul_i32 s3, s31, s15
	s_mul_hi_u32 s5, s30, s15
	s_mul_i32 s2, s30, s15
	s_delay_alu instid0(VALU_DEP_4) | instskip(NEXT) | instid1(VALU_DEP_4)
	v_mad_u64_u32 v[9:10], null, s29, v5, v[7:8]
	v_mov_b32_e32 v5, v13
	s_add_i32 s3, s5, s3
	v_lshlrev_b64 v[14:15], 3, v[2:3]
	s_lshl_b64 s[2:3], s[2:3], 3
	s_mul_i32 s6, s25, s15
	v_mad_u64_u32 v[16:17], null, s23, v4, v[5:6]
	s_delay_alu instid0(VALU_DEP_4)
	v_mov_b32_e32 v7, v9
	s_mul_hi_u32 s7, s24, s15
	s_mul_i32 s4, s24, s15
	s_add_i32 s5, s7, s6
	s_mov_b64 s[6:7], 0
	v_lshlrev_b64 v[4:5], 3, v[6:7]
	s_delay_alu instid0(VALU_DEP_3) | instskip(SKIP_1) | instid1(VALU_DEP_2)
	v_mov_b32_e32 v13, v16
	s_lshl_b64 s[4:5], s[4:5], 3
	v_add_co_u32 v6, vcc_lo, s2, v4
	s_delay_alu instid0(VALU_DEP_3) | instskip(NEXT) | instid1(VALU_DEP_3)
	v_add_co_ci_u32_e32 v7, vcc_lo, s3, v5, vcc_lo
	v_lshlrev_b64 v[4:5], 3, v[12:13]
	s_delay_alu instid0(VALU_DEP_3) | instskip(NEXT) | instid1(VALU_DEP_3)
	v_add_co_u32 v6, vcc_lo, v6, v14
	v_add_co_ci_u32_e32 v7, vcc_lo, v7, v15, vcc_lo
	s_lshl_b64 s[2:3], s[28:29], 7
	s_delay_alu instid0(VALU_DEP_3) | instskip(NEXT) | instid1(VALU_DEP_4)
	v_add_co_u32 v12, vcc_lo, s4, v4
	v_add_co_ci_u32_e32 v13, vcc_lo, s5, v5, vcc_lo
	v_lshlrev_b64 v[4:5], 3, v[0:1]
	v_add_co_u32 v6, vcc_lo, v6, s26
	v_add_co_ci_u32_e32 v7, vcc_lo, s27, v7, vcc_lo
	s_lshl_b64 s[4:5], s[22:23], 7
	s_delay_alu instid0(VALU_DEP_3) | instskip(NEXT) | instid1(VALU_DEP_4)
	v_add_co_u32 v12, vcc_lo, v12, v4
	v_add_co_ci_u32_e32 v13, vcc_lo, v13, v5, vcc_lo
	v_add_co_u32 v4, vcc_lo, v6, 4
	v_add_co_ci_u32_e32 v5, vcc_lo, 0, v7, vcc_lo
	s_delay_alu instid0(VALU_DEP_4)
	v_add_co_u32 v6, vcc_lo, s20, v12
	v_mov_b32_e32 v12, 0
	v_add_nc_u32_e32 v10, v8, v11
	v_add_nc_u32_e32 v9, 0x800, v11
	v_add_co_ci_u32_e32 v7, vcc_lo, s21, v13, vcc_lo
	v_mov_b32_e32 v13, 0
	s_delay_alu instid0(VALU_DEP_3)
	v_add_nc_u32_e32 v11, v9, v8
.LBB1127_2:                             ; =>This Inner Loop Header: Depth=1
	global_load_b64 v[14:15], v[6:7], off
	global_load_b64 v[16:17], v[4:5], off offset:-4
	s_add_u32 s6, s6, 16
	v_add_co_u32 v4, vcc_lo, v4, s2
	s_addc_u32 s7, s7, 0
	v_add_co_ci_u32_e32 v5, vcc_lo, s3, v5, vcc_lo
	v_cmp_lt_i64_e64 s8, s[6:7], s[16:17]
	v_add_co_u32 v6, vcc_lo, v6, s4
	v_add_co_ci_u32_e32 v7, vcc_lo, s5, v7, vcc_lo
	s_waitcnt vmcnt(1)
	ds_store_b64 v10, v[14:15]
	s_waitcnt vmcnt(0)
	ds_store_b64 v11, v[16:17]
	s_waitcnt lgkmcnt(0)
	s_barrier
	buffer_gl0_inv
	ds_load_2addr_b64 v[14:17], v8 offset1:16
	ds_load_b128 v[18:21], v9
	ds_load_b128 v[22:25], v9 offset:16
	ds_load_2addr_b64 v[26:29], v8 offset0:32 offset1:48
	ds_load_2addr_b64 v[30:33], v8 offset0:64 offset1:80
	ds_load_b128 v[34:37], v9 offset:32
	ds_load_b128 v[38:41], v9 offset:48
	ds_load_2addr_b64 v[42:45], v8 offset0:96 offset1:112
	ds_load_2addr_b64 v[46:49], v8 offset0:128 offset1:144
	ds_load_2addr_b64 v[50:53], v8 offset0:160 offset1:176
	ds_load_b128 v[54:57], v9 offset:64
	ds_load_b128 v[58:61], v9 offset:80
	ds_load_2addr_b64 v[62:65], v8 offset0:192 offset1:208
	ds_load_2addr_b64 v[66:69], v8 offset0:224 offset1:240
	ds_load_b128 v[70:73], v9 offset:96
	ds_load_b128 v[74:77], v9 offset:112
	s_and_b32 vcc_lo, exec_lo, s8
	s_waitcnt lgkmcnt(0)
	s_barrier
	buffer_gl0_inv
	v_dual_mul_f32 v78, v19, v15 :: v_dual_mul_f32 v79, v21, v17
	v_mul_f32_e32 v15, v18, v15
	v_dual_mul_f32 v17, v20, v17 :: v_dual_mul_f32 v80, v23, v27
	v_mul_f32_e32 v27, v22, v27
	s_delay_alu instid0(VALU_DEP_4) | instskip(SKIP_1) | instid1(VALU_DEP_4)
	v_fma_f32 v18, v18, v14, -v78
	v_dual_mul_f32 v81, v25, v29 :: v_dual_mul_f32 v82, v35, v31
	v_fmac_f32_e32 v17, v21, v16
	s_delay_alu instid0(VALU_DEP_4) | instskip(SKIP_4) | instid1(VALU_DEP_4)
	v_fmac_f32_e32 v27, v23, v26
	v_fmac_f32_e32 v15, v19, v14
	v_mul_f32_e32 v85, v41, v45
	v_dual_mul_f32 v29, v24, v29 :: v_dual_mul_f32 v84, v39, v43
	v_mul_f32_e32 v45, v40, v45
	v_add_f32_e32 v12, v12, v15
	v_mul_f32_e32 v31, v34, v31
	v_dual_add_f32 v13, v13, v18 :: v_dual_mul_f32 v18, v74, v67
	v_mul_f32_e32 v19, v56, v49
	s_delay_alu instid0(VALU_DEP_4) | instskip(SKIP_1) | instid1(VALU_DEP_3)
	v_add_f32_e32 v12, v12, v17
	v_dual_mul_f32 v83, v37, v33 :: v_dual_mul_f32 v86, v55, v47
	v_dual_fmac_f32 v18, v75, v66 :: v_dual_fmac_f32 v19, v57, v48
	s_delay_alu instid0(VALU_DEP_3) | instskip(SKIP_3) | instid1(VALU_DEP_4)
	v_dual_fmac_f32 v29, v25, v28 :: v_dual_add_f32 v12, v12, v27
	v_mul_f32_e32 v33, v36, v33
	v_mul_f32_e32 v47, v54, v47
	v_fmac_f32_e32 v31, v35, v30
	v_dual_mul_f32 v43, v38, v43 :: v_dual_add_f32 v12, v12, v29
	v_fma_f32 v14, v20, v16, -v79
	v_dual_mul_f32 v20, v59, v51 :: v_dual_fmac_f32 v33, v37, v32
	v_mul_f32_e32 v16, v57, v49
	s_delay_alu instid0(VALU_DEP_4) | instskip(SKIP_3) | instid1(VALU_DEP_4)
	v_add_f32_e32 v12, v12, v31
	v_mul_f32_e32 v21, v58, v51
	v_add_f32_e32 v13, v13, v14
	v_dual_mul_f32 v14, v77, v69 :: v_dual_fmac_f32 v43, v39, v42
	v_add_f32_e32 v12, v12, v33
	v_mul_f32_e32 v49, v61, v53
	v_fmac_f32_e32 v45, v41, v44
	v_mul_f32_e32 v51, v60, v53
	s_delay_alu instid0(VALU_DEP_4) | instskip(SKIP_2) | instid1(VALU_DEP_4)
	v_dual_fmac_f32 v47, v55, v46 :: v_dual_add_f32 v12, v12, v43
	v_mul_f32_e32 v53, v71, v63
	v_fmac_f32_e32 v21, v59, v50
	v_fmac_f32_e32 v51, v61, v52
	v_mul_f32_e32 v25, v72, v65
	v_add_f32_e32 v12, v12, v45
	v_fma_f32 v22, v22, v26, -v80
	v_mul_f32_e32 v17, v76, v69
	v_fma_f32 v23, v24, v28, -v81
	s_delay_alu instid0(VALU_DEP_4) | instskip(SKIP_1) | instid1(VALU_DEP_4)
	v_dual_fmac_f32 v25, v73, v64 :: v_dual_add_f32 v12, v12, v47
	v_fma_f32 v16, v56, v48, -v16
	v_fmac_f32_e32 v17, v77, v68
	v_fma_f32 v20, v58, v50, -v20
	v_mul_f32_e32 v24, v73, v65
	v_add_f32_e32 v12, v12, v19
	v_mul_f32_e32 v63, v70, v63
	v_fma_f32 v19, v70, v62, -v53
	v_fma_f32 v14, v76, v68, -v14
	s_delay_alu instid0(VALU_DEP_3) | instskip(NEXT) | instid1(VALU_DEP_1)
	v_dual_add_f32 v12, v12, v21 :: v_dual_fmac_f32 v63, v71, v62
	v_add_f32_e32 v12, v12, v51
	s_delay_alu instid0(VALU_DEP_1) | instskip(NEXT) | instid1(VALU_DEP_1)
	v_add_f32_e32 v12, v12, v63
	v_dual_mul_f32 v15, v75, v67 :: v_dual_add_f32 v12, v12, v25
	s_delay_alu instid0(VALU_DEP_1) | instskip(NEXT) | instid1(VALU_DEP_2)
	v_fma_f32 v15, v74, v66, -v15
	v_add_f32_e32 v12, v12, v18
	v_add_f32_e32 v13, v13, v22
	v_fma_f32 v22, v34, v30, -v82
	s_delay_alu instid0(VALU_DEP_2) | instskip(SKIP_1) | instid1(VALU_DEP_2)
	v_dual_add_f32 v12, v12, v17 :: v_dual_add_f32 v13, v13, v23
	v_fma_f32 v23, v36, v32, -v83
	v_add_f32_e32 v13, v13, v22
	v_fma_f32 v22, v38, v42, -v84
	s_delay_alu instid0(VALU_DEP_2) | instskip(SKIP_1) | instid1(VALU_DEP_2)
	v_add_f32_e32 v13, v13, v23
	v_fma_f32 v23, v40, v44, -v85
	v_add_f32_e32 v13, v13, v22
	v_fma_f32 v22, v54, v46, -v86
	s_delay_alu instid0(VALU_DEP_2) | instskip(NEXT) | instid1(VALU_DEP_1)
	v_add_f32_e32 v13, v13, v23
	v_add_f32_e32 v13, v13, v22
	s_delay_alu instid0(VALU_DEP_1) | instskip(SKIP_1) | instid1(VALU_DEP_2)
	v_add_f32_e32 v13, v13, v16
	v_fma_f32 v16, v60, v52, -v49
	v_add_f32_e32 v13, v13, v20
	s_delay_alu instid0(VALU_DEP_1) | instskip(SKIP_1) | instid1(VALU_DEP_2)
	v_add_f32_e32 v13, v13, v16
	v_fma_f32 v16, v72, v64, -v24
	v_add_f32_e32 v13, v13, v19
	s_delay_alu instid0(VALU_DEP_1) | instskip(NEXT) | instid1(VALU_DEP_1)
	v_add_f32_e32 v13, v13, v16
	v_add_f32_e32 v13, v13, v15
	s_delay_alu instid0(VALU_DEP_1)
	v_add_f32_e32 v13, v13, v14
	s_cbranch_vccnz .LBB1127_2
.LBB1127_3:
	s_load_b256 s[0:7], s[0:1], 0x48
	s_mov_b32 s8, exec_lo
	v_cmpx_le_i32_e64 v0, v2
	s_cbranch_execz .LBB1127_5
; %bb.4:
	s_waitcnt lgkmcnt(0)
	v_mul_lo_u32 v5, v2, s5
	v_mul_lo_u32 v6, v3, s4
	v_mad_u64_u32 v[3:4], null, v2, s4, 0
	s_mul_i32 s5, s15, s7
	s_mul_hi_u32 s7, s15, s6
	s_mul_i32 s4, s15, s6
	s_add_i32 s5, s7, s5
	v_lshlrev_b64 v[0:1], 3, v[0:1]
	s_lshl_b64 s[4:5], s[4:5], 3
	s_delay_alu instid0(VALU_DEP_2) | instskip(SKIP_2) | instid1(VALU_DEP_1)
	v_add3_u32 v4, v4, v5, v6
	s_add_u32 s2, s2, s4
	s_addc_u32 s3, s3, s5
	v_lshlrev_b64 v[2:3], 3, v[3:4]
	s_delay_alu instid0(VALU_DEP_1) | instskip(NEXT) | instid1(VALU_DEP_2)
	v_add_co_u32 v2, vcc_lo, s2, v2
	v_add_co_ci_u32_e32 v3, vcc_lo, s3, v3, vcc_lo
	s_delay_alu instid0(VALU_DEP_2) | instskip(NEXT) | instid1(VALU_DEP_2)
	v_add_co_u32 v0, vcc_lo, v2, v0
	v_add_co_ci_u32_e32 v1, vcc_lo, v3, v1, vcc_lo
	global_load_b64 v[2:3], v[0:1], off
	v_mul_f32_e32 v4, s19, v12
	s_waitcnt vmcnt(0)
	v_dual_mul_f32 v5, s18, v12 :: v_dual_mul_f32 v6, s1, v3
	v_mul_f32_e32 v3, s0, v3
	s_delay_alu instid0(VALU_DEP_3) | instskip(NEXT) | instid1(VALU_DEP_3)
	v_fma_f32 v4, v13, s18, -v4
	v_fma_f32 v6, v2, s0, -v6
	s_delay_alu instid0(VALU_DEP_4) | instskip(NEXT) | instid1(VALU_DEP_4)
	v_fmac_f32_e32 v5, s19, v13
	v_fmac_f32_e32 v3, s1, v2
	s_delay_alu instid0(VALU_DEP_1)
	v_dual_add_f32 v2, v4, v6 :: v_dual_add_f32 v3, v5, v3
	global_store_b64 v[0:1], v[2:3], off
.LBB1127_5:
	s_nop 0
	s_sendmsg sendmsg(MSG_DEALLOC_VGPRS)
	s_endpgm
	.section	.rodata,"a",@progbits
	.p2align	6, 0x0
	.amdhsa_kernel _ZL41rocblas_syrkx_herkx_small_restrict_kernelIl19rocblas_complex_numIfELi16ELb0ELb0ELc78ELc85EKS1_S1_EviT_T0_PT6_S3_lS6_S3_lS4_PT7_S3_li
		.amdhsa_group_segment_fixed_size 4096
		.amdhsa_private_segment_fixed_size 0
		.amdhsa_kernarg_size 108
		.amdhsa_user_sgpr_count 13
		.amdhsa_user_sgpr_dispatch_ptr 0
		.amdhsa_user_sgpr_queue_ptr 0
		.amdhsa_user_sgpr_kernarg_segment_ptr 1
		.amdhsa_user_sgpr_dispatch_id 0
		.amdhsa_user_sgpr_private_segment_size 0
		.amdhsa_wavefront_size32 1
		.amdhsa_uses_dynamic_stack 0
		.amdhsa_enable_private_segment 0
		.amdhsa_system_sgpr_workgroup_id_x 1
		.amdhsa_system_sgpr_workgroup_id_y 1
		.amdhsa_system_sgpr_workgroup_id_z 1
		.amdhsa_system_sgpr_workgroup_info 0
		.amdhsa_system_vgpr_workitem_id 1
		.amdhsa_next_free_vgpr 87
		.amdhsa_next_free_sgpr 32
		.amdhsa_reserve_vcc 1
		.amdhsa_float_round_mode_32 0
		.amdhsa_float_round_mode_16_64 0
		.amdhsa_float_denorm_mode_32 3
		.amdhsa_float_denorm_mode_16_64 3
		.amdhsa_dx10_clamp 1
		.amdhsa_ieee_mode 1
		.amdhsa_fp16_overflow 0
		.amdhsa_workgroup_processor_mode 1
		.amdhsa_memory_ordered 1
		.amdhsa_forward_progress 0
		.amdhsa_shared_vgpr_count 0
		.amdhsa_exception_fp_ieee_invalid_op 0
		.amdhsa_exception_fp_denorm_src 0
		.amdhsa_exception_fp_ieee_div_zero 0
		.amdhsa_exception_fp_ieee_overflow 0
		.amdhsa_exception_fp_ieee_underflow 0
		.amdhsa_exception_fp_ieee_inexact 0
		.amdhsa_exception_int_div_zero 0
	.end_amdhsa_kernel
	.section	.text._ZL41rocblas_syrkx_herkx_small_restrict_kernelIl19rocblas_complex_numIfELi16ELb0ELb0ELc78ELc85EKS1_S1_EviT_T0_PT6_S3_lS6_S3_lS4_PT7_S3_li,"axG",@progbits,_ZL41rocblas_syrkx_herkx_small_restrict_kernelIl19rocblas_complex_numIfELi16ELb0ELb0ELc78ELc85EKS1_S1_EviT_T0_PT6_S3_lS6_S3_lS4_PT7_S3_li,comdat
.Lfunc_end1127:
	.size	_ZL41rocblas_syrkx_herkx_small_restrict_kernelIl19rocblas_complex_numIfELi16ELb0ELb0ELc78ELc85EKS1_S1_EviT_T0_PT6_S3_lS6_S3_lS4_PT7_S3_li, .Lfunc_end1127-_ZL41rocblas_syrkx_herkx_small_restrict_kernelIl19rocblas_complex_numIfELi16ELb0ELb0ELc78ELc85EKS1_S1_EviT_T0_PT6_S3_lS6_S3_lS4_PT7_S3_li
                                        ; -- End function
	.section	.AMDGPU.csdata,"",@progbits
; Kernel info:
; codeLenInByte = 1364
; NumSgprs: 34
; NumVgprs: 87
; ScratchSize: 0
; MemoryBound: 0
; FloatMode: 240
; IeeeMode: 1
; LDSByteSize: 4096 bytes/workgroup (compile time only)
; SGPRBlocks: 4
; VGPRBlocks: 10
; NumSGPRsForWavesPerEU: 34
; NumVGPRsForWavesPerEU: 87
; Occupancy: 16
; WaveLimiterHint : 0
; COMPUTE_PGM_RSRC2:SCRATCH_EN: 0
; COMPUTE_PGM_RSRC2:USER_SGPR: 13
; COMPUTE_PGM_RSRC2:TRAP_HANDLER: 0
; COMPUTE_PGM_RSRC2:TGID_X_EN: 1
; COMPUTE_PGM_RSRC2:TGID_Y_EN: 1
; COMPUTE_PGM_RSRC2:TGID_Z_EN: 1
; COMPUTE_PGM_RSRC2:TIDIG_COMP_CNT: 1
	.section	.text._ZL32rocblas_syrkx_herkx_small_kernelIl19rocblas_complex_numIfELi16ELb1ELb0ELc84ELc76EKS1_S1_EviT_T0_PT6_S3_lS6_S3_lS4_PT7_S3_li,"axG",@progbits,_ZL32rocblas_syrkx_herkx_small_kernelIl19rocblas_complex_numIfELi16ELb1ELb0ELc84ELc76EKS1_S1_EviT_T0_PT6_S3_lS6_S3_lS4_PT7_S3_li,comdat
	.globl	_ZL32rocblas_syrkx_herkx_small_kernelIl19rocblas_complex_numIfELi16ELb1ELb0ELc84ELc76EKS1_S1_EviT_T0_PT6_S3_lS6_S3_lS4_PT7_S3_li ; -- Begin function _ZL32rocblas_syrkx_herkx_small_kernelIl19rocblas_complex_numIfELi16ELb1ELb0ELc84ELc76EKS1_S1_EviT_T0_PT6_S3_lS6_S3_lS4_PT7_S3_li
	.p2align	8
	.type	_ZL32rocblas_syrkx_herkx_small_kernelIl19rocblas_complex_numIfELi16ELb1ELb0ELc84ELc76EKS1_S1_EviT_T0_PT6_S3_lS6_S3_lS4_PT7_S3_li,@function
_ZL32rocblas_syrkx_herkx_small_kernelIl19rocblas_complex_numIfELi16ELb1ELb0ELc84ELc76EKS1_S1_EviT_T0_PT6_S3_lS6_S3_lS4_PT7_S3_li: ; @_ZL32rocblas_syrkx_herkx_small_kernelIl19rocblas_complex_numIfELi16ELb1ELb0ELc84ELc76EKS1_S1_EviT_T0_PT6_S3_lS6_S3_lS4_PT7_S3_li
; %bb.0:
	s_clause 0x1
	s_load_b512 s[16:31], s[0:1], 0x8
	s_load_b32 s6, s[0:1], 0x0
	v_dual_mov_b32 v17, 0 :: v_dual_and_b32 v10, 0x3ff, v0
	v_bfe_u32 v11, v0, 10, 10
	v_mov_b32_e32 v16, 0
	s_delay_alu instid0(VALU_DEP_3) | instskip(NEXT) | instid1(VALU_DEP_3)
	v_lshl_add_u32 v0, s13, 4, v10
	v_lshl_add_u32 v8, s14, 4, v11
	s_delay_alu instid0(VALU_DEP_2) | instskip(NEXT) | instid1(VALU_DEP_2)
	v_ashrrev_i32_e32 v1, 31, v0
	v_ashrrev_i32_e32 v9, 31, v8
	s_waitcnt lgkmcnt(0)
	v_cmp_lt_i64_e64 s3, s[16:17], 1
	v_cmp_gt_i32_e64 s2, s6, v0
	s_delay_alu instid0(VALU_DEP_2)
	s_and_b32 vcc_lo, exec_lo, s3
	s_cbranch_vccnz .LBB1128_11
; %bb.1:
	v_dual_mov_b32 v2, 0 :: v_dual_lshlrev_b32 v5, 7, v11
	v_lshlrev_b32_e32 v12, 3, v10
	v_mul_lo_u32 v7, s29, v8
	v_mul_lo_u32 v15, s28, v9
	v_mad_u64_u32 v[3:4], null, s28, v8, 0
	s_delay_alu instid0(VALU_DEP_4)
	v_add_nc_u32_e32 v13, v12, v5
	v_add_nc_u32_e32 v14, 0x800, v5
	v_mul_lo_u32 v16, s23, v0
	v_mul_lo_u32 v17, s22, v1
	v_mad_u64_u32 v[5:6], null, s22, v0, 0
	v_add3_u32 v4, v4, v15, v7
	s_mul_i32 s3, s31, s15
	s_mul_hi_u32 s4, s30, s15
	s_mul_hi_u32 s7, s24, s15
	s_add_i32 s5, s4, s3
	v_lshlrev_b64 v[3:4], 3, v[3:4]
	s_delay_alu instid0(VALU_DEP_3)
	v_add3_u32 v6, v6, v17, v16
	s_mul_i32 s4, s30, s15
	s_mul_i32 s3, s25, s15
	s_lshl_b64 s[4:5], s[4:5], 3
	s_add_i32 s9, s7, s3
	v_lshlrev_b64 v[5:6], 3, v[5:6]
	s_mul_i32 s8, s24, s15
	v_add_co_u32 v3, s3, v3, s4
	s_delay_alu instid0(VALU_DEP_1) | instskip(SKIP_3) | instid1(VALU_DEP_1)
	v_add_co_ci_u32_e64 v4, s3, s5, v4, s3
	s_lshl_b64 s[4:5], s[8:9], 3
	v_lshlrev_b32_e32 v7, 3, v11
	v_add_co_u32 v5, s3, v5, s4
	v_add_co_ci_u32_e64 v6, s3, s5, v6, s3
	v_add_co_u32 v3, s3, v3, v12
	s_delay_alu instid0(VALU_DEP_1) | instskip(NEXT) | instid1(VALU_DEP_4)
	v_add_co_ci_u32_e64 v16, s3, 0, v4, s3
	v_add_co_u32 v7, s3, v5, v7
	s_delay_alu instid0(VALU_DEP_1) | instskip(NEXT) | instid1(VALU_DEP_4)
	v_add_co_ci_u32_e64 v17, s3, 0, v6, s3
	v_add_co_u32 v4, s3, s26, v3
	s_delay_alu instid0(VALU_DEP_1) | instskip(SKIP_3) | instid1(VALU_DEP_1)
	v_add_co_ci_u32_e64 v5, s3, s27, v16, s3
	v_mov_b32_e32 v16, 0
	v_cmp_gt_i32_e32 vcc_lo, s6, v8
	v_add_co_u32 v6, s3, s20, v7
	v_add_co_ci_u32_e64 v7, s3, s21, v17, s3
	v_mov_b32_e32 v17, 0
	v_add_nc_u32_e32 v15, v14, v12
	s_mov_b64 s[4:5], 0
	s_xor_b32 s2, s2, -1
	s_xor_b32 s3, vcc_lo, -1
	s_branch .LBB1128_3
.LBB1128_2:                             ;   in Loop: Header=BB1128_3 Depth=1
	s_or_b32 exec_lo, exec_lo, s7
	s_waitcnt lgkmcnt(0)
	s_barrier
	buffer_gl0_inv
	ds_load_2addr_b64 v[18:21], v12 offset1:16
	ds_load_b128 v[22:25], v14
	ds_load_b128 v[26:29], v14 offset:16
	ds_load_2addr_b64 v[30:33], v12 offset0:32 offset1:48
	ds_load_2addr_b64 v[34:37], v12 offset0:64 offset1:80
	ds_load_b128 v[38:41], v14 offset:32
	ds_load_b128 v[42:45], v14 offset:48
	ds_load_2addr_b64 v[46:49], v12 offset0:96 offset1:112
	ds_load_2addr_b64 v[50:53], v12 offset0:128 offset1:144
	;; [unrolled: 1-line block ×3, first 2 shown]
	ds_load_b128 v[58:61], v14 offset:64
	ds_load_b128 v[62:65], v14 offset:80
	s_add_u32 s4, s4, 16
	s_addc_u32 s5, s5, 0
	v_add_co_u32 v4, vcc_lo, 0x80, v4
	v_cmp_ge_i64_e64 s7, s[4:5], s[16:17]
	v_add_co_ci_u32_e32 v5, vcc_lo, 0, v5, vcc_lo
	v_add_co_u32 v6, vcc_lo, 0x80, v6
	s_waitcnt lgkmcnt(10)
	v_dual_mul_f32 v3, v23, v19 :: v_dual_mul_f32 v66, v25, v21
	s_waitcnt lgkmcnt(8)
	v_dual_mul_f32 v19, v22, v19 :: v_dual_mul_f32 v68, v29, v33
	v_mul_f32_e32 v67, v27, v31
	s_delay_alu instid0(VALU_DEP_3) | instskip(SKIP_1) | instid1(VALU_DEP_3)
	v_fma_f32 v3, v22, v18, -v3
	s_waitcnt lgkmcnt(6)
	v_dual_mul_f32 v22, v41, v37 :: v_dual_fmac_f32 v19, v23, v18
	v_mul_f32_e32 v21, v24, v21
	v_dual_mul_f32 v31, v26, v31 :: v_dual_mul_f32 v18, v40, v37
	v_add_f32_e32 v3, v16, v3
	s_delay_alu instid0(VALU_DEP_4) | instskip(NEXT) | instid1(VALU_DEP_4)
	v_add_f32_e32 v16, v17, v19
	v_fmac_f32_e32 v21, v25, v20
	v_mul_f32_e32 v33, v28, v33
	v_mul_f32_e32 v69, v39, v35
	v_fma_f32 v23, v24, v20, -v66
	s_waitcnt lgkmcnt(1)
	v_dual_fmac_f32 v31, v27, v30 :: v_dual_mul_f32 v24, v58, v51
	v_add_f32_e32 v16, v16, v21
	v_dual_mul_f32 v20, v42, v47 :: v_dual_fmac_f32 v33, v29, v32
	v_fma_f32 v21, v28, v32, -v68
	v_fmac_f32_e32 v18, v41, v36
	s_delay_alu instid0(VALU_DEP_4) | instskip(NEXT) | instid1(VALU_DEP_4)
	v_add_f32_e32 v16, v16, v31
	v_dual_fmac_f32 v20, v43, v46 :: v_dual_mul_f32 v35, v38, v35
	s_waitcnt lgkmcnt(0)
	v_mul_f32_e32 v32, v62, v55
	v_fma_f32 v19, v26, v30, -v67
	v_add_f32_e32 v16, v16, v33
	v_mul_f32_e32 v27, v60, v53
	v_fmac_f32_e32 v35, v39, v34
	v_fma_f32 v22, v40, v36, -v22
	v_add_co_ci_u32_e32 v7, vcc_lo, 0, v7, vcc_lo
	s_delay_alu instid0(VALU_DEP_3)
	v_dual_fmac_f32 v27, v61, v52 :: v_dual_add_f32 v16, v16, v35
	v_mul_f32_e32 v17, v43, v47
	v_fmac_f32_e32 v24, v59, v50
	v_mul_f32_e32 v26, v61, v53
	s_and_b32 vcc_lo, exec_lo, s7
	v_dual_add_f32 v16, v16, v18 :: v_dual_add_f32 v3, v3, v23
	v_fma_f32 v23, v38, v34, -v69
	v_fma_f32 v17, v42, v46, -v17
	v_fmac_f32_e32 v32, v63, v54
	s_delay_alu instid0(VALU_DEP_4) | instskip(SKIP_2) | instid1(VALU_DEP_3)
	v_dual_add_f32 v20, v16, v20 :: v_dual_add_f32 v3, v3, v19
	v_mul_f32_e32 v19, v45, v49
	v_mul_f32_e32 v36, v64, v57
	v_add_f32_e32 v3, v3, v21
	s_delay_alu instid0(VALU_DEP_2) | instskip(NEXT) | instid1(VALU_DEP_1)
	v_dual_mul_f32 v21, v44, v49 :: v_dual_fmac_f32 v36, v65, v56
	v_fmac_f32_e32 v21, v45, v48
	s_delay_alu instid0(VALU_DEP_1) | instskip(NEXT) | instid1(VALU_DEP_1)
	v_add_f32_e32 v25, v20, v21
	v_dual_add_f32 v24, v25, v24 :: v_dual_add_f32 v3, v3, v23
	v_fma_f32 v25, v60, v52, -v26
	v_mul_f32_e32 v26, v63, v55
	s_delay_alu instid0(VALU_DEP_3) | instskip(NEXT) | instid1(VALU_DEP_4)
	v_add_f32_e32 v33, v24, v27
	v_add_f32_e32 v3, v3, v22
	v_mul_f32_e32 v23, v59, v51
	v_fma_f32 v22, v44, v48, -v19
	v_fma_f32 v34, v62, v54, -v26
	s_delay_alu instid0(VALU_DEP_4) | instskip(SKIP_3) | instid1(VALU_DEP_1)
	v_dual_add_f32 v32, v33, v32 :: v_dual_add_f32 v3, v3, v17
	ds_load_2addr_b64 v[16:19], v12 offset0:192 offset1:208
	v_fma_f32 v23, v58, v50, -v23
	v_dual_add_f32 v32, v32, v36 :: v_dual_add_f32 v3, v3, v22
	v_add_f32_e32 v3, v3, v23
	ds_load_b128 v[20:23], v14 offset:96
	v_add_f32_e32 v3, v3, v25
	ds_load_2addr_b64 v[24:27], v12 offset0:224 offset1:240
	ds_load_b128 v[28:31], v14 offset:112
	v_mul_f32_e32 v35, v65, v57
	s_waitcnt lgkmcnt(0)
	s_barrier
	v_add_f32_e32 v3, v3, v34
	buffer_gl0_inv
	v_fma_f32 v33, v64, v56, -v35
	s_delay_alu instid0(VALU_DEP_1) | instskip(SKIP_2) | instid1(VALU_DEP_2)
	v_add_f32_e32 v3, v3, v33
	v_mul_f32_e32 v34, v21, v17
	v_mul_f32_e32 v17, v20, v17
	v_fma_f32 v20, v20, v16, -v34
	s_delay_alu instid0(VALU_DEP_2) | instskip(SKIP_1) | instid1(VALU_DEP_3)
	v_dual_fmac_f32 v17, v21, v16 :: v_dual_mul_f32 v16, v23, v19
	v_mul_f32_e32 v19, v22, v19
	v_add_f32_e32 v3, v3, v20
	s_delay_alu instid0(VALU_DEP_3) | instskip(NEXT) | instid1(VALU_DEP_4)
	v_add_f32_e32 v17, v32, v17
	v_fma_f32 v16, v22, v18, -v16
	s_delay_alu instid0(VALU_DEP_4) | instskip(NEXT) | instid1(VALU_DEP_2)
	v_dual_fmac_f32 v19, v23, v18 :: v_dual_mul_f32 v18, v29, v25
	v_dual_mul_f32 v20, v28, v25 :: v_dual_add_f32 v3, v3, v16
	s_delay_alu instid0(VALU_DEP_2) | instskip(NEXT) | instid1(VALU_DEP_3)
	v_add_f32_e32 v16, v17, v19
	v_fma_f32 v17, v28, v24, -v18
	v_mul_f32_e32 v18, v31, v27
	s_delay_alu instid0(VALU_DEP_4) | instskip(NEXT) | instid1(VALU_DEP_3)
	v_dual_fmac_f32 v20, v29, v24 :: v_dual_mul_f32 v19, v30, v27
	v_add_f32_e32 v3, v3, v17
	s_delay_alu instid0(VALU_DEP_2) | instskip(NEXT) | instid1(VALU_DEP_4)
	v_add_f32_e32 v17, v16, v20
	v_fma_f32 v16, v30, v26, -v18
	s_delay_alu instid0(VALU_DEP_4) | instskip(NEXT) | instid1(VALU_DEP_1)
	v_fmac_f32_e32 v19, v31, v26
	v_dual_add_f32 v16, v3, v16 :: v_dual_add_f32 v17, v17, v19
	s_cbranch_vccnz .LBB1128_11
.LBB1128_3:                             ; =>This Inner Loop Header: Depth=1
	v_add_co_u32 v18, s7, v11, s4
	s_delay_alu instid0(VALU_DEP_1) | instskip(NEXT) | instid1(VALU_DEP_1)
	v_add_co_ci_u32_e64 v19, null, 0, s5, s7
	v_cmp_le_i64_e32 vcc_lo, s[16:17], v[18:19]
	s_or_b32 s7, s2, vcc_lo
	s_delay_alu instid0(SALU_CYCLE_1) | instskip(NEXT) | instid1(SALU_CYCLE_1)
	s_and_saveexec_b32 s8, s7
	s_xor_b32 s7, exec_lo, s8
	s_cbranch_execz .LBB1128_5
; %bb.4:                                ;   in Loop: Header=BB1128_3 Depth=1
	v_mov_b32_e32 v3, v2
	ds_store_b64 v13, v[2:3]
.LBB1128_5:                             ;   in Loop: Header=BB1128_3 Depth=1
	s_and_not1_saveexec_b32 s7, s7
	s_cbranch_execz .LBB1128_7
; %bb.6:                                ;   in Loop: Header=BB1128_3 Depth=1
	global_load_b64 v[18:19], v[6:7], off
	s_waitcnt vmcnt(0)
	ds_store_b64 v13, v[18:19]
.LBB1128_7:                             ;   in Loop: Header=BB1128_3 Depth=1
	s_or_b32 exec_lo, exec_lo, s7
	v_add_co_u32 v18, s7, v10, s4
	s_delay_alu instid0(VALU_DEP_1) | instskip(NEXT) | instid1(VALU_DEP_1)
	v_add_co_ci_u32_e64 v19, null, 0, s5, s7
	v_cmp_le_i64_e32 vcc_lo, s[16:17], v[18:19]
	s_or_b32 s7, s3, vcc_lo
	s_delay_alu instid0(SALU_CYCLE_1) | instskip(NEXT) | instid1(SALU_CYCLE_1)
	s_and_saveexec_b32 s8, s7
	s_xor_b32 s7, exec_lo, s8
	s_cbranch_execz .LBB1128_9
; %bb.8:                                ;   in Loop: Header=BB1128_3 Depth=1
	v_mov_b32_e32 v3, v2
	ds_store_b64 v15, v[2:3]
.LBB1128_9:                             ;   in Loop: Header=BB1128_3 Depth=1
	s_and_not1_saveexec_b32 s7, s7
	s_cbranch_execz .LBB1128_2
; %bb.10:                               ;   in Loop: Header=BB1128_3 Depth=1
	global_load_b64 v[18:19], v[4:5], off
	s_waitcnt vmcnt(0)
	ds_store_b64 v15, v[18:19]
	s_branch .LBB1128_2
.LBB1128_11:
	v_cmp_le_i32_e32 vcc_lo, v8, v0
	v_cmp_gt_i32_e64 s2, s6, v0
	s_delay_alu instid0(VALU_DEP_1) | instskip(NEXT) | instid1(SALU_CYCLE_1)
	s_and_b32 s2, vcc_lo, s2
	s_and_saveexec_b32 s3, s2
	s_cbranch_execz .LBB1128_13
; %bb.12:
	s_clause 0x1
	s_load_b128 s[4:7], s[0:1], 0x50
	s_load_b64 s[0:1], s[0:1], 0x60
	v_lshlrev_b64 v[0:1], 3, v[0:1]
	v_mul_f32_e32 v4, s18, v17
	s_delay_alu instid0(VALU_DEP_1)
	v_dual_mul_f32 v7, s19, v17 :: v_dual_fmac_f32 v4, s19, v16
	s_waitcnt lgkmcnt(0)
	v_mul_lo_u32 v5, v8, s7
	v_mul_lo_u32 v6, v9, s6
	v_mad_u64_u32 v[2:3], null, v8, s6, 0
	s_mul_i32 s1, s15, s1
	s_mul_hi_u32 s2, s15, s0
	s_mul_i32 s0, s15, s0
	s_add_i32 s1, s2, s1
	s_delay_alu instid0(SALU_CYCLE_1) | instskip(NEXT) | instid1(VALU_DEP_1)
	s_lshl_b64 s[0:1], s[0:1], 3
	v_add3_u32 v3, v3, v5, v6
	s_add_u32 s0, s4, s0
	s_addc_u32 s1, s5, s1
	s_delay_alu instid0(VALU_DEP_1) | instskip(SKIP_1) | instid1(VALU_DEP_2)
	v_lshlrev_b64 v[5:6], 3, v[2:3]
	v_fma_f32 v3, v16, s18, -v7
	v_add_co_u32 v2, vcc_lo, s0, v5
	s_delay_alu instid0(VALU_DEP_3) | instskip(NEXT) | instid1(VALU_DEP_2)
	v_add_co_ci_u32_e32 v5, vcc_lo, s1, v6, vcc_lo
	v_add_co_u32 v0, vcc_lo, v2, v0
	s_delay_alu instid0(VALU_DEP_2)
	v_add_co_ci_u32_e32 v1, vcc_lo, v5, v1, vcc_lo
	global_store_b64 v[0:1], v[3:4], off
.LBB1128_13:
	s_nop 0
	s_sendmsg sendmsg(MSG_DEALLOC_VGPRS)
	s_endpgm
	.section	.rodata,"a",@progbits
	.p2align	6, 0x0
	.amdhsa_kernel _ZL32rocblas_syrkx_herkx_small_kernelIl19rocblas_complex_numIfELi16ELb1ELb0ELc84ELc76EKS1_S1_EviT_T0_PT6_S3_lS6_S3_lS4_PT7_S3_li
		.amdhsa_group_segment_fixed_size 4096
		.amdhsa_private_segment_fixed_size 0
		.amdhsa_kernarg_size 108
		.amdhsa_user_sgpr_count 13
		.amdhsa_user_sgpr_dispatch_ptr 0
		.amdhsa_user_sgpr_queue_ptr 0
		.amdhsa_user_sgpr_kernarg_segment_ptr 1
		.amdhsa_user_sgpr_dispatch_id 0
		.amdhsa_user_sgpr_private_segment_size 0
		.amdhsa_wavefront_size32 1
		.amdhsa_uses_dynamic_stack 0
		.amdhsa_enable_private_segment 0
		.amdhsa_system_sgpr_workgroup_id_x 1
		.amdhsa_system_sgpr_workgroup_id_y 1
		.amdhsa_system_sgpr_workgroup_id_z 1
		.amdhsa_system_sgpr_workgroup_info 0
		.amdhsa_system_vgpr_workitem_id 1
		.amdhsa_next_free_vgpr 70
		.amdhsa_next_free_sgpr 32
		.amdhsa_reserve_vcc 1
		.amdhsa_float_round_mode_32 0
		.amdhsa_float_round_mode_16_64 0
		.amdhsa_float_denorm_mode_32 3
		.amdhsa_float_denorm_mode_16_64 3
		.amdhsa_dx10_clamp 1
		.amdhsa_ieee_mode 1
		.amdhsa_fp16_overflow 0
		.amdhsa_workgroup_processor_mode 1
		.amdhsa_memory_ordered 1
		.amdhsa_forward_progress 0
		.amdhsa_shared_vgpr_count 0
		.amdhsa_exception_fp_ieee_invalid_op 0
		.amdhsa_exception_fp_denorm_src 0
		.amdhsa_exception_fp_ieee_div_zero 0
		.amdhsa_exception_fp_ieee_overflow 0
		.amdhsa_exception_fp_ieee_underflow 0
		.amdhsa_exception_fp_ieee_inexact 0
		.amdhsa_exception_int_div_zero 0
	.end_amdhsa_kernel
	.section	.text._ZL32rocblas_syrkx_herkx_small_kernelIl19rocblas_complex_numIfELi16ELb1ELb0ELc84ELc76EKS1_S1_EviT_T0_PT6_S3_lS6_S3_lS4_PT7_S3_li,"axG",@progbits,_ZL32rocblas_syrkx_herkx_small_kernelIl19rocblas_complex_numIfELi16ELb1ELb0ELc84ELc76EKS1_S1_EviT_T0_PT6_S3_lS6_S3_lS4_PT7_S3_li,comdat
.Lfunc_end1128:
	.size	_ZL32rocblas_syrkx_herkx_small_kernelIl19rocblas_complex_numIfELi16ELb1ELb0ELc84ELc76EKS1_S1_EviT_T0_PT6_S3_lS6_S3_lS4_PT7_S3_li, .Lfunc_end1128-_ZL32rocblas_syrkx_herkx_small_kernelIl19rocblas_complex_numIfELi16ELb1ELb0ELc84ELc76EKS1_S1_EviT_T0_PT6_S3_lS6_S3_lS4_PT7_S3_li
                                        ; -- End function
	.section	.AMDGPU.csdata,"",@progbits
; Kernel info:
; codeLenInByte = 1552
; NumSgprs: 34
; NumVgprs: 70
; ScratchSize: 0
; MemoryBound: 1
; FloatMode: 240
; IeeeMode: 1
; LDSByteSize: 4096 bytes/workgroup (compile time only)
; SGPRBlocks: 4
; VGPRBlocks: 8
; NumSGPRsForWavesPerEU: 34
; NumVGPRsForWavesPerEU: 70
; Occupancy: 16
; WaveLimiterHint : 0
; COMPUTE_PGM_RSRC2:SCRATCH_EN: 0
; COMPUTE_PGM_RSRC2:USER_SGPR: 13
; COMPUTE_PGM_RSRC2:TRAP_HANDLER: 0
; COMPUTE_PGM_RSRC2:TGID_X_EN: 1
; COMPUTE_PGM_RSRC2:TGID_Y_EN: 1
; COMPUTE_PGM_RSRC2:TGID_Z_EN: 1
; COMPUTE_PGM_RSRC2:TIDIG_COMP_CNT: 1
	.section	.text._ZL32rocblas_syrkx_herkx_small_kernelIl19rocblas_complex_numIfELi16ELb1ELb0ELc67ELc76EKS1_S1_EviT_T0_PT6_S3_lS6_S3_lS4_PT7_S3_li,"axG",@progbits,_ZL32rocblas_syrkx_herkx_small_kernelIl19rocblas_complex_numIfELi16ELb1ELb0ELc67ELc76EKS1_S1_EviT_T0_PT6_S3_lS6_S3_lS4_PT7_S3_li,comdat
	.globl	_ZL32rocblas_syrkx_herkx_small_kernelIl19rocblas_complex_numIfELi16ELb1ELb0ELc67ELc76EKS1_S1_EviT_T0_PT6_S3_lS6_S3_lS4_PT7_S3_li ; -- Begin function _ZL32rocblas_syrkx_herkx_small_kernelIl19rocblas_complex_numIfELi16ELb1ELb0ELc67ELc76EKS1_S1_EviT_T0_PT6_S3_lS6_S3_lS4_PT7_S3_li
	.p2align	8
	.type	_ZL32rocblas_syrkx_herkx_small_kernelIl19rocblas_complex_numIfELi16ELb1ELb0ELc67ELc76EKS1_S1_EviT_T0_PT6_S3_lS6_S3_lS4_PT7_S3_li,@function
_ZL32rocblas_syrkx_herkx_small_kernelIl19rocblas_complex_numIfELi16ELb1ELb0ELc67ELc76EKS1_S1_EviT_T0_PT6_S3_lS6_S3_lS4_PT7_S3_li: ; @_ZL32rocblas_syrkx_herkx_small_kernelIl19rocblas_complex_numIfELi16ELb1ELb0ELc67ELc76EKS1_S1_EviT_T0_PT6_S3_lS6_S3_lS4_PT7_S3_li
; %bb.0:
	s_clause 0x1
	s_load_b512 s[16:31], s[0:1], 0x8
	s_load_b32 s6, s[0:1], 0x0
	v_dual_mov_b32 v19, 0 :: v_dual_and_b32 v12, 0x3ff, v0
	v_bfe_u32 v13, v0, 10, 10
	v_mov_b32_e32 v18, 0
	s_delay_alu instid0(VALU_DEP_3) | instskip(NEXT) | instid1(VALU_DEP_3)
	v_lshl_add_u32 v0, s13, 4, v12
	v_lshl_add_u32 v10, s14, 4, v13
	s_delay_alu instid0(VALU_DEP_2) | instskip(NEXT) | instid1(VALU_DEP_2)
	v_ashrrev_i32_e32 v1, 31, v0
	v_ashrrev_i32_e32 v11, 31, v10
	s_waitcnt lgkmcnt(0)
	v_cmp_lt_i64_e64 s3, s[16:17], 1
	v_cmp_gt_i32_e64 s2, s6, v0
	s_delay_alu instid0(VALU_DEP_2)
	s_and_b32 vcc_lo, exec_lo, s3
	s_cbranch_vccnz .LBB1129_9
; %bb.1:
	v_mul_lo_u32 v2, s29, v10
	v_mul_lo_u32 v5, s28, v11
	v_mad_u64_u32 v[3:4], null, s28, v10, 0
	v_mul_lo_u32 v8, s23, v0
	v_mul_lo_u32 v9, s22, v1
	s_mul_i32 s3, s31, s15
	s_mul_hi_u32 s4, s30, s15
	s_mul_hi_u32 s7, s24, s15
	s_add_i32 s5, s4, s3
	s_delay_alu instid0(VALU_DEP_3)
	v_add3_u32 v4, v4, v5, v2
	v_mad_u64_u32 v[5:6], null, s22, v0, 0
	s_mul_i32 s3, s25, s15
	v_dual_mov_b32 v2, 0 :: v_dual_lshlrev_b32 v7, 7, v13
	v_dual_mov_b32 v19, 0 :: v_dual_lshlrev_b32 v14, 3, v12
	s_add_i32 s9, s7, s3
	s_delay_alu instid0(VALU_DEP_3)
	v_add3_u32 v6, v6, v9, v8
	s_mul_i32 s8, s24, s15
	v_lshlrev_b64 v[3:4], 3, v[3:4]
	s_lshl_b64 s[8:9], s[8:9], 3
	s_mul_i32 s4, s30, s15
	v_lshlrev_b64 v[5:6], 3, v[5:6]
	v_dual_mov_b32 v18, 0 :: v_dual_add_nc_u32 v15, 0x800, v7
	v_add_nc_u32_e32 v16, v14, v7
	s_lshl_b64 s[4:5], s[4:5], 3
	v_lshlrev_b32_e32 v7, 3, v13
	s_delay_alu instid0(VALU_DEP_4) | instskip(NEXT) | instid1(VALU_DEP_1)
	v_add_co_u32 v5, s3, v5, s8
	v_add_co_ci_u32_e64 v6, s3, s9, v6, s3
	v_add_co_u32 v3, s3, v3, s4
	s_delay_alu instid0(VALU_DEP_1) | instskip(NEXT) | instid1(VALU_DEP_4)
	v_add_co_ci_u32_e64 v4, s3, s5, v4, s3
	v_add_co_u32 v5, s3, v5, v7
	s_delay_alu instid0(VALU_DEP_1) | instskip(NEXT) | instid1(VALU_DEP_4)
	;; [unrolled: 3-line block ×4, first 2 shown]
	v_add_co_ci_u32_e64 v9, s3, s21, v6, s3
	v_add_co_u32 v4, s3, s26, v3
	s_delay_alu instid0(VALU_DEP_1)
	v_add_co_ci_u32_e64 v5, s3, s27, v7, s3
	v_cmp_gt_i32_e32 vcc_lo, s6, v10
	v_add_co_u32 v6, s3, v8, 4
	v_add_nc_u32_e32 v17, v15, v14
	v_add_co_ci_u32_e64 v7, s3, 0, v9, s3
	s_mov_b64 s[4:5], 0
	s_xor_b32 s3, vcc_lo, -1
	s_branch .LBB1129_3
.LBB1129_2:                             ;   in Loop: Header=BB1129_3 Depth=1
	s_or_b32 exec_lo, exec_lo, s7
	s_waitcnt lgkmcnt(0)
	s_barrier
	buffer_gl0_inv
	ds_load_2addr_b64 v[20:23], v14 offset1:16
	ds_load_b128 v[24:27], v15
	ds_load_b128 v[28:31], v15 offset:16
	ds_load_2addr_b64 v[32:35], v14 offset0:32 offset1:48
	ds_load_2addr_b64 v[36:39], v14 offset0:64 offset1:80
	ds_load_b128 v[40:43], v15 offset:32
	ds_load_b128 v[44:47], v15 offset:48
	ds_load_2addr_b64 v[48:51], v14 offset0:96 offset1:112
	ds_load_2addr_b64 v[52:55], v14 offset0:128 offset1:144
	;; [unrolled: 1-line block ×3, first 2 shown]
	ds_load_b128 v[60:63], v15 offset:64
	ds_load_b128 v[64:67], v15 offset:80
	s_add_u32 s4, s4, 16
	s_addc_u32 s5, s5, 0
	v_add_co_u32 v4, vcc_lo, 0x80, v4
	v_cmp_ge_i64_e64 s7, s[4:5], s[16:17]
	v_add_co_ci_u32_e32 v5, vcc_lo, 0, v5, vcc_lo
	v_add_co_u32 v6, vcc_lo, 0x80, v6
	s_waitcnt lgkmcnt(10)
	v_dual_mul_f32 v8, v24, v21 :: v_dual_mul_f32 v9, v27, v23
	s_waitcnt lgkmcnt(8)
	v_dual_mul_f32 v3, v25, v21 :: v_dual_mul_f32 v68, v31, v35
	s_delay_alu instid0(VALU_DEP_2)
	v_dual_mul_f32 v21, v26, v23 :: v_dual_fmac_f32 v8, v25, v20
	v_mul_f32_e32 v23, v29, v33
	v_mul_f32_e32 v33, v28, v33
	;; [unrolled: 1-line block ×3, first 2 shown]
	v_fma_f32 v3, v24, v20, -v3
	v_add_f32_e32 v8, v19, v8
	s_waitcnt lgkmcnt(6)
	v_dual_mul_f32 v20, v42, v39 :: v_dual_fmac_f32 v33, v29, v32
	v_fmac_f32_e32 v21, v27, v22
	v_fmac_f32_e32 v35, v31, v34
	v_fma_f32 v9, v26, v22, -v9
	s_waitcnt lgkmcnt(4)
	v_dual_add_f32 v3, v18, v3 :: v_dual_mul_f32 v18, v45, v49
	v_add_f32_e32 v8, v8, v21
	v_fmac_f32_e32 v20, v43, v38
	v_mul_f32_e32 v24, v43, v39
	v_fma_f32 v19, v28, v32, -v23
	v_fma_f32 v21, v30, v34, -v68
	v_add_f32_e32 v8, v8, v33
	v_mul_f32_e32 v69, v41, v37
	v_mul_f32_e32 v37, v40, v37
	v_fma_f32 v18, v44, v48, -v18
	v_add_co_ci_u32_e32 v7, vcc_lo, 0, v7, vcc_lo
	s_delay_alu instid0(VALU_DEP_3)
	v_dual_add_f32 v8, v8, v35 :: v_dual_fmac_f32 v37, v41, v36
	v_fma_f32 v22, v40, v36, -v69
	s_waitcnt lgkmcnt(1)
	v_mul_f32_e32 v26, v60, v53
	s_and_b32 vcc_lo, exec_lo, s7
	s_waitcnt lgkmcnt(0)
	v_mul_f32_e32 v34, v64, v57
	v_add_f32_e32 v8, v8, v37
	v_add_f32_e32 v3, v3, v9
	v_dual_mul_f32 v9, v44, v49 :: v_dual_fmac_f32 v26, v61, v52
	s_delay_alu instid0(VALU_DEP_3) | instskip(NEXT) | instid1(VALU_DEP_3)
	v_dual_mul_f32 v23, v46, v51 :: v_dual_add_f32 v8, v8, v20
	v_add_f32_e32 v3, v3, v19
	v_mul_f32_e32 v19, v47, v51
	s_delay_alu instid0(VALU_DEP_4) | instskip(NEXT) | instid1(VALU_DEP_4)
	v_fmac_f32_e32 v9, v45, v48
	v_fmac_f32_e32 v23, v47, v50
	v_dual_mul_f32 v27, v63, v55 :: v_dual_fmac_f32 v34, v65, v56
	v_mul_f32_e32 v28, v62, v55
	s_delay_alu instid0(VALU_DEP_4) | instskip(SKIP_4) | instid1(VALU_DEP_4)
	v_add_f32_e32 v8, v8, v9
	v_add_f32_e32 v3, v3, v21
	v_fma_f32 v21, v42, v38, -v24
	v_fma_f32 v24, v46, v50, -v19
	v_fmac_f32_e32 v28, v63, v54
	v_dual_add_f32 v8, v8, v23 :: v_dual_add_f32 v3, v3, v22
	v_mul_f32_e32 v22, v61, v53
	v_mul_f32_e32 v36, v66, v59
	s_delay_alu instid0(VALU_DEP_3) | instskip(NEXT) | instid1(VALU_DEP_3)
	v_dual_add_f32 v8, v8, v26 :: v_dual_add_f32 v3, v3, v21
	v_fma_f32 v9, v60, v52, -v22
	v_mul_f32_e32 v26, v65, v57
	s_delay_alu instid0(VALU_DEP_3)
	v_dual_add_f32 v8, v8, v28 :: v_dual_add_f32 v3, v3, v18
	ds_load_2addr_b64 v[18:21], v14 offset0:192 offset1:208
	v_dual_add_f32 v8, v8, v34 :: v_dual_add_f32 v3, v3, v24
	ds_load_b128 v[22:25], v15 offset:96
	v_fmac_f32_e32 v36, v67, v58
	v_mul_f32_e32 v35, v67, v59
	v_add_f32_e32 v3, v3, v9
	v_fma_f32 v9, v62, v54, -v27
	s_waitcnt lgkmcnt(0)
	v_mul_f32_e32 v34, v23, v19
	v_mul_f32_e32 v19, v22, v19
	s_delay_alu instid0(VALU_DEP_3)
	v_dual_add_f32 v3, v3, v9 :: v_dual_add_f32 v8, v8, v36
	v_fma_f32 v9, v64, v56, -v26
	ds_load_2addr_b64 v[26:29], v14 offset0:224 offset1:240
	ds_load_b128 v[30:33], v15 offset:112
	v_fmac_f32_e32 v19, v23, v18
	s_waitcnt lgkmcnt(0)
	s_barrier
	v_add_f32_e32 v3, v3, v9
	v_fma_f32 v9, v66, v58, -v35
	v_add_f32_e32 v8, v8, v19
	buffer_gl0_inv
	v_mul_f32_e32 v19, v30, v27
	s_delay_alu instid0(VALU_DEP_1) | instskip(SKIP_4) | instid1(VALU_DEP_1)
	v_fmac_f32_e32 v19, v31, v26
	v_add_f32_e32 v3, v3, v9
	v_fma_f32 v9, v22, v18, -v34
	v_mul_f32_e32 v18, v25, v21
	v_mul_f32_e32 v21, v24, v21
	v_fmac_f32_e32 v21, v25, v20
	s_delay_alu instid0(VALU_DEP_1) | instskip(NEXT) | instid1(VALU_DEP_1)
	v_add_f32_e32 v8, v8, v21
	v_dual_add_f32 v8, v8, v19 :: v_dual_add_f32 v3, v3, v9
	v_fma_f32 v9, v24, v20, -v18
	v_mul_f32_e32 v18, v31, v27
	v_mul_f32_e32 v20, v32, v29
	s_delay_alu instid0(VALU_DEP_1) | instskip(NEXT) | instid1(VALU_DEP_3)
	v_dual_fmac_f32 v20, v33, v28 :: v_dual_add_f32 v3, v3, v9
	v_fma_f32 v9, v30, v26, -v18
	s_delay_alu instid0(VALU_DEP_2) | instskip(NEXT) | instid1(VALU_DEP_2)
	v_dual_mul_f32 v18, v33, v29 :: v_dual_add_f32 v19, v8, v20
	v_add_f32_e32 v3, v3, v9
	s_delay_alu instid0(VALU_DEP_2) | instskip(NEXT) | instid1(VALU_DEP_1)
	v_fma_f32 v9, v32, v28, -v18
	v_add_f32_e32 v18, v3, v9
	s_cbranch_vccnz .LBB1129_9
.LBB1129_3:                             ; =>This Inner Loop Header: Depth=1
	v_add_co_u32 v8, s7, v13, s4
	s_delay_alu instid0(VALU_DEP_1) | instskip(NEXT) | instid1(VALU_DEP_1)
	v_add_co_ci_u32_e64 v9, null, 0, s5, s7
	v_cmp_gt_i64_e32 vcc_lo, s[16:17], v[8:9]
	v_dual_mov_b32 v8, 0 :: v_dual_mov_b32 v9, 0
	s_and_b32 s8, s2, vcc_lo
	s_delay_alu instid0(SALU_CYCLE_1)
	s_and_saveexec_b32 s7, s8
	s_cbranch_execz .LBB1129_5
; %bb.4:                                ;   in Loop: Header=BB1129_3 Depth=1
	global_load_b64 v[8:9], v[6:7], off offset:-4
.LBB1129_5:                             ;   in Loop: Header=BB1129_3 Depth=1
	s_or_b32 exec_lo, exec_lo, s7
	v_add_co_u32 v20, s7, v12, s4
	s_delay_alu instid0(VALU_DEP_1) | instskip(SKIP_4) | instid1(SALU_CYCLE_1)
	v_add_co_ci_u32_e64 v21, null, 0, s5, s7
	s_waitcnt vmcnt(0)
	ds_store_b64 v16, v[8:9]
	v_cmp_le_i64_e32 vcc_lo, s[16:17], v[20:21]
	s_or_b32 s7, s3, vcc_lo
	s_and_saveexec_b32 s8, s7
	s_delay_alu instid0(SALU_CYCLE_1)
	s_xor_b32 s7, exec_lo, s8
	s_cbranch_execz .LBB1129_7
; %bb.6:                                ;   in Loop: Header=BB1129_3 Depth=1
	v_mov_b32_e32 v3, v2
	ds_store_b64 v17, v[2:3]
.LBB1129_7:                             ;   in Loop: Header=BB1129_3 Depth=1
	s_and_not1_saveexec_b32 s7, s7
	s_cbranch_execz .LBB1129_2
; %bb.8:                                ;   in Loop: Header=BB1129_3 Depth=1
	global_load_b64 v[8:9], v[4:5], off
	s_waitcnt vmcnt(0)
	ds_store_b64 v17, v[8:9]
	s_branch .LBB1129_2
.LBB1129_9:
	v_cmp_le_i32_e32 vcc_lo, v10, v0
	v_cmp_gt_i32_e64 s2, s6, v0
	s_delay_alu instid0(VALU_DEP_1) | instskip(NEXT) | instid1(SALU_CYCLE_1)
	s_and_b32 s2, vcc_lo, s2
	s_and_saveexec_b32 s3, s2
	s_cbranch_execz .LBB1129_11
; %bb.10:
	s_clause 0x1
	s_load_b128 s[4:7], s[0:1], 0x50
	s_load_b64 s[0:1], s[0:1], 0x60
	v_lshlrev_b64 v[0:1], 3, v[0:1]
	v_mul_f32_e32 v4, s18, v19
	s_delay_alu instid0(VALU_DEP_1)
	v_dual_mul_f32 v7, s19, v19 :: v_dual_fmac_f32 v4, s19, v18
	s_waitcnt lgkmcnt(0)
	v_mul_lo_u32 v5, v10, s7
	v_mul_lo_u32 v6, v11, s6
	v_mad_u64_u32 v[2:3], null, v10, s6, 0
	s_mul_i32 s1, s15, s1
	s_mul_hi_u32 s2, s15, s0
	s_mul_i32 s0, s15, s0
	s_add_i32 s1, s2, s1
	s_delay_alu instid0(SALU_CYCLE_1) | instskip(NEXT) | instid1(VALU_DEP_1)
	s_lshl_b64 s[0:1], s[0:1], 3
	v_add3_u32 v3, v3, v5, v6
	s_add_u32 s0, s4, s0
	s_addc_u32 s1, s5, s1
	s_delay_alu instid0(VALU_DEP_1) | instskip(SKIP_1) | instid1(VALU_DEP_2)
	v_lshlrev_b64 v[5:6], 3, v[2:3]
	v_fma_f32 v3, v18, s18, -v7
	v_add_co_u32 v2, vcc_lo, s0, v5
	s_delay_alu instid0(VALU_DEP_3) | instskip(NEXT) | instid1(VALU_DEP_2)
	v_add_co_ci_u32_e32 v5, vcc_lo, s1, v6, vcc_lo
	v_add_co_u32 v0, vcc_lo, v2, v0
	s_delay_alu instid0(VALU_DEP_2)
	v_add_co_ci_u32_e32 v1, vcc_lo, v5, v1, vcc_lo
	global_store_b64 v[0:1], v[3:4], off
.LBB1129_11:
	s_nop 0
	s_sendmsg sendmsg(MSG_DEALLOC_VGPRS)
	s_endpgm
	.section	.rodata,"a",@progbits
	.p2align	6, 0x0
	.amdhsa_kernel _ZL32rocblas_syrkx_herkx_small_kernelIl19rocblas_complex_numIfELi16ELb1ELb0ELc67ELc76EKS1_S1_EviT_T0_PT6_S3_lS6_S3_lS4_PT7_S3_li
		.amdhsa_group_segment_fixed_size 4096
		.amdhsa_private_segment_fixed_size 0
		.amdhsa_kernarg_size 108
		.amdhsa_user_sgpr_count 13
		.amdhsa_user_sgpr_dispatch_ptr 0
		.amdhsa_user_sgpr_queue_ptr 0
		.amdhsa_user_sgpr_kernarg_segment_ptr 1
		.amdhsa_user_sgpr_dispatch_id 0
		.amdhsa_user_sgpr_private_segment_size 0
		.amdhsa_wavefront_size32 1
		.amdhsa_uses_dynamic_stack 0
		.amdhsa_enable_private_segment 0
		.amdhsa_system_sgpr_workgroup_id_x 1
		.amdhsa_system_sgpr_workgroup_id_y 1
		.amdhsa_system_sgpr_workgroup_id_z 1
		.amdhsa_system_sgpr_workgroup_info 0
		.amdhsa_system_vgpr_workitem_id 1
		.amdhsa_next_free_vgpr 70
		.amdhsa_next_free_sgpr 32
		.amdhsa_reserve_vcc 1
		.amdhsa_float_round_mode_32 0
		.amdhsa_float_round_mode_16_64 0
		.amdhsa_float_denorm_mode_32 3
		.amdhsa_float_denorm_mode_16_64 3
		.amdhsa_dx10_clamp 1
		.amdhsa_ieee_mode 1
		.amdhsa_fp16_overflow 0
		.amdhsa_workgroup_processor_mode 1
		.amdhsa_memory_ordered 1
		.amdhsa_forward_progress 0
		.amdhsa_shared_vgpr_count 0
		.amdhsa_exception_fp_ieee_invalid_op 0
		.amdhsa_exception_fp_denorm_src 0
		.amdhsa_exception_fp_ieee_div_zero 0
		.amdhsa_exception_fp_ieee_overflow 0
		.amdhsa_exception_fp_ieee_underflow 0
		.amdhsa_exception_fp_ieee_inexact 0
		.amdhsa_exception_int_div_zero 0
	.end_amdhsa_kernel
	.section	.text._ZL32rocblas_syrkx_herkx_small_kernelIl19rocblas_complex_numIfELi16ELb1ELb0ELc67ELc76EKS1_S1_EviT_T0_PT6_S3_lS6_S3_lS4_PT7_S3_li,"axG",@progbits,_ZL32rocblas_syrkx_herkx_small_kernelIl19rocblas_complex_numIfELi16ELb1ELb0ELc67ELc76EKS1_S1_EviT_T0_PT6_S3_lS6_S3_lS4_PT7_S3_li,comdat
.Lfunc_end1129:
	.size	_ZL32rocblas_syrkx_herkx_small_kernelIl19rocblas_complex_numIfELi16ELb1ELb0ELc67ELc76EKS1_S1_EviT_T0_PT6_S3_lS6_S3_lS4_PT7_S3_li, .Lfunc_end1129-_ZL32rocblas_syrkx_herkx_small_kernelIl19rocblas_complex_numIfELi16ELb1ELb0ELc67ELc76EKS1_S1_EviT_T0_PT6_S3_lS6_S3_lS4_PT7_S3_li
                                        ; -- End function
	.section	.AMDGPU.csdata,"",@progbits
; Kernel info:
; codeLenInByte = 1548
; NumSgprs: 34
; NumVgprs: 70
; ScratchSize: 0
; MemoryBound: 1
; FloatMode: 240
; IeeeMode: 1
; LDSByteSize: 4096 bytes/workgroup (compile time only)
; SGPRBlocks: 4
; VGPRBlocks: 8
; NumSGPRsForWavesPerEU: 34
; NumVGPRsForWavesPerEU: 70
; Occupancy: 16
; WaveLimiterHint : 0
; COMPUTE_PGM_RSRC2:SCRATCH_EN: 0
; COMPUTE_PGM_RSRC2:USER_SGPR: 13
; COMPUTE_PGM_RSRC2:TRAP_HANDLER: 0
; COMPUTE_PGM_RSRC2:TGID_X_EN: 1
; COMPUTE_PGM_RSRC2:TGID_Y_EN: 1
; COMPUTE_PGM_RSRC2:TGID_Z_EN: 1
; COMPUTE_PGM_RSRC2:TIDIG_COMP_CNT: 1
	.section	.text._ZL32rocblas_syrkx_herkx_small_kernelIl19rocblas_complex_numIfELi16ELb1ELb0ELc78ELc76EKS1_S1_EviT_T0_PT6_S3_lS6_S3_lS4_PT7_S3_li,"axG",@progbits,_ZL32rocblas_syrkx_herkx_small_kernelIl19rocblas_complex_numIfELi16ELb1ELb0ELc78ELc76EKS1_S1_EviT_T0_PT6_S3_lS6_S3_lS4_PT7_S3_li,comdat
	.globl	_ZL32rocblas_syrkx_herkx_small_kernelIl19rocblas_complex_numIfELi16ELb1ELb0ELc78ELc76EKS1_S1_EviT_T0_PT6_S3_lS6_S3_lS4_PT7_S3_li ; -- Begin function _ZL32rocblas_syrkx_herkx_small_kernelIl19rocblas_complex_numIfELi16ELb1ELb0ELc78ELc76EKS1_S1_EviT_T0_PT6_S3_lS6_S3_lS4_PT7_S3_li
	.p2align	8
	.type	_ZL32rocblas_syrkx_herkx_small_kernelIl19rocblas_complex_numIfELi16ELb1ELb0ELc78ELc76EKS1_S1_EviT_T0_PT6_S3_lS6_S3_lS4_PT7_S3_li,@function
_ZL32rocblas_syrkx_herkx_small_kernelIl19rocblas_complex_numIfELi16ELb1ELb0ELc78ELc76EKS1_S1_EviT_T0_PT6_S3_lS6_S3_lS4_PT7_S3_li: ; @_ZL32rocblas_syrkx_herkx_small_kernelIl19rocblas_complex_numIfELi16ELb1ELb0ELc78ELc76EKS1_S1_EviT_T0_PT6_S3_lS6_S3_lS4_PT7_S3_li
; %bb.0:
	s_clause 0x1
	s_load_b512 s[16:31], s[0:1], 0x8
	s_load_b32 s10, s[0:1], 0x0
	v_dual_mov_b32 v19, 0 :: v_dual_and_b32 v12, 0x3ff, v0
	v_bfe_u32 v13, v0, 10, 10
	v_mov_b32_e32 v18, 0
	s_delay_alu instid0(VALU_DEP_3) | instskip(NEXT) | instid1(VALU_DEP_3)
	v_lshl_add_u32 v0, s13, 4, v12
	v_lshl_add_u32 v2, s14, 4, v13
	s_delay_alu instid0(VALU_DEP_2) | instskip(NEXT) | instid1(VALU_DEP_2)
	v_ashrrev_i32_e32 v1, 31, v0
	v_ashrrev_i32_e32 v3, 31, v2
	s_waitcnt lgkmcnt(0)
	v_cmp_lt_i64_e64 s2, s[16:17], 1
	v_cmp_gt_i32_e64 s3, s10, v0
	s_delay_alu instid0(VALU_DEP_2)
	s_and_b32 vcc_lo, exec_lo, s2
	s_cbranch_vccnz .LBB1130_9
; %bb.1:
	v_mad_u64_u32 v[5:6], null, s28, v12, 0
	s_mul_i32 s5, s31, s15
	s_mul_hi_u32 s7, s30, s15
	s_mul_i32 s4, s30, s15
	s_add_i32 s5, s7, s5
	v_lshlrev_b64 v[10:11], 3, v[2:3]
	s_lshl_b64 s[4:5], s[4:5], 3
	s_delay_alu instid0(VALU_DEP_2)
	v_mad_u64_u32 v[7:8], null, s29, v12, v[6:7]
	v_mad_u64_u32 v[8:9], null, s22, v13, 0
	v_mov_b32_e32 v4, 0
	s_mul_i32 s8, s25, s15
	s_mul_hi_u32 s9, s24, s15
	s_mul_i32 s6, s24, s15
	s_delay_alu instid0(VALU_DEP_3) | instskip(SKIP_1) | instid1(VALU_DEP_3)
	v_mov_b32_e32 v6, v7
	s_add_i32 s7, s9, s8
	v_dual_mov_b32 v7, v9 :: v_dual_lshlrev_b32 v14, 3, v12
	v_cmp_gt_i32_e64 s2, s10, v2
	s_mov_b64 s[8:9], 0
	s_xor_b32 s3, s3, -1
	s_delay_alu instid0(VALU_DEP_2) | instskip(SKIP_1) | instid1(VALU_DEP_2)
	v_mad_u64_u32 v[18:19], null, s23, v13, v[7:8]
	v_dual_mov_b32 v19, 0 :: v_dual_lshlrev_b32 v16, 7, v13
	v_mov_b32_e32 v9, v18
	s_delay_alu instid0(VALU_DEP_2) | instskip(SKIP_2) | instid1(VALU_DEP_3)
	v_add_nc_u32_e32 v15, 0x800, v16
	v_lshlrev_b64 v[5:6], 3, v[5:6]
	v_add_nc_u32_e32 v16, v14, v16
	v_dual_mov_b32 v18, 0 :: v_dual_add_nc_u32 v17, v15, v14
	s_delay_alu instid0(VALU_DEP_3) | instskip(NEXT) | instid1(VALU_DEP_4)
	v_add_co_u32 v5, vcc_lo, s4, v5
	v_add_co_ci_u32_e32 v6, vcc_lo, s5, v6, vcc_lo
	s_lshl_b64 s[4:5], s[6:7], 3
	s_delay_alu instid0(VALU_DEP_2) | instskip(NEXT) | instid1(VALU_DEP_2)
	v_add_co_u32 v7, vcc_lo, v5, v10
	v_add_co_ci_u32_e32 v10, vcc_lo, v6, v11, vcc_lo
	v_lshlrev_b64 v[5:6], 3, v[8:9]
	s_delay_alu instid0(VALU_DEP_3) | instskip(NEXT) | instid1(VALU_DEP_3)
	v_add_co_u32 v7, vcc_lo, v7, s26
	v_add_co_ci_u32_e32 v10, vcc_lo, s27, v10, vcc_lo
	v_lshlrev_b64 v[8:9], 3, v[0:1]
	s_delay_alu instid0(VALU_DEP_4) | instskip(SKIP_3) | instid1(VALU_DEP_4)
	v_add_co_u32 v5, vcc_lo, s4, v5
	v_add_co_ci_u32_e32 v11, vcc_lo, s5, v6, vcc_lo
	v_add_co_u32 v6, vcc_lo, v7, 4
	v_add_co_ci_u32_e32 v7, vcc_lo, 0, v10, vcc_lo
	v_add_co_u32 v5, vcc_lo, v5, v8
	s_delay_alu instid0(VALU_DEP_4) | instskip(SKIP_1) | instid1(VALU_DEP_2)
	v_add_co_ci_u32_e32 v9, vcc_lo, v11, v9, vcc_lo
	s_lshl_b64 s[4:5], s[28:29], 7
	v_add_co_u32 v8, vcc_lo, s20, v5
	s_delay_alu instid0(VALU_DEP_2)
	v_add_co_ci_u32_e32 v9, vcc_lo, s21, v9, vcc_lo
	s_lshl_b64 s[6:7], s[22:23], 7
	s_branch .LBB1130_3
.LBB1130_2:                             ;   in Loop: Header=BB1130_3 Depth=1
	s_or_b32 exec_lo, exec_lo, s11
	s_waitcnt vmcnt(0)
	ds_store_b64 v17, v[10:11]
	s_waitcnt lgkmcnt(0)
	s_barrier
	buffer_gl0_inv
	ds_load_2addr_b64 v[20:23], v14 offset1:16
	ds_load_b128 v[24:27], v15
	ds_load_b128 v[28:31], v15 offset:16
	ds_load_2addr_b64 v[32:35], v14 offset0:32 offset1:48
	ds_load_2addr_b64 v[36:39], v14 offset0:64 offset1:80
	ds_load_b128 v[40:43], v15 offset:32
	ds_load_b128 v[44:47], v15 offset:48
	ds_load_2addr_b64 v[48:51], v14 offset0:96 offset1:112
	ds_load_2addr_b64 v[52:55], v14 offset0:128 offset1:144
	;; [unrolled: 1-line block ×3, first 2 shown]
	ds_load_b128 v[60:63], v15 offset:64
	ds_load_b128 v[64:67], v15 offset:80
	s_add_u32 s8, s8, 16
	s_addc_u32 s9, s9, 0
	v_add_co_u32 v6, vcc_lo, v6, s4
	v_cmp_ge_i64_e64 s11, s[8:9], s[16:17]
	v_add_co_ci_u32_e32 v7, vcc_lo, s5, v7, vcc_lo
	v_add_co_u32 v8, vcc_lo, v8, s6
	s_waitcnt lgkmcnt(10)
	v_mul_f32_e32 v5, v25, v21
	v_dual_mul_f32 v10, v24, v21 :: v_dual_mul_f32 v11, v27, v23
	s_waitcnt lgkmcnt(8)
	v_mul_f32_e32 v68, v31, v35
	v_mul_f32_e32 v21, v26, v23
	v_fma_f32 v5, v24, v20, -v5
	s_waitcnt lgkmcnt(6)
	v_mul_f32_e32 v24, v40, v37
	v_mul_f32_e32 v23, v29, v33
	v_dual_mul_f32 v33, v28, v33 :: v_dual_fmac_f32 v10, v25, v20
	v_fma_f32 v11, v26, v22, -v11
	s_delay_alu instid0(VALU_DEP_4) | instskip(SKIP_1) | instid1(VALU_DEP_4)
	v_dual_add_f32 v5, v18, v5 :: v_dual_fmac_f32 v24, v41, v36
	v_mul_f32_e32 v18, v42, v39
	v_dual_mul_f32 v35, v30, v35 :: v_dual_add_f32 v10, v19, v10
	s_delay_alu instid0(VALU_DEP_3) | instskip(NEXT) | instid1(VALU_DEP_3)
	v_add_f32_e32 v5, v5, v11
	v_dual_mul_f32 v69, v41, v37 :: v_dual_fmac_f32 v18, v43, v38
	v_fmac_f32_e32 v33, v29, v32
	v_fmac_f32_e32 v21, v27, v22
	v_mul_f32_e32 v37, v43, v39
	v_fmac_f32_e32 v35, v31, v34
	v_fma_f32 v19, v28, v32, -v23
	v_fma_f32 v20, v30, v34, -v68
	v_add_f32_e32 v10, v10, v21
	s_waitcnt lgkmcnt(1)
	v_mul_f32_e32 v26, v63, v55
	v_fma_f32 v22, v42, v38, -v37
	v_mul_f32_e32 v27, v62, v55
	v_add_co_ci_u32_e32 v9, vcc_lo, s7, v9, vcc_lo
	v_add_f32_e32 v10, v10, v33
	v_mul_f32_e32 v11, v45, v49
	s_waitcnt lgkmcnt(0)
	v_dual_mul_f32 v34, v64, v57 :: v_dual_fmac_f32 v27, v63, v54
	s_and_b32 vcc_lo, exec_lo, s11
	v_add_f32_e32 v10, v10, v35
	v_add_f32_e32 v5, v5, v19
	v_mul_f32_e32 v19, v44, v49
	v_fma_f32 v11, v44, v48, -v11
	v_fmac_f32_e32 v34, v65, v56
	v_add_f32_e32 v10, v10, v24
	s_delay_alu instid0(VALU_DEP_1) | instskip(SKIP_3) | instid1(VALU_DEP_4)
	v_dual_fmac_f32 v19, v45, v48 :: v_dual_add_f32 v10, v10, v18
	v_dual_add_f32 v5, v5, v20 :: v_dual_mul_f32 v20, v47, v51
	v_fma_f32 v21, v40, v36, -v69
	v_mul_f32_e32 v36, v66, v59
	v_add_f32_e32 v10, v10, v19
	s_delay_alu instid0(VALU_DEP_4) | instskip(NEXT) | instid1(VALU_DEP_4)
	v_fma_f32 v18, v46, v50, -v20
	v_add_f32_e32 v5, v5, v21
	s_delay_alu instid0(VALU_DEP_4) | instskip(NEXT) | instid1(VALU_DEP_1)
	v_dual_mul_f32 v21, v46, v51 :: v_dual_fmac_f32 v36, v67, v58
	v_fmac_f32_e32 v21, v47, v50
	s_delay_alu instid0(VALU_DEP_3) | instskip(SKIP_1) | instid1(VALU_DEP_2)
	v_add_f32_e32 v5, v5, v22
	v_mul_f32_e32 v22, v61, v53
	v_dual_add_f32 v10, v10, v21 :: v_dual_add_f32 v5, v5, v11
	v_mul_f32_e32 v11, v60, v53
	s_delay_alu instid0(VALU_DEP_3) | instskip(NEXT) | instid1(VALU_DEP_2)
	v_fma_f32 v19, v60, v52, -v22
	v_fmac_f32_e32 v11, v61, v52
	s_delay_alu instid0(VALU_DEP_1) | instskip(SKIP_2) | instid1(VALU_DEP_3)
	v_add_f32_e32 v10, v10, v11
	v_fma_f32 v11, v62, v54, -v26
	v_mul_f32_e32 v26, v65, v57
	v_add_f32_e32 v10, v10, v27
	s_delay_alu instid0(VALU_DEP_1) | instskip(NEXT) | instid1(VALU_DEP_1)
	v_add_f32_e32 v10, v10, v34
	v_dual_add_f32 v5, v5, v18 :: v_dual_add_f32 v10, v10, v36
	s_delay_alu instid0(VALU_DEP_1)
	v_add_f32_e32 v5, v5, v19
	ds_load_2addr_b64 v[18:21], v14 offset0:192 offset1:208
	ds_load_b128 v[22:25], v15 offset:96
	s_waitcnt lgkmcnt(0)
	v_mul_f32_e32 v34, v23, v19
	v_mul_f32_e32 v19, v22, v19
	s_delay_alu instid0(VALU_DEP_1) | instskip(NEXT) | instid1(VALU_DEP_1)
	v_fmac_f32_e32 v19, v23, v18
	v_add_f32_e32 v10, v10, v19
	v_add_f32_e32 v5, v5, v11
	v_fma_f32 v11, v64, v56, -v26
	ds_load_2addr_b64 v[26:29], v14 offset0:224 offset1:240
	ds_load_b128 v[30:33], v15 offset:112
	v_mul_f32_e32 v35, v67, v59
	s_waitcnt lgkmcnt(0)
	s_barrier
	v_add_f32_e32 v5, v5, v11
	buffer_gl0_inv
	v_fma_f32 v11, v66, v58, -v35
	s_delay_alu instid0(VALU_DEP_1) | instskip(SKIP_3) | instid1(VALU_DEP_3)
	v_add_f32_e32 v5, v5, v11
	v_fma_f32 v11, v22, v18, -v34
	v_mul_f32_e32 v18, v25, v21
	v_mul_f32_e32 v21, v24, v21
	v_add_f32_e32 v5, v5, v11
	s_delay_alu instid0(VALU_DEP_3) | instskip(NEXT) | instid1(VALU_DEP_3)
	v_fma_f32 v11, v24, v20, -v18
	v_dual_fmac_f32 v21, v25, v20 :: v_dual_mul_f32 v18, v31, v27
	v_dual_mul_f32 v19, v30, v27 :: v_dual_mul_f32 v20, v32, v29
	s_delay_alu instid0(VALU_DEP_2) | instskip(NEXT) | instid1(VALU_DEP_3)
	v_dual_add_f32 v5, v5, v11 :: v_dual_add_f32 v10, v10, v21
	v_fma_f32 v11, v30, v26, -v18
	s_delay_alu instid0(VALU_DEP_3) | instskip(NEXT) | instid1(VALU_DEP_4)
	v_dual_fmac_f32 v19, v31, v26 :: v_dual_mul_f32 v18, v33, v29
	v_fmac_f32_e32 v20, v33, v28
	s_delay_alu instid0(VALU_DEP_3) | instskip(NEXT) | instid1(VALU_DEP_3)
	v_add_f32_e32 v5, v5, v11
	v_add_f32_e32 v10, v10, v19
	s_delay_alu instid0(VALU_DEP_4) | instskip(NEXT) | instid1(VALU_DEP_1)
	v_fma_f32 v11, v32, v28, -v18
	v_dual_add_f32 v19, v10, v20 :: v_dual_add_f32 v18, v5, v11
	s_cbranch_vccnz .LBB1130_9
.LBB1130_3:                             ; =>This Inner Loop Header: Depth=1
	v_add_co_u32 v10, s11, v13, s8
	s_delay_alu instid0(VALU_DEP_1) | instskip(NEXT) | instid1(VALU_DEP_1)
	v_add_co_ci_u32_e64 v11, null, 0, s9, s11
	v_cmp_le_i64_e32 vcc_lo, s[16:17], v[10:11]
	s_or_b32 s11, s3, vcc_lo
	s_delay_alu instid0(SALU_CYCLE_1) | instskip(NEXT) | instid1(SALU_CYCLE_1)
	s_and_saveexec_b32 s12, s11
	s_xor_b32 s11, exec_lo, s12
	s_cbranch_execz .LBB1130_5
; %bb.4:                                ;   in Loop: Header=BB1130_3 Depth=1
	v_mov_b32_e32 v5, v4
	ds_store_b64 v16, v[4:5]
.LBB1130_5:                             ;   in Loop: Header=BB1130_3 Depth=1
	s_and_not1_saveexec_b32 s11, s11
	s_cbranch_execz .LBB1130_7
; %bb.6:                                ;   in Loop: Header=BB1130_3 Depth=1
	global_load_b64 v[10:11], v[8:9], off
	s_waitcnt vmcnt(0)
	ds_store_b64 v16, v[10:11]
.LBB1130_7:                             ;   in Loop: Header=BB1130_3 Depth=1
	s_or_b32 exec_lo, exec_lo, s11
	v_add_co_u32 v10, s11, v12, s8
	s_delay_alu instid0(VALU_DEP_1) | instskip(NEXT) | instid1(VALU_DEP_1)
	v_add_co_ci_u32_e64 v11, null, 0, s9, s11
	v_cmp_gt_i64_e32 vcc_lo, s[16:17], v[10:11]
	v_dual_mov_b32 v10, 0 :: v_dual_mov_b32 v11, 0
	s_and_b32 s12, s2, vcc_lo
	s_delay_alu instid0(SALU_CYCLE_1)
	s_and_saveexec_b32 s11, s12
	s_cbranch_execz .LBB1130_2
; %bb.8:                                ;   in Loop: Header=BB1130_3 Depth=1
	global_load_b64 v[10:11], v[6:7], off offset:-4
	s_branch .LBB1130_2
.LBB1130_9:
	v_cmp_le_i32_e32 vcc_lo, v2, v0
	v_cmp_gt_i32_e64 s2, s10, v0
	s_delay_alu instid0(VALU_DEP_1) | instskip(NEXT) | instid1(SALU_CYCLE_1)
	s_and_b32 s2, vcc_lo, s2
	s_and_saveexec_b32 s3, s2
	s_cbranch_execz .LBB1130_11
; %bb.10:
	s_clause 0x1
	s_load_b128 s[4:7], s[0:1], 0x50
	s_load_b64 s[0:1], s[0:1], 0x60
	v_lshlrev_b64 v[5:6], 3, v[0:1]
	s_waitcnt lgkmcnt(0)
	v_mul_lo_u32 v7, v2, s7
	v_mul_lo_u32 v8, v3, s6
	v_mad_u64_u32 v[3:4], null, v2, s6, 0
	s_mul_i32 s1, s15, s1
	s_mul_hi_u32 s2, s15, s0
	s_mul_i32 s0, s15, s0
	s_add_i32 s1, s2, s1
	v_mul_f32_e32 v2, s18, v19
	s_lshl_b64 s[0:1], s[0:1], 3
	s_delay_alu instid0(VALU_DEP_2) | instskip(SKIP_3) | instid1(VALU_DEP_2)
	v_add3_u32 v4, v4, v7, v8
	s_add_u32 s0, s4, s0
	s_addc_u32 s1, s5, s1
	v_dual_mul_f32 v9, s19, v19 :: v_dual_fmac_f32 v2, s19, v18
	v_lshlrev_b64 v[3:4], 3, v[3:4]
	s_delay_alu instid0(VALU_DEP_2) | instskip(NEXT) | instid1(VALU_DEP_2)
	v_fma_f32 v1, v18, s18, -v9
	v_add_co_u32 v0, vcc_lo, s0, v3
	s_delay_alu instid0(VALU_DEP_3) | instskip(NEXT) | instid1(VALU_DEP_2)
	v_add_co_ci_u32_e32 v4, vcc_lo, s1, v4, vcc_lo
	v_add_co_u32 v3, vcc_lo, v0, v5
	s_delay_alu instid0(VALU_DEP_2)
	v_add_co_ci_u32_e32 v4, vcc_lo, v4, v6, vcc_lo
	global_store_b64 v[3:4], v[1:2], off
.LBB1130_11:
	s_nop 0
	s_sendmsg sendmsg(MSG_DEALLOC_VGPRS)
	s_endpgm
	.section	.rodata,"a",@progbits
	.p2align	6, 0x0
	.amdhsa_kernel _ZL32rocblas_syrkx_herkx_small_kernelIl19rocblas_complex_numIfELi16ELb1ELb0ELc78ELc76EKS1_S1_EviT_T0_PT6_S3_lS6_S3_lS4_PT7_S3_li
		.amdhsa_group_segment_fixed_size 4096
		.amdhsa_private_segment_fixed_size 0
		.amdhsa_kernarg_size 108
		.amdhsa_user_sgpr_count 13
		.amdhsa_user_sgpr_dispatch_ptr 0
		.amdhsa_user_sgpr_queue_ptr 0
		.amdhsa_user_sgpr_kernarg_segment_ptr 1
		.amdhsa_user_sgpr_dispatch_id 0
		.amdhsa_user_sgpr_private_segment_size 0
		.amdhsa_wavefront_size32 1
		.amdhsa_uses_dynamic_stack 0
		.amdhsa_enable_private_segment 0
		.amdhsa_system_sgpr_workgroup_id_x 1
		.amdhsa_system_sgpr_workgroup_id_y 1
		.amdhsa_system_sgpr_workgroup_id_z 1
		.amdhsa_system_sgpr_workgroup_info 0
		.amdhsa_system_vgpr_workitem_id 1
		.amdhsa_next_free_vgpr 70
		.amdhsa_next_free_sgpr 32
		.amdhsa_reserve_vcc 1
		.amdhsa_float_round_mode_32 0
		.amdhsa_float_round_mode_16_64 0
		.amdhsa_float_denorm_mode_32 3
		.amdhsa_float_denorm_mode_16_64 3
		.amdhsa_dx10_clamp 1
		.amdhsa_ieee_mode 1
		.amdhsa_fp16_overflow 0
		.amdhsa_workgroup_processor_mode 1
		.amdhsa_memory_ordered 1
		.amdhsa_forward_progress 0
		.amdhsa_shared_vgpr_count 0
		.amdhsa_exception_fp_ieee_invalid_op 0
		.amdhsa_exception_fp_denorm_src 0
		.amdhsa_exception_fp_ieee_div_zero 0
		.amdhsa_exception_fp_ieee_overflow 0
		.amdhsa_exception_fp_ieee_underflow 0
		.amdhsa_exception_fp_ieee_inexact 0
		.amdhsa_exception_int_div_zero 0
	.end_amdhsa_kernel
	.section	.text._ZL32rocblas_syrkx_herkx_small_kernelIl19rocblas_complex_numIfELi16ELb1ELb0ELc78ELc76EKS1_S1_EviT_T0_PT6_S3_lS6_S3_lS4_PT7_S3_li,"axG",@progbits,_ZL32rocblas_syrkx_herkx_small_kernelIl19rocblas_complex_numIfELi16ELb1ELb0ELc78ELc76EKS1_S1_EviT_T0_PT6_S3_lS6_S3_lS4_PT7_S3_li,comdat
.Lfunc_end1130:
	.size	_ZL32rocblas_syrkx_herkx_small_kernelIl19rocblas_complex_numIfELi16ELb1ELb0ELc78ELc76EKS1_S1_EviT_T0_PT6_S3_lS6_S3_lS4_PT7_S3_li, .Lfunc_end1130-_ZL32rocblas_syrkx_herkx_small_kernelIl19rocblas_complex_numIfELi16ELb1ELb0ELc78ELc76EKS1_S1_EviT_T0_PT6_S3_lS6_S3_lS4_PT7_S3_li
                                        ; -- End function
	.section	.AMDGPU.csdata,"",@progbits
; Kernel info:
; codeLenInByte = 1532
; NumSgprs: 34
; NumVgprs: 70
; ScratchSize: 0
; MemoryBound: 1
; FloatMode: 240
; IeeeMode: 1
; LDSByteSize: 4096 bytes/workgroup (compile time only)
; SGPRBlocks: 4
; VGPRBlocks: 8
; NumSGPRsForWavesPerEU: 34
; NumVGPRsForWavesPerEU: 70
; Occupancy: 16
; WaveLimiterHint : 0
; COMPUTE_PGM_RSRC2:SCRATCH_EN: 0
; COMPUTE_PGM_RSRC2:USER_SGPR: 13
; COMPUTE_PGM_RSRC2:TRAP_HANDLER: 0
; COMPUTE_PGM_RSRC2:TGID_X_EN: 1
; COMPUTE_PGM_RSRC2:TGID_Y_EN: 1
; COMPUTE_PGM_RSRC2:TGID_Z_EN: 1
; COMPUTE_PGM_RSRC2:TIDIG_COMP_CNT: 1
	.section	.text._ZL32rocblas_syrkx_herkx_small_kernelIl19rocblas_complex_numIfELi16ELb1ELb0ELc84ELc85EKS1_S1_EviT_T0_PT6_S3_lS6_S3_lS4_PT7_S3_li,"axG",@progbits,_ZL32rocblas_syrkx_herkx_small_kernelIl19rocblas_complex_numIfELi16ELb1ELb0ELc84ELc85EKS1_S1_EviT_T0_PT6_S3_lS6_S3_lS4_PT7_S3_li,comdat
	.globl	_ZL32rocblas_syrkx_herkx_small_kernelIl19rocblas_complex_numIfELi16ELb1ELb0ELc84ELc85EKS1_S1_EviT_T0_PT6_S3_lS6_S3_lS4_PT7_S3_li ; -- Begin function _ZL32rocblas_syrkx_herkx_small_kernelIl19rocblas_complex_numIfELi16ELb1ELb0ELc84ELc85EKS1_S1_EviT_T0_PT6_S3_lS6_S3_lS4_PT7_S3_li
	.p2align	8
	.type	_ZL32rocblas_syrkx_herkx_small_kernelIl19rocblas_complex_numIfELi16ELb1ELb0ELc84ELc85EKS1_S1_EviT_T0_PT6_S3_lS6_S3_lS4_PT7_S3_li,@function
_ZL32rocblas_syrkx_herkx_small_kernelIl19rocblas_complex_numIfELi16ELb1ELb0ELc84ELc85EKS1_S1_EviT_T0_PT6_S3_lS6_S3_lS4_PT7_S3_li: ; @_ZL32rocblas_syrkx_herkx_small_kernelIl19rocblas_complex_numIfELi16ELb1ELb0ELc84ELc85EKS1_S1_EviT_T0_PT6_S3_lS6_S3_lS4_PT7_S3_li
; %bb.0:
	s_clause 0x1
	s_load_b512 s[16:31], s[0:1], 0x8
	s_load_b32 s6, s[0:1], 0x0
	v_dual_mov_b32 v17, 0 :: v_dual_and_b32 v10, 0x3ff, v0
	v_bfe_u32 v11, v0, 10, 10
	v_mov_b32_e32 v16, 0
	s_delay_alu instid0(VALU_DEP_3) | instskip(NEXT) | instid1(VALU_DEP_3)
	v_lshl_add_u32 v0, s13, 4, v10
	v_lshl_add_u32 v8, s14, 4, v11
	s_delay_alu instid0(VALU_DEP_2) | instskip(NEXT) | instid1(VALU_DEP_2)
	v_ashrrev_i32_e32 v1, 31, v0
	v_ashrrev_i32_e32 v9, 31, v8
	s_waitcnt lgkmcnt(0)
	v_cmp_lt_i64_e64 s3, s[16:17], 1
	v_cmp_gt_i32_e64 s2, s6, v8
	s_delay_alu instid0(VALU_DEP_2)
	s_and_b32 vcc_lo, exec_lo, s3
	s_cbranch_vccnz .LBB1131_11
; %bb.1:
	v_mul_lo_u32 v15, s29, v8
	v_mul_lo_u32 v16, s28, v9
	v_mad_u64_u32 v[3:4], null, s28, v8, 0
	v_mul_lo_u32 v17, s23, v0
	v_mul_lo_u32 v18, s22, v1
	v_mad_u64_u32 v[5:6], null, s22, v0, 0
	s_mul_i32 s3, s31, s15
	s_mul_hi_u32 s4, s30, s15
	s_delay_alu instid0(VALU_DEP_4) | instskip(SKIP_3) | instid1(VALU_DEP_2)
	v_add3_u32 v4, v4, v16, v15
	s_add_i32 s5, s4, s3
	s_mul_i32 s4, s30, s15
	s_mul_i32 s3, s25, s15
	v_add3_u32 v6, v6, v18, v17
	v_lshlrev_b64 v[3:4], 3, v[3:4]
	s_lshl_b64 s[4:5], s[4:5], 3
	s_mul_hi_u32 s7, s24, s15
	v_dual_mov_b32 v2, 0 :: v_dual_lshlrev_b32 v7, 7, v11
	v_lshlrev_b64 v[5:6], 3, v[5:6]
	v_lshlrev_b32_e32 v12, 3, v10
	s_add_i32 s9, s7, s3
	s_mul_i32 s8, s24, s15
	v_add_co_u32 v3, s3, v3, s4
	s_delay_alu instid0(VALU_DEP_1)
	v_add_co_ci_u32_e64 v4, s3, s5, v4, s3
	s_lshl_b64 s[4:5], s[8:9], 3
	v_add_nc_u32_e32 v13, 0x800, v7
	v_add_co_u32 v5, s3, v5, s4
	v_add_nc_u32_e32 v14, v12, v7
	v_lshlrev_b32_e32 v7, 3, v11
	v_add_co_ci_u32_e64 v6, s3, s5, v6, s3
	v_add_co_u32 v3, s3, v3, v12
	s_delay_alu instid0(VALU_DEP_1) | instskip(NEXT) | instid1(VALU_DEP_4)
	v_add_co_ci_u32_e64 v16, s3, 0, v4, s3
	v_add_co_u32 v7, s3, v5, v7
	s_delay_alu instid0(VALU_DEP_1) | instskip(NEXT) | instid1(VALU_DEP_4)
	v_add_co_ci_u32_e64 v17, s3, 0, v6, s3
	v_add_co_u32 v4, s3, s26, v3
	s_delay_alu instid0(VALU_DEP_1) | instskip(SKIP_3) | instid1(VALU_DEP_1)
	v_add_co_ci_u32_e64 v5, s3, s27, v16, s3
	v_mov_b32_e32 v16, 0
	v_cmp_gt_i32_e32 vcc_lo, s6, v0
	v_add_co_u32 v6, s3, s20, v7
	v_add_co_ci_u32_e64 v7, s3, s21, v17, s3
	v_mov_b32_e32 v17, 0
	v_add_nc_u32_e32 v15, v13, v12
	s_mov_b64 s[4:5], 0
	s_xor_b32 s3, vcc_lo, -1
	s_xor_b32 s2, s2, -1
	s_branch .LBB1131_3
.LBB1131_2:                             ;   in Loop: Header=BB1131_3 Depth=1
	s_or_b32 exec_lo, exec_lo, s7
	s_waitcnt lgkmcnt(0)
	s_barrier
	buffer_gl0_inv
	ds_load_2addr_b64 v[18:21], v12 offset1:16
	ds_load_b128 v[22:25], v13
	ds_load_b128 v[26:29], v13 offset:16
	ds_load_2addr_b64 v[30:33], v12 offset0:32 offset1:48
	ds_load_2addr_b64 v[34:37], v12 offset0:64 offset1:80
	ds_load_b128 v[38:41], v13 offset:32
	ds_load_b128 v[42:45], v13 offset:48
	ds_load_2addr_b64 v[46:49], v12 offset0:96 offset1:112
	ds_load_2addr_b64 v[50:53], v12 offset0:128 offset1:144
	;; [unrolled: 1-line block ×3, first 2 shown]
	ds_load_b128 v[58:61], v13 offset:64
	ds_load_b128 v[62:65], v13 offset:80
	s_add_u32 s4, s4, 16
	s_addc_u32 s5, s5, 0
	v_add_co_u32 v4, vcc_lo, 0x80, v4
	v_cmp_ge_i64_e64 s7, s[4:5], s[16:17]
	v_add_co_ci_u32_e32 v5, vcc_lo, 0, v5, vcc_lo
	v_add_co_u32 v6, vcc_lo, 0x80, v6
	s_waitcnt lgkmcnt(10)
	v_dual_mul_f32 v3, v23, v19 :: v_dual_mul_f32 v66, v25, v21
	s_waitcnt lgkmcnt(8)
	v_dual_mul_f32 v19, v22, v19 :: v_dual_mul_f32 v68, v29, v33
	v_mul_f32_e32 v67, v27, v31
	s_delay_alu instid0(VALU_DEP_3) | instskip(SKIP_1) | instid1(VALU_DEP_3)
	v_fma_f32 v3, v22, v18, -v3
	s_waitcnt lgkmcnt(6)
	v_dual_mul_f32 v22, v41, v37 :: v_dual_fmac_f32 v19, v23, v18
	v_mul_f32_e32 v21, v24, v21
	v_dual_mul_f32 v31, v26, v31 :: v_dual_mul_f32 v18, v40, v37
	v_add_f32_e32 v3, v16, v3
	s_delay_alu instid0(VALU_DEP_4) | instskip(NEXT) | instid1(VALU_DEP_4)
	v_add_f32_e32 v16, v17, v19
	v_fmac_f32_e32 v21, v25, v20
	v_mul_f32_e32 v33, v28, v33
	v_mul_f32_e32 v69, v39, v35
	v_fma_f32 v23, v24, v20, -v66
	s_waitcnt lgkmcnt(1)
	v_dual_fmac_f32 v31, v27, v30 :: v_dual_mul_f32 v24, v58, v51
	v_add_f32_e32 v16, v16, v21
	v_dual_mul_f32 v20, v42, v47 :: v_dual_fmac_f32 v33, v29, v32
	v_fma_f32 v21, v28, v32, -v68
	v_fmac_f32_e32 v18, v41, v36
	s_delay_alu instid0(VALU_DEP_4) | instskip(NEXT) | instid1(VALU_DEP_4)
	v_add_f32_e32 v16, v16, v31
	v_dual_fmac_f32 v20, v43, v46 :: v_dual_mul_f32 v35, v38, v35
	s_waitcnt lgkmcnt(0)
	v_mul_f32_e32 v32, v62, v55
	v_fma_f32 v19, v26, v30, -v67
	v_add_f32_e32 v16, v16, v33
	v_mul_f32_e32 v27, v60, v53
	v_fmac_f32_e32 v35, v39, v34
	v_fma_f32 v22, v40, v36, -v22
	v_add_co_ci_u32_e32 v7, vcc_lo, 0, v7, vcc_lo
	s_delay_alu instid0(VALU_DEP_3)
	v_dual_fmac_f32 v27, v61, v52 :: v_dual_add_f32 v16, v16, v35
	v_mul_f32_e32 v17, v43, v47
	v_fmac_f32_e32 v24, v59, v50
	v_mul_f32_e32 v26, v61, v53
	s_and_b32 vcc_lo, exec_lo, s7
	v_dual_add_f32 v16, v16, v18 :: v_dual_add_f32 v3, v3, v23
	v_fma_f32 v23, v38, v34, -v69
	v_fma_f32 v17, v42, v46, -v17
	v_fmac_f32_e32 v32, v63, v54
	s_delay_alu instid0(VALU_DEP_4) | instskip(SKIP_2) | instid1(VALU_DEP_3)
	v_dual_add_f32 v20, v16, v20 :: v_dual_add_f32 v3, v3, v19
	v_mul_f32_e32 v19, v45, v49
	v_mul_f32_e32 v36, v64, v57
	v_add_f32_e32 v3, v3, v21
	s_delay_alu instid0(VALU_DEP_2) | instskip(NEXT) | instid1(VALU_DEP_1)
	v_dual_mul_f32 v21, v44, v49 :: v_dual_fmac_f32 v36, v65, v56
	v_fmac_f32_e32 v21, v45, v48
	s_delay_alu instid0(VALU_DEP_1) | instskip(NEXT) | instid1(VALU_DEP_1)
	v_add_f32_e32 v25, v20, v21
	v_dual_add_f32 v24, v25, v24 :: v_dual_add_f32 v3, v3, v23
	v_fma_f32 v25, v60, v52, -v26
	v_mul_f32_e32 v26, v63, v55
	s_delay_alu instid0(VALU_DEP_3) | instskip(NEXT) | instid1(VALU_DEP_4)
	v_add_f32_e32 v33, v24, v27
	v_add_f32_e32 v3, v3, v22
	v_mul_f32_e32 v23, v59, v51
	v_fma_f32 v22, v44, v48, -v19
	v_fma_f32 v34, v62, v54, -v26
	s_delay_alu instid0(VALU_DEP_4) | instskip(SKIP_3) | instid1(VALU_DEP_1)
	v_dual_add_f32 v32, v33, v32 :: v_dual_add_f32 v3, v3, v17
	ds_load_2addr_b64 v[16:19], v12 offset0:192 offset1:208
	v_fma_f32 v23, v58, v50, -v23
	v_dual_add_f32 v32, v32, v36 :: v_dual_add_f32 v3, v3, v22
	v_add_f32_e32 v3, v3, v23
	ds_load_b128 v[20:23], v13 offset:96
	v_add_f32_e32 v3, v3, v25
	ds_load_2addr_b64 v[24:27], v12 offset0:224 offset1:240
	ds_load_b128 v[28:31], v13 offset:112
	v_mul_f32_e32 v35, v65, v57
	s_waitcnt lgkmcnt(0)
	s_barrier
	v_add_f32_e32 v3, v3, v34
	buffer_gl0_inv
	v_fma_f32 v33, v64, v56, -v35
	s_delay_alu instid0(VALU_DEP_1) | instskip(SKIP_2) | instid1(VALU_DEP_2)
	v_add_f32_e32 v3, v3, v33
	v_mul_f32_e32 v34, v21, v17
	v_mul_f32_e32 v17, v20, v17
	v_fma_f32 v20, v20, v16, -v34
	s_delay_alu instid0(VALU_DEP_2) | instskip(SKIP_1) | instid1(VALU_DEP_3)
	v_dual_fmac_f32 v17, v21, v16 :: v_dual_mul_f32 v16, v23, v19
	v_mul_f32_e32 v19, v22, v19
	v_add_f32_e32 v3, v3, v20
	s_delay_alu instid0(VALU_DEP_3) | instskip(NEXT) | instid1(VALU_DEP_4)
	v_add_f32_e32 v17, v32, v17
	v_fma_f32 v16, v22, v18, -v16
	s_delay_alu instid0(VALU_DEP_4) | instskip(NEXT) | instid1(VALU_DEP_2)
	v_dual_fmac_f32 v19, v23, v18 :: v_dual_mul_f32 v18, v29, v25
	v_dual_mul_f32 v20, v28, v25 :: v_dual_add_f32 v3, v3, v16
	s_delay_alu instid0(VALU_DEP_2) | instskip(NEXT) | instid1(VALU_DEP_3)
	v_add_f32_e32 v16, v17, v19
	v_fma_f32 v17, v28, v24, -v18
	v_mul_f32_e32 v18, v31, v27
	s_delay_alu instid0(VALU_DEP_4) | instskip(NEXT) | instid1(VALU_DEP_3)
	v_dual_fmac_f32 v20, v29, v24 :: v_dual_mul_f32 v19, v30, v27
	v_add_f32_e32 v3, v3, v17
	s_delay_alu instid0(VALU_DEP_2) | instskip(NEXT) | instid1(VALU_DEP_4)
	v_add_f32_e32 v17, v16, v20
	v_fma_f32 v16, v30, v26, -v18
	s_delay_alu instid0(VALU_DEP_4) | instskip(NEXT) | instid1(VALU_DEP_1)
	v_fmac_f32_e32 v19, v31, v26
	v_dual_add_f32 v16, v3, v16 :: v_dual_add_f32 v17, v17, v19
	s_cbranch_vccnz .LBB1131_11
.LBB1131_3:                             ; =>This Inner Loop Header: Depth=1
	v_add_co_u32 v18, s7, v11, s4
	s_delay_alu instid0(VALU_DEP_1) | instskip(NEXT) | instid1(VALU_DEP_1)
	v_add_co_ci_u32_e64 v19, null, 0, s5, s7
	v_cmp_le_i64_e32 vcc_lo, s[16:17], v[18:19]
	s_or_b32 s7, s3, vcc_lo
	s_delay_alu instid0(SALU_CYCLE_1) | instskip(NEXT) | instid1(SALU_CYCLE_1)
	s_and_saveexec_b32 s8, s7
	s_xor_b32 s7, exec_lo, s8
	s_cbranch_execz .LBB1131_5
; %bb.4:                                ;   in Loop: Header=BB1131_3 Depth=1
	v_mov_b32_e32 v3, v2
	ds_store_b64 v14, v[2:3]
.LBB1131_5:                             ;   in Loop: Header=BB1131_3 Depth=1
	s_and_not1_saveexec_b32 s7, s7
	s_cbranch_execz .LBB1131_7
; %bb.6:                                ;   in Loop: Header=BB1131_3 Depth=1
	global_load_b64 v[18:19], v[6:7], off
	s_waitcnt vmcnt(0)
	ds_store_b64 v14, v[18:19]
.LBB1131_7:                             ;   in Loop: Header=BB1131_3 Depth=1
	s_or_b32 exec_lo, exec_lo, s7
	v_add_co_u32 v18, s7, v10, s4
	s_delay_alu instid0(VALU_DEP_1) | instskip(NEXT) | instid1(VALU_DEP_1)
	v_add_co_ci_u32_e64 v19, null, 0, s5, s7
	v_cmp_le_i64_e32 vcc_lo, s[16:17], v[18:19]
	s_or_b32 s7, s2, vcc_lo
	s_delay_alu instid0(SALU_CYCLE_1) | instskip(NEXT) | instid1(SALU_CYCLE_1)
	s_and_saveexec_b32 s8, s7
	s_xor_b32 s7, exec_lo, s8
	s_cbranch_execz .LBB1131_9
; %bb.8:                                ;   in Loop: Header=BB1131_3 Depth=1
	v_mov_b32_e32 v3, v2
	ds_store_b64 v15, v[2:3]
.LBB1131_9:                             ;   in Loop: Header=BB1131_3 Depth=1
	s_and_not1_saveexec_b32 s7, s7
	s_cbranch_execz .LBB1131_2
; %bb.10:                               ;   in Loop: Header=BB1131_3 Depth=1
	global_load_b64 v[18:19], v[4:5], off
	s_waitcnt vmcnt(0)
	ds_store_b64 v15, v[18:19]
	s_branch .LBB1131_2
.LBB1131_11:
	v_cmp_le_i32_e32 vcc_lo, v0, v8
	v_cmp_gt_i32_e64 s2, s6, v8
	s_delay_alu instid0(VALU_DEP_1) | instskip(NEXT) | instid1(SALU_CYCLE_1)
	s_and_b32 s2, vcc_lo, s2
	s_and_saveexec_b32 s3, s2
	s_cbranch_execz .LBB1131_13
; %bb.12:
	s_clause 0x1
	s_load_b128 s[4:7], s[0:1], 0x50
	s_load_b64 s[0:1], s[0:1], 0x60
	v_lshlrev_b64 v[0:1], 3, v[0:1]
	v_mul_f32_e32 v4, s18, v17
	s_delay_alu instid0(VALU_DEP_1)
	v_dual_mul_f32 v7, s19, v17 :: v_dual_fmac_f32 v4, s19, v16
	s_waitcnt lgkmcnt(0)
	v_mul_lo_u32 v5, v8, s7
	v_mul_lo_u32 v6, v9, s6
	v_mad_u64_u32 v[2:3], null, v8, s6, 0
	s_mul_i32 s1, s15, s1
	s_mul_hi_u32 s2, s15, s0
	s_mul_i32 s0, s15, s0
	s_add_i32 s1, s2, s1
	s_delay_alu instid0(SALU_CYCLE_1) | instskip(NEXT) | instid1(VALU_DEP_1)
	s_lshl_b64 s[0:1], s[0:1], 3
	v_add3_u32 v3, v3, v5, v6
	s_add_u32 s0, s4, s0
	s_addc_u32 s1, s5, s1
	s_delay_alu instid0(VALU_DEP_1) | instskip(SKIP_1) | instid1(VALU_DEP_2)
	v_lshlrev_b64 v[5:6], 3, v[2:3]
	v_fma_f32 v3, v16, s18, -v7
	v_add_co_u32 v2, vcc_lo, s0, v5
	s_delay_alu instid0(VALU_DEP_3) | instskip(NEXT) | instid1(VALU_DEP_2)
	v_add_co_ci_u32_e32 v5, vcc_lo, s1, v6, vcc_lo
	v_add_co_u32 v0, vcc_lo, v2, v0
	s_delay_alu instid0(VALU_DEP_2)
	v_add_co_ci_u32_e32 v1, vcc_lo, v5, v1, vcc_lo
	global_store_b64 v[0:1], v[3:4], off
.LBB1131_13:
	s_nop 0
	s_sendmsg sendmsg(MSG_DEALLOC_VGPRS)
	s_endpgm
	.section	.rodata,"a",@progbits
	.p2align	6, 0x0
	.amdhsa_kernel _ZL32rocblas_syrkx_herkx_small_kernelIl19rocblas_complex_numIfELi16ELb1ELb0ELc84ELc85EKS1_S1_EviT_T0_PT6_S3_lS6_S3_lS4_PT7_S3_li
		.amdhsa_group_segment_fixed_size 4096
		.amdhsa_private_segment_fixed_size 0
		.amdhsa_kernarg_size 108
		.amdhsa_user_sgpr_count 13
		.amdhsa_user_sgpr_dispatch_ptr 0
		.amdhsa_user_sgpr_queue_ptr 0
		.amdhsa_user_sgpr_kernarg_segment_ptr 1
		.amdhsa_user_sgpr_dispatch_id 0
		.amdhsa_user_sgpr_private_segment_size 0
		.amdhsa_wavefront_size32 1
		.amdhsa_uses_dynamic_stack 0
		.amdhsa_enable_private_segment 0
		.amdhsa_system_sgpr_workgroup_id_x 1
		.amdhsa_system_sgpr_workgroup_id_y 1
		.amdhsa_system_sgpr_workgroup_id_z 1
		.amdhsa_system_sgpr_workgroup_info 0
		.amdhsa_system_vgpr_workitem_id 1
		.amdhsa_next_free_vgpr 70
		.amdhsa_next_free_sgpr 32
		.amdhsa_reserve_vcc 1
		.amdhsa_float_round_mode_32 0
		.amdhsa_float_round_mode_16_64 0
		.amdhsa_float_denorm_mode_32 3
		.amdhsa_float_denorm_mode_16_64 3
		.amdhsa_dx10_clamp 1
		.amdhsa_ieee_mode 1
		.amdhsa_fp16_overflow 0
		.amdhsa_workgroup_processor_mode 1
		.amdhsa_memory_ordered 1
		.amdhsa_forward_progress 0
		.amdhsa_shared_vgpr_count 0
		.amdhsa_exception_fp_ieee_invalid_op 0
		.amdhsa_exception_fp_denorm_src 0
		.amdhsa_exception_fp_ieee_div_zero 0
		.amdhsa_exception_fp_ieee_overflow 0
		.amdhsa_exception_fp_ieee_underflow 0
		.amdhsa_exception_fp_ieee_inexact 0
		.amdhsa_exception_int_div_zero 0
	.end_amdhsa_kernel
	.section	.text._ZL32rocblas_syrkx_herkx_small_kernelIl19rocblas_complex_numIfELi16ELb1ELb0ELc84ELc85EKS1_S1_EviT_T0_PT6_S3_lS6_S3_lS4_PT7_S3_li,"axG",@progbits,_ZL32rocblas_syrkx_herkx_small_kernelIl19rocblas_complex_numIfELi16ELb1ELb0ELc84ELc85EKS1_S1_EviT_T0_PT6_S3_lS6_S3_lS4_PT7_S3_li,comdat
.Lfunc_end1131:
	.size	_ZL32rocblas_syrkx_herkx_small_kernelIl19rocblas_complex_numIfELi16ELb1ELb0ELc84ELc85EKS1_S1_EviT_T0_PT6_S3_lS6_S3_lS4_PT7_S3_li, .Lfunc_end1131-_ZL32rocblas_syrkx_herkx_small_kernelIl19rocblas_complex_numIfELi16ELb1ELb0ELc84ELc85EKS1_S1_EviT_T0_PT6_S3_lS6_S3_lS4_PT7_S3_li
                                        ; -- End function
	.section	.AMDGPU.csdata,"",@progbits
; Kernel info:
; codeLenInByte = 1548
; NumSgprs: 34
; NumVgprs: 70
; ScratchSize: 0
; MemoryBound: 1
; FloatMode: 240
; IeeeMode: 1
; LDSByteSize: 4096 bytes/workgroup (compile time only)
; SGPRBlocks: 4
; VGPRBlocks: 8
; NumSGPRsForWavesPerEU: 34
; NumVGPRsForWavesPerEU: 70
; Occupancy: 16
; WaveLimiterHint : 0
; COMPUTE_PGM_RSRC2:SCRATCH_EN: 0
; COMPUTE_PGM_RSRC2:USER_SGPR: 13
; COMPUTE_PGM_RSRC2:TRAP_HANDLER: 0
; COMPUTE_PGM_RSRC2:TGID_X_EN: 1
; COMPUTE_PGM_RSRC2:TGID_Y_EN: 1
; COMPUTE_PGM_RSRC2:TGID_Z_EN: 1
; COMPUTE_PGM_RSRC2:TIDIG_COMP_CNT: 1
	.section	.text._ZL32rocblas_syrkx_herkx_small_kernelIl19rocblas_complex_numIfELi16ELb1ELb0ELc67ELc85EKS1_S1_EviT_T0_PT6_S3_lS6_S3_lS4_PT7_S3_li,"axG",@progbits,_ZL32rocblas_syrkx_herkx_small_kernelIl19rocblas_complex_numIfELi16ELb1ELb0ELc67ELc85EKS1_S1_EviT_T0_PT6_S3_lS6_S3_lS4_PT7_S3_li,comdat
	.globl	_ZL32rocblas_syrkx_herkx_small_kernelIl19rocblas_complex_numIfELi16ELb1ELb0ELc67ELc85EKS1_S1_EviT_T0_PT6_S3_lS6_S3_lS4_PT7_S3_li ; -- Begin function _ZL32rocblas_syrkx_herkx_small_kernelIl19rocblas_complex_numIfELi16ELb1ELb0ELc67ELc85EKS1_S1_EviT_T0_PT6_S3_lS6_S3_lS4_PT7_S3_li
	.p2align	8
	.type	_ZL32rocblas_syrkx_herkx_small_kernelIl19rocblas_complex_numIfELi16ELb1ELb0ELc67ELc85EKS1_S1_EviT_T0_PT6_S3_lS6_S3_lS4_PT7_S3_li,@function
_ZL32rocblas_syrkx_herkx_small_kernelIl19rocblas_complex_numIfELi16ELb1ELb0ELc67ELc85EKS1_S1_EviT_T0_PT6_S3_lS6_S3_lS4_PT7_S3_li: ; @_ZL32rocblas_syrkx_herkx_small_kernelIl19rocblas_complex_numIfELi16ELb1ELb0ELc67ELc85EKS1_S1_EviT_T0_PT6_S3_lS6_S3_lS4_PT7_S3_li
; %bb.0:
	s_clause 0x1
	s_load_b512 s[16:31], s[0:1], 0x8
	s_load_b32 s6, s[0:1], 0x0
	v_dual_mov_b32 v19, 0 :: v_dual_and_b32 v12, 0x3ff, v0
	v_bfe_u32 v13, v0, 10, 10
	v_mov_b32_e32 v18, 0
	s_delay_alu instid0(VALU_DEP_3) | instskip(NEXT) | instid1(VALU_DEP_3)
	v_lshl_add_u32 v0, s13, 4, v12
	v_lshl_add_u32 v10, s14, 4, v13
	s_delay_alu instid0(VALU_DEP_2) | instskip(NEXT) | instid1(VALU_DEP_2)
	v_ashrrev_i32_e32 v1, 31, v0
	v_ashrrev_i32_e32 v11, 31, v10
	s_waitcnt lgkmcnt(0)
	v_cmp_lt_i64_e64 s2, s[16:17], 1
	v_cmp_gt_i32_e64 s3, s6, v10
	s_delay_alu instid0(VALU_DEP_2)
	s_and_b32 vcc_lo, exec_lo, s2
	s_cbranch_vccnz .LBB1132_9
; %bb.1:
	v_mul_lo_u32 v2, s29, v10
	v_mul_lo_u32 v5, s28, v11
	v_mad_u64_u32 v[3:4], null, s28, v10, 0
	v_mul_lo_u32 v8, s23, v0
	v_mul_lo_u32 v9, s22, v1
	s_mul_i32 s7, s25, s15
	s_mul_hi_u32 s8, s24, s15
	v_lshlrev_b32_e32 v7, 7, v13
	v_dual_mov_b32 v19, 0 :: v_dual_lshlrev_b32 v14, 3, v12
	v_add3_u32 v4, v4, v5, v2
	v_mad_u64_u32 v[5:6], null, s22, v0, 0
	s_add_i32 s9, s8, s7
	s_mul_i32 s8, s24, s15
	s_delay_alu instid0(VALU_DEP_2) | instskip(SKIP_3) | instid1(VALU_DEP_2)
	v_lshlrev_b64 v[3:4], 3, v[3:4]
	s_mul_i32 s4, s31, s15
	s_mul_hi_u32 s5, s30, s15
	s_lshl_b64 s[8:9], s[8:9], 3
	v_add3_u32 v6, v6, v9, v8
	s_add_i32 s5, s5, s4
	s_mul_i32 s4, s30, s15
	v_dual_mov_b32 v2, 0 :: v_dual_add_nc_u32 v15, 0x800, v7
	v_mov_b32_e32 v18, 0
	v_lshlrev_b64 v[5:6], 3, v[5:6]
	v_add_nc_u32_e32 v16, v14, v7
	s_lshl_b64 s[4:5], s[4:5], 3
	v_lshlrev_b32_e32 v7, 3, v13
	v_cmp_gt_i32_e64 s2, s6, v0
	v_add_nc_u32_e32 v17, v15, v14
	v_add_co_u32 v5, vcc_lo, v5, s8
	v_add_co_ci_u32_e32 v6, vcc_lo, s9, v6, vcc_lo
	v_add_co_u32 v3, vcc_lo, v3, s4
	v_add_co_ci_u32_e32 v4, vcc_lo, s5, v4, vcc_lo
	s_delay_alu instid0(VALU_DEP_4) | instskip(NEXT) | instid1(VALU_DEP_4)
	v_add_co_u32 v5, vcc_lo, v5, v7
	v_add_co_ci_u32_e32 v6, vcc_lo, 0, v6, vcc_lo
	s_delay_alu instid0(VALU_DEP_4) | instskip(NEXT) | instid1(VALU_DEP_4)
	;; [unrolled: 3-line block ×5, first 2 shown]
	v_add_co_u32 v6, vcc_lo, v8, 4
	v_add_co_ci_u32_e32 v7, vcc_lo, 0, v9, vcc_lo
	s_mov_b64 s[4:5], 0
	s_xor_b32 s3, s3, -1
	s_branch .LBB1132_3
.LBB1132_2:                             ;   in Loop: Header=BB1132_3 Depth=1
	s_or_b32 exec_lo, exec_lo, s7
	s_waitcnt lgkmcnt(0)
	s_barrier
	buffer_gl0_inv
	ds_load_2addr_b64 v[20:23], v14 offset1:16
	ds_load_b128 v[24:27], v15
	ds_load_b128 v[28:31], v15 offset:16
	ds_load_2addr_b64 v[32:35], v14 offset0:32 offset1:48
	ds_load_2addr_b64 v[36:39], v14 offset0:64 offset1:80
	ds_load_b128 v[40:43], v15 offset:32
	ds_load_b128 v[44:47], v15 offset:48
	ds_load_2addr_b64 v[48:51], v14 offset0:96 offset1:112
	ds_load_2addr_b64 v[52:55], v14 offset0:128 offset1:144
	;; [unrolled: 1-line block ×3, first 2 shown]
	ds_load_b128 v[60:63], v15 offset:64
	ds_load_b128 v[64:67], v15 offset:80
	s_add_u32 s4, s4, 16
	s_addc_u32 s5, s5, 0
	v_add_co_u32 v4, vcc_lo, 0x80, v4
	v_cmp_ge_i64_e64 s7, s[4:5], s[16:17]
	v_add_co_ci_u32_e32 v5, vcc_lo, 0, v5, vcc_lo
	v_add_co_u32 v6, vcc_lo, 0x80, v6
	s_waitcnt lgkmcnt(10)
	v_dual_mul_f32 v8, v24, v21 :: v_dual_mul_f32 v9, v27, v23
	s_waitcnt lgkmcnt(8)
	v_dual_mul_f32 v3, v25, v21 :: v_dual_mul_f32 v68, v31, v35
	s_delay_alu instid0(VALU_DEP_2)
	v_dual_mul_f32 v21, v26, v23 :: v_dual_fmac_f32 v8, v25, v20
	v_mul_f32_e32 v23, v29, v33
	v_mul_f32_e32 v33, v28, v33
	;; [unrolled: 1-line block ×3, first 2 shown]
	v_fma_f32 v3, v24, v20, -v3
	v_add_f32_e32 v8, v19, v8
	s_waitcnt lgkmcnt(6)
	v_dual_mul_f32 v20, v42, v39 :: v_dual_fmac_f32 v33, v29, v32
	v_fmac_f32_e32 v21, v27, v22
	v_fmac_f32_e32 v35, v31, v34
	v_fma_f32 v9, v26, v22, -v9
	s_waitcnt lgkmcnt(4)
	v_dual_add_f32 v3, v18, v3 :: v_dual_mul_f32 v18, v45, v49
	v_add_f32_e32 v8, v8, v21
	v_fmac_f32_e32 v20, v43, v38
	v_mul_f32_e32 v24, v43, v39
	v_fma_f32 v19, v28, v32, -v23
	v_fma_f32 v21, v30, v34, -v68
	v_add_f32_e32 v8, v8, v33
	v_mul_f32_e32 v69, v41, v37
	v_mul_f32_e32 v37, v40, v37
	v_fma_f32 v18, v44, v48, -v18
	v_add_co_ci_u32_e32 v7, vcc_lo, 0, v7, vcc_lo
	s_delay_alu instid0(VALU_DEP_3)
	v_dual_add_f32 v8, v8, v35 :: v_dual_fmac_f32 v37, v41, v36
	v_fma_f32 v22, v40, v36, -v69
	s_waitcnt lgkmcnt(1)
	v_mul_f32_e32 v26, v60, v53
	s_and_b32 vcc_lo, exec_lo, s7
	s_waitcnt lgkmcnt(0)
	v_mul_f32_e32 v34, v64, v57
	v_add_f32_e32 v8, v8, v37
	v_add_f32_e32 v3, v3, v9
	v_dual_mul_f32 v9, v44, v49 :: v_dual_fmac_f32 v26, v61, v52
	s_delay_alu instid0(VALU_DEP_3) | instskip(NEXT) | instid1(VALU_DEP_3)
	v_dual_mul_f32 v23, v46, v51 :: v_dual_add_f32 v8, v8, v20
	v_add_f32_e32 v3, v3, v19
	v_mul_f32_e32 v19, v47, v51
	s_delay_alu instid0(VALU_DEP_4) | instskip(NEXT) | instid1(VALU_DEP_4)
	v_fmac_f32_e32 v9, v45, v48
	v_fmac_f32_e32 v23, v47, v50
	v_dual_mul_f32 v27, v63, v55 :: v_dual_fmac_f32 v34, v65, v56
	v_mul_f32_e32 v28, v62, v55
	s_delay_alu instid0(VALU_DEP_4) | instskip(SKIP_4) | instid1(VALU_DEP_4)
	v_add_f32_e32 v8, v8, v9
	v_add_f32_e32 v3, v3, v21
	v_fma_f32 v21, v42, v38, -v24
	v_fma_f32 v24, v46, v50, -v19
	v_fmac_f32_e32 v28, v63, v54
	v_dual_add_f32 v8, v8, v23 :: v_dual_add_f32 v3, v3, v22
	v_mul_f32_e32 v22, v61, v53
	v_mul_f32_e32 v36, v66, v59
	s_delay_alu instid0(VALU_DEP_3) | instskip(NEXT) | instid1(VALU_DEP_3)
	v_dual_add_f32 v8, v8, v26 :: v_dual_add_f32 v3, v3, v21
	v_fma_f32 v9, v60, v52, -v22
	v_mul_f32_e32 v26, v65, v57
	s_delay_alu instid0(VALU_DEP_3)
	v_dual_add_f32 v8, v8, v28 :: v_dual_add_f32 v3, v3, v18
	ds_load_2addr_b64 v[18:21], v14 offset0:192 offset1:208
	v_dual_add_f32 v8, v8, v34 :: v_dual_add_f32 v3, v3, v24
	ds_load_b128 v[22:25], v15 offset:96
	v_fmac_f32_e32 v36, v67, v58
	v_mul_f32_e32 v35, v67, v59
	v_add_f32_e32 v3, v3, v9
	v_fma_f32 v9, v62, v54, -v27
	s_waitcnt lgkmcnt(0)
	v_mul_f32_e32 v34, v23, v19
	v_mul_f32_e32 v19, v22, v19
	s_delay_alu instid0(VALU_DEP_3)
	v_dual_add_f32 v3, v3, v9 :: v_dual_add_f32 v8, v8, v36
	v_fma_f32 v9, v64, v56, -v26
	ds_load_2addr_b64 v[26:29], v14 offset0:224 offset1:240
	ds_load_b128 v[30:33], v15 offset:112
	v_fmac_f32_e32 v19, v23, v18
	s_waitcnt lgkmcnt(0)
	s_barrier
	v_add_f32_e32 v3, v3, v9
	v_fma_f32 v9, v66, v58, -v35
	v_add_f32_e32 v8, v8, v19
	buffer_gl0_inv
	v_mul_f32_e32 v19, v30, v27
	s_delay_alu instid0(VALU_DEP_1) | instskip(SKIP_4) | instid1(VALU_DEP_1)
	v_fmac_f32_e32 v19, v31, v26
	v_add_f32_e32 v3, v3, v9
	v_fma_f32 v9, v22, v18, -v34
	v_mul_f32_e32 v18, v25, v21
	v_mul_f32_e32 v21, v24, v21
	v_fmac_f32_e32 v21, v25, v20
	s_delay_alu instid0(VALU_DEP_1) | instskip(NEXT) | instid1(VALU_DEP_1)
	v_add_f32_e32 v8, v8, v21
	v_dual_add_f32 v8, v8, v19 :: v_dual_add_f32 v3, v3, v9
	v_fma_f32 v9, v24, v20, -v18
	v_mul_f32_e32 v18, v31, v27
	v_mul_f32_e32 v20, v32, v29
	s_delay_alu instid0(VALU_DEP_1) | instskip(NEXT) | instid1(VALU_DEP_3)
	v_dual_fmac_f32 v20, v33, v28 :: v_dual_add_f32 v3, v3, v9
	v_fma_f32 v9, v30, v26, -v18
	s_delay_alu instid0(VALU_DEP_2) | instskip(NEXT) | instid1(VALU_DEP_2)
	v_dual_mul_f32 v18, v33, v29 :: v_dual_add_f32 v19, v8, v20
	v_add_f32_e32 v3, v3, v9
	s_delay_alu instid0(VALU_DEP_2) | instskip(NEXT) | instid1(VALU_DEP_1)
	v_fma_f32 v9, v32, v28, -v18
	v_add_f32_e32 v18, v3, v9
	s_cbranch_vccnz .LBB1132_9
.LBB1132_3:                             ; =>This Inner Loop Header: Depth=1
	v_add_co_u32 v8, s7, v13, s4
	s_delay_alu instid0(VALU_DEP_1) | instskip(NEXT) | instid1(VALU_DEP_1)
	v_add_co_ci_u32_e64 v9, null, 0, s5, s7
	v_cmp_gt_i64_e32 vcc_lo, s[16:17], v[8:9]
	v_dual_mov_b32 v8, 0 :: v_dual_mov_b32 v9, 0
	s_and_b32 s8, s2, vcc_lo
	s_delay_alu instid0(SALU_CYCLE_1)
	s_and_saveexec_b32 s7, s8
	s_cbranch_execz .LBB1132_5
; %bb.4:                                ;   in Loop: Header=BB1132_3 Depth=1
	global_load_b64 v[8:9], v[6:7], off offset:-4
.LBB1132_5:                             ;   in Loop: Header=BB1132_3 Depth=1
	s_or_b32 exec_lo, exec_lo, s7
	v_add_co_u32 v20, s7, v12, s4
	s_delay_alu instid0(VALU_DEP_1) | instskip(SKIP_4) | instid1(SALU_CYCLE_1)
	v_add_co_ci_u32_e64 v21, null, 0, s5, s7
	s_waitcnt vmcnt(0)
	ds_store_b64 v16, v[8:9]
	v_cmp_le_i64_e32 vcc_lo, s[16:17], v[20:21]
	s_or_b32 s7, s3, vcc_lo
	s_and_saveexec_b32 s8, s7
	s_delay_alu instid0(SALU_CYCLE_1)
	s_xor_b32 s7, exec_lo, s8
	s_cbranch_execz .LBB1132_7
; %bb.6:                                ;   in Loop: Header=BB1132_3 Depth=1
	v_mov_b32_e32 v3, v2
	ds_store_b64 v17, v[2:3]
.LBB1132_7:                             ;   in Loop: Header=BB1132_3 Depth=1
	s_and_not1_saveexec_b32 s7, s7
	s_cbranch_execz .LBB1132_2
; %bb.8:                                ;   in Loop: Header=BB1132_3 Depth=1
	global_load_b64 v[8:9], v[4:5], off
	s_waitcnt vmcnt(0)
	ds_store_b64 v17, v[8:9]
	s_branch .LBB1132_2
.LBB1132_9:
	v_cmp_le_i32_e32 vcc_lo, v0, v10
	v_cmp_gt_i32_e64 s2, s6, v10
	s_delay_alu instid0(VALU_DEP_1) | instskip(NEXT) | instid1(SALU_CYCLE_1)
	s_and_b32 s2, vcc_lo, s2
	s_and_saveexec_b32 s3, s2
	s_cbranch_execz .LBB1132_11
; %bb.10:
	s_clause 0x1
	s_load_b128 s[4:7], s[0:1], 0x50
	s_load_b64 s[0:1], s[0:1], 0x60
	v_lshlrev_b64 v[0:1], 3, v[0:1]
	v_mul_f32_e32 v4, s18, v19
	s_delay_alu instid0(VALU_DEP_1)
	v_dual_mul_f32 v7, s19, v19 :: v_dual_fmac_f32 v4, s19, v18
	s_waitcnt lgkmcnt(0)
	v_mul_lo_u32 v5, v10, s7
	v_mul_lo_u32 v6, v11, s6
	v_mad_u64_u32 v[2:3], null, v10, s6, 0
	s_mul_i32 s1, s15, s1
	s_mul_hi_u32 s2, s15, s0
	s_mul_i32 s0, s15, s0
	s_add_i32 s1, s2, s1
	s_delay_alu instid0(SALU_CYCLE_1) | instskip(NEXT) | instid1(VALU_DEP_1)
	s_lshl_b64 s[0:1], s[0:1], 3
	v_add3_u32 v3, v3, v5, v6
	s_add_u32 s0, s4, s0
	s_addc_u32 s1, s5, s1
	s_delay_alu instid0(VALU_DEP_1) | instskip(SKIP_1) | instid1(VALU_DEP_2)
	v_lshlrev_b64 v[5:6], 3, v[2:3]
	v_fma_f32 v3, v18, s18, -v7
	v_add_co_u32 v2, vcc_lo, s0, v5
	s_delay_alu instid0(VALU_DEP_3) | instskip(NEXT) | instid1(VALU_DEP_2)
	v_add_co_ci_u32_e32 v5, vcc_lo, s1, v6, vcc_lo
	v_add_co_u32 v0, vcc_lo, v2, v0
	s_delay_alu instid0(VALU_DEP_2)
	v_add_co_ci_u32_e32 v1, vcc_lo, v5, v1, vcc_lo
	global_store_b64 v[0:1], v[3:4], off
.LBB1132_11:
	s_nop 0
	s_sendmsg sendmsg(MSG_DEALLOC_VGPRS)
	s_endpgm
	.section	.rodata,"a",@progbits
	.p2align	6, 0x0
	.amdhsa_kernel _ZL32rocblas_syrkx_herkx_small_kernelIl19rocblas_complex_numIfELi16ELb1ELb0ELc67ELc85EKS1_S1_EviT_T0_PT6_S3_lS6_S3_lS4_PT7_S3_li
		.amdhsa_group_segment_fixed_size 4096
		.amdhsa_private_segment_fixed_size 0
		.amdhsa_kernarg_size 108
		.amdhsa_user_sgpr_count 13
		.amdhsa_user_sgpr_dispatch_ptr 0
		.amdhsa_user_sgpr_queue_ptr 0
		.amdhsa_user_sgpr_kernarg_segment_ptr 1
		.amdhsa_user_sgpr_dispatch_id 0
		.amdhsa_user_sgpr_private_segment_size 0
		.amdhsa_wavefront_size32 1
		.amdhsa_uses_dynamic_stack 0
		.amdhsa_enable_private_segment 0
		.amdhsa_system_sgpr_workgroup_id_x 1
		.amdhsa_system_sgpr_workgroup_id_y 1
		.amdhsa_system_sgpr_workgroup_id_z 1
		.amdhsa_system_sgpr_workgroup_info 0
		.amdhsa_system_vgpr_workitem_id 1
		.amdhsa_next_free_vgpr 70
		.amdhsa_next_free_sgpr 32
		.amdhsa_reserve_vcc 1
		.amdhsa_float_round_mode_32 0
		.amdhsa_float_round_mode_16_64 0
		.amdhsa_float_denorm_mode_32 3
		.amdhsa_float_denorm_mode_16_64 3
		.amdhsa_dx10_clamp 1
		.amdhsa_ieee_mode 1
		.amdhsa_fp16_overflow 0
		.amdhsa_workgroup_processor_mode 1
		.amdhsa_memory_ordered 1
		.amdhsa_forward_progress 0
		.amdhsa_shared_vgpr_count 0
		.amdhsa_exception_fp_ieee_invalid_op 0
		.amdhsa_exception_fp_denorm_src 0
		.amdhsa_exception_fp_ieee_div_zero 0
		.amdhsa_exception_fp_ieee_overflow 0
		.amdhsa_exception_fp_ieee_underflow 0
		.amdhsa_exception_fp_ieee_inexact 0
		.amdhsa_exception_int_div_zero 0
	.end_amdhsa_kernel
	.section	.text._ZL32rocblas_syrkx_herkx_small_kernelIl19rocblas_complex_numIfELi16ELb1ELb0ELc67ELc85EKS1_S1_EviT_T0_PT6_S3_lS6_S3_lS4_PT7_S3_li,"axG",@progbits,_ZL32rocblas_syrkx_herkx_small_kernelIl19rocblas_complex_numIfELi16ELb1ELb0ELc67ELc85EKS1_S1_EviT_T0_PT6_S3_lS6_S3_lS4_PT7_S3_li,comdat
.Lfunc_end1132:
	.size	_ZL32rocblas_syrkx_herkx_small_kernelIl19rocblas_complex_numIfELi16ELb1ELb0ELc67ELc85EKS1_S1_EviT_T0_PT6_S3_lS6_S3_lS4_PT7_S3_li, .Lfunc_end1132-_ZL32rocblas_syrkx_herkx_small_kernelIl19rocblas_complex_numIfELi16ELb1ELb0ELc67ELc85EKS1_S1_EviT_T0_PT6_S3_lS6_S3_lS4_PT7_S3_li
                                        ; -- End function
	.section	.AMDGPU.csdata,"",@progbits
; Kernel info:
; codeLenInByte = 1516
; NumSgprs: 34
; NumVgprs: 70
; ScratchSize: 0
; MemoryBound: 1
; FloatMode: 240
; IeeeMode: 1
; LDSByteSize: 4096 bytes/workgroup (compile time only)
; SGPRBlocks: 4
; VGPRBlocks: 8
; NumSGPRsForWavesPerEU: 34
; NumVGPRsForWavesPerEU: 70
; Occupancy: 16
; WaveLimiterHint : 0
; COMPUTE_PGM_RSRC2:SCRATCH_EN: 0
; COMPUTE_PGM_RSRC2:USER_SGPR: 13
; COMPUTE_PGM_RSRC2:TRAP_HANDLER: 0
; COMPUTE_PGM_RSRC2:TGID_X_EN: 1
; COMPUTE_PGM_RSRC2:TGID_Y_EN: 1
; COMPUTE_PGM_RSRC2:TGID_Z_EN: 1
; COMPUTE_PGM_RSRC2:TIDIG_COMP_CNT: 1
	.section	.text._ZL32rocblas_syrkx_herkx_small_kernelIl19rocblas_complex_numIfELi16ELb1ELb0ELc78ELc85EKS1_S1_EviT_T0_PT6_S3_lS6_S3_lS4_PT7_S3_li,"axG",@progbits,_ZL32rocblas_syrkx_herkx_small_kernelIl19rocblas_complex_numIfELi16ELb1ELb0ELc78ELc85EKS1_S1_EviT_T0_PT6_S3_lS6_S3_lS4_PT7_S3_li,comdat
	.globl	_ZL32rocblas_syrkx_herkx_small_kernelIl19rocblas_complex_numIfELi16ELb1ELb0ELc78ELc85EKS1_S1_EviT_T0_PT6_S3_lS6_S3_lS4_PT7_S3_li ; -- Begin function _ZL32rocblas_syrkx_herkx_small_kernelIl19rocblas_complex_numIfELi16ELb1ELb0ELc78ELc85EKS1_S1_EviT_T0_PT6_S3_lS6_S3_lS4_PT7_S3_li
	.p2align	8
	.type	_ZL32rocblas_syrkx_herkx_small_kernelIl19rocblas_complex_numIfELi16ELb1ELb0ELc78ELc85EKS1_S1_EviT_T0_PT6_S3_lS6_S3_lS4_PT7_S3_li,@function
_ZL32rocblas_syrkx_herkx_small_kernelIl19rocblas_complex_numIfELi16ELb1ELb0ELc78ELc85EKS1_S1_EviT_T0_PT6_S3_lS6_S3_lS4_PT7_S3_li: ; @_ZL32rocblas_syrkx_herkx_small_kernelIl19rocblas_complex_numIfELi16ELb1ELb0ELc78ELc85EKS1_S1_EviT_T0_PT6_S3_lS6_S3_lS4_PT7_S3_li
; %bb.0:
	s_clause 0x1
	s_load_b512 s[16:31], s[0:1], 0x8
	s_load_b32 s10, s[0:1], 0x0
	v_dual_mov_b32 v19, 0 :: v_dual_and_b32 v12, 0x3ff, v0
	v_bfe_u32 v13, v0, 10, 10
	v_mov_b32_e32 v18, 0
	s_delay_alu instid0(VALU_DEP_3) | instskip(NEXT) | instid1(VALU_DEP_3)
	v_lshl_add_u32 v0, s13, 4, v12
	v_lshl_add_u32 v2, s14, 4, v13
	s_delay_alu instid0(VALU_DEP_2) | instskip(NEXT) | instid1(VALU_DEP_2)
	v_ashrrev_i32_e32 v1, 31, v0
	v_ashrrev_i32_e32 v3, 31, v2
	s_waitcnt lgkmcnt(0)
	v_cmp_lt_i64_e64 s3, s[16:17], 1
	v_cmp_gt_i32_e64 s2, s10, v2
	s_delay_alu instid0(VALU_DEP_2)
	s_and_b32 vcc_lo, exec_lo, s3
	s_cbranch_vccnz .LBB1133_9
; %bb.1:
	v_mad_u64_u32 v[5:6], null, s28, v12, 0
	s_mul_i32 s3, s31, s15
	s_mul_hi_u32 s5, s30, s15
	s_mul_i32 s4, s30, s15
	s_add_i32 s5, s5, s3
	v_lshlrev_b64 v[10:11], 3, v[2:3]
	s_lshl_b64 s[4:5], s[4:5], 3
	s_delay_alu instid0(VALU_DEP_2)
	v_mad_u64_u32 v[7:8], null, s29, v12, v[6:7]
	v_mad_u64_u32 v[8:9], null, s22, v13, 0
	v_mov_b32_e32 v4, 0
	s_mul_i32 s7, s25, s15
	s_mul_hi_u32 s8, s24, s15
	s_mul_i32 s6, s24, s15
	s_delay_alu instid0(VALU_DEP_3) | instskip(SKIP_1) | instid1(VALU_DEP_3)
	v_mov_b32_e32 v6, v7
	s_add_i32 s7, s8, s7
	v_dual_mov_b32 v7, v9 :: v_dual_lshlrev_b32 v14, 3, v12
	v_cmp_gt_i32_e32 vcc_lo, s10, v0
	s_mov_b64 s[8:9], 0
	s_delay_alu instid0(VALU_DEP_2) | instskip(SKIP_1) | instid1(VALU_DEP_2)
	v_mad_u64_u32 v[18:19], null, s23, v13, v[7:8]
	v_dual_mov_b32 v19, 0 :: v_dual_lshlrev_b32 v16, 7, v13
	v_mov_b32_e32 v9, v18
	s_delay_alu instid0(VALU_DEP_2) | instskip(SKIP_2) | instid1(VALU_DEP_3)
	v_add_nc_u32_e32 v15, 0x800, v16
	v_lshlrev_b64 v[5:6], 3, v[5:6]
	v_add_nc_u32_e32 v16, v14, v16
	v_dual_mov_b32 v18, 0 :: v_dual_add_nc_u32 v17, v15, v14
	s_delay_alu instid0(VALU_DEP_3) | instskip(NEXT) | instid1(VALU_DEP_1)
	v_add_co_u32 v5, s3, s4, v5
	v_add_co_ci_u32_e64 v6, s3, s5, v6, s3
	s_lshl_b64 s[4:5], s[6:7], 3
	s_delay_alu instid0(VALU_DEP_2) | instskip(NEXT) | instid1(VALU_DEP_1)
	v_add_co_u32 v7, s3, v5, v10
	v_add_co_ci_u32_e64 v10, s3, v6, v11, s3
	v_lshlrev_b64 v[5:6], 3, v[8:9]
	s_delay_alu instid0(VALU_DEP_3) | instskip(NEXT) | instid1(VALU_DEP_1)
	v_add_co_u32 v7, s3, v7, s26
	v_add_co_ci_u32_e64 v10, s3, s27, v10, s3
	v_lshlrev_b64 v[8:9], 3, v[0:1]
	s_delay_alu instid0(VALU_DEP_4) | instskip(NEXT) | instid1(VALU_DEP_1)
	v_add_co_u32 v5, s3, s4, v5
	v_add_co_ci_u32_e64 v11, s3, s5, v6, s3
	v_add_co_u32 v6, s3, v7, 4
	s_delay_alu instid0(VALU_DEP_1) | instskip(NEXT) | instid1(VALU_DEP_4)
	v_add_co_ci_u32_e64 v7, s3, 0, v10, s3
	v_add_co_u32 v5, s3, v5, v8
	s_delay_alu instid0(VALU_DEP_1) | instskip(SKIP_1) | instid1(VALU_DEP_2)
	v_add_co_ci_u32_e64 v9, s3, v11, v9, s3
	s_lshl_b64 s[4:5], s[28:29], 7
	v_add_co_u32 v8, s3, s20, v5
	s_delay_alu instid0(VALU_DEP_1)
	v_add_co_ci_u32_e64 v9, s3, s21, v9, s3
	s_lshl_b64 s[6:7], s[22:23], 7
	s_xor_b32 s3, vcc_lo, -1
	s_branch .LBB1133_3
.LBB1133_2:                             ;   in Loop: Header=BB1133_3 Depth=1
	s_or_b32 exec_lo, exec_lo, s11
	s_waitcnt vmcnt(0)
	ds_store_b64 v17, v[10:11]
	s_waitcnt lgkmcnt(0)
	s_barrier
	buffer_gl0_inv
	ds_load_2addr_b64 v[20:23], v14 offset1:16
	ds_load_b128 v[24:27], v15
	ds_load_b128 v[28:31], v15 offset:16
	ds_load_2addr_b64 v[32:35], v14 offset0:32 offset1:48
	ds_load_2addr_b64 v[36:39], v14 offset0:64 offset1:80
	ds_load_b128 v[40:43], v15 offset:32
	ds_load_b128 v[44:47], v15 offset:48
	ds_load_2addr_b64 v[48:51], v14 offset0:96 offset1:112
	ds_load_2addr_b64 v[52:55], v14 offset0:128 offset1:144
	;; [unrolled: 1-line block ×3, first 2 shown]
	ds_load_b128 v[60:63], v15 offset:64
	ds_load_b128 v[64:67], v15 offset:80
	s_add_u32 s8, s8, 16
	s_addc_u32 s9, s9, 0
	v_add_co_u32 v6, vcc_lo, v6, s4
	v_cmp_ge_i64_e64 s11, s[8:9], s[16:17]
	v_add_co_ci_u32_e32 v7, vcc_lo, s5, v7, vcc_lo
	v_add_co_u32 v8, vcc_lo, v8, s6
	s_waitcnt lgkmcnt(10)
	v_mul_f32_e32 v5, v25, v21
	v_dual_mul_f32 v10, v24, v21 :: v_dual_mul_f32 v11, v27, v23
	s_waitcnt lgkmcnt(8)
	v_mul_f32_e32 v68, v31, v35
	v_mul_f32_e32 v21, v26, v23
	v_fma_f32 v5, v24, v20, -v5
	s_waitcnt lgkmcnt(6)
	v_mul_f32_e32 v24, v40, v37
	v_mul_f32_e32 v23, v29, v33
	v_dual_mul_f32 v33, v28, v33 :: v_dual_fmac_f32 v10, v25, v20
	v_fma_f32 v11, v26, v22, -v11
	s_delay_alu instid0(VALU_DEP_4) | instskip(SKIP_1) | instid1(VALU_DEP_4)
	v_dual_add_f32 v5, v18, v5 :: v_dual_fmac_f32 v24, v41, v36
	v_mul_f32_e32 v18, v42, v39
	v_dual_mul_f32 v35, v30, v35 :: v_dual_add_f32 v10, v19, v10
	s_delay_alu instid0(VALU_DEP_3) | instskip(NEXT) | instid1(VALU_DEP_3)
	v_add_f32_e32 v5, v5, v11
	v_dual_mul_f32 v69, v41, v37 :: v_dual_fmac_f32 v18, v43, v38
	v_fmac_f32_e32 v33, v29, v32
	v_fmac_f32_e32 v21, v27, v22
	v_mul_f32_e32 v37, v43, v39
	v_fmac_f32_e32 v35, v31, v34
	v_fma_f32 v19, v28, v32, -v23
	v_fma_f32 v20, v30, v34, -v68
	v_add_f32_e32 v10, v10, v21
	s_waitcnt lgkmcnt(1)
	v_mul_f32_e32 v26, v63, v55
	v_fma_f32 v22, v42, v38, -v37
	v_mul_f32_e32 v27, v62, v55
	v_add_co_ci_u32_e32 v9, vcc_lo, s7, v9, vcc_lo
	v_add_f32_e32 v10, v10, v33
	v_mul_f32_e32 v11, v45, v49
	s_waitcnt lgkmcnt(0)
	v_dual_mul_f32 v34, v64, v57 :: v_dual_fmac_f32 v27, v63, v54
	s_and_b32 vcc_lo, exec_lo, s11
	v_add_f32_e32 v10, v10, v35
	v_add_f32_e32 v5, v5, v19
	v_mul_f32_e32 v19, v44, v49
	v_fma_f32 v11, v44, v48, -v11
	v_fmac_f32_e32 v34, v65, v56
	v_add_f32_e32 v10, v10, v24
	s_delay_alu instid0(VALU_DEP_1) | instskip(SKIP_3) | instid1(VALU_DEP_4)
	v_dual_fmac_f32 v19, v45, v48 :: v_dual_add_f32 v10, v10, v18
	v_dual_add_f32 v5, v5, v20 :: v_dual_mul_f32 v20, v47, v51
	v_fma_f32 v21, v40, v36, -v69
	v_mul_f32_e32 v36, v66, v59
	v_add_f32_e32 v10, v10, v19
	s_delay_alu instid0(VALU_DEP_4) | instskip(NEXT) | instid1(VALU_DEP_4)
	v_fma_f32 v18, v46, v50, -v20
	v_add_f32_e32 v5, v5, v21
	s_delay_alu instid0(VALU_DEP_4) | instskip(NEXT) | instid1(VALU_DEP_1)
	v_dual_mul_f32 v21, v46, v51 :: v_dual_fmac_f32 v36, v67, v58
	v_fmac_f32_e32 v21, v47, v50
	s_delay_alu instid0(VALU_DEP_3) | instskip(SKIP_1) | instid1(VALU_DEP_2)
	v_add_f32_e32 v5, v5, v22
	v_mul_f32_e32 v22, v61, v53
	v_dual_add_f32 v10, v10, v21 :: v_dual_add_f32 v5, v5, v11
	v_mul_f32_e32 v11, v60, v53
	s_delay_alu instid0(VALU_DEP_3) | instskip(NEXT) | instid1(VALU_DEP_2)
	v_fma_f32 v19, v60, v52, -v22
	v_fmac_f32_e32 v11, v61, v52
	s_delay_alu instid0(VALU_DEP_1) | instskip(SKIP_2) | instid1(VALU_DEP_3)
	v_add_f32_e32 v10, v10, v11
	v_fma_f32 v11, v62, v54, -v26
	v_mul_f32_e32 v26, v65, v57
	v_add_f32_e32 v10, v10, v27
	s_delay_alu instid0(VALU_DEP_1) | instskip(NEXT) | instid1(VALU_DEP_1)
	v_add_f32_e32 v10, v10, v34
	v_dual_add_f32 v5, v5, v18 :: v_dual_add_f32 v10, v10, v36
	s_delay_alu instid0(VALU_DEP_1)
	v_add_f32_e32 v5, v5, v19
	ds_load_2addr_b64 v[18:21], v14 offset0:192 offset1:208
	ds_load_b128 v[22:25], v15 offset:96
	s_waitcnt lgkmcnt(0)
	v_mul_f32_e32 v34, v23, v19
	v_mul_f32_e32 v19, v22, v19
	s_delay_alu instid0(VALU_DEP_1) | instskip(NEXT) | instid1(VALU_DEP_1)
	v_fmac_f32_e32 v19, v23, v18
	v_add_f32_e32 v10, v10, v19
	v_add_f32_e32 v5, v5, v11
	v_fma_f32 v11, v64, v56, -v26
	ds_load_2addr_b64 v[26:29], v14 offset0:224 offset1:240
	ds_load_b128 v[30:33], v15 offset:112
	v_mul_f32_e32 v35, v67, v59
	s_waitcnt lgkmcnt(0)
	s_barrier
	v_add_f32_e32 v5, v5, v11
	buffer_gl0_inv
	v_fma_f32 v11, v66, v58, -v35
	s_delay_alu instid0(VALU_DEP_1) | instskip(SKIP_3) | instid1(VALU_DEP_3)
	v_add_f32_e32 v5, v5, v11
	v_fma_f32 v11, v22, v18, -v34
	v_mul_f32_e32 v18, v25, v21
	v_mul_f32_e32 v21, v24, v21
	v_add_f32_e32 v5, v5, v11
	s_delay_alu instid0(VALU_DEP_3) | instskip(NEXT) | instid1(VALU_DEP_3)
	v_fma_f32 v11, v24, v20, -v18
	v_dual_fmac_f32 v21, v25, v20 :: v_dual_mul_f32 v18, v31, v27
	v_dual_mul_f32 v19, v30, v27 :: v_dual_mul_f32 v20, v32, v29
	s_delay_alu instid0(VALU_DEP_2) | instskip(NEXT) | instid1(VALU_DEP_3)
	v_dual_add_f32 v5, v5, v11 :: v_dual_add_f32 v10, v10, v21
	v_fma_f32 v11, v30, v26, -v18
	s_delay_alu instid0(VALU_DEP_3) | instskip(NEXT) | instid1(VALU_DEP_4)
	v_dual_fmac_f32 v19, v31, v26 :: v_dual_mul_f32 v18, v33, v29
	v_fmac_f32_e32 v20, v33, v28
	s_delay_alu instid0(VALU_DEP_3) | instskip(NEXT) | instid1(VALU_DEP_3)
	v_add_f32_e32 v5, v5, v11
	v_add_f32_e32 v10, v10, v19
	s_delay_alu instid0(VALU_DEP_4) | instskip(NEXT) | instid1(VALU_DEP_1)
	v_fma_f32 v11, v32, v28, -v18
	v_dual_add_f32 v19, v10, v20 :: v_dual_add_f32 v18, v5, v11
	s_cbranch_vccnz .LBB1133_9
.LBB1133_3:                             ; =>This Inner Loop Header: Depth=1
	v_add_co_u32 v10, s11, v13, s8
	s_delay_alu instid0(VALU_DEP_1) | instskip(NEXT) | instid1(VALU_DEP_1)
	v_add_co_ci_u32_e64 v11, null, 0, s9, s11
	v_cmp_le_i64_e32 vcc_lo, s[16:17], v[10:11]
	s_or_b32 s11, s3, vcc_lo
	s_delay_alu instid0(SALU_CYCLE_1) | instskip(NEXT) | instid1(SALU_CYCLE_1)
	s_and_saveexec_b32 s12, s11
	s_xor_b32 s11, exec_lo, s12
	s_cbranch_execz .LBB1133_5
; %bb.4:                                ;   in Loop: Header=BB1133_3 Depth=1
	v_mov_b32_e32 v5, v4
	ds_store_b64 v16, v[4:5]
.LBB1133_5:                             ;   in Loop: Header=BB1133_3 Depth=1
	s_and_not1_saveexec_b32 s11, s11
	s_cbranch_execz .LBB1133_7
; %bb.6:                                ;   in Loop: Header=BB1133_3 Depth=1
	global_load_b64 v[10:11], v[8:9], off
	s_waitcnt vmcnt(0)
	ds_store_b64 v16, v[10:11]
.LBB1133_7:                             ;   in Loop: Header=BB1133_3 Depth=1
	s_or_b32 exec_lo, exec_lo, s11
	v_add_co_u32 v10, s11, v12, s8
	s_delay_alu instid0(VALU_DEP_1) | instskip(NEXT) | instid1(VALU_DEP_1)
	v_add_co_ci_u32_e64 v11, null, 0, s9, s11
	v_cmp_gt_i64_e32 vcc_lo, s[16:17], v[10:11]
	v_dual_mov_b32 v10, 0 :: v_dual_mov_b32 v11, 0
	s_and_b32 s12, s2, vcc_lo
	s_delay_alu instid0(SALU_CYCLE_1)
	s_and_saveexec_b32 s11, s12
	s_cbranch_execz .LBB1133_2
; %bb.8:                                ;   in Loop: Header=BB1133_3 Depth=1
	global_load_b64 v[10:11], v[6:7], off offset:-4
	s_branch .LBB1133_2
.LBB1133_9:
	v_cmp_le_i32_e32 vcc_lo, v0, v2
	v_cmp_gt_i32_e64 s2, s10, v2
	s_delay_alu instid0(VALU_DEP_1) | instskip(NEXT) | instid1(SALU_CYCLE_1)
	s_and_b32 s2, vcc_lo, s2
	s_and_saveexec_b32 s3, s2
	s_cbranch_execz .LBB1133_11
; %bb.10:
	s_clause 0x1
	s_load_b128 s[4:7], s[0:1], 0x50
	s_load_b64 s[0:1], s[0:1], 0x60
	v_lshlrev_b64 v[5:6], 3, v[0:1]
	s_waitcnt lgkmcnt(0)
	v_mul_lo_u32 v7, v2, s7
	v_mul_lo_u32 v8, v3, s6
	v_mad_u64_u32 v[3:4], null, v2, s6, 0
	s_mul_i32 s1, s15, s1
	s_mul_hi_u32 s2, s15, s0
	s_mul_i32 s0, s15, s0
	s_add_i32 s1, s2, s1
	v_mul_f32_e32 v2, s18, v19
	s_lshl_b64 s[0:1], s[0:1], 3
	s_delay_alu instid0(VALU_DEP_2) | instskip(SKIP_3) | instid1(VALU_DEP_2)
	v_add3_u32 v4, v4, v7, v8
	s_add_u32 s0, s4, s0
	s_addc_u32 s1, s5, s1
	v_dual_mul_f32 v9, s19, v19 :: v_dual_fmac_f32 v2, s19, v18
	v_lshlrev_b64 v[3:4], 3, v[3:4]
	s_delay_alu instid0(VALU_DEP_2) | instskip(NEXT) | instid1(VALU_DEP_2)
	v_fma_f32 v1, v18, s18, -v9
	v_add_co_u32 v0, vcc_lo, s0, v3
	s_delay_alu instid0(VALU_DEP_3) | instskip(NEXT) | instid1(VALU_DEP_2)
	v_add_co_ci_u32_e32 v4, vcc_lo, s1, v4, vcc_lo
	v_add_co_u32 v3, vcc_lo, v0, v5
	s_delay_alu instid0(VALU_DEP_2)
	v_add_co_ci_u32_e32 v4, vcc_lo, v4, v6, vcc_lo
	global_store_b64 v[3:4], v[1:2], off
.LBB1133_11:
	s_nop 0
	s_sendmsg sendmsg(MSG_DEALLOC_VGPRS)
	s_endpgm
	.section	.rodata,"a",@progbits
	.p2align	6, 0x0
	.amdhsa_kernel _ZL32rocblas_syrkx_herkx_small_kernelIl19rocblas_complex_numIfELi16ELb1ELb0ELc78ELc85EKS1_S1_EviT_T0_PT6_S3_lS6_S3_lS4_PT7_S3_li
		.amdhsa_group_segment_fixed_size 4096
		.amdhsa_private_segment_fixed_size 0
		.amdhsa_kernarg_size 108
		.amdhsa_user_sgpr_count 13
		.amdhsa_user_sgpr_dispatch_ptr 0
		.amdhsa_user_sgpr_queue_ptr 0
		.amdhsa_user_sgpr_kernarg_segment_ptr 1
		.amdhsa_user_sgpr_dispatch_id 0
		.amdhsa_user_sgpr_private_segment_size 0
		.amdhsa_wavefront_size32 1
		.amdhsa_uses_dynamic_stack 0
		.amdhsa_enable_private_segment 0
		.amdhsa_system_sgpr_workgroup_id_x 1
		.amdhsa_system_sgpr_workgroup_id_y 1
		.amdhsa_system_sgpr_workgroup_id_z 1
		.amdhsa_system_sgpr_workgroup_info 0
		.amdhsa_system_vgpr_workitem_id 1
		.amdhsa_next_free_vgpr 70
		.amdhsa_next_free_sgpr 32
		.amdhsa_reserve_vcc 1
		.amdhsa_float_round_mode_32 0
		.amdhsa_float_round_mode_16_64 0
		.amdhsa_float_denorm_mode_32 3
		.amdhsa_float_denorm_mode_16_64 3
		.amdhsa_dx10_clamp 1
		.amdhsa_ieee_mode 1
		.amdhsa_fp16_overflow 0
		.amdhsa_workgroup_processor_mode 1
		.amdhsa_memory_ordered 1
		.amdhsa_forward_progress 0
		.amdhsa_shared_vgpr_count 0
		.amdhsa_exception_fp_ieee_invalid_op 0
		.amdhsa_exception_fp_denorm_src 0
		.amdhsa_exception_fp_ieee_div_zero 0
		.amdhsa_exception_fp_ieee_overflow 0
		.amdhsa_exception_fp_ieee_underflow 0
		.amdhsa_exception_fp_ieee_inexact 0
		.amdhsa_exception_int_div_zero 0
	.end_amdhsa_kernel
	.section	.text._ZL32rocblas_syrkx_herkx_small_kernelIl19rocblas_complex_numIfELi16ELb1ELb0ELc78ELc85EKS1_S1_EviT_T0_PT6_S3_lS6_S3_lS4_PT7_S3_li,"axG",@progbits,_ZL32rocblas_syrkx_herkx_small_kernelIl19rocblas_complex_numIfELi16ELb1ELb0ELc78ELc85EKS1_S1_EviT_T0_PT6_S3_lS6_S3_lS4_PT7_S3_li,comdat
.Lfunc_end1133:
	.size	_ZL32rocblas_syrkx_herkx_small_kernelIl19rocblas_complex_numIfELi16ELb1ELb0ELc78ELc85EKS1_S1_EviT_T0_PT6_S3_lS6_S3_lS4_PT7_S3_li, .Lfunc_end1133-_ZL32rocblas_syrkx_herkx_small_kernelIl19rocblas_complex_numIfELi16ELb1ELb0ELc78ELc85EKS1_S1_EviT_T0_PT6_S3_lS6_S3_lS4_PT7_S3_li
                                        ; -- End function
	.section	.AMDGPU.csdata,"",@progbits
; Kernel info:
; codeLenInByte = 1560
; NumSgprs: 34
; NumVgprs: 70
; ScratchSize: 0
; MemoryBound: 1
; FloatMode: 240
; IeeeMode: 1
; LDSByteSize: 4096 bytes/workgroup (compile time only)
; SGPRBlocks: 4
; VGPRBlocks: 8
; NumSGPRsForWavesPerEU: 34
; NumVGPRsForWavesPerEU: 70
; Occupancy: 16
; WaveLimiterHint : 0
; COMPUTE_PGM_RSRC2:SCRATCH_EN: 0
; COMPUTE_PGM_RSRC2:USER_SGPR: 13
; COMPUTE_PGM_RSRC2:TRAP_HANDLER: 0
; COMPUTE_PGM_RSRC2:TGID_X_EN: 1
; COMPUTE_PGM_RSRC2:TGID_Y_EN: 1
; COMPUTE_PGM_RSRC2:TGID_Z_EN: 1
; COMPUTE_PGM_RSRC2:TIDIG_COMP_CNT: 1
	.section	.text._ZL32rocblas_syrkx_herkx_small_kernelIl19rocblas_complex_numIfELi16ELb0ELb0ELc84ELc76EKS1_S1_EviT_T0_PT6_S3_lS6_S3_lS4_PT7_S3_li,"axG",@progbits,_ZL32rocblas_syrkx_herkx_small_kernelIl19rocblas_complex_numIfELi16ELb0ELb0ELc84ELc76EKS1_S1_EviT_T0_PT6_S3_lS6_S3_lS4_PT7_S3_li,comdat
	.globl	_ZL32rocblas_syrkx_herkx_small_kernelIl19rocblas_complex_numIfELi16ELb0ELb0ELc84ELc76EKS1_S1_EviT_T0_PT6_S3_lS6_S3_lS4_PT7_S3_li ; -- Begin function _ZL32rocblas_syrkx_herkx_small_kernelIl19rocblas_complex_numIfELi16ELb0ELb0ELc84ELc76EKS1_S1_EviT_T0_PT6_S3_lS6_S3_lS4_PT7_S3_li
	.p2align	8
	.type	_ZL32rocblas_syrkx_herkx_small_kernelIl19rocblas_complex_numIfELi16ELb0ELb0ELc84ELc76EKS1_S1_EviT_T0_PT6_S3_lS6_S3_lS4_PT7_S3_li,@function
_ZL32rocblas_syrkx_herkx_small_kernelIl19rocblas_complex_numIfELi16ELb0ELb0ELc84ELc76EKS1_S1_EviT_T0_PT6_S3_lS6_S3_lS4_PT7_S3_li: ; @_ZL32rocblas_syrkx_herkx_small_kernelIl19rocblas_complex_numIfELi16ELb0ELb0ELc84ELc76EKS1_S1_EviT_T0_PT6_S3_lS6_S3_lS4_PT7_S3_li
; %bb.0:
	s_clause 0x1
	s_load_b512 s[16:31], s[0:1], 0x8
	s_load_b32 s12, s[0:1], 0x0
	v_dual_mov_b32 v17, 0 :: v_dual_and_b32 v10, 0x3ff, v0
	v_bfe_u32 v11, v0, 10, 10
	v_mov_b32_e32 v16, 0
	s_delay_alu instid0(VALU_DEP_3) | instskip(NEXT) | instid1(VALU_DEP_3)
	v_lshl_add_u32 v0, s13, 4, v10
	v_lshl_add_u32 v8, s14, 4, v11
	s_delay_alu instid0(VALU_DEP_2) | instskip(NEXT) | instid1(VALU_DEP_2)
	v_ashrrev_i32_e32 v1, 31, v0
	v_ashrrev_i32_e32 v9, 31, v8
	s_waitcnt lgkmcnt(0)
	v_cmp_lt_i64_e64 s3, s[16:17], 1
	v_cmp_gt_i32_e64 s2, s12, v0
	s_delay_alu instid0(VALU_DEP_2)
	s_and_b32 vcc_lo, exec_lo, s3
	s_cbranch_vccnz .LBB1134_11
; %bb.1:
	v_dual_mov_b32 v2, 0 :: v_dual_lshlrev_b32 v5, 7, v11
	v_lshlrev_b32_e32 v12, 3, v10
	v_mul_lo_u32 v7, s29, v8
	v_mul_lo_u32 v15, s28, v9
	v_mad_u64_u32 v[3:4], null, s28, v8, 0
	s_delay_alu instid0(VALU_DEP_4)
	v_add_nc_u32_e32 v13, v12, v5
	v_add_nc_u32_e32 v14, 0x800, v5
	v_mul_lo_u32 v16, s23, v0
	v_mul_lo_u32 v17, s22, v1
	v_mad_u64_u32 v[5:6], null, s22, v0, 0
	v_add3_u32 v4, v4, v15, v7
	s_mul_i32 s3, s31, s15
	s_mul_hi_u32 s4, s30, s15
	s_mul_hi_u32 s6, s24, s15
	s_add_i32 s5, s4, s3
	v_lshlrev_b64 v[3:4], 3, v[3:4]
	s_delay_alu instid0(VALU_DEP_3)
	v_add3_u32 v6, v6, v17, v16
	s_mul_i32 s4, s30, s15
	s_mul_i32 s3, s25, s15
	s_lshl_b64 s[4:5], s[4:5], 3
	s_add_i32 s7, s6, s3
	v_lshlrev_b64 v[5:6], 3, v[5:6]
	s_mul_i32 s6, s24, s15
	v_add_co_u32 v3, s3, v3, s4
	s_delay_alu instid0(VALU_DEP_1) | instskip(SKIP_3) | instid1(VALU_DEP_1)
	v_add_co_ci_u32_e64 v4, s3, s5, v4, s3
	s_lshl_b64 s[4:5], s[6:7], 3
	v_lshlrev_b32_e32 v7, 3, v11
	v_add_co_u32 v5, s3, v5, s4
	v_add_co_ci_u32_e64 v6, s3, s5, v6, s3
	v_add_co_u32 v3, s3, v3, v12
	s_delay_alu instid0(VALU_DEP_1) | instskip(NEXT) | instid1(VALU_DEP_4)
	v_add_co_ci_u32_e64 v16, s3, 0, v4, s3
	v_add_co_u32 v7, s3, v5, v7
	s_delay_alu instid0(VALU_DEP_1) | instskip(NEXT) | instid1(VALU_DEP_4)
	v_add_co_ci_u32_e64 v17, s3, 0, v6, s3
	v_add_co_u32 v4, s3, s26, v3
	s_delay_alu instid0(VALU_DEP_1) | instskip(SKIP_3) | instid1(VALU_DEP_1)
	v_add_co_ci_u32_e64 v5, s3, s27, v16, s3
	v_mov_b32_e32 v16, 0
	v_cmp_gt_i32_e32 vcc_lo, s12, v8
	v_add_co_u32 v6, s3, s20, v7
	v_add_co_ci_u32_e64 v7, s3, s21, v17, s3
	v_mov_b32_e32 v17, 0
	v_add_nc_u32_e32 v15, v14, v12
	s_mov_b64 s[4:5], 0
	s_xor_b32 s2, s2, -1
	s_xor_b32 s3, vcc_lo, -1
	s_branch .LBB1134_3
.LBB1134_2:                             ;   in Loop: Header=BB1134_3 Depth=1
	s_or_b32 exec_lo, exec_lo, s6
	s_waitcnt lgkmcnt(0)
	s_barrier
	buffer_gl0_inv
	ds_load_2addr_b64 v[18:21], v12 offset1:16
	ds_load_b128 v[22:25], v14
	ds_load_b128 v[26:29], v14 offset:16
	ds_load_2addr_b64 v[30:33], v12 offset0:32 offset1:48
	ds_load_2addr_b64 v[34:37], v12 offset0:64 offset1:80
	ds_load_b128 v[38:41], v14 offset:32
	ds_load_b128 v[42:45], v14 offset:48
	ds_load_2addr_b64 v[46:49], v12 offset0:96 offset1:112
	ds_load_2addr_b64 v[50:53], v12 offset0:128 offset1:144
	;; [unrolled: 1-line block ×3, first 2 shown]
	ds_load_b128 v[58:61], v14 offset:64
	ds_load_b128 v[62:65], v14 offset:80
	s_add_u32 s4, s4, 16
	s_addc_u32 s5, s5, 0
	v_add_co_u32 v4, vcc_lo, 0x80, v4
	v_cmp_ge_i64_e64 s6, s[4:5], s[16:17]
	v_add_co_ci_u32_e32 v5, vcc_lo, 0, v5, vcc_lo
	v_add_co_u32 v6, vcc_lo, 0x80, v6
	s_waitcnt lgkmcnt(10)
	v_dual_mul_f32 v3, v23, v19 :: v_dual_mul_f32 v66, v25, v21
	s_waitcnt lgkmcnt(8)
	v_dual_mul_f32 v19, v22, v19 :: v_dual_mul_f32 v68, v29, v33
	v_mul_f32_e32 v21, v24, v21
	v_mul_f32_e32 v67, v27, v31
	;; [unrolled: 1-line block ×3, first 2 shown]
	s_delay_alu instid0(VALU_DEP_4)
	v_fmac_f32_e32 v19, v23, v18
	v_fma_f32 v3, v22, v18, -v3
	s_waitcnt lgkmcnt(6)
	v_dual_fmac_f32 v21, v25, v20 :: v_dual_mul_f32 v18, v40, v37
	v_mul_f32_e32 v33, v28, v33
	v_add_f32_e32 v16, v16, v19
	v_mul_f32_e32 v69, v39, v35
	v_fmac_f32_e32 v31, v27, v30
	v_fma_f32 v23, v24, v20, -v66
	v_fmac_f32_e32 v18, v41, v36
	v_dual_add_f32 v16, v16, v21 :: v_dual_fmac_f32 v33, v29, v32
	s_waitcnt lgkmcnt(1)
	v_mul_f32_e32 v24, v58, v51
	v_mul_f32_e32 v20, v42, v47
	v_add_f32_e32 v3, v17, v3
	v_add_f32_e32 v16, v16, v31
	v_mul_f32_e32 v35, v38, v35
	v_fma_f32 v21, v28, v32, -v68
	s_waitcnt lgkmcnt(0)
	v_mul_f32_e32 v32, v62, v55
	v_mul_f32_e32 v22, v41, v37
	v_dual_add_f32 v16, v16, v33 :: v_dual_fmac_f32 v35, v39, v34
	v_fma_f32 v19, v26, v30, -v67
	v_dual_fmac_f32 v20, v43, v46 :: v_dual_mul_f32 v27, v60, v53
	s_delay_alu instid0(VALU_DEP_4) | instskip(NEXT) | instid1(VALU_DEP_4)
	v_fma_f32 v22, v40, v36, -v22
	v_add_f32_e32 v16, v16, v35
	v_mul_f32_e32 v17, v43, v47
	v_add_co_ci_u32_e32 v7, vcc_lo, 0, v7, vcc_lo
	v_fmac_f32_e32 v24, v59, v50
	s_delay_alu instid0(VALU_DEP_4) | instskip(SKIP_3) | instid1(VALU_DEP_4)
	v_dual_add_f32 v16, v16, v18 :: v_dual_add_f32 v3, v3, v23
	v_mul_f32_e32 v26, v61, v53
	v_fma_f32 v23, v38, v34, -v69
	v_fmac_f32_e32 v27, v61, v52
	v_dual_add_f32 v20, v16, v20 :: v_dual_add_f32 v3, v3, v19
	v_mul_f32_e32 v19, v45, v49
	v_fma_f32 v17, v42, v46, -v17
	v_fmac_f32_e32 v32, v63, v54
	s_and_b32 vcc_lo, exec_lo, s6
	v_add_f32_e32 v3, v3, v21
	v_mul_f32_e32 v21, v44, v49
	s_delay_alu instid0(VALU_DEP_1) | instskip(NEXT) | instid1(VALU_DEP_1)
	v_dual_mul_f32 v36, v64, v57 :: v_dual_fmac_f32 v21, v45, v48
	v_dual_fmac_f32 v36, v65, v56 :: v_dual_add_f32 v25, v20, v21
	s_delay_alu instid0(VALU_DEP_1) | instskip(SKIP_2) | instid1(VALU_DEP_3)
	v_dual_add_f32 v24, v25, v24 :: v_dual_add_f32 v3, v3, v23
	v_fma_f32 v25, v60, v52, -v26
	v_mul_f32_e32 v26, v63, v55
	v_add_f32_e32 v33, v24, v27
	s_delay_alu instid0(VALU_DEP_4) | instskip(SKIP_3) | instid1(VALU_DEP_4)
	v_add_f32_e32 v3, v3, v22
	v_mul_f32_e32 v23, v59, v51
	v_fma_f32 v22, v44, v48, -v19
	v_fma_f32 v34, v62, v54, -v26
	v_dual_add_f32 v32, v33, v32 :: v_dual_add_f32 v3, v3, v17
	ds_load_2addr_b64 v[16:19], v12 offset0:192 offset1:208
	v_fma_f32 v23, v58, v50, -v23
	v_dual_add_f32 v32, v32, v36 :: v_dual_add_f32 v3, v3, v22
	s_delay_alu instid0(VALU_DEP_1)
	v_add_f32_e32 v3, v3, v23
	ds_load_b128 v[20:23], v14 offset:96
	v_add_f32_e32 v3, v3, v25
	ds_load_2addr_b64 v[24:27], v12 offset0:224 offset1:240
	ds_load_b128 v[28:31], v14 offset:112
	v_mul_f32_e32 v35, v65, v57
	s_waitcnt lgkmcnt(0)
	s_barrier
	v_add_f32_e32 v3, v3, v34
	buffer_gl0_inv
	v_fma_f32 v33, v64, v56, -v35
	s_delay_alu instid0(VALU_DEP_1) | instskip(SKIP_2) | instid1(VALU_DEP_2)
	v_add_f32_e32 v3, v3, v33
	v_mul_f32_e32 v34, v21, v17
	v_mul_f32_e32 v17, v20, v17
	v_fma_f32 v20, v20, v16, -v34
	s_delay_alu instid0(VALU_DEP_2) | instskip(SKIP_1) | instid1(VALU_DEP_3)
	v_dual_fmac_f32 v17, v21, v16 :: v_dual_mul_f32 v16, v23, v19
	v_mul_f32_e32 v19, v22, v19
	v_add_f32_e32 v3, v3, v20
	s_delay_alu instid0(VALU_DEP_3) | instskip(NEXT) | instid1(VALU_DEP_4)
	v_add_f32_e32 v17, v32, v17
	v_fma_f32 v16, v22, v18, -v16
	s_delay_alu instid0(VALU_DEP_4) | instskip(NEXT) | instid1(VALU_DEP_2)
	v_dual_fmac_f32 v19, v23, v18 :: v_dual_mul_f32 v18, v29, v25
	v_dual_mul_f32 v20, v28, v25 :: v_dual_add_f32 v3, v3, v16
	s_delay_alu instid0(VALU_DEP_2) | instskip(NEXT) | instid1(VALU_DEP_3)
	v_add_f32_e32 v16, v17, v19
	v_fma_f32 v17, v28, v24, -v18
	s_delay_alu instid0(VALU_DEP_3) | instskip(SKIP_2) | instid1(VALU_DEP_3)
	v_fmac_f32_e32 v20, v29, v24
	v_mul_f32_e32 v18, v31, v27
	v_mul_f32_e32 v19, v30, v27
	v_dual_add_f32 v3, v3, v17 :: v_dual_add_f32 v16, v16, v20
	s_delay_alu instid0(VALU_DEP_3) | instskip(NEXT) | instid1(VALU_DEP_3)
	v_fma_f32 v17, v30, v26, -v18
	v_fmac_f32_e32 v19, v31, v26
	s_delay_alu instid0(VALU_DEP_1)
	v_dual_add_f32 v17, v3, v17 :: v_dual_add_f32 v16, v16, v19
	s_cbranch_vccnz .LBB1134_11
.LBB1134_3:                             ; =>This Inner Loop Header: Depth=1
	v_add_co_u32 v18, s6, v11, s4
	s_delay_alu instid0(VALU_DEP_1) | instskip(NEXT) | instid1(VALU_DEP_1)
	v_add_co_ci_u32_e64 v19, null, 0, s5, s6
	v_cmp_le_i64_e32 vcc_lo, s[16:17], v[18:19]
	s_or_b32 s6, s2, vcc_lo
	s_delay_alu instid0(SALU_CYCLE_1) | instskip(NEXT) | instid1(SALU_CYCLE_1)
	s_and_saveexec_b32 s7, s6
	s_xor_b32 s6, exec_lo, s7
	s_cbranch_execz .LBB1134_5
; %bb.4:                                ;   in Loop: Header=BB1134_3 Depth=1
	v_mov_b32_e32 v3, v2
	ds_store_b64 v13, v[2:3]
.LBB1134_5:                             ;   in Loop: Header=BB1134_3 Depth=1
	s_and_not1_saveexec_b32 s6, s6
	s_cbranch_execz .LBB1134_7
; %bb.6:                                ;   in Loop: Header=BB1134_3 Depth=1
	global_load_b64 v[18:19], v[6:7], off
	s_waitcnt vmcnt(0)
	ds_store_b64 v13, v[18:19]
.LBB1134_7:                             ;   in Loop: Header=BB1134_3 Depth=1
	s_or_b32 exec_lo, exec_lo, s6
	v_add_co_u32 v18, s6, v10, s4
	s_delay_alu instid0(VALU_DEP_1) | instskip(NEXT) | instid1(VALU_DEP_1)
	v_add_co_ci_u32_e64 v19, null, 0, s5, s6
	v_cmp_le_i64_e32 vcc_lo, s[16:17], v[18:19]
	s_or_b32 s6, s3, vcc_lo
	s_delay_alu instid0(SALU_CYCLE_1) | instskip(NEXT) | instid1(SALU_CYCLE_1)
	s_and_saveexec_b32 s7, s6
	s_xor_b32 s6, exec_lo, s7
	s_cbranch_execz .LBB1134_9
; %bb.8:                                ;   in Loop: Header=BB1134_3 Depth=1
	v_mov_b32_e32 v3, v2
	ds_store_b64 v15, v[2:3]
.LBB1134_9:                             ;   in Loop: Header=BB1134_3 Depth=1
	s_and_not1_saveexec_b32 s6, s6
	s_cbranch_execz .LBB1134_2
; %bb.10:                               ;   in Loop: Header=BB1134_3 Depth=1
	global_load_b64 v[18:19], v[4:5], off
	s_waitcnt vmcnt(0)
	ds_store_b64 v15, v[18:19]
	s_branch .LBB1134_2
.LBB1134_11:
	s_load_b256 s[4:11], s[0:1], 0x48
	v_cmp_le_i32_e32 vcc_lo, v8, v0
	v_cmp_gt_i32_e64 s0, s12, v0
	s_delay_alu instid0(VALU_DEP_1) | instskip(NEXT) | instid1(SALU_CYCLE_1)
	s_and_b32 s0, vcc_lo, s0
	s_and_saveexec_b32 s1, s0
	s_cbranch_execz .LBB1134_13
; %bb.12:
	s_waitcnt lgkmcnt(0)
	v_mul_lo_u32 v4, v8, s9
	v_mul_lo_u32 v5, v9, s8
	v_mad_u64_u32 v[2:3], null, v8, s8, 0
	s_mul_i32 s1, s15, s11
	s_mul_hi_u32 s2, s15, s10
	s_mul_i32 s0, s15, s10
	s_add_i32 s1, s2, s1
	v_lshlrev_b64 v[0:1], 3, v[0:1]
	s_lshl_b64 s[0:1], s[0:1], 3
	s_delay_alu instid0(VALU_DEP_2) | instskip(SKIP_2) | instid1(VALU_DEP_1)
	v_add3_u32 v3, v3, v4, v5
	s_add_u32 s0, s6, s0
	s_addc_u32 s1, s7, s1
	v_lshlrev_b64 v[2:3], 3, v[2:3]
	s_delay_alu instid0(VALU_DEP_1) | instskip(NEXT) | instid1(VALU_DEP_2)
	v_add_co_u32 v2, vcc_lo, s0, v2
	v_add_co_ci_u32_e32 v3, vcc_lo, s1, v3, vcc_lo
	s_delay_alu instid0(VALU_DEP_2) | instskip(NEXT) | instid1(VALU_DEP_2)
	v_add_co_u32 v0, vcc_lo, v2, v0
	v_add_co_ci_u32_e32 v1, vcc_lo, v3, v1, vcc_lo
	global_load_b64 v[2:3], v[0:1], off
	v_mul_f32_e32 v4, s19, v16
	s_waitcnt vmcnt(0)
	v_dual_mul_f32 v5, s18, v16 :: v_dual_mul_f32 v6, s5, v3
	v_mul_f32_e32 v3, s4, v3
	s_delay_alu instid0(VALU_DEP_3) | instskip(NEXT) | instid1(VALU_DEP_3)
	v_fma_f32 v4, v17, s18, -v4
	v_fma_f32 v6, v2, s4, -v6
	s_delay_alu instid0(VALU_DEP_4) | instskip(NEXT) | instid1(VALU_DEP_4)
	v_fmac_f32_e32 v5, s19, v17
	v_fmac_f32_e32 v3, s5, v2
	s_delay_alu instid0(VALU_DEP_1)
	v_dual_add_f32 v2, v4, v6 :: v_dual_add_f32 v3, v5, v3
	global_store_b64 v[0:1], v[2:3], off
.LBB1134_13:
	s_nop 0
	s_sendmsg sendmsg(MSG_DEALLOC_VGPRS)
	s_endpgm
	.section	.rodata,"a",@progbits
	.p2align	6, 0x0
	.amdhsa_kernel _ZL32rocblas_syrkx_herkx_small_kernelIl19rocblas_complex_numIfELi16ELb0ELb0ELc84ELc76EKS1_S1_EviT_T0_PT6_S3_lS6_S3_lS4_PT7_S3_li
		.amdhsa_group_segment_fixed_size 4096
		.amdhsa_private_segment_fixed_size 0
		.amdhsa_kernarg_size 108
		.amdhsa_user_sgpr_count 13
		.amdhsa_user_sgpr_dispatch_ptr 0
		.amdhsa_user_sgpr_queue_ptr 0
		.amdhsa_user_sgpr_kernarg_segment_ptr 1
		.amdhsa_user_sgpr_dispatch_id 0
		.amdhsa_user_sgpr_private_segment_size 0
		.amdhsa_wavefront_size32 1
		.amdhsa_uses_dynamic_stack 0
		.amdhsa_enable_private_segment 0
		.amdhsa_system_sgpr_workgroup_id_x 1
		.amdhsa_system_sgpr_workgroup_id_y 1
		.amdhsa_system_sgpr_workgroup_id_z 1
		.amdhsa_system_sgpr_workgroup_info 0
		.amdhsa_system_vgpr_workitem_id 1
		.amdhsa_next_free_vgpr 70
		.amdhsa_next_free_sgpr 32
		.amdhsa_reserve_vcc 1
		.amdhsa_float_round_mode_32 0
		.amdhsa_float_round_mode_16_64 0
		.amdhsa_float_denorm_mode_32 3
		.amdhsa_float_denorm_mode_16_64 3
		.amdhsa_dx10_clamp 1
		.amdhsa_ieee_mode 1
		.amdhsa_fp16_overflow 0
		.amdhsa_workgroup_processor_mode 1
		.amdhsa_memory_ordered 1
		.amdhsa_forward_progress 0
		.amdhsa_shared_vgpr_count 0
		.amdhsa_exception_fp_ieee_invalid_op 0
		.amdhsa_exception_fp_denorm_src 0
		.amdhsa_exception_fp_ieee_div_zero 0
		.amdhsa_exception_fp_ieee_overflow 0
		.amdhsa_exception_fp_ieee_underflow 0
		.amdhsa_exception_fp_ieee_inexact 0
		.amdhsa_exception_int_div_zero 0
	.end_amdhsa_kernel
	.section	.text._ZL32rocblas_syrkx_herkx_small_kernelIl19rocblas_complex_numIfELi16ELb0ELb0ELc84ELc76EKS1_S1_EviT_T0_PT6_S3_lS6_S3_lS4_PT7_S3_li,"axG",@progbits,_ZL32rocblas_syrkx_herkx_small_kernelIl19rocblas_complex_numIfELi16ELb0ELb0ELc84ELc76EKS1_S1_EviT_T0_PT6_S3_lS6_S3_lS4_PT7_S3_li,comdat
.Lfunc_end1134:
	.size	_ZL32rocblas_syrkx_herkx_small_kernelIl19rocblas_complex_numIfELi16ELb0ELb0ELc84ELc76EKS1_S1_EviT_T0_PT6_S3_lS6_S3_lS4_PT7_S3_li, .Lfunc_end1134-_ZL32rocblas_syrkx_herkx_small_kernelIl19rocblas_complex_numIfELi16ELb0ELb0ELc84ELc76EKS1_S1_EviT_T0_PT6_S3_lS6_S3_lS4_PT7_S3_li
                                        ; -- End function
	.section	.AMDGPU.csdata,"",@progbits
; Kernel info:
; codeLenInByte = 1576
; NumSgprs: 34
; NumVgprs: 70
; ScratchSize: 0
; MemoryBound: 1
; FloatMode: 240
; IeeeMode: 1
; LDSByteSize: 4096 bytes/workgroup (compile time only)
; SGPRBlocks: 4
; VGPRBlocks: 8
; NumSGPRsForWavesPerEU: 34
; NumVGPRsForWavesPerEU: 70
; Occupancy: 16
; WaveLimiterHint : 0
; COMPUTE_PGM_RSRC2:SCRATCH_EN: 0
; COMPUTE_PGM_RSRC2:USER_SGPR: 13
; COMPUTE_PGM_RSRC2:TRAP_HANDLER: 0
; COMPUTE_PGM_RSRC2:TGID_X_EN: 1
; COMPUTE_PGM_RSRC2:TGID_Y_EN: 1
; COMPUTE_PGM_RSRC2:TGID_Z_EN: 1
; COMPUTE_PGM_RSRC2:TIDIG_COMP_CNT: 1
	.section	.text._ZL32rocblas_syrkx_herkx_small_kernelIl19rocblas_complex_numIfELi16ELb0ELb0ELc67ELc76EKS1_S1_EviT_T0_PT6_S3_lS6_S3_lS4_PT7_S3_li,"axG",@progbits,_ZL32rocblas_syrkx_herkx_small_kernelIl19rocblas_complex_numIfELi16ELb0ELb0ELc67ELc76EKS1_S1_EviT_T0_PT6_S3_lS6_S3_lS4_PT7_S3_li,comdat
	.globl	_ZL32rocblas_syrkx_herkx_small_kernelIl19rocblas_complex_numIfELi16ELb0ELb0ELc67ELc76EKS1_S1_EviT_T0_PT6_S3_lS6_S3_lS4_PT7_S3_li ; -- Begin function _ZL32rocblas_syrkx_herkx_small_kernelIl19rocblas_complex_numIfELi16ELb0ELb0ELc67ELc76EKS1_S1_EviT_T0_PT6_S3_lS6_S3_lS4_PT7_S3_li
	.p2align	8
	.type	_ZL32rocblas_syrkx_herkx_small_kernelIl19rocblas_complex_numIfELi16ELb0ELb0ELc67ELc76EKS1_S1_EviT_T0_PT6_S3_lS6_S3_lS4_PT7_S3_li,@function
_ZL32rocblas_syrkx_herkx_small_kernelIl19rocblas_complex_numIfELi16ELb0ELb0ELc67ELc76EKS1_S1_EviT_T0_PT6_S3_lS6_S3_lS4_PT7_S3_li: ; @_ZL32rocblas_syrkx_herkx_small_kernelIl19rocblas_complex_numIfELi16ELb0ELb0ELc67ELc76EKS1_S1_EviT_T0_PT6_S3_lS6_S3_lS4_PT7_S3_li
; %bb.0:
	s_clause 0x1
	s_load_b512 s[16:31], s[0:1], 0x8
	s_load_b32 s12, s[0:1], 0x0
	v_dual_mov_b32 v19, 0 :: v_dual_and_b32 v12, 0x3ff, v0
	v_bfe_u32 v13, v0, 10, 10
	v_mov_b32_e32 v18, 0
	s_delay_alu instid0(VALU_DEP_3) | instskip(NEXT) | instid1(VALU_DEP_3)
	v_lshl_add_u32 v0, s13, 4, v12
	v_lshl_add_u32 v10, s14, 4, v13
	s_delay_alu instid0(VALU_DEP_2) | instskip(NEXT) | instid1(VALU_DEP_2)
	v_ashrrev_i32_e32 v1, 31, v0
	v_ashrrev_i32_e32 v11, 31, v10
	s_waitcnt lgkmcnt(0)
	v_cmp_lt_i64_e64 s3, s[16:17], 1
	v_cmp_gt_i32_e64 s2, s12, v0
	s_delay_alu instid0(VALU_DEP_2)
	s_and_b32 vcc_lo, exec_lo, s3
	s_cbranch_vccnz .LBB1135_9
; %bb.1:
	v_mul_lo_u32 v2, s29, v10
	v_mul_lo_u32 v5, s28, v11
	v_mad_u64_u32 v[3:4], null, s28, v10, 0
	v_mul_lo_u32 v8, s23, v0
	v_mul_lo_u32 v9, s22, v1
	s_mul_i32 s3, s31, s15
	s_mul_hi_u32 s4, s30, s15
	s_mul_hi_u32 s6, s24, s15
	s_add_i32 s5, s4, s3
	s_delay_alu instid0(VALU_DEP_3)
	v_add3_u32 v4, v4, v5, v2
	v_mad_u64_u32 v[5:6], null, s22, v0, 0
	s_mul_i32 s3, s25, s15
	v_dual_mov_b32 v2, 0 :: v_dual_lshlrev_b32 v7, 7, v13
	v_dual_mov_b32 v19, 0 :: v_dual_lshlrev_b32 v14, 3, v12
	s_add_i32 s7, s6, s3
	s_delay_alu instid0(VALU_DEP_3)
	v_add3_u32 v6, v6, v9, v8
	s_mul_i32 s6, s24, s15
	v_lshlrev_b64 v[3:4], 3, v[3:4]
	s_lshl_b64 s[6:7], s[6:7], 3
	s_mul_i32 s4, s30, s15
	v_lshlrev_b64 v[5:6], 3, v[5:6]
	v_dual_mov_b32 v18, 0 :: v_dual_add_nc_u32 v15, 0x800, v7
	v_add_nc_u32_e32 v16, v14, v7
	s_lshl_b64 s[4:5], s[4:5], 3
	v_lshlrev_b32_e32 v7, 3, v13
	s_delay_alu instid0(VALU_DEP_4) | instskip(NEXT) | instid1(VALU_DEP_1)
	v_add_co_u32 v5, s3, v5, s6
	v_add_co_ci_u32_e64 v6, s3, s7, v6, s3
	v_add_co_u32 v3, s3, v3, s4
	s_delay_alu instid0(VALU_DEP_1) | instskip(NEXT) | instid1(VALU_DEP_4)
	v_add_co_ci_u32_e64 v4, s3, s5, v4, s3
	v_add_co_u32 v5, s3, v5, v7
	s_delay_alu instid0(VALU_DEP_1) | instskip(NEXT) | instid1(VALU_DEP_4)
	;; [unrolled: 3-line block ×4, first 2 shown]
	v_add_co_ci_u32_e64 v9, s3, s21, v6, s3
	v_add_co_u32 v4, s3, s26, v3
	s_delay_alu instid0(VALU_DEP_1)
	v_add_co_ci_u32_e64 v5, s3, s27, v7, s3
	v_cmp_gt_i32_e32 vcc_lo, s12, v10
	v_add_co_u32 v6, s3, v8, 4
	v_add_nc_u32_e32 v17, v15, v14
	v_add_co_ci_u32_e64 v7, s3, 0, v9, s3
	s_mov_b64 s[4:5], 0
	s_xor_b32 s3, vcc_lo, -1
	s_branch .LBB1135_3
.LBB1135_2:                             ;   in Loop: Header=BB1135_3 Depth=1
	s_or_b32 exec_lo, exec_lo, s6
	s_waitcnt lgkmcnt(0)
	s_barrier
	buffer_gl0_inv
	ds_load_2addr_b64 v[20:23], v14 offset1:16
	ds_load_b128 v[24:27], v15
	ds_load_b128 v[28:31], v15 offset:16
	ds_load_2addr_b64 v[32:35], v14 offset0:32 offset1:48
	ds_load_2addr_b64 v[36:39], v14 offset0:64 offset1:80
	ds_load_b128 v[40:43], v15 offset:32
	ds_load_b128 v[44:47], v15 offset:48
	ds_load_2addr_b64 v[48:51], v14 offset0:96 offset1:112
	ds_load_2addr_b64 v[52:55], v14 offset0:128 offset1:144
	;; [unrolled: 1-line block ×3, first 2 shown]
	ds_load_b128 v[60:63], v15 offset:64
	ds_load_b128 v[64:67], v15 offset:80
	s_add_u32 s4, s4, 16
	s_addc_u32 s5, s5, 0
	v_add_co_u32 v4, vcc_lo, 0x80, v4
	v_cmp_ge_i64_e64 s6, s[4:5], s[16:17]
	v_add_co_ci_u32_e32 v5, vcc_lo, 0, v5, vcc_lo
	v_add_co_u32 v6, vcc_lo, 0x80, v6
	s_waitcnt lgkmcnt(10)
	v_mul_f32_e32 v3, v25, v21
	v_dual_mul_f32 v8, v24, v21 :: v_dual_mul_f32 v9, v27, v23
	v_mul_f32_e32 v21, v26, v23
	s_waitcnt lgkmcnt(8)
	v_mul_f32_e32 v23, v29, v33
	v_dual_mul_f32 v33, v28, v33 :: v_dual_mul_f32 v68, v31, v35
	v_fma_f32 v3, v24, v20, -v3
	v_fmac_f32_e32 v8, v25, v20
	s_waitcnt lgkmcnt(6)
	v_dual_mul_f32 v20, v42, v39 :: v_dual_mul_f32 v69, v41, v37
	v_mul_f32_e32 v37, v40, v37
	v_mul_f32_e32 v35, v30, v35
	v_add_f32_e32 v8, v18, v8
	s_waitcnt lgkmcnt(4)
	v_mul_f32_e32 v18, v45, v49
	v_dual_fmac_f32 v20, v43, v38 :: v_dual_fmac_f32 v37, v41, v36
	v_fmac_f32_e32 v33, v29, v32
	v_fmac_f32_e32 v21, v27, v22
	v_add_f32_e32 v3, v19, v3
	v_fma_f32 v9, v26, v22, -v9
	v_fmac_f32_e32 v35, v31, v34
	v_mul_f32_e32 v24, v43, v39
	v_add_f32_e32 v8, v8, v21
	v_fma_f32 v19, v28, v32, -v23
	s_waitcnt lgkmcnt(1)
	v_mul_f32_e32 v26, v60, v53
	v_fma_f32 v21, v30, v34, -v68
	v_fma_f32 v22, v40, v36, -v69
	v_add_f32_e32 v8, v8, v33
	v_add_f32_e32 v3, v3, v9
	v_dual_mul_f32 v9, v44, v49 :: v_dual_fmac_f32 v26, v61, v52
	v_mul_f32_e32 v23, v46, v51
	s_delay_alu instid0(VALU_DEP_4) | instskip(NEXT) | instid1(VALU_DEP_4)
	v_add_f32_e32 v8, v8, v35
	v_add_f32_e32 v3, v3, v19
	v_mul_f32_e32 v19, v47, v51
	v_fmac_f32_e32 v9, v45, v48
	s_waitcnt lgkmcnt(0)
	v_dual_fmac_f32 v23, v47, v50 :: v_dual_mul_f32 v34, v64, v57
	v_add_f32_e32 v8, v8, v37
	v_fma_f32 v18, v44, v48, -v18
	v_mul_f32_e32 v27, v63, v55
	v_mul_f32_e32 v28, v62, v55
	v_fmac_f32_e32 v34, v65, v56
	v_add_f32_e32 v8, v8, v20
	v_add_co_ci_u32_e32 v7, vcc_lo, 0, v7, vcc_lo
	s_delay_alu instid0(VALU_DEP_4) | instskip(SKIP_1) | instid1(VALU_DEP_3)
	v_fmac_f32_e32 v28, v63, v54
	s_and_b32 vcc_lo, exec_lo, s6
	v_add_f32_e32 v8, v8, v9
	v_add_f32_e32 v3, v3, v21
	v_fma_f32 v21, v42, v38, -v24
	v_fma_f32 v24, v46, v50, -v19
	v_mul_f32_e32 v36, v66, v59
	s_delay_alu instid0(VALU_DEP_4) | instskip(SKIP_1) | instid1(VALU_DEP_2)
	v_dual_add_f32 v8, v8, v23 :: v_dual_add_f32 v3, v3, v22
	v_mul_f32_e32 v22, v61, v53
	v_dual_add_f32 v8, v8, v26 :: v_dual_add_f32 v3, v3, v21
	s_delay_alu instid0(VALU_DEP_2) | instskip(SKIP_1) | instid1(VALU_DEP_3)
	v_fma_f32 v9, v60, v52, -v22
	v_mul_f32_e32 v26, v65, v57
	v_dual_add_f32 v8, v8, v28 :: v_dual_add_f32 v3, v3, v18
	ds_load_2addr_b64 v[18:21], v14 offset0:192 offset1:208
	v_dual_add_f32 v8, v8, v34 :: v_dual_add_f32 v3, v3, v24
	ds_load_b128 v[22:25], v15 offset:96
	v_fmac_f32_e32 v36, v67, v58
	v_mul_f32_e32 v35, v67, v59
	v_add_f32_e32 v3, v3, v9
	v_fma_f32 v9, v62, v54, -v27
	s_waitcnt lgkmcnt(0)
	v_mul_f32_e32 v34, v23, v19
	v_mul_f32_e32 v19, v22, v19
	s_delay_alu instid0(VALU_DEP_3)
	v_dual_add_f32 v3, v3, v9 :: v_dual_add_f32 v8, v8, v36
	v_fma_f32 v9, v64, v56, -v26
	ds_load_2addr_b64 v[26:29], v14 offset0:224 offset1:240
	ds_load_b128 v[30:33], v15 offset:112
	v_fmac_f32_e32 v19, v23, v18
	s_waitcnt lgkmcnt(0)
	s_barrier
	v_add_f32_e32 v3, v3, v9
	v_fma_f32 v9, v66, v58, -v35
	v_add_f32_e32 v8, v8, v19
	buffer_gl0_inv
	v_mul_f32_e32 v19, v30, v27
	s_delay_alu instid0(VALU_DEP_1) | instskip(SKIP_4) | instid1(VALU_DEP_1)
	v_fmac_f32_e32 v19, v31, v26
	v_add_f32_e32 v3, v3, v9
	v_fma_f32 v9, v22, v18, -v34
	v_mul_f32_e32 v18, v25, v21
	v_mul_f32_e32 v21, v24, v21
	v_fmac_f32_e32 v21, v25, v20
	s_delay_alu instid0(VALU_DEP_1) | instskip(NEXT) | instid1(VALU_DEP_1)
	v_add_f32_e32 v8, v8, v21
	v_dual_add_f32 v8, v8, v19 :: v_dual_add_f32 v3, v3, v9
	v_fma_f32 v9, v24, v20, -v18
	v_mul_f32_e32 v18, v31, v27
	v_mul_f32_e32 v20, v32, v29
	s_delay_alu instid0(VALU_DEP_1) | instskip(NEXT) | instid1(VALU_DEP_3)
	v_dual_fmac_f32 v20, v33, v28 :: v_dual_add_f32 v3, v3, v9
	v_fma_f32 v9, v30, v26, -v18
	v_mul_f32_e32 v18, v33, v29
	s_delay_alu instid0(VALU_DEP_2) | instskip(NEXT) | instid1(VALU_DEP_2)
	v_add_f32_e32 v3, v3, v9
	v_fma_f32 v9, v32, v28, -v18
	s_delay_alu instid0(VALU_DEP_1)
	v_dual_add_f32 v18, v8, v20 :: v_dual_add_f32 v19, v3, v9
	s_cbranch_vccnz .LBB1135_9
.LBB1135_3:                             ; =>This Inner Loop Header: Depth=1
	v_add_co_u32 v8, s6, v13, s4
	s_delay_alu instid0(VALU_DEP_1) | instskip(NEXT) | instid1(VALU_DEP_1)
	v_add_co_ci_u32_e64 v9, null, 0, s5, s6
	v_cmp_gt_i64_e32 vcc_lo, s[16:17], v[8:9]
	v_dual_mov_b32 v8, 0 :: v_dual_mov_b32 v9, 0
	s_and_b32 s7, s2, vcc_lo
	s_delay_alu instid0(SALU_CYCLE_1)
	s_and_saveexec_b32 s6, s7
	s_cbranch_execz .LBB1135_5
; %bb.4:                                ;   in Loop: Header=BB1135_3 Depth=1
	global_load_b64 v[8:9], v[6:7], off offset:-4
.LBB1135_5:                             ;   in Loop: Header=BB1135_3 Depth=1
	s_or_b32 exec_lo, exec_lo, s6
	v_add_co_u32 v20, s6, v12, s4
	s_delay_alu instid0(VALU_DEP_1) | instskip(SKIP_4) | instid1(SALU_CYCLE_1)
	v_add_co_ci_u32_e64 v21, null, 0, s5, s6
	s_waitcnt vmcnt(0)
	ds_store_b64 v16, v[8:9]
	v_cmp_le_i64_e32 vcc_lo, s[16:17], v[20:21]
	s_or_b32 s6, s3, vcc_lo
	s_and_saveexec_b32 s7, s6
	s_delay_alu instid0(SALU_CYCLE_1)
	s_xor_b32 s6, exec_lo, s7
	s_cbranch_execz .LBB1135_7
; %bb.6:                                ;   in Loop: Header=BB1135_3 Depth=1
	v_mov_b32_e32 v3, v2
	ds_store_b64 v17, v[2:3]
.LBB1135_7:                             ;   in Loop: Header=BB1135_3 Depth=1
	s_and_not1_saveexec_b32 s6, s6
	s_cbranch_execz .LBB1135_2
; %bb.8:                                ;   in Loop: Header=BB1135_3 Depth=1
	global_load_b64 v[8:9], v[4:5], off
	s_waitcnt vmcnt(0)
	ds_store_b64 v17, v[8:9]
	s_branch .LBB1135_2
.LBB1135_9:
	s_load_b256 s[4:11], s[0:1], 0x48
	v_cmp_le_i32_e32 vcc_lo, v10, v0
	v_cmp_gt_i32_e64 s0, s12, v0
	s_delay_alu instid0(VALU_DEP_1) | instskip(NEXT) | instid1(SALU_CYCLE_1)
	s_and_b32 s0, vcc_lo, s0
	s_and_saveexec_b32 s1, s0
	s_cbranch_execz .LBB1135_11
; %bb.10:
	s_waitcnt lgkmcnt(0)
	v_mul_lo_u32 v4, v10, s9
	v_mul_lo_u32 v5, v11, s8
	v_mad_u64_u32 v[2:3], null, v10, s8, 0
	s_mul_i32 s1, s15, s11
	s_mul_hi_u32 s2, s15, s10
	s_mul_i32 s0, s15, s10
	s_add_i32 s1, s2, s1
	v_lshlrev_b64 v[0:1], 3, v[0:1]
	s_lshl_b64 s[0:1], s[0:1], 3
	s_delay_alu instid0(VALU_DEP_2) | instskip(SKIP_2) | instid1(VALU_DEP_1)
	v_add3_u32 v3, v3, v4, v5
	s_add_u32 s0, s6, s0
	s_addc_u32 s1, s7, s1
	v_lshlrev_b64 v[2:3], 3, v[2:3]
	s_delay_alu instid0(VALU_DEP_1) | instskip(NEXT) | instid1(VALU_DEP_2)
	v_add_co_u32 v2, vcc_lo, s0, v2
	v_add_co_ci_u32_e32 v3, vcc_lo, s1, v3, vcc_lo
	s_delay_alu instid0(VALU_DEP_2) | instskip(NEXT) | instid1(VALU_DEP_2)
	v_add_co_u32 v0, vcc_lo, v2, v0
	v_add_co_ci_u32_e32 v1, vcc_lo, v3, v1, vcc_lo
	global_load_b64 v[2:3], v[0:1], off
	v_mul_f32_e32 v4, s19, v18
	s_waitcnt vmcnt(0)
	v_dual_mul_f32 v5, s18, v18 :: v_dual_mul_f32 v6, s5, v3
	v_mul_f32_e32 v3, s4, v3
	s_delay_alu instid0(VALU_DEP_3) | instskip(NEXT) | instid1(VALU_DEP_3)
	v_fma_f32 v4, v19, s18, -v4
	v_fma_f32 v6, v2, s4, -v6
	s_delay_alu instid0(VALU_DEP_4) | instskip(NEXT) | instid1(VALU_DEP_4)
	v_fmac_f32_e32 v5, s19, v19
	v_fmac_f32_e32 v3, s5, v2
	s_delay_alu instid0(VALU_DEP_1)
	v_dual_add_f32 v2, v4, v6 :: v_dual_add_f32 v3, v5, v3
	global_store_b64 v[0:1], v[2:3], off
.LBB1135_11:
	s_nop 0
	s_sendmsg sendmsg(MSG_DEALLOC_VGPRS)
	s_endpgm
	.section	.rodata,"a",@progbits
	.p2align	6, 0x0
	.amdhsa_kernel _ZL32rocblas_syrkx_herkx_small_kernelIl19rocblas_complex_numIfELi16ELb0ELb0ELc67ELc76EKS1_S1_EviT_T0_PT6_S3_lS6_S3_lS4_PT7_S3_li
		.amdhsa_group_segment_fixed_size 4096
		.amdhsa_private_segment_fixed_size 0
		.amdhsa_kernarg_size 108
		.amdhsa_user_sgpr_count 13
		.amdhsa_user_sgpr_dispatch_ptr 0
		.amdhsa_user_sgpr_queue_ptr 0
		.amdhsa_user_sgpr_kernarg_segment_ptr 1
		.amdhsa_user_sgpr_dispatch_id 0
		.amdhsa_user_sgpr_private_segment_size 0
		.amdhsa_wavefront_size32 1
		.amdhsa_uses_dynamic_stack 0
		.amdhsa_enable_private_segment 0
		.amdhsa_system_sgpr_workgroup_id_x 1
		.amdhsa_system_sgpr_workgroup_id_y 1
		.amdhsa_system_sgpr_workgroup_id_z 1
		.amdhsa_system_sgpr_workgroup_info 0
		.amdhsa_system_vgpr_workitem_id 1
		.amdhsa_next_free_vgpr 70
		.amdhsa_next_free_sgpr 32
		.amdhsa_reserve_vcc 1
		.amdhsa_float_round_mode_32 0
		.amdhsa_float_round_mode_16_64 0
		.amdhsa_float_denorm_mode_32 3
		.amdhsa_float_denorm_mode_16_64 3
		.amdhsa_dx10_clamp 1
		.amdhsa_ieee_mode 1
		.amdhsa_fp16_overflow 0
		.amdhsa_workgroup_processor_mode 1
		.amdhsa_memory_ordered 1
		.amdhsa_forward_progress 0
		.amdhsa_shared_vgpr_count 0
		.amdhsa_exception_fp_ieee_invalid_op 0
		.amdhsa_exception_fp_denorm_src 0
		.amdhsa_exception_fp_ieee_div_zero 0
		.amdhsa_exception_fp_ieee_overflow 0
		.amdhsa_exception_fp_ieee_underflow 0
		.amdhsa_exception_fp_ieee_inexact 0
		.amdhsa_exception_int_div_zero 0
	.end_amdhsa_kernel
	.section	.text._ZL32rocblas_syrkx_herkx_small_kernelIl19rocblas_complex_numIfELi16ELb0ELb0ELc67ELc76EKS1_S1_EviT_T0_PT6_S3_lS6_S3_lS4_PT7_S3_li,"axG",@progbits,_ZL32rocblas_syrkx_herkx_small_kernelIl19rocblas_complex_numIfELi16ELb0ELb0ELc67ELc76EKS1_S1_EviT_T0_PT6_S3_lS6_S3_lS4_PT7_S3_li,comdat
.Lfunc_end1135:
	.size	_ZL32rocblas_syrkx_herkx_small_kernelIl19rocblas_complex_numIfELi16ELb0ELb0ELc67ELc76EKS1_S1_EviT_T0_PT6_S3_lS6_S3_lS4_PT7_S3_li, .Lfunc_end1135-_ZL32rocblas_syrkx_herkx_small_kernelIl19rocblas_complex_numIfELi16ELb0ELb0ELc67ELc76EKS1_S1_EviT_T0_PT6_S3_lS6_S3_lS4_PT7_S3_li
                                        ; -- End function
	.section	.AMDGPU.csdata,"",@progbits
; Kernel info:
; codeLenInByte = 1568
; NumSgprs: 34
; NumVgprs: 70
; ScratchSize: 0
; MemoryBound: 1
; FloatMode: 240
; IeeeMode: 1
; LDSByteSize: 4096 bytes/workgroup (compile time only)
; SGPRBlocks: 4
; VGPRBlocks: 8
; NumSGPRsForWavesPerEU: 34
; NumVGPRsForWavesPerEU: 70
; Occupancy: 16
; WaveLimiterHint : 0
; COMPUTE_PGM_RSRC2:SCRATCH_EN: 0
; COMPUTE_PGM_RSRC2:USER_SGPR: 13
; COMPUTE_PGM_RSRC2:TRAP_HANDLER: 0
; COMPUTE_PGM_RSRC2:TGID_X_EN: 1
; COMPUTE_PGM_RSRC2:TGID_Y_EN: 1
; COMPUTE_PGM_RSRC2:TGID_Z_EN: 1
; COMPUTE_PGM_RSRC2:TIDIG_COMP_CNT: 1
	.section	.text._ZL32rocblas_syrkx_herkx_small_kernelIl19rocblas_complex_numIfELi16ELb0ELb0ELc78ELc76EKS1_S1_EviT_T0_PT6_S3_lS6_S3_lS4_PT7_S3_li,"axG",@progbits,_ZL32rocblas_syrkx_herkx_small_kernelIl19rocblas_complex_numIfELi16ELb0ELb0ELc78ELc76EKS1_S1_EviT_T0_PT6_S3_lS6_S3_lS4_PT7_S3_li,comdat
	.globl	_ZL32rocblas_syrkx_herkx_small_kernelIl19rocblas_complex_numIfELi16ELb0ELb0ELc78ELc76EKS1_S1_EviT_T0_PT6_S3_lS6_S3_lS4_PT7_S3_li ; -- Begin function _ZL32rocblas_syrkx_herkx_small_kernelIl19rocblas_complex_numIfELi16ELb0ELb0ELc78ELc76EKS1_S1_EviT_T0_PT6_S3_lS6_S3_lS4_PT7_S3_li
	.p2align	8
	.type	_ZL32rocblas_syrkx_herkx_small_kernelIl19rocblas_complex_numIfELi16ELb0ELb0ELc78ELc76EKS1_S1_EviT_T0_PT6_S3_lS6_S3_lS4_PT7_S3_li,@function
_ZL32rocblas_syrkx_herkx_small_kernelIl19rocblas_complex_numIfELi16ELb0ELb0ELc78ELc76EKS1_S1_EviT_T0_PT6_S3_lS6_S3_lS4_PT7_S3_li: ; @_ZL32rocblas_syrkx_herkx_small_kernelIl19rocblas_complex_numIfELi16ELb0ELb0ELc78ELc76EKS1_S1_EviT_T0_PT6_S3_lS6_S3_lS4_PT7_S3_li
; %bb.0:
	s_clause 0x1
	s_load_b512 s[16:31], s[0:1], 0x8
	s_load_b32 s12, s[0:1], 0x0
	v_dual_mov_b32 v19, 0 :: v_dual_and_b32 v12, 0x3ff, v0
	v_bfe_u32 v13, v0, 10, 10
	v_mov_b32_e32 v18, 0
	s_delay_alu instid0(VALU_DEP_3) | instskip(NEXT) | instid1(VALU_DEP_3)
	v_lshl_add_u32 v0, s13, 4, v12
	v_lshl_add_u32 v2, s14, 4, v13
	s_delay_alu instid0(VALU_DEP_2) | instskip(NEXT) | instid1(VALU_DEP_2)
	v_ashrrev_i32_e32 v1, 31, v0
	v_ashrrev_i32_e32 v3, 31, v2
	s_waitcnt lgkmcnt(0)
	v_cmp_lt_i64_e64 s2, s[16:17], 1
	v_cmp_gt_i32_e64 s3, s12, v0
	s_delay_alu instid0(VALU_DEP_2)
	s_and_b32 vcc_lo, exec_lo, s2
	s_cbranch_vccnz .LBB1136_9
; %bb.1:
	v_mad_u64_u32 v[5:6], null, s28, v12, 0
	s_mul_i32 s5, s31, s15
	s_mul_hi_u32 s7, s30, s15
	s_mul_i32 s4, s30, s15
	s_add_i32 s5, s7, s5
	v_lshlrev_b64 v[10:11], 3, v[2:3]
	s_lshl_b64 s[4:5], s[4:5], 3
	s_delay_alu instid0(VALU_DEP_2)
	v_mad_u64_u32 v[7:8], null, s29, v12, v[6:7]
	v_mad_u64_u32 v[8:9], null, s22, v13, 0
	v_mov_b32_e32 v4, 0
	s_mul_i32 s8, s25, s15
	s_mul_hi_u32 s9, s24, s15
	s_mul_i32 s6, s24, s15
	s_delay_alu instid0(VALU_DEP_3) | instskip(SKIP_1) | instid1(VALU_DEP_3)
	v_mov_b32_e32 v6, v7
	s_add_i32 s7, s9, s8
	v_dual_mov_b32 v7, v9 :: v_dual_lshlrev_b32 v14, 3, v12
	v_cmp_gt_i32_e64 s2, s12, v2
	s_mov_b64 s[8:9], 0
	s_xor_b32 s3, s3, -1
	s_delay_alu instid0(VALU_DEP_2) | instskip(SKIP_1) | instid1(VALU_DEP_2)
	v_mad_u64_u32 v[18:19], null, s23, v13, v[7:8]
	v_dual_mov_b32 v19, 0 :: v_dual_lshlrev_b32 v16, 7, v13
	v_mov_b32_e32 v9, v18
	s_delay_alu instid0(VALU_DEP_2) | instskip(SKIP_2) | instid1(VALU_DEP_3)
	v_add_nc_u32_e32 v15, 0x800, v16
	v_lshlrev_b64 v[5:6], 3, v[5:6]
	v_add_nc_u32_e32 v16, v14, v16
	v_dual_mov_b32 v18, 0 :: v_dual_add_nc_u32 v17, v15, v14
	s_delay_alu instid0(VALU_DEP_3) | instskip(NEXT) | instid1(VALU_DEP_4)
	v_add_co_u32 v5, vcc_lo, s4, v5
	v_add_co_ci_u32_e32 v6, vcc_lo, s5, v6, vcc_lo
	s_lshl_b64 s[4:5], s[6:7], 3
	s_delay_alu instid0(VALU_DEP_2) | instskip(NEXT) | instid1(VALU_DEP_2)
	v_add_co_u32 v7, vcc_lo, v5, v10
	v_add_co_ci_u32_e32 v10, vcc_lo, v6, v11, vcc_lo
	v_lshlrev_b64 v[5:6], 3, v[8:9]
	s_delay_alu instid0(VALU_DEP_3) | instskip(NEXT) | instid1(VALU_DEP_3)
	v_add_co_u32 v7, vcc_lo, v7, s26
	v_add_co_ci_u32_e32 v10, vcc_lo, s27, v10, vcc_lo
	v_lshlrev_b64 v[8:9], 3, v[0:1]
	s_delay_alu instid0(VALU_DEP_4) | instskip(SKIP_3) | instid1(VALU_DEP_4)
	v_add_co_u32 v5, vcc_lo, s4, v5
	v_add_co_ci_u32_e32 v11, vcc_lo, s5, v6, vcc_lo
	v_add_co_u32 v6, vcc_lo, v7, 4
	v_add_co_ci_u32_e32 v7, vcc_lo, 0, v10, vcc_lo
	v_add_co_u32 v5, vcc_lo, v5, v8
	s_delay_alu instid0(VALU_DEP_4) | instskip(SKIP_1) | instid1(VALU_DEP_2)
	v_add_co_ci_u32_e32 v9, vcc_lo, v11, v9, vcc_lo
	s_lshl_b64 s[4:5], s[28:29], 7
	v_add_co_u32 v8, vcc_lo, s20, v5
	s_delay_alu instid0(VALU_DEP_2)
	v_add_co_ci_u32_e32 v9, vcc_lo, s21, v9, vcc_lo
	s_lshl_b64 s[6:7], s[22:23], 7
	s_branch .LBB1136_3
.LBB1136_2:                             ;   in Loop: Header=BB1136_3 Depth=1
	s_or_b32 exec_lo, exec_lo, s10
	s_waitcnt vmcnt(0)
	ds_store_b64 v17, v[10:11]
	s_waitcnt lgkmcnt(0)
	s_barrier
	buffer_gl0_inv
	ds_load_2addr_b64 v[20:23], v14 offset1:16
	ds_load_b128 v[24:27], v15
	ds_load_b128 v[28:31], v15 offset:16
	ds_load_2addr_b64 v[32:35], v14 offset0:32 offset1:48
	ds_load_2addr_b64 v[36:39], v14 offset0:64 offset1:80
	ds_load_b128 v[40:43], v15 offset:32
	ds_load_b128 v[44:47], v15 offset:48
	ds_load_2addr_b64 v[48:51], v14 offset0:96 offset1:112
	ds_load_2addr_b64 v[52:55], v14 offset0:128 offset1:144
	;; [unrolled: 1-line block ×3, first 2 shown]
	ds_load_b128 v[60:63], v15 offset:64
	ds_load_b128 v[64:67], v15 offset:80
	s_add_u32 s8, s8, 16
	s_addc_u32 s9, s9, 0
	v_add_co_u32 v6, vcc_lo, v6, s4
	v_cmp_ge_i64_e64 s10, s[8:9], s[16:17]
	v_add_co_ci_u32_e32 v7, vcc_lo, s5, v7, vcc_lo
	v_add_co_u32 v8, vcc_lo, v8, s6
	s_waitcnt lgkmcnt(10)
	v_mul_f32_e32 v5, v25, v21
	v_dual_mul_f32 v10, v24, v21 :: v_dual_mul_f32 v11, v27, v23
	s_waitcnt lgkmcnt(8)
	v_mul_f32_e32 v68, v31, v35
	v_mul_f32_e32 v21, v26, v23
	v_fma_f32 v5, v24, v20, -v5
	s_waitcnt lgkmcnt(6)
	v_dual_mul_f32 v24, v40, v37 :: v_dual_mul_f32 v35, v30, v35
	v_fmac_f32_e32 v10, v25, v20
	v_mul_f32_e32 v23, v29, v33
	v_fma_f32 v11, v26, v22, -v11
	s_delay_alu instid0(VALU_DEP_4) | instskip(NEXT) | instid1(VALU_DEP_4)
	v_dual_add_f32 v5, v19, v5 :: v_dual_fmac_f32 v24, v41, v36
	v_add_f32_e32 v10, v18, v10
	s_delay_alu instid0(VALU_DEP_4) | instskip(SKIP_1) | instid1(VALU_DEP_4)
	v_fma_f32 v18, v28, v32, -v23
	v_mul_f32_e32 v33, v28, v33
	v_add_f32_e32 v5, v5, v11
	v_fma_f32 v20, v30, v34, -v68
	s_waitcnt lgkmcnt(1)
	v_mul_f32_e32 v26, v63, v55
	v_fmac_f32_e32 v35, v31, v34
	v_mul_f32_e32 v19, v42, v39
	v_add_f32_e32 v5, v5, v18
	v_add_co_ci_u32_e32 v9, vcc_lo, s7, v9, vcc_lo
	s_and_b32 vcc_lo, exec_lo, s10
	s_delay_alu instid0(VALU_DEP_2) | instskip(SKIP_2) | instid1(VALU_DEP_3)
	v_dual_mul_f32 v18, v44, v49 :: v_dual_add_f32 v5, v5, v20
	v_dual_mul_f32 v20, v47, v51 :: v_dual_fmac_f32 v33, v29, v32
	v_fmac_f32_e32 v21, v27, v22
	v_dual_mul_f32 v27, v62, v55 :: v_dual_fmac_f32 v18, v45, v48
	s_waitcnt lgkmcnt(0)
	v_mul_f32_e32 v34, v64, v57
	s_delay_alu instid0(VALU_DEP_2) | instskip(NEXT) | instid1(VALU_DEP_2)
	v_dual_add_f32 v10, v10, v21 :: v_dual_fmac_f32 v27, v63, v54
	v_fmac_f32_e32 v34, v65, v56
	s_delay_alu instid0(VALU_DEP_2) | instskip(SKIP_2) | instid1(VALU_DEP_3)
	v_add_f32_e32 v10, v10, v33
	v_mul_f32_e32 v69, v41, v37
	v_mul_f32_e32 v37, v43, v39
	v_add_f32_e32 v10, v10, v35
	s_delay_alu instid0(VALU_DEP_3) | instskip(NEXT) | instid1(VALU_DEP_3)
	v_fma_f32 v21, v40, v36, -v69
	v_fma_f32 v22, v42, v38, -v37
	v_dual_mul_f32 v11, v45, v49 :: v_dual_mul_f32 v36, v66, v59
	s_delay_alu instid0(VALU_DEP_3) | instskip(SKIP_1) | instid1(VALU_DEP_3)
	v_dual_add_f32 v10, v10, v24 :: v_dual_add_f32 v5, v5, v21
	v_mul_f32_e32 v21, v46, v51
	v_fma_f32 v11, v44, v48, -v11
	s_delay_alu instid0(VALU_DEP_4) | instskip(NEXT) | instid1(VALU_DEP_4)
	v_fmac_f32_e32 v36, v67, v58
	v_add_f32_e32 v5, v5, v22
	s_delay_alu instid0(VALU_DEP_4) | instskip(SKIP_1) | instid1(VALU_DEP_3)
	v_dual_mul_f32 v22, v61, v53 :: v_dual_fmac_f32 v21, v47, v50
	v_fmac_f32_e32 v19, v43, v38
	v_add_f32_e32 v5, v5, v11
	s_delay_alu instid0(VALU_DEP_2) | instskip(SKIP_1) | instid1(VALU_DEP_2)
	v_dual_mul_f32 v11, v60, v53 :: v_dual_add_f32 v10, v10, v19
	v_fma_f32 v19, v46, v50, -v20
	v_dual_fmac_f32 v11, v61, v52 :: v_dual_add_f32 v10, v10, v18
	v_fma_f32 v18, v60, v52, -v22
	s_delay_alu instid0(VALU_DEP_2) | instskip(NEXT) | instid1(VALU_DEP_1)
	v_add_f32_e32 v10, v10, v21
	v_add_f32_e32 v10, v10, v11
	v_fma_f32 v11, v62, v54, -v26
	v_mul_f32_e32 v26, v65, v57
	s_delay_alu instid0(VALU_DEP_3) | instskip(NEXT) | instid1(VALU_DEP_1)
	v_add_f32_e32 v10, v10, v27
	v_dual_add_f32 v10, v10, v34 :: v_dual_add_f32 v5, v5, v19
	s_delay_alu instid0(VALU_DEP_1)
	v_dual_add_f32 v10, v10, v36 :: v_dual_add_f32 v5, v5, v18
	ds_load_2addr_b64 v[18:21], v14 offset0:192 offset1:208
	ds_load_b128 v[22:25], v15 offset:96
	s_waitcnt lgkmcnt(0)
	v_mul_f32_e32 v34, v23, v19
	v_mul_f32_e32 v19, v22, v19
	s_delay_alu instid0(VALU_DEP_1) | instskip(NEXT) | instid1(VALU_DEP_1)
	v_fmac_f32_e32 v19, v23, v18
	v_add_f32_e32 v10, v10, v19
	v_add_f32_e32 v5, v5, v11
	v_fma_f32 v11, v64, v56, -v26
	ds_load_2addr_b64 v[26:29], v14 offset0:224 offset1:240
	ds_load_b128 v[30:33], v15 offset:112
	v_mul_f32_e32 v35, v67, v59
	s_waitcnt lgkmcnt(0)
	s_barrier
	v_add_f32_e32 v5, v5, v11
	buffer_gl0_inv
	v_fma_f32 v11, v66, v58, -v35
	s_delay_alu instid0(VALU_DEP_1) | instskip(SKIP_3) | instid1(VALU_DEP_3)
	v_add_f32_e32 v5, v5, v11
	v_fma_f32 v11, v22, v18, -v34
	v_mul_f32_e32 v18, v25, v21
	v_mul_f32_e32 v21, v24, v21
	v_add_f32_e32 v5, v5, v11
	s_delay_alu instid0(VALU_DEP_3) | instskip(NEXT) | instid1(VALU_DEP_3)
	v_fma_f32 v11, v24, v20, -v18
	v_dual_mul_f32 v18, v31, v27 :: v_dual_fmac_f32 v21, v25, v20
	v_mul_f32_e32 v19, v30, v27
	s_delay_alu instid0(VALU_DEP_3) | instskip(NEXT) | instid1(VALU_DEP_3)
	v_dual_add_f32 v5, v5, v11 :: v_dual_mul_f32 v20, v32, v29
	v_fma_f32 v11, v30, v26, -v18
	s_delay_alu instid0(VALU_DEP_3) | instskip(SKIP_1) | instid1(VALU_DEP_4)
	v_dual_add_f32 v10, v10, v21 :: v_dual_fmac_f32 v19, v31, v26
	v_mul_f32_e32 v18, v33, v29
	v_fmac_f32_e32 v20, v33, v28
	s_delay_alu instid0(VALU_DEP_4) | instskip(NEXT) | instid1(VALU_DEP_4)
	v_add_f32_e32 v5, v5, v11
	v_add_f32_e32 v10, v10, v19
	s_delay_alu instid0(VALU_DEP_4) | instskip(NEXT) | instid1(VALU_DEP_1)
	v_fma_f32 v11, v32, v28, -v18
	v_dual_add_f32 v18, v10, v20 :: v_dual_add_f32 v19, v5, v11
	s_cbranch_vccnz .LBB1136_9
.LBB1136_3:                             ; =>This Inner Loop Header: Depth=1
	v_add_co_u32 v10, s10, v13, s8
	s_delay_alu instid0(VALU_DEP_1) | instskip(NEXT) | instid1(VALU_DEP_1)
	v_add_co_ci_u32_e64 v11, null, 0, s9, s10
	v_cmp_le_i64_e32 vcc_lo, s[16:17], v[10:11]
	s_or_b32 s10, s3, vcc_lo
	s_delay_alu instid0(SALU_CYCLE_1) | instskip(NEXT) | instid1(SALU_CYCLE_1)
	s_and_saveexec_b32 s11, s10
	s_xor_b32 s10, exec_lo, s11
	s_cbranch_execz .LBB1136_5
; %bb.4:                                ;   in Loop: Header=BB1136_3 Depth=1
	v_mov_b32_e32 v5, v4
	ds_store_b64 v16, v[4:5]
.LBB1136_5:                             ;   in Loop: Header=BB1136_3 Depth=1
	s_and_not1_saveexec_b32 s10, s10
	s_cbranch_execz .LBB1136_7
; %bb.6:                                ;   in Loop: Header=BB1136_3 Depth=1
	global_load_b64 v[10:11], v[8:9], off
	s_waitcnt vmcnt(0)
	ds_store_b64 v16, v[10:11]
.LBB1136_7:                             ;   in Loop: Header=BB1136_3 Depth=1
	s_or_b32 exec_lo, exec_lo, s10
	v_add_co_u32 v10, s10, v12, s8
	s_delay_alu instid0(VALU_DEP_1) | instskip(NEXT) | instid1(VALU_DEP_1)
	v_add_co_ci_u32_e64 v11, null, 0, s9, s10
	v_cmp_gt_i64_e32 vcc_lo, s[16:17], v[10:11]
	v_dual_mov_b32 v10, 0 :: v_dual_mov_b32 v11, 0
	s_and_b32 s11, s2, vcc_lo
	s_delay_alu instid0(SALU_CYCLE_1)
	s_and_saveexec_b32 s10, s11
	s_cbranch_execz .LBB1136_2
; %bb.8:                                ;   in Loop: Header=BB1136_3 Depth=1
	global_load_b64 v[10:11], v[6:7], off offset:-4
	s_branch .LBB1136_2
.LBB1136_9:
	s_load_b256 s[4:11], s[0:1], 0x48
	v_cmp_le_i32_e32 vcc_lo, v2, v0
	v_cmp_gt_i32_e64 s0, s12, v0
	s_delay_alu instid0(VALU_DEP_1) | instskip(NEXT) | instid1(SALU_CYCLE_1)
	s_and_b32 s0, vcc_lo, s0
	s_and_saveexec_b32 s1, s0
	s_cbranch_execz .LBB1136_11
; %bb.10:
	s_waitcnt lgkmcnt(0)
	v_mul_lo_u32 v5, v2, s9
	v_mul_lo_u32 v6, v3, s8
	v_mad_u64_u32 v[3:4], null, v2, s8, 0
	s_mul_i32 s1, s15, s11
	s_mul_hi_u32 s2, s15, s10
	s_mul_i32 s0, s15, s10
	s_add_i32 s1, s2, s1
	v_lshlrev_b64 v[0:1], 3, v[0:1]
	s_lshl_b64 s[0:1], s[0:1], 3
	s_delay_alu instid0(VALU_DEP_2) | instskip(SKIP_2) | instid1(VALU_DEP_1)
	v_add3_u32 v4, v4, v5, v6
	s_add_u32 s0, s6, s0
	s_addc_u32 s1, s7, s1
	v_lshlrev_b64 v[2:3], 3, v[3:4]
	s_delay_alu instid0(VALU_DEP_1) | instskip(NEXT) | instid1(VALU_DEP_2)
	v_add_co_u32 v2, vcc_lo, s0, v2
	v_add_co_ci_u32_e32 v3, vcc_lo, s1, v3, vcc_lo
	s_delay_alu instid0(VALU_DEP_2) | instskip(NEXT) | instid1(VALU_DEP_2)
	v_add_co_u32 v0, vcc_lo, v2, v0
	v_add_co_ci_u32_e32 v1, vcc_lo, v3, v1, vcc_lo
	global_load_b64 v[2:3], v[0:1], off
	v_mul_f32_e32 v4, s19, v18
	s_waitcnt vmcnt(0)
	v_dual_mul_f32 v5, s18, v18 :: v_dual_mul_f32 v6, s5, v3
	v_mul_f32_e32 v3, s4, v3
	s_delay_alu instid0(VALU_DEP_3) | instskip(NEXT) | instid1(VALU_DEP_3)
	v_fma_f32 v4, v19, s18, -v4
	v_fma_f32 v6, v2, s4, -v6
	s_delay_alu instid0(VALU_DEP_4) | instskip(NEXT) | instid1(VALU_DEP_4)
	v_fmac_f32_e32 v5, s19, v19
	v_fmac_f32_e32 v3, s5, v2
	s_delay_alu instid0(VALU_DEP_1)
	v_dual_add_f32 v2, v4, v6 :: v_dual_add_f32 v3, v5, v3
	global_store_b64 v[0:1], v[2:3], off
.LBB1136_11:
	s_nop 0
	s_sendmsg sendmsg(MSG_DEALLOC_VGPRS)
	s_endpgm
	.section	.rodata,"a",@progbits
	.p2align	6, 0x0
	.amdhsa_kernel _ZL32rocblas_syrkx_herkx_small_kernelIl19rocblas_complex_numIfELi16ELb0ELb0ELc78ELc76EKS1_S1_EviT_T0_PT6_S3_lS6_S3_lS4_PT7_S3_li
		.amdhsa_group_segment_fixed_size 4096
		.amdhsa_private_segment_fixed_size 0
		.amdhsa_kernarg_size 108
		.amdhsa_user_sgpr_count 13
		.amdhsa_user_sgpr_dispatch_ptr 0
		.amdhsa_user_sgpr_queue_ptr 0
		.amdhsa_user_sgpr_kernarg_segment_ptr 1
		.amdhsa_user_sgpr_dispatch_id 0
		.amdhsa_user_sgpr_private_segment_size 0
		.amdhsa_wavefront_size32 1
		.amdhsa_uses_dynamic_stack 0
		.amdhsa_enable_private_segment 0
		.amdhsa_system_sgpr_workgroup_id_x 1
		.amdhsa_system_sgpr_workgroup_id_y 1
		.amdhsa_system_sgpr_workgroup_id_z 1
		.amdhsa_system_sgpr_workgroup_info 0
		.amdhsa_system_vgpr_workitem_id 1
		.amdhsa_next_free_vgpr 70
		.amdhsa_next_free_sgpr 32
		.amdhsa_reserve_vcc 1
		.amdhsa_float_round_mode_32 0
		.amdhsa_float_round_mode_16_64 0
		.amdhsa_float_denorm_mode_32 3
		.amdhsa_float_denorm_mode_16_64 3
		.amdhsa_dx10_clamp 1
		.amdhsa_ieee_mode 1
		.amdhsa_fp16_overflow 0
		.amdhsa_workgroup_processor_mode 1
		.amdhsa_memory_ordered 1
		.amdhsa_forward_progress 0
		.amdhsa_shared_vgpr_count 0
		.amdhsa_exception_fp_ieee_invalid_op 0
		.amdhsa_exception_fp_denorm_src 0
		.amdhsa_exception_fp_ieee_div_zero 0
		.amdhsa_exception_fp_ieee_overflow 0
		.amdhsa_exception_fp_ieee_underflow 0
		.amdhsa_exception_fp_ieee_inexact 0
		.amdhsa_exception_int_div_zero 0
	.end_amdhsa_kernel
	.section	.text._ZL32rocblas_syrkx_herkx_small_kernelIl19rocblas_complex_numIfELi16ELb0ELb0ELc78ELc76EKS1_S1_EviT_T0_PT6_S3_lS6_S3_lS4_PT7_S3_li,"axG",@progbits,_ZL32rocblas_syrkx_herkx_small_kernelIl19rocblas_complex_numIfELi16ELb0ELb0ELc78ELc76EKS1_S1_EviT_T0_PT6_S3_lS6_S3_lS4_PT7_S3_li,comdat
.Lfunc_end1136:
	.size	_ZL32rocblas_syrkx_herkx_small_kernelIl19rocblas_complex_numIfELi16ELb0ELb0ELc78ELc76EKS1_S1_EviT_T0_PT6_S3_lS6_S3_lS4_PT7_S3_li, .Lfunc_end1136-_ZL32rocblas_syrkx_herkx_small_kernelIl19rocblas_complex_numIfELi16ELb0ELb0ELc78ELc76EKS1_S1_EviT_T0_PT6_S3_lS6_S3_lS4_PT7_S3_li
                                        ; -- End function
	.section	.AMDGPU.csdata,"",@progbits
; Kernel info:
; codeLenInByte = 1580
; NumSgprs: 34
; NumVgprs: 70
; ScratchSize: 0
; MemoryBound: 1
; FloatMode: 240
; IeeeMode: 1
; LDSByteSize: 4096 bytes/workgroup (compile time only)
; SGPRBlocks: 4
; VGPRBlocks: 8
; NumSGPRsForWavesPerEU: 34
; NumVGPRsForWavesPerEU: 70
; Occupancy: 16
; WaveLimiterHint : 0
; COMPUTE_PGM_RSRC2:SCRATCH_EN: 0
; COMPUTE_PGM_RSRC2:USER_SGPR: 13
; COMPUTE_PGM_RSRC2:TRAP_HANDLER: 0
; COMPUTE_PGM_RSRC2:TGID_X_EN: 1
; COMPUTE_PGM_RSRC2:TGID_Y_EN: 1
; COMPUTE_PGM_RSRC2:TGID_Z_EN: 1
; COMPUTE_PGM_RSRC2:TIDIG_COMP_CNT: 1
	.section	.text._ZL32rocblas_syrkx_herkx_small_kernelIl19rocblas_complex_numIfELi16ELb0ELb0ELc84ELc85EKS1_S1_EviT_T0_PT6_S3_lS6_S3_lS4_PT7_S3_li,"axG",@progbits,_ZL32rocblas_syrkx_herkx_small_kernelIl19rocblas_complex_numIfELi16ELb0ELb0ELc84ELc85EKS1_S1_EviT_T0_PT6_S3_lS6_S3_lS4_PT7_S3_li,comdat
	.globl	_ZL32rocblas_syrkx_herkx_small_kernelIl19rocblas_complex_numIfELi16ELb0ELb0ELc84ELc85EKS1_S1_EviT_T0_PT6_S3_lS6_S3_lS4_PT7_S3_li ; -- Begin function _ZL32rocblas_syrkx_herkx_small_kernelIl19rocblas_complex_numIfELi16ELb0ELb0ELc84ELc85EKS1_S1_EviT_T0_PT6_S3_lS6_S3_lS4_PT7_S3_li
	.p2align	8
	.type	_ZL32rocblas_syrkx_herkx_small_kernelIl19rocblas_complex_numIfELi16ELb0ELb0ELc84ELc85EKS1_S1_EviT_T0_PT6_S3_lS6_S3_lS4_PT7_S3_li,@function
_ZL32rocblas_syrkx_herkx_small_kernelIl19rocblas_complex_numIfELi16ELb0ELb0ELc84ELc85EKS1_S1_EviT_T0_PT6_S3_lS6_S3_lS4_PT7_S3_li: ; @_ZL32rocblas_syrkx_herkx_small_kernelIl19rocblas_complex_numIfELi16ELb0ELb0ELc84ELc85EKS1_S1_EviT_T0_PT6_S3_lS6_S3_lS4_PT7_S3_li
; %bb.0:
	s_clause 0x1
	s_load_b512 s[16:31], s[0:1], 0x8
	s_load_b32 s12, s[0:1], 0x0
	v_dual_mov_b32 v17, 0 :: v_dual_and_b32 v10, 0x3ff, v0
	v_bfe_u32 v11, v0, 10, 10
	v_mov_b32_e32 v16, 0
	s_delay_alu instid0(VALU_DEP_3) | instskip(NEXT) | instid1(VALU_DEP_3)
	v_lshl_add_u32 v0, s13, 4, v10
	v_lshl_add_u32 v8, s14, 4, v11
	s_delay_alu instid0(VALU_DEP_2) | instskip(NEXT) | instid1(VALU_DEP_2)
	v_ashrrev_i32_e32 v1, 31, v0
	v_ashrrev_i32_e32 v9, 31, v8
	s_waitcnt lgkmcnt(0)
	v_cmp_lt_i64_e64 s3, s[16:17], 1
	v_cmp_gt_i32_e64 s2, s12, v8
	s_delay_alu instid0(VALU_DEP_2)
	s_and_b32 vcc_lo, exec_lo, s3
	s_cbranch_vccnz .LBB1137_11
; %bb.1:
	v_mul_lo_u32 v15, s29, v8
	v_mul_lo_u32 v16, s28, v9
	v_mad_u64_u32 v[3:4], null, s28, v8, 0
	v_mul_lo_u32 v17, s23, v0
	v_mul_lo_u32 v18, s22, v1
	v_mad_u64_u32 v[5:6], null, s22, v0, 0
	s_mul_i32 s3, s31, s15
	s_mul_hi_u32 s4, s30, s15
	s_delay_alu instid0(VALU_DEP_4) | instskip(SKIP_3) | instid1(VALU_DEP_2)
	v_add3_u32 v4, v4, v16, v15
	s_add_i32 s5, s4, s3
	s_mul_i32 s4, s30, s15
	s_mul_i32 s3, s25, s15
	v_add3_u32 v6, v6, v18, v17
	v_lshlrev_b64 v[3:4], 3, v[3:4]
	s_lshl_b64 s[4:5], s[4:5], 3
	s_mul_hi_u32 s6, s24, s15
	v_dual_mov_b32 v2, 0 :: v_dual_lshlrev_b32 v7, 7, v11
	v_lshlrev_b64 v[5:6], 3, v[5:6]
	v_lshlrev_b32_e32 v12, 3, v10
	s_add_i32 s7, s6, s3
	s_mul_i32 s6, s24, s15
	v_add_co_u32 v3, s3, v3, s4
	s_delay_alu instid0(VALU_DEP_1)
	v_add_co_ci_u32_e64 v4, s3, s5, v4, s3
	s_lshl_b64 s[4:5], s[6:7], 3
	v_add_nc_u32_e32 v13, 0x800, v7
	v_add_co_u32 v5, s3, v5, s4
	v_add_nc_u32_e32 v14, v12, v7
	v_lshlrev_b32_e32 v7, 3, v11
	v_add_co_ci_u32_e64 v6, s3, s5, v6, s3
	v_add_co_u32 v3, s3, v3, v12
	s_delay_alu instid0(VALU_DEP_1) | instskip(NEXT) | instid1(VALU_DEP_4)
	v_add_co_ci_u32_e64 v16, s3, 0, v4, s3
	v_add_co_u32 v7, s3, v5, v7
	s_delay_alu instid0(VALU_DEP_1) | instskip(NEXT) | instid1(VALU_DEP_4)
	v_add_co_ci_u32_e64 v17, s3, 0, v6, s3
	v_add_co_u32 v4, s3, s26, v3
	s_delay_alu instid0(VALU_DEP_1) | instskip(SKIP_3) | instid1(VALU_DEP_1)
	v_add_co_ci_u32_e64 v5, s3, s27, v16, s3
	v_mov_b32_e32 v16, 0
	v_cmp_gt_i32_e32 vcc_lo, s12, v0
	v_add_co_u32 v6, s3, s20, v7
	v_add_co_ci_u32_e64 v7, s3, s21, v17, s3
	v_mov_b32_e32 v17, 0
	v_add_nc_u32_e32 v15, v13, v12
	s_mov_b64 s[4:5], 0
	s_xor_b32 s3, vcc_lo, -1
	s_xor_b32 s2, s2, -1
	s_branch .LBB1137_3
.LBB1137_2:                             ;   in Loop: Header=BB1137_3 Depth=1
	s_or_b32 exec_lo, exec_lo, s6
	s_waitcnt lgkmcnt(0)
	s_barrier
	buffer_gl0_inv
	ds_load_2addr_b64 v[18:21], v12 offset1:16
	ds_load_b128 v[22:25], v13
	ds_load_b128 v[26:29], v13 offset:16
	ds_load_2addr_b64 v[30:33], v12 offset0:32 offset1:48
	ds_load_2addr_b64 v[34:37], v12 offset0:64 offset1:80
	ds_load_b128 v[38:41], v13 offset:32
	ds_load_b128 v[42:45], v13 offset:48
	ds_load_2addr_b64 v[46:49], v12 offset0:96 offset1:112
	ds_load_2addr_b64 v[50:53], v12 offset0:128 offset1:144
	;; [unrolled: 1-line block ×3, first 2 shown]
	ds_load_b128 v[58:61], v13 offset:64
	ds_load_b128 v[62:65], v13 offset:80
	s_add_u32 s4, s4, 16
	s_addc_u32 s5, s5, 0
	v_add_co_u32 v4, vcc_lo, 0x80, v4
	v_cmp_ge_i64_e64 s6, s[4:5], s[16:17]
	v_add_co_ci_u32_e32 v5, vcc_lo, 0, v5, vcc_lo
	v_add_co_u32 v6, vcc_lo, 0x80, v6
	s_waitcnt lgkmcnt(10)
	v_dual_mul_f32 v3, v23, v19 :: v_dual_mul_f32 v66, v25, v21
	s_waitcnt lgkmcnt(8)
	v_dual_mul_f32 v19, v22, v19 :: v_dual_mul_f32 v68, v29, v33
	v_mul_f32_e32 v21, v24, v21
	v_mul_f32_e32 v67, v27, v31
	;; [unrolled: 1-line block ×3, first 2 shown]
	s_delay_alu instid0(VALU_DEP_4)
	v_fmac_f32_e32 v19, v23, v18
	v_fma_f32 v3, v22, v18, -v3
	s_waitcnt lgkmcnt(6)
	v_dual_fmac_f32 v21, v25, v20 :: v_dual_mul_f32 v18, v40, v37
	v_mul_f32_e32 v33, v28, v33
	v_add_f32_e32 v16, v16, v19
	v_mul_f32_e32 v69, v39, v35
	v_fmac_f32_e32 v31, v27, v30
	v_fma_f32 v23, v24, v20, -v66
	v_fmac_f32_e32 v18, v41, v36
	v_dual_add_f32 v16, v16, v21 :: v_dual_fmac_f32 v33, v29, v32
	s_waitcnt lgkmcnt(1)
	v_mul_f32_e32 v24, v58, v51
	v_mul_f32_e32 v20, v42, v47
	v_add_f32_e32 v3, v17, v3
	v_add_f32_e32 v16, v16, v31
	v_mul_f32_e32 v35, v38, v35
	v_fma_f32 v21, v28, v32, -v68
	s_waitcnt lgkmcnt(0)
	v_mul_f32_e32 v32, v62, v55
	v_mul_f32_e32 v22, v41, v37
	v_dual_add_f32 v16, v16, v33 :: v_dual_fmac_f32 v35, v39, v34
	v_fma_f32 v19, v26, v30, -v67
	v_dual_fmac_f32 v20, v43, v46 :: v_dual_mul_f32 v27, v60, v53
	s_delay_alu instid0(VALU_DEP_4) | instskip(NEXT) | instid1(VALU_DEP_4)
	v_fma_f32 v22, v40, v36, -v22
	v_add_f32_e32 v16, v16, v35
	v_mul_f32_e32 v17, v43, v47
	v_add_co_ci_u32_e32 v7, vcc_lo, 0, v7, vcc_lo
	v_fmac_f32_e32 v24, v59, v50
	s_delay_alu instid0(VALU_DEP_4) | instskip(SKIP_3) | instid1(VALU_DEP_4)
	v_dual_add_f32 v16, v16, v18 :: v_dual_add_f32 v3, v3, v23
	v_mul_f32_e32 v26, v61, v53
	v_fma_f32 v23, v38, v34, -v69
	v_fmac_f32_e32 v27, v61, v52
	v_dual_add_f32 v20, v16, v20 :: v_dual_add_f32 v3, v3, v19
	v_mul_f32_e32 v19, v45, v49
	v_fma_f32 v17, v42, v46, -v17
	v_fmac_f32_e32 v32, v63, v54
	s_and_b32 vcc_lo, exec_lo, s6
	v_add_f32_e32 v3, v3, v21
	v_mul_f32_e32 v21, v44, v49
	s_delay_alu instid0(VALU_DEP_1) | instskip(NEXT) | instid1(VALU_DEP_1)
	v_dual_mul_f32 v36, v64, v57 :: v_dual_fmac_f32 v21, v45, v48
	v_dual_fmac_f32 v36, v65, v56 :: v_dual_add_f32 v25, v20, v21
	s_delay_alu instid0(VALU_DEP_1) | instskip(SKIP_2) | instid1(VALU_DEP_3)
	v_dual_add_f32 v24, v25, v24 :: v_dual_add_f32 v3, v3, v23
	v_fma_f32 v25, v60, v52, -v26
	v_mul_f32_e32 v26, v63, v55
	v_add_f32_e32 v33, v24, v27
	s_delay_alu instid0(VALU_DEP_4) | instskip(SKIP_3) | instid1(VALU_DEP_4)
	v_add_f32_e32 v3, v3, v22
	v_mul_f32_e32 v23, v59, v51
	v_fma_f32 v22, v44, v48, -v19
	v_fma_f32 v34, v62, v54, -v26
	v_dual_add_f32 v32, v33, v32 :: v_dual_add_f32 v3, v3, v17
	ds_load_2addr_b64 v[16:19], v12 offset0:192 offset1:208
	v_fma_f32 v23, v58, v50, -v23
	v_dual_add_f32 v32, v32, v36 :: v_dual_add_f32 v3, v3, v22
	s_delay_alu instid0(VALU_DEP_1)
	v_add_f32_e32 v3, v3, v23
	ds_load_b128 v[20:23], v13 offset:96
	v_add_f32_e32 v3, v3, v25
	ds_load_2addr_b64 v[24:27], v12 offset0:224 offset1:240
	ds_load_b128 v[28:31], v13 offset:112
	v_mul_f32_e32 v35, v65, v57
	s_waitcnt lgkmcnt(0)
	s_barrier
	v_add_f32_e32 v3, v3, v34
	buffer_gl0_inv
	v_fma_f32 v33, v64, v56, -v35
	s_delay_alu instid0(VALU_DEP_1) | instskip(SKIP_2) | instid1(VALU_DEP_2)
	v_add_f32_e32 v3, v3, v33
	v_mul_f32_e32 v34, v21, v17
	v_mul_f32_e32 v17, v20, v17
	v_fma_f32 v20, v20, v16, -v34
	s_delay_alu instid0(VALU_DEP_2) | instskip(SKIP_1) | instid1(VALU_DEP_3)
	v_dual_fmac_f32 v17, v21, v16 :: v_dual_mul_f32 v16, v23, v19
	v_mul_f32_e32 v19, v22, v19
	v_add_f32_e32 v3, v3, v20
	s_delay_alu instid0(VALU_DEP_3) | instskip(NEXT) | instid1(VALU_DEP_4)
	v_add_f32_e32 v17, v32, v17
	v_fma_f32 v16, v22, v18, -v16
	s_delay_alu instid0(VALU_DEP_4) | instskip(NEXT) | instid1(VALU_DEP_2)
	v_dual_fmac_f32 v19, v23, v18 :: v_dual_mul_f32 v18, v29, v25
	v_dual_mul_f32 v20, v28, v25 :: v_dual_add_f32 v3, v3, v16
	s_delay_alu instid0(VALU_DEP_2) | instskip(NEXT) | instid1(VALU_DEP_3)
	v_add_f32_e32 v16, v17, v19
	v_fma_f32 v17, v28, v24, -v18
	s_delay_alu instid0(VALU_DEP_3) | instskip(SKIP_2) | instid1(VALU_DEP_3)
	v_fmac_f32_e32 v20, v29, v24
	v_mul_f32_e32 v18, v31, v27
	v_mul_f32_e32 v19, v30, v27
	v_dual_add_f32 v3, v3, v17 :: v_dual_add_f32 v16, v16, v20
	s_delay_alu instid0(VALU_DEP_3) | instskip(NEXT) | instid1(VALU_DEP_3)
	v_fma_f32 v17, v30, v26, -v18
	v_fmac_f32_e32 v19, v31, v26
	s_delay_alu instid0(VALU_DEP_1)
	v_dual_add_f32 v17, v3, v17 :: v_dual_add_f32 v16, v16, v19
	s_cbranch_vccnz .LBB1137_11
.LBB1137_3:                             ; =>This Inner Loop Header: Depth=1
	v_add_co_u32 v18, s6, v11, s4
	s_delay_alu instid0(VALU_DEP_1) | instskip(NEXT) | instid1(VALU_DEP_1)
	v_add_co_ci_u32_e64 v19, null, 0, s5, s6
	v_cmp_le_i64_e32 vcc_lo, s[16:17], v[18:19]
	s_or_b32 s6, s3, vcc_lo
	s_delay_alu instid0(SALU_CYCLE_1) | instskip(NEXT) | instid1(SALU_CYCLE_1)
	s_and_saveexec_b32 s7, s6
	s_xor_b32 s6, exec_lo, s7
	s_cbranch_execz .LBB1137_5
; %bb.4:                                ;   in Loop: Header=BB1137_3 Depth=1
	v_mov_b32_e32 v3, v2
	ds_store_b64 v14, v[2:3]
.LBB1137_5:                             ;   in Loop: Header=BB1137_3 Depth=1
	s_and_not1_saveexec_b32 s6, s6
	s_cbranch_execz .LBB1137_7
; %bb.6:                                ;   in Loop: Header=BB1137_3 Depth=1
	global_load_b64 v[18:19], v[6:7], off
	s_waitcnt vmcnt(0)
	ds_store_b64 v14, v[18:19]
.LBB1137_7:                             ;   in Loop: Header=BB1137_3 Depth=1
	s_or_b32 exec_lo, exec_lo, s6
	v_add_co_u32 v18, s6, v10, s4
	s_delay_alu instid0(VALU_DEP_1) | instskip(NEXT) | instid1(VALU_DEP_1)
	v_add_co_ci_u32_e64 v19, null, 0, s5, s6
	v_cmp_le_i64_e32 vcc_lo, s[16:17], v[18:19]
	s_or_b32 s6, s2, vcc_lo
	s_delay_alu instid0(SALU_CYCLE_1) | instskip(NEXT) | instid1(SALU_CYCLE_1)
	s_and_saveexec_b32 s7, s6
	s_xor_b32 s6, exec_lo, s7
	s_cbranch_execz .LBB1137_9
; %bb.8:                                ;   in Loop: Header=BB1137_3 Depth=1
	v_mov_b32_e32 v3, v2
	ds_store_b64 v15, v[2:3]
.LBB1137_9:                             ;   in Loop: Header=BB1137_3 Depth=1
	s_and_not1_saveexec_b32 s6, s6
	s_cbranch_execz .LBB1137_2
; %bb.10:                               ;   in Loop: Header=BB1137_3 Depth=1
	global_load_b64 v[18:19], v[4:5], off
	s_waitcnt vmcnt(0)
	ds_store_b64 v15, v[18:19]
	s_branch .LBB1137_2
.LBB1137_11:
	s_load_b256 s[4:11], s[0:1], 0x48
	v_cmp_le_i32_e32 vcc_lo, v0, v8
	v_cmp_gt_i32_e64 s0, s12, v8
	s_delay_alu instid0(VALU_DEP_1) | instskip(NEXT) | instid1(SALU_CYCLE_1)
	s_and_b32 s0, vcc_lo, s0
	s_and_saveexec_b32 s1, s0
	s_cbranch_execz .LBB1137_13
; %bb.12:
	s_waitcnt lgkmcnt(0)
	v_mul_lo_u32 v4, v8, s9
	v_mul_lo_u32 v5, v9, s8
	v_mad_u64_u32 v[2:3], null, v8, s8, 0
	s_mul_i32 s1, s15, s11
	s_mul_hi_u32 s2, s15, s10
	s_mul_i32 s0, s15, s10
	s_add_i32 s1, s2, s1
	v_lshlrev_b64 v[0:1], 3, v[0:1]
	s_lshl_b64 s[0:1], s[0:1], 3
	s_delay_alu instid0(VALU_DEP_2) | instskip(SKIP_2) | instid1(VALU_DEP_1)
	v_add3_u32 v3, v3, v4, v5
	s_add_u32 s0, s6, s0
	s_addc_u32 s1, s7, s1
	v_lshlrev_b64 v[2:3], 3, v[2:3]
	s_delay_alu instid0(VALU_DEP_1) | instskip(NEXT) | instid1(VALU_DEP_2)
	v_add_co_u32 v2, vcc_lo, s0, v2
	v_add_co_ci_u32_e32 v3, vcc_lo, s1, v3, vcc_lo
	s_delay_alu instid0(VALU_DEP_2) | instskip(NEXT) | instid1(VALU_DEP_2)
	v_add_co_u32 v0, vcc_lo, v2, v0
	v_add_co_ci_u32_e32 v1, vcc_lo, v3, v1, vcc_lo
	global_load_b64 v[2:3], v[0:1], off
	v_mul_f32_e32 v4, s19, v16
	s_waitcnt vmcnt(0)
	v_dual_mul_f32 v5, s18, v16 :: v_dual_mul_f32 v6, s5, v3
	v_mul_f32_e32 v3, s4, v3
	s_delay_alu instid0(VALU_DEP_3) | instskip(NEXT) | instid1(VALU_DEP_3)
	v_fma_f32 v4, v17, s18, -v4
	v_fma_f32 v6, v2, s4, -v6
	s_delay_alu instid0(VALU_DEP_4) | instskip(NEXT) | instid1(VALU_DEP_4)
	v_fmac_f32_e32 v5, s19, v17
	v_fmac_f32_e32 v3, s5, v2
	s_delay_alu instid0(VALU_DEP_1)
	v_dual_add_f32 v2, v4, v6 :: v_dual_add_f32 v3, v5, v3
	global_store_b64 v[0:1], v[2:3], off
.LBB1137_13:
	s_nop 0
	s_sendmsg sendmsg(MSG_DEALLOC_VGPRS)
	s_endpgm
	.section	.rodata,"a",@progbits
	.p2align	6, 0x0
	.amdhsa_kernel _ZL32rocblas_syrkx_herkx_small_kernelIl19rocblas_complex_numIfELi16ELb0ELb0ELc84ELc85EKS1_S1_EviT_T0_PT6_S3_lS6_S3_lS4_PT7_S3_li
		.amdhsa_group_segment_fixed_size 4096
		.amdhsa_private_segment_fixed_size 0
		.amdhsa_kernarg_size 108
		.amdhsa_user_sgpr_count 13
		.amdhsa_user_sgpr_dispatch_ptr 0
		.amdhsa_user_sgpr_queue_ptr 0
		.amdhsa_user_sgpr_kernarg_segment_ptr 1
		.amdhsa_user_sgpr_dispatch_id 0
		.amdhsa_user_sgpr_private_segment_size 0
		.amdhsa_wavefront_size32 1
		.amdhsa_uses_dynamic_stack 0
		.amdhsa_enable_private_segment 0
		.amdhsa_system_sgpr_workgroup_id_x 1
		.amdhsa_system_sgpr_workgroup_id_y 1
		.amdhsa_system_sgpr_workgroup_id_z 1
		.amdhsa_system_sgpr_workgroup_info 0
		.amdhsa_system_vgpr_workitem_id 1
		.amdhsa_next_free_vgpr 70
		.amdhsa_next_free_sgpr 32
		.amdhsa_reserve_vcc 1
		.amdhsa_float_round_mode_32 0
		.amdhsa_float_round_mode_16_64 0
		.amdhsa_float_denorm_mode_32 3
		.amdhsa_float_denorm_mode_16_64 3
		.amdhsa_dx10_clamp 1
		.amdhsa_ieee_mode 1
		.amdhsa_fp16_overflow 0
		.amdhsa_workgroup_processor_mode 1
		.amdhsa_memory_ordered 1
		.amdhsa_forward_progress 0
		.amdhsa_shared_vgpr_count 0
		.amdhsa_exception_fp_ieee_invalid_op 0
		.amdhsa_exception_fp_denorm_src 0
		.amdhsa_exception_fp_ieee_div_zero 0
		.amdhsa_exception_fp_ieee_overflow 0
		.amdhsa_exception_fp_ieee_underflow 0
		.amdhsa_exception_fp_ieee_inexact 0
		.amdhsa_exception_int_div_zero 0
	.end_amdhsa_kernel
	.section	.text._ZL32rocblas_syrkx_herkx_small_kernelIl19rocblas_complex_numIfELi16ELb0ELb0ELc84ELc85EKS1_S1_EviT_T0_PT6_S3_lS6_S3_lS4_PT7_S3_li,"axG",@progbits,_ZL32rocblas_syrkx_herkx_small_kernelIl19rocblas_complex_numIfELi16ELb0ELb0ELc84ELc85EKS1_S1_EviT_T0_PT6_S3_lS6_S3_lS4_PT7_S3_li,comdat
.Lfunc_end1137:
	.size	_ZL32rocblas_syrkx_herkx_small_kernelIl19rocblas_complex_numIfELi16ELb0ELb0ELc84ELc85EKS1_S1_EviT_T0_PT6_S3_lS6_S3_lS4_PT7_S3_li, .Lfunc_end1137-_ZL32rocblas_syrkx_herkx_small_kernelIl19rocblas_complex_numIfELi16ELb0ELb0ELc84ELc85EKS1_S1_EviT_T0_PT6_S3_lS6_S3_lS4_PT7_S3_li
                                        ; -- End function
	.section	.AMDGPU.csdata,"",@progbits
; Kernel info:
; codeLenInByte = 1572
; NumSgprs: 34
; NumVgprs: 70
; ScratchSize: 0
; MemoryBound: 1
; FloatMode: 240
; IeeeMode: 1
; LDSByteSize: 4096 bytes/workgroup (compile time only)
; SGPRBlocks: 4
; VGPRBlocks: 8
; NumSGPRsForWavesPerEU: 34
; NumVGPRsForWavesPerEU: 70
; Occupancy: 16
; WaveLimiterHint : 0
; COMPUTE_PGM_RSRC2:SCRATCH_EN: 0
; COMPUTE_PGM_RSRC2:USER_SGPR: 13
; COMPUTE_PGM_RSRC2:TRAP_HANDLER: 0
; COMPUTE_PGM_RSRC2:TGID_X_EN: 1
; COMPUTE_PGM_RSRC2:TGID_Y_EN: 1
; COMPUTE_PGM_RSRC2:TGID_Z_EN: 1
; COMPUTE_PGM_RSRC2:TIDIG_COMP_CNT: 1
	.section	.text._ZL32rocblas_syrkx_herkx_small_kernelIl19rocblas_complex_numIfELi16ELb0ELb0ELc67ELc85EKS1_S1_EviT_T0_PT6_S3_lS6_S3_lS4_PT7_S3_li,"axG",@progbits,_ZL32rocblas_syrkx_herkx_small_kernelIl19rocblas_complex_numIfELi16ELb0ELb0ELc67ELc85EKS1_S1_EviT_T0_PT6_S3_lS6_S3_lS4_PT7_S3_li,comdat
	.globl	_ZL32rocblas_syrkx_herkx_small_kernelIl19rocblas_complex_numIfELi16ELb0ELb0ELc67ELc85EKS1_S1_EviT_T0_PT6_S3_lS6_S3_lS4_PT7_S3_li ; -- Begin function _ZL32rocblas_syrkx_herkx_small_kernelIl19rocblas_complex_numIfELi16ELb0ELb0ELc67ELc85EKS1_S1_EviT_T0_PT6_S3_lS6_S3_lS4_PT7_S3_li
	.p2align	8
	.type	_ZL32rocblas_syrkx_herkx_small_kernelIl19rocblas_complex_numIfELi16ELb0ELb0ELc67ELc85EKS1_S1_EviT_T0_PT6_S3_lS6_S3_lS4_PT7_S3_li,@function
_ZL32rocblas_syrkx_herkx_small_kernelIl19rocblas_complex_numIfELi16ELb0ELb0ELc67ELc85EKS1_S1_EviT_T0_PT6_S3_lS6_S3_lS4_PT7_S3_li: ; @_ZL32rocblas_syrkx_herkx_small_kernelIl19rocblas_complex_numIfELi16ELb0ELb0ELc67ELc85EKS1_S1_EviT_T0_PT6_S3_lS6_S3_lS4_PT7_S3_li
; %bb.0:
	s_clause 0x1
	s_load_b512 s[16:31], s[0:1], 0x8
	s_load_b32 s12, s[0:1], 0x0
	v_dual_mov_b32 v19, 0 :: v_dual_and_b32 v12, 0x3ff, v0
	v_bfe_u32 v13, v0, 10, 10
	v_mov_b32_e32 v18, 0
	s_delay_alu instid0(VALU_DEP_3) | instskip(NEXT) | instid1(VALU_DEP_3)
	v_lshl_add_u32 v0, s13, 4, v12
	v_lshl_add_u32 v10, s14, 4, v13
	s_delay_alu instid0(VALU_DEP_2) | instskip(NEXT) | instid1(VALU_DEP_2)
	v_ashrrev_i32_e32 v1, 31, v0
	v_ashrrev_i32_e32 v11, 31, v10
	s_waitcnt lgkmcnt(0)
	v_cmp_lt_i64_e64 s2, s[16:17], 1
	v_cmp_gt_i32_e64 s3, s12, v10
	s_delay_alu instid0(VALU_DEP_2)
	s_and_b32 vcc_lo, exec_lo, s2
	s_cbranch_vccnz .LBB1138_9
; %bb.1:
	v_mul_lo_u32 v2, s29, v10
	v_mul_lo_u32 v5, s28, v11
	v_mad_u64_u32 v[3:4], null, s28, v10, 0
	v_mul_lo_u32 v8, s23, v0
	v_mul_lo_u32 v9, s22, v1
	s_mul_i32 s6, s25, s15
	s_mul_hi_u32 s7, s24, s15
	v_lshlrev_b32_e32 v7, 7, v13
	v_dual_mov_b32 v19, 0 :: v_dual_lshlrev_b32 v14, 3, v12
	v_add3_u32 v4, v4, v5, v2
	v_mad_u64_u32 v[5:6], null, s22, v0, 0
	s_add_i32 s7, s7, s6
	s_mul_i32 s6, s24, s15
	s_delay_alu instid0(VALU_DEP_2) | instskip(SKIP_3) | instid1(VALU_DEP_2)
	v_lshlrev_b64 v[3:4], 3, v[3:4]
	s_mul_i32 s4, s31, s15
	s_mul_hi_u32 s5, s30, s15
	s_lshl_b64 s[6:7], s[6:7], 3
	v_add3_u32 v6, v6, v9, v8
	s_add_i32 s5, s5, s4
	s_mul_i32 s4, s30, s15
	v_dual_mov_b32 v2, 0 :: v_dual_add_nc_u32 v15, 0x800, v7
	v_mov_b32_e32 v18, 0
	v_lshlrev_b64 v[5:6], 3, v[5:6]
	v_add_nc_u32_e32 v16, v14, v7
	s_lshl_b64 s[4:5], s[4:5], 3
	v_lshlrev_b32_e32 v7, 3, v13
	v_cmp_gt_i32_e64 s2, s12, v0
	v_add_nc_u32_e32 v17, v15, v14
	v_add_co_u32 v5, vcc_lo, v5, s6
	v_add_co_ci_u32_e32 v6, vcc_lo, s7, v6, vcc_lo
	v_add_co_u32 v3, vcc_lo, v3, s4
	v_add_co_ci_u32_e32 v4, vcc_lo, s5, v4, vcc_lo
	s_delay_alu instid0(VALU_DEP_4) | instskip(NEXT) | instid1(VALU_DEP_4)
	v_add_co_u32 v5, vcc_lo, v5, v7
	v_add_co_ci_u32_e32 v6, vcc_lo, 0, v6, vcc_lo
	s_delay_alu instid0(VALU_DEP_4) | instskip(NEXT) | instid1(VALU_DEP_4)
	;; [unrolled: 3-line block ×5, first 2 shown]
	v_add_co_u32 v6, vcc_lo, v8, 4
	v_add_co_ci_u32_e32 v7, vcc_lo, 0, v9, vcc_lo
	s_mov_b64 s[4:5], 0
	s_xor_b32 s3, s3, -1
	s_branch .LBB1138_3
.LBB1138_2:                             ;   in Loop: Header=BB1138_3 Depth=1
	s_or_b32 exec_lo, exec_lo, s6
	s_waitcnt lgkmcnt(0)
	s_barrier
	buffer_gl0_inv
	ds_load_2addr_b64 v[20:23], v14 offset1:16
	ds_load_b128 v[24:27], v15
	ds_load_b128 v[28:31], v15 offset:16
	ds_load_2addr_b64 v[32:35], v14 offset0:32 offset1:48
	ds_load_2addr_b64 v[36:39], v14 offset0:64 offset1:80
	ds_load_b128 v[40:43], v15 offset:32
	ds_load_b128 v[44:47], v15 offset:48
	ds_load_2addr_b64 v[48:51], v14 offset0:96 offset1:112
	ds_load_2addr_b64 v[52:55], v14 offset0:128 offset1:144
	;; [unrolled: 1-line block ×3, first 2 shown]
	ds_load_b128 v[60:63], v15 offset:64
	ds_load_b128 v[64:67], v15 offset:80
	s_add_u32 s4, s4, 16
	s_addc_u32 s5, s5, 0
	v_add_co_u32 v4, vcc_lo, 0x80, v4
	v_cmp_ge_i64_e64 s6, s[4:5], s[16:17]
	v_add_co_ci_u32_e32 v5, vcc_lo, 0, v5, vcc_lo
	v_add_co_u32 v6, vcc_lo, 0x80, v6
	s_waitcnt lgkmcnt(10)
	v_mul_f32_e32 v3, v25, v21
	v_dual_mul_f32 v8, v24, v21 :: v_dual_mul_f32 v9, v27, v23
	v_mul_f32_e32 v21, v26, v23
	s_waitcnt lgkmcnt(8)
	v_mul_f32_e32 v23, v29, v33
	v_dual_mul_f32 v33, v28, v33 :: v_dual_mul_f32 v68, v31, v35
	v_fma_f32 v3, v24, v20, -v3
	v_fmac_f32_e32 v8, v25, v20
	s_waitcnt lgkmcnt(6)
	v_dual_mul_f32 v20, v42, v39 :: v_dual_mul_f32 v69, v41, v37
	v_mul_f32_e32 v37, v40, v37
	v_mul_f32_e32 v35, v30, v35
	v_add_f32_e32 v8, v18, v8
	s_waitcnt lgkmcnt(4)
	v_mul_f32_e32 v18, v45, v49
	v_dual_fmac_f32 v20, v43, v38 :: v_dual_fmac_f32 v37, v41, v36
	v_fmac_f32_e32 v33, v29, v32
	v_fmac_f32_e32 v21, v27, v22
	v_add_f32_e32 v3, v19, v3
	v_fma_f32 v9, v26, v22, -v9
	v_fmac_f32_e32 v35, v31, v34
	v_mul_f32_e32 v24, v43, v39
	v_add_f32_e32 v8, v8, v21
	v_fma_f32 v19, v28, v32, -v23
	s_waitcnt lgkmcnt(1)
	v_mul_f32_e32 v26, v60, v53
	v_fma_f32 v21, v30, v34, -v68
	v_fma_f32 v22, v40, v36, -v69
	v_add_f32_e32 v8, v8, v33
	v_add_f32_e32 v3, v3, v9
	v_dual_mul_f32 v9, v44, v49 :: v_dual_fmac_f32 v26, v61, v52
	v_mul_f32_e32 v23, v46, v51
	s_delay_alu instid0(VALU_DEP_4) | instskip(NEXT) | instid1(VALU_DEP_4)
	v_add_f32_e32 v8, v8, v35
	v_add_f32_e32 v3, v3, v19
	v_mul_f32_e32 v19, v47, v51
	v_fmac_f32_e32 v9, v45, v48
	s_waitcnt lgkmcnt(0)
	v_dual_fmac_f32 v23, v47, v50 :: v_dual_mul_f32 v34, v64, v57
	v_add_f32_e32 v8, v8, v37
	v_fma_f32 v18, v44, v48, -v18
	v_mul_f32_e32 v27, v63, v55
	v_mul_f32_e32 v28, v62, v55
	v_fmac_f32_e32 v34, v65, v56
	v_add_f32_e32 v8, v8, v20
	v_add_co_ci_u32_e32 v7, vcc_lo, 0, v7, vcc_lo
	s_delay_alu instid0(VALU_DEP_4) | instskip(SKIP_1) | instid1(VALU_DEP_3)
	v_fmac_f32_e32 v28, v63, v54
	s_and_b32 vcc_lo, exec_lo, s6
	v_add_f32_e32 v8, v8, v9
	v_add_f32_e32 v3, v3, v21
	v_fma_f32 v21, v42, v38, -v24
	v_fma_f32 v24, v46, v50, -v19
	v_mul_f32_e32 v36, v66, v59
	s_delay_alu instid0(VALU_DEP_4) | instskip(SKIP_1) | instid1(VALU_DEP_2)
	v_dual_add_f32 v8, v8, v23 :: v_dual_add_f32 v3, v3, v22
	v_mul_f32_e32 v22, v61, v53
	v_dual_add_f32 v8, v8, v26 :: v_dual_add_f32 v3, v3, v21
	s_delay_alu instid0(VALU_DEP_2) | instskip(SKIP_1) | instid1(VALU_DEP_3)
	v_fma_f32 v9, v60, v52, -v22
	v_mul_f32_e32 v26, v65, v57
	v_dual_add_f32 v8, v8, v28 :: v_dual_add_f32 v3, v3, v18
	ds_load_2addr_b64 v[18:21], v14 offset0:192 offset1:208
	v_dual_add_f32 v8, v8, v34 :: v_dual_add_f32 v3, v3, v24
	ds_load_b128 v[22:25], v15 offset:96
	v_fmac_f32_e32 v36, v67, v58
	v_mul_f32_e32 v35, v67, v59
	v_add_f32_e32 v3, v3, v9
	v_fma_f32 v9, v62, v54, -v27
	s_waitcnt lgkmcnt(0)
	v_mul_f32_e32 v34, v23, v19
	v_mul_f32_e32 v19, v22, v19
	s_delay_alu instid0(VALU_DEP_3)
	v_dual_add_f32 v3, v3, v9 :: v_dual_add_f32 v8, v8, v36
	v_fma_f32 v9, v64, v56, -v26
	ds_load_2addr_b64 v[26:29], v14 offset0:224 offset1:240
	ds_load_b128 v[30:33], v15 offset:112
	v_fmac_f32_e32 v19, v23, v18
	s_waitcnt lgkmcnt(0)
	s_barrier
	v_add_f32_e32 v3, v3, v9
	v_fma_f32 v9, v66, v58, -v35
	v_add_f32_e32 v8, v8, v19
	buffer_gl0_inv
	v_mul_f32_e32 v19, v30, v27
	s_delay_alu instid0(VALU_DEP_1) | instskip(SKIP_4) | instid1(VALU_DEP_1)
	v_fmac_f32_e32 v19, v31, v26
	v_add_f32_e32 v3, v3, v9
	v_fma_f32 v9, v22, v18, -v34
	v_mul_f32_e32 v18, v25, v21
	v_mul_f32_e32 v21, v24, v21
	v_fmac_f32_e32 v21, v25, v20
	s_delay_alu instid0(VALU_DEP_1) | instskip(NEXT) | instid1(VALU_DEP_1)
	v_add_f32_e32 v8, v8, v21
	v_dual_add_f32 v8, v8, v19 :: v_dual_add_f32 v3, v3, v9
	v_fma_f32 v9, v24, v20, -v18
	v_mul_f32_e32 v18, v31, v27
	v_mul_f32_e32 v20, v32, v29
	s_delay_alu instid0(VALU_DEP_1) | instskip(NEXT) | instid1(VALU_DEP_3)
	v_dual_fmac_f32 v20, v33, v28 :: v_dual_add_f32 v3, v3, v9
	v_fma_f32 v9, v30, v26, -v18
	v_mul_f32_e32 v18, v33, v29
	s_delay_alu instid0(VALU_DEP_2) | instskip(NEXT) | instid1(VALU_DEP_2)
	v_add_f32_e32 v3, v3, v9
	v_fma_f32 v9, v32, v28, -v18
	s_delay_alu instid0(VALU_DEP_1)
	v_dual_add_f32 v18, v8, v20 :: v_dual_add_f32 v19, v3, v9
	s_cbranch_vccnz .LBB1138_9
.LBB1138_3:                             ; =>This Inner Loop Header: Depth=1
	v_add_co_u32 v8, s6, v13, s4
	s_delay_alu instid0(VALU_DEP_1) | instskip(NEXT) | instid1(VALU_DEP_1)
	v_add_co_ci_u32_e64 v9, null, 0, s5, s6
	v_cmp_gt_i64_e32 vcc_lo, s[16:17], v[8:9]
	v_dual_mov_b32 v8, 0 :: v_dual_mov_b32 v9, 0
	s_and_b32 s7, s2, vcc_lo
	s_delay_alu instid0(SALU_CYCLE_1)
	s_and_saveexec_b32 s6, s7
	s_cbranch_execz .LBB1138_5
; %bb.4:                                ;   in Loop: Header=BB1138_3 Depth=1
	global_load_b64 v[8:9], v[6:7], off offset:-4
.LBB1138_5:                             ;   in Loop: Header=BB1138_3 Depth=1
	s_or_b32 exec_lo, exec_lo, s6
	v_add_co_u32 v20, s6, v12, s4
	s_delay_alu instid0(VALU_DEP_1) | instskip(SKIP_4) | instid1(SALU_CYCLE_1)
	v_add_co_ci_u32_e64 v21, null, 0, s5, s6
	s_waitcnt vmcnt(0)
	ds_store_b64 v16, v[8:9]
	v_cmp_le_i64_e32 vcc_lo, s[16:17], v[20:21]
	s_or_b32 s6, s3, vcc_lo
	s_and_saveexec_b32 s7, s6
	s_delay_alu instid0(SALU_CYCLE_1)
	s_xor_b32 s6, exec_lo, s7
	s_cbranch_execz .LBB1138_7
; %bb.6:                                ;   in Loop: Header=BB1138_3 Depth=1
	v_mov_b32_e32 v3, v2
	ds_store_b64 v17, v[2:3]
.LBB1138_7:                             ;   in Loop: Header=BB1138_3 Depth=1
	s_and_not1_saveexec_b32 s6, s6
	s_cbranch_execz .LBB1138_2
; %bb.8:                                ;   in Loop: Header=BB1138_3 Depth=1
	global_load_b64 v[8:9], v[4:5], off
	s_waitcnt vmcnt(0)
	ds_store_b64 v17, v[8:9]
	s_branch .LBB1138_2
.LBB1138_9:
	s_load_b256 s[4:11], s[0:1], 0x48
	v_cmp_le_i32_e32 vcc_lo, v0, v10
	v_cmp_gt_i32_e64 s0, s12, v10
	s_delay_alu instid0(VALU_DEP_1) | instskip(NEXT) | instid1(SALU_CYCLE_1)
	s_and_b32 s0, vcc_lo, s0
	s_and_saveexec_b32 s1, s0
	s_cbranch_execz .LBB1138_11
; %bb.10:
	s_waitcnt lgkmcnt(0)
	v_mul_lo_u32 v4, v10, s9
	v_mul_lo_u32 v5, v11, s8
	v_mad_u64_u32 v[2:3], null, v10, s8, 0
	s_mul_i32 s1, s15, s11
	s_mul_hi_u32 s2, s15, s10
	s_mul_i32 s0, s15, s10
	s_add_i32 s1, s2, s1
	v_lshlrev_b64 v[0:1], 3, v[0:1]
	s_lshl_b64 s[0:1], s[0:1], 3
	s_delay_alu instid0(VALU_DEP_2) | instskip(SKIP_2) | instid1(VALU_DEP_1)
	v_add3_u32 v3, v3, v4, v5
	s_add_u32 s0, s6, s0
	s_addc_u32 s1, s7, s1
	v_lshlrev_b64 v[2:3], 3, v[2:3]
	s_delay_alu instid0(VALU_DEP_1) | instskip(NEXT) | instid1(VALU_DEP_2)
	v_add_co_u32 v2, vcc_lo, s0, v2
	v_add_co_ci_u32_e32 v3, vcc_lo, s1, v3, vcc_lo
	s_delay_alu instid0(VALU_DEP_2) | instskip(NEXT) | instid1(VALU_DEP_2)
	v_add_co_u32 v0, vcc_lo, v2, v0
	v_add_co_ci_u32_e32 v1, vcc_lo, v3, v1, vcc_lo
	global_load_b64 v[2:3], v[0:1], off
	v_mul_f32_e32 v4, s19, v18
	s_waitcnt vmcnt(0)
	v_dual_mul_f32 v5, s18, v18 :: v_dual_mul_f32 v6, s5, v3
	v_mul_f32_e32 v3, s4, v3
	s_delay_alu instid0(VALU_DEP_3) | instskip(NEXT) | instid1(VALU_DEP_3)
	v_fma_f32 v4, v19, s18, -v4
	v_fma_f32 v6, v2, s4, -v6
	s_delay_alu instid0(VALU_DEP_4) | instskip(NEXT) | instid1(VALU_DEP_4)
	v_fmac_f32_e32 v5, s19, v19
	v_fmac_f32_e32 v3, s5, v2
	s_delay_alu instid0(VALU_DEP_1)
	v_dual_add_f32 v2, v4, v6 :: v_dual_add_f32 v3, v5, v3
	global_store_b64 v[0:1], v[2:3], off
.LBB1138_11:
	s_nop 0
	s_sendmsg sendmsg(MSG_DEALLOC_VGPRS)
	s_endpgm
	.section	.rodata,"a",@progbits
	.p2align	6, 0x0
	.amdhsa_kernel _ZL32rocblas_syrkx_herkx_small_kernelIl19rocblas_complex_numIfELi16ELb0ELb0ELc67ELc85EKS1_S1_EviT_T0_PT6_S3_lS6_S3_lS4_PT7_S3_li
		.amdhsa_group_segment_fixed_size 4096
		.amdhsa_private_segment_fixed_size 0
		.amdhsa_kernarg_size 108
		.amdhsa_user_sgpr_count 13
		.amdhsa_user_sgpr_dispatch_ptr 0
		.amdhsa_user_sgpr_queue_ptr 0
		.amdhsa_user_sgpr_kernarg_segment_ptr 1
		.amdhsa_user_sgpr_dispatch_id 0
		.amdhsa_user_sgpr_private_segment_size 0
		.amdhsa_wavefront_size32 1
		.amdhsa_uses_dynamic_stack 0
		.amdhsa_enable_private_segment 0
		.amdhsa_system_sgpr_workgroup_id_x 1
		.amdhsa_system_sgpr_workgroup_id_y 1
		.amdhsa_system_sgpr_workgroup_id_z 1
		.amdhsa_system_sgpr_workgroup_info 0
		.amdhsa_system_vgpr_workitem_id 1
		.amdhsa_next_free_vgpr 70
		.amdhsa_next_free_sgpr 32
		.amdhsa_reserve_vcc 1
		.amdhsa_float_round_mode_32 0
		.amdhsa_float_round_mode_16_64 0
		.amdhsa_float_denorm_mode_32 3
		.amdhsa_float_denorm_mode_16_64 3
		.amdhsa_dx10_clamp 1
		.amdhsa_ieee_mode 1
		.amdhsa_fp16_overflow 0
		.amdhsa_workgroup_processor_mode 1
		.amdhsa_memory_ordered 1
		.amdhsa_forward_progress 0
		.amdhsa_shared_vgpr_count 0
		.amdhsa_exception_fp_ieee_invalid_op 0
		.amdhsa_exception_fp_denorm_src 0
		.amdhsa_exception_fp_ieee_div_zero 0
		.amdhsa_exception_fp_ieee_overflow 0
		.amdhsa_exception_fp_ieee_underflow 0
		.amdhsa_exception_fp_ieee_inexact 0
		.amdhsa_exception_int_div_zero 0
	.end_amdhsa_kernel
	.section	.text._ZL32rocblas_syrkx_herkx_small_kernelIl19rocblas_complex_numIfELi16ELb0ELb0ELc67ELc85EKS1_S1_EviT_T0_PT6_S3_lS6_S3_lS4_PT7_S3_li,"axG",@progbits,_ZL32rocblas_syrkx_herkx_small_kernelIl19rocblas_complex_numIfELi16ELb0ELb0ELc67ELc85EKS1_S1_EviT_T0_PT6_S3_lS6_S3_lS4_PT7_S3_li,comdat
.Lfunc_end1138:
	.size	_ZL32rocblas_syrkx_herkx_small_kernelIl19rocblas_complex_numIfELi16ELb0ELb0ELc67ELc85EKS1_S1_EviT_T0_PT6_S3_lS6_S3_lS4_PT7_S3_li, .Lfunc_end1138-_ZL32rocblas_syrkx_herkx_small_kernelIl19rocblas_complex_numIfELi16ELb0ELb0ELc67ELc85EKS1_S1_EviT_T0_PT6_S3_lS6_S3_lS4_PT7_S3_li
                                        ; -- End function
	.section	.AMDGPU.csdata,"",@progbits
; Kernel info:
; codeLenInByte = 1536
; NumSgprs: 34
; NumVgprs: 70
; ScratchSize: 0
; MemoryBound: 1
; FloatMode: 240
; IeeeMode: 1
; LDSByteSize: 4096 bytes/workgroup (compile time only)
; SGPRBlocks: 4
; VGPRBlocks: 8
; NumSGPRsForWavesPerEU: 34
; NumVGPRsForWavesPerEU: 70
; Occupancy: 16
; WaveLimiterHint : 0
; COMPUTE_PGM_RSRC2:SCRATCH_EN: 0
; COMPUTE_PGM_RSRC2:USER_SGPR: 13
; COMPUTE_PGM_RSRC2:TRAP_HANDLER: 0
; COMPUTE_PGM_RSRC2:TGID_X_EN: 1
; COMPUTE_PGM_RSRC2:TGID_Y_EN: 1
; COMPUTE_PGM_RSRC2:TGID_Z_EN: 1
; COMPUTE_PGM_RSRC2:TIDIG_COMP_CNT: 1
	.section	.text._ZL32rocblas_syrkx_herkx_small_kernelIl19rocblas_complex_numIfELi16ELb0ELb0ELc78ELc85EKS1_S1_EviT_T0_PT6_S3_lS6_S3_lS4_PT7_S3_li,"axG",@progbits,_ZL32rocblas_syrkx_herkx_small_kernelIl19rocblas_complex_numIfELi16ELb0ELb0ELc78ELc85EKS1_S1_EviT_T0_PT6_S3_lS6_S3_lS4_PT7_S3_li,comdat
	.globl	_ZL32rocblas_syrkx_herkx_small_kernelIl19rocblas_complex_numIfELi16ELb0ELb0ELc78ELc85EKS1_S1_EviT_T0_PT6_S3_lS6_S3_lS4_PT7_S3_li ; -- Begin function _ZL32rocblas_syrkx_herkx_small_kernelIl19rocblas_complex_numIfELi16ELb0ELb0ELc78ELc85EKS1_S1_EviT_T0_PT6_S3_lS6_S3_lS4_PT7_S3_li
	.p2align	8
	.type	_ZL32rocblas_syrkx_herkx_small_kernelIl19rocblas_complex_numIfELi16ELb0ELb0ELc78ELc85EKS1_S1_EviT_T0_PT6_S3_lS6_S3_lS4_PT7_S3_li,@function
_ZL32rocblas_syrkx_herkx_small_kernelIl19rocblas_complex_numIfELi16ELb0ELb0ELc78ELc85EKS1_S1_EviT_T0_PT6_S3_lS6_S3_lS4_PT7_S3_li: ; @_ZL32rocblas_syrkx_herkx_small_kernelIl19rocblas_complex_numIfELi16ELb0ELb0ELc78ELc85EKS1_S1_EviT_T0_PT6_S3_lS6_S3_lS4_PT7_S3_li
; %bb.0:
	s_clause 0x1
	s_load_b512 s[16:31], s[0:1], 0x8
	s_load_b32 s12, s[0:1], 0x0
	v_dual_mov_b32 v19, 0 :: v_dual_and_b32 v12, 0x3ff, v0
	v_bfe_u32 v13, v0, 10, 10
	v_mov_b32_e32 v18, 0
	s_delay_alu instid0(VALU_DEP_3) | instskip(NEXT) | instid1(VALU_DEP_3)
	v_lshl_add_u32 v0, s13, 4, v12
	v_lshl_add_u32 v2, s14, 4, v13
	s_delay_alu instid0(VALU_DEP_2) | instskip(NEXT) | instid1(VALU_DEP_2)
	v_ashrrev_i32_e32 v1, 31, v0
	v_ashrrev_i32_e32 v3, 31, v2
	s_waitcnt lgkmcnt(0)
	v_cmp_lt_i64_e64 s3, s[16:17], 1
	v_cmp_gt_i32_e64 s2, s12, v2
	s_delay_alu instid0(VALU_DEP_2)
	s_and_b32 vcc_lo, exec_lo, s3
	s_cbranch_vccnz .LBB1139_9
; %bb.1:
	v_mad_u64_u32 v[5:6], null, s28, v12, 0
	s_mul_i32 s3, s31, s15
	s_mul_hi_u32 s5, s30, s15
	s_mul_i32 s4, s30, s15
	s_add_i32 s5, s5, s3
	v_lshlrev_b64 v[10:11], 3, v[2:3]
	s_lshl_b64 s[4:5], s[4:5], 3
	s_delay_alu instid0(VALU_DEP_2)
	v_mad_u64_u32 v[7:8], null, s29, v12, v[6:7]
	v_mad_u64_u32 v[8:9], null, s22, v13, 0
	v_mov_b32_e32 v4, 0
	s_mul_i32 s7, s25, s15
	s_mul_hi_u32 s8, s24, s15
	s_mul_i32 s6, s24, s15
	s_delay_alu instid0(VALU_DEP_3) | instskip(SKIP_1) | instid1(VALU_DEP_3)
	v_mov_b32_e32 v6, v7
	s_add_i32 s7, s8, s7
	v_dual_mov_b32 v7, v9 :: v_dual_lshlrev_b32 v14, 3, v12
	v_cmp_gt_i32_e32 vcc_lo, s12, v0
	s_mov_b64 s[8:9], 0
	s_delay_alu instid0(VALU_DEP_2) | instskip(SKIP_1) | instid1(VALU_DEP_2)
	v_mad_u64_u32 v[18:19], null, s23, v13, v[7:8]
	v_dual_mov_b32 v19, 0 :: v_dual_lshlrev_b32 v16, 7, v13
	v_mov_b32_e32 v9, v18
	s_delay_alu instid0(VALU_DEP_2) | instskip(SKIP_2) | instid1(VALU_DEP_3)
	v_add_nc_u32_e32 v15, 0x800, v16
	v_lshlrev_b64 v[5:6], 3, v[5:6]
	v_add_nc_u32_e32 v16, v14, v16
	v_dual_mov_b32 v18, 0 :: v_dual_add_nc_u32 v17, v15, v14
	s_delay_alu instid0(VALU_DEP_3) | instskip(NEXT) | instid1(VALU_DEP_1)
	v_add_co_u32 v5, s3, s4, v5
	v_add_co_ci_u32_e64 v6, s3, s5, v6, s3
	s_lshl_b64 s[4:5], s[6:7], 3
	s_delay_alu instid0(VALU_DEP_2) | instskip(NEXT) | instid1(VALU_DEP_1)
	v_add_co_u32 v7, s3, v5, v10
	v_add_co_ci_u32_e64 v10, s3, v6, v11, s3
	v_lshlrev_b64 v[5:6], 3, v[8:9]
	s_delay_alu instid0(VALU_DEP_3) | instskip(NEXT) | instid1(VALU_DEP_1)
	v_add_co_u32 v7, s3, v7, s26
	v_add_co_ci_u32_e64 v10, s3, s27, v10, s3
	v_lshlrev_b64 v[8:9], 3, v[0:1]
	s_delay_alu instid0(VALU_DEP_4) | instskip(NEXT) | instid1(VALU_DEP_1)
	v_add_co_u32 v5, s3, s4, v5
	v_add_co_ci_u32_e64 v11, s3, s5, v6, s3
	v_add_co_u32 v6, s3, v7, 4
	s_delay_alu instid0(VALU_DEP_1) | instskip(NEXT) | instid1(VALU_DEP_4)
	v_add_co_ci_u32_e64 v7, s3, 0, v10, s3
	v_add_co_u32 v5, s3, v5, v8
	s_delay_alu instid0(VALU_DEP_1) | instskip(SKIP_1) | instid1(VALU_DEP_2)
	v_add_co_ci_u32_e64 v9, s3, v11, v9, s3
	s_lshl_b64 s[4:5], s[28:29], 7
	v_add_co_u32 v8, s3, s20, v5
	s_delay_alu instid0(VALU_DEP_1)
	v_add_co_ci_u32_e64 v9, s3, s21, v9, s3
	s_lshl_b64 s[6:7], s[22:23], 7
	s_xor_b32 s3, vcc_lo, -1
	s_branch .LBB1139_3
.LBB1139_2:                             ;   in Loop: Header=BB1139_3 Depth=1
	s_or_b32 exec_lo, exec_lo, s10
	s_waitcnt vmcnt(0)
	ds_store_b64 v17, v[10:11]
	s_waitcnt lgkmcnt(0)
	s_barrier
	buffer_gl0_inv
	ds_load_2addr_b64 v[20:23], v14 offset1:16
	ds_load_b128 v[24:27], v15
	ds_load_b128 v[28:31], v15 offset:16
	ds_load_2addr_b64 v[32:35], v14 offset0:32 offset1:48
	ds_load_2addr_b64 v[36:39], v14 offset0:64 offset1:80
	ds_load_b128 v[40:43], v15 offset:32
	ds_load_b128 v[44:47], v15 offset:48
	ds_load_2addr_b64 v[48:51], v14 offset0:96 offset1:112
	ds_load_2addr_b64 v[52:55], v14 offset0:128 offset1:144
	ds_load_2addr_b64 v[56:59], v14 offset0:160 offset1:176
	ds_load_b128 v[60:63], v15 offset:64
	ds_load_b128 v[64:67], v15 offset:80
	s_add_u32 s8, s8, 16
	s_addc_u32 s9, s9, 0
	v_add_co_u32 v6, vcc_lo, v6, s4
	v_cmp_ge_i64_e64 s10, s[8:9], s[16:17]
	v_add_co_ci_u32_e32 v7, vcc_lo, s5, v7, vcc_lo
	v_add_co_u32 v8, vcc_lo, v8, s6
	s_waitcnt lgkmcnt(10)
	v_mul_f32_e32 v5, v25, v21
	v_dual_mul_f32 v10, v24, v21 :: v_dual_mul_f32 v11, v27, v23
	s_waitcnt lgkmcnt(8)
	v_mul_f32_e32 v68, v31, v35
	v_mul_f32_e32 v21, v26, v23
	v_fma_f32 v5, v24, v20, -v5
	s_waitcnt lgkmcnt(6)
	v_dual_mul_f32 v24, v40, v37 :: v_dual_mul_f32 v35, v30, v35
	v_fmac_f32_e32 v10, v25, v20
	v_mul_f32_e32 v23, v29, v33
	v_fma_f32 v11, v26, v22, -v11
	s_delay_alu instid0(VALU_DEP_4) | instskip(NEXT) | instid1(VALU_DEP_4)
	v_dual_add_f32 v5, v19, v5 :: v_dual_fmac_f32 v24, v41, v36
	v_add_f32_e32 v10, v18, v10
	s_delay_alu instid0(VALU_DEP_4) | instskip(SKIP_1) | instid1(VALU_DEP_4)
	v_fma_f32 v18, v28, v32, -v23
	v_mul_f32_e32 v33, v28, v33
	v_add_f32_e32 v5, v5, v11
	v_fma_f32 v20, v30, v34, -v68
	s_waitcnt lgkmcnt(1)
	v_mul_f32_e32 v26, v63, v55
	v_fmac_f32_e32 v35, v31, v34
	v_mul_f32_e32 v19, v42, v39
	v_add_f32_e32 v5, v5, v18
	v_add_co_ci_u32_e32 v9, vcc_lo, s7, v9, vcc_lo
	s_and_b32 vcc_lo, exec_lo, s10
	s_delay_alu instid0(VALU_DEP_2) | instskip(SKIP_2) | instid1(VALU_DEP_3)
	v_dual_mul_f32 v18, v44, v49 :: v_dual_add_f32 v5, v5, v20
	v_dual_mul_f32 v20, v47, v51 :: v_dual_fmac_f32 v33, v29, v32
	v_fmac_f32_e32 v21, v27, v22
	v_dual_mul_f32 v27, v62, v55 :: v_dual_fmac_f32 v18, v45, v48
	s_waitcnt lgkmcnt(0)
	v_mul_f32_e32 v34, v64, v57
	s_delay_alu instid0(VALU_DEP_2) | instskip(NEXT) | instid1(VALU_DEP_2)
	v_dual_add_f32 v10, v10, v21 :: v_dual_fmac_f32 v27, v63, v54
	v_fmac_f32_e32 v34, v65, v56
	s_delay_alu instid0(VALU_DEP_2) | instskip(SKIP_2) | instid1(VALU_DEP_3)
	v_add_f32_e32 v10, v10, v33
	v_mul_f32_e32 v69, v41, v37
	v_mul_f32_e32 v37, v43, v39
	v_add_f32_e32 v10, v10, v35
	s_delay_alu instid0(VALU_DEP_3) | instskip(NEXT) | instid1(VALU_DEP_3)
	v_fma_f32 v21, v40, v36, -v69
	v_fma_f32 v22, v42, v38, -v37
	v_dual_mul_f32 v11, v45, v49 :: v_dual_mul_f32 v36, v66, v59
	s_delay_alu instid0(VALU_DEP_3) | instskip(SKIP_1) | instid1(VALU_DEP_3)
	v_dual_add_f32 v10, v10, v24 :: v_dual_add_f32 v5, v5, v21
	v_mul_f32_e32 v21, v46, v51
	v_fma_f32 v11, v44, v48, -v11
	s_delay_alu instid0(VALU_DEP_4) | instskip(NEXT) | instid1(VALU_DEP_4)
	v_fmac_f32_e32 v36, v67, v58
	v_add_f32_e32 v5, v5, v22
	s_delay_alu instid0(VALU_DEP_4) | instskip(SKIP_1) | instid1(VALU_DEP_3)
	v_dual_mul_f32 v22, v61, v53 :: v_dual_fmac_f32 v21, v47, v50
	v_fmac_f32_e32 v19, v43, v38
	v_add_f32_e32 v5, v5, v11
	s_delay_alu instid0(VALU_DEP_2) | instskip(SKIP_1) | instid1(VALU_DEP_2)
	v_dual_mul_f32 v11, v60, v53 :: v_dual_add_f32 v10, v10, v19
	v_fma_f32 v19, v46, v50, -v20
	v_dual_fmac_f32 v11, v61, v52 :: v_dual_add_f32 v10, v10, v18
	v_fma_f32 v18, v60, v52, -v22
	s_delay_alu instid0(VALU_DEP_2) | instskip(NEXT) | instid1(VALU_DEP_1)
	v_add_f32_e32 v10, v10, v21
	v_add_f32_e32 v10, v10, v11
	v_fma_f32 v11, v62, v54, -v26
	v_mul_f32_e32 v26, v65, v57
	s_delay_alu instid0(VALU_DEP_3) | instskip(NEXT) | instid1(VALU_DEP_1)
	v_add_f32_e32 v10, v10, v27
	v_dual_add_f32 v10, v10, v34 :: v_dual_add_f32 v5, v5, v19
	s_delay_alu instid0(VALU_DEP_1)
	v_dual_add_f32 v10, v10, v36 :: v_dual_add_f32 v5, v5, v18
	ds_load_2addr_b64 v[18:21], v14 offset0:192 offset1:208
	ds_load_b128 v[22:25], v15 offset:96
	s_waitcnt lgkmcnt(0)
	v_mul_f32_e32 v34, v23, v19
	v_mul_f32_e32 v19, v22, v19
	s_delay_alu instid0(VALU_DEP_1) | instskip(NEXT) | instid1(VALU_DEP_1)
	v_fmac_f32_e32 v19, v23, v18
	v_add_f32_e32 v10, v10, v19
	v_add_f32_e32 v5, v5, v11
	v_fma_f32 v11, v64, v56, -v26
	ds_load_2addr_b64 v[26:29], v14 offset0:224 offset1:240
	ds_load_b128 v[30:33], v15 offset:112
	v_mul_f32_e32 v35, v67, v59
	s_waitcnt lgkmcnt(0)
	s_barrier
	v_add_f32_e32 v5, v5, v11
	buffer_gl0_inv
	v_fma_f32 v11, v66, v58, -v35
	s_delay_alu instid0(VALU_DEP_1) | instskip(SKIP_3) | instid1(VALU_DEP_3)
	v_add_f32_e32 v5, v5, v11
	v_fma_f32 v11, v22, v18, -v34
	v_mul_f32_e32 v18, v25, v21
	v_mul_f32_e32 v21, v24, v21
	v_add_f32_e32 v5, v5, v11
	s_delay_alu instid0(VALU_DEP_3) | instskip(NEXT) | instid1(VALU_DEP_3)
	v_fma_f32 v11, v24, v20, -v18
	v_dual_mul_f32 v18, v31, v27 :: v_dual_fmac_f32 v21, v25, v20
	v_mul_f32_e32 v19, v30, v27
	s_delay_alu instid0(VALU_DEP_3) | instskip(NEXT) | instid1(VALU_DEP_3)
	v_dual_add_f32 v5, v5, v11 :: v_dual_mul_f32 v20, v32, v29
	v_fma_f32 v11, v30, v26, -v18
	s_delay_alu instid0(VALU_DEP_3) | instskip(SKIP_1) | instid1(VALU_DEP_4)
	v_dual_add_f32 v10, v10, v21 :: v_dual_fmac_f32 v19, v31, v26
	v_mul_f32_e32 v18, v33, v29
	v_fmac_f32_e32 v20, v33, v28
	s_delay_alu instid0(VALU_DEP_4) | instskip(NEXT) | instid1(VALU_DEP_4)
	v_add_f32_e32 v5, v5, v11
	v_add_f32_e32 v10, v10, v19
	s_delay_alu instid0(VALU_DEP_4) | instskip(NEXT) | instid1(VALU_DEP_1)
	v_fma_f32 v11, v32, v28, -v18
	v_dual_add_f32 v18, v10, v20 :: v_dual_add_f32 v19, v5, v11
	s_cbranch_vccnz .LBB1139_9
.LBB1139_3:                             ; =>This Inner Loop Header: Depth=1
	v_add_co_u32 v10, s10, v13, s8
	s_delay_alu instid0(VALU_DEP_1) | instskip(NEXT) | instid1(VALU_DEP_1)
	v_add_co_ci_u32_e64 v11, null, 0, s9, s10
	v_cmp_le_i64_e32 vcc_lo, s[16:17], v[10:11]
	s_or_b32 s10, s3, vcc_lo
	s_delay_alu instid0(SALU_CYCLE_1) | instskip(NEXT) | instid1(SALU_CYCLE_1)
	s_and_saveexec_b32 s11, s10
	s_xor_b32 s10, exec_lo, s11
	s_cbranch_execz .LBB1139_5
; %bb.4:                                ;   in Loop: Header=BB1139_3 Depth=1
	v_mov_b32_e32 v5, v4
	ds_store_b64 v16, v[4:5]
.LBB1139_5:                             ;   in Loop: Header=BB1139_3 Depth=1
	s_and_not1_saveexec_b32 s10, s10
	s_cbranch_execz .LBB1139_7
; %bb.6:                                ;   in Loop: Header=BB1139_3 Depth=1
	global_load_b64 v[10:11], v[8:9], off
	s_waitcnt vmcnt(0)
	ds_store_b64 v16, v[10:11]
.LBB1139_7:                             ;   in Loop: Header=BB1139_3 Depth=1
	s_or_b32 exec_lo, exec_lo, s10
	v_add_co_u32 v10, s10, v12, s8
	s_delay_alu instid0(VALU_DEP_1) | instskip(NEXT) | instid1(VALU_DEP_1)
	v_add_co_ci_u32_e64 v11, null, 0, s9, s10
	v_cmp_gt_i64_e32 vcc_lo, s[16:17], v[10:11]
	v_dual_mov_b32 v10, 0 :: v_dual_mov_b32 v11, 0
	s_and_b32 s11, s2, vcc_lo
	s_delay_alu instid0(SALU_CYCLE_1)
	s_and_saveexec_b32 s10, s11
	s_cbranch_execz .LBB1139_2
; %bb.8:                                ;   in Loop: Header=BB1139_3 Depth=1
	global_load_b64 v[10:11], v[6:7], off offset:-4
	s_branch .LBB1139_2
.LBB1139_9:
	s_load_b256 s[4:11], s[0:1], 0x48
	v_cmp_le_i32_e32 vcc_lo, v0, v2
	v_cmp_gt_i32_e64 s0, s12, v2
	s_delay_alu instid0(VALU_DEP_1) | instskip(NEXT) | instid1(SALU_CYCLE_1)
	s_and_b32 s0, vcc_lo, s0
	s_and_saveexec_b32 s1, s0
	s_cbranch_execz .LBB1139_11
; %bb.10:
	s_waitcnt lgkmcnt(0)
	v_mul_lo_u32 v5, v2, s9
	v_mul_lo_u32 v6, v3, s8
	v_mad_u64_u32 v[3:4], null, v2, s8, 0
	s_mul_i32 s1, s15, s11
	s_mul_hi_u32 s2, s15, s10
	s_mul_i32 s0, s15, s10
	s_add_i32 s1, s2, s1
	v_lshlrev_b64 v[0:1], 3, v[0:1]
	s_lshl_b64 s[0:1], s[0:1], 3
	s_delay_alu instid0(VALU_DEP_2) | instskip(SKIP_2) | instid1(VALU_DEP_1)
	v_add3_u32 v4, v4, v5, v6
	s_add_u32 s0, s6, s0
	s_addc_u32 s1, s7, s1
	v_lshlrev_b64 v[2:3], 3, v[3:4]
	s_delay_alu instid0(VALU_DEP_1) | instskip(NEXT) | instid1(VALU_DEP_2)
	v_add_co_u32 v2, vcc_lo, s0, v2
	v_add_co_ci_u32_e32 v3, vcc_lo, s1, v3, vcc_lo
	s_delay_alu instid0(VALU_DEP_2) | instskip(NEXT) | instid1(VALU_DEP_2)
	v_add_co_u32 v0, vcc_lo, v2, v0
	v_add_co_ci_u32_e32 v1, vcc_lo, v3, v1, vcc_lo
	global_load_b64 v[2:3], v[0:1], off
	v_mul_f32_e32 v4, s19, v18
	s_waitcnt vmcnt(0)
	v_dual_mul_f32 v5, s18, v18 :: v_dual_mul_f32 v6, s5, v3
	v_mul_f32_e32 v3, s4, v3
	s_delay_alu instid0(VALU_DEP_3) | instskip(NEXT) | instid1(VALU_DEP_3)
	v_fma_f32 v4, v19, s18, -v4
	v_fma_f32 v6, v2, s4, -v6
	s_delay_alu instid0(VALU_DEP_4) | instskip(NEXT) | instid1(VALU_DEP_4)
	v_fmac_f32_e32 v5, s19, v19
	v_fmac_f32_e32 v3, s5, v2
	s_delay_alu instid0(VALU_DEP_1)
	v_dual_add_f32 v2, v4, v6 :: v_dual_add_f32 v3, v5, v3
	global_store_b64 v[0:1], v[2:3], off
.LBB1139_11:
	s_nop 0
	s_sendmsg sendmsg(MSG_DEALLOC_VGPRS)
	s_endpgm
	.section	.rodata,"a",@progbits
	.p2align	6, 0x0
	.amdhsa_kernel _ZL32rocblas_syrkx_herkx_small_kernelIl19rocblas_complex_numIfELi16ELb0ELb0ELc78ELc85EKS1_S1_EviT_T0_PT6_S3_lS6_S3_lS4_PT7_S3_li
		.amdhsa_group_segment_fixed_size 4096
		.amdhsa_private_segment_fixed_size 0
		.amdhsa_kernarg_size 108
		.amdhsa_user_sgpr_count 13
		.amdhsa_user_sgpr_dispatch_ptr 0
		.amdhsa_user_sgpr_queue_ptr 0
		.amdhsa_user_sgpr_kernarg_segment_ptr 1
		.amdhsa_user_sgpr_dispatch_id 0
		.amdhsa_user_sgpr_private_segment_size 0
		.amdhsa_wavefront_size32 1
		.amdhsa_uses_dynamic_stack 0
		.amdhsa_enable_private_segment 0
		.amdhsa_system_sgpr_workgroup_id_x 1
		.amdhsa_system_sgpr_workgroup_id_y 1
		.amdhsa_system_sgpr_workgroup_id_z 1
		.amdhsa_system_sgpr_workgroup_info 0
		.amdhsa_system_vgpr_workitem_id 1
		.amdhsa_next_free_vgpr 70
		.amdhsa_next_free_sgpr 32
		.amdhsa_reserve_vcc 1
		.amdhsa_float_round_mode_32 0
		.amdhsa_float_round_mode_16_64 0
		.amdhsa_float_denorm_mode_32 3
		.amdhsa_float_denorm_mode_16_64 3
		.amdhsa_dx10_clamp 1
		.amdhsa_ieee_mode 1
		.amdhsa_fp16_overflow 0
		.amdhsa_workgroup_processor_mode 1
		.amdhsa_memory_ordered 1
		.amdhsa_forward_progress 0
		.amdhsa_shared_vgpr_count 0
		.amdhsa_exception_fp_ieee_invalid_op 0
		.amdhsa_exception_fp_denorm_src 0
		.amdhsa_exception_fp_ieee_div_zero 0
		.amdhsa_exception_fp_ieee_overflow 0
		.amdhsa_exception_fp_ieee_underflow 0
		.amdhsa_exception_fp_ieee_inexact 0
		.amdhsa_exception_int_div_zero 0
	.end_amdhsa_kernel
	.section	.text._ZL32rocblas_syrkx_herkx_small_kernelIl19rocblas_complex_numIfELi16ELb0ELb0ELc78ELc85EKS1_S1_EviT_T0_PT6_S3_lS6_S3_lS4_PT7_S3_li,"axG",@progbits,_ZL32rocblas_syrkx_herkx_small_kernelIl19rocblas_complex_numIfELi16ELb0ELb0ELc78ELc85EKS1_S1_EviT_T0_PT6_S3_lS6_S3_lS4_PT7_S3_li,comdat
.Lfunc_end1139:
	.size	_ZL32rocblas_syrkx_herkx_small_kernelIl19rocblas_complex_numIfELi16ELb0ELb0ELc78ELc85EKS1_S1_EviT_T0_PT6_S3_lS6_S3_lS4_PT7_S3_li, .Lfunc_end1139-_ZL32rocblas_syrkx_herkx_small_kernelIl19rocblas_complex_numIfELi16ELb0ELb0ELc78ELc85EKS1_S1_EviT_T0_PT6_S3_lS6_S3_lS4_PT7_S3_li
                                        ; -- End function
	.section	.AMDGPU.csdata,"",@progbits
; Kernel info:
; codeLenInByte = 1608
; NumSgprs: 34
; NumVgprs: 70
; ScratchSize: 0
; MemoryBound: 1
; FloatMode: 240
; IeeeMode: 1
; LDSByteSize: 4096 bytes/workgroup (compile time only)
; SGPRBlocks: 4
; VGPRBlocks: 8
; NumSGPRsForWavesPerEU: 34
; NumVGPRsForWavesPerEU: 70
; Occupancy: 16
; WaveLimiterHint : 0
; COMPUTE_PGM_RSRC2:SCRATCH_EN: 0
; COMPUTE_PGM_RSRC2:USER_SGPR: 13
; COMPUTE_PGM_RSRC2:TRAP_HANDLER: 0
; COMPUTE_PGM_RSRC2:TGID_X_EN: 1
; COMPUTE_PGM_RSRC2:TGID_Y_EN: 1
; COMPUTE_PGM_RSRC2:TGID_Z_EN: 1
; COMPUTE_PGM_RSRC2:TIDIG_COMP_CNT: 1
	.section	.text._ZL34rocblas_syrkx_herkx_general_kernelIl19rocblas_complex_numIfELi16ELi32ELi8ELb1ELb0ELc84ELc76EKS1_S1_EviT_T0_PT8_S3_lS6_S3_lS4_PT9_S3_li,"axG",@progbits,_ZL34rocblas_syrkx_herkx_general_kernelIl19rocblas_complex_numIfELi16ELi32ELi8ELb1ELb0ELc84ELc76EKS1_S1_EviT_T0_PT8_S3_lS6_S3_lS4_PT9_S3_li,comdat
	.globl	_ZL34rocblas_syrkx_herkx_general_kernelIl19rocblas_complex_numIfELi16ELi32ELi8ELb1ELb0ELc84ELc76EKS1_S1_EviT_T0_PT8_S3_lS6_S3_lS4_PT9_S3_li ; -- Begin function _ZL34rocblas_syrkx_herkx_general_kernelIl19rocblas_complex_numIfELi16ELi32ELi8ELb1ELb0ELc84ELc76EKS1_S1_EviT_T0_PT8_S3_lS6_S3_lS4_PT9_S3_li
	.p2align	8
	.type	_ZL34rocblas_syrkx_herkx_general_kernelIl19rocblas_complex_numIfELi16ELi32ELi8ELb1ELb0ELc84ELc76EKS1_S1_EviT_T0_PT8_S3_lS6_S3_lS4_PT9_S3_li,@function
_ZL34rocblas_syrkx_herkx_general_kernelIl19rocblas_complex_numIfELi16ELi32ELi8ELb1ELb0ELc84ELc76EKS1_S1_EviT_T0_PT8_S3_lS6_S3_lS4_PT9_S3_li: ; @_ZL34rocblas_syrkx_herkx_general_kernelIl19rocblas_complex_numIfELi16ELi32ELi8ELb1ELb0ELc84ELc76EKS1_S1_EviT_T0_PT8_S3_lS6_S3_lS4_PT9_S3_li
; %bb.0:
	s_clause 0x1
	s_load_b512 s[16:31], s[0:1], 0x8
	s_load_b32 s8, s[0:1], 0x0
	v_dual_mov_b32 v20, 0 :: v_dual_mov_b32 v21, 0
	v_dual_mov_b32 v18, 0 :: v_dual_mov_b32 v19, 0
	;; [unrolled: 1-line block ×4, first 2 shown]
	v_and_b32_e32 v6, 0x3ff, v0
	v_bfe_u32 v7, v0, 10, 10
	s_lshl_b32 s9, s13, 5
	s_lshl_b32 s10, s14, 5
	s_waitcnt lgkmcnt(0)
	v_cmp_lt_i64_e64 s2, s[16:17], 1
	s_delay_alu instid0(VALU_DEP_1)
	s_and_b32 vcc_lo, exec_lo, s2
	s_cbranch_vccnz .LBB1140_11
; %bb.1:
	v_lshl_add_u32 v1, v7, 4, v6
	v_mov_b32_e32 v0, 0
	v_and_b32_e32 v8, 7, v6
	s_mul_i32 s3, s25, s15
	s_mul_hi_u32 s4, s24, s15
	v_and_b32_e32 v3, 31, v1
	v_lshrrev_b32_e32 v5, 3, v1
	v_lshrrev_b32_e32 v11, 5, v1
	v_lshlrev_b32_e32 v15, 3, v8
	s_mul_i32 s2, s24, s15
	v_add_nc_u32_e32 v4, s9, v3
	v_add_nc_u32_e32 v13, s10, v5
	v_or_b32_e32 v16, s9, v3
	v_dual_mov_b32 v20, 0 :: v_dual_lshlrev_b32 v17, 3, v3
	s_delay_alu instid0(VALU_DEP_4) | instskip(SKIP_3) | instid1(VALU_DEP_4)
	v_ashrrev_i32_e32 v12, 31, v4
	v_mul_lo_u32 v14, s23, v4
	v_mad_u64_u32 v[1:2], null, s22, v4, 0
	v_cmp_gt_i32_e32 vcc_lo, s8, v16
	v_mul_lo_u32 v12, s22, v12
	v_mov_b32_e32 v16, 0
	v_ashrrev_i32_e32 v18, 31, v13
	v_mul_lo_u32 v19, s29, v13
	v_mad_u64_u32 v[3:4], null, s28, v13, 0
	s_add_i32 s3, s4, s3
	v_lshlrev_b32_e32 v9, 3, v6
	v_add3_u32 v2, v2, v12, v14
	v_mul_lo_u32 v14, s28, v18
	v_mov_b32_e32 v18, 0
	v_lshl_or_b32 v5, v5, 6, v15
	s_lshl_b64 s[4:5], s[2:3], 3
	v_lshlrev_b64 v[1:2], 3, v[1:2]
	v_cmp_gt_i32_e64 s2, s8, v13
	v_lshl_add_u32 v10, v7, 6, 0x800
	v_add_nc_u32_e32 v13, 0x800, v5
	v_add3_u32 v4, v4, v14, v19
	v_lshl_or_b32 v12, v11, 8, v17
	v_add_co_u32 v5, s3, v1, s4
	s_delay_alu instid0(VALU_DEP_1)
	v_add_co_ci_u32_e64 v14, s3, s5, v2, s3
	s_mul_i32 s3, s31, s15
	s_mul_hi_u32 s4, s30, s15
	v_lshlrev_b64 v[1:2], 3, v[3:4]
	s_add_i32 s5, s4, s3
	s_mul_i32 s4, s30, s15
	v_lshlrev_b32_e32 v3, 3, v11
	s_lshl_b64 s[4:5], s[4:5], 3
	v_mov_b32_e32 v17, 0
	v_add_co_u32 v1, s3, v1, s4
	s_delay_alu instid0(VALU_DEP_1) | instskip(SKIP_1) | instid1(VALU_DEP_1)
	v_add_co_ci_u32_e64 v2, s3, s5, v2, s3
	v_add_co_u32 v3, s3, v5, v3
	v_add_co_ci_u32_e64 v4, s3, 0, v14, s3
	v_mov_b32_e32 v14, 0
	v_add_co_u32 v1, s3, v1, v15
	s_delay_alu instid0(VALU_DEP_1) | instskip(SKIP_1) | instid1(VALU_DEP_1)
	v_add_co_ci_u32_e64 v5, s3, 0, v2, s3
	v_add_co_u32 v2, s3, s20, v3
	v_add_co_ci_u32_e64 v3, s3, s21, v4, s3
	s_delay_alu instid0(VALU_DEP_4) | instskip(NEXT) | instid1(VALU_DEP_1)
	v_add_co_u32 v4, s3, s26, v1
	v_add_co_ci_u32_e64 v5, s3, s27, v5, s3
	v_mov_b32_e32 v15, 0
	v_mov_b32_e32 v19, 0
	;; [unrolled: 1-line block ×3, first 2 shown]
	s_mov_b64 s[4:5], 0
	s_xor_b32 s3, vcc_lo, -1
	s_xor_b32 s2, s2, -1
	s_branch .LBB1140_3
.LBB1140_2:                             ;   in Loop: Header=BB1140_3 Depth=1
	s_or_b32 exec_lo, exec_lo, s6
	s_waitcnt lgkmcnt(0)
	s_barrier
	buffer_gl0_inv
	ds_load_2addr_b64 v[22:25], v9 offset1:16
	ds_load_b128 v[26:29], v10
	ds_load_b128 v[30:33], v10 offset:1024
	ds_load_b128 v[34:37], v10 offset:16
	;; [unrolled: 1-line block ×4, first 2 shown]
	ds_load_2addr_b64 v[46:49], v9 offset0:32 offset1:48
	ds_load_b128 v[50:53], v10 offset:1040
	s_add_u32 s4, s4, 8
	s_addc_u32 s5, s5, 0
	v_add_co_u32 v2, vcc_lo, v2, 64
	v_cmp_ge_i64_e64 s6, s[4:5], s[16:17]
	v_add_co_ci_u32_e32 v3, vcc_lo, 0, v3, vcc_lo
	v_add_co_u32 v4, vcc_lo, v4, 64
	v_add_co_ci_u32_e32 v5, vcc_lo, 0, v5, vcc_lo
	s_delay_alu instid0(VALU_DEP_4)
	s_and_b32 vcc_lo, exec_lo, s6
	s_waitcnt lgkmcnt(6)
	v_dual_mul_f32 v1, v27, v23 :: v_dual_mul_f32 v56, v26, v25
	v_dual_mul_f32 v54, v26, v23 :: v_dual_mul_f32 v55, v27, v25
	s_waitcnt lgkmcnt(5)
	v_mul_f32_e32 v58, v31, v25
	s_delay_alu instid0(VALU_DEP_3) | instskip(SKIP_3) | instid1(VALU_DEP_4)
	v_fma_f32 v1, v26, v22, -v1
	v_dual_mul_f32 v25, v30, v25 :: v_dual_fmac_f32 v56, v27, v24
	v_fmac_f32_e32 v54, v27, v22
	v_fma_f32 v26, v26, v24, -v55
	v_add_f32_e32 v1, v20, v1
	v_mul_f32_e32 v57, v31, v23
	s_delay_alu instid0(VALU_DEP_4) | instskip(SKIP_2) | instid1(VALU_DEP_4)
	v_dual_mul_f32 v23, v30, v23 :: v_dual_add_f32 v20, v21, v54
	v_fmac_f32_e32 v25, v31, v24
	v_dual_add_f32 v21, v18, v26 :: v_dual_add_f32 v26, v19, v56
	v_fma_f32 v27, v30, v22, -v57
	s_delay_alu instid0(VALU_DEP_4) | instskip(SKIP_3) | instid1(VALU_DEP_2)
	v_fmac_f32_e32 v23, v31, v22
	v_fma_f32 v22, v30, v24, -v58
	s_waitcnt lgkmcnt(1)
	v_mul_f32_e32 v30, v29, v47
	v_dual_add_f32 v27, v16, v27 :: v_dual_add_f32 v14, v14, v22
	v_dual_mul_f32 v22, v28, v47 :: v_dual_add_f32 v15, v15, v25
	v_mul_f32_e32 v25, v28, v49
	s_delay_alu instid0(VALU_DEP_4) | instskip(NEXT) | instid1(VALU_DEP_3)
	v_fma_f32 v24, v28, v46, -v30
	v_fmac_f32_e32 v22, v29, v46
	v_add_f32_e32 v23, v17, v23
	ds_load_2addr_b64 v[16:19], v9 offset0:64 offset1:80
	v_mul_f32_e32 v30, v29, v49
	v_fmac_f32_e32 v25, v29, v48
	v_add_f32_e32 v1, v1, v24
	s_delay_alu instid0(VALU_DEP_2) | instskip(SKIP_1) | instid1(VALU_DEP_1)
	v_add_f32_e32 v25, v26, v25
	v_mul_f32_e32 v26, v32, v49
	v_fmac_f32_e32 v26, v33, v48
	s_waitcnt lgkmcnt(0)
	s_delay_alu instid0(VALU_DEP_1) | instskip(SKIP_1) | instid1(VALU_DEP_2)
	v_dual_add_f32 v26, v15, v26 :: v_dual_mul_f32 v29, v34, v17
	v_mul_f32_e32 v15, v34, v19
	v_fmac_f32_e32 v29, v35, v16
	v_fma_f32 v24, v28, v48, -v30
	v_mul_f32_e32 v28, v33, v47
	v_add_f32_e32 v30, v20, v22
	v_mul_f32_e32 v20, v32, v47
	v_mul_f32_e32 v22, v33, v49
	v_add_f32_e32 v24, v21, v24
	v_fma_f32 v21, v32, v46, -v28
	s_delay_alu instid0(VALU_DEP_4) | instskip(SKIP_1) | instid1(VALU_DEP_3)
	v_dual_add_f32 v29, v30, v29 :: v_dual_fmac_f32 v20, v33, v46
	v_fmac_f32_e32 v15, v35, v18
	v_add_f32_e32 v27, v27, v21
	v_fma_f32 v21, v32, v48, -v22
	v_mul_f32_e32 v22, v35, v17
	v_mul_f32_e32 v32, v35, v19
	v_add_f32_e32 v28, v23, v20
	s_delay_alu instid0(VALU_DEP_4) | instskip(NEXT) | instid1(VALU_DEP_4)
	v_add_f32_e32 v14, v14, v21
	v_fma_f32 v31, v34, v16, -v22
	ds_load_2addr_b64 v[20:23], v9 offset0:96 offset1:112
	v_add_f32_e32 v1, v1, v31
	v_fma_f32 v31, v34, v18, -v32
	s_delay_alu instid0(VALU_DEP_1) | instskip(SKIP_3) | instid1(VALU_DEP_3)
	v_add_f32_e32 v24, v24, v31
	v_mul_f32_e32 v31, v51, v19
	v_mul_f32_e32 v19, v50, v19
	v_add_f32_e32 v32, v25, v15
	v_fma_f32 v15, v50, v18, -v31
	s_delay_alu instid0(VALU_DEP_3)
	v_fmac_f32_e32 v19, v51, v18
	v_mul_f32_e32 v30, v51, v17
	v_mul_f32_e32 v17, v50, v17
	s_waitcnt lgkmcnt(0)
	v_dual_mul_f32 v18, v37, v21 :: v_dual_add_f32 v31, v14, v15
	v_add_f32_e32 v33, v26, v19
	v_fma_f32 v30, v50, v16, -v30
	v_fmac_f32_e32 v17, v51, v16
	s_delay_alu instid0(VALU_DEP_4) | instskip(SKIP_1) | instid1(VALU_DEP_4)
	v_fma_f32 v18, v36, v20, -v18
	v_mul_f32_e32 v25, v36, v21
	v_dual_mul_f32 v19, v36, v23 :: v_dual_add_f32 v30, v27, v30
	s_delay_alu instid0(VALU_DEP_4) | instskip(SKIP_4) | instid1(VALU_DEP_2)
	v_add_f32_e32 v28, v28, v17
	ds_load_2addr_b64 v[14:17], v9 offset0:128 offset1:144
	v_add_f32_e32 v1, v1, v18
	v_mul_f32_e32 v18, v53, v21
	v_fmac_f32_e32 v19, v37, v22
	v_fma_f32 v18, v52, v20, -v18
	v_mul_f32_e32 v27, v37, v23
	s_delay_alu instid0(VALU_DEP_1) | instskip(NEXT) | instid1(VALU_DEP_3)
	v_fma_f32 v26, v36, v22, -v27
	v_add_f32_e32 v36, v30, v18
	s_waitcnt lgkmcnt(0)
	s_delay_alu instid0(VALU_DEP_2) | instskip(SKIP_2) | instid1(VALU_DEP_3)
	v_dual_add_f32 v35, v24, v26 :: v_dual_mul_f32 v46, v38, v15
	v_dual_fmac_f32 v25, v37, v20 :: v_dual_add_f32 v32, v32, v19
	v_mul_f32_e32 v18, v39, v15
	v_fmac_f32_e32 v46, v39, v14
	s_delay_alu instid0(VALU_DEP_3)
	v_add_f32_e32 v34, v29, v25
	v_mul_f32_e32 v29, v53, v23
	v_mul_f32_e32 v23, v52, v23
	ds_load_b128 v[24:27], v10 offset:1056
	v_add_f32_e32 v34, v34, v46
	v_fma_f32 v19, v52, v22, -v29
	v_mul_f32_e32 v21, v52, v21
	v_fmac_f32_e32 v23, v53, v22
	v_mul_f32_e32 v29, v39, v17
	s_delay_alu instid0(VALU_DEP_3) | instskip(NEXT) | instid1(VALU_DEP_3)
	v_dual_add_f32 v22, v31, v19 :: v_dual_fmac_f32 v21, v53, v20
	v_add_f32_e32 v23, v33, v23
	s_delay_alu instid0(VALU_DEP_2) | instskip(SKIP_4) | instid1(VALU_DEP_2)
	v_add_f32_e32 v37, v28, v21
	v_fma_f32 v28, v38, v14, -v18
	ds_load_2addr_b64 v[18:21], v9 offset0:160 offset1:176
	v_mul_f32_e32 v33, v38, v17
	v_fma_f32 v38, v38, v16, -v29
	v_fmac_f32_e32 v33, v39, v16
	s_delay_alu instid0(VALU_DEP_1)
	v_dual_add_f32 v35, v35, v38 :: v_dual_add_f32 v32, v32, v33
	v_add_f32_e32 v1, v1, v28
	ds_load_b128 v[28:31], v10 offset:1072
	s_waitcnt lgkmcnt(2)
	v_mul_f32_e32 v47, v25, v15
	v_mul_f32_e32 v15, v24, v15
	v_mul_f32_e32 v39, v25, v17
	v_mul_f32_e32 v33, v24, v17
	s_delay_alu instid0(VALU_DEP_4) | instskip(NEXT) | instid1(VALU_DEP_4)
	v_fma_f32 v38, v24, v14, -v47
	v_fmac_f32_e32 v15, v25, v14
	s_delay_alu instid0(VALU_DEP_4)
	v_fma_f32 v14, v24, v16, -v39
	s_waitcnt lgkmcnt(1)
	v_mul_f32_e32 v17, v41, v19
	v_dual_fmac_f32 v33, v25, v16 :: v_dual_add_f32 v36, v36, v38
	v_add_f32_e32 v24, v37, v15
	v_add_f32_e32 v22, v22, v14
	s_delay_alu instid0(VALU_DEP_4) | instskip(SKIP_2) | instid1(VALU_DEP_1)
	v_fma_f32 v37, v40, v18, -v17
	ds_load_2addr_b64 v[14:17], v9 offset0:192 offset1:208
	v_dual_mul_f32 v25, v40, v19 :: v_dual_mul_f32 v38, v41, v21
	v_fmac_f32_e32 v25, v41, v18
	s_delay_alu instid0(VALU_DEP_1) | instskip(SKIP_4) | instid1(VALU_DEP_3)
	v_add_f32_e32 v34, v34, v25
	v_add_f32_e32 v33, v23, v33
	v_mul_f32_e32 v23, v40, v21
	v_mul_f32_e32 v25, v27, v19
	;; [unrolled: 1-line block ×3, first 2 shown]
	v_fmac_f32_e32 v23, v41, v20
	s_delay_alu instid0(VALU_DEP_3) | instskip(NEXT) | instid1(VALU_DEP_2)
	v_fma_f32 v25, v26, v18, -v25
	v_dual_fmac_f32 v19, v27, v18 :: v_dual_add_f32 v18, v32, v23
	s_waitcnt lgkmcnt(0)
	v_dual_mul_f32 v32, v43, v15 :: v_dual_add_f32 v1, v1, v37
	v_fma_f32 v37, v40, v20, -v38
	s_delay_alu instid0(VALU_DEP_3) | instskip(NEXT) | instid1(VALU_DEP_3)
	v_add_f32_e32 v19, v24, v19
	v_fma_f32 v32, v42, v14, -v32
	s_delay_alu instid0(VALU_DEP_1) | instskip(NEXT) | instid1(VALU_DEP_4)
	v_add_f32_e32 v1, v1, v32
	v_add_f32_e32 v35, v35, v37
	v_mul_f32_e32 v37, v27, v21
	v_dual_mul_f32 v21, v26, v21 :: v_dual_mul_f32 v32, v29, v15
	s_delay_alu instid0(VALU_DEP_2) | instskip(NEXT) | instid1(VALU_DEP_2)
	v_fma_f32 v23, v26, v20, -v37
	v_dual_add_f32 v26, v36, v25 :: v_dual_fmac_f32 v21, v27, v20
	v_mul_f32_e32 v27, v42, v15
	v_mul_f32_e32 v15, v28, v15
	s_delay_alu instid0(VALU_DEP_4)
	v_add_f32_e32 v20, v22, v23
	ds_load_2addr_b64 v[22:25], v9 offset0:224 offset1:240
	v_fma_f32 v32, v28, v14, -v32
	v_dual_fmac_f32 v27, v43, v14 :: v_dual_mul_f32 v36, v42, v17
	v_fmac_f32_e32 v15, v29, v14
	s_waitcnt lgkmcnt(0)
	s_delay_alu instid0(VALU_DEP_3) | instskip(NEXT) | instid1(VALU_DEP_3)
	v_add_f32_e32 v14, v26, v32
	v_dual_add_f32 v27, v34, v27 :: v_dual_fmac_f32 v36, v43, v16
	s_delay_alu instid0(VALU_DEP_3)
	v_dual_mul_f32 v34, v29, v17 :: v_dual_add_f32 v15, v19, v15
	s_barrier
	buffer_gl0_inv
	v_mul_f32_e32 v26, v45, v23
	v_add_f32_e32 v21, v33, v21
	v_mul_f32_e32 v33, v43, v17
	v_mul_f32_e32 v17, v28, v17
	;; [unrolled: 1-line block ×3, first 2 shown]
	s_delay_alu instid0(VALU_DEP_3) | instskip(NEXT) | instid1(VALU_DEP_3)
	v_fma_f32 v33, v42, v16, -v33
	v_fmac_f32_e32 v17, v29, v16
	s_delay_alu instid0(VALU_DEP_3) | instskip(NEXT) | instid1(VALU_DEP_3)
	v_fmac_f32_e32 v19, v45, v24
	v_add_f32_e32 v33, v35, v33
	v_add_f32_e32 v35, v18, v36
	v_fma_f32 v18, v28, v16, -v34
	v_fma_f32 v16, v44, v22, -v26
	v_mul_f32_e32 v28, v44, v23
	v_dual_add_f32 v26, v21, v17 :: v_dual_mul_f32 v17, v30, v23
	s_delay_alu instid0(VALU_DEP_4) | instskip(NEXT) | instid1(VALU_DEP_4)
	v_dual_add_f32 v29, v20, v18 :: v_dual_mul_f32 v18, v45, v25
	v_add_f32_e32 v20, v1, v16
	v_mul_f32_e32 v16, v31, v23
	v_mul_f32_e32 v23, v31, v25
	;; [unrolled: 1-line block ×3, first 2 shown]
	v_fma_f32 v1, v44, v24, -v18
	v_fmac_f32_e32 v28, v45, v22
	v_fmac_f32_e32 v17, v31, v22
	v_add_f32_e32 v19, v35, v19
	s_delay_alu instid0(VALU_DEP_4)
	v_dual_fmac_f32 v25, v31, v24 :: v_dual_add_f32 v18, v33, v1
	v_fma_f32 v1, v30, v22, -v16
	v_fma_f32 v22, v30, v24, -v23
	v_add_f32_e32 v21, v27, v28
	v_add_f32_e32 v17, v15, v17
	;; [unrolled: 1-line block ×5, first 2 shown]
	s_cbranch_vccnz .LBB1140_11
.LBB1140_3:                             ; =>This Inner Loop Header: Depth=1
	v_add_co_u32 v22, s6, v11, s4
	s_delay_alu instid0(VALU_DEP_1) | instskip(NEXT) | instid1(VALU_DEP_1)
	v_add_co_ci_u32_e64 v23, null, 0, s5, s6
	v_cmp_le_i64_e32 vcc_lo, s[16:17], v[22:23]
	s_or_b32 s6, s3, vcc_lo
	s_delay_alu instid0(SALU_CYCLE_1) | instskip(NEXT) | instid1(SALU_CYCLE_1)
	s_and_saveexec_b32 s7, s6
	s_xor_b32 s6, exec_lo, s7
	s_cbranch_execz .LBB1140_5
; %bb.4:                                ;   in Loop: Header=BB1140_3 Depth=1
	v_mov_b32_e32 v1, v0
	ds_store_b64 v12, v[0:1]
.LBB1140_5:                             ;   in Loop: Header=BB1140_3 Depth=1
	s_and_not1_saveexec_b32 s6, s6
	s_cbranch_execz .LBB1140_7
; %bb.6:                                ;   in Loop: Header=BB1140_3 Depth=1
	global_load_b64 v[22:23], v[2:3], off
	s_waitcnt vmcnt(0)
	ds_store_b64 v12, v[22:23]
.LBB1140_7:                             ;   in Loop: Header=BB1140_3 Depth=1
	s_or_b32 exec_lo, exec_lo, s6
	v_add_co_u32 v22, s6, v8, s4
	s_delay_alu instid0(VALU_DEP_1) | instskip(NEXT) | instid1(VALU_DEP_1)
	v_add_co_ci_u32_e64 v23, null, 0, s5, s6
	v_cmp_le_i64_e32 vcc_lo, s[16:17], v[22:23]
	s_or_b32 s6, vcc_lo, s2
	s_delay_alu instid0(SALU_CYCLE_1) | instskip(NEXT) | instid1(SALU_CYCLE_1)
	s_and_saveexec_b32 s7, s6
	s_xor_b32 s6, exec_lo, s7
	s_cbranch_execz .LBB1140_9
; %bb.8:                                ;   in Loop: Header=BB1140_3 Depth=1
	v_mov_b32_e32 v1, v0
	ds_store_b64 v13, v[0:1]
.LBB1140_9:                             ;   in Loop: Header=BB1140_3 Depth=1
	s_and_not1_saveexec_b32 s6, s6
	s_cbranch_execz .LBB1140_2
; %bb.10:                               ;   in Loop: Header=BB1140_3 Depth=1
	global_load_b64 v[22:23], v[4:5], off
	s_waitcnt vmcnt(0)
	ds_store_b64 v13, v[22:23]
	s_branch .LBB1140_2
.LBB1140_11:
	s_clause 0x1
	s_load_b128 s[4:7], s[0:1], 0x50
	s_load_b64 s[2:3], s[0:1], 0x60
	v_add_nc_u32_e32 v4, s10, v7
	s_delay_alu instid0(VALU_DEP_1) | instskip(SKIP_1) | instid1(VALU_DEP_1)
	v_ashrrev_i32_e32 v0, 31, v4
	s_waitcnt lgkmcnt(0)
	v_mul_lo_u32 v3, v0, s6
	v_mul_lo_u32 v5, v4, s7
	v_mad_u64_u32 v[1:2], null, v4, s6, 0
	s_mul_i32 s1, s15, s3
	s_mul_hi_u32 s3, s15, s2
	s_mul_i32 s2, s15, s2
	s_add_i32 s3, s3, s1
	v_add_nc_u32_e32 v0, s9, v6
	s_lshl_b64 s[2:3], s[2:3], 3
	s_delay_alu instid0(VALU_DEP_2)
	v_add3_u32 v2, v2, v5, v3
	s_add_u32 s2, s4, s2
	s_addc_u32 s3, s5, s3
	v_cmp_le_i32_e64 s0, v4, v0
	v_cmp_gt_i32_e32 vcc_lo, s8, v0
	v_lshlrev_b64 v[1:2], 3, v[1:2]
	s_delay_alu instid0(VALU_DEP_3) | instskip(NEXT) | instid1(VALU_DEP_1)
	s_and_b32 s0, s0, vcc_lo
	v_add_co_u32 v5, s1, s2, v1
	s_delay_alu instid0(VALU_DEP_1)
	v_add_co_ci_u32_e64 v6, s1, s3, v2, s1
	s_and_saveexec_b32 s1, s0
	s_cbranch_execz .LBB1140_13
; %bb.12:
	v_ashrrev_i32_e32 v1, 31, v0
	v_mul_f32_e32 v2, s18, v21
	v_mul_f32_e32 v3, s19, v21
	s_delay_alu instid0(VALU_DEP_3) | instskip(NEXT) | instid1(VALU_DEP_3)
	v_lshlrev_b64 v[7:8], 3, v[0:1]
	v_fmac_f32_e32 v2, s19, v20
	s_delay_alu instid0(VALU_DEP_3) | instskip(NEXT) | instid1(VALU_DEP_3)
	v_fma_f32 v1, v20, s18, -v3
	v_add_co_u32 v7, s0, v5, v7
	s_delay_alu instid0(VALU_DEP_1)
	v_add_co_ci_u32_e64 v8, s0, v6, v8, s0
	global_store_b64 v[7:8], v[1:2], off
.LBB1140_13:
	s_or_b32 exec_lo, exec_lo, s1
	v_add_nc_u32_e32 v2, 16, v0
	s_delay_alu instid0(VALU_DEP_1) | instskip(SKIP_1) | instid1(VALU_DEP_1)
	v_cmp_le_i32_e64 s1, v4, v2
	v_cmp_gt_i32_e64 s0, s8, v2
	s_and_b32 s1, s1, s0
	s_delay_alu instid0(SALU_CYCLE_1)
	s_and_saveexec_b32 s4, s1
	s_cbranch_execz .LBB1140_15
; %bb.14:
	v_ashrrev_i32_e32 v3, 31, v2
	v_mul_f32_e32 v8, s18, v19
	v_mul_f32_e32 v1, s19, v19
	s_delay_alu instid0(VALU_DEP_3) | instskip(NEXT) | instid1(VALU_DEP_3)
	v_lshlrev_b64 v[9:10], 3, v[2:3]
	v_fmac_f32_e32 v8, s19, v18
	s_delay_alu instid0(VALU_DEP_3) | instskip(NEXT) | instid1(VALU_DEP_3)
	v_fma_f32 v7, v18, s18, -v1
	v_add_co_u32 v5, s1, v5, v9
	s_delay_alu instid0(VALU_DEP_1)
	v_add_co_ci_u32_e64 v6, s1, v6, v10, s1
	global_store_b64 v[5:6], v[7:8], off
.LBB1140_15:
	s_or_b32 exec_lo, exec_lo, s4
	v_add_nc_u32_e32 v3, 16, v4
	s_delay_alu instid0(VALU_DEP_1) | instskip(SKIP_3) | instid1(VALU_DEP_4)
	v_ashrrev_i32_e32 v1, 31, v3
	v_mul_lo_u32 v6, v3, s7
	v_mad_u64_u32 v[4:5], null, v3, s6, 0
	v_cmp_le_i32_e64 s1, v3, v0
	v_mul_lo_u32 v1, v1, s6
	s_delay_alu instid0(VALU_DEP_1) | instskip(NEXT) | instid1(VALU_DEP_1)
	v_add3_u32 v5, v5, v6, v1
	v_lshlrev_b64 v[4:5], 3, v[4:5]
	s_delay_alu instid0(VALU_DEP_1) | instskip(NEXT) | instid1(VALU_DEP_1)
	v_add_co_u32 v4, s2, s2, v4
	v_add_co_ci_u32_e64 v5, s2, s3, v5, s2
	s_and_b32 s2, s1, vcc_lo
	s_delay_alu instid0(SALU_CYCLE_1)
	s_and_saveexec_b32 s1, s2
	s_cbranch_execz .LBB1140_17
; %bb.16:
	v_ashrrev_i32_e32 v1, 31, v0
	v_mul_f32_e32 v7, s18, v17
	v_mul_f32_e32 v6, s19, v17
	s_delay_alu instid0(VALU_DEP_3) | instskip(NEXT) | instid1(VALU_DEP_3)
	v_lshlrev_b64 v[0:1], 3, v[0:1]
	v_fmac_f32_e32 v7, s19, v16
	s_delay_alu instid0(VALU_DEP_3) | instskip(NEXT) | instid1(VALU_DEP_3)
	v_fma_f32 v6, v16, s18, -v6
	v_add_co_u32 v0, vcc_lo, v4, v0
	s_delay_alu instid0(VALU_DEP_4)
	v_add_co_ci_u32_e32 v1, vcc_lo, v5, v1, vcc_lo
	global_store_b64 v[0:1], v[6:7], off
.LBB1140_17:
	s_or_b32 exec_lo, exec_lo, s1
	v_cmp_le_i32_e32 vcc_lo, v3, v2
	s_and_b32 s0, vcc_lo, s0
	s_delay_alu instid0(SALU_CYCLE_1)
	s_and_saveexec_b32 s1, s0
	s_cbranch_execz .LBB1140_19
; %bb.18:
	v_ashrrev_i32_e32 v3, 31, v2
	v_mul_f32_e32 v1, s18, v15
	v_mul_f32_e32 v0, s19, v15
	s_delay_alu instid0(VALU_DEP_3) | instskip(NEXT) | instid1(VALU_DEP_3)
	v_lshlrev_b64 v[2:3], 3, v[2:3]
	v_fmac_f32_e32 v1, s19, v14
	s_delay_alu instid0(VALU_DEP_3) | instskip(NEXT) | instid1(VALU_DEP_3)
	v_fma_f32 v0, v14, s18, -v0
	v_add_co_u32 v2, vcc_lo, v4, v2
	s_delay_alu instid0(VALU_DEP_4)
	v_add_co_ci_u32_e32 v3, vcc_lo, v5, v3, vcc_lo
	global_store_b64 v[2:3], v[0:1], off
.LBB1140_19:
	s_nop 0
	s_sendmsg sendmsg(MSG_DEALLOC_VGPRS)
	s_endpgm
	.section	.rodata,"a",@progbits
	.p2align	6, 0x0
	.amdhsa_kernel _ZL34rocblas_syrkx_herkx_general_kernelIl19rocblas_complex_numIfELi16ELi32ELi8ELb1ELb0ELc84ELc76EKS1_S1_EviT_T0_PT8_S3_lS6_S3_lS4_PT9_S3_li
		.amdhsa_group_segment_fixed_size 4096
		.amdhsa_private_segment_fixed_size 0
		.amdhsa_kernarg_size 108
		.amdhsa_user_sgpr_count 13
		.amdhsa_user_sgpr_dispatch_ptr 0
		.amdhsa_user_sgpr_queue_ptr 0
		.amdhsa_user_sgpr_kernarg_segment_ptr 1
		.amdhsa_user_sgpr_dispatch_id 0
		.amdhsa_user_sgpr_private_segment_size 0
		.amdhsa_wavefront_size32 1
		.amdhsa_uses_dynamic_stack 0
		.amdhsa_enable_private_segment 0
		.amdhsa_system_sgpr_workgroup_id_x 1
		.amdhsa_system_sgpr_workgroup_id_y 1
		.amdhsa_system_sgpr_workgroup_id_z 1
		.amdhsa_system_sgpr_workgroup_info 0
		.amdhsa_system_vgpr_workitem_id 1
		.amdhsa_next_free_vgpr 59
		.amdhsa_next_free_sgpr 32
		.amdhsa_reserve_vcc 1
		.amdhsa_float_round_mode_32 0
		.amdhsa_float_round_mode_16_64 0
		.amdhsa_float_denorm_mode_32 3
		.amdhsa_float_denorm_mode_16_64 3
		.amdhsa_dx10_clamp 1
		.amdhsa_ieee_mode 1
		.amdhsa_fp16_overflow 0
		.amdhsa_workgroup_processor_mode 1
		.amdhsa_memory_ordered 1
		.amdhsa_forward_progress 0
		.amdhsa_shared_vgpr_count 0
		.amdhsa_exception_fp_ieee_invalid_op 0
		.amdhsa_exception_fp_denorm_src 0
		.amdhsa_exception_fp_ieee_div_zero 0
		.amdhsa_exception_fp_ieee_overflow 0
		.amdhsa_exception_fp_ieee_underflow 0
		.amdhsa_exception_fp_ieee_inexact 0
		.amdhsa_exception_int_div_zero 0
	.end_amdhsa_kernel
	.section	.text._ZL34rocblas_syrkx_herkx_general_kernelIl19rocblas_complex_numIfELi16ELi32ELi8ELb1ELb0ELc84ELc76EKS1_S1_EviT_T0_PT8_S3_lS6_S3_lS4_PT9_S3_li,"axG",@progbits,_ZL34rocblas_syrkx_herkx_general_kernelIl19rocblas_complex_numIfELi16ELi32ELi8ELb1ELb0ELc84ELc76EKS1_S1_EviT_T0_PT8_S3_lS6_S3_lS4_PT9_S3_li,comdat
.Lfunc_end1140:
	.size	_ZL34rocblas_syrkx_herkx_general_kernelIl19rocblas_complex_numIfELi16ELi32ELi8ELb1ELb0ELc84ELc76EKS1_S1_EviT_T0_PT8_S3_lS6_S3_lS4_PT9_S3_li, .Lfunc_end1140-_ZL34rocblas_syrkx_herkx_general_kernelIl19rocblas_complex_numIfELi16ELi32ELi8ELb1ELb0ELc84ELc76EKS1_S1_EviT_T0_PT8_S3_lS6_S3_lS4_PT9_S3_li
                                        ; -- End function
	.section	.AMDGPU.csdata,"",@progbits
; Kernel info:
; codeLenInByte = 2560
; NumSgprs: 34
; NumVgprs: 59
; ScratchSize: 0
; MemoryBound: 1
; FloatMode: 240
; IeeeMode: 1
; LDSByteSize: 4096 bytes/workgroup (compile time only)
; SGPRBlocks: 4
; VGPRBlocks: 7
; NumSGPRsForWavesPerEU: 34
; NumVGPRsForWavesPerEU: 59
; Occupancy: 16
; WaveLimiterHint : 0
; COMPUTE_PGM_RSRC2:SCRATCH_EN: 0
; COMPUTE_PGM_RSRC2:USER_SGPR: 13
; COMPUTE_PGM_RSRC2:TRAP_HANDLER: 0
; COMPUTE_PGM_RSRC2:TGID_X_EN: 1
; COMPUTE_PGM_RSRC2:TGID_Y_EN: 1
; COMPUTE_PGM_RSRC2:TGID_Z_EN: 1
; COMPUTE_PGM_RSRC2:TIDIG_COMP_CNT: 1
	.section	.text._ZL34rocblas_syrkx_herkx_general_kernelIl19rocblas_complex_numIfELi16ELi32ELi8ELb1ELb0ELc67ELc76EKS1_S1_EviT_T0_PT8_S3_lS6_S3_lS4_PT9_S3_li,"axG",@progbits,_ZL34rocblas_syrkx_herkx_general_kernelIl19rocblas_complex_numIfELi16ELi32ELi8ELb1ELb0ELc67ELc76EKS1_S1_EviT_T0_PT8_S3_lS6_S3_lS4_PT9_S3_li,comdat
	.globl	_ZL34rocblas_syrkx_herkx_general_kernelIl19rocblas_complex_numIfELi16ELi32ELi8ELb1ELb0ELc67ELc76EKS1_S1_EviT_T0_PT8_S3_lS6_S3_lS4_PT9_S3_li ; -- Begin function _ZL34rocblas_syrkx_herkx_general_kernelIl19rocblas_complex_numIfELi16ELi32ELi8ELb1ELb0ELc67ELc76EKS1_S1_EviT_T0_PT8_S3_lS6_S3_lS4_PT9_S3_li
	.p2align	8
	.type	_ZL34rocblas_syrkx_herkx_general_kernelIl19rocblas_complex_numIfELi16ELi32ELi8ELb1ELb0ELc67ELc76EKS1_S1_EviT_T0_PT8_S3_lS6_S3_lS4_PT9_S3_li,@function
_ZL34rocblas_syrkx_herkx_general_kernelIl19rocblas_complex_numIfELi16ELi32ELi8ELb1ELb0ELc67ELc76EKS1_S1_EviT_T0_PT8_S3_lS6_S3_lS4_PT9_S3_li: ; @_ZL34rocblas_syrkx_herkx_general_kernelIl19rocblas_complex_numIfELi16ELi32ELi8ELb1ELb0ELc67ELc76EKS1_S1_EviT_T0_PT8_S3_lS6_S3_lS4_PT9_S3_li
; %bb.0:
	s_clause 0x1
	s_load_b512 s[16:31], s[0:1], 0x8
	s_load_b32 s8, s[0:1], 0x0
	v_dual_mov_b32 v22, 0 :: v_dual_mov_b32 v23, 0
	v_dual_mov_b32 v20, 0 :: v_dual_mov_b32 v21, 0
	;; [unrolled: 1-line block ×4, first 2 shown]
	v_and_b32_e32 v8, 0x3ff, v0
	v_bfe_u32 v9, v0, 10, 10
	s_lshl_b32 s9, s13, 5
	s_lshl_b32 s10, s14, 5
	s_waitcnt lgkmcnt(0)
	v_cmp_lt_i64_e64 s2, s[16:17], 1
	s_delay_alu instid0(VALU_DEP_1)
	s_and_b32 vcc_lo, exec_lo, s2
	s_cbranch_vccnz .LBB1141_9
; %bb.1:
	v_lshl_add_u32 v1, v9, 4, v8
	v_mov_b32_e32 v0, 0
	v_and_b32_e32 v10, 7, v8
	s_mul_i32 s3, s25, s15
	s_mul_hi_u32 s4, s24, s15
	v_and_b32_e32 v3, 31, v1
	v_lshrrev_b32_e32 v5, 3, v1
	v_lshrrev_b32_e32 v13, 5, v1
	s_mul_i32 s2, s24, s15
	s_add_i32 s3, s4, s3
	v_add_nc_u32_e32 v4, s9, v3
	v_add_nc_u32_e32 v7, s10, v5
	v_dual_mov_b32 v20, 0 :: v_dual_lshlrev_b32 v17, 3, v3
	v_or_b32_e32 v15, s9, v3
	s_delay_alu instid0(VALU_DEP_4) | instskip(SKIP_3) | instid1(VALU_DEP_4)
	v_ashrrev_i32_e32 v6, 31, v4
	v_mul_lo_u32 v14, s23, v4
	v_mad_u64_u32 v[1:2], null, s22, v4, 0
	v_ashrrev_i32_e32 v18, 31, v7
	v_mul_lo_u32 v6, s22, v6
	s_lshl_b64 s[4:5], s[2:3], 3
	v_cmp_gt_i32_e64 s2, s8, v15
	v_lshlrev_b32_e32 v11, 3, v8
	v_lshl_add_u32 v12, v9, 6, 0x800
	v_mov_b32_e32 v23, 0
	v_dual_mov_b32 v21, 0 :: v_dual_mov_b32 v22, 0
	v_add3_u32 v2, v2, v6, v14
	v_mul_lo_u32 v6, s28, v18
	v_lshl_or_b32 v14, v13, 8, v17
	v_dual_mov_b32 v17, 0 :: v_dual_lshlrev_b32 v16, 3, v10
	v_mov_b32_e32 v18, 0
	v_mul_lo_u32 v19, s29, v7
	v_mad_u64_u32 v[3:4], null, s28, v7, 0
	v_lshlrev_b64 v[1:2], 3, v[1:2]
	v_lshl_or_b32 v5, v5, 6, v16
	v_cmp_gt_i32_e32 vcc_lo, s8, v7
	v_lshlrev_b32_e32 v7, 3, v13
	v_add3_u32 v4, v4, v6, v19
	s_delay_alu instid0(VALU_DEP_4) | instskip(SKIP_1) | instid1(VALU_DEP_1)
	v_add_nc_u32_e32 v15, 0x800, v5
	v_add_co_u32 v5, s3, v1, s4
	v_add_co_ci_u32_e64 v6, s3, s5, v2, s3
	s_mul_i32 s3, s31, s15
	s_mul_hi_u32 s4, s30, s15
	v_lshlrev_b64 v[1:2], 3, v[3:4]
	s_add_i32 s5, s4, s3
	s_mul_i32 s4, s30, s15
	v_add_co_u32 v3, s3, v5, v7
	s_lshl_b64 s[4:5], s[4:5], 3
	v_add_co_ci_u32_e64 v4, s3, 0, v6, s3
	v_add_co_u32 v1, s3, v1, s4
	s_delay_alu instid0(VALU_DEP_1) | instskip(SKIP_1) | instid1(VALU_DEP_1)
	v_add_co_ci_u32_e64 v2, s3, s5, v2, s3
	v_add_co_u32 v3, s3, v3, s20
	v_add_co_ci_u32_e64 v4, s3, s21, v4, s3
	s_delay_alu instid0(VALU_DEP_4) | instskip(NEXT) | instid1(VALU_DEP_1)
	v_add_co_u32 v1, s3, v1, v16
	v_add_co_ci_u32_e64 v5, s3, 0, v2, s3
	s_delay_alu instid0(VALU_DEP_4) | instskip(NEXT) | instid1(VALU_DEP_1)
	;; [unrolled: 3-line block ×3, first 2 shown]
	v_add_co_u32 v4, s3, s26, v1
	v_add_co_ci_u32_e64 v5, s3, s27, v5, s3
	v_dual_mov_b32 v16, 0 :: v_dual_mov_b32 v19, 0
	s_mov_b64 s[4:5], 0
	s_xor_b32 s3, vcc_lo, -1
	s_branch .LBB1141_3
.LBB1141_2:                             ;   in Loop: Header=BB1141_3 Depth=1
	s_or_b32 exec_lo, exec_lo, s6
	s_waitcnt lgkmcnt(0)
	s_barrier
	buffer_gl0_inv
	ds_load_2addr_b64 v[24:27], v11 offset1:16
	ds_load_b128 v[28:31], v12
	ds_load_b128 v[32:35], v12 offset:1024
	ds_load_b128 v[36:39], v12 offset:16
	ds_load_b128 v[40:43], v12 offset:32
	ds_load_b128 v[44:47], v12 offset:48
	ds_load_2addr_b64 v[48:51], v11 offset0:32 offset1:48
	ds_load_b128 v[52:55], v12 offset:1040
	s_add_u32 s4, s4, 8
	s_addc_u32 s5, s5, 0
	v_add_co_u32 v2, vcc_lo, v2, 64
	v_cmp_ge_i64_e64 s6, s[4:5], s[16:17]
	v_add_co_ci_u32_e32 v3, vcc_lo, 0, v3, vcc_lo
	v_add_co_u32 v4, vcc_lo, v4, 64
	v_add_co_ci_u32_e32 v5, vcc_lo, 0, v5, vcc_lo
	s_delay_alu instid0(VALU_DEP_4)
	s_and_b32 vcc_lo, exec_lo, s6
	s_waitcnt lgkmcnt(6)
	v_dual_mul_f32 v1, v29, v25 :: v_dual_mul_f32 v56, v28, v27
	v_dual_mul_f32 v6, v28, v25 :: v_dual_mul_f32 v7, v29, v27
	s_waitcnt lgkmcnt(5)
	v_mul_f32_e32 v58, v33, v27
	s_delay_alu instid0(VALU_DEP_3) | instskip(SKIP_3) | instid1(VALU_DEP_4)
	v_fma_f32 v1, v28, v24, -v1
	v_dual_mul_f32 v27, v32, v27 :: v_dual_fmac_f32 v56, v29, v26
	v_fmac_f32_e32 v6, v29, v24
	v_fma_f32 v7, v28, v26, -v7
	v_add_f32_e32 v1, v22, v1
	v_mul_f32_e32 v57, v33, v25
	s_delay_alu instid0(VALU_DEP_4) | instskip(NEXT) | instid1(VALU_DEP_4)
	v_dual_mul_f32 v25, v32, v25 :: v_dual_add_f32 v6, v23, v6
	v_dual_add_f32 v7, v20, v7 :: v_dual_add_f32 v22, v21, v56
	s_delay_alu instid0(VALU_DEP_3) | instskip(NEXT) | instid1(VALU_DEP_3)
	v_fma_f32 v28, v32, v24, -v57
	v_fmac_f32_e32 v25, v33, v24
	v_fma_f32 v24, v32, v26, -v58
	v_fmac_f32_e32 v27, v33, v26
	s_waitcnt lgkmcnt(1)
	v_dual_add_f32 v23, v18, v28 :: v_dual_mul_f32 v28, v31, v49
	s_delay_alu instid0(VALU_DEP_3)
	v_dual_add_f32 v25, v19, v25 :: v_dual_add_f32 v16, v16, v24
	v_mul_f32_e32 v24, v30, v49
	ds_load_2addr_b64 v[18:21], v11 offset0:64 offset1:80
	v_fma_f32 v26, v30, v48, -v28
	v_mul_f32_e32 v28, v31, v51
	v_dual_add_f32 v17, v17, v27 :: v_dual_fmac_f32 v24, v31, v48
	v_mul_f32_e32 v27, v30, v51
	s_delay_alu instid0(VALU_DEP_4) | instskip(NEXT) | instid1(VALU_DEP_4)
	v_add_f32_e32 v1, v1, v26
	v_fma_f32 v26, v30, v50, -v28
	v_mul_f32_e32 v28, v35, v49
	s_delay_alu instid0(VALU_DEP_4) | instskip(SKIP_1) | instid1(VALU_DEP_1)
	v_dual_add_f32 v6, v6, v24 :: v_dual_fmac_f32 v27, v31, v50
	v_mul_f32_e32 v24, v34, v49
	v_dual_add_f32 v27, v22, v27 :: v_dual_fmac_f32 v24, v35, v48
	v_add_f32_e32 v7, v7, v26
	v_fma_f32 v26, v34, v48, -v28
	v_mul_f32_e32 v29, v34, v51
	s_waitcnt lgkmcnt(0)
	v_mul_f32_e32 v30, v36, v19
	v_mul_f32_e32 v32, v37, v21
	v_add_f32_e32 v26, v23, v26
	v_fmac_f32_e32 v29, v35, v50
	v_mul_f32_e32 v28, v35, v51
	v_fmac_f32_e32 v30, v37, v18
	s_delay_alu instid0(VALU_DEP_3) | instskip(SKIP_1) | instid1(VALU_DEP_4)
	v_add_f32_e32 v29, v17, v29
	v_mul_f32_e32 v17, v36, v21
	v_fma_f32 v22, v34, v50, -v28
	v_mul_f32_e32 v23, v37, v19
	v_add_f32_e32 v28, v25, v24
	v_add_f32_e32 v6, v6, v30
	v_mul_f32_e32 v30, v53, v19
	v_add_f32_e32 v16, v16, v22
	v_fma_f32 v31, v36, v18, -v23
	ds_load_2addr_b64 v[22:25], v11 offset0:96 offset1:112
	v_mul_f32_e32 v19, v52, v19
	v_add_f32_e32 v1, v1, v31
	v_fma_f32 v31, v36, v20, -v32
	s_delay_alu instid0(VALU_DEP_1) | instskip(SKIP_4) | instid1(VALU_DEP_2)
	v_add_f32_e32 v7, v7, v31
	v_mul_f32_e32 v31, v53, v21
	v_mul_f32_e32 v21, v52, v21
	v_fma_f32 v30, v52, v18, -v30
	v_fmac_f32_e32 v17, v37, v20
	v_dual_fmac_f32 v21, v53, v20 :: v_dual_add_f32 v30, v26, v30
	s_delay_alu instid0(VALU_DEP_2)
	v_dual_fmac_f32 v19, v53, v18 :: v_dual_add_f32 v32, v27, v17
	v_fma_f32 v17, v52, v20, -v31
	s_waitcnt lgkmcnt(0)
	v_mul_f32_e32 v26, v38, v23
	v_mul_f32_e32 v20, v39, v23
	v_dual_add_f32 v31, v28, v19 :: v_dual_add_f32 v34, v29, v21
	v_add_f32_e32 v33, v16, v17
	ds_load_2addr_b64 v[16:19], v11 offset0:128 offset1:144
	v_fmac_f32_e32 v26, v39, v22
	v_mul_f32_e32 v27, v39, v25
	v_mul_f32_e32 v21, v38, v25
	v_mul_f32_e32 v35, v55, v25
	v_mul_f32_e32 v25, v54, v25
	v_fma_f32 v20, v38, v22, -v20
	v_add_f32_e32 v6, v6, v26
	v_fma_f32 v27, v38, v24, -v27
	s_waitcnt lgkmcnt(0)
	v_dual_fmac_f32 v25, v55, v24 :: v_dual_mul_f32 v38, v40, v17
	s_delay_alu instid0(VALU_DEP_1) | instskip(NEXT) | instid1(VALU_DEP_2)
	v_dual_add_f32 v25, v34, v25 :: v_dual_mul_f32 v34, v40, v19
	v_fmac_f32_e32 v38, v41, v16
	v_fmac_f32_e32 v21, v39, v24
	v_dual_add_f32 v1, v1, v20 :: v_dual_mul_f32 v20, v55, v23
	s_delay_alu instid0(VALU_DEP_4) | instskip(NEXT) | instid1(VALU_DEP_4)
	v_fmac_f32_e32 v34, v41, v18
	v_add_f32_e32 v6, v6, v38
	s_delay_alu instid0(VALU_DEP_4)
	v_add_f32_e32 v36, v32, v21
	v_fma_f32 v21, v54, v24, -v35
	v_add_f32_e32 v7, v7, v27
	ds_load_b128 v[26:29], v12 offset:1056
	v_mul_f32_e32 v23, v54, v23
	v_fma_f32 v20, v54, v22, -v20
	v_add_f32_e32 v24, v33, v21
	v_add_f32_e32 v34, v36, v34
	s_delay_alu instid0(VALU_DEP_4) | instskip(NEXT) | instid1(VALU_DEP_4)
	v_fmac_f32_e32 v23, v55, v22
	v_dual_add_f32 v35, v30, v20 :: v_dual_mul_f32 v20, v41, v17
	s_delay_alu instid0(VALU_DEP_2) | instskip(SKIP_1) | instid1(VALU_DEP_3)
	v_add_f32_e32 v37, v31, v23
	v_mul_f32_e32 v31, v41, v19
	v_fma_f32 v30, v40, v16, -v20
	ds_load_2addr_b64 v[20:23], v11 offset0:160 offset1:176
	v_fma_f32 v39, v40, v18, -v31
	v_add_f32_e32 v1, v1, v30
	ds_load_b128 v[30:33], v12 offset:1072
	s_waitcnt lgkmcnt(2)
	v_mul_f32_e32 v36, v26, v19
	v_mul_f32_e32 v40, v27, v17
	s_delay_alu instid0(VALU_DEP_2) | instskip(NEXT) | instid1(VALU_DEP_2)
	v_dual_fmac_f32 v36, v27, v18 :: v_dual_mul_f32 v17, v26, v17
	v_fma_f32 v38, v26, v16, -v40
	s_delay_alu instid0(VALU_DEP_2)
	v_fmac_f32_e32 v17, v27, v16
	v_add_f32_e32 v7, v7, v39
	v_mul_f32_e32 v39, v27, v19
	s_waitcnt lgkmcnt(1)
	v_mul_f32_e32 v27, v42, v21
	v_mul_f32_e32 v19, v43, v21
	s_delay_alu instid0(VALU_DEP_3) | instskip(NEXT) | instid1(VALU_DEP_1)
	v_fma_f32 v16, v26, v18, -v39
	v_add_f32_e32 v24, v24, v16
	s_delay_alu instid0(VALU_DEP_4) | instskip(SKIP_1) | instid1(VALU_DEP_2)
	v_fmac_f32_e32 v27, v43, v20
	v_add_f32_e32 v36, v25, v36
	v_add_f32_e32 v6, v6, v27
	;; [unrolled: 1-line block ×3, first 2 shown]
	v_fma_f32 v37, v42, v20, -v19
	ds_load_2addr_b64 v[16:19], v11 offset0:192 offset1:208
	v_mul_f32_e32 v25, v42, v23
	v_add_f32_e32 v35, v35, v38
	v_dual_mul_f32 v38, v43, v23 :: v_dual_mul_f32 v27, v29, v21
	v_mul_f32_e32 v21, v28, v21
	s_delay_alu instid0(VALU_DEP_4) | instskip(NEXT) | instid1(VALU_DEP_3)
	v_fmac_f32_e32 v25, v43, v22
	v_fma_f32 v27, v28, v20, -v27
	s_delay_alu instid0(VALU_DEP_2) | instskip(NEXT) | instid1(VALU_DEP_1)
	v_dual_fmac_f32 v21, v29, v20 :: v_dual_add_f32 v20, v34, v25
	v_add_f32_e32 v21, v26, v21
	s_waitcnt lgkmcnt(0)
	v_mul_f32_e32 v34, v45, v17
	v_add_f32_e32 v1, v1, v37
	v_fma_f32 v37, v42, v22, -v38
	s_delay_alu instid0(VALU_DEP_3) | instskip(NEXT) | instid1(VALU_DEP_2)
	v_fma_f32 v34, v44, v16, -v34
	v_add_f32_e32 v7, v7, v37
	v_mul_f32_e32 v37, v29, v23
	v_mul_f32_e32 v23, v28, v23
	s_delay_alu instid0(VALU_DEP_2) | instskip(SKIP_3) | instid1(VALU_DEP_2)
	v_fma_f32 v25, v28, v22, -v37
	v_add_f32_e32 v28, v35, v27
	v_mul_f32_e32 v35, v45, v19
	v_dual_add_f32 v1, v1, v34 :: v_dual_mul_f32 v34, v31, v17
	v_fma_f32 v35, v44, v18, -v35
	s_delay_alu instid0(VALU_DEP_1)
	v_add_f32_e32 v7, v7, v35
	v_dual_fmac_f32 v23, v29, v22 :: v_dual_add_f32 v22, v24, v25
	ds_load_2addr_b64 v[24:27], v11 offset0:224 offset1:240
	s_waitcnt lgkmcnt(0)
	s_barrier
	v_add_f32_e32 v23, v36, v23
	v_mul_f32_e32 v29, v44, v17
	v_dual_mul_f32 v36, v44, v19 :: v_dual_mul_f32 v17, v30, v17
	buffer_gl0_inv
	v_fmac_f32_e32 v29, v45, v16
	v_dual_fmac_f32 v36, v45, v18 :: v_dual_fmac_f32 v17, v31, v16
	s_delay_alu instid0(VALU_DEP_2) | instskip(SKIP_1) | instid1(VALU_DEP_3)
	v_add_f32_e32 v6, v6, v29
	v_fma_f32 v29, v30, v16, -v34
	v_dual_mul_f32 v34, v31, v19 :: v_dual_add_f32 v35, v20, v36
	s_delay_alu instid0(VALU_DEP_2) | instskip(NEXT) | instid1(VALU_DEP_2)
	v_dual_mul_f32 v19, v30, v19 :: v_dual_add_f32 v16, v28, v29
	v_fma_f32 v20, v30, v18, -v34
	v_mul_f32_e32 v28, v47, v25
	v_mul_f32_e32 v29, v46, v25
	s_delay_alu instid0(VALU_DEP_3) | instskip(NEXT) | instid1(VALU_DEP_3)
	v_dual_fmac_f32 v19, v31, v18 :: v_dual_add_f32 v30, v22, v20
	v_fma_f32 v18, v46, v24, -v28
	s_delay_alu instid0(VALU_DEP_3)
	v_fmac_f32_e32 v29, v47, v24
	v_dual_mul_f32 v20, v47, v27 :: v_dual_add_f32 v17, v21, v17
	v_mul_f32_e32 v21, v46, v27
	v_add_f32_e32 v28, v23, v19
	v_add_f32_e32 v22, v1, v18
	v_dual_mul_f32 v18, v33, v27 :: v_dual_add_f32 v23, v6, v29
	v_fma_f32 v1, v46, v26, -v20
	v_mul_f32_e32 v6, v33, v25
	v_mul_f32_e32 v19, v32, v25
	;; [unrolled: 1-line block ×3, first 2 shown]
	v_fmac_f32_e32 v21, v47, v26
	v_add_f32_e32 v20, v7, v1
	v_fma_f32 v1, v32, v24, -v6
	v_fmac_f32_e32 v19, v33, v24
	v_fma_f32 v6, v32, v26, -v18
	v_fmac_f32_e32 v25, v33, v26
	v_add_f32_e32 v21, v35, v21
	s_delay_alu instid0(VALU_DEP_4) | instskip(NEXT) | instid1(VALU_DEP_3)
	v_dual_add_f32 v18, v16, v1 :: v_dual_add_f32 v19, v17, v19
	v_dual_add_f32 v16, v30, v6 :: v_dual_add_f32 v17, v28, v25
	s_cbranch_vccnz .LBB1141_9
.LBB1141_3:                             ; =>This Inner Loop Header: Depth=1
	v_add_co_u32 v6, s6, v13, s4
	s_delay_alu instid0(VALU_DEP_1) | instskip(NEXT) | instid1(VALU_DEP_1)
	v_add_co_ci_u32_e64 v7, null, 0, s5, s6
	v_cmp_gt_i64_e32 vcc_lo, s[16:17], v[6:7]
	v_dual_mov_b32 v6, 0 :: v_dual_mov_b32 v7, 0
	s_and_b32 s7, s2, vcc_lo
	s_delay_alu instid0(SALU_CYCLE_1)
	s_and_saveexec_b32 s6, s7
	s_cbranch_execz .LBB1141_5
; %bb.4:                                ;   in Loop: Header=BB1141_3 Depth=1
	global_load_b64 v[6:7], v[2:3], off offset:-4
.LBB1141_5:                             ;   in Loop: Header=BB1141_3 Depth=1
	s_or_b32 exec_lo, exec_lo, s6
	v_add_co_u32 v24, s6, v10, s4
	s_delay_alu instid0(VALU_DEP_1) | instskip(SKIP_4) | instid1(SALU_CYCLE_1)
	v_add_co_ci_u32_e64 v25, null, 0, s5, s6
	s_waitcnt vmcnt(0)
	ds_store_b64 v14, v[6:7]
	v_cmp_le_i64_e32 vcc_lo, s[16:17], v[24:25]
	s_or_b32 s6, vcc_lo, s3
	s_and_saveexec_b32 s7, s6
	s_delay_alu instid0(SALU_CYCLE_1)
	s_xor_b32 s6, exec_lo, s7
	s_cbranch_execz .LBB1141_7
; %bb.6:                                ;   in Loop: Header=BB1141_3 Depth=1
	v_mov_b32_e32 v1, v0
	ds_store_b64 v15, v[0:1]
.LBB1141_7:                             ;   in Loop: Header=BB1141_3 Depth=1
	s_and_not1_saveexec_b32 s6, s6
	s_cbranch_execz .LBB1141_2
; %bb.8:                                ;   in Loop: Header=BB1141_3 Depth=1
	global_load_b64 v[6:7], v[4:5], off
	s_waitcnt vmcnt(0)
	ds_store_b64 v15, v[6:7]
	s_branch .LBB1141_2
.LBB1141_9:
	s_clause 0x1
	s_load_b128 s[4:7], s[0:1], 0x50
	s_load_b64 s[2:3], s[0:1], 0x60
	v_add_nc_u32_e32 v4, s10, v9
	s_delay_alu instid0(VALU_DEP_1) | instskip(SKIP_1) | instid1(VALU_DEP_1)
	v_ashrrev_i32_e32 v0, 31, v4
	s_waitcnt lgkmcnt(0)
	v_mul_lo_u32 v3, v0, s6
	v_mul_lo_u32 v5, v4, s7
	v_mad_u64_u32 v[1:2], null, v4, s6, 0
	s_mul_i32 s1, s15, s3
	s_mul_hi_u32 s3, s15, s2
	s_mul_i32 s2, s15, s2
	s_add_i32 s3, s3, s1
	v_add_nc_u32_e32 v0, s9, v8
	s_lshl_b64 s[2:3], s[2:3], 3
	s_delay_alu instid0(VALU_DEP_2)
	v_add3_u32 v2, v2, v5, v3
	s_add_u32 s2, s4, s2
	s_addc_u32 s3, s5, s3
	v_cmp_le_i32_e64 s0, v4, v0
	v_cmp_gt_i32_e32 vcc_lo, s8, v0
	v_lshlrev_b64 v[1:2], 3, v[1:2]
	s_delay_alu instid0(VALU_DEP_3) | instskip(NEXT) | instid1(VALU_DEP_1)
	s_and_b32 s0, s0, vcc_lo
	v_add_co_u32 v5, s1, s2, v1
	s_delay_alu instid0(VALU_DEP_1)
	v_add_co_ci_u32_e64 v6, s1, s3, v2, s1
	s_and_saveexec_b32 s1, s0
	s_cbranch_execz .LBB1141_11
; %bb.10:
	v_ashrrev_i32_e32 v1, 31, v0
	v_mul_f32_e32 v2, s18, v23
	v_mul_f32_e32 v3, s19, v23
	s_delay_alu instid0(VALU_DEP_3) | instskip(NEXT) | instid1(VALU_DEP_3)
	v_lshlrev_b64 v[7:8], 3, v[0:1]
	v_fmac_f32_e32 v2, s19, v22
	s_delay_alu instid0(VALU_DEP_3) | instskip(NEXT) | instid1(VALU_DEP_3)
	v_fma_f32 v1, v22, s18, -v3
	v_add_co_u32 v7, s0, v5, v7
	s_delay_alu instid0(VALU_DEP_1)
	v_add_co_ci_u32_e64 v8, s0, v6, v8, s0
	global_store_b64 v[7:8], v[1:2], off
.LBB1141_11:
	s_or_b32 exec_lo, exec_lo, s1
	v_add_nc_u32_e32 v2, 16, v0
	s_delay_alu instid0(VALU_DEP_1) | instskip(SKIP_1) | instid1(VALU_DEP_1)
	v_cmp_le_i32_e64 s1, v4, v2
	v_cmp_gt_i32_e64 s0, s8, v2
	s_and_b32 s1, s1, s0
	s_delay_alu instid0(SALU_CYCLE_1)
	s_and_saveexec_b32 s4, s1
	s_cbranch_execz .LBB1141_13
; %bb.12:
	v_ashrrev_i32_e32 v3, 31, v2
	v_mul_f32_e32 v8, s18, v21
	v_mul_f32_e32 v1, s19, v21
	s_delay_alu instid0(VALU_DEP_3) | instskip(NEXT) | instid1(VALU_DEP_3)
	v_lshlrev_b64 v[9:10], 3, v[2:3]
	v_fmac_f32_e32 v8, s19, v20
	s_delay_alu instid0(VALU_DEP_3) | instskip(NEXT) | instid1(VALU_DEP_3)
	v_fma_f32 v7, v20, s18, -v1
	v_add_co_u32 v5, s1, v5, v9
	s_delay_alu instid0(VALU_DEP_1)
	v_add_co_ci_u32_e64 v6, s1, v6, v10, s1
	global_store_b64 v[5:6], v[7:8], off
.LBB1141_13:
	s_or_b32 exec_lo, exec_lo, s4
	v_add_nc_u32_e32 v3, 16, v4
	s_delay_alu instid0(VALU_DEP_1) | instskip(SKIP_3) | instid1(VALU_DEP_4)
	v_ashrrev_i32_e32 v1, 31, v3
	v_mul_lo_u32 v6, v3, s7
	v_mad_u64_u32 v[4:5], null, v3, s6, 0
	v_cmp_le_i32_e64 s1, v3, v0
	v_mul_lo_u32 v1, v1, s6
	s_delay_alu instid0(VALU_DEP_1) | instskip(NEXT) | instid1(VALU_DEP_1)
	v_add3_u32 v5, v5, v6, v1
	v_lshlrev_b64 v[4:5], 3, v[4:5]
	s_delay_alu instid0(VALU_DEP_1) | instskip(NEXT) | instid1(VALU_DEP_1)
	v_add_co_u32 v4, s2, s2, v4
	v_add_co_ci_u32_e64 v5, s2, s3, v5, s2
	s_and_b32 s2, s1, vcc_lo
	s_delay_alu instid0(SALU_CYCLE_1)
	s_and_saveexec_b32 s1, s2
	s_cbranch_execz .LBB1141_15
; %bb.14:
	v_ashrrev_i32_e32 v1, 31, v0
	v_mul_f32_e32 v7, s18, v19
	v_mul_f32_e32 v6, s19, v19
	s_delay_alu instid0(VALU_DEP_3) | instskip(NEXT) | instid1(VALU_DEP_3)
	v_lshlrev_b64 v[0:1], 3, v[0:1]
	v_fmac_f32_e32 v7, s19, v18
	s_delay_alu instid0(VALU_DEP_3) | instskip(NEXT) | instid1(VALU_DEP_3)
	v_fma_f32 v6, v18, s18, -v6
	v_add_co_u32 v0, vcc_lo, v4, v0
	s_delay_alu instid0(VALU_DEP_4)
	v_add_co_ci_u32_e32 v1, vcc_lo, v5, v1, vcc_lo
	global_store_b64 v[0:1], v[6:7], off
.LBB1141_15:
	s_or_b32 exec_lo, exec_lo, s1
	v_cmp_le_i32_e32 vcc_lo, v3, v2
	s_and_b32 s0, vcc_lo, s0
	s_delay_alu instid0(SALU_CYCLE_1)
	s_and_saveexec_b32 s1, s0
	s_cbranch_execz .LBB1141_17
; %bb.16:
	v_ashrrev_i32_e32 v3, 31, v2
	v_mul_f32_e32 v1, s18, v17
	v_mul_f32_e32 v0, s19, v17
	s_delay_alu instid0(VALU_DEP_3) | instskip(NEXT) | instid1(VALU_DEP_3)
	v_lshlrev_b64 v[2:3], 3, v[2:3]
	v_fmac_f32_e32 v1, s19, v16
	s_delay_alu instid0(VALU_DEP_3) | instskip(NEXT) | instid1(VALU_DEP_3)
	v_fma_f32 v0, v16, s18, -v0
	v_add_co_u32 v2, vcc_lo, v4, v2
	s_delay_alu instid0(VALU_DEP_4)
	v_add_co_ci_u32_e32 v3, vcc_lo, v5, v3, vcc_lo
	global_store_b64 v[2:3], v[0:1], off
.LBB1141_17:
	s_nop 0
	s_sendmsg sendmsg(MSG_DEALLOC_VGPRS)
	s_endpgm
	.section	.rodata,"a",@progbits
	.p2align	6, 0x0
	.amdhsa_kernel _ZL34rocblas_syrkx_herkx_general_kernelIl19rocblas_complex_numIfELi16ELi32ELi8ELb1ELb0ELc67ELc76EKS1_S1_EviT_T0_PT8_S3_lS6_S3_lS4_PT9_S3_li
		.amdhsa_group_segment_fixed_size 4096
		.amdhsa_private_segment_fixed_size 0
		.amdhsa_kernarg_size 108
		.amdhsa_user_sgpr_count 13
		.amdhsa_user_sgpr_dispatch_ptr 0
		.amdhsa_user_sgpr_queue_ptr 0
		.amdhsa_user_sgpr_kernarg_segment_ptr 1
		.amdhsa_user_sgpr_dispatch_id 0
		.amdhsa_user_sgpr_private_segment_size 0
		.amdhsa_wavefront_size32 1
		.amdhsa_uses_dynamic_stack 0
		.amdhsa_enable_private_segment 0
		.amdhsa_system_sgpr_workgroup_id_x 1
		.amdhsa_system_sgpr_workgroup_id_y 1
		.amdhsa_system_sgpr_workgroup_id_z 1
		.amdhsa_system_sgpr_workgroup_info 0
		.amdhsa_system_vgpr_workitem_id 1
		.amdhsa_next_free_vgpr 59
		.amdhsa_next_free_sgpr 32
		.amdhsa_reserve_vcc 1
		.amdhsa_float_round_mode_32 0
		.amdhsa_float_round_mode_16_64 0
		.amdhsa_float_denorm_mode_32 3
		.amdhsa_float_denorm_mode_16_64 3
		.amdhsa_dx10_clamp 1
		.amdhsa_ieee_mode 1
		.amdhsa_fp16_overflow 0
		.amdhsa_workgroup_processor_mode 1
		.amdhsa_memory_ordered 1
		.amdhsa_forward_progress 0
		.amdhsa_shared_vgpr_count 0
		.amdhsa_exception_fp_ieee_invalid_op 0
		.amdhsa_exception_fp_denorm_src 0
		.amdhsa_exception_fp_ieee_div_zero 0
		.amdhsa_exception_fp_ieee_overflow 0
		.amdhsa_exception_fp_ieee_underflow 0
		.amdhsa_exception_fp_ieee_inexact 0
		.amdhsa_exception_int_div_zero 0
	.end_amdhsa_kernel
	.section	.text._ZL34rocblas_syrkx_herkx_general_kernelIl19rocblas_complex_numIfELi16ELi32ELi8ELb1ELb0ELc67ELc76EKS1_S1_EviT_T0_PT8_S3_lS6_S3_lS4_PT9_S3_li,"axG",@progbits,_ZL34rocblas_syrkx_herkx_general_kernelIl19rocblas_complex_numIfELi16ELi32ELi8ELb1ELb0ELc67ELc76EKS1_S1_EviT_T0_PT8_S3_lS6_S3_lS4_PT9_S3_li,comdat
.Lfunc_end1141:
	.size	_ZL34rocblas_syrkx_herkx_general_kernelIl19rocblas_complex_numIfELi16ELi32ELi8ELb1ELb0ELc67ELc76EKS1_S1_EviT_T0_PT8_S3_lS6_S3_lS4_PT9_S3_li, .Lfunc_end1141-_ZL34rocblas_syrkx_herkx_general_kernelIl19rocblas_complex_numIfELi16ELi32ELi8ELb1ELb0ELc67ELc76EKS1_S1_EviT_T0_PT8_S3_lS6_S3_lS4_PT9_S3_li
                                        ; -- End function
	.section	.AMDGPU.csdata,"",@progbits
; Kernel info:
; codeLenInByte = 2540
; NumSgprs: 34
; NumVgprs: 59
; ScratchSize: 0
; MemoryBound: 1
; FloatMode: 240
; IeeeMode: 1
; LDSByteSize: 4096 bytes/workgroup (compile time only)
; SGPRBlocks: 4
; VGPRBlocks: 7
; NumSGPRsForWavesPerEU: 34
; NumVGPRsForWavesPerEU: 59
; Occupancy: 16
; WaveLimiterHint : 0
; COMPUTE_PGM_RSRC2:SCRATCH_EN: 0
; COMPUTE_PGM_RSRC2:USER_SGPR: 13
; COMPUTE_PGM_RSRC2:TRAP_HANDLER: 0
; COMPUTE_PGM_RSRC2:TGID_X_EN: 1
; COMPUTE_PGM_RSRC2:TGID_Y_EN: 1
; COMPUTE_PGM_RSRC2:TGID_Z_EN: 1
; COMPUTE_PGM_RSRC2:TIDIG_COMP_CNT: 1
	.section	.text._ZL34rocblas_syrkx_herkx_general_kernelIl19rocblas_complex_numIfELi16ELi32ELi8ELb1ELb0ELc78ELc76EKS1_S1_EviT_T0_PT8_S3_lS6_S3_lS4_PT9_S3_li,"axG",@progbits,_ZL34rocblas_syrkx_herkx_general_kernelIl19rocblas_complex_numIfELi16ELi32ELi8ELb1ELb0ELc78ELc76EKS1_S1_EviT_T0_PT8_S3_lS6_S3_lS4_PT9_S3_li,comdat
	.globl	_ZL34rocblas_syrkx_herkx_general_kernelIl19rocblas_complex_numIfELi16ELi32ELi8ELb1ELb0ELc78ELc76EKS1_S1_EviT_T0_PT8_S3_lS6_S3_lS4_PT9_S3_li ; -- Begin function _ZL34rocblas_syrkx_herkx_general_kernelIl19rocblas_complex_numIfELi16ELi32ELi8ELb1ELb0ELc78ELc76EKS1_S1_EviT_T0_PT8_S3_lS6_S3_lS4_PT9_S3_li
	.p2align	8
	.type	_ZL34rocblas_syrkx_herkx_general_kernelIl19rocblas_complex_numIfELi16ELi32ELi8ELb1ELb0ELc78ELc76EKS1_S1_EviT_T0_PT8_S3_lS6_S3_lS4_PT9_S3_li,@function
_ZL34rocblas_syrkx_herkx_general_kernelIl19rocblas_complex_numIfELi16ELi32ELi8ELb1ELb0ELc78ELc76EKS1_S1_EviT_T0_PT8_S3_lS6_S3_lS4_PT9_S3_li: ; @_ZL34rocblas_syrkx_herkx_general_kernelIl19rocblas_complex_numIfELi16ELi32ELi8ELb1ELb0ELc78ELc76EKS1_S1_EviT_T0_PT8_S3_lS6_S3_lS4_PT9_S3_li
; %bb.0:
	s_clause 0x1
	s_load_b512 s[16:31], s[0:1], 0x8
	s_load_b32 s10, s[0:1], 0x0
	v_dual_mov_b32 v22, 0 :: v_dual_mov_b32 v23, 0
	v_dual_mov_b32 v20, 0 :: v_dual_mov_b32 v21, 0
	v_dual_mov_b32 v18, 0 :: v_dual_mov_b32 v19, 0
	v_dual_mov_b32 v16, 0 :: v_dual_mov_b32 v17, 0
	v_and_b32_e32 v8, 0x3ff, v0
	v_bfe_u32 v9, v0, 10, 10
	s_lshl_b32 s11, s13, 5
	s_lshl_b32 s12, s14, 5
	s_waitcnt lgkmcnt(0)
	v_cmp_lt_i64_e64 s2, s[16:17], 1
	s_delay_alu instid0(VALU_DEP_1)
	s_and_b32 vcc_lo, exec_lo, s2
	s_cbranch_vccnz .LBB1142_9
; %bb.1:
	v_lshl_add_u32 v5, v9, 4, v8
	v_and_b32_e32 v10, 7, v8
	s_mul_i32 s3, s25, s15
	s_mul_hi_u32 s4, s24, s15
	s_mul_i32 s2, s24, s15
	v_lshrrev_b32_e32 v11, 5, v5
	v_mad_u64_u32 v[3:4], null, s28, v10, 0
	v_lshrrev_b32_e32 v7, 3, v5
	v_dual_mov_b32 v21, 0 :: v_dual_and_b32 v14, 31, v5
	s_delay_alu instid0(VALU_DEP_4) | instskip(SKIP_1) | instid1(VALU_DEP_2)
	v_mad_u64_u32 v[1:2], null, s22, v11, 0
	s_add_i32 s3, s4, s3
	v_or_b32_e32 v15, s11, v14
	v_dual_mov_b32 v0, 0 :: v_dual_lshlrev_b32 v17, 3, v14
	s_lshl_b64 s[4:5], s[2:3], 3
	v_mov_b32_e32 v23, 0
	s_delay_alu instid0(VALU_DEP_4)
	v_mad_u64_u32 v[5:6], null, s23, v11, v[2:3]
	v_lshlrev_b32_e32 v2, 3, v10
	v_add_nc_u32_e32 v6, s12, v7
	v_cmp_gt_i32_e32 vcc_lo, s10, v15
	v_add_nc_u32_e32 v16, s11, v14
	s_mul_i32 s6, s31, s15
	v_lshl_or_b32 v7, v7, 6, v2
	v_mov_b32_e32 v2, v5
	v_mad_u64_u32 v[18:19], null, s29, v10, v[4:5]
	v_lshl_or_b32 v14, v11, 8, v17
	s_delay_alu instid0(VALU_DEP_4) | instskip(NEXT) | instid1(VALU_DEP_4)
	v_add_nc_u32_e32 v15, 0x800, v7
	v_lshlrev_b64 v[1:2], 3, v[1:2]
	v_ashrrev_i32_e32 v17, 31, v16
	v_ashrrev_i32_e32 v7, 31, v6
	v_dual_mov_b32 v19, 0 :: v_dual_lshlrev_b32 v12, 3, v8
	v_mov_b32_e32 v4, v18
	v_add_co_u32 v5, s3, v1, s4
	s_delay_alu instid0(VALU_DEP_1) | instskip(SKIP_1) | instid1(VALU_DEP_3)
	v_add_co_ci_u32_e64 v18, s3, s5, v2, s3
	s_mul_hi_u32 s3, s30, s15
	v_lshlrev_b64 v[1:2], 3, v[3:4]
	s_add_i32 s5, s3, s6
	s_mul_i32 s4, s30, s15
	v_lshlrev_b64 v[3:4], 3, v[16:17]
	s_lshl_b64 s[4:5], s[4:5], 3
	v_lshl_add_u32 v13, v9, 6, 0x800
	v_add_co_u32 v16, s3, s4, v1
	s_delay_alu instid0(VALU_DEP_1) | instskip(SKIP_2) | instid1(VALU_DEP_1)
	v_add_co_ci_u32_e64 v17, s3, s5, v2, s3
	v_lshlrev_b64 v[1:2], 3, v[6:7]
	v_add_co_u32 v3, s3, v5, v3
	v_add_co_ci_u32_e64 v4, s3, v18, v4, s3
	v_cmp_gt_i32_e64 s2, s10, v6
	s_delay_alu instid0(VALU_DEP_4) | instskip(NEXT) | instid1(VALU_DEP_1)
	v_add_co_u32 v1, s3, v16, v1
	v_add_co_ci_u32_e64 v5, s3, v17, v2, s3
	v_add_co_u32 v2, s3, s20, v3
	s_delay_alu instid0(VALU_DEP_1) | instskip(NEXT) | instid1(VALU_DEP_4)
	v_add_co_ci_u32_e64 v3, s3, s21, v4, s3
	v_add_co_u32 v1, s3, v1, s26
	s_delay_alu instid0(VALU_DEP_1) | instskip(SKIP_1) | instid1(VALU_DEP_3)
	v_add_co_ci_u32_e64 v5, s3, s27, v5, s3
	v_mov_b32_e32 v17, 0
	v_add_co_u32 v4, s3, v1, 4
	s_delay_alu instid0(VALU_DEP_1)
	v_add_co_ci_u32_e64 v5, s3, 0, v5, s3
	v_mov_b32_e32 v16, 0
	v_mov_b32_e32 v18, 0
	v_mov_b32_e32 v20, 0
	v_mov_b32_e32 v22, 0
	s_lshl_b64 s[4:5], s[22:23], 6
	s_lshl_b64 s[6:7], s[28:29], 6
	s_mov_b64 s[8:9], 0
	s_xor_b32 s3, vcc_lo, -1
	s_branch .LBB1142_3
.LBB1142_2:                             ;   in Loop: Header=BB1142_3 Depth=1
	s_or_b32 exec_lo, exec_lo, s13
	s_waitcnt vmcnt(0)
	ds_store_b64 v15, v[6:7]
	s_waitcnt lgkmcnt(0)
	s_barrier
	buffer_gl0_inv
	ds_load_2addr_b64 v[24:27], v12 offset1:16
	ds_load_b128 v[28:31], v13
	ds_load_b128 v[32:35], v13 offset:1024
	ds_load_b128 v[36:39], v13 offset:16
	;; [unrolled: 1-line block ×4, first 2 shown]
	ds_load_2addr_b64 v[48:51], v12 offset0:32 offset1:48
	ds_load_b128 v[52:55], v13 offset:1040
	s_add_u32 s8, s8, 8
	s_addc_u32 s9, s9, 0
	v_add_co_u32 v2, vcc_lo, v2, s4
	v_cmp_ge_i64_e64 s13, s[8:9], s[16:17]
	v_add_co_ci_u32_e32 v3, vcc_lo, s5, v3, vcc_lo
	v_add_co_u32 v4, vcc_lo, v4, s6
	v_add_co_ci_u32_e32 v5, vcc_lo, s7, v5, vcc_lo
	s_delay_alu instid0(VALU_DEP_4)
	s_and_b32 vcc_lo, exec_lo, s13
	s_waitcnt lgkmcnt(6)
	v_dual_mul_f32 v1, v29, v25 :: v_dual_mul_f32 v56, v28, v27
	v_dual_mul_f32 v6, v28, v25 :: v_dual_mul_f32 v7, v29, v27
	s_waitcnt lgkmcnt(5)
	v_mul_f32_e32 v58, v33, v27
	s_delay_alu instid0(VALU_DEP_3) | instskip(SKIP_3) | instid1(VALU_DEP_4)
	v_fma_f32 v1, v28, v24, -v1
	v_dual_mul_f32 v27, v32, v27 :: v_dual_fmac_f32 v56, v29, v26
	v_fmac_f32_e32 v6, v29, v24
	v_fma_f32 v7, v28, v26, -v7
	v_add_f32_e32 v1, v22, v1
	v_mul_f32_e32 v57, v33, v25
	s_delay_alu instid0(VALU_DEP_4) | instskip(NEXT) | instid1(VALU_DEP_4)
	v_dual_mul_f32 v25, v32, v25 :: v_dual_add_f32 v6, v23, v6
	v_dual_add_f32 v7, v20, v7 :: v_dual_add_f32 v22, v21, v56
	s_delay_alu instid0(VALU_DEP_3) | instskip(NEXT) | instid1(VALU_DEP_3)
	v_fma_f32 v28, v32, v24, -v57
	v_fmac_f32_e32 v25, v33, v24
	v_fma_f32 v24, v32, v26, -v58
	v_fmac_f32_e32 v27, v33, v26
	s_waitcnt lgkmcnt(1)
	v_dual_add_f32 v23, v18, v28 :: v_dual_mul_f32 v28, v31, v49
	s_delay_alu instid0(VALU_DEP_3)
	v_dual_add_f32 v25, v19, v25 :: v_dual_add_f32 v16, v16, v24
	v_mul_f32_e32 v24, v30, v49
	ds_load_2addr_b64 v[18:21], v12 offset0:64 offset1:80
	v_fma_f32 v26, v30, v48, -v28
	v_mul_f32_e32 v28, v31, v51
	v_dual_add_f32 v17, v17, v27 :: v_dual_fmac_f32 v24, v31, v48
	v_mul_f32_e32 v27, v30, v51
	s_delay_alu instid0(VALU_DEP_4) | instskip(NEXT) | instid1(VALU_DEP_4)
	v_add_f32_e32 v1, v1, v26
	v_fma_f32 v26, v30, v50, -v28
	v_mul_f32_e32 v28, v35, v49
	s_delay_alu instid0(VALU_DEP_4) | instskip(SKIP_1) | instid1(VALU_DEP_1)
	v_dual_add_f32 v6, v6, v24 :: v_dual_fmac_f32 v27, v31, v50
	v_mul_f32_e32 v24, v34, v49
	v_dual_add_f32 v27, v22, v27 :: v_dual_fmac_f32 v24, v35, v48
	v_add_f32_e32 v7, v7, v26
	v_fma_f32 v26, v34, v48, -v28
	v_mul_f32_e32 v29, v34, v51
	s_waitcnt lgkmcnt(0)
	v_mul_f32_e32 v30, v36, v19
	v_mul_f32_e32 v32, v37, v21
	v_add_f32_e32 v26, v23, v26
	v_fmac_f32_e32 v29, v35, v50
	v_mul_f32_e32 v28, v35, v51
	v_fmac_f32_e32 v30, v37, v18
	s_delay_alu instid0(VALU_DEP_3) | instskip(SKIP_1) | instid1(VALU_DEP_4)
	v_add_f32_e32 v29, v17, v29
	v_mul_f32_e32 v17, v36, v21
	v_fma_f32 v22, v34, v50, -v28
	v_mul_f32_e32 v23, v37, v19
	v_add_f32_e32 v28, v25, v24
	v_add_f32_e32 v6, v6, v30
	v_mul_f32_e32 v30, v53, v19
	v_add_f32_e32 v16, v16, v22
	v_fma_f32 v31, v36, v18, -v23
	ds_load_2addr_b64 v[22:25], v12 offset0:96 offset1:112
	v_mul_f32_e32 v19, v52, v19
	v_add_f32_e32 v1, v1, v31
	v_fma_f32 v31, v36, v20, -v32
	s_delay_alu instid0(VALU_DEP_1) | instskip(SKIP_4) | instid1(VALU_DEP_2)
	v_add_f32_e32 v7, v7, v31
	v_mul_f32_e32 v31, v53, v21
	v_mul_f32_e32 v21, v52, v21
	v_fma_f32 v30, v52, v18, -v30
	v_fmac_f32_e32 v17, v37, v20
	v_dual_fmac_f32 v21, v53, v20 :: v_dual_add_f32 v30, v26, v30
	s_delay_alu instid0(VALU_DEP_2)
	v_dual_fmac_f32 v19, v53, v18 :: v_dual_add_f32 v32, v27, v17
	v_fma_f32 v17, v52, v20, -v31
	s_waitcnt lgkmcnt(0)
	v_mul_f32_e32 v26, v38, v23
	v_mul_f32_e32 v20, v39, v23
	v_dual_add_f32 v31, v28, v19 :: v_dual_add_f32 v34, v29, v21
	v_add_f32_e32 v33, v16, v17
	ds_load_2addr_b64 v[16:19], v12 offset0:128 offset1:144
	v_fmac_f32_e32 v26, v39, v22
	v_mul_f32_e32 v27, v39, v25
	v_mul_f32_e32 v21, v38, v25
	;; [unrolled: 1-line block ×4, first 2 shown]
	v_fma_f32 v20, v38, v22, -v20
	v_add_f32_e32 v6, v6, v26
	v_fma_f32 v27, v38, v24, -v27
	s_waitcnt lgkmcnt(0)
	v_dual_fmac_f32 v25, v55, v24 :: v_dual_mul_f32 v38, v40, v17
	s_delay_alu instid0(VALU_DEP_1) | instskip(NEXT) | instid1(VALU_DEP_2)
	v_dual_add_f32 v25, v34, v25 :: v_dual_mul_f32 v34, v40, v19
	v_fmac_f32_e32 v38, v41, v16
	v_fmac_f32_e32 v21, v39, v24
	v_dual_add_f32 v1, v1, v20 :: v_dual_mul_f32 v20, v55, v23
	s_delay_alu instid0(VALU_DEP_4) | instskip(NEXT) | instid1(VALU_DEP_4)
	v_fmac_f32_e32 v34, v41, v18
	v_add_f32_e32 v6, v6, v38
	s_delay_alu instid0(VALU_DEP_4)
	v_add_f32_e32 v36, v32, v21
	v_fma_f32 v21, v54, v24, -v35
	v_add_f32_e32 v7, v7, v27
	ds_load_b128 v[26:29], v13 offset:1056
	v_mul_f32_e32 v23, v54, v23
	v_fma_f32 v20, v54, v22, -v20
	v_add_f32_e32 v24, v33, v21
	v_add_f32_e32 v34, v36, v34
	s_delay_alu instid0(VALU_DEP_4) | instskip(NEXT) | instid1(VALU_DEP_4)
	v_fmac_f32_e32 v23, v55, v22
	v_dual_add_f32 v35, v30, v20 :: v_dual_mul_f32 v20, v41, v17
	s_delay_alu instid0(VALU_DEP_2) | instskip(SKIP_1) | instid1(VALU_DEP_3)
	v_add_f32_e32 v37, v31, v23
	v_mul_f32_e32 v31, v41, v19
	v_fma_f32 v30, v40, v16, -v20
	ds_load_2addr_b64 v[20:23], v12 offset0:160 offset1:176
	v_fma_f32 v39, v40, v18, -v31
	v_add_f32_e32 v1, v1, v30
	ds_load_b128 v[30:33], v13 offset:1072
	s_waitcnt lgkmcnt(2)
	v_mul_f32_e32 v36, v26, v19
	v_mul_f32_e32 v40, v27, v17
	s_delay_alu instid0(VALU_DEP_2) | instskip(NEXT) | instid1(VALU_DEP_2)
	v_dual_fmac_f32 v36, v27, v18 :: v_dual_mul_f32 v17, v26, v17
	v_fma_f32 v38, v26, v16, -v40
	s_delay_alu instid0(VALU_DEP_2)
	v_fmac_f32_e32 v17, v27, v16
	v_add_f32_e32 v7, v7, v39
	v_mul_f32_e32 v39, v27, v19
	s_waitcnt lgkmcnt(1)
	v_mul_f32_e32 v27, v42, v21
	v_mul_f32_e32 v19, v43, v21
	s_delay_alu instid0(VALU_DEP_3) | instskip(NEXT) | instid1(VALU_DEP_1)
	v_fma_f32 v16, v26, v18, -v39
	v_add_f32_e32 v24, v24, v16
	s_delay_alu instid0(VALU_DEP_4) | instskip(SKIP_1) | instid1(VALU_DEP_2)
	v_fmac_f32_e32 v27, v43, v20
	v_add_f32_e32 v36, v25, v36
	v_add_f32_e32 v6, v6, v27
	;; [unrolled: 1-line block ×3, first 2 shown]
	v_fma_f32 v37, v42, v20, -v19
	ds_load_2addr_b64 v[16:19], v12 offset0:192 offset1:208
	v_mul_f32_e32 v25, v42, v23
	v_add_f32_e32 v35, v35, v38
	v_dual_mul_f32 v38, v43, v23 :: v_dual_mul_f32 v27, v29, v21
	v_mul_f32_e32 v21, v28, v21
	s_delay_alu instid0(VALU_DEP_4) | instskip(NEXT) | instid1(VALU_DEP_3)
	v_fmac_f32_e32 v25, v43, v22
	v_fma_f32 v27, v28, v20, -v27
	s_delay_alu instid0(VALU_DEP_2) | instskip(NEXT) | instid1(VALU_DEP_1)
	v_dual_fmac_f32 v21, v29, v20 :: v_dual_add_f32 v20, v34, v25
	v_add_f32_e32 v21, v26, v21
	s_waitcnt lgkmcnt(0)
	v_mul_f32_e32 v34, v45, v17
	v_add_f32_e32 v1, v1, v37
	v_fma_f32 v37, v42, v22, -v38
	s_delay_alu instid0(VALU_DEP_3) | instskip(NEXT) | instid1(VALU_DEP_2)
	v_fma_f32 v34, v44, v16, -v34
	v_add_f32_e32 v7, v7, v37
	v_mul_f32_e32 v37, v29, v23
	v_mul_f32_e32 v23, v28, v23
	s_delay_alu instid0(VALU_DEP_2) | instskip(SKIP_3) | instid1(VALU_DEP_2)
	v_fma_f32 v25, v28, v22, -v37
	v_add_f32_e32 v28, v35, v27
	v_mul_f32_e32 v35, v45, v19
	v_dual_add_f32 v1, v1, v34 :: v_dual_mul_f32 v34, v31, v17
	v_fma_f32 v35, v44, v18, -v35
	s_delay_alu instid0(VALU_DEP_1)
	v_add_f32_e32 v7, v7, v35
	v_dual_fmac_f32 v23, v29, v22 :: v_dual_add_f32 v22, v24, v25
	ds_load_2addr_b64 v[24:27], v12 offset0:224 offset1:240
	s_waitcnt lgkmcnt(0)
	s_barrier
	v_add_f32_e32 v23, v36, v23
	v_mul_f32_e32 v29, v44, v17
	v_dual_mul_f32 v36, v44, v19 :: v_dual_mul_f32 v17, v30, v17
	buffer_gl0_inv
	v_fmac_f32_e32 v29, v45, v16
	v_dual_fmac_f32 v36, v45, v18 :: v_dual_fmac_f32 v17, v31, v16
	s_delay_alu instid0(VALU_DEP_2) | instskip(SKIP_1) | instid1(VALU_DEP_3)
	v_add_f32_e32 v6, v6, v29
	v_fma_f32 v29, v30, v16, -v34
	v_dual_mul_f32 v34, v31, v19 :: v_dual_add_f32 v35, v20, v36
	s_delay_alu instid0(VALU_DEP_2) | instskip(NEXT) | instid1(VALU_DEP_2)
	v_dual_mul_f32 v19, v30, v19 :: v_dual_add_f32 v16, v28, v29
	v_fma_f32 v20, v30, v18, -v34
	v_mul_f32_e32 v28, v47, v25
	v_mul_f32_e32 v29, v46, v25
	s_delay_alu instid0(VALU_DEP_3) | instskip(NEXT) | instid1(VALU_DEP_3)
	v_dual_fmac_f32 v19, v31, v18 :: v_dual_add_f32 v30, v22, v20
	v_fma_f32 v18, v46, v24, -v28
	s_delay_alu instid0(VALU_DEP_3)
	v_fmac_f32_e32 v29, v47, v24
	v_dual_mul_f32 v20, v47, v27 :: v_dual_add_f32 v17, v21, v17
	v_mul_f32_e32 v21, v46, v27
	v_add_f32_e32 v28, v23, v19
	v_add_f32_e32 v22, v1, v18
	v_dual_mul_f32 v18, v33, v27 :: v_dual_add_f32 v23, v6, v29
	v_fma_f32 v1, v46, v26, -v20
	v_mul_f32_e32 v6, v33, v25
	v_mul_f32_e32 v19, v32, v25
	;; [unrolled: 1-line block ×3, first 2 shown]
	v_fmac_f32_e32 v21, v47, v26
	v_add_f32_e32 v20, v7, v1
	v_fma_f32 v1, v32, v24, -v6
	v_fmac_f32_e32 v19, v33, v24
	v_fma_f32 v6, v32, v26, -v18
	v_fmac_f32_e32 v25, v33, v26
	v_add_f32_e32 v21, v35, v21
	s_delay_alu instid0(VALU_DEP_4) | instskip(NEXT) | instid1(VALU_DEP_3)
	v_dual_add_f32 v18, v16, v1 :: v_dual_add_f32 v19, v17, v19
	v_dual_add_f32 v16, v30, v6 :: v_dual_add_f32 v17, v28, v25
	s_cbranch_vccnz .LBB1142_9
.LBB1142_3:                             ; =>This Inner Loop Header: Depth=1
	v_add_co_u32 v6, s13, v11, s8
	s_delay_alu instid0(VALU_DEP_1) | instskip(NEXT) | instid1(VALU_DEP_1)
	v_add_co_ci_u32_e64 v7, null, 0, s9, s13
	v_cmp_le_i64_e32 vcc_lo, s[16:17], v[6:7]
	s_or_b32 s13, s3, vcc_lo
	s_delay_alu instid0(SALU_CYCLE_1) | instskip(NEXT) | instid1(SALU_CYCLE_1)
	s_and_saveexec_b32 s14, s13
	s_xor_b32 s13, exec_lo, s14
	s_cbranch_execz .LBB1142_5
; %bb.4:                                ;   in Loop: Header=BB1142_3 Depth=1
	v_mov_b32_e32 v1, v0
	ds_store_b64 v14, v[0:1]
.LBB1142_5:                             ;   in Loop: Header=BB1142_3 Depth=1
	s_and_not1_saveexec_b32 s13, s13
	s_cbranch_execz .LBB1142_7
; %bb.6:                                ;   in Loop: Header=BB1142_3 Depth=1
	global_load_b64 v[6:7], v[2:3], off
	s_waitcnt vmcnt(0)
	ds_store_b64 v14, v[6:7]
.LBB1142_7:                             ;   in Loop: Header=BB1142_3 Depth=1
	s_or_b32 exec_lo, exec_lo, s13
	v_add_co_u32 v6, s13, v10, s8
	s_delay_alu instid0(VALU_DEP_1) | instskip(NEXT) | instid1(VALU_DEP_1)
	v_add_co_ci_u32_e64 v7, null, 0, s9, s13
	v_cmp_gt_i64_e32 vcc_lo, s[16:17], v[6:7]
	v_dual_mov_b32 v6, 0 :: v_dual_mov_b32 v7, 0
	s_and_b32 s14, vcc_lo, s2
	s_delay_alu instid0(SALU_CYCLE_1)
	s_and_saveexec_b32 s13, s14
	s_cbranch_execz .LBB1142_2
; %bb.8:                                ;   in Loop: Header=BB1142_3 Depth=1
	global_load_b64 v[6:7], v[4:5], off offset:-4
	s_branch .LBB1142_2
.LBB1142_9:
	s_clause 0x1
	s_load_b128 s[4:7], s[0:1], 0x50
	s_load_b64 s[2:3], s[0:1], 0x60
	v_add_nc_u32_e32 v4, s12, v9
	s_delay_alu instid0(VALU_DEP_1) | instskip(SKIP_1) | instid1(VALU_DEP_1)
	v_ashrrev_i32_e32 v0, 31, v4
	s_waitcnt lgkmcnt(0)
	v_mul_lo_u32 v3, v0, s6
	v_mul_lo_u32 v5, v4, s7
	v_mad_u64_u32 v[1:2], null, v4, s6, 0
	s_mul_i32 s1, s15, s3
	s_mul_hi_u32 s3, s15, s2
	s_mul_i32 s2, s15, s2
	s_add_i32 s3, s3, s1
	v_add_nc_u32_e32 v0, s11, v8
	s_lshl_b64 s[2:3], s[2:3], 3
	s_delay_alu instid0(VALU_DEP_2)
	v_add3_u32 v2, v2, v5, v3
	s_add_u32 s2, s4, s2
	s_addc_u32 s3, s5, s3
	v_cmp_le_i32_e64 s0, v4, v0
	v_cmp_gt_i32_e32 vcc_lo, s10, v0
	v_lshlrev_b64 v[1:2], 3, v[1:2]
	s_delay_alu instid0(VALU_DEP_3) | instskip(NEXT) | instid1(VALU_DEP_1)
	s_and_b32 s0, s0, vcc_lo
	v_add_co_u32 v5, s1, s2, v1
	s_delay_alu instid0(VALU_DEP_1)
	v_add_co_ci_u32_e64 v6, s1, s3, v2, s1
	s_and_saveexec_b32 s1, s0
	s_cbranch_execz .LBB1142_11
; %bb.10:
	v_ashrrev_i32_e32 v1, 31, v0
	v_mul_f32_e32 v2, s18, v23
	v_mul_f32_e32 v3, s19, v23
	s_delay_alu instid0(VALU_DEP_3) | instskip(NEXT) | instid1(VALU_DEP_3)
	v_lshlrev_b64 v[7:8], 3, v[0:1]
	v_fmac_f32_e32 v2, s19, v22
	s_delay_alu instid0(VALU_DEP_3) | instskip(NEXT) | instid1(VALU_DEP_3)
	v_fma_f32 v1, v22, s18, -v3
	v_add_co_u32 v7, s0, v5, v7
	s_delay_alu instid0(VALU_DEP_1)
	v_add_co_ci_u32_e64 v8, s0, v6, v8, s0
	global_store_b64 v[7:8], v[1:2], off
.LBB1142_11:
	s_or_b32 exec_lo, exec_lo, s1
	v_add_nc_u32_e32 v2, 16, v0
	s_delay_alu instid0(VALU_DEP_1) | instskip(SKIP_1) | instid1(VALU_DEP_1)
	v_cmp_le_i32_e64 s1, v4, v2
	v_cmp_gt_i32_e64 s0, s10, v2
	s_and_b32 s1, s1, s0
	s_delay_alu instid0(SALU_CYCLE_1)
	s_and_saveexec_b32 s4, s1
	s_cbranch_execz .LBB1142_13
; %bb.12:
	v_ashrrev_i32_e32 v3, 31, v2
	v_mul_f32_e32 v8, s18, v21
	v_mul_f32_e32 v1, s19, v21
	s_delay_alu instid0(VALU_DEP_3) | instskip(NEXT) | instid1(VALU_DEP_3)
	v_lshlrev_b64 v[9:10], 3, v[2:3]
	v_fmac_f32_e32 v8, s19, v20
	s_delay_alu instid0(VALU_DEP_3) | instskip(NEXT) | instid1(VALU_DEP_3)
	v_fma_f32 v7, v20, s18, -v1
	v_add_co_u32 v5, s1, v5, v9
	s_delay_alu instid0(VALU_DEP_1)
	v_add_co_ci_u32_e64 v6, s1, v6, v10, s1
	global_store_b64 v[5:6], v[7:8], off
.LBB1142_13:
	s_or_b32 exec_lo, exec_lo, s4
	v_add_nc_u32_e32 v3, 16, v4
	s_delay_alu instid0(VALU_DEP_1) | instskip(SKIP_3) | instid1(VALU_DEP_4)
	v_ashrrev_i32_e32 v1, 31, v3
	v_mul_lo_u32 v6, v3, s7
	v_mad_u64_u32 v[4:5], null, v3, s6, 0
	v_cmp_le_i32_e64 s1, v3, v0
	v_mul_lo_u32 v1, v1, s6
	s_delay_alu instid0(VALU_DEP_1) | instskip(NEXT) | instid1(VALU_DEP_1)
	v_add3_u32 v5, v5, v6, v1
	v_lshlrev_b64 v[4:5], 3, v[4:5]
	s_delay_alu instid0(VALU_DEP_1) | instskip(NEXT) | instid1(VALU_DEP_1)
	v_add_co_u32 v4, s2, s2, v4
	v_add_co_ci_u32_e64 v5, s2, s3, v5, s2
	s_and_b32 s2, s1, vcc_lo
	s_delay_alu instid0(SALU_CYCLE_1)
	s_and_saveexec_b32 s1, s2
	s_cbranch_execz .LBB1142_15
; %bb.14:
	v_ashrrev_i32_e32 v1, 31, v0
	v_mul_f32_e32 v7, s18, v19
	v_mul_f32_e32 v6, s19, v19
	s_delay_alu instid0(VALU_DEP_3) | instskip(NEXT) | instid1(VALU_DEP_3)
	v_lshlrev_b64 v[0:1], 3, v[0:1]
	v_fmac_f32_e32 v7, s19, v18
	s_delay_alu instid0(VALU_DEP_3) | instskip(NEXT) | instid1(VALU_DEP_3)
	v_fma_f32 v6, v18, s18, -v6
	v_add_co_u32 v0, vcc_lo, v4, v0
	s_delay_alu instid0(VALU_DEP_4)
	v_add_co_ci_u32_e32 v1, vcc_lo, v5, v1, vcc_lo
	global_store_b64 v[0:1], v[6:7], off
.LBB1142_15:
	s_or_b32 exec_lo, exec_lo, s1
	v_cmp_le_i32_e32 vcc_lo, v3, v2
	s_and_b32 s0, vcc_lo, s0
	s_delay_alu instid0(SALU_CYCLE_1)
	s_and_saveexec_b32 s1, s0
	s_cbranch_execz .LBB1142_17
; %bb.16:
	v_ashrrev_i32_e32 v3, 31, v2
	v_mul_f32_e32 v1, s18, v17
	v_mul_f32_e32 v0, s19, v17
	s_delay_alu instid0(VALU_DEP_3) | instskip(NEXT) | instid1(VALU_DEP_3)
	v_lshlrev_b64 v[2:3], 3, v[2:3]
	v_fmac_f32_e32 v1, s19, v16
	s_delay_alu instid0(VALU_DEP_3) | instskip(NEXT) | instid1(VALU_DEP_3)
	v_fma_f32 v0, v16, s18, -v0
	v_add_co_u32 v2, vcc_lo, v4, v2
	s_delay_alu instid0(VALU_DEP_4)
	v_add_co_ci_u32_e32 v3, vcc_lo, v5, v3, vcc_lo
	global_store_b64 v[2:3], v[0:1], off
.LBB1142_17:
	s_nop 0
	s_sendmsg sendmsg(MSG_DEALLOC_VGPRS)
	s_endpgm
	.section	.rodata,"a",@progbits
	.p2align	6, 0x0
	.amdhsa_kernel _ZL34rocblas_syrkx_herkx_general_kernelIl19rocblas_complex_numIfELi16ELi32ELi8ELb1ELb0ELc78ELc76EKS1_S1_EviT_T0_PT8_S3_lS6_S3_lS4_PT9_S3_li
		.amdhsa_group_segment_fixed_size 4096
		.amdhsa_private_segment_fixed_size 0
		.amdhsa_kernarg_size 108
		.amdhsa_user_sgpr_count 13
		.amdhsa_user_sgpr_dispatch_ptr 0
		.amdhsa_user_sgpr_queue_ptr 0
		.amdhsa_user_sgpr_kernarg_segment_ptr 1
		.amdhsa_user_sgpr_dispatch_id 0
		.amdhsa_user_sgpr_private_segment_size 0
		.amdhsa_wavefront_size32 1
		.amdhsa_uses_dynamic_stack 0
		.amdhsa_enable_private_segment 0
		.amdhsa_system_sgpr_workgroup_id_x 1
		.amdhsa_system_sgpr_workgroup_id_y 1
		.amdhsa_system_sgpr_workgroup_id_z 1
		.amdhsa_system_sgpr_workgroup_info 0
		.amdhsa_system_vgpr_workitem_id 1
		.amdhsa_next_free_vgpr 59
		.amdhsa_next_free_sgpr 32
		.amdhsa_reserve_vcc 1
		.amdhsa_float_round_mode_32 0
		.amdhsa_float_round_mode_16_64 0
		.amdhsa_float_denorm_mode_32 3
		.amdhsa_float_denorm_mode_16_64 3
		.amdhsa_dx10_clamp 1
		.amdhsa_ieee_mode 1
		.amdhsa_fp16_overflow 0
		.amdhsa_workgroup_processor_mode 1
		.amdhsa_memory_ordered 1
		.amdhsa_forward_progress 0
		.amdhsa_shared_vgpr_count 0
		.amdhsa_exception_fp_ieee_invalid_op 0
		.amdhsa_exception_fp_denorm_src 0
		.amdhsa_exception_fp_ieee_div_zero 0
		.amdhsa_exception_fp_ieee_overflow 0
		.amdhsa_exception_fp_ieee_underflow 0
		.amdhsa_exception_fp_ieee_inexact 0
		.amdhsa_exception_int_div_zero 0
	.end_amdhsa_kernel
	.section	.text._ZL34rocblas_syrkx_herkx_general_kernelIl19rocblas_complex_numIfELi16ELi32ELi8ELb1ELb0ELc78ELc76EKS1_S1_EviT_T0_PT8_S3_lS6_S3_lS4_PT9_S3_li,"axG",@progbits,_ZL34rocblas_syrkx_herkx_general_kernelIl19rocblas_complex_numIfELi16ELi32ELi8ELb1ELb0ELc78ELc76EKS1_S1_EviT_T0_PT8_S3_lS6_S3_lS4_PT9_S3_li,comdat
.Lfunc_end1142:
	.size	_ZL34rocblas_syrkx_herkx_general_kernelIl19rocblas_complex_numIfELi16ELi32ELi8ELb1ELb0ELc78ELc76EKS1_S1_EviT_T0_PT8_S3_lS6_S3_lS4_PT9_S3_li, .Lfunc_end1142-_ZL34rocblas_syrkx_herkx_general_kernelIl19rocblas_complex_numIfELi16ELi32ELi8ELb1ELb0ELc78ELc76EKS1_S1_EviT_T0_PT8_S3_lS6_S3_lS4_PT9_S3_li
                                        ; -- End function
	.section	.AMDGPU.csdata,"",@progbits
; Kernel info:
; codeLenInByte = 2548
; NumSgprs: 34
; NumVgprs: 59
; ScratchSize: 0
; MemoryBound: 1
; FloatMode: 240
; IeeeMode: 1
; LDSByteSize: 4096 bytes/workgroup (compile time only)
; SGPRBlocks: 4
; VGPRBlocks: 7
; NumSGPRsForWavesPerEU: 34
; NumVGPRsForWavesPerEU: 59
; Occupancy: 16
; WaveLimiterHint : 0
; COMPUTE_PGM_RSRC2:SCRATCH_EN: 0
; COMPUTE_PGM_RSRC2:USER_SGPR: 13
; COMPUTE_PGM_RSRC2:TRAP_HANDLER: 0
; COMPUTE_PGM_RSRC2:TGID_X_EN: 1
; COMPUTE_PGM_RSRC2:TGID_Y_EN: 1
; COMPUTE_PGM_RSRC2:TGID_Z_EN: 1
; COMPUTE_PGM_RSRC2:TIDIG_COMP_CNT: 1
	.section	.text._ZL34rocblas_syrkx_herkx_general_kernelIl19rocblas_complex_numIfELi16ELi32ELi8ELb1ELb0ELc84ELc85EKS1_S1_EviT_T0_PT8_S3_lS6_S3_lS4_PT9_S3_li,"axG",@progbits,_ZL34rocblas_syrkx_herkx_general_kernelIl19rocblas_complex_numIfELi16ELi32ELi8ELb1ELb0ELc84ELc85EKS1_S1_EviT_T0_PT8_S3_lS6_S3_lS4_PT9_S3_li,comdat
	.globl	_ZL34rocblas_syrkx_herkx_general_kernelIl19rocblas_complex_numIfELi16ELi32ELi8ELb1ELb0ELc84ELc85EKS1_S1_EviT_T0_PT8_S3_lS6_S3_lS4_PT9_S3_li ; -- Begin function _ZL34rocblas_syrkx_herkx_general_kernelIl19rocblas_complex_numIfELi16ELi32ELi8ELb1ELb0ELc84ELc85EKS1_S1_EviT_T0_PT8_S3_lS6_S3_lS4_PT9_S3_li
	.p2align	8
	.type	_ZL34rocblas_syrkx_herkx_general_kernelIl19rocblas_complex_numIfELi16ELi32ELi8ELb1ELb0ELc84ELc85EKS1_S1_EviT_T0_PT8_S3_lS6_S3_lS4_PT9_S3_li,@function
_ZL34rocblas_syrkx_herkx_general_kernelIl19rocblas_complex_numIfELi16ELi32ELi8ELb1ELb0ELc84ELc85EKS1_S1_EviT_T0_PT8_S3_lS6_S3_lS4_PT9_S3_li: ; @_ZL34rocblas_syrkx_herkx_general_kernelIl19rocblas_complex_numIfELi16ELi32ELi8ELb1ELb0ELc84ELc85EKS1_S1_EviT_T0_PT8_S3_lS6_S3_lS4_PT9_S3_li
; %bb.0:
	s_clause 0x1
	s_load_b512 s[16:31], s[0:1], 0x8
	s_load_b32 s8, s[0:1], 0x0
	v_dual_mov_b32 v20, 0 :: v_dual_mov_b32 v21, 0
	v_dual_mov_b32 v18, 0 :: v_dual_mov_b32 v19, 0
	;; [unrolled: 1-line block ×4, first 2 shown]
	v_and_b32_e32 v6, 0x3ff, v0
	v_bfe_u32 v7, v0, 10, 10
	s_lshl_b32 s9, s13, 5
	s_lshl_b32 s10, s14, 5
	s_waitcnt lgkmcnt(0)
	v_cmp_lt_i64_e64 s2, s[16:17], 1
	s_delay_alu instid0(VALU_DEP_1)
	s_and_b32 vcc_lo, exec_lo, s2
	s_cbranch_vccnz .LBB1143_11
; %bb.1:
	v_lshl_add_u32 v1, v7, 4, v6
	v_mov_b32_e32 v0, 0
	v_and_b32_e32 v8, 7, v6
	s_mul_i32 s3, s25, s15
	s_mul_hi_u32 s4, s24, s15
	v_and_b32_e32 v3, 31, v1
	v_lshrrev_b32_e32 v5, 3, v1
	v_lshrrev_b32_e32 v11, 5, v1
	v_lshlrev_b32_e32 v15, 3, v8
	s_mul_i32 s2, s24, s15
	v_add_nc_u32_e32 v4, s9, v3
	v_add_nc_u32_e32 v13, s10, v5
	v_or_b32_e32 v16, s9, v3
	v_dual_mov_b32 v20, 0 :: v_dual_lshlrev_b32 v17, 3, v3
	s_delay_alu instid0(VALU_DEP_4) | instskip(SKIP_3) | instid1(VALU_DEP_4)
	v_ashrrev_i32_e32 v12, 31, v4
	v_mul_lo_u32 v14, s23, v4
	v_mad_u64_u32 v[1:2], null, s22, v4, 0
	v_cmp_gt_i32_e32 vcc_lo, s8, v16
	v_mul_lo_u32 v12, s22, v12
	v_mov_b32_e32 v16, 0
	v_ashrrev_i32_e32 v18, 31, v13
	v_mul_lo_u32 v19, s29, v13
	v_mad_u64_u32 v[3:4], null, s28, v13, 0
	s_add_i32 s3, s4, s3
	v_lshlrev_b32_e32 v9, 3, v6
	v_add3_u32 v2, v2, v12, v14
	v_mul_lo_u32 v14, s28, v18
	v_mov_b32_e32 v18, 0
	v_lshl_or_b32 v5, v5, 6, v15
	s_lshl_b64 s[4:5], s[2:3], 3
	v_lshlrev_b64 v[1:2], 3, v[1:2]
	v_cmp_gt_i32_e64 s2, s8, v13
	v_lshl_add_u32 v10, v7, 6, 0x800
	v_add_nc_u32_e32 v13, 0x800, v5
	v_add3_u32 v4, v4, v14, v19
	v_lshl_or_b32 v12, v11, 8, v17
	v_add_co_u32 v5, s3, v1, s4
	s_delay_alu instid0(VALU_DEP_1)
	v_add_co_ci_u32_e64 v14, s3, s5, v2, s3
	s_mul_i32 s3, s31, s15
	s_mul_hi_u32 s4, s30, s15
	v_lshlrev_b64 v[1:2], 3, v[3:4]
	s_add_i32 s5, s4, s3
	s_mul_i32 s4, s30, s15
	v_lshlrev_b32_e32 v3, 3, v11
	s_lshl_b64 s[4:5], s[4:5], 3
	v_mov_b32_e32 v17, 0
	v_add_co_u32 v1, s3, v1, s4
	s_delay_alu instid0(VALU_DEP_1) | instskip(SKIP_1) | instid1(VALU_DEP_1)
	v_add_co_ci_u32_e64 v2, s3, s5, v2, s3
	v_add_co_u32 v3, s3, v5, v3
	v_add_co_ci_u32_e64 v4, s3, 0, v14, s3
	v_mov_b32_e32 v14, 0
	v_add_co_u32 v1, s3, v1, v15
	s_delay_alu instid0(VALU_DEP_1) | instskip(SKIP_1) | instid1(VALU_DEP_1)
	v_add_co_ci_u32_e64 v5, s3, 0, v2, s3
	v_add_co_u32 v2, s3, s20, v3
	v_add_co_ci_u32_e64 v3, s3, s21, v4, s3
	s_delay_alu instid0(VALU_DEP_4) | instskip(NEXT) | instid1(VALU_DEP_1)
	v_add_co_u32 v4, s3, s26, v1
	v_add_co_ci_u32_e64 v5, s3, s27, v5, s3
	v_mov_b32_e32 v15, 0
	v_mov_b32_e32 v19, 0
	;; [unrolled: 1-line block ×3, first 2 shown]
	s_mov_b64 s[4:5], 0
	s_xor_b32 s3, vcc_lo, -1
	s_xor_b32 s2, s2, -1
	s_branch .LBB1143_3
.LBB1143_2:                             ;   in Loop: Header=BB1143_3 Depth=1
	s_or_b32 exec_lo, exec_lo, s6
	s_waitcnt lgkmcnt(0)
	s_barrier
	buffer_gl0_inv
	ds_load_2addr_b64 v[22:25], v9 offset1:16
	ds_load_b128 v[26:29], v10
	ds_load_b128 v[30:33], v10 offset:1024
	ds_load_b128 v[34:37], v10 offset:16
	;; [unrolled: 1-line block ×4, first 2 shown]
	ds_load_2addr_b64 v[46:49], v9 offset0:32 offset1:48
	ds_load_b128 v[50:53], v10 offset:1040
	s_add_u32 s4, s4, 8
	s_addc_u32 s5, s5, 0
	v_add_co_u32 v2, vcc_lo, v2, 64
	v_cmp_ge_i64_e64 s6, s[4:5], s[16:17]
	v_add_co_ci_u32_e32 v3, vcc_lo, 0, v3, vcc_lo
	v_add_co_u32 v4, vcc_lo, v4, 64
	v_add_co_ci_u32_e32 v5, vcc_lo, 0, v5, vcc_lo
	s_delay_alu instid0(VALU_DEP_4)
	s_and_b32 vcc_lo, exec_lo, s6
	s_waitcnt lgkmcnt(6)
	v_dual_mul_f32 v1, v27, v23 :: v_dual_mul_f32 v56, v26, v25
	v_dual_mul_f32 v54, v26, v23 :: v_dual_mul_f32 v55, v27, v25
	s_waitcnt lgkmcnt(5)
	v_mul_f32_e32 v58, v31, v25
	s_delay_alu instid0(VALU_DEP_3) | instskip(SKIP_3) | instid1(VALU_DEP_4)
	v_fma_f32 v1, v26, v22, -v1
	v_dual_mul_f32 v25, v30, v25 :: v_dual_fmac_f32 v56, v27, v24
	v_fmac_f32_e32 v54, v27, v22
	v_fma_f32 v26, v26, v24, -v55
	v_add_f32_e32 v1, v20, v1
	v_mul_f32_e32 v57, v31, v23
	s_delay_alu instid0(VALU_DEP_4) | instskip(SKIP_2) | instid1(VALU_DEP_4)
	v_dual_mul_f32 v23, v30, v23 :: v_dual_add_f32 v20, v21, v54
	v_fmac_f32_e32 v25, v31, v24
	v_dual_add_f32 v21, v18, v26 :: v_dual_add_f32 v26, v19, v56
	v_fma_f32 v27, v30, v22, -v57
	s_delay_alu instid0(VALU_DEP_4) | instskip(SKIP_3) | instid1(VALU_DEP_2)
	v_fmac_f32_e32 v23, v31, v22
	v_fma_f32 v22, v30, v24, -v58
	s_waitcnt lgkmcnt(1)
	v_mul_f32_e32 v30, v29, v47
	v_dual_add_f32 v27, v16, v27 :: v_dual_add_f32 v14, v14, v22
	v_dual_mul_f32 v22, v28, v47 :: v_dual_add_f32 v15, v15, v25
	v_mul_f32_e32 v25, v28, v49
	s_delay_alu instid0(VALU_DEP_4) | instskip(NEXT) | instid1(VALU_DEP_3)
	v_fma_f32 v24, v28, v46, -v30
	v_fmac_f32_e32 v22, v29, v46
	v_add_f32_e32 v23, v17, v23
	ds_load_2addr_b64 v[16:19], v9 offset0:64 offset1:80
	v_mul_f32_e32 v30, v29, v49
	v_fmac_f32_e32 v25, v29, v48
	v_add_f32_e32 v1, v1, v24
	s_delay_alu instid0(VALU_DEP_2) | instskip(SKIP_1) | instid1(VALU_DEP_1)
	v_add_f32_e32 v25, v26, v25
	v_mul_f32_e32 v26, v32, v49
	v_fmac_f32_e32 v26, v33, v48
	s_waitcnt lgkmcnt(0)
	s_delay_alu instid0(VALU_DEP_1) | instskip(SKIP_1) | instid1(VALU_DEP_2)
	v_dual_add_f32 v26, v15, v26 :: v_dual_mul_f32 v29, v34, v17
	v_mul_f32_e32 v15, v34, v19
	v_fmac_f32_e32 v29, v35, v16
	v_fma_f32 v24, v28, v48, -v30
	v_mul_f32_e32 v28, v33, v47
	v_add_f32_e32 v30, v20, v22
	v_mul_f32_e32 v20, v32, v47
	v_mul_f32_e32 v22, v33, v49
	v_add_f32_e32 v24, v21, v24
	v_fma_f32 v21, v32, v46, -v28
	s_delay_alu instid0(VALU_DEP_4) | instskip(SKIP_1) | instid1(VALU_DEP_3)
	v_dual_add_f32 v29, v30, v29 :: v_dual_fmac_f32 v20, v33, v46
	v_fmac_f32_e32 v15, v35, v18
	v_add_f32_e32 v27, v27, v21
	v_fma_f32 v21, v32, v48, -v22
	v_mul_f32_e32 v22, v35, v17
	v_mul_f32_e32 v32, v35, v19
	v_add_f32_e32 v28, v23, v20
	s_delay_alu instid0(VALU_DEP_4) | instskip(NEXT) | instid1(VALU_DEP_4)
	v_add_f32_e32 v14, v14, v21
	v_fma_f32 v31, v34, v16, -v22
	ds_load_2addr_b64 v[20:23], v9 offset0:96 offset1:112
	v_add_f32_e32 v1, v1, v31
	v_fma_f32 v31, v34, v18, -v32
	s_delay_alu instid0(VALU_DEP_1) | instskip(SKIP_3) | instid1(VALU_DEP_3)
	v_add_f32_e32 v24, v24, v31
	v_mul_f32_e32 v31, v51, v19
	v_mul_f32_e32 v19, v50, v19
	v_add_f32_e32 v32, v25, v15
	v_fma_f32 v15, v50, v18, -v31
	s_delay_alu instid0(VALU_DEP_3)
	v_fmac_f32_e32 v19, v51, v18
	v_mul_f32_e32 v30, v51, v17
	v_mul_f32_e32 v17, v50, v17
	s_waitcnt lgkmcnt(0)
	v_dual_mul_f32 v18, v37, v21 :: v_dual_add_f32 v31, v14, v15
	v_add_f32_e32 v33, v26, v19
	v_fma_f32 v30, v50, v16, -v30
	v_fmac_f32_e32 v17, v51, v16
	s_delay_alu instid0(VALU_DEP_4) | instskip(SKIP_1) | instid1(VALU_DEP_4)
	v_fma_f32 v18, v36, v20, -v18
	v_mul_f32_e32 v25, v36, v21
	v_dual_mul_f32 v19, v36, v23 :: v_dual_add_f32 v30, v27, v30
	s_delay_alu instid0(VALU_DEP_4) | instskip(SKIP_4) | instid1(VALU_DEP_2)
	v_add_f32_e32 v28, v28, v17
	ds_load_2addr_b64 v[14:17], v9 offset0:128 offset1:144
	v_add_f32_e32 v1, v1, v18
	v_mul_f32_e32 v18, v53, v21
	v_fmac_f32_e32 v19, v37, v22
	v_fma_f32 v18, v52, v20, -v18
	v_mul_f32_e32 v27, v37, v23
	s_delay_alu instid0(VALU_DEP_1) | instskip(NEXT) | instid1(VALU_DEP_3)
	v_fma_f32 v26, v36, v22, -v27
	v_add_f32_e32 v36, v30, v18
	s_waitcnt lgkmcnt(0)
	s_delay_alu instid0(VALU_DEP_2) | instskip(SKIP_2) | instid1(VALU_DEP_3)
	v_dual_add_f32 v35, v24, v26 :: v_dual_mul_f32 v46, v38, v15
	v_dual_fmac_f32 v25, v37, v20 :: v_dual_add_f32 v32, v32, v19
	v_mul_f32_e32 v18, v39, v15
	v_fmac_f32_e32 v46, v39, v14
	s_delay_alu instid0(VALU_DEP_3)
	v_add_f32_e32 v34, v29, v25
	v_mul_f32_e32 v29, v53, v23
	v_mul_f32_e32 v23, v52, v23
	ds_load_b128 v[24:27], v10 offset:1056
	v_add_f32_e32 v34, v34, v46
	v_fma_f32 v19, v52, v22, -v29
	v_mul_f32_e32 v21, v52, v21
	v_fmac_f32_e32 v23, v53, v22
	v_mul_f32_e32 v29, v39, v17
	s_delay_alu instid0(VALU_DEP_3) | instskip(NEXT) | instid1(VALU_DEP_3)
	v_dual_add_f32 v22, v31, v19 :: v_dual_fmac_f32 v21, v53, v20
	v_add_f32_e32 v23, v33, v23
	s_delay_alu instid0(VALU_DEP_2) | instskip(SKIP_4) | instid1(VALU_DEP_2)
	v_add_f32_e32 v37, v28, v21
	v_fma_f32 v28, v38, v14, -v18
	ds_load_2addr_b64 v[18:21], v9 offset0:160 offset1:176
	v_mul_f32_e32 v33, v38, v17
	v_fma_f32 v38, v38, v16, -v29
	v_fmac_f32_e32 v33, v39, v16
	s_delay_alu instid0(VALU_DEP_1)
	v_dual_add_f32 v35, v35, v38 :: v_dual_add_f32 v32, v32, v33
	v_add_f32_e32 v1, v1, v28
	ds_load_b128 v[28:31], v10 offset:1072
	s_waitcnt lgkmcnt(2)
	v_mul_f32_e32 v47, v25, v15
	v_mul_f32_e32 v15, v24, v15
	;; [unrolled: 1-line block ×4, first 2 shown]
	s_delay_alu instid0(VALU_DEP_4) | instskip(NEXT) | instid1(VALU_DEP_4)
	v_fma_f32 v38, v24, v14, -v47
	v_fmac_f32_e32 v15, v25, v14
	s_delay_alu instid0(VALU_DEP_4)
	v_fma_f32 v14, v24, v16, -v39
	s_waitcnt lgkmcnt(1)
	v_mul_f32_e32 v17, v41, v19
	v_dual_fmac_f32 v33, v25, v16 :: v_dual_add_f32 v36, v36, v38
	v_add_f32_e32 v24, v37, v15
	v_add_f32_e32 v22, v22, v14
	s_delay_alu instid0(VALU_DEP_4) | instskip(SKIP_2) | instid1(VALU_DEP_1)
	v_fma_f32 v37, v40, v18, -v17
	ds_load_2addr_b64 v[14:17], v9 offset0:192 offset1:208
	v_dual_mul_f32 v25, v40, v19 :: v_dual_mul_f32 v38, v41, v21
	v_fmac_f32_e32 v25, v41, v18
	s_delay_alu instid0(VALU_DEP_1) | instskip(SKIP_4) | instid1(VALU_DEP_3)
	v_add_f32_e32 v34, v34, v25
	v_add_f32_e32 v33, v23, v33
	v_mul_f32_e32 v23, v40, v21
	v_mul_f32_e32 v25, v27, v19
	;; [unrolled: 1-line block ×3, first 2 shown]
	v_fmac_f32_e32 v23, v41, v20
	s_delay_alu instid0(VALU_DEP_3) | instskip(NEXT) | instid1(VALU_DEP_2)
	v_fma_f32 v25, v26, v18, -v25
	v_dual_fmac_f32 v19, v27, v18 :: v_dual_add_f32 v18, v32, v23
	s_waitcnt lgkmcnt(0)
	v_dual_mul_f32 v32, v43, v15 :: v_dual_add_f32 v1, v1, v37
	v_fma_f32 v37, v40, v20, -v38
	s_delay_alu instid0(VALU_DEP_3) | instskip(NEXT) | instid1(VALU_DEP_3)
	v_add_f32_e32 v19, v24, v19
	v_fma_f32 v32, v42, v14, -v32
	s_delay_alu instid0(VALU_DEP_1) | instskip(NEXT) | instid1(VALU_DEP_4)
	v_add_f32_e32 v1, v1, v32
	v_add_f32_e32 v35, v35, v37
	v_mul_f32_e32 v37, v27, v21
	v_dual_mul_f32 v21, v26, v21 :: v_dual_mul_f32 v32, v29, v15
	s_delay_alu instid0(VALU_DEP_2) | instskip(NEXT) | instid1(VALU_DEP_2)
	v_fma_f32 v23, v26, v20, -v37
	v_dual_add_f32 v26, v36, v25 :: v_dual_fmac_f32 v21, v27, v20
	v_mul_f32_e32 v27, v42, v15
	v_mul_f32_e32 v15, v28, v15
	s_delay_alu instid0(VALU_DEP_4)
	v_add_f32_e32 v20, v22, v23
	ds_load_2addr_b64 v[22:25], v9 offset0:224 offset1:240
	v_fma_f32 v32, v28, v14, -v32
	v_dual_fmac_f32 v27, v43, v14 :: v_dual_mul_f32 v36, v42, v17
	v_fmac_f32_e32 v15, v29, v14
	s_waitcnt lgkmcnt(0)
	s_delay_alu instid0(VALU_DEP_3) | instskip(NEXT) | instid1(VALU_DEP_3)
	v_add_f32_e32 v14, v26, v32
	v_dual_add_f32 v27, v34, v27 :: v_dual_fmac_f32 v36, v43, v16
	s_delay_alu instid0(VALU_DEP_3)
	v_dual_mul_f32 v34, v29, v17 :: v_dual_add_f32 v15, v19, v15
	s_barrier
	buffer_gl0_inv
	v_mul_f32_e32 v26, v45, v23
	v_add_f32_e32 v21, v33, v21
	v_mul_f32_e32 v33, v43, v17
	v_mul_f32_e32 v17, v28, v17
	;; [unrolled: 1-line block ×3, first 2 shown]
	s_delay_alu instid0(VALU_DEP_3) | instskip(NEXT) | instid1(VALU_DEP_3)
	v_fma_f32 v33, v42, v16, -v33
	v_fmac_f32_e32 v17, v29, v16
	s_delay_alu instid0(VALU_DEP_3) | instskip(NEXT) | instid1(VALU_DEP_3)
	v_fmac_f32_e32 v19, v45, v24
	v_add_f32_e32 v33, v35, v33
	v_add_f32_e32 v35, v18, v36
	v_fma_f32 v18, v28, v16, -v34
	v_fma_f32 v16, v44, v22, -v26
	v_mul_f32_e32 v28, v44, v23
	v_dual_add_f32 v26, v21, v17 :: v_dual_mul_f32 v17, v30, v23
	s_delay_alu instid0(VALU_DEP_4) | instskip(NEXT) | instid1(VALU_DEP_4)
	v_dual_add_f32 v29, v20, v18 :: v_dual_mul_f32 v18, v45, v25
	v_add_f32_e32 v20, v1, v16
	v_mul_f32_e32 v16, v31, v23
	v_mul_f32_e32 v23, v31, v25
	;; [unrolled: 1-line block ×3, first 2 shown]
	v_fma_f32 v1, v44, v24, -v18
	v_fmac_f32_e32 v28, v45, v22
	v_fmac_f32_e32 v17, v31, v22
	v_add_f32_e32 v19, v35, v19
	s_delay_alu instid0(VALU_DEP_4)
	v_dual_fmac_f32 v25, v31, v24 :: v_dual_add_f32 v18, v33, v1
	v_fma_f32 v1, v30, v22, -v16
	v_fma_f32 v22, v30, v24, -v23
	v_add_f32_e32 v21, v27, v28
	v_add_f32_e32 v17, v15, v17
	;; [unrolled: 1-line block ×5, first 2 shown]
	s_cbranch_vccnz .LBB1143_11
.LBB1143_3:                             ; =>This Inner Loop Header: Depth=1
	v_add_co_u32 v22, s6, v11, s4
	s_delay_alu instid0(VALU_DEP_1) | instskip(NEXT) | instid1(VALU_DEP_1)
	v_add_co_ci_u32_e64 v23, null, 0, s5, s6
	v_cmp_le_i64_e32 vcc_lo, s[16:17], v[22:23]
	s_or_b32 s6, s3, vcc_lo
	s_delay_alu instid0(SALU_CYCLE_1) | instskip(NEXT) | instid1(SALU_CYCLE_1)
	s_and_saveexec_b32 s7, s6
	s_xor_b32 s6, exec_lo, s7
	s_cbranch_execz .LBB1143_5
; %bb.4:                                ;   in Loop: Header=BB1143_3 Depth=1
	v_mov_b32_e32 v1, v0
	ds_store_b64 v12, v[0:1]
.LBB1143_5:                             ;   in Loop: Header=BB1143_3 Depth=1
	s_and_not1_saveexec_b32 s6, s6
	s_cbranch_execz .LBB1143_7
; %bb.6:                                ;   in Loop: Header=BB1143_3 Depth=1
	global_load_b64 v[22:23], v[2:3], off
	s_waitcnt vmcnt(0)
	ds_store_b64 v12, v[22:23]
.LBB1143_7:                             ;   in Loop: Header=BB1143_3 Depth=1
	s_or_b32 exec_lo, exec_lo, s6
	v_add_co_u32 v22, s6, v8, s4
	s_delay_alu instid0(VALU_DEP_1) | instskip(NEXT) | instid1(VALU_DEP_1)
	v_add_co_ci_u32_e64 v23, null, 0, s5, s6
	v_cmp_le_i64_e32 vcc_lo, s[16:17], v[22:23]
	s_or_b32 s6, vcc_lo, s2
	s_delay_alu instid0(SALU_CYCLE_1) | instskip(NEXT) | instid1(SALU_CYCLE_1)
	s_and_saveexec_b32 s7, s6
	s_xor_b32 s6, exec_lo, s7
	s_cbranch_execz .LBB1143_9
; %bb.8:                                ;   in Loop: Header=BB1143_3 Depth=1
	v_mov_b32_e32 v1, v0
	ds_store_b64 v13, v[0:1]
.LBB1143_9:                             ;   in Loop: Header=BB1143_3 Depth=1
	s_and_not1_saveexec_b32 s6, s6
	s_cbranch_execz .LBB1143_2
; %bb.10:                               ;   in Loop: Header=BB1143_3 Depth=1
	global_load_b64 v[22:23], v[4:5], off
	s_waitcnt vmcnt(0)
	ds_store_b64 v13, v[22:23]
	s_branch .LBB1143_2
.LBB1143_11:
	s_load_b128 s[4:7], s[0:1], 0x50
	v_add_nc_u32_e32 v4, s10, v7
	s_load_b64 s[0:1], s[0:1], 0x60
	s_delay_alu instid0(VALU_DEP_1) | instskip(SKIP_2) | instid1(VALU_DEP_2)
	v_ashrrev_i32_e32 v0, 31, v4
	v_cmp_gt_i32_e32 vcc_lo, s8, v4
	s_waitcnt lgkmcnt(0)
	v_mul_lo_u32 v3, v0, s6
	v_mul_lo_u32 v5, v4, s7
	v_mad_u64_u32 v[1:2], null, v4, s6, 0
	s_mul_i32 s1, s15, s1
	s_mul_hi_u32 s2, s15, s0
	s_mul_i32 s0, s15, s0
	s_add_i32 s1, s2, s1
	v_add_nc_u32_e32 v0, s9, v6
	s_lshl_b64 s[2:3], s[0:1], 3
	s_delay_alu instid0(VALU_DEP_2) | instskip(SKIP_3) | instid1(VALU_DEP_2)
	v_add3_u32 v2, v2, v5, v3
	s_add_u32 s2, s4, s2
	s_addc_u32 s3, s5, s3
	v_cmp_le_i32_e64 s0, v0, v4
	v_lshlrev_b64 v[1:2], 3, v[1:2]
	s_delay_alu instid0(VALU_DEP_2) | instskip(NEXT) | instid1(VALU_DEP_1)
	s_and_b32 s0, vcc_lo, s0
	v_add_co_u32 v5, s1, s2, v1
	s_delay_alu instid0(VALU_DEP_1)
	v_add_co_ci_u32_e64 v6, s1, s3, v2, s1
	s_and_saveexec_b32 s1, s0
	s_cbranch_execz .LBB1143_13
; %bb.12:
	v_ashrrev_i32_e32 v1, 31, v0
	v_mul_f32_e32 v2, s18, v21
	v_mul_f32_e32 v3, s19, v21
	s_delay_alu instid0(VALU_DEP_3) | instskip(NEXT) | instid1(VALU_DEP_3)
	v_lshlrev_b64 v[7:8], 3, v[0:1]
	v_fmac_f32_e32 v2, s19, v20
	s_delay_alu instid0(VALU_DEP_3) | instskip(NEXT) | instid1(VALU_DEP_3)
	v_fma_f32 v1, v20, s18, -v3
	v_add_co_u32 v7, s0, v5, v7
	s_delay_alu instid0(VALU_DEP_1)
	v_add_co_ci_u32_e64 v8, s0, v6, v8, s0
	global_store_b64 v[7:8], v[1:2], off
.LBB1143_13:
	s_or_b32 exec_lo, exec_lo, s1
	v_add_nc_u32_e32 v2, 16, v0
	s_delay_alu instid0(VALU_DEP_1) | instskip(NEXT) | instid1(VALU_DEP_1)
	v_cmp_le_i32_e64 s0, v2, v4
	s_and_b32 s1, vcc_lo, s0
	s_delay_alu instid0(SALU_CYCLE_1)
	s_and_saveexec_b32 s0, s1
	s_cbranch_execz .LBB1143_15
; %bb.14:
	v_ashrrev_i32_e32 v3, 31, v2
	v_mul_f32_e32 v8, s18, v19
	v_mul_f32_e32 v1, s19, v19
	s_delay_alu instid0(VALU_DEP_3) | instskip(NEXT) | instid1(VALU_DEP_3)
	v_lshlrev_b64 v[9:10], 3, v[2:3]
	v_fmac_f32_e32 v8, s19, v18
	s_delay_alu instid0(VALU_DEP_3) | instskip(NEXT) | instid1(VALU_DEP_3)
	v_fma_f32 v7, v18, s18, -v1
	v_add_co_u32 v5, vcc_lo, v5, v9
	s_delay_alu instid0(VALU_DEP_4)
	v_add_co_ci_u32_e32 v6, vcc_lo, v6, v10, vcc_lo
	global_store_b64 v[5:6], v[7:8], off
.LBB1143_15:
	s_or_b32 exec_lo, exec_lo, s0
	v_add_nc_u32_e32 v3, 16, v4
	s_delay_alu instid0(VALU_DEP_1) | instskip(SKIP_3) | instid1(VALU_DEP_4)
	v_ashrrev_i32_e32 v1, 31, v3
	v_mul_lo_u32 v6, v3, s7
	v_mad_u64_u32 v[4:5], null, v3, s6, 0
	v_cmp_gt_i32_e32 vcc_lo, s8, v3
	v_mul_lo_u32 v1, v1, s6
	v_cmp_le_i32_e64 s0, v0, v3
	s_delay_alu instid0(VALU_DEP_1) | instskip(NEXT) | instid1(VALU_DEP_2)
	s_and_b32 s0, vcc_lo, s0
	v_add3_u32 v5, v5, v6, v1
	s_delay_alu instid0(VALU_DEP_1) | instskip(NEXT) | instid1(VALU_DEP_1)
	v_lshlrev_b64 v[4:5], 3, v[4:5]
	v_add_co_u32 v4, s1, s2, v4
	s_delay_alu instid0(VALU_DEP_1)
	v_add_co_ci_u32_e64 v5, s1, s3, v5, s1
	s_and_saveexec_b32 s1, s0
	s_cbranch_execz .LBB1143_17
; %bb.16:
	v_ashrrev_i32_e32 v1, 31, v0
	v_mul_f32_e32 v7, s18, v17
	v_mul_f32_e32 v6, s19, v17
	s_delay_alu instid0(VALU_DEP_3) | instskip(NEXT) | instid1(VALU_DEP_3)
	v_lshlrev_b64 v[0:1], 3, v[0:1]
	v_fmac_f32_e32 v7, s19, v16
	s_delay_alu instid0(VALU_DEP_3) | instskip(NEXT) | instid1(VALU_DEP_3)
	v_fma_f32 v6, v16, s18, -v6
	v_add_co_u32 v0, s0, v4, v0
	s_delay_alu instid0(VALU_DEP_1)
	v_add_co_ci_u32_e64 v1, s0, v5, v1, s0
	global_store_b64 v[0:1], v[6:7], off
.LBB1143_17:
	s_or_b32 exec_lo, exec_lo, s1
	v_cmp_le_i32_e64 s0, v2, v3
	s_delay_alu instid0(VALU_DEP_1) | instskip(NEXT) | instid1(SALU_CYCLE_1)
	s_and_b32 s0, vcc_lo, s0
	s_and_saveexec_b32 s1, s0
	s_cbranch_execz .LBB1143_19
; %bb.18:
	v_ashrrev_i32_e32 v3, 31, v2
	v_mul_f32_e32 v1, s18, v15
	v_mul_f32_e32 v0, s19, v15
	s_delay_alu instid0(VALU_DEP_3) | instskip(NEXT) | instid1(VALU_DEP_3)
	v_lshlrev_b64 v[2:3], 3, v[2:3]
	v_fmac_f32_e32 v1, s19, v14
	s_delay_alu instid0(VALU_DEP_3) | instskip(NEXT) | instid1(VALU_DEP_3)
	v_fma_f32 v0, v14, s18, -v0
	v_add_co_u32 v2, vcc_lo, v4, v2
	s_delay_alu instid0(VALU_DEP_4)
	v_add_co_ci_u32_e32 v3, vcc_lo, v5, v3, vcc_lo
	global_store_b64 v[2:3], v[0:1], off
.LBB1143_19:
	s_nop 0
	s_sendmsg sendmsg(MSG_DEALLOC_VGPRS)
	s_endpgm
	.section	.rodata,"a",@progbits
	.p2align	6, 0x0
	.amdhsa_kernel _ZL34rocblas_syrkx_herkx_general_kernelIl19rocblas_complex_numIfELi16ELi32ELi8ELb1ELb0ELc84ELc85EKS1_S1_EviT_T0_PT8_S3_lS6_S3_lS4_PT9_S3_li
		.amdhsa_group_segment_fixed_size 4096
		.amdhsa_private_segment_fixed_size 0
		.amdhsa_kernarg_size 108
		.amdhsa_user_sgpr_count 13
		.amdhsa_user_sgpr_dispatch_ptr 0
		.amdhsa_user_sgpr_queue_ptr 0
		.amdhsa_user_sgpr_kernarg_segment_ptr 1
		.amdhsa_user_sgpr_dispatch_id 0
		.amdhsa_user_sgpr_private_segment_size 0
		.amdhsa_wavefront_size32 1
		.amdhsa_uses_dynamic_stack 0
		.amdhsa_enable_private_segment 0
		.amdhsa_system_sgpr_workgroup_id_x 1
		.amdhsa_system_sgpr_workgroup_id_y 1
		.amdhsa_system_sgpr_workgroup_id_z 1
		.amdhsa_system_sgpr_workgroup_info 0
		.amdhsa_system_vgpr_workitem_id 1
		.amdhsa_next_free_vgpr 59
		.amdhsa_next_free_sgpr 32
		.amdhsa_reserve_vcc 1
		.amdhsa_float_round_mode_32 0
		.amdhsa_float_round_mode_16_64 0
		.amdhsa_float_denorm_mode_32 3
		.amdhsa_float_denorm_mode_16_64 3
		.amdhsa_dx10_clamp 1
		.amdhsa_ieee_mode 1
		.amdhsa_fp16_overflow 0
		.amdhsa_workgroup_processor_mode 1
		.amdhsa_memory_ordered 1
		.amdhsa_forward_progress 0
		.amdhsa_shared_vgpr_count 0
		.amdhsa_exception_fp_ieee_invalid_op 0
		.amdhsa_exception_fp_denorm_src 0
		.amdhsa_exception_fp_ieee_div_zero 0
		.amdhsa_exception_fp_ieee_overflow 0
		.amdhsa_exception_fp_ieee_underflow 0
		.amdhsa_exception_fp_ieee_inexact 0
		.amdhsa_exception_int_div_zero 0
	.end_amdhsa_kernel
	.section	.text._ZL34rocblas_syrkx_herkx_general_kernelIl19rocblas_complex_numIfELi16ELi32ELi8ELb1ELb0ELc84ELc85EKS1_S1_EviT_T0_PT8_S3_lS6_S3_lS4_PT9_S3_li,"axG",@progbits,_ZL34rocblas_syrkx_herkx_general_kernelIl19rocblas_complex_numIfELi16ELi32ELi8ELb1ELb0ELc84ELc85EKS1_S1_EviT_T0_PT8_S3_lS6_S3_lS4_PT9_S3_li,comdat
.Lfunc_end1143:
	.size	_ZL34rocblas_syrkx_herkx_general_kernelIl19rocblas_complex_numIfELi16ELi32ELi8ELb1ELb0ELc84ELc85EKS1_S1_EviT_T0_PT8_S3_lS6_S3_lS4_PT9_S3_li, .Lfunc_end1143-_ZL34rocblas_syrkx_herkx_general_kernelIl19rocblas_complex_numIfELi16ELi32ELi8ELb1ELb0ELc84ELc85EKS1_S1_EviT_T0_PT8_S3_lS6_S3_lS4_PT9_S3_li
                                        ; -- End function
	.section	.AMDGPU.csdata,"",@progbits
; Kernel info:
; codeLenInByte = 2556
; NumSgprs: 34
; NumVgprs: 59
; ScratchSize: 0
; MemoryBound: 1
; FloatMode: 240
; IeeeMode: 1
; LDSByteSize: 4096 bytes/workgroup (compile time only)
; SGPRBlocks: 4
; VGPRBlocks: 7
; NumSGPRsForWavesPerEU: 34
; NumVGPRsForWavesPerEU: 59
; Occupancy: 16
; WaveLimiterHint : 0
; COMPUTE_PGM_RSRC2:SCRATCH_EN: 0
; COMPUTE_PGM_RSRC2:USER_SGPR: 13
; COMPUTE_PGM_RSRC2:TRAP_HANDLER: 0
; COMPUTE_PGM_RSRC2:TGID_X_EN: 1
; COMPUTE_PGM_RSRC2:TGID_Y_EN: 1
; COMPUTE_PGM_RSRC2:TGID_Z_EN: 1
; COMPUTE_PGM_RSRC2:TIDIG_COMP_CNT: 1
	.section	.text._ZL34rocblas_syrkx_herkx_general_kernelIl19rocblas_complex_numIfELi16ELi32ELi8ELb1ELb0ELc67ELc85EKS1_S1_EviT_T0_PT8_S3_lS6_S3_lS4_PT9_S3_li,"axG",@progbits,_ZL34rocblas_syrkx_herkx_general_kernelIl19rocblas_complex_numIfELi16ELi32ELi8ELb1ELb0ELc67ELc85EKS1_S1_EviT_T0_PT8_S3_lS6_S3_lS4_PT9_S3_li,comdat
	.globl	_ZL34rocblas_syrkx_herkx_general_kernelIl19rocblas_complex_numIfELi16ELi32ELi8ELb1ELb0ELc67ELc85EKS1_S1_EviT_T0_PT8_S3_lS6_S3_lS4_PT9_S3_li ; -- Begin function _ZL34rocblas_syrkx_herkx_general_kernelIl19rocblas_complex_numIfELi16ELi32ELi8ELb1ELb0ELc67ELc85EKS1_S1_EviT_T0_PT8_S3_lS6_S3_lS4_PT9_S3_li
	.p2align	8
	.type	_ZL34rocblas_syrkx_herkx_general_kernelIl19rocblas_complex_numIfELi16ELi32ELi8ELb1ELb0ELc67ELc85EKS1_S1_EviT_T0_PT8_S3_lS6_S3_lS4_PT9_S3_li,@function
_ZL34rocblas_syrkx_herkx_general_kernelIl19rocblas_complex_numIfELi16ELi32ELi8ELb1ELb0ELc67ELc85EKS1_S1_EviT_T0_PT8_S3_lS6_S3_lS4_PT9_S3_li: ; @_ZL34rocblas_syrkx_herkx_general_kernelIl19rocblas_complex_numIfELi16ELi32ELi8ELb1ELb0ELc67ELc85EKS1_S1_EviT_T0_PT8_S3_lS6_S3_lS4_PT9_S3_li
; %bb.0:
	s_clause 0x1
	s_load_b512 s[16:31], s[0:1], 0x8
	s_load_b32 s8, s[0:1], 0x0
	v_dual_mov_b32 v22, 0 :: v_dual_mov_b32 v23, 0
	v_dual_mov_b32 v20, 0 :: v_dual_mov_b32 v21, 0
	v_dual_mov_b32 v18, 0 :: v_dual_mov_b32 v19, 0
	v_dual_mov_b32 v16, 0 :: v_dual_mov_b32 v17, 0
	v_and_b32_e32 v8, 0x3ff, v0
	v_bfe_u32 v9, v0, 10, 10
	s_lshl_b32 s9, s13, 5
	s_lshl_b32 s10, s14, 5
	s_waitcnt lgkmcnt(0)
	v_cmp_lt_i64_e64 s2, s[16:17], 1
	s_delay_alu instid0(VALU_DEP_1)
	s_and_b32 vcc_lo, exec_lo, s2
	s_cbranch_vccnz .LBB1144_9
; %bb.1:
	v_lshl_add_u32 v1, v9, 4, v8
	v_mov_b32_e32 v0, 0
	v_and_b32_e32 v10, 7, v8
	s_mul_i32 s3, s25, s15
	s_mul_hi_u32 s4, s24, s15
	v_and_b32_e32 v3, 31, v1
	v_lshrrev_b32_e32 v5, 3, v1
	v_lshrrev_b32_e32 v13, 5, v1
	s_mul_i32 s2, s24, s15
	s_add_i32 s3, s4, s3
	v_add_nc_u32_e32 v4, s9, v3
	v_add_nc_u32_e32 v7, s10, v5
	v_dual_mov_b32 v20, 0 :: v_dual_lshlrev_b32 v17, 3, v3
	v_or_b32_e32 v15, s9, v3
	s_delay_alu instid0(VALU_DEP_4) | instskip(SKIP_3) | instid1(VALU_DEP_4)
	v_ashrrev_i32_e32 v6, 31, v4
	v_mul_lo_u32 v14, s23, v4
	v_mad_u64_u32 v[1:2], null, s22, v4, 0
	v_ashrrev_i32_e32 v18, 31, v7
	v_mul_lo_u32 v6, s22, v6
	s_lshl_b64 s[4:5], s[2:3], 3
	v_cmp_gt_i32_e64 s2, s8, v15
	v_lshlrev_b32_e32 v11, 3, v8
	v_lshl_add_u32 v12, v9, 6, 0x800
	v_mov_b32_e32 v23, 0
	v_dual_mov_b32 v21, 0 :: v_dual_mov_b32 v22, 0
	v_add3_u32 v2, v2, v6, v14
	v_mul_lo_u32 v6, s28, v18
	v_lshl_or_b32 v14, v13, 8, v17
	v_dual_mov_b32 v17, 0 :: v_dual_lshlrev_b32 v16, 3, v10
	v_mov_b32_e32 v18, 0
	v_mul_lo_u32 v19, s29, v7
	v_mad_u64_u32 v[3:4], null, s28, v7, 0
	v_lshlrev_b64 v[1:2], 3, v[1:2]
	v_lshl_or_b32 v5, v5, 6, v16
	v_cmp_gt_i32_e32 vcc_lo, s8, v7
	v_lshlrev_b32_e32 v7, 3, v13
	v_add3_u32 v4, v4, v6, v19
	s_delay_alu instid0(VALU_DEP_4) | instskip(SKIP_1) | instid1(VALU_DEP_1)
	v_add_nc_u32_e32 v15, 0x800, v5
	v_add_co_u32 v5, s3, v1, s4
	v_add_co_ci_u32_e64 v6, s3, s5, v2, s3
	s_mul_i32 s3, s31, s15
	s_mul_hi_u32 s4, s30, s15
	v_lshlrev_b64 v[1:2], 3, v[3:4]
	s_add_i32 s5, s4, s3
	s_mul_i32 s4, s30, s15
	v_add_co_u32 v3, s3, v5, v7
	s_lshl_b64 s[4:5], s[4:5], 3
	v_add_co_ci_u32_e64 v4, s3, 0, v6, s3
	v_add_co_u32 v1, s3, v1, s4
	s_delay_alu instid0(VALU_DEP_1) | instskip(SKIP_1) | instid1(VALU_DEP_1)
	v_add_co_ci_u32_e64 v2, s3, s5, v2, s3
	v_add_co_u32 v3, s3, v3, s20
	v_add_co_ci_u32_e64 v4, s3, s21, v4, s3
	s_delay_alu instid0(VALU_DEP_4) | instskip(NEXT) | instid1(VALU_DEP_1)
	v_add_co_u32 v1, s3, v1, v16
	v_add_co_ci_u32_e64 v5, s3, 0, v2, s3
	s_delay_alu instid0(VALU_DEP_4) | instskip(NEXT) | instid1(VALU_DEP_1)
	;; [unrolled: 3-line block ×3, first 2 shown]
	v_add_co_u32 v4, s3, s26, v1
	v_add_co_ci_u32_e64 v5, s3, s27, v5, s3
	v_dual_mov_b32 v16, 0 :: v_dual_mov_b32 v19, 0
	s_mov_b64 s[4:5], 0
	s_xor_b32 s3, vcc_lo, -1
	s_branch .LBB1144_3
.LBB1144_2:                             ;   in Loop: Header=BB1144_3 Depth=1
	s_or_b32 exec_lo, exec_lo, s6
	s_waitcnt lgkmcnt(0)
	s_barrier
	buffer_gl0_inv
	ds_load_2addr_b64 v[24:27], v11 offset1:16
	ds_load_b128 v[28:31], v12
	ds_load_b128 v[32:35], v12 offset:1024
	ds_load_b128 v[36:39], v12 offset:16
	;; [unrolled: 1-line block ×4, first 2 shown]
	ds_load_2addr_b64 v[48:51], v11 offset0:32 offset1:48
	ds_load_b128 v[52:55], v12 offset:1040
	s_add_u32 s4, s4, 8
	s_addc_u32 s5, s5, 0
	v_add_co_u32 v2, vcc_lo, v2, 64
	v_cmp_ge_i64_e64 s6, s[4:5], s[16:17]
	v_add_co_ci_u32_e32 v3, vcc_lo, 0, v3, vcc_lo
	v_add_co_u32 v4, vcc_lo, v4, 64
	v_add_co_ci_u32_e32 v5, vcc_lo, 0, v5, vcc_lo
	s_delay_alu instid0(VALU_DEP_4)
	s_and_b32 vcc_lo, exec_lo, s6
	s_waitcnt lgkmcnt(6)
	v_dual_mul_f32 v1, v29, v25 :: v_dual_mul_f32 v56, v28, v27
	v_dual_mul_f32 v6, v28, v25 :: v_dual_mul_f32 v7, v29, v27
	s_waitcnt lgkmcnt(5)
	v_mul_f32_e32 v58, v33, v27
	s_delay_alu instid0(VALU_DEP_3) | instskip(SKIP_3) | instid1(VALU_DEP_4)
	v_fma_f32 v1, v28, v24, -v1
	v_dual_mul_f32 v27, v32, v27 :: v_dual_fmac_f32 v56, v29, v26
	v_fmac_f32_e32 v6, v29, v24
	v_fma_f32 v7, v28, v26, -v7
	v_add_f32_e32 v1, v22, v1
	v_mul_f32_e32 v57, v33, v25
	s_delay_alu instid0(VALU_DEP_4) | instskip(NEXT) | instid1(VALU_DEP_4)
	v_dual_mul_f32 v25, v32, v25 :: v_dual_add_f32 v6, v23, v6
	v_dual_add_f32 v7, v20, v7 :: v_dual_add_f32 v22, v21, v56
	s_delay_alu instid0(VALU_DEP_3) | instskip(NEXT) | instid1(VALU_DEP_3)
	v_fma_f32 v28, v32, v24, -v57
	v_fmac_f32_e32 v25, v33, v24
	v_fma_f32 v24, v32, v26, -v58
	v_fmac_f32_e32 v27, v33, v26
	s_waitcnt lgkmcnt(1)
	v_dual_add_f32 v23, v18, v28 :: v_dual_mul_f32 v28, v31, v49
	s_delay_alu instid0(VALU_DEP_3)
	v_dual_add_f32 v25, v19, v25 :: v_dual_add_f32 v16, v16, v24
	v_mul_f32_e32 v24, v30, v49
	ds_load_2addr_b64 v[18:21], v11 offset0:64 offset1:80
	v_fma_f32 v26, v30, v48, -v28
	v_mul_f32_e32 v28, v31, v51
	v_dual_add_f32 v17, v17, v27 :: v_dual_fmac_f32 v24, v31, v48
	v_mul_f32_e32 v27, v30, v51
	s_delay_alu instid0(VALU_DEP_4) | instskip(NEXT) | instid1(VALU_DEP_4)
	v_add_f32_e32 v1, v1, v26
	v_fma_f32 v26, v30, v50, -v28
	v_mul_f32_e32 v28, v35, v49
	s_delay_alu instid0(VALU_DEP_4) | instskip(SKIP_1) | instid1(VALU_DEP_1)
	v_dual_add_f32 v6, v6, v24 :: v_dual_fmac_f32 v27, v31, v50
	v_mul_f32_e32 v24, v34, v49
	v_dual_add_f32 v27, v22, v27 :: v_dual_fmac_f32 v24, v35, v48
	v_add_f32_e32 v7, v7, v26
	v_fma_f32 v26, v34, v48, -v28
	v_mul_f32_e32 v29, v34, v51
	s_waitcnt lgkmcnt(0)
	v_mul_f32_e32 v30, v36, v19
	v_mul_f32_e32 v32, v37, v21
	v_add_f32_e32 v26, v23, v26
	v_fmac_f32_e32 v29, v35, v50
	v_mul_f32_e32 v28, v35, v51
	v_fmac_f32_e32 v30, v37, v18
	s_delay_alu instid0(VALU_DEP_3) | instskip(SKIP_1) | instid1(VALU_DEP_4)
	v_add_f32_e32 v29, v17, v29
	v_mul_f32_e32 v17, v36, v21
	v_fma_f32 v22, v34, v50, -v28
	v_mul_f32_e32 v23, v37, v19
	v_add_f32_e32 v28, v25, v24
	v_add_f32_e32 v6, v6, v30
	v_mul_f32_e32 v30, v53, v19
	v_add_f32_e32 v16, v16, v22
	v_fma_f32 v31, v36, v18, -v23
	ds_load_2addr_b64 v[22:25], v11 offset0:96 offset1:112
	v_mul_f32_e32 v19, v52, v19
	v_add_f32_e32 v1, v1, v31
	v_fma_f32 v31, v36, v20, -v32
	s_delay_alu instid0(VALU_DEP_1) | instskip(SKIP_4) | instid1(VALU_DEP_2)
	v_add_f32_e32 v7, v7, v31
	v_mul_f32_e32 v31, v53, v21
	v_mul_f32_e32 v21, v52, v21
	v_fma_f32 v30, v52, v18, -v30
	v_fmac_f32_e32 v17, v37, v20
	v_dual_fmac_f32 v21, v53, v20 :: v_dual_add_f32 v30, v26, v30
	s_delay_alu instid0(VALU_DEP_2)
	v_dual_fmac_f32 v19, v53, v18 :: v_dual_add_f32 v32, v27, v17
	v_fma_f32 v17, v52, v20, -v31
	s_waitcnt lgkmcnt(0)
	v_mul_f32_e32 v26, v38, v23
	v_mul_f32_e32 v20, v39, v23
	v_dual_add_f32 v31, v28, v19 :: v_dual_add_f32 v34, v29, v21
	v_add_f32_e32 v33, v16, v17
	ds_load_2addr_b64 v[16:19], v11 offset0:128 offset1:144
	v_fmac_f32_e32 v26, v39, v22
	v_mul_f32_e32 v27, v39, v25
	v_mul_f32_e32 v21, v38, v25
	;; [unrolled: 1-line block ×4, first 2 shown]
	v_fma_f32 v20, v38, v22, -v20
	v_add_f32_e32 v6, v6, v26
	v_fma_f32 v27, v38, v24, -v27
	s_waitcnt lgkmcnt(0)
	v_dual_fmac_f32 v25, v55, v24 :: v_dual_mul_f32 v38, v40, v17
	s_delay_alu instid0(VALU_DEP_1) | instskip(NEXT) | instid1(VALU_DEP_2)
	v_dual_add_f32 v25, v34, v25 :: v_dual_mul_f32 v34, v40, v19
	v_fmac_f32_e32 v38, v41, v16
	v_fmac_f32_e32 v21, v39, v24
	v_dual_add_f32 v1, v1, v20 :: v_dual_mul_f32 v20, v55, v23
	s_delay_alu instid0(VALU_DEP_4) | instskip(NEXT) | instid1(VALU_DEP_4)
	v_fmac_f32_e32 v34, v41, v18
	v_add_f32_e32 v6, v6, v38
	s_delay_alu instid0(VALU_DEP_4)
	v_add_f32_e32 v36, v32, v21
	v_fma_f32 v21, v54, v24, -v35
	v_add_f32_e32 v7, v7, v27
	ds_load_b128 v[26:29], v12 offset:1056
	v_mul_f32_e32 v23, v54, v23
	v_fma_f32 v20, v54, v22, -v20
	v_add_f32_e32 v24, v33, v21
	v_add_f32_e32 v34, v36, v34
	s_delay_alu instid0(VALU_DEP_4) | instskip(NEXT) | instid1(VALU_DEP_4)
	v_fmac_f32_e32 v23, v55, v22
	v_dual_add_f32 v35, v30, v20 :: v_dual_mul_f32 v20, v41, v17
	s_delay_alu instid0(VALU_DEP_2) | instskip(SKIP_1) | instid1(VALU_DEP_3)
	v_add_f32_e32 v37, v31, v23
	v_mul_f32_e32 v31, v41, v19
	v_fma_f32 v30, v40, v16, -v20
	ds_load_2addr_b64 v[20:23], v11 offset0:160 offset1:176
	v_fma_f32 v39, v40, v18, -v31
	v_add_f32_e32 v1, v1, v30
	ds_load_b128 v[30:33], v12 offset:1072
	s_waitcnt lgkmcnt(2)
	v_mul_f32_e32 v36, v26, v19
	v_mul_f32_e32 v40, v27, v17
	s_delay_alu instid0(VALU_DEP_2) | instskip(NEXT) | instid1(VALU_DEP_2)
	v_dual_fmac_f32 v36, v27, v18 :: v_dual_mul_f32 v17, v26, v17
	v_fma_f32 v38, v26, v16, -v40
	s_delay_alu instid0(VALU_DEP_2)
	v_fmac_f32_e32 v17, v27, v16
	v_add_f32_e32 v7, v7, v39
	v_mul_f32_e32 v39, v27, v19
	s_waitcnt lgkmcnt(1)
	v_mul_f32_e32 v27, v42, v21
	v_mul_f32_e32 v19, v43, v21
	s_delay_alu instid0(VALU_DEP_3) | instskip(NEXT) | instid1(VALU_DEP_1)
	v_fma_f32 v16, v26, v18, -v39
	v_add_f32_e32 v24, v24, v16
	s_delay_alu instid0(VALU_DEP_4) | instskip(SKIP_1) | instid1(VALU_DEP_2)
	v_fmac_f32_e32 v27, v43, v20
	v_add_f32_e32 v36, v25, v36
	v_add_f32_e32 v6, v6, v27
	;; [unrolled: 1-line block ×3, first 2 shown]
	v_fma_f32 v37, v42, v20, -v19
	ds_load_2addr_b64 v[16:19], v11 offset0:192 offset1:208
	v_mul_f32_e32 v25, v42, v23
	v_add_f32_e32 v35, v35, v38
	v_dual_mul_f32 v38, v43, v23 :: v_dual_mul_f32 v27, v29, v21
	v_mul_f32_e32 v21, v28, v21
	s_delay_alu instid0(VALU_DEP_4) | instskip(NEXT) | instid1(VALU_DEP_3)
	v_fmac_f32_e32 v25, v43, v22
	v_fma_f32 v27, v28, v20, -v27
	s_delay_alu instid0(VALU_DEP_2) | instskip(NEXT) | instid1(VALU_DEP_1)
	v_dual_fmac_f32 v21, v29, v20 :: v_dual_add_f32 v20, v34, v25
	v_add_f32_e32 v21, v26, v21
	s_waitcnt lgkmcnt(0)
	v_mul_f32_e32 v34, v45, v17
	v_add_f32_e32 v1, v1, v37
	v_fma_f32 v37, v42, v22, -v38
	s_delay_alu instid0(VALU_DEP_3) | instskip(NEXT) | instid1(VALU_DEP_2)
	v_fma_f32 v34, v44, v16, -v34
	v_add_f32_e32 v7, v7, v37
	v_mul_f32_e32 v37, v29, v23
	v_mul_f32_e32 v23, v28, v23
	s_delay_alu instid0(VALU_DEP_2) | instskip(SKIP_3) | instid1(VALU_DEP_2)
	v_fma_f32 v25, v28, v22, -v37
	v_add_f32_e32 v28, v35, v27
	v_mul_f32_e32 v35, v45, v19
	v_dual_add_f32 v1, v1, v34 :: v_dual_mul_f32 v34, v31, v17
	v_fma_f32 v35, v44, v18, -v35
	s_delay_alu instid0(VALU_DEP_1)
	v_add_f32_e32 v7, v7, v35
	v_dual_fmac_f32 v23, v29, v22 :: v_dual_add_f32 v22, v24, v25
	ds_load_2addr_b64 v[24:27], v11 offset0:224 offset1:240
	s_waitcnt lgkmcnt(0)
	s_barrier
	v_add_f32_e32 v23, v36, v23
	v_mul_f32_e32 v29, v44, v17
	v_dual_mul_f32 v36, v44, v19 :: v_dual_mul_f32 v17, v30, v17
	buffer_gl0_inv
	v_fmac_f32_e32 v29, v45, v16
	v_dual_fmac_f32 v36, v45, v18 :: v_dual_fmac_f32 v17, v31, v16
	s_delay_alu instid0(VALU_DEP_2) | instskip(SKIP_1) | instid1(VALU_DEP_3)
	v_add_f32_e32 v6, v6, v29
	v_fma_f32 v29, v30, v16, -v34
	v_dual_mul_f32 v34, v31, v19 :: v_dual_add_f32 v35, v20, v36
	s_delay_alu instid0(VALU_DEP_2) | instskip(NEXT) | instid1(VALU_DEP_2)
	v_dual_mul_f32 v19, v30, v19 :: v_dual_add_f32 v16, v28, v29
	v_fma_f32 v20, v30, v18, -v34
	v_mul_f32_e32 v28, v47, v25
	v_mul_f32_e32 v29, v46, v25
	s_delay_alu instid0(VALU_DEP_3) | instskip(NEXT) | instid1(VALU_DEP_3)
	v_dual_fmac_f32 v19, v31, v18 :: v_dual_add_f32 v30, v22, v20
	v_fma_f32 v18, v46, v24, -v28
	s_delay_alu instid0(VALU_DEP_3)
	v_fmac_f32_e32 v29, v47, v24
	v_dual_mul_f32 v20, v47, v27 :: v_dual_add_f32 v17, v21, v17
	v_mul_f32_e32 v21, v46, v27
	v_add_f32_e32 v28, v23, v19
	v_add_f32_e32 v22, v1, v18
	v_dual_mul_f32 v18, v33, v27 :: v_dual_add_f32 v23, v6, v29
	v_fma_f32 v1, v46, v26, -v20
	v_mul_f32_e32 v6, v33, v25
	v_mul_f32_e32 v19, v32, v25
	;; [unrolled: 1-line block ×3, first 2 shown]
	v_fmac_f32_e32 v21, v47, v26
	v_add_f32_e32 v20, v7, v1
	v_fma_f32 v1, v32, v24, -v6
	v_fmac_f32_e32 v19, v33, v24
	v_fma_f32 v6, v32, v26, -v18
	v_fmac_f32_e32 v25, v33, v26
	v_add_f32_e32 v21, v35, v21
	s_delay_alu instid0(VALU_DEP_4) | instskip(NEXT) | instid1(VALU_DEP_3)
	v_dual_add_f32 v18, v16, v1 :: v_dual_add_f32 v19, v17, v19
	v_dual_add_f32 v16, v30, v6 :: v_dual_add_f32 v17, v28, v25
	s_cbranch_vccnz .LBB1144_9
.LBB1144_3:                             ; =>This Inner Loop Header: Depth=1
	v_add_co_u32 v6, s6, v13, s4
	s_delay_alu instid0(VALU_DEP_1) | instskip(NEXT) | instid1(VALU_DEP_1)
	v_add_co_ci_u32_e64 v7, null, 0, s5, s6
	v_cmp_gt_i64_e32 vcc_lo, s[16:17], v[6:7]
	v_dual_mov_b32 v6, 0 :: v_dual_mov_b32 v7, 0
	s_and_b32 s7, s2, vcc_lo
	s_delay_alu instid0(SALU_CYCLE_1)
	s_and_saveexec_b32 s6, s7
	s_cbranch_execz .LBB1144_5
; %bb.4:                                ;   in Loop: Header=BB1144_3 Depth=1
	global_load_b64 v[6:7], v[2:3], off offset:-4
.LBB1144_5:                             ;   in Loop: Header=BB1144_3 Depth=1
	s_or_b32 exec_lo, exec_lo, s6
	v_add_co_u32 v24, s6, v10, s4
	s_delay_alu instid0(VALU_DEP_1) | instskip(SKIP_4) | instid1(SALU_CYCLE_1)
	v_add_co_ci_u32_e64 v25, null, 0, s5, s6
	s_waitcnt vmcnt(0)
	ds_store_b64 v14, v[6:7]
	v_cmp_le_i64_e32 vcc_lo, s[16:17], v[24:25]
	s_or_b32 s6, vcc_lo, s3
	s_and_saveexec_b32 s7, s6
	s_delay_alu instid0(SALU_CYCLE_1)
	s_xor_b32 s6, exec_lo, s7
	s_cbranch_execz .LBB1144_7
; %bb.6:                                ;   in Loop: Header=BB1144_3 Depth=1
	v_mov_b32_e32 v1, v0
	ds_store_b64 v15, v[0:1]
.LBB1144_7:                             ;   in Loop: Header=BB1144_3 Depth=1
	s_and_not1_saveexec_b32 s6, s6
	s_cbranch_execz .LBB1144_2
; %bb.8:                                ;   in Loop: Header=BB1144_3 Depth=1
	global_load_b64 v[6:7], v[4:5], off
	s_waitcnt vmcnt(0)
	ds_store_b64 v15, v[6:7]
	s_branch .LBB1144_2
.LBB1144_9:
	s_load_b128 s[4:7], s[0:1], 0x50
	v_add_nc_u32_e32 v4, s10, v9
	s_load_b64 s[0:1], s[0:1], 0x60
	s_delay_alu instid0(VALU_DEP_1) | instskip(SKIP_2) | instid1(VALU_DEP_2)
	v_ashrrev_i32_e32 v0, 31, v4
	v_cmp_gt_i32_e32 vcc_lo, s8, v4
	s_waitcnt lgkmcnt(0)
	v_mul_lo_u32 v3, v0, s6
	v_mul_lo_u32 v5, v4, s7
	v_mad_u64_u32 v[1:2], null, v4, s6, 0
	s_mul_i32 s1, s15, s1
	s_mul_hi_u32 s2, s15, s0
	s_mul_i32 s0, s15, s0
	s_add_i32 s1, s2, s1
	v_add_nc_u32_e32 v0, s9, v8
	s_lshl_b64 s[2:3], s[0:1], 3
	s_delay_alu instid0(VALU_DEP_2) | instskip(SKIP_3) | instid1(VALU_DEP_2)
	v_add3_u32 v2, v2, v5, v3
	s_add_u32 s2, s4, s2
	s_addc_u32 s3, s5, s3
	v_cmp_le_i32_e64 s0, v0, v4
	v_lshlrev_b64 v[1:2], 3, v[1:2]
	s_delay_alu instid0(VALU_DEP_2) | instskip(NEXT) | instid1(VALU_DEP_1)
	s_and_b32 s0, vcc_lo, s0
	v_add_co_u32 v5, s1, s2, v1
	s_delay_alu instid0(VALU_DEP_1)
	v_add_co_ci_u32_e64 v6, s1, s3, v2, s1
	s_and_saveexec_b32 s1, s0
	s_cbranch_execz .LBB1144_11
; %bb.10:
	v_ashrrev_i32_e32 v1, 31, v0
	v_mul_f32_e32 v2, s18, v23
	v_mul_f32_e32 v3, s19, v23
	s_delay_alu instid0(VALU_DEP_3) | instskip(NEXT) | instid1(VALU_DEP_3)
	v_lshlrev_b64 v[7:8], 3, v[0:1]
	v_fmac_f32_e32 v2, s19, v22
	s_delay_alu instid0(VALU_DEP_3) | instskip(NEXT) | instid1(VALU_DEP_3)
	v_fma_f32 v1, v22, s18, -v3
	v_add_co_u32 v7, s0, v5, v7
	s_delay_alu instid0(VALU_DEP_1)
	v_add_co_ci_u32_e64 v8, s0, v6, v8, s0
	global_store_b64 v[7:8], v[1:2], off
.LBB1144_11:
	s_or_b32 exec_lo, exec_lo, s1
	v_add_nc_u32_e32 v2, 16, v0
	s_delay_alu instid0(VALU_DEP_1) | instskip(NEXT) | instid1(VALU_DEP_1)
	v_cmp_le_i32_e64 s0, v2, v4
	s_and_b32 s1, vcc_lo, s0
	s_delay_alu instid0(SALU_CYCLE_1)
	s_and_saveexec_b32 s0, s1
	s_cbranch_execz .LBB1144_13
; %bb.12:
	v_ashrrev_i32_e32 v3, 31, v2
	v_mul_f32_e32 v8, s18, v21
	v_mul_f32_e32 v1, s19, v21
	s_delay_alu instid0(VALU_DEP_3) | instskip(NEXT) | instid1(VALU_DEP_3)
	v_lshlrev_b64 v[9:10], 3, v[2:3]
	v_fmac_f32_e32 v8, s19, v20
	s_delay_alu instid0(VALU_DEP_3) | instskip(NEXT) | instid1(VALU_DEP_3)
	v_fma_f32 v7, v20, s18, -v1
	v_add_co_u32 v5, vcc_lo, v5, v9
	s_delay_alu instid0(VALU_DEP_4)
	v_add_co_ci_u32_e32 v6, vcc_lo, v6, v10, vcc_lo
	global_store_b64 v[5:6], v[7:8], off
.LBB1144_13:
	s_or_b32 exec_lo, exec_lo, s0
	v_add_nc_u32_e32 v3, 16, v4
	s_delay_alu instid0(VALU_DEP_1) | instskip(SKIP_3) | instid1(VALU_DEP_4)
	v_ashrrev_i32_e32 v1, 31, v3
	v_mul_lo_u32 v6, v3, s7
	v_mad_u64_u32 v[4:5], null, v3, s6, 0
	v_cmp_gt_i32_e32 vcc_lo, s8, v3
	v_mul_lo_u32 v1, v1, s6
	v_cmp_le_i32_e64 s0, v0, v3
	s_delay_alu instid0(VALU_DEP_1) | instskip(NEXT) | instid1(VALU_DEP_2)
	s_and_b32 s0, vcc_lo, s0
	v_add3_u32 v5, v5, v6, v1
	s_delay_alu instid0(VALU_DEP_1) | instskip(NEXT) | instid1(VALU_DEP_1)
	v_lshlrev_b64 v[4:5], 3, v[4:5]
	v_add_co_u32 v4, s1, s2, v4
	s_delay_alu instid0(VALU_DEP_1)
	v_add_co_ci_u32_e64 v5, s1, s3, v5, s1
	s_and_saveexec_b32 s1, s0
	s_cbranch_execz .LBB1144_15
; %bb.14:
	v_ashrrev_i32_e32 v1, 31, v0
	v_mul_f32_e32 v7, s18, v19
	v_mul_f32_e32 v6, s19, v19
	s_delay_alu instid0(VALU_DEP_3) | instskip(NEXT) | instid1(VALU_DEP_3)
	v_lshlrev_b64 v[0:1], 3, v[0:1]
	v_fmac_f32_e32 v7, s19, v18
	s_delay_alu instid0(VALU_DEP_3) | instskip(NEXT) | instid1(VALU_DEP_3)
	v_fma_f32 v6, v18, s18, -v6
	v_add_co_u32 v0, s0, v4, v0
	s_delay_alu instid0(VALU_DEP_1)
	v_add_co_ci_u32_e64 v1, s0, v5, v1, s0
	global_store_b64 v[0:1], v[6:7], off
.LBB1144_15:
	s_or_b32 exec_lo, exec_lo, s1
	v_cmp_le_i32_e64 s0, v2, v3
	s_delay_alu instid0(VALU_DEP_1) | instskip(NEXT) | instid1(SALU_CYCLE_1)
	s_and_b32 s0, vcc_lo, s0
	s_and_saveexec_b32 s1, s0
	s_cbranch_execz .LBB1144_17
; %bb.16:
	v_ashrrev_i32_e32 v3, 31, v2
	v_mul_f32_e32 v1, s18, v17
	v_mul_f32_e32 v0, s19, v17
	s_delay_alu instid0(VALU_DEP_3) | instskip(NEXT) | instid1(VALU_DEP_3)
	v_lshlrev_b64 v[2:3], 3, v[2:3]
	v_fmac_f32_e32 v1, s19, v16
	s_delay_alu instid0(VALU_DEP_3) | instskip(NEXT) | instid1(VALU_DEP_3)
	v_fma_f32 v0, v16, s18, -v0
	v_add_co_u32 v2, vcc_lo, v4, v2
	s_delay_alu instid0(VALU_DEP_4)
	v_add_co_ci_u32_e32 v3, vcc_lo, v5, v3, vcc_lo
	global_store_b64 v[2:3], v[0:1], off
.LBB1144_17:
	s_nop 0
	s_sendmsg sendmsg(MSG_DEALLOC_VGPRS)
	s_endpgm
	.section	.rodata,"a",@progbits
	.p2align	6, 0x0
	.amdhsa_kernel _ZL34rocblas_syrkx_herkx_general_kernelIl19rocblas_complex_numIfELi16ELi32ELi8ELb1ELb0ELc67ELc85EKS1_S1_EviT_T0_PT8_S3_lS6_S3_lS4_PT9_S3_li
		.amdhsa_group_segment_fixed_size 4096
		.amdhsa_private_segment_fixed_size 0
		.amdhsa_kernarg_size 108
		.amdhsa_user_sgpr_count 13
		.amdhsa_user_sgpr_dispatch_ptr 0
		.amdhsa_user_sgpr_queue_ptr 0
		.amdhsa_user_sgpr_kernarg_segment_ptr 1
		.amdhsa_user_sgpr_dispatch_id 0
		.amdhsa_user_sgpr_private_segment_size 0
		.amdhsa_wavefront_size32 1
		.amdhsa_uses_dynamic_stack 0
		.amdhsa_enable_private_segment 0
		.amdhsa_system_sgpr_workgroup_id_x 1
		.amdhsa_system_sgpr_workgroup_id_y 1
		.amdhsa_system_sgpr_workgroup_id_z 1
		.amdhsa_system_sgpr_workgroup_info 0
		.amdhsa_system_vgpr_workitem_id 1
		.amdhsa_next_free_vgpr 59
		.amdhsa_next_free_sgpr 32
		.amdhsa_reserve_vcc 1
		.amdhsa_float_round_mode_32 0
		.amdhsa_float_round_mode_16_64 0
		.amdhsa_float_denorm_mode_32 3
		.amdhsa_float_denorm_mode_16_64 3
		.amdhsa_dx10_clamp 1
		.amdhsa_ieee_mode 1
		.amdhsa_fp16_overflow 0
		.amdhsa_workgroup_processor_mode 1
		.amdhsa_memory_ordered 1
		.amdhsa_forward_progress 0
		.amdhsa_shared_vgpr_count 0
		.amdhsa_exception_fp_ieee_invalid_op 0
		.amdhsa_exception_fp_denorm_src 0
		.amdhsa_exception_fp_ieee_div_zero 0
		.amdhsa_exception_fp_ieee_overflow 0
		.amdhsa_exception_fp_ieee_underflow 0
		.amdhsa_exception_fp_ieee_inexact 0
		.amdhsa_exception_int_div_zero 0
	.end_amdhsa_kernel
	.section	.text._ZL34rocblas_syrkx_herkx_general_kernelIl19rocblas_complex_numIfELi16ELi32ELi8ELb1ELb0ELc67ELc85EKS1_S1_EviT_T0_PT8_S3_lS6_S3_lS4_PT9_S3_li,"axG",@progbits,_ZL34rocblas_syrkx_herkx_general_kernelIl19rocblas_complex_numIfELi16ELi32ELi8ELb1ELb0ELc67ELc85EKS1_S1_EviT_T0_PT8_S3_lS6_S3_lS4_PT9_S3_li,comdat
.Lfunc_end1144:
	.size	_ZL34rocblas_syrkx_herkx_general_kernelIl19rocblas_complex_numIfELi16ELi32ELi8ELb1ELb0ELc67ELc85EKS1_S1_EviT_T0_PT8_S3_lS6_S3_lS4_PT9_S3_li, .Lfunc_end1144-_ZL34rocblas_syrkx_herkx_general_kernelIl19rocblas_complex_numIfELi16ELi32ELi8ELb1ELb0ELc67ELc85EKS1_S1_EviT_T0_PT8_S3_lS6_S3_lS4_PT9_S3_li
                                        ; -- End function
	.section	.AMDGPU.csdata,"",@progbits
; Kernel info:
; codeLenInByte = 2536
; NumSgprs: 34
; NumVgprs: 59
; ScratchSize: 0
; MemoryBound: 1
; FloatMode: 240
; IeeeMode: 1
; LDSByteSize: 4096 bytes/workgroup (compile time only)
; SGPRBlocks: 4
; VGPRBlocks: 7
; NumSGPRsForWavesPerEU: 34
; NumVGPRsForWavesPerEU: 59
; Occupancy: 16
; WaveLimiterHint : 0
; COMPUTE_PGM_RSRC2:SCRATCH_EN: 0
; COMPUTE_PGM_RSRC2:USER_SGPR: 13
; COMPUTE_PGM_RSRC2:TRAP_HANDLER: 0
; COMPUTE_PGM_RSRC2:TGID_X_EN: 1
; COMPUTE_PGM_RSRC2:TGID_Y_EN: 1
; COMPUTE_PGM_RSRC2:TGID_Z_EN: 1
; COMPUTE_PGM_RSRC2:TIDIG_COMP_CNT: 1
	.section	.text._ZL34rocblas_syrkx_herkx_general_kernelIl19rocblas_complex_numIfELi16ELi32ELi8ELb1ELb0ELc78ELc85EKS1_S1_EviT_T0_PT8_S3_lS6_S3_lS4_PT9_S3_li,"axG",@progbits,_ZL34rocblas_syrkx_herkx_general_kernelIl19rocblas_complex_numIfELi16ELi32ELi8ELb1ELb0ELc78ELc85EKS1_S1_EviT_T0_PT8_S3_lS6_S3_lS4_PT9_S3_li,comdat
	.globl	_ZL34rocblas_syrkx_herkx_general_kernelIl19rocblas_complex_numIfELi16ELi32ELi8ELb1ELb0ELc78ELc85EKS1_S1_EviT_T0_PT8_S3_lS6_S3_lS4_PT9_S3_li ; -- Begin function _ZL34rocblas_syrkx_herkx_general_kernelIl19rocblas_complex_numIfELi16ELi32ELi8ELb1ELb0ELc78ELc85EKS1_S1_EviT_T0_PT8_S3_lS6_S3_lS4_PT9_S3_li
	.p2align	8
	.type	_ZL34rocblas_syrkx_herkx_general_kernelIl19rocblas_complex_numIfELi16ELi32ELi8ELb1ELb0ELc78ELc85EKS1_S1_EviT_T0_PT8_S3_lS6_S3_lS4_PT9_S3_li,@function
_ZL34rocblas_syrkx_herkx_general_kernelIl19rocblas_complex_numIfELi16ELi32ELi8ELb1ELb0ELc78ELc85EKS1_S1_EviT_T0_PT8_S3_lS6_S3_lS4_PT9_S3_li: ; @_ZL34rocblas_syrkx_herkx_general_kernelIl19rocblas_complex_numIfELi16ELi32ELi8ELb1ELb0ELc78ELc85EKS1_S1_EviT_T0_PT8_S3_lS6_S3_lS4_PT9_S3_li
; %bb.0:
	s_clause 0x1
	s_load_b512 s[16:31], s[0:1], 0x8
	s_load_b32 s10, s[0:1], 0x0
	v_dual_mov_b32 v22, 0 :: v_dual_mov_b32 v23, 0
	v_dual_mov_b32 v20, 0 :: v_dual_mov_b32 v21, 0
	v_dual_mov_b32 v18, 0 :: v_dual_mov_b32 v19, 0
	v_dual_mov_b32 v16, 0 :: v_dual_mov_b32 v17, 0
	v_and_b32_e32 v8, 0x3ff, v0
	v_bfe_u32 v9, v0, 10, 10
	s_lshl_b32 s11, s13, 5
	s_lshl_b32 s12, s14, 5
	s_waitcnt lgkmcnt(0)
	v_cmp_lt_i64_e64 s2, s[16:17], 1
	s_delay_alu instid0(VALU_DEP_1)
	s_and_b32 vcc_lo, exec_lo, s2
	s_cbranch_vccnz .LBB1145_9
; %bb.1:
	v_lshl_add_u32 v5, v9, 4, v8
	v_and_b32_e32 v10, 7, v8
	s_mul_i32 s3, s25, s15
	s_mul_hi_u32 s4, s24, s15
	s_mul_i32 s2, s24, s15
	v_lshrrev_b32_e32 v11, 5, v5
	v_mad_u64_u32 v[3:4], null, s28, v10, 0
	v_lshrrev_b32_e32 v7, 3, v5
	v_dual_mov_b32 v21, 0 :: v_dual_and_b32 v14, 31, v5
	s_delay_alu instid0(VALU_DEP_4) | instskip(SKIP_1) | instid1(VALU_DEP_2)
	v_mad_u64_u32 v[1:2], null, s22, v11, 0
	s_add_i32 s3, s4, s3
	v_or_b32_e32 v15, s11, v14
	v_dual_mov_b32 v0, 0 :: v_dual_lshlrev_b32 v17, 3, v14
	s_lshl_b64 s[4:5], s[2:3], 3
	v_mov_b32_e32 v23, 0
	s_delay_alu instid0(VALU_DEP_4)
	v_mad_u64_u32 v[5:6], null, s23, v11, v[2:3]
	v_lshlrev_b32_e32 v2, 3, v10
	v_add_nc_u32_e32 v6, s12, v7
	v_cmp_gt_i32_e32 vcc_lo, s10, v15
	v_add_nc_u32_e32 v16, s11, v14
	s_mul_i32 s6, s31, s15
	v_lshl_or_b32 v7, v7, 6, v2
	v_mov_b32_e32 v2, v5
	v_mad_u64_u32 v[18:19], null, s29, v10, v[4:5]
	v_lshl_or_b32 v14, v11, 8, v17
	s_delay_alu instid0(VALU_DEP_4) | instskip(NEXT) | instid1(VALU_DEP_4)
	v_add_nc_u32_e32 v15, 0x800, v7
	v_lshlrev_b64 v[1:2], 3, v[1:2]
	v_ashrrev_i32_e32 v17, 31, v16
	v_ashrrev_i32_e32 v7, 31, v6
	v_dual_mov_b32 v19, 0 :: v_dual_lshlrev_b32 v12, 3, v8
	v_mov_b32_e32 v4, v18
	v_add_co_u32 v5, s3, v1, s4
	s_delay_alu instid0(VALU_DEP_1) | instskip(SKIP_1) | instid1(VALU_DEP_3)
	v_add_co_ci_u32_e64 v18, s3, s5, v2, s3
	s_mul_hi_u32 s3, s30, s15
	v_lshlrev_b64 v[1:2], 3, v[3:4]
	s_add_i32 s5, s3, s6
	s_mul_i32 s4, s30, s15
	v_lshlrev_b64 v[3:4], 3, v[16:17]
	s_lshl_b64 s[4:5], s[4:5], 3
	v_lshl_add_u32 v13, v9, 6, 0x800
	v_add_co_u32 v16, s3, s4, v1
	s_delay_alu instid0(VALU_DEP_1) | instskip(SKIP_2) | instid1(VALU_DEP_1)
	v_add_co_ci_u32_e64 v17, s3, s5, v2, s3
	v_lshlrev_b64 v[1:2], 3, v[6:7]
	v_add_co_u32 v3, s3, v5, v3
	v_add_co_ci_u32_e64 v4, s3, v18, v4, s3
	v_cmp_gt_i32_e64 s2, s10, v6
	s_delay_alu instid0(VALU_DEP_4) | instskip(NEXT) | instid1(VALU_DEP_1)
	v_add_co_u32 v1, s3, v16, v1
	v_add_co_ci_u32_e64 v5, s3, v17, v2, s3
	v_add_co_u32 v2, s3, s20, v3
	s_delay_alu instid0(VALU_DEP_1) | instskip(NEXT) | instid1(VALU_DEP_4)
	v_add_co_ci_u32_e64 v3, s3, s21, v4, s3
	v_add_co_u32 v1, s3, v1, s26
	s_delay_alu instid0(VALU_DEP_1) | instskip(SKIP_1) | instid1(VALU_DEP_3)
	v_add_co_ci_u32_e64 v5, s3, s27, v5, s3
	v_mov_b32_e32 v17, 0
	v_add_co_u32 v4, s3, v1, 4
	s_delay_alu instid0(VALU_DEP_1)
	v_add_co_ci_u32_e64 v5, s3, 0, v5, s3
	v_mov_b32_e32 v16, 0
	v_mov_b32_e32 v18, 0
	;; [unrolled: 1-line block ×4, first 2 shown]
	s_lshl_b64 s[4:5], s[22:23], 6
	s_lshl_b64 s[6:7], s[28:29], 6
	s_mov_b64 s[8:9], 0
	s_xor_b32 s3, vcc_lo, -1
	s_branch .LBB1145_3
.LBB1145_2:                             ;   in Loop: Header=BB1145_3 Depth=1
	s_or_b32 exec_lo, exec_lo, s13
	s_waitcnt vmcnt(0)
	ds_store_b64 v15, v[6:7]
	s_waitcnt lgkmcnt(0)
	s_barrier
	buffer_gl0_inv
	ds_load_2addr_b64 v[24:27], v12 offset1:16
	ds_load_b128 v[28:31], v13
	ds_load_b128 v[32:35], v13 offset:1024
	ds_load_b128 v[36:39], v13 offset:16
	;; [unrolled: 1-line block ×4, first 2 shown]
	ds_load_2addr_b64 v[48:51], v12 offset0:32 offset1:48
	ds_load_b128 v[52:55], v13 offset:1040
	s_add_u32 s8, s8, 8
	s_addc_u32 s9, s9, 0
	v_add_co_u32 v2, vcc_lo, v2, s4
	v_cmp_ge_i64_e64 s13, s[8:9], s[16:17]
	v_add_co_ci_u32_e32 v3, vcc_lo, s5, v3, vcc_lo
	v_add_co_u32 v4, vcc_lo, v4, s6
	v_add_co_ci_u32_e32 v5, vcc_lo, s7, v5, vcc_lo
	s_delay_alu instid0(VALU_DEP_4)
	s_and_b32 vcc_lo, exec_lo, s13
	s_waitcnt lgkmcnt(6)
	v_dual_mul_f32 v1, v29, v25 :: v_dual_mul_f32 v56, v28, v27
	v_dual_mul_f32 v6, v28, v25 :: v_dual_mul_f32 v7, v29, v27
	s_waitcnt lgkmcnt(5)
	v_mul_f32_e32 v58, v33, v27
	s_delay_alu instid0(VALU_DEP_3) | instskip(SKIP_3) | instid1(VALU_DEP_4)
	v_fma_f32 v1, v28, v24, -v1
	v_dual_mul_f32 v27, v32, v27 :: v_dual_fmac_f32 v56, v29, v26
	v_fmac_f32_e32 v6, v29, v24
	v_fma_f32 v7, v28, v26, -v7
	v_add_f32_e32 v1, v22, v1
	v_mul_f32_e32 v57, v33, v25
	s_delay_alu instid0(VALU_DEP_4) | instskip(NEXT) | instid1(VALU_DEP_4)
	v_dual_mul_f32 v25, v32, v25 :: v_dual_add_f32 v6, v23, v6
	v_dual_add_f32 v7, v20, v7 :: v_dual_add_f32 v22, v21, v56
	s_delay_alu instid0(VALU_DEP_3) | instskip(NEXT) | instid1(VALU_DEP_3)
	v_fma_f32 v28, v32, v24, -v57
	v_fmac_f32_e32 v25, v33, v24
	v_fma_f32 v24, v32, v26, -v58
	v_fmac_f32_e32 v27, v33, v26
	s_waitcnt lgkmcnt(1)
	v_dual_add_f32 v23, v18, v28 :: v_dual_mul_f32 v28, v31, v49
	s_delay_alu instid0(VALU_DEP_3)
	v_dual_add_f32 v25, v19, v25 :: v_dual_add_f32 v16, v16, v24
	v_mul_f32_e32 v24, v30, v49
	ds_load_2addr_b64 v[18:21], v12 offset0:64 offset1:80
	v_fma_f32 v26, v30, v48, -v28
	v_mul_f32_e32 v28, v31, v51
	v_dual_add_f32 v17, v17, v27 :: v_dual_fmac_f32 v24, v31, v48
	v_mul_f32_e32 v27, v30, v51
	s_delay_alu instid0(VALU_DEP_4) | instskip(NEXT) | instid1(VALU_DEP_4)
	v_add_f32_e32 v1, v1, v26
	v_fma_f32 v26, v30, v50, -v28
	v_mul_f32_e32 v28, v35, v49
	s_delay_alu instid0(VALU_DEP_4) | instskip(SKIP_1) | instid1(VALU_DEP_1)
	v_dual_add_f32 v6, v6, v24 :: v_dual_fmac_f32 v27, v31, v50
	v_mul_f32_e32 v24, v34, v49
	v_dual_add_f32 v27, v22, v27 :: v_dual_fmac_f32 v24, v35, v48
	v_add_f32_e32 v7, v7, v26
	v_fma_f32 v26, v34, v48, -v28
	v_mul_f32_e32 v29, v34, v51
	s_waitcnt lgkmcnt(0)
	v_mul_f32_e32 v30, v36, v19
	v_mul_f32_e32 v32, v37, v21
	v_add_f32_e32 v26, v23, v26
	v_fmac_f32_e32 v29, v35, v50
	v_mul_f32_e32 v28, v35, v51
	v_fmac_f32_e32 v30, v37, v18
	s_delay_alu instid0(VALU_DEP_3) | instskip(SKIP_1) | instid1(VALU_DEP_4)
	v_add_f32_e32 v29, v17, v29
	v_mul_f32_e32 v17, v36, v21
	v_fma_f32 v22, v34, v50, -v28
	v_mul_f32_e32 v23, v37, v19
	v_add_f32_e32 v28, v25, v24
	v_add_f32_e32 v6, v6, v30
	v_mul_f32_e32 v30, v53, v19
	v_add_f32_e32 v16, v16, v22
	v_fma_f32 v31, v36, v18, -v23
	ds_load_2addr_b64 v[22:25], v12 offset0:96 offset1:112
	v_mul_f32_e32 v19, v52, v19
	v_add_f32_e32 v1, v1, v31
	v_fma_f32 v31, v36, v20, -v32
	s_delay_alu instid0(VALU_DEP_1) | instskip(SKIP_4) | instid1(VALU_DEP_2)
	v_add_f32_e32 v7, v7, v31
	v_mul_f32_e32 v31, v53, v21
	v_mul_f32_e32 v21, v52, v21
	v_fma_f32 v30, v52, v18, -v30
	v_fmac_f32_e32 v17, v37, v20
	v_dual_fmac_f32 v21, v53, v20 :: v_dual_add_f32 v30, v26, v30
	s_delay_alu instid0(VALU_DEP_2)
	v_dual_fmac_f32 v19, v53, v18 :: v_dual_add_f32 v32, v27, v17
	v_fma_f32 v17, v52, v20, -v31
	s_waitcnt lgkmcnt(0)
	v_mul_f32_e32 v26, v38, v23
	v_mul_f32_e32 v20, v39, v23
	v_dual_add_f32 v31, v28, v19 :: v_dual_add_f32 v34, v29, v21
	v_add_f32_e32 v33, v16, v17
	ds_load_2addr_b64 v[16:19], v12 offset0:128 offset1:144
	v_fmac_f32_e32 v26, v39, v22
	v_mul_f32_e32 v27, v39, v25
	v_mul_f32_e32 v21, v38, v25
	;; [unrolled: 1-line block ×4, first 2 shown]
	v_fma_f32 v20, v38, v22, -v20
	v_add_f32_e32 v6, v6, v26
	v_fma_f32 v27, v38, v24, -v27
	s_waitcnt lgkmcnt(0)
	v_dual_fmac_f32 v25, v55, v24 :: v_dual_mul_f32 v38, v40, v17
	s_delay_alu instid0(VALU_DEP_1) | instskip(NEXT) | instid1(VALU_DEP_2)
	v_dual_add_f32 v25, v34, v25 :: v_dual_mul_f32 v34, v40, v19
	v_fmac_f32_e32 v38, v41, v16
	v_fmac_f32_e32 v21, v39, v24
	v_dual_add_f32 v1, v1, v20 :: v_dual_mul_f32 v20, v55, v23
	s_delay_alu instid0(VALU_DEP_4) | instskip(NEXT) | instid1(VALU_DEP_4)
	v_fmac_f32_e32 v34, v41, v18
	v_add_f32_e32 v6, v6, v38
	s_delay_alu instid0(VALU_DEP_4)
	v_add_f32_e32 v36, v32, v21
	v_fma_f32 v21, v54, v24, -v35
	v_add_f32_e32 v7, v7, v27
	ds_load_b128 v[26:29], v13 offset:1056
	v_mul_f32_e32 v23, v54, v23
	v_fma_f32 v20, v54, v22, -v20
	v_add_f32_e32 v24, v33, v21
	v_add_f32_e32 v34, v36, v34
	s_delay_alu instid0(VALU_DEP_4) | instskip(NEXT) | instid1(VALU_DEP_4)
	v_fmac_f32_e32 v23, v55, v22
	v_dual_add_f32 v35, v30, v20 :: v_dual_mul_f32 v20, v41, v17
	s_delay_alu instid0(VALU_DEP_2) | instskip(SKIP_1) | instid1(VALU_DEP_3)
	v_add_f32_e32 v37, v31, v23
	v_mul_f32_e32 v31, v41, v19
	v_fma_f32 v30, v40, v16, -v20
	ds_load_2addr_b64 v[20:23], v12 offset0:160 offset1:176
	v_fma_f32 v39, v40, v18, -v31
	v_add_f32_e32 v1, v1, v30
	ds_load_b128 v[30:33], v13 offset:1072
	s_waitcnt lgkmcnt(2)
	v_mul_f32_e32 v36, v26, v19
	v_mul_f32_e32 v40, v27, v17
	s_delay_alu instid0(VALU_DEP_2) | instskip(NEXT) | instid1(VALU_DEP_2)
	v_dual_fmac_f32 v36, v27, v18 :: v_dual_mul_f32 v17, v26, v17
	v_fma_f32 v38, v26, v16, -v40
	s_delay_alu instid0(VALU_DEP_2)
	v_fmac_f32_e32 v17, v27, v16
	v_add_f32_e32 v7, v7, v39
	v_mul_f32_e32 v39, v27, v19
	s_waitcnt lgkmcnt(1)
	v_mul_f32_e32 v27, v42, v21
	v_mul_f32_e32 v19, v43, v21
	s_delay_alu instid0(VALU_DEP_3) | instskip(NEXT) | instid1(VALU_DEP_1)
	v_fma_f32 v16, v26, v18, -v39
	v_add_f32_e32 v24, v24, v16
	s_delay_alu instid0(VALU_DEP_4) | instskip(SKIP_1) | instid1(VALU_DEP_2)
	v_fmac_f32_e32 v27, v43, v20
	v_add_f32_e32 v36, v25, v36
	v_add_f32_e32 v6, v6, v27
	;; [unrolled: 1-line block ×3, first 2 shown]
	v_fma_f32 v37, v42, v20, -v19
	ds_load_2addr_b64 v[16:19], v12 offset0:192 offset1:208
	v_mul_f32_e32 v25, v42, v23
	v_add_f32_e32 v35, v35, v38
	v_dual_mul_f32 v38, v43, v23 :: v_dual_mul_f32 v27, v29, v21
	v_mul_f32_e32 v21, v28, v21
	s_delay_alu instid0(VALU_DEP_4) | instskip(NEXT) | instid1(VALU_DEP_3)
	v_fmac_f32_e32 v25, v43, v22
	v_fma_f32 v27, v28, v20, -v27
	s_delay_alu instid0(VALU_DEP_2) | instskip(NEXT) | instid1(VALU_DEP_1)
	v_dual_fmac_f32 v21, v29, v20 :: v_dual_add_f32 v20, v34, v25
	v_add_f32_e32 v21, v26, v21
	s_waitcnt lgkmcnt(0)
	v_mul_f32_e32 v34, v45, v17
	v_add_f32_e32 v1, v1, v37
	v_fma_f32 v37, v42, v22, -v38
	s_delay_alu instid0(VALU_DEP_3) | instskip(NEXT) | instid1(VALU_DEP_2)
	v_fma_f32 v34, v44, v16, -v34
	v_add_f32_e32 v7, v7, v37
	v_mul_f32_e32 v37, v29, v23
	v_mul_f32_e32 v23, v28, v23
	s_delay_alu instid0(VALU_DEP_2) | instskip(SKIP_3) | instid1(VALU_DEP_2)
	v_fma_f32 v25, v28, v22, -v37
	v_add_f32_e32 v28, v35, v27
	v_mul_f32_e32 v35, v45, v19
	v_dual_add_f32 v1, v1, v34 :: v_dual_mul_f32 v34, v31, v17
	v_fma_f32 v35, v44, v18, -v35
	s_delay_alu instid0(VALU_DEP_1)
	v_add_f32_e32 v7, v7, v35
	v_dual_fmac_f32 v23, v29, v22 :: v_dual_add_f32 v22, v24, v25
	ds_load_2addr_b64 v[24:27], v12 offset0:224 offset1:240
	s_waitcnt lgkmcnt(0)
	s_barrier
	v_add_f32_e32 v23, v36, v23
	v_mul_f32_e32 v29, v44, v17
	v_dual_mul_f32 v36, v44, v19 :: v_dual_mul_f32 v17, v30, v17
	buffer_gl0_inv
	v_fmac_f32_e32 v29, v45, v16
	v_dual_fmac_f32 v36, v45, v18 :: v_dual_fmac_f32 v17, v31, v16
	s_delay_alu instid0(VALU_DEP_2) | instskip(SKIP_1) | instid1(VALU_DEP_3)
	v_add_f32_e32 v6, v6, v29
	v_fma_f32 v29, v30, v16, -v34
	v_dual_mul_f32 v34, v31, v19 :: v_dual_add_f32 v35, v20, v36
	s_delay_alu instid0(VALU_DEP_2) | instskip(NEXT) | instid1(VALU_DEP_2)
	v_dual_mul_f32 v19, v30, v19 :: v_dual_add_f32 v16, v28, v29
	v_fma_f32 v20, v30, v18, -v34
	v_mul_f32_e32 v28, v47, v25
	v_mul_f32_e32 v29, v46, v25
	s_delay_alu instid0(VALU_DEP_3) | instskip(NEXT) | instid1(VALU_DEP_3)
	v_dual_fmac_f32 v19, v31, v18 :: v_dual_add_f32 v30, v22, v20
	v_fma_f32 v18, v46, v24, -v28
	s_delay_alu instid0(VALU_DEP_3)
	v_fmac_f32_e32 v29, v47, v24
	v_dual_mul_f32 v20, v47, v27 :: v_dual_add_f32 v17, v21, v17
	v_mul_f32_e32 v21, v46, v27
	v_add_f32_e32 v28, v23, v19
	v_add_f32_e32 v22, v1, v18
	v_dual_mul_f32 v18, v33, v27 :: v_dual_add_f32 v23, v6, v29
	v_fma_f32 v1, v46, v26, -v20
	v_mul_f32_e32 v6, v33, v25
	v_mul_f32_e32 v19, v32, v25
	v_mul_f32_e32 v25, v32, v27
	v_fmac_f32_e32 v21, v47, v26
	v_add_f32_e32 v20, v7, v1
	v_fma_f32 v1, v32, v24, -v6
	v_fmac_f32_e32 v19, v33, v24
	v_fma_f32 v6, v32, v26, -v18
	v_fmac_f32_e32 v25, v33, v26
	v_add_f32_e32 v21, v35, v21
	s_delay_alu instid0(VALU_DEP_4) | instskip(NEXT) | instid1(VALU_DEP_3)
	v_dual_add_f32 v18, v16, v1 :: v_dual_add_f32 v19, v17, v19
	v_dual_add_f32 v16, v30, v6 :: v_dual_add_f32 v17, v28, v25
	s_cbranch_vccnz .LBB1145_9
.LBB1145_3:                             ; =>This Inner Loop Header: Depth=1
	v_add_co_u32 v6, s13, v11, s8
	s_delay_alu instid0(VALU_DEP_1) | instskip(NEXT) | instid1(VALU_DEP_1)
	v_add_co_ci_u32_e64 v7, null, 0, s9, s13
	v_cmp_le_i64_e32 vcc_lo, s[16:17], v[6:7]
	s_or_b32 s13, s3, vcc_lo
	s_delay_alu instid0(SALU_CYCLE_1) | instskip(NEXT) | instid1(SALU_CYCLE_1)
	s_and_saveexec_b32 s14, s13
	s_xor_b32 s13, exec_lo, s14
	s_cbranch_execz .LBB1145_5
; %bb.4:                                ;   in Loop: Header=BB1145_3 Depth=1
	v_mov_b32_e32 v1, v0
	ds_store_b64 v14, v[0:1]
.LBB1145_5:                             ;   in Loop: Header=BB1145_3 Depth=1
	s_and_not1_saveexec_b32 s13, s13
	s_cbranch_execz .LBB1145_7
; %bb.6:                                ;   in Loop: Header=BB1145_3 Depth=1
	global_load_b64 v[6:7], v[2:3], off
	s_waitcnt vmcnt(0)
	ds_store_b64 v14, v[6:7]
.LBB1145_7:                             ;   in Loop: Header=BB1145_3 Depth=1
	s_or_b32 exec_lo, exec_lo, s13
	v_add_co_u32 v6, s13, v10, s8
	s_delay_alu instid0(VALU_DEP_1) | instskip(NEXT) | instid1(VALU_DEP_1)
	v_add_co_ci_u32_e64 v7, null, 0, s9, s13
	v_cmp_gt_i64_e32 vcc_lo, s[16:17], v[6:7]
	v_dual_mov_b32 v6, 0 :: v_dual_mov_b32 v7, 0
	s_and_b32 s14, vcc_lo, s2
	s_delay_alu instid0(SALU_CYCLE_1)
	s_and_saveexec_b32 s13, s14
	s_cbranch_execz .LBB1145_2
; %bb.8:                                ;   in Loop: Header=BB1145_3 Depth=1
	global_load_b64 v[6:7], v[4:5], off offset:-4
	s_branch .LBB1145_2
.LBB1145_9:
	s_load_b128 s[4:7], s[0:1], 0x50
	v_add_nc_u32_e32 v4, s12, v9
	s_load_b64 s[0:1], s[0:1], 0x60
	s_delay_alu instid0(VALU_DEP_1) | instskip(SKIP_2) | instid1(VALU_DEP_2)
	v_ashrrev_i32_e32 v0, 31, v4
	v_cmp_gt_i32_e32 vcc_lo, s10, v4
	s_waitcnt lgkmcnt(0)
	v_mul_lo_u32 v3, v0, s6
	v_mul_lo_u32 v5, v4, s7
	v_mad_u64_u32 v[1:2], null, v4, s6, 0
	s_mul_i32 s1, s15, s1
	s_mul_hi_u32 s2, s15, s0
	s_mul_i32 s0, s15, s0
	s_add_i32 s1, s2, s1
	v_add_nc_u32_e32 v0, s11, v8
	s_lshl_b64 s[2:3], s[0:1], 3
	s_delay_alu instid0(VALU_DEP_2) | instskip(SKIP_3) | instid1(VALU_DEP_2)
	v_add3_u32 v2, v2, v5, v3
	s_add_u32 s2, s4, s2
	s_addc_u32 s3, s5, s3
	v_cmp_le_i32_e64 s0, v0, v4
	v_lshlrev_b64 v[1:2], 3, v[1:2]
	s_delay_alu instid0(VALU_DEP_2) | instskip(NEXT) | instid1(VALU_DEP_1)
	s_and_b32 s0, vcc_lo, s0
	v_add_co_u32 v5, s1, s2, v1
	s_delay_alu instid0(VALU_DEP_1)
	v_add_co_ci_u32_e64 v6, s1, s3, v2, s1
	s_and_saveexec_b32 s1, s0
	s_cbranch_execz .LBB1145_11
; %bb.10:
	v_ashrrev_i32_e32 v1, 31, v0
	v_mul_f32_e32 v2, s18, v23
	v_mul_f32_e32 v3, s19, v23
	s_delay_alu instid0(VALU_DEP_3) | instskip(NEXT) | instid1(VALU_DEP_3)
	v_lshlrev_b64 v[7:8], 3, v[0:1]
	v_fmac_f32_e32 v2, s19, v22
	s_delay_alu instid0(VALU_DEP_3) | instskip(NEXT) | instid1(VALU_DEP_3)
	v_fma_f32 v1, v22, s18, -v3
	v_add_co_u32 v7, s0, v5, v7
	s_delay_alu instid0(VALU_DEP_1)
	v_add_co_ci_u32_e64 v8, s0, v6, v8, s0
	global_store_b64 v[7:8], v[1:2], off
.LBB1145_11:
	s_or_b32 exec_lo, exec_lo, s1
	v_add_nc_u32_e32 v2, 16, v0
	s_delay_alu instid0(VALU_DEP_1) | instskip(NEXT) | instid1(VALU_DEP_1)
	v_cmp_le_i32_e64 s0, v2, v4
	s_and_b32 s1, vcc_lo, s0
	s_delay_alu instid0(SALU_CYCLE_1)
	s_and_saveexec_b32 s0, s1
	s_cbranch_execz .LBB1145_13
; %bb.12:
	v_ashrrev_i32_e32 v3, 31, v2
	v_mul_f32_e32 v8, s18, v21
	v_mul_f32_e32 v1, s19, v21
	s_delay_alu instid0(VALU_DEP_3) | instskip(NEXT) | instid1(VALU_DEP_3)
	v_lshlrev_b64 v[9:10], 3, v[2:3]
	v_fmac_f32_e32 v8, s19, v20
	s_delay_alu instid0(VALU_DEP_3) | instskip(NEXT) | instid1(VALU_DEP_3)
	v_fma_f32 v7, v20, s18, -v1
	v_add_co_u32 v5, vcc_lo, v5, v9
	s_delay_alu instid0(VALU_DEP_4)
	v_add_co_ci_u32_e32 v6, vcc_lo, v6, v10, vcc_lo
	global_store_b64 v[5:6], v[7:8], off
.LBB1145_13:
	s_or_b32 exec_lo, exec_lo, s0
	v_add_nc_u32_e32 v3, 16, v4
	s_delay_alu instid0(VALU_DEP_1) | instskip(SKIP_3) | instid1(VALU_DEP_4)
	v_ashrrev_i32_e32 v1, 31, v3
	v_mul_lo_u32 v6, v3, s7
	v_mad_u64_u32 v[4:5], null, v3, s6, 0
	v_cmp_gt_i32_e32 vcc_lo, s10, v3
	v_mul_lo_u32 v1, v1, s6
	v_cmp_le_i32_e64 s0, v0, v3
	s_delay_alu instid0(VALU_DEP_1) | instskip(NEXT) | instid1(VALU_DEP_2)
	s_and_b32 s0, vcc_lo, s0
	v_add3_u32 v5, v5, v6, v1
	s_delay_alu instid0(VALU_DEP_1) | instskip(NEXT) | instid1(VALU_DEP_1)
	v_lshlrev_b64 v[4:5], 3, v[4:5]
	v_add_co_u32 v4, s1, s2, v4
	s_delay_alu instid0(VALU_DEP_1)
	v_add_co_ci_u32_e64 v5, s1, s3, v5, s1
	s_and_saveexec_b32 s1, s0
	s_cbranch_execz .LBB1145_15
; %bb.14:
	v_ashrrev_i32_e32 v1, 31, v0
	v_mul_f32_e32 v7, s18, v19
	v_mul_f32_e32 v6, s19, v19
	s_delay_alu instid0(VALU_DEP_3) | instskip(NEXT) | instid1(VALU_DEP_3)
	v_lshlrev_b64 v[0:1], 3, v[0:1]
	v_fmac_f32_e32 v7, s19, v18
	s_delay_alu instid0(VALU_DEP_3) | instskip(NEXT) | instid1(VALU_DEP_3)
	v_fma_f32 v6, v18, s18, -v6
	v_add_co_u32 v0, s0, v4, v0
	s_delay_alu instid0(VALU_DEP_1)
	v_add_co_ci_u32_e64 v1, s0, v5, v1, s0
	global_store_b64 v[0:1], v[6:7], off
.LBB1145_15:
	s_or_b32 exec_lo, exec_lo, s1
	v_cmp_le_i32_e64 s0, v2, v3
	s_delay_alu instid0(VALU_DEP_1) | instskip(NEXT) | instid1(SALU_CYCLE_1)
	s_and_b32 s0, vcc_lo, s0
	s_and_saveexec_b32 s1, s0
	s_cbranch_execz .LBB1145_17
; %bb.16:
	v_ashrrev_i32_e32 v3, 31, v2
	v_mul_f32_e32 v1, s18, v17
	v_mul_f32_e32 v0, s19, v17
	s_delay_alu instid0(VALU_DEP_3) | instskip(NEXT) | instid1(VALU_DEP_3)
	v_lshlrev_b64 v[2:3], 3, v[2:3]
	v_fmac_f32_e32 v1, s19, v16
	s_delay_alu instid0(VALU_DEP_3) | instskip(NEXT) | instid1(VALU_DEP_3)
	v_fma_f32 v0, v16, s18, -v0
	v_add_co_u32 v2, vcc_lo, v4, v2
	s_delay_alu instid0(VALU_DEP_4)
	v_add_co_ci_u32_e32 v3, vcc_lo, v5, v3, vcc_lo
	global_store_b64 v[2:3], v[0:1], off
.LBB1145_17:
	s_nop 0
	s_sendmsg sendmsg(MSG_DEALLOC_VGPRS)
	s_endpgm
	.section	.rodata,"a",@progbits
	.p2align	6, 0x0
	.amdhsa_kernel _ZL34rocblas_syrkx_herkx_general_kernelIl19rocblas_complex_numIfELi16ELi32ELi8ELb1ELb0ELc78ELc85EKS1_S1_EviT_T0_PT8_S3_lS6_S3_lS4_PT9_S3_li
		.amdhsa_group_segment_fixed_size 4096
		.amdhsa_private_segment_fixed_size 0
		.amdhsa_kernarg_size 108
		.amdhsa_user_sgpr_count 13
		.amdhsa_user_sgpr_dispatch_ptr 0
		.amdhsa_user_sgpr_queue_ptr 0
		.amdhsa_user_sgpr_kernarg_segment_ptr 1
		.amdhsa_user_sgpr_dispatch_id 0
		.amdhsa_user_sgpr_private_segment_size 0
		.amdhsa_wavefront_size32 1
		.amdhsa_uses_dynamic_stack 0
		.amdhsa_enable_private_segment 0
		.amdhsa_system_sgpr_workgroup_id_x 1
		.amdhsa_system_sgpr_workgroup_id_y 1
		.amdhsa_system_sgpr_workgroup_id_z 1
		.amdhsa_system_sgpr_workgroup_info 0
		.amdhsa_system_vgpr_workitem_id 1
		.amdhsa_next_free_vgpr 59
		.amdhsa_next_free_sgpr 32
		.amdhsa_reserve_vcc 1
		.amdhsa_float_round_mode_32 0
		.amdhsa_float_round_mode_16_64 0
		.amdhsa_float_denorm_mode_32 3
		.amdhsa_float_denorm_mode_16_64 3
		.amdhsa_dx10_clamp 1
		.amdhsa_ieee_mode 1
		.amdhsa_fp16_overflow 0
		.amdhsa_workgroup_processor_mode 1
		.amdhsa_memory_ordered 1
		.amdhsa_forward_progress 0
		.amdhsa_shared_vgpr_count 0
		.amdhsa_exception_fp_ieee_invalid_op 0
		.amdhsa_exception_fp_denorm_src 0
		.amdhsa_exception_fp_ieee_div_zero 0
		.amdhsa_exception_fp_ieee_overflow 0
		.amdhsa_exception_fp_ieee_underflow 0
		.amdhsa_exception_fp_ieee_inexact 0
		.amdhsa_exception_int_div_zero 0
	.end_amdhsa_kernel
	.section	.text._ZL34rocblas_syrkx_herkx_general_kernelIl19rocblas_complex_numIfELi16ELi32ELi8ELb1ELb0ELc78ELc85EKS1_S1_EviT_T0_PT8_S3_lS6_S3_lS4_PT9_S3_li,"axG",@progbits,_ZL34rocblas_syrkx_herkx_general_kernelIl19rocblas_complex_numIfELi16ELi32ELi8ELb1ELb0ELc78ELc85EKS1_S1_EviT_T0_PT8_S3_lS6_S3_lS4_PT9_S3_li,comdat
.Lfunc_end1145:
	.size	_ZL34rocblas_syrkx_herkx_general_kernelIl19rocblas_complex_numIfELi16ELi32ELi8ELb1ELb0ELc78ELc85EKS1_S1_EviT_T0_PT8_S3_lS6_S3_lS4_PT9_S3_li, .Lfunc_end1145-_ZL34rocblas_syrkx_herkx_general_kernelIl19rocblas_complex_numIfELi16ELi32ELi8ELb1ELb0ELc78ELc85EKS1_S1_EviT_T0_PT8_S3_lS6_S3_lS4_PT9_S3_li
                                        ; -- End function
	.section	.AMDGPU.csdata,"",@progbits
; Kernel info:
; codeLenInByte = 2544
; NumSgprs: 34
; NumVgprs: 59
; ScratchSize: 0
; MemoryBound: 1
; FloatMode: 240
; IeeeMode: 1
; LDSByteSize: 4096 bytes/workgroup (compile time only)
; SGPRBlocks: 4
; VGPRBlocks: 7
; NumSGPRsForWavesPerEU: 34
; NumVGPRsForWavesPerEU: 59
; Occupancy: 16
; WaveLimiterHint : 0
; COMPUTE_PGM_RSRC2:SCRATCH_EN: 0
; COMPUTE_PGM_RSRC2:USER_SGPR: 13
; COMPUTE_PGM_RSRC2:TRAP_HANDLER: 0
; COMPUTE_PGM_RSRC2:TGID_X_EN: 1
; COMPUTE_PGM_RSRC2:TGID_Y_EN: 1
; COMPUTE_PGM_RSRC2:TGID_Z_EN: 1
; COMPUTE_PGM_RSRC2:TIDIG_COMP_CNT: 1
	.section	.text._ZL34rocblas_syrkx_herkx_general_kernelIl19rocblas_complex_numIfELi16ELi32ELi8ELb0ELb0ELc84ELc76EKS1_S1_EviT_T0_PT8_S3_lS6_S3_lS4_PT9_S3_li,"axG",@progbits,_ZL34rocblas_syrkx_herkx_general_kernelIl19rocblas_complex_numIfELi16ELi32ELi8ELb0ELb0ELc84ELc76EKS1_S1_EviT_T0_PT8_S3_lS6_S3_lS4_PT9_S3_li,comdat
	.globl	_ZL34rocblas_syrkx_herkx_general_kernelIl19rocblas_complex_numIfELi16ELi32ELi8ELb0ELb0ELc84ELc76EKS1_S1_EviT_T0_PT8_S3_lS6_S3_lS4_PT9_S3_li ; -- Begin function _ZL34rocblas_syrkx_herkx_general_kernelIl19rocblas_complex_numIfELi16ELi32ELi8ELb0ELb0ELc84ELc76EKS1_S1_EviT_T0_PT8_S3_lS6_S3_lS4_PT9_S3_li
	.p2align	8
	.type	_ZL34rocblas_syrkx_herkx_general_kernelIl19rocblas_complex_numIfELi16ELi32ELi8ELb0ELb0ELc84ELc76EKS1_S1_EviT_T0_PT8_S3_lS6_S3_lS4_PT9_S3_li,@function
_ZL34rocblas_syrkx_herkx_general_kernelIl19rocblas_complex_numIfELi16ELi32ELi8ELb0ELb0ELc84ELc76EKS1_S1_EviT_T0_PT8_S3_lS6_S3_lS4_PT9_S3_li: ; @_ZL34rocblas_syrkx_herkx_general_kernelIl19rocblas_complex_numIfELi16ELi32ELi8ELb0ELb0ELc84ELc76EKS1_S1_EviT_T0_PT8_S3_lS6_S3_lS4_PT9_S3_li
; %bb.0:
	s_clause 0x1
	s_load_b512 s[16:31], s[0:1], 0x8
	s_load_b32 s12, s[0:1], 0x0
	v_dual_mov_b32 v20, 0 :: v_dual_mov_b32 v21, 0
	v_dual_mov_b32 v18, 0 :: v_dual_mov_b32 v19, 0
	;; [unrolled: 1-line block ×4, first 2 shown]
	v_and_b32_e32 v6, 0x3ff, v0
	v_bfe_u32 v7, v0, 10, 10
	s_lshl_b32 s13, s13, 5
	s_lshl_b32 s14, s14, 5
	s_waitcnt lgkmcnt(0)
	v_cmp_lt_i64_e64 s2, s[16:17], 1
	s_delay_alu instid0(VALU_DEP_1)
	s_and_b32 vcc_lo, exec_lo, s2
	s_cbranch_vccnz .LBB1146_11
; %bb.1:
	v_lshl_add_u32 v1, v7, 4, v6
	v_mov_b32_e32 v0, 0
	v_and_b32_e32 v8, 7, v6
	s_mul_i32 s3, s25, s15
	s_mul_hi_u32 s4, s24, s15
	v_and_b32_e32 v3, 31, v1
	v_lshrrev_b32_e32 v5, 3, v1
	v_lshrrev_b32_e32 v11, 5, v1
	v_lshlrev_b32_e32 v15, 3, v8
	s_mul_i32 s2, s24, s15
	v_add_nc_u32_e32 v4, s13, v3
	v_add_nc_u32_e32 v13, s14, v5
	v_or_b32_e32 v16, s13, v3
	v_dual_mov_b32 v20, 0 :: v_dual_lshlrev_b32 v17, 3, v3
	s_delay_alu instid0(VALU_DEP_4) | instskip(SKIP_3) | instid1(VALU_DEP_4)
	v_ashrrev_i32_e32 v12, 31, v4
	v_mul_lo_u32 v14, s23, v4
	v_mad_u64_u32 v[1:2], null, s22, v4, 0
	v_cmp_gt_i32_e32 vcc_lo, s12, v16
	v_mul_lo_u32 v12, s22, v12
	v_mov_b32_e32 v16, 0
	v_ashrrev_i32_e32 v18, 31, v13
	v_mul_lo_u32 v19, s29, v13
	v_mad_u64_u32 v[3:4], null, s28, v13, 0
	s_add_i32 s3, s4, s3
	v_lshlrev_b32_e32 v9, 3, v6
	v_add3_u32 v2, v2, v12, v14
	v_mul_lo_u32 v14, s28, v18
	v_mov_b32_e32 v18, 0
	v_lshl_or_b32 v5, v5, 6, v15
	s_lshl_b64 s[4:5], s[2:3], 3
	v_lshlrev_b64 v[1:2], 3, v[1:2]
	v_cmp_gt_i32_e64 s2, s12, v13
	v_lshl_add_u32 v10, v7, 6, 0x800
	v_add_nc_u32_e32 v13, 0x800, v5
	v_add3_u32 v4, v4, v14, v19
	v_lshl_or_b32 v12, v11, 8, v17
	v_add_co_u32 v5, s3, v1, s4
	s_delay_alu instid0(VALU_DEP_1)
	v_add_co_ci_u32_e64 v14, s3, s5, v2, s3
	s_mul_i32 s3, s31, s15
	s_mul_hi_u32 s4, s30, s15
	v_lshlrev_b64 v[1:2], 3, v[3:4]
	s_add_i32 s5, s4, s3
	s_mul_i32 s4, s30, s15
	v_lshlrev_b32_e32 v3, 3, v11
	s_lshl_b64 s[4:5], s[4:5], 3
	v_mov_b32_e32 v17, 0
	v_add_co_u32 v1, s3, v1, s4
	s_delay_alu instid0(VALU_DEP_1) | instskip(SKIP_1) | instid1(VALU_DEP_1)
	v_add_co_ci_u32_e64 v2, s3, s5, v2, s3
	v_add_co_u32 v3, s3, v5, v3
	v_add_co_ci_u32_e64 v4, s3, 0, v14, s3
	v_mov_b32_e32 v14, 0
	v_add_co_u32 v1, s3, v1, v15
	s_delay_alu instid0(VALU_DEP_1) | instskip(SKIP_1) | instid1(VALU_DEP_1)
	v_add_co_ci_u32_e64 v5, s3, 0, v2, s3
	v_add_co_u32 v2, s3, s20, v3
	v_add_co_ci_u32_e64 v3, s3, s21, v4, s3
	s_delay_alu instid0(VALU_DEP_4) | instskip(NEXT) | instid1(VALU_DEP_1)
	v_add_co_u32 v4, s3, s26, v1
	v_add_co_ci_u32_e64 v5, s3, s27, v5, s3
	v_mov_b32_e32 v15, 0
	v_mov_b32_e32 v19, 0
	;; [unrolled: 1-line block ×3, first 2 shown]
	s_mov_b64 s[4:5], 0
	s_xor_b32 s3, vcc_lo, -1
	s_xor_b32 s2, s2, -1
	s_branch .LBB1146_3
.LBB1146_2:                             ;   in Loop: Header=BB1146_3 Depth=1
	s_or_b32 exec_lo, exec_lo, s6
	s_waitcnt lgkmcnt(0)
	s_barrier
	buffer_gl0_inv
	ds_load_2addr_b64 v[22:25], v9 offset1:16
	ds_load_b128 v[26:29], v10
	ds_load_b128 v[30:33], v10 offset:1024
	ds_load_b128 v[34:37], v10 offset:16
	;; [unrolled: 1-line block ×4, first 2 shown]
	ds_load_2addr_b64 v[46:49], v9 offset0:32 offset1:48
	ds_load_b128 v[50:53], v10 offset:1040
	s_add_u32 s4, s4, 8
	s_addc_u32 s5, s5, 0
	v_add_co_u32 v2, vcc_lo, v2, 64
	v_cmp_ge_i64_e64 s6, s[4:5], s[16:17]
	v_add_co_ci_u32_e32 v3, vcc_lo, 0, v3, vcc_lo
	v_add_co_u32 v4, vcc_lo, v4, 64
	v_add_co_ci_u32_e32 v5, vcc_lo, 0, v5, vcc_lo
	s_delay_alu instid0(VALU_DEP_4)
	s_and_b32 vcc_lo, exec_lo, s6
	s_waitcnt lgkmcnt(6)
	v_dual_mul_f32 v1, v27, v23 :: v_dual_mul_f32 v56, v26, v25
	v_dual_mul_f32 v54, v26, v23 :: v_dual_mul_f32 v55, v27, v25
	s_waitcnt lgkmcnt(5)
	v_mul_f32_e32 v58, v31, v25
	s_delay_alu instid0(VALU_DEP_3) | instskip(SKIP_3) | instid1(VALU_DEP_4)
	v_fma_f32 v1, v26, v22, -v1
	v_dual_mul_f32 v25, v30, v25 :: v_dual_fmac_f32 v56, v27, v24
	v_fmac_f32_e32 v54, v27, v22
	v_fma_f32 v26, v26, v24, -v55
	v_add_f32_e32 v1, v20, v1
	v_mul_f32_e32 v57, v31, v23
	s_delay_alu instid0(VALU_DEP_4) | instskip(SKIP_2) | instid1(VALU_DEP_4)
	v_dual_mul_f32 v23, v30, v23 :: v_dual_add_f32 v20, v21, v54
	v_fmac_f32_e32 v25, v31, v24
	v_dual_add_f32 v21, v18, v26 :: v_dual_add_f32 v26, v19, v56
	v_fma_f32 v27, v30, v22, -v57
	s_delay_alu instid0(VALU_DEP_4) | instskip(SKIP_3) | instid1(VALU_DEP_2)
	v_fmac_f32_e32 v23, v31, v22
	v_fma_f32 v22, v30, v24, -v58
	s_waitcnt lgkmcnt(1)
	v_mul_f32_e32 v30, v29, v47
	v_dual_add_f32 v27, v16, v27 :: v_dual_add_f32 v14, v14, v22
	v_dual_mul_f32 v22, v28, v47 :: v_dual_add_f32 v15, v15, v25
	v_mul_f32_e32 v25, v28, v49
	s_delay_alu instid0(VALU_DEP_4) | instskip(NEXT) | instid1(VALU_DEP_3)
	v_fma_f32 v24, v28, v46, -v30
	v_fmac_f32_e32 v22, v29, v46
	v_add_f32_e32 v23, v17, v23
	ds_load_2addr_b64 v[16:19], v9 offset0:64 offset1:80
	v_mul_f32_e32 v30, v29, v49
	v_fmac_f32_e32 v25, v29, v48
	v_add_f32_e32 v1, v1, v24
	s_delay_alu instid0(VALU_DEP_2) | instskip(SKIP_1) | instid1(VALU_DEP_1)
	v_add_f32_e32 v25, v26, v25
	v_mul_f32_e32 v26, v32, v49
	v_fmac_f32_e32 v26, v33, v48
	s_waitcnt lgkmcnt(0)
	s_delay_alu instid0(VALU_DEP_1) | instskip(SKIP_1) | instid1(VALU_DEP_2)
	v_dual_add_f32 v26, v15, v26 :: v_dual_mul_f32 v29, v34, v17
	v_mul_f32_e32 v15, v34, v19
	v_fmac_f32_e32 v29, v35, v16
	v_fma_f32 v24, v28, v48, -v30
	v_mul_f32_e32 v28, v33, v47
	v_add_f32_e32 v30, v20, v22
	v_mul_f32_e32 v20, v32, v47
	v_mul_f32_e32 v22, v33, v49
	v_add_f32_e32 v24, v21, v24
	v_fma_f32 v21, v32, v46, -v28
	s_delay_alu instid0(VALU_DEP_4) | instskip(SKIP_1) | instid1(VALU_DEP_3)
	v_dual_add_f32 v29, v30, v29 :: v_dual_fmac_f32 v20, v33, v46
	v_fmac_f32_e32 v15, v35, v18
	v_add_f32_e32 v27, v27, v21
	v_fma_f32 v21, v32, v48, -v22
	v_mul_f32_e32 v22, v35, v17
	v_mul_f32_e32 v32, v35, v19
	v_add_f32_e32 v28, v23, v20
	s_delay_alu instid0(VALU_DEP_4) | instskip(NEXT) | instid1(VALU_DEP_4)
	v_add_f32_e32 v14, v14, v21
	v_fma_f32 v31, v34, v16, -v22
	ds_load_2addr_b64 v[20:23], v9 offset0:96 offset1:112
	v_add_f32_e32 v1, v1, v31
	v_fma_f32 v31, v34, v18, -v32
	s_delay_alu instid0(VALU_DEP_1) | instskip(SKIP_3) | instid1(VALU_DEP_3)
	v_add_f32_e32 v24, v24, v31
	v_mul_f32_e32 v31, v51, v19
	v_mul_f32_e32 v19, v50, v19
	v_add_f32_e32 v32, v25, v15
	v_fma_f32 v15, v50, v18, -v31
	s_delay_alu instid0(VALU_DEP_3)
	v_fmac_f32_e32 v19, v51, v18
	v_mul_f32_e32 v30, v51, v17
	v_mul_f32_e32 v17, v50, v17
	s_waitcnt lgkmcnt(0)
	v_dual_mul_f32 v18, v37, v21 :: v_dual_add_f32 v31, v14, v15
	v_add_f32_e32 v33, v26, v19
	v_fma_f32 v30, v50, v16, -v30
	v_fmac_f32_e32 v17, v51, v16
	s_delay_alu instid0(VALU_DEP_4) | instskip(SKIP_1) | instid1(VALU_DEP_4)
	v_fma_f32 v18, v36, v20, -v18
	v_mul_f32_e32 v25, v36, v21
	v_dual_mul_f32 v19, v36, v23 :: v_dual_add_f32 v30, v27, v30
	s_delay_alu instid0(VALU_DEP_4) | instskip(SKIP_4) | instid1(VALU_DEP_2)
	v_add_f32_e32 v28, v28, v17
	ds_load_2addr_b64 v[14:17], v9 offset0:128 offset1:144
	v_add_f32_e32 v1, v1, v18
	v_mul_f32_e32 v18, v53, v21
	v_fmac_f32_e32 v19, v37, v22
	v_fma_f32 v18, v52, v20, -v18
	v_mul_f32_e32 v27, v37, v23
	s_delay_alu instid0(VALU_DEP_1) | instskip(NEXT) | instid1(VALU_DEP_3)
	v_fma_f32 v26, v36, v22, -v27
	v_add_f32_e32 v36, v30, v18
	s_waitcnt lgkmcnt(0)
	s_delay_alu instid0(VALU_DEP_2) | instskip(SKIP_2) | instid1(VALU_DEP_3)
	v_dual_add_f32 v35, v24, v26 :: v_dual_mul_f32 v46, v38, v15
	v_dual_fmac_f32 v25, v37, v20 :: v_dual_add_f32 v32, v32, v19
	v_mul_f32_e32 v18, v39, v15
	v_fmac_f32_e32 v46, v39, v14
	s_delay_alu instid0(VALU_DEP_3)
	v_add_f32_e32 v34, v29, v25
	v_mul_f32_e32 v29, v53, v23
	v_mul_f32_e32 v23, v52, v23
	ds_load_b128 v[24:27], v10 offset:1056
	v_add_f32_e32 v34, v34, v46
	v_fma_f32 v19, v52, v22, -v29
	v_mul_f32_e32 v21, v52, v21
	v_fmac_f32_e32 v23, v53, v22
	v_mul_f32_e32 v29, v39, v17
	s_delay_alu instid0(VALU_DEP_3) | instskip(NEXT) | instid1(VALU_DEP_3)
	v_dual_add_f32 v22, v31, v19 :: v_dual_fmac_f32 v21, v53, v20
	v_add_f32_e32 v23, v33, v23
	s_delay_alu instid0(VALU_DEP_2) | instskip(SKIP_4) | instid1(VALU_DEP_2)
	v_add_f32_e32 v37, v28, v21
	v_fma_f32 v28, v38, v14, -v18
	ds_load_2addr_b64 v[18:21], v9 offset0:160 offset1:176
	v_mul_f32_e32 v33, v38, v17
	v_fma_f32 v38, v38, v16, -v29
	v_fmac_f32_e32 v33, v39, v16
	s_delay_alu instid0(VALU_DEP_1)
	v_dual_add_f32 v35, v35, v38 :: v_dual_add_f32 v32, v32, v33
	v_add_f32_e32 v1, v1, v28
	ds_load_b128 v[28:31], v10 offset:1072
	s_waitcnt lgkmcnt(2)
	v_mul_f32_e32 v47, v25, v15
	v_mul_f32_e32 v15, v24, v15
	;; [unrolled: 1-line block ×4, first 2 shown]
	s_delay_alu instid0(VALU_DEP_4) | instskip(NEXT) | instid1(VALU_DEP_4)
	v_fma_f32 v38, v24, v14, -v47
	v_fmac_f32_e32 v15, v25, v14
	s_delay_alu instid0(VALU_DEP_4)
	v_fma_f32 v14, v24, v16, -v39
	s_waitcnt lgkmcnt(1)
	v_mul_f32_e32 v17, v41, v19
	v_dual_fmac_f32 v33, v25, v16 :: v_dual_add_f32 v36, v36, v38
	v_add_f32_e32 v24, v37, v15
	v_add_f32_e32 v22, v22, v14
	s_delay_alu instid0(VALU_DEP_4) | instskip(SKIP_2) | instid1(VALU_DEP_1)
	v_fma_f32 v37, v40, v18, -v17
	ds_load_2addr_b64 v[14:17], v9 offset0:192 offset1:208
	v_dual_mul_f32 v25, v40, v19 :: v_dual_mul_f32 v38, v41, v21
	v_fmac_f32_e32 v25, v41, v18
	s_delay_alu instid0(VALU_DEP_1) | instskip(SKIP_4) | instid1(VALU_DEP_3)
	v_add_f32_e32 v34, v34, v25
	v_add_f32_e32 v33, v23, v33
	v_mul_f32_e32 v23, v40, v21
	v_mul_f32_e32 v25, v27, v19
	;; [unrolled: 1-line block ×3, first 2 shown]
	v_fmac_f32_e32 v23, v41, v20
	s_delay_alu instid0(VALU_DEP_3) | instskip(NEXT) | instid1(VALU_DEP_2)
	v_fma_f32 v25, v26, v18, -v25
	v_dual_fmac_f32 v19, v27, v18 :: v_dual_add_f32 v18, v32, v23
	s_waitcnt lgkmcnt(0)
	v_dual_mul_f32 v32, v43, v15 :: v_dual_add_f32 v1, v1, v37
	v_fma_f32 v37, v40, v20, -v38
	s_delay_alu instid0(VALU_DEP_3) | instskip(NEXT) | instid1(VALU_DEP_3)
	v_add_f32_e32 v19, v24, v19
	v_fma_f32 v32, v42, v14, -v32
	s_delay_alu instid0(VALU_DEP_1) | instskip(NEXT) | instid1(VALU_DEP_4)
	v_add_f32_e32 v1, v1, v32
	v_add_f32_e32 v35, v35, v37
	v_mul_f32_e32 v37, v27, v21
	v_dual_mul_f32 v21, v26, v21 :: v_dual_mul_f32 v32, v29, v15
	s_delay_alu instid0(VALU_DEP_2) | instskip(NEXT) | instid1(VALU_DEP_2)
	v_fma_f32 v23, v26, v20, -v37
	v_dual_add_f32 v26, v36, v25 :: v_dual_fmac_f32 v21, v27, v20
	v_mul_f32_e32 v27, v42, v15
	v_mul_f32_e32 v15, v28, v15
	s_delay_alu instid0(VALU_DEP_4)
	v_add_f32_e32 v20, v22, v23
	ds_load_2addr_b64 v[22:25], v9 offset0:224 offset1:240
	v_fma_f32 v32, v28, v14, -v32
	v_dual_fmac_f32 v27, v43, v14 :: v_dual_mul_f32 v36, v42, v17
	v_fmac_f32_e32 v15, v29, v14
	s_waitcnt lgkmcnt(0)
	s_delay_alu instid0(VALU_DEP_3) | instskip(NEXT) | instid1(VALU_DEP_3)
	v_add_f32_e32 v14, v26, v32
	v_dual_add_f32 v27, v34, v27 :: v_dual_fmac_f32 v36, v43, v16
	s_delay_alu instid0(VALU_DEP_3)
	v_dual_mul_f32 v34, v29, v17 :: v_dual_add_f32 v15, v19, v15
	s_barrier
	buffer_gl0_inv
	v_mul_f32_e32 v26, v45, v23
	v_add_f32_e32 v21, v33, v21
	v_mul_f32_e32 v33, v43, v17
	v_mul_f32_e32 v17, v28, v17
	;; [unrolled: 1-line block ×3, first 2 shown]
	s_delay_alu instid0(VALU_DEP_3) | instskip(NEXT) | instid1(VALU_DEP_3)
	v_fma_f32 v33, v42, v16, -v33
	v_fmac_f32_e32 v17, v29, v16
	s_delay_alu instid0(VALU_DEP_3) | instskip(NEXT) | instid1(VALU_DEP_3)
	v_fmac_f32_e32 v19, v45, v24
	v_add_f32_e32 v33, v35, v33
	v_add_f32_e32 v35, v18, v36
	v_fma_f32 v18, v28, v16, -v34
	v_fma_f32 v16, v44, v22, -v26
	v_mul_f32_e32 v28, v44, v23
	v_dual_add_f32 v26, v21, v17 :: v_dual_mul_f32 v17, v30, v23
	s_delay_alu instid0(VALU_DEP_4) | instskip(NEXT) | instid1(VALU_DEP_4)
	v_dual_add_f32 v29, v20, v18 :: v_dual_mul_f32 v18, v45, v25
	v_add_f32_e32 v20, v1, v16
	v_mul_f32_e32 v16, v31, v23
	v_mul_f32_e32 v23, v31, v25
	;; [unrolled: 1-line block ×3, first 2 shown]
	v_fma_f32 v1, v44, v24, -v18
	v_fmac_f32_e32 v28, v45, v22
	v_fmac_f32_e32 v17, v31, v22
	v_add_f32_e32 v19, v35, v19
	s_delay_alu instid0(VALU_DEP_4)
	v_dual_fmac_f32 v25, v31, v24 :: v_dual_add_f32 v18, v33, v1
	v_fma_f32 v1, v30, v22, -v16
	v_fma_f32 v22, v30, v24, -v23
	v_add_f32_e32 v21, v27, v28
	v_add_f32_e32 v17, v15, v17
	;; [unrolled: 1-line block ×5, first 2 shown]
	s_cbranch_vccnz .LBB1146_11
.LBB1146_3:                             ; =>This Inner Loop Header: Depth=1
	v_add_co_u32 v22, s6, v11, s4
	s_delay_alu instid0(VALU_DEP_1) | instskip(NEXT) | instid1(VALU_DEP_1)
	v_add_co_ci_u32_e64 v23, null, 0, s5, s6
	v_cmp_le_i64_e32 vcc_lo, s[16:17], v[22:23]
	s_or_b32 s6, s3, vcc_lo
	s_delay_alu instid0(SALU_CYCLE_1) | instskip(NEXT) | instid1(SALU_CYCLE_1)
	s_and_saveexec_b32 s7, s6
	s_xor_b32 s6, exec_lo, s7
	s_cbranch_execz .LBB1146_5
; %bb.4:                                ;   in Loop: Header=BB1146_3 Depth=1
	v_mov_b32_e32 v1, v0
	ds_store_b64 v12, v[0:1]
.LBB1146_5:                             ;   in Loop: Header=BB1146_3 Depth=1
	s_and_not1_saveexec_b32 s6, s6
	s_cbranch_execz .LBB1146_7
; %bb.6:                                ;   in Loop: Header=BB1146_3 Depth=1
	global_load_b64 v[22:23], v[2:3], off
	s_waitcnt vmcnt(0)
	ds_store_b64 v12, v[22:23]
.LBB1146_7:                             ;   in Loop: Header=BB1146_3 Depth=1
	s_or_b32 exec_lo, exec_lo, s6
	v_add_co_u32 v22, s6, v8, s4
	s_delay_alu instid0(VALU_DEP_1) | instskip(NEXT) | instid1(VALU_DEP_1)
	v_add_co_ci_u32_e64 v23, null, 0, s5, s6
	v_cmp_le_i64_e32 vcc_lo, s[16:17], v[22:23]
	s_or_b32 s6, vcc_lo, s2
	s_delay_alu instid0(SALU_CYCLE_1) | instskip(NEXT) | instid1(SALU_CYCLE_1)
	s_and_saveexec_b32 s7, s6
	s_xor_b32 s6, exec_lo, s7
	s_cbranch_execz .LBB1146_9
; %bb.8:                                ;   in Loop: Header=BB1146_3 Depth=1
	v_mov_b32_e32 v1, v0
	ds_store_b64 v13, v[0:1]
.LBB1146_9:                             ;   in Loop: Header=BB1146_3 Depth=1
	s_and_not1_saveexec_b32 s6, s6
	s_cbranch_execz .LBB1146_2
; %bb.10:                               ;   in Loop: Header=BB1146_3 Depth=1
	global_load_b64 v[22:23], v[4:5], off
	s_waitcnt vmcnt(0)
	ds_store_b64 v13, v[22:23]
	s_branch .LBB1146_2
.LBB1146_11:
	s_load_b256 s[4:11], s[0:1], 0x48
	v_add_nc_u32_e32 v4, s14, v7
	s_delay_alu instid0(VALU_DEP_1) | instskip(SKIP_3) | instid1(VALU_DEP_3)
	v_ashrrev_i32_e32 v0, 31, v4
	s_waitcnt lgkmcnt(0)
	v_mul_lo_u32 v3, v4, s9
	v_mad_u64_u32 v[1:2], null, v4, s8, 0
	v_mul_lo_u32 v0, v0, s8
	s_mul_i32 s1, s15, s11
	s_mul_hi_u32 s2, s15, s10
	s_mul_i32 s0, s15, s10
	s_add_i32 s1, s2, s1
	s_delay_alu instid0(SALU_CYCLE_1) | instskip(NEXT) | instid1(VALU_DEP_1)
	s_lshl_b64 s[2:3], s[0:1], 3
	v_add3_u32 v2, v2, v3, v0
	v_add_nc_u32_e32 v0, s13, v6
	s_add_u32 s2, s6, s2
	s_addc_u32 s3, s7, s3
	s_delay_alu instid0(VALU_DEP_2) | instskip(NEXT) | instid1(VALU_DEP_2)
	v_lshlrev_b64 v[1:2], 3, v[1:2]
	v_cmp_le_i32_e64 s0, v4, v0
	v_cmp_gt_i32_e32 vcc_lo, s12, v0
	s_delay_alu instid0(VALU_DEP_3) | instskip(NEXT) | instid1(VALU_DEP_1)
	v_add_co_u32 v5, s1, s2, v1
	v_add_co_ci_u32_e64 v6, s1, s3, v2, s1
	s_delay_alu instid0(VALU_DEP_4) | instskip(NEXT) | instid1(SALU_CYCLE_1)
	s_and_b32 s0, s0, vcc_lo
	s_and_saveexec_b32 s1, s0
	s_cbranch_execz .LBB1146_13
; %bb.12:
	v_ashrrev_i32_e32 v1, 31, v0
	s_delay_alu instid0(VALU_DEP_1) | instskip(NEXT) | instid1(VALU_DEP_1)
	v_lshlrev_b64 v[1:2], 3, v[0:1]
	v_add_co_u32 v1, s0, v5, v1
	s_delay_alu instid0(VALU_DEP_1)
	v_add_co_ci_u32_e64 v2, s0, v6, v2, s0
	global_load_b64 v[7:8], v[1:2], off
	v_mul_f32_e32 v3, s19, v21
	s_waitcnt vmcnt(0)
	v_dual_mul_f32 v9, s18, v21 :: v_dual_mul_f32 v10, s5, v8
	v_mul_f32_e32 v8, s4, v8
	s_delay_alu instid0(VALU_DEP_3) | instskip(NEXT) | instid1(VALU_DEP_3)
	v_fma_f32 v3, v20, s18, -v3
	v_fmac_f32_e32 v9, s19, v20
	s_delay_alu instid0(VALU_DEP_4) | instskip(NEXT) | instid1(VALU_DEP_1)
	v_fma_f32 v10, v7, s4, -v10
	v_dual_fmac_f32 v8, s5, v7 :: v_dual_add_f32 v7, v3, v10
	s_delay_alu instid0(VALU_DEP_1)
	v_add_f32_e32 v8, v9, v8
	global_store_b64 v[1:2], v[7:8], off
.LBB1146_13:
	s_or_b32 exec_lo, exec_lo, s1
	v_add_nc_u32_e32 v2, 16, v0
	s_delay_alu instid0(VALU_DEP_1) | instskip(SKIP_1) | instid1(VALU_DEP_1)
	v_cmp_le_i32_e64 s1, v4, v2
	v_cmp_gt_i32_e64 s0, s12, v2
	s_and_b32 s1, s1, s0
	s_delay_alu instid0(SALU_CYCLE_1)
	s_and_saveexec_b32 s6, s1
	s_cbranch_execz .LBB1146_15
; %bb.14:
	v_ashrrev_i32_e32 v3, 31, v2
	s_delay_alu instid0(VALU_DEP_1) | instskip(SKIP_1) | instid1(VALU_DEP_1)
	v_lshlrev_b64 v[7:8], 3, v[2:3]
	v_mul_f32_e32 v3, s18, v19
	v_fmac_f32_e32 v3, s19, v18
	s_delay_alu instid0(VALU_DEP_3) | instskip(NEXT) | instid1(VALU_DEP_1)
	v_add_co_u32 v5, s1, v5, v7
	v_add_co_ci_u32_e64 v6, s1, v6, v8, s1
	global_load_b64 v[7:8], v[5:6], off
	v_mul_f32_e32 v1, s19, v19
	s_waitcnt vmcnt(0)
	v_mul_f32_e32 v9, s5, v8
	v_mul_f32_e32 v8, s4, v8
	s_delay_alu instid0(VALU_DEP_3) | instskip(NEXT) | instid1(VALU_DEP_2)
	v_fma_f32 v1, v18, s18, -v1
	v_fmac_f32_e32 v8, s5, v7
	s_delay_alu instid0(VALU_DEP_4) | instskip(NEXT) | instid1(VALU_DEP_1)
	v_fma_f32 v9, v7, s4, -v9
	v_dual_add_f32 v8, v3, v8 :: v_dual_add_f32 v7, v1, v9
	global_store_b64 v[5:6], v[7:8], off
.LBB1146_15:
	s_or_b32 exec_lo, exec_lo, s6
	v_add_nc_u32_e32 v3, 16, v4
	s_delay_alu instid0(VALU_DEP_1) | instskip(SKIP_3) | instid1(VALU_DEP_4)
	v_ashrrev_i32_e32 v1, 31, v3
	v_mul_lo_u32 v6, v3, s9
	v_mad_u64_u32 v[4:5], null, v3, s8, 0
	v_cmp_le_i32_e64 s1, v3, v0
	v_mul_lo_u32 v1, v1, s8
	s_delay_alu instid0(VALU_DEP_1) | instskip(NEXT) | instid1(VALU_DEP_1)
	v_add3_u32 v5, v5, v6, v1
	v_lshlrev_b64 v[4:5], 3, v[4:5]
	s_delay_alu instid0(VALU_DEP_1) | instskip(NEXT) | instid1(VALU_DEP_1)
	v_add_co_u32 v4, s2, s2, v4
	v_add_co_ci_u32_e64 v5, s2, s3, v5, s2
	s_and_b32 s2, s1, vcc_lo
	s_delay_alu instid0(SALU_CYCLE_1)
	s_and_saveexec_b32 s1, s2
	s_cbranch_execz .LBB1146_17
; %bb.16:
	v_ashrrev_i32_e32 v1, 31, v0
	s_delay_alu instid0(VALU_DEP_1) | instskip(NEXT) | instid1(VALU_DEP_1)
	v_lshlrev_b64 v[0:1], 3, v[0:1]
	v_add_co_u32 v0, vcc_lo, v4, v0
	s_delay_alu instid0(VALU_DEP_2)
	v_add_co_ci_u32_e32 v1, vcc_lo, v5, v1, vcc_lo
	global_load_b64 v[6:7], v[0:1], off
	v_mul_f32_e32 v8, s19, v17
	s_waitcnt vmcnt(0)
	v_dual_mul_f32 v9, s18, v17 :: v_dual_mul_f32 v10, s5, v7
	v_mul_f32_e32 v7, s4, v7
	s_delay_alu instid0(VALU_DEP_3) | instskip(NEXT) | instid1(VALU_DEP_3)
	v_fma_f32 v8, v16, s18, -v8
	v_fma_f32 v10, v6, s4, -v10
	s_delay_alu instid0(VALU_DEP_4) | instskip(NEXT) | instid1(VALU_DEP_4)
	v_fmac_f32_e32 v9, s19, v16
	v_fmac_f32_e32 v7, s5, v6
	s_delay_alu instid0(VALU_DEP_1)
	v_dual_add_f32 v6, v8, v10 :: v_dual_add_f32 v7, v9, v7
	global_store_b64 v[0:1], v[6:7], off
.LBB1146_17:
	s_or_b32 exec_lo, exec_lo, s1
	v_cmp_le_i32_e32 vcc_lo, v3, v2
	s_and_b32 s0, vcc_lo, s0
	s_delay_alu instid0(SALU_CYCLE_1)
	s_and_saveexec_b32 s1, s0
	s_cbranch_execz .LBB1146_19
; %bb.18:
	v_ashrrev_i32_e32 v3, 31, v2
	s_delay_alu instid0(VALU_DEP_1) | instskip(NEXT) | instid1(VALU_DEP_1)
	v_lshlrev_b64 v[0:1], 3, v[2:3]
	v_add_co_u32 v0, vcc_lo, v4, v0
	s_delay_alu instid0(VALU_DEP_2) | instskip(SKIP_4) | instid1(VALU_DEP_1)
	v_add_co_ci_u32_e32 v1, vcc_lo, v5, v1, vcc_lo
	global_load_b64 v[2:3], v[0:1], off
	s_waitcnt vmcnt(0)
	v_mul_f32_e32 v6, s5, v3
	v_mul_f32_e32 v3, s4, v3
	v_fmac_f32_e32 v3, s5, v2
	s_delay_alu instid0(VALU_DEP_3) | instskip(SKIP_1) | instid1(VALU_DEP_1)
	v_fma_f32 v6, v2, s4, -v6
	v_mul_f32_e32 v5, s18, v15
	v_dual_mul_f32 v4, s19, v15 :: v_dual_fmac_f32 v5, s19, v14
	s_delay_alu instid0(VALU_DEP_1) | instskip(NEXT) | instid1(VALU_DEP_1)
	v_fma_f32 v4, v14, s18, -v4
	v_dual_add_f32 v3, v5, v3 :: v_dual_add_f32 v2, v4, v6
	global_store_b64 v[0:1], v[2:3], off
.LBB1146_19:
	s_nop 0
	s_sendmsg sendmsg(MSG_DEALLOC_VGPRS)
	s_endpgm
	.section	.rodata,"a",@progbits
	.p2align	6, 0x0
	.amdhsa_kernel _ZL34rocblas_syrkx_herkx_general_kernelIl19rocblas_complex_numIfELi16ELi32ELi8ELb0ELb0ELc84ELc76EKS1_S1_EviT_T0_PT8_S3_lS6_S3_lS4_PT9_S3_li
		.amdhsa_group_segment_fixed_size 4096
		.amdhsa_private_segment_fixed_size 0
		.amdhsa_kernarg_size 108
		.amdhsa_user_sgpr_count 13
		.amdhsa_user_sgpr_dispatch_ptr 0
		.amdhsa_user_sgpr_queue_ptr 0
		.amdhsa_user_sgpr_kernarg_segment_ptr 1
		.amdhsa_user_sgpr_dispatch_id 0
		.amdhsa_user_sgpr_private_segment_size 0
		.amdhsa_wavefront_size32 1
		.amdhsa_uses_dynamic_stack 0
		.amdhsa_enable_private_segment 0
		.amdhsa_system_sgpr_workgroup_id_x 1
		.amdhsa_system_sgpr_workgroup_id_y 1
		.amdhsa_system_sgpr_workgroup_id_z 1
		.amdhsa_system_sgpr_workgroup_info 0
		.amdhsa_system_vgpr_workitem_id 1
		.amdhsa_next_free_vgpr 59
		.amdhsa_next_free_sgpr 32
		.amdhsa_reserve_vcc 1
		.amdhsa_float_round_mode_32 0
		.amdhsa_float_round_mode_16_64 0
		.amdhsa_float_denorm_mode_32 3
		.amdhsa_float_denorm_mode_16_64 3
		.amdhsa_dx10_clamp 1
		.amdhsa_ieee_mode 1
		.amdhsa_fp16_overflow 0
		.amdhsa_workgroup_processor_mode 1
		.amdhsa_memory_ordered 1
		.amdhsa_forward_progress 0
		.amdhsa_shared_vgpr_count 0
		.amdhsa_exception_fp_ieee_invalid_op 0
		.amdhsa_exception_fp_denorm_src 0
		.amdhsa_exception_fp_ieee_div_zero 0
		.amdhsa_exception_fp_ieee_overflow 0
		.amdhsa_exception_fp_ieee_underflow 0
		.amdhsa_exception_fp_ieee_inexact 0
		.amdhsa_exception_int_div_zero 0
	.end_amdhsa_kernel
	.section	.text._ZL34rocblas_syrkx_herkx_general_kernelIl19rocblas_complex_numIfELi16ELi32ELi8ELb0ELb0ELc84ELc76EKS1_S1_EviT_T0_PT8_S3_lS6_S3_lS4_PT9_S3_li,"axG",@progbits,_ZL34rocblas_syrkx_herkx_general_kernelIl19rocblas_complex_numIfELi16ELi32ELi8ELb0ELb0ELc84ELc76EKS1_S1_EviT_T0_PT8_S3_lS6_S3_lS4_PT9_S3_li,comdat
.Lfunc_end1146:
	.size	_ZL34rocblas_syrkx_herkx_general_kernelIl19rocblas_complex_numIfELi16ELi32ELi8ELb0ELb0ELc84ELc76EKS1_S1_EviT_T0_PT8_S3_lS6_S3_lS4_PT9_S3_li, .Lfunc_end1146-_ZL34rocblas_syrkx_herkx_general_kernelIl19rocblas_complex_numIfELi16ELi32ELi8ELb0ELb0ELc84ELc76EKS1_S1_EviT_T0_PT8_S3_lS6_S3_lS4_PT9_S3_li
                                        ; -- End function
	.section	.AMDGPU.csdata,"",@progbits
; Kernel info:
; codeLenInByte = 2736
; NumSgprs: 34
; NumVgprs: 59
; ScratchSize: 0
; MemoryBound: 1
; FloatMode: 240
; IeeeMode: 1
; LDSByteSize: 4096 bytes/workgroup (compile time only)
; SGPRBlocks: 4
; VGPRBlocks: 7
; NumSGPRsForWavesPerEU: 34
; NumVGPRsForWavesPerEU: 59
; Occupancy: 16
; WaveLimiterHint : 0
; COMPUTE_PGM_RSRC2:SCRATCH_EN: 0
; COMPUTE_PGM_RSRC2:USER_SGPR: 13
; COMPUTE_PGM_RSRC2:TRAP_HANDLER: 0
; COMPUTE_PGM_RSRC2:TGID_X_EN: 1
; COMPUTE_PGM_RSRC2:TGID_Y_EN: 1
; COMPUTE_PGM_RSRC2:TGID_Z_EN: 1
; COMPUTE_PGM_RSRC2:TIDIG_COMP_CNT: 1
	.section	.text._ZL34rocblas_syrkx_herkx_general_kernelIl19rocblas_complex_numIfELi16ELi32ELi8ELb0ELb0ELc67ELc76EKS1_S1_EviT_T0_PT8_S3_lS6_S3_lS4_PT9_S3_li,"axG",@progbits,_ZL34rocblas_syrkx_herkx_general_kernelIl19rocblas_complex_numIfELi16ELi32ELi8ELb0ELb0ELc67ELc76EKS1_S1_EviT_T0_PT8_S3_lS6_S3_lS4_PT9_S3_li,comdat
	.globl	_ZL34rocblas_syrkx_herkx_general_kernelIl19rocblas_complex_numIfELi16ELi32ELi8ELb0ELb0ELc67ELc76EKS1_S1_EviT_T0_PT8_S3_lS6_S3_lS4_PT9_S3_li ; -- Begin function _ZL34rocblas_syrkx_herkx_general_kernelIl19rocblas_complex_numIfELi16ELi32ELi8ELb0ELb0ELc67ELc76EKS1_S1_EviT_T0_PT8_S3_lS6_S3_lS4_PT9_S3_li
	.p2align	8
	.type	_ZL34rocblas_syrkx_herkx_general_kernelIl19rocblas_complex_numIfELi16ELi32ELi8ELb0ELb0ELc67ELc76EKS1_S1_EviT_T0_PT8_S3_lS6_S3_lS4_PT9_S3_li,@function
_ZL34rocblas_syrkx_herkx_general_kernelIl19rocblas_complex_numIfELi16ELi32ELi8ELb0ELb0ELc67ELc76EKS1_S1_EviT_T0_PT8_S3_lS6_S3_lS4_PT9_S3_li: ; @_ZL34rocblas_syrkx_herkx_general_kernelIl19rocblas_complex_numIfELi16ELi32ELi8ELb0ELb0ELc67ELc76EKS1_S1_EviT_T0_PT8_S3_lS6_S3_lS4_PT9_S3_li
; %bb.0:
	s_clause 0x1
	s_load_b512 s[16:31], s[0:1], 0x8
	s_load_b32 s12, s[0:1], 0x0
	v_dual_mov_b32 v22, 0 :: v_dual_mov_b32 v23, 0
	v_dual_mov_b32 v20, 0 :: v_dual_mov_b32 v21, 0
	;; [unrolled: 1-line block ×4, first 2 shown]
	v_and_b32_e32 v8, 0x3ff, v0
	v_bfe_u32 v9, v0, 10, 10
	s_lshl_b32 s13, s13, 5
	s_lshl_b32 s14, s14, 5
	s_waitcnt lgkmcnt(0)
	v_cmp_lt_i64_e64 s2, s[16:17], 1
	s_delay_alu instid0(VALU_DEP_1)
	s_and_b32 vcc_lo, exec_lo, s2
	s_cbranch_vccnz .LBB1147_9
; %bb.1:
	v_lshl_add_u32 v1, v9, 4, v8
	v_mov_b32_e32 v0, 0
	v_and_b32_e32 v10, 7, v8
	s_mul_i32 s3, s25, s15
	s_mul_hi_u32 s4, s24, s15
	v_and_b32_e32 v3, 31, v1
	v_lshrrev_b32_e32 v5, 3, v1
	v_lshrrev_b32_e32 v13, 5, v1
	s_mul_i32 s2, s24, s15
	s_add_i32 s3, s4, s3
	v_add_nc_u32_e32 v4, s13, v3
	v_add_nc_u32_e32 v7, s14, v5
	v_dual_mov_b32 v20, 0 :: v_dual_lshlrev_b32 v17, 3, v3
	v_or_b32_e32 v15, s13, v3
	s_delay_alu instid0(VALU_DEP_4) | instskip(SKIP_3) | instid1(VALU_DEP_4)
	v_ashrrev_i32_e32 v6, 31, v4
	v_mul_lo_u32 v14, s23, v4
	v_mad_u64_u32 v[1:2], null, s22, v4, 0
	v_ashrrev_i32_e32 v18, 31, v7
	v_mul_lo_u32 v6, s22, v6
	s_lshl_b64 s[4:5], s[2:3], 3
	v_cmp_gt_i32_e64 s2, s12, v15
	v_lshlrev_b32_e32 v11, 3, v8
	v_lshl_add_u32 v12, v9, 6, 0x800
	v_mov_b32_e32 v23, 0
	v_dual_mov_b32 v21, 0 :: v_dual_mov_b32 v22, 0
	v_add3_u32 v2, v2, v6, v14
	v_mul_lo_u32 v6, s28, v18
	v_lshl_or_b32 v14, v13, 8, v17
	v_dual_mov_b32 v17, 0 :: v_dual_lshlrev_b32 v16, 3, v10
	v_mov_b32_e32 v18, 0
	v_mul_lo_u32 v19, s29, v7
	v_mad_u64_u32 v[3:4], null, s28, v7, 0
	v_lshlrev_b64 v[1:2], 3, v[1:2]
	v_lshl_or_b32 v5, v5, 6, v16
	v_cmp_gt_i32_e32 vcc_lo, s12, v7
	v_lshlrev_b32_e32 v7, 3, v13
	v_add3_u32 v4, v4, v6, v19
	s_delay_alu instid0(VALU_DEP_4) | instskip(SKIP_1) | instid1(VALU_DEP_1)
	v_add_nc_u32_e32 v15, 0x800, v5
	v_add_co_u32 v5, s3, v1, s4
	v_add_co_ci_u32_e64 v6, s3, s5, v2, s3
	s_mul_i32 s3, s31, s15
	s_mul_hi_u32 s4, s30, s15
	v_lshlrev_b64 v[1:2], 3, v[3:4]
	s_add_i32 s5, s4, s3
	s_mul_i32 s4, s30, s15
	v_add_co_u32 v3, s3, v5, v7
	s_lshl_b64 s[4:5], s[4:5], 3
	v_add_co_ci_u32_e64 v4, s3, 0, v6, s3
	v_add_co_u32 v1, s3, v1, s4
	s_delay_alu instid0(VALU_DEP_1) | instskip(SKIP_1) | instid1(VALU_DEP_1)
	v_add_co_ci_u32_e64 v2, s3, s5, v2, s3
	v_add_co_u32 v3, s3, v3, s20
	v_add_co_ci_u32_e64 v4, s3, s21, v4, s3
	s_delay_alu instid0(VALU_DEP_4) | instskip(NEXT) | instid1(VALU_DEP_1)
	v_add_co_u32 v1, s3, v1, v16
	v_add_co_ci_u32_e64 v5, s3, 0, v2, s3
	s_delay_alu instid0(VALU_DEP_4) | instskip(NEXT) | instid1(VALU_DEP_1)
	;; [unrolled: 3-line block ×3, first 2 shown]
	v_add_co_u32 v4, s3, s26, v1
	v_add_co_ci_u32_e64 v5, s3, s27, v5, s3
	v_dual_mov_b32 v16, 0 :: v_dual_mov_b32 v19, 0
	s_mov_b64 s[4:5], 0
	s_xor_b32 s3, vcc_lo, -1
	s_branch .LBB1147_3
.LBB1147_2:                             ;   in Loop: Header=BB1147_3 Depth=1
	s_or_b32 exec_lo, exec_lo, s6
	s_waitcnt lgkmcnt(0)
	s_barrier
	buffer_gl0_inv
	ds_load_2addr_b64 v[24:27], v11 offset1:16
	ds_load_b128 v[28:31], v12
	ds_load_b128 v[32:35], v12 offset:1024
	ds_load_b128 v[36:39], v12 offset:16
	;; [unrolled: 1-line block ×4, first 2 shown]
	ds_load_2addr_b64 v[48:51], v11 offset0:32 offset1:48
	ds_load_b128 v[52:55], v12 offset:1040
	s_add_u32 s4, s4, 8
	s_addc_u32 s5, s5, 0
	v_add_co_u32 v2, vcc_lo, v2, 64
	v_cmp_ge_i64_e64 s6, s[4:5], s[16:17]
	v_add_co_ci_u32_e32 v3, vcc_lo, 0, v3, vcc_lo
	v_add_co_u32 v4, vcc_lo, v4, 64
	v_add_co_ci_u32_e32 v5, vcc_lo, 0, v5, vcc_lo
	s_delay_alu instid0(VALU_DEP_4)
	s_and_b32 vcc_lo, exec_lo, s6
	s_waitcnt lgkmcnt(6)
	v_dual_mul_f32 v1, v29, v25 :: v_dual_mul_f32 v56, v28, v27
	v_dual_mul_f32 v6, v28, v25 :: v_dual_mul_f32 v7, v29, v27
	s_waitcnt lgkmcnt(5)
	v_mul_f32_e32 v58, v33, v27
	s_delay_alu instid0(VALU_DEP_3) | instskip(SKIP_3) | instid1(VALU_DEP_4)
	v_fma_f32 v1, v28, v24, -v1
	v_dual_mul_f32 v27, v32, v27 :: v_dual_fmac_f32 v56, v29, v26
	v_fmac_f32_e32 v6, v29, v24
	v_fma_f32 v7, v28, v26, -v7
	v_add_f32_e32 v1, v22, v1
	v_mul_f32_e32 v57, v33, v25
	s_delay_alu instid0(VALU_DEP_4) | instskip(NEXT) | instid1(VALU_DEP_4)
	v_dual_mul_f32 v25, v32, v25 :: v_dual_add_f32 v6, v23, v6
	v_dual_add_f32 v7, v20, v7 :: v_dual_add_f32 v22, v21, v56
	s_delay_alu instid0(VALU_DEP_3) | instskip(NEXT) | instid1(VALU_DEP_3)
	v_fma_f32 v28, v32, v24, -v57
	v_fmac_f32_e32 v25, v33, v24
	v_fma_f32 v24, v32, v26, -v58
	v_fmac_f32_e32 v27, v33, v26
	s_waitcnt lgkmcnt(1)
	v_dual_add_f32 v23, v18, v28 :: v_dual_mul_f32 v28, v31, v49
	s_delay_alu instid0(VALU_DEP_3)
	v_dual_add_f32 v25, v19, v25 :: v_dual_add_f32 v16, v16, v24
	v_mul_f32_e32 v24, v30, v49
	ds_load_2addr_b64 v[18:21], v11 offset0:64 offset1:80
	v_fma_f32 v26, v30, v48, -v28
	v_mul_f32_e32 v28, v31, v51
	v_dual_add_f32 v17, v17, v27 :: v_dual_fmac_f32 v24, v31, v48
	v_mul_f32_e32 v27, v30, v51
	s_delay_alu instid0(VALU_DEP_4) | instskip(NEXT) | instid1(VALU_DEP_4)
	v_add_f32_e32 v1, v1, v26
	v_fma_f32 v26, v30, v50, -v28
	v_mul_f32_e32 v28, v35, v49
	s_delay_alu instid0(VALU_DEP_4) | instskip(SKIP_1) | instid1(VALU_DEP_1)
	v_dual_add_f32 v6, v6, v24 :: v_dual_fmac_f32 v27, v31, v50
	v_mul_f32_e32 v24, v34, v49
	v_dual_add_f32 v27, v22, v27 :: v_dual_fmac_f32 v24, v35, v48
	v_add_f32_e32 v7, v7, v26
	v_fma_f32 v26, v34, v48, -v28
	v_mul_f32_e32 v29, v34, v51
	s_waitcnt lgkmcnt(0)
	v_mul_f32_e32 v30, v36, v19
	v_mul_f32_e32 v32, v37, v21
	v_add_f32_e32 v26, v23, v26
	v_fmac_f32_e32 v29, v35, v50
	v_mul_f32_e32 v28, v35, v51
	v_fmac_f32_e32 v30, v37, v18
	s_delay_alu instid0(VALU_DEP_3) | instskip(SKIP_1) | instid1(VALU_DEP_4)
	v_add_f32_e32 v29, v17, v29
	v_mul_f32_e32 v17, v36, v21
	v_fma_f32 v22, v34, v50, -v28
	v_mul_f32_e32 v23, v37, v19
	v_add_f32_e32 v28, v25, v24
	v_add_f32_e32 v6, v6, v30
	v_mul_f32_e32 v30, v53, v19
	v_add_f32_e32 v16, v16, v22
	v_fma_f32 v31, v36, v18, -v23
	ds_load_2addr_b64 v[22:25], v11 offset0:96 offset1:112
	v_mul_f32_e32 v19, v52, v19
	v_add_f32_e32 v1, v1, v31
	v_fma_f32 v31, v36, v20, -v32
	s_delay_alu instid0(VALU_DEP_1) | instskip(SKIP_4) | instid1(VALU_DEP_2)
	v_add_f32_e32 v7, v7, v31
	v_mul_f32_e32 v31, v53, v21
	v_mul_f32_e32 v21, v52, v21
	v_fma_f32 v30, v52, v18, -v30
	v_fmac_f32_e32 v17, v37, v20
	v_dual_fmac_f32 v21, v53, v20 :: v_dual_add_f32 v30, v26, v30
	s_delay_alu instid0(VALU_DEP_2)
	v_dual_fmac_f32 v19, v53, v18 :: v_dual_add_f32 v32, v27, v17
	v_fma_f32 v17, v52, v20, -v31
	s_waitcnt lgkmcnt(0)
	v_mul_f32_e32 v26, v38, v23
	v_mul_f32_e32 v20, v39, v23
	v_dual_add_f32 v31, v28, v19 :: v_dual_add_f32 v34, v29, v21
	v_add_f32_e32 v33, v16, v17
	ds_load_2addr_b64 v[16:19], v11 offset0:128 offset1:144
	v_fmac_f32_e32 v26, v39, v22
	v_mul_f32_e32 v27, v39, v25
	v_mul_f32_e32 v21, v38, v25
	;; [unrolled: 1-line block ×4, first 2 shown]
	v_fma_f32 v20, v38, v22, -v20
	v_add_f32_e32 v6, v6, v26
	v_fma_f32 v27, v38, v24, -v27
	s_waitcnt lgkmcnt(0)
	v_dual_fmac_f32 v25, v55, v24 :: v_dual_mul_f32 v38, v40, v17
	s_delay_alu instid0(VALU_DEP_1) | instskip(NEXT) | instid1(VALU_DEP_2)
	v_dual_add_f32 v25, v34, v25 :: v_dual_mul_f32 v34, v40, v19
	v_fmac_f32_e32 v38, v41, v16
	v_fmac_f32_e32 v21, v39, v24
	v_dual_add_f32 v1, v1, v20 :: v_dual_mul_f32 v20, v55, v23
	s_delay_alu instid0(VALU_DEP_4) | instskip(NEXT) | instid1(VALU_DEP_4)
	v_fmac_f32_e32 v34, v41, v18
	v_add_f32_e32 v6, v6, v38
	s_delay_alu instid0(VALU_DEP_4)
	v_add_f32_e32 v36, v32, v21
	v_fma_f32 v21, v54, v24, -v35
	v_add_f32_e32 v7, v7, v27
	ds_load_b128 v[26:29], v12 offset:1056
	v_mul_f32_e32 v23, v54, v23
	v_fma_f32 v20, v54, v22, -v20
	v_add_f32_e32 v24, v33, v21
	v_add_f32_e32 v34, v36, v34
	s_delay_alu instid0(VALU_DEP_4) | instskip(NEXT) | instid1(VALU_DEP_4)
	v_fmac_f32_e32 v23, v55, v22
	v_dual_add_f32 v35, v30, v20 :: v_dual_mul_f32 v20, v41, v17
	s_delay_alu instid0(VALU_DEP_2) | instskip(SKIP_1) | instid1(VALU_DEP_3)
	v_add_f32_e32 v37, v31, v23
	v_mul_f32_e32 v31, v41, v19
	v_fma_f32 v30, v40, v16, -v20
	ds_load_2addr_b64 v[20:23], v11 offset0:160 offset1:176
	v_fma_f32 v39, v40, v18, -v31
	v_add_f32_e32 v1, v1, v30
	ds_load_b128 v[30:33], v12 offset:1072
	s_waitcnt lgkmcnt(2)
	v_mul_f32_e32 v36, v26, v19
	v_mul_f32_e32 v40, v27, v17
	s_delay_alu instid0(VALU_DEP_2) | instskip(NEXT) | instid1(VALU_DEP_2)
	v_dual_fmac_f32 v36, v27, v18 :: v_dual_mul_f32 v17, v26, v17
	v_fma_f32 v38, v26, v16, -v40
	s_delay_alu instid0(VALU_DEP_2)
	v_fmac_f32_e32 v17, v27, v16
	v_add_f32_e32 v7, v7, v39
	v_mul_f32_e32 v39, v27, v19
	s_waitcnt lgkmcnt(1)
	v_mul_f32_e32 v27, v42, v21
	v_mul_f32_e32 v19, v43, v21
	s_delay_alu instid0(VALU_DEP_3) | instskip(NEXT) | instid1(VALU_DEP_1)
	v_fma_f32 v16, v26, v18, -v39
	v_add_f32_e32 v24, v24, v16
	s_delay_alu instid0(VALU_DEP_4) | instskip(SKIP_1) | instid1(VALU_DEP_2)
	v_fmac_f32_e32 v27, v43, v20
	v_add_f32_e32 v36, v25, v36
	v_add_f32_e32 v6, v6, v27
	;; [unrolled: 1-line block ×3, first 2 shown]
	v_fma_f32 v37, v42, v20, -v19
	ds_load_2addr_b64 v[16:19], v11 offset0:192 offset1:208
	v_mul_f32_e32 v25, v42, v23
	v_add_f32_e32 v35, v35, v38
	v_dual_mul_f32 v38, v43, v23 :: v_dual_mul_f32 v27, v29, v21
	v_mul_f32_e32 v21, v28, v21
	s_delay_alu instid0(VALU_DEP_4) | instskip(NEXT) | instid1(VALU_DEP_3)
	v_fmac_f32_e32 v25, v43, v22
	v_fma_f32 v27, v28, v20, -v27
	s_delay_alu instid0(VALU_DEP_2) | instskip(NEXT) | instid1(VALU_DEP_1)
	v_dual_fmac_f32 v21, v29, v20 :: v_dual_add_f32 v20, v34, v25
	v_add_f32_e32 v21, v26, v21
	s_waitcnt lgkmcnt(0)
	v_mul_f32_e32 v34, v45, v17
	v_add_f32_e32 v1, v1, v37
	v_fma_f32 v37, v42, v22, -v38
	s_delay_alu instid0(VALU_DEP_3) | instskip(NEXT) | instid1(VALU_DEP_2)
	v_fma_f32 v34, v44, v16, -v34
	v_add_f32_e32 v7, v7, v37
	v_mul_f32_e32 v37, v29, v23
	v_mul_f32_e32 v23, v28, v23
	s_delay_alu instid0(VALU_DEP_2) | instskip(SKIP_3) | instid1(VALU_DEP_2)
	v_fma_f32 v25, v28, v22, -v37
	v_add_f32_e32 v28, v35, v27
	v_mul_f32_e32 v35, v45, v19
	v_dual_add_f32 v1, v1, v34 :: v_dual_mul_f32 v34, v31, v17
	v_fma_f32 v35, v44, v18, -v35
	s_delay_alu instid0(VALU_DEP_1)
	v_add_f32_e32 v7, v7, v35
	v_dual_fmac_f32 v23, v29, v22 :: v_dual_add_f32 v22, v24, v25
	ds_load_2addr_b64 v[24:27], v11 offset0:224 offset1:240
	s_waitcnt lgkmcnt(0)
	s_barrier
	v_add_f32_e32 v23, v36, v23
	v_mul_f32_e32 v29, v44, v17
	v_dual_mul_f32 v36, v44, v19 :: v_dual_mul_f32 v17, v30, v17
	buffer_gl0_inv
	v_fmac_f32_e32 v29, v45, v16
	v_dual_fmac_f32 v36, v45, v18 :: v_dual_fmac_f32 v17, v31, v16
	s_delay_alu instid0(VALU_DEP_2) | instskip(SKIP_1) | instid1(VALU_DEP_3)
	v_add_f32_e32 v6, v6, v29
	v_fma_f32 v29, v30, v16, -v34
	v_dual_mul_f32 v34, v31, v19 :: v_dual_add_f32 v35, v20, v36
	s_delay_alu instid0(VALU_DEP_2) | instskip(NEXT) | instid1(VALU_DEP_2)
	v_dual_mul_f32 v19, v30, v19 :: v_dual_add_f32 v16, v28, v29
	v_fma_f32 v20, v30, v18, -v34
	v_mul_f32_e32 v28, v47, v25
	v_mul_f32_e32 v29, v46, v25
	s_delay_alu instid0(VALU_DEP_3) | instskip(NEXT) | instid1(VALU_DEP_3)
	v_dual_fmac_f32 v19, v31, v18 :: v_dual_add_f32 v30, v22, v20
	v_fma_f32 v18, v46, v24, -v28
	s_delay_alu instid0(VALU_DEP_3)
	v_fmac_f32_e32 v29, v47, v24
	v_dual_mul_f32 v20, v47, v27 :: v_dual_add_f32 v17, v21, v17
	v_mul_f32_e32 v21, v46, v27
	v_add_f32_e32 v28, v23, v19
	v_add_f32_e32 v22, v1, v18
	v_dual_mul_f32 v18, v33, v27 :: v_dual_add_f32 v23, v6, v29
	v_fma_f32 v1, v46, v26, -v20
	v_mul_f32_e32 v6, v33, v25
	v_mul_f32_e32 v19, v32, v25
	;; [unrolled: 1-line block ×3, first 2 shown]
	v_fmac_f32_e32 v21, v47, v26
	v_add_f32_e32 v20, v7, v1
	v_fma_f32 v1, v32, v24, -v6
	v_fmac_f32_e32 v19, v33, v24
	v_fma_f32 v6, v32, v26, -v18
	v_fmac_f32_e32 v25, v33, v26
	v_add_f32_e32 v21, v35, v21
	s_delay_alu instid0(VALU_DEP_4) | instskip(NEXT) | instid1(VALU_DEP_3)
	v_dual_add_f32 v18, v16, v1 :: v_dual_add_f32 v19, v17, v19
	v_dual_add_f32 v16, v30, v6 :: v_dual_add_f32 v17, v28, v25
	s_cbranch_vccnz .LBB1147_9
.LBB1147_3:                             ; =>This Inner Loop Header: Depth=1
	v_add_co_u32 v6, s6, v13, s4
	s_delay_alu instid0(VALU_DEP_1) | instskip(NEXT) | instid1(VALU_DEP_1)
	v_add_co_ci_u32_e64 v7, null, 0, s5, s6
	v_cmp_gt_i64_e32 vcc_lo, s[16:17], v[6:7]
	v_dual_mov_b32 v6, 0 :: v_dual_mov_b32 v7, 0
	s_and_b32 s7, s2, vcc_lo
	s_delay_alu instid0(SALU_CYCLE_1)
	s_and_saveexec_b32 s6, s7
	s_cbranch_execz .LBB1147_5
; %bb.4:                                ;   in Loop: Header=BB1147_3 Depth=1
	global_load_b64 v[6:7], v[2:3], off offset:-4
.LBB1147_5:                             ;   in Loop: Header=BB1147_3 Depth=1
	s_or_b32 exec_lo, exec_lo, s6
	v_add_co_u32 v24, s6, v10, s4
	s_delay_alu instid0(VALU_DEP_1) | instskip(SKIP_4) | instid1(SALU_CYCLE_1)
	v_add_co_ci_u32_e64 v25, null, 0, s5, s6
	s_waitcnt vmcnt(0)
	ds_store_b64 v14, v[6:7]
	v_cmp_le_i64_e32 vcc_lo, s[16:17], v[24:25]
	s_or_b32 s6, vcc_lo, s3
	s_and_saveexec_b32 s7, s6
	s_delay_alu instid0(SALU_CYCLE_1)
	s_xor_b32 s6, exec_lo, s7
	s_cbranch_execz .LBB1147_7
; %bb.6:                                ;   in Loop: Header=BB1147_3 Depth=1
	v_mov_b32_e32 v1, v0
	ds_store_b64 v15, v[0:1]
.LBB1147_7:                             ;   in Loop: Header=BB1147_3 Depth=1
	s_and_not1_saveexec_b32 s6, s6
	s_cbranch_execz .LBB1147_2
; %bb.8:                                ;   in Loop: Header=BB1147_3 Depth=1
	global_load_b64 v[6:7], v[4:5], off
	s_waitcnt vmcnt(0)
	ds_store_b64 v15, v[6:7]
	s_branch .LBB1147_2
.LBB1147_9:
	s_load_b256 s[4:11], s[0:1], 0x48
	v_add_nc_u32_e32 v4, s14, v9
	s_delay_alu instid0(VALU_DEP_1) | instskip(SKIP_3) | instid1(VALU_DEP_3)
	v_ashrrev_i32_e32 v0, 31, v4
	s_waitcnt lgkmcnt(0)
	v_mul_lo_u32 v3, v4, s9
	v_mad_u64_u32 v[1:2], null, v4, s8, 0
	v_mul_lo_u32 v0, v0, s8
	s_mul_i32 s1, s15, s11
	s_mul_hi_u32 s2, s15, s10
	s_mul_i32 s0, s15, s10
	s_add_i32 s1, s2, s1
	s_delay_alu instid0(SALU_CYCLE_1) | instskip(NEXT) | instid1(VALU_DEP_1)
	s_lshl_b64 s[2:3], s[0:1], 3
	v_add3_u32 v2, v2, v3, v0
	v_add_nc_u32_e32 v0, s13, v8
	s_add_u32 s2, s6, s2
	s_addc_u32 s3, s7, s3
	s_delay_alu instid0(VALU_DEP_2) | instskip(NEXT) | instid1(VALU_DEP_2)
	v_lshlrev_b64 v[1:2], 3, v[1:2]
	v_cmp_le_i32_e64 s0, v4, v0
	v_cmp_gt_i32_e32 vcc_lo, s12, v0
	s_delay_alu instid0(VALU_DEP_3) | instskip(NEXT) | instid1(VALU_DEP_1)
	v_add_co_u32 v5, s1, s2, v1
	v_add_co_ci_u32_e64 v6, s1, s3, v2, s1
	s_delay_alu instid0(VALU_DEP_4) | instskip(NEXT) | instid1(SALU_CYCLE_1)
	s_and_b32 s0, s0, vcc_lo
	s_and_saveexec_b32 s1, s0
	s_cbranch_execz .LBB1147_11
; %bb.10:
	v_ashrrev_i32_e32 v1, 31, v0
	s_delay_alu instid0(VALU_DEP_1) | instskip(NEXT) | instid1(VALU_DEP_1)
	v_lshlrev_b64 v[1:2], 3, v[0:1]
	v_add_co_u32 v1, s0, v5, v1
	s_delay_alu instid0(VALU_DEP_1)
	v_add_co_ci_u32_e64 v2, s0, v6, v2, s0
	global_load_b64 v[7:8], v[1:2], off
	v_mul_f32_e32 v3, s19, v23
	s_waitcnt vmcnt(0)
	v_dual_mul_f32 v9, s18, v23 :: v_dual_mul_f32 v10, s5, v8
	v_mul_f32_e32 v8, s4, v8
	s_delay_alu instid0(VALU_DEP_3) | instskip(NEXT) | instid1(VALU_DEP_3)
	v_fma_f32 v3, v22, s18, -v3
	v_fmac_f32_e32 v9, s19, v22
	s_delay_alu instid0(VALU_DEP_4) | instskip(NEXT) | instid1(VALU_DEP_1)
	v_fma_f32 v10, v7, s4, -v10
	v_dual_fmac_f32 v8, s5, v7 :: v_dual_add_f32 v7, v3, v10
	s_delay_alu instid0(VALU_DEP_1)
	v_add_f32_e32 v8, v9, v8
	global_store_b64 v[1:2], v[7:8], off
.LBB1147_11:
	s_or_b32 exec_lo, exec_lo, s1
	v_add_nc_u32_e32 v2, 16, v0
	s_delay_alu instid0(VALU_DEP_1) | instskip(SKIP_1) | instid1(VALU_DEP_1)
	v_cmp_le_i32_e64 s1, v4, v2
	v_cmp_gt_i32_e64 s0, s12, v2
	s_and_b32 s1, s1, s0
	s_delay_alu instid0(SALU_CYCLE_1)
	s_and_saveexec_b32 s6, s1
	s_cbranch_execz .LBB1147_13
; %bb.12:
	v_ashrrev_i32_e32 v3, 31, v2
	s_delay_alu instid0(VALU_DEP_1) | instskip(NEXT) | instid1(VALU_DEP_1)
	v_lshlrev_b64 v[7:8], 3, v[2:3]
	v_add_co_u32 v5, s1, v5, v7
	s_delay_alu instid0(VALU_DEP_1)
	v_add_co_ci_u32_e64 v6, s1, v6, v8, s1
	global_load_b64 v[7:8], v[5:6], off
	v_mul_f32_e32 v1, s19, v21
	s_waitcnt vmcnt(0)
	v_mul_f32_e32 v9, s5, v8
	v_dual_mul_f32 v8, s4, v8 :: v_dual_mul_f32 v3, s18, v21
	s_delay_alu instid0(VALU_DEP_3) | instskip(NEXT) | instid1(VALU_DEP_3)
	v_fma_f32 v1, v20, s18, -v1
	v_fma_f32 v9, v7, s4, -v9
	s_delay_alu instid0(VALU_DEP_3) | instskip(NEXT) | instid1(VALU_DEP_1)
	v_dual_fmac_f32 v8, s5, v7 :: v_dual_fmac_f32 v3, s19, v20
	v_dual_add_f32 v7, v1, v9 :: v_dual_add_f32 v8, v3, v8
	global_store_b64 v[5:6], v[7:8], off
.LBB1147_13:
	s_or_b32 exec_lo, exec_lo, s6
	v_add_nc_u32_e32 v3, 16, v4
	s_delay_alu instid0(VALU_DEP_1) | instskip(SKIP_3) | instid1(VALU_DEP_4)
	v_ashrrev_i32_e32 v1, 31, v3
	v_mul_lo_u32 v6, v3, s9
	v_mad_u64_u32 v[4:5], null, v3, s8, 0
	v_cmp_le_i32_e64 s1, v3, v0
	v_mul_lo_u32 v1, v1, s8
	s_delay_alu instid0(VALU_DEP_1) | instskip(NEXT) | instid1(VALU_DEP_1)
	v_add3_u32 v5, v5, v6, v1
	v_lshlrev_b64 v[4:5], 3, v[4:5]
	s_delay_alu instid0(VALU_DEP_1) | instskip(NEXT) | instid1(VALU_DEP_1)
	v_add_co_u32 v4, s2, s2, v4
	v_add_co_ci_u32_e64 v5, s2, s3, v5, s2
	s_and_b32 s2, s1, vcc_lo
	s_delay_alu instid0(SALU_CYCLE_1)
	s_and_saveexec_b32 s1, s2
	s_cbranch_execz .LBB1147_15
; %bb.14:
	v_ashrrev_i32_e32 v1, 31, v0
	s_delay_alu instid0(VALU_DEP_1) | instskip(NEXT) | instid1(VALU_DEP_1)
	v_lshlrev_b64 v[0:1], 3, v[0:1]
	v_add_co_u32 v0, vcc_lo, v4, v0
	s_delay_alu instid0(VALU_DEP_2) | instskip(SKIP_4) | instid1(VALU_DEP_1)
	v_add_co_ci_u32_e32 v1, vcc_lo, v5, v1, vcc_lo
	global_load_b64 v[6:7], v[0:1], off
	s_waitcnt vmcnt(0)
	v_mul_f32_e32 v10, s5, v7
	v_mul_f32_e32 v7, s4, v7
	v_fmac_f32_e32 v7, s5, v6
	s_delay_alu instid0(VALU_DEP_3) | instskip(SKIP_1) | instid1(VALU_DEP_1)
	v_fma_f32 v10, v6, s4, -v10
	v_mul_f32_e32 v9, s18, v19
	v_dual_mul_f32 v8, s19, v19 :: v_dual_fmac_f32 v9, s19, v18
	s_delay_alu instid0(VALU_DEP_1) | instskip(NEXT) | instid1(VALU_DEP_1)
	v_fma_f32 v8, v18, s18, -v8
	v_dual_add_f32 v7, v9, v7 :: v_dual_add_f32 v6, v8, v10
	global_store_b64 v[0:1], v[6:7], off
.LBB1147_15:
	s_or_b32 exec_lo, exec_lo, s1
	v_cmp_le_i32_e32 vcc_lo, v3, v2
	s_and_b32 s0, vcc_lo, s0
	s_delay_alu instid0(SALU_CYCLE_1)
	s_and_saveexec_b32 s1, s0
	s_cbranch_execz .LBB1147_17
; %bb.16:
	v_ashrrev_i32_e32 v3, 31, v2
	s_delay_alu instid0(VALU_DEP_1) | instskip(NEXT) | instid1(VALU_DEP_1)
	v_lshlrev_b64 v[0:1], 3, v[2:3]
	v_add_co_u32 v0, vcc_lo, v4, v0
	s_delay_alu instid0(VALU_DEP_2)
	v_add_co_ci_u32_e32 v1, vcc_lo, v5, v1, vcc_lo
	global_load_b64 v[2:3], v[0:1], off
	v_mul_f32_e32 v4, s19, v17
	s_waitcnt vmcnt(0)
	v_dual_mul_f32 v5, s18, v17 :: v_dual_mul_f32 v6, s5, v3
	v_mul_f32_e32 v3, s4, v3
	s_delay_alu instid0(VALU_DEP_3) | instskip(NEXT) | instid1(VALU_DEP_3)
	v_fma_f32 v4, v16, s18, -v4
	v_fma_f32 v6, v2, s4, -v6
	s_delay_alu instid0(VALU_DEP_4) | instskip(NEXT) | instid1(VALU_DEP_4)
	v_fmac_f32_e32 v5, s19, v16
	v_fmac_f32_e32 v3, s5, v2
	s_delay_alu instid0(VALU_DEP_1)
	v_dual_add_f32 v2, v4, v6 :: v_dual_add_f32 v3, v5, v3
	global_store_b64 v[0:1], v[2:3], off
.LBB1147_17:
	s_nop 0
	s_sendmsg sendmsg(MSG_DEALLOC_VGPRS)
	s_endpgm
	.section	.rodata,"a",@progbits
	.p2align	6, 0x0
	.amdhsa_kernel _ZL34rocblas_syrkx_herkx_general_kernelIl19rocblas_complex_numIfELi16ELi32ELi8ELb0ELb0ELc67ELc76EKS1_S1_EviT_T0_PT8_S3_lS6_S3_lS4_PT9_S3_li
		.amdhsa_group_segment_fixed_size 4096
		.amdhsa_private_segment_fixed_size 0
		.amdhsa_kernarg_size 108
		.amdhsa_user_sgpr_count 13
		.amdhsa_user_sgpr_dispatch_ptr 0
		.amdhsa_user_sgpr_queue_ptr 0
		.amdhsa_user_sgpr_kernarg_segment_ptr 1
		.amdhsa_user_sgpr_dispatch_id 0
		.amdhsa_user_sgpr_private_segment_size 0
		.amdhsa_wavefront_size32 1
		.amdhsa_uses_dynamic_stack 0
		.amdhsa_enable_private_segment 0
		.amdhsa_system_sgpr_workgroup_id_x 1
		.amdhsa_system_sgpr_workgroup_id_y 1
		.amdhsa_system_sgpr_workgroup_id_z 1
		.amdhsa_system_sgpr_workgroup_info 0
		.amdhsa_system_vgpr_workitem_id 1
		.amdhsa_next_free_vgpr 59
		.amdhsa_next_free_sgpr 32
		.amdhsa_reserve_vcc 1
		.amdhsa_float_round_mode_32 0
		.amdhsa_float_round_mode_16_64 0
		.amdhsa_float_denorm_mode_32 3
		.amdhsa_float_denorm_mode_16_64 3
		.amdhsa_dx10_clamp 1
		.amdhsa_ieee_mode 1
		.amdhsa_fp16_overflow 0
		.amdhsa_workgroup_processor_mode 1
		.amdhsa_memory_ordered 1
		.amdhsa_forward_progress 0
		.amdhsa_shared_vgpr_count 0
		.amdhsa_exception_fp_ieee_invalid_op 0
		.amdhsa_exception_fp_denorm_src 0
		.amdhsa_exception_fp_ieee_div_zero 0
		.amdhsa_exception_fp_ieee_overflow 0
		.amdhsa_exception_fp_ieee_underflow 0
		.amdhsa_exception_fp_ieee_inexact 0
		.amdhsa_exception_int_div_zero 0
	.end_amdhsa_kernel
	.section	.text._ZL34rocblas_syrkx_herkx_general_kernelIl19rocblas_complex_numIfELi16ELi32ELi8ELb0ELb0ELc67ELc76EKS1_S1_EviT_T0_PT8_S3_lS6_S3_lS4_PT9_S3_li,"axG",@progbits,_ZL34rocblas_syrkx_herkx_general_kernelIl19rocblas_complex_numIfELi16ELi32ELi8ELb0ELb0ELc67ELc76EKS1_S1_EviT_T0_PT8_S3_lS6_S3_lS4_PT9_S3_li,comdat
.Lfunc_end1147:
	.size	_ZL34rocblas_syrkx_herkx_general_kernelIl19rocblas_complex_numIfELi16ELi32ELi8ELb0ELb0ELc67ELc76EKS1_S1_EviT_T0_PT8_S3_lS6_S3_lS4_PT9_S3_li, .Lfunc_end1147-_ZL34rocblas_syrkx_herkx_general_kernelIl19rocblas_complex_numIfELi16ELi32ELi8ELb0ELb0ELc67ELc76EKS1_S1_EviT_T0_PT8_S3_lS6_S3_lS4_PT9_S3_li
                                        ; -- End function
	.section	.AMDGPU.csdata,"",@progbits
; Kernel info:
; codeLenInByte = 2716
; NumSgprs: 34
; NumVgprs: 59
; ScratchSize: 0
; MemoryBound: 1
; FloatMode: 240
; IeeeMode: 1
; LDSByteSize: 4096 bytes/workgroup (compile time only)
; SGPRBlocks: 4
; VGPRBlocks: 7
; NumSGPRsForWavesPerEU: 34
; NumVGPRsForWavesPerEU: 59
; Occupancy: 16
; WaveLimiterHint : 0
; COMPUTE_PGM_RSRC2:SCRATCH_EN: 0
; COMPUTE_PGM_RSRC2:USER_SGPR: 13
; COMPUTE_PGM_RSRC2:TRAP_HANDLER: 0
; COMPUTE_PGM_RSRC2:TGID_X_EN: 1
; COMPUTE_PGM_RSRC2:TGID_Y_EN: 1
; COMPUTE_PGM_RSRC2:TGID_Z_EN: 1
; COMPUTE_PGM_RSRC2:TIDIG_COMP_CNT: 1
	.section	.text._ZL34rocblas_syrkx_herkx_general_kernelIl19rocblas_complex_numIfELi16ELi32ELi8ELb0ELb0ELc78ELc76EKS1_S1_EviT_T0_PT8_S3_lS6_S3_lS4_PT9_S3_li,"axG",@progbits,_ZL34rocblas_syrkx_herkx_general_kernelIl19rocblas_complex_numIfELi16ELi32ELi8ELb0ELb0ELc78ELc76EKS1_S1_EviT_T0_PT8_S3_lS6_S3_lS4_PT9_S3_li,comdat
	.globl	_ZL34rocblas_syrkx_herkx_general_kernelIl19rocblas_complex_numIfELi16ELi32ELi8ELb0ELb0ELc78ELc76EKS1_S1_EviT_T0_PT8_S3_lS6_S3_lS4_PT9_S3_li ; -- Begin function _ZL34rocblas_syrkx_herkx_general_kernelIl19rocblas_complex_numIfELi16ELi32ELi8ELb0ELb0ELc78ELc76EKS1_S1_EviT_T0_PT8_S3_lS6_S3_lS4_PT9_S3_li
	.p2align	8
	.type	_ZL34rocblas_syrkx_herkx_general_kernelIl19rocblas_complex_numIfELi16ELi32ELi8ELb0ELb0ELc78ELc76EKS1_S1_EviT_T0_PT8_S3_lS6_S3_lS4_PT9_S3_li,@function
_ZL34rocblas_syrkx_herkx_general_kernelIl19rocblas_complex_numIfELi16ELi32ELi8ELb0ELb0ELc78ELc76EKS1_S1_EviT_T0_PT8_S3_lS6_S3_lS4_PT9_S3_li: ; @_ZL34rocblas_syrkx_herkx_general_kernelIl19rocblas_complex_numIfELi16ELi32ELi8ELb0ELb0ELc78ELc76EKS1_S1_EviT_T0_PT8_S3_lS6_S3_lS4_PT9_S3_li
; %bb.0:
	s_clause 0x1
	s_load_b512 s[16:31], s[0:1], 0x8
	s_load_b32 s12, s[0:1], 0x0
	v_dual_mov_b32 v22, 0 :: v_dual_mov_b32 v23, 0
	v_dual_mov_b32 v20, 0 :: v_dual_mov_b32 v21, 0
	;; [unrolled: 1-line block ×4, first 2 shown]
	v_and_b32_e32 v8, 0x3ff, v0
	v_bfe_u32 v9, v0, 10, 10
	s_lshl_b32 s13, s13, 5
	s_lshl_b32 s14, s14, 5
	s_waitcnt lgkmcnt(0)
	v_cmp_lt_i64_e64 s2, s[16:17], 1
	s_delay_alu instid0(VALU_DEP_1)
	s_and_b32 vcc_lo, exec_lo, s2
	s_cbranch_vccnz .LBB1148_9
; %bb.1:
	v_lshl_add_u32 v5, v9, 4, v8
	v_and_b32_e32 v10, 7, v8
	s_mul_i32 s3, s25, s15
	s_mul_hi_u32 s4, s24, s15
	s_mul_i32 s2, s24, s15
	v_lshrrev_b32_e32 v11, 5, v5
	v_mad_u64_u32 v[3:4], null, s28, v10, 0
	v_lshrrev_b32_e32 v7, 3, v5
	v_dual_mov_b32 v21, 0 :: v_dual_and_b32 v14, 31, v5
	s_delay_alu instid0(VALU_DEP_4) | instskip(SKIP_1) | instid1(VALU_DEP_2)
	v_mad_u64_u32 v[1:2], null, s22, v11, 0
	s_add_i32 s3, s4, s3
	v_or_b32_e32 v15, s13, v14
	v_dual_mov_b32 v0, 0 :: v_dual_lshlrev_b32 v17, 3, v14
	s_lshl_b64 s[4:5], s[2:3], 3
	v_mov_b32_e32 v23, 0
	s_delay_alu instid0(VALU_DEP_4)
	v_mad_u64_u32 v[5:6], null, s23, v11, v[2:3]
	v_lshlrev_b32_e32 v2, 3, v10
	v_add_nc_u32_e32 v6, s14, v7
	v_cmp_gt_i32_e32 vcc_lo, s12, v15
	v_add_nc_u32_e32 v16, s13, v14
	s_mul_i32 s6, s31, s15
	v_lshl_or_b32 v7, v7, 6, v2
	v_mov_b32_e32 v2, v5
	v_mad_u64_u32 v[18:19], null, s29, v10, v[4:5]
	v_lshl_or_b32 v14, v11, 8, v17
	s_delay_alu instid0(VALU_DEP_4) | instskip(NEXT) | instid1(VALU_DEP_4)
	v_add_nc_u32_e32 v15, 0x800, v7
	v_lshlrev_b64 v[1:2], 3, v[1:2]
	v_ashrrev_i32_e32 v17, 31, v16
	v_ashrrev_i32_e32 v7, 31, v6
	v_dual_mov_b32 v19, 0 :: v_dual_lshlrev_b32 v12, 3, v8
	v_mov_b32_e32 v4, v18
	v_add_co_u32 v5, s3, v1, s4
	s_delay_alu instid0(VALU_DEP_1) | instskip(SKIP_1) | instid1(VALU_DEP_3)
	v_add_co_ci_u32_e64 v18, s3, s5, v2, s3
	s_mul_hi_u32 s3, s30, s15
	v_lshlrev_b64 v[1:2], 3, v[3:4]
	s_add_i32 s5, s3, s6
	s_mul_i32 s4, s30, s15
	v_lshlrev_b64 v[3:4], 3, v[16:17]
	s_lshl_b64 s[4:5], s[4:5], 3
	v_lshl_add_u32 v13, v9, 6, 0x800
	v_add_co_u32 v16, s3, s4, v1
	s_delay_alu instid0(VALU_DEP_1) | instskip(SKIP_2) | instid1(VALU_DEP_1)
	v_add_co_ci_u32_e64 v17, s3, s5, v2, s3
	v_lshlrev_b64 v[1:2], 3, v[6:7]
	v_add_co_u32 v3, s3, v5, v3
	v_add_co_ci_u32_e64 v4, s3, v18, v4, s3
	v_cmp_gt_i32_e64 s2, s12, v6
	s_delay_alu instid0(VALU_DEP_4) | instskip(NEXT) | instid1(VALU_DEP_1)
	v_add_co_u32 v1, s3, v16, v1
	v_add_co_ci_u32_e64 v5, s3, v17, v2, s3
	v_add_co_u32 v2, s3, s20, v3
	s_delay_alu instid0(VALU_DEP_1) | instskip(NEXT) | instid1(VALU_DEP_4)
	v_add_co_ci_u32_e64 v3, s3, s21, v4, s3
	v_add_co_u32 v1, s3, v1, s26
	s_delay_alu instid0(VALU_DEP_1) | instskip(SKIP_1) | instid1(VALU_DEP_3)
	v_add_co_ci_u32_e64 v5, s3, s27, v5, s3
	v_mov_b32_e32 v17, 0
	v_add_co_u32 v4, s3, v1, 4
	s_delay_alu instid0(VALU_DEP_1)
	v_add_co_ci_u32_e64 v5, s3, 0, v5, s3
	v_mov_b32_e32 v16, 0
	v_mov_b32_e32 v18, 0
	;; [unrolled: 1-line block ×4, first 2 shown]
	s_lshl_b64 s[4:5], s[22:23], 6
	s_lshl_b64 s[6:7], s[28:29], 6
	s_mov_b64 s[8:9], 0
	s_xor_b32 s3, vcc_lo, -1
	s_branch .LBB1148_3
.LBB1148_2:                             ;   in Loop: Header=BB1148_3 Depth=1
	s_or_b32 exec_lo, exec_lo, s10
	s_waitcnt vmcnt(0)
	ds_store_b64 v15, v[6:7]
	s_waitcnt lgkmcnt(0)
	s_barrier
	buffer_gl0_inv
	ds_load_2addr_b64 v[24:27], v12 offset1:16
	ds_load_b128 v[28:31], v13
	ds_load_b128 v[32:35], v13 offset:1024
	ds_load_b128 v[36:39], v13 offset:16
	;; [unrolled: 1-line block ×4, first 2 shown]
	ds_load_2addr_b64 v[48:51], v12 offset0:32 offset1:48
	ds_load_b128 v[52:55], v13 offset:1040
	s_add_u32 s8, s8, 8
	s_addc_u32 s9, s9, 0
	v_add_co_u32 v2, vcc_lo, v2, s4
	v_cmp_ge_i64_e64 s10, s[8:9], s[16:17]
	v_add_co_ci_u32_e32 v3, vcc_lo, s5, v3, vcc_lo
	v_add_co_u32 v4, vcc_lo, v4, s6
	v_add_co_ci_u32_e32 v5, vcc_lo, s7, v5, vcc_lo
	s_delay_alu instid0(VALU_DEP_4)
	s_and_b32 vcc_lo, exec_lo, s10
	s_waitcnt lgkmcnt(6)
	v_dual_mul_f32 v1, v29, v25 :: v_dual_mul_f32 v56, v28, v27
	v_dual_mul_f32 v6, v28, v25 :: v_dual_mul_f32 v7, v29, v27
	s_waitcnt lgkmcnt(5)
	v_mul_f32_e32 v58, v33, v27
	s_delay_alu instid0(VALU_DEP_3) | instskip(SKIP_3) | instid1(VALU_DEP_4)
	v_fma_f32 v1, v28, v24, -v1
	v_dual_mul_f32 v27, v32, v27 :: v_dual_fmac_f32 v56, v29, v26
	v_fmac_f32_e32 v6, v29, v24
	v_fma_f32 v7, v28, v26, -v7
	v_add_f32_e32 v1, v22, v1
	v_mul_f32_e32 v57, v33, v25
	s_delay_alu instid0(VALU_DEP_4) | instskip(NEXT) | instid1(VALU_DEP_4)
	v_dual_mul_f32 v25, v32, v25 :: v_dual_add_f32 v6, v23, v6
	v_dual_add_f32 v7, v20, v7 :: v_dual_add_f32 v22, v21, v56
	s_delay_alu instid0(VALU_DEP_3) | instskip(NEXT) | instid1(VALU_DEP_3)
	v_fma_f32 v28, v32, v24, -v57
	v_fmac_f32_e32 v25, v33, v24
	v_fma_f32 v24, v32, v26, -v58
	v_fmac_f32_e32 v27, v33, v26
	s_waitcnt lgkmcnt(1)
	v_dual_add_f32 v23, v18, v28 :: v_dual_mul_f32 v28, v31, v49
	s_delay_alu instid0(VALU_DEP_3)
	v_dual_add_f32 v25, v19, v25 :: v_dual_add_f32 v16, v16, v24
	v_mul_f32_e32 v24, v30, v49
	ds_load_2addr_b64 v[18:21], v12 offset0:64 offset1:80
	v_fma_f32 v26, v30, v48, -v28
	v_mul_f32_e32 v28, v31, v51
	v_dual_add_f32 v17, v17, v27 :: v_dual_fmac_f32 v24, v31, v48
	v_mul_f32_e32 v27, v30, v51
	s_delay_alu instid0(VALU_DEP_4) | instskip(NEXT) | instid1(VALU_DEP_4)
	v_add_f32_e32 v1, v1, v26
	v_fma_f32 v26, v30, v50, -v28
	v_mul_f32_e32 v28, v35, v49
	s_delay_alu instid0(VALU_DEP_4) | instskip(SKIP_1) | instid1(VALU_DEP_1)
	v_dual_add_f32 v6, v6, v24 :: v_dual_fmac_f32 v27, v31, v50
	v_mul_f32_e32 v24, v34, v49
	v_dual_add_f32 v27, v22, v27 :: v_dual_fmac_f32 v24, v35, v48
	v_add_f32_e32 v7, v7, v26
	v_fma_f32 v26, v34, v48, -v28
	v_mul_f32_e32 v29, v34, v51
	s_waitcnt lgkmcnt(0)
	v_mul_f32_e32 v30, v36, v19
	v_mul_f32_e32 v32, v37, v21
	v_add_f32_e32 v26, v23, v26
	v_fmac_f32_e32 v29, v35, v50
	v_mul_f32_e32 v28, v35, v51
	v_fmac_f32_e32 v30, v37, v18
	s_delay_alu instid0(VALU_DEP_3) | instskip(SKIP_1) | instid1(VALU_DEP_4)
	v_add_f32_e32 v29, v17, v29
	v_mul_f32_e32 v17, v36, v21
	v_fma_f32 v22, v34, v50, -v28
	v_mul_f32_e32 v23, v37, v19
	v_add_f32_e32 v28, v25, v24
	v_add_f32_e32 v6, v6, v30
	v_mul_f32_e32 v30, v53, v19
	v_add_f32_e32 v16, v16, v22
	v_fma_f32 v31, v36, v18, -v23
	ds_load_2addr_b64 v[22:25], v12 offset0:96 offset1:112
	v_mul_f32_e32 v19, v52, v19
	v_add_f32_e32 v1, v1, v31
	v_fma_f32 v31, v36, v20, -v32
	s_delay_alu instid0(VALU_DEP_1) | instskip(SKIP_4) | instid1(VALU_DEP_2)
	v_add_f32_e32 v7, v7, v31
	v_mul_f32_e32 v31, v53, v21
	v_mul_f32_e32 v21, v52, v21
	v_fma_f32 v30, v52, v18, -v30
	v_fmac_f32_e32 v17, v37, v20
	v_dual_fmac_f32 v21, v53, v20 :: v_dual_add_f32 v30, v26, v30
	s_delay_alu instid0(VALU_DEP_2)
	v_dual_fmac_f32 v19, v53, v18 :: v_dual_add_f32 v32, v27, v17
	v_fma_f32 v17, v52, v20, -v31
	s_waitcnt lgkmcnt(0)
	v_mul_f32_e32 v26, v38, v23
	v_mul_f32_e32 v20, v39, v23
	v_dual_add_f32 v31, v28, v19 :: v_dual_add_f32 v34, v29, v21
	v_add_f32_e32 v33, v16, v17
	ds_load_2addr_b64 v[16:19], v12 offset0:128 offset1:144
	v_fmac_f32_e32 v26, v39, v22
	v_mul_f32_e32 v27, v39, v25
	v_mul_f32_e32 v21, v38, v25
	;; [unrolled: 1-line block ×4, first 2 shown]
	v_fma_f32 v20, v38, v22, -v20
	v_add_f32_e32 v6, v6, v26
	v_fma_f32 v27, v38, v24, -v27
	s_waitcnt lgkmcnt(0)
	v_dual_fmac_f32 v25, v55, v24 :: v_dual_mul_f32 v38, v40, v17
	s_delay_alu instid0(VALU_DEP_1) | instskip(NEXT) | instid1(VALU_DEP_2)
	v_dual_add_f32 v25, v34, v25 :: v_dual_mul_f32 v34, v40, v19
	v_fmac_f32_e32 v38, v41, v16
	v_fmac_f32_e32 v21, v39, v24
	v_dual_add_f32 v1, v1, v20 :: v_dual_mul_f32 v20, v55, v23
	s_delay_alu instid0(VALU_DEP_4) | instskip(NEXT) | instid1(VALU_DEP_4)
	v_fmac_f32_e32 v34, v41, v18
	v_add_f32_e32 v6, v6, v38
	s_delay_alu instid0(VALU_DEP_4)
	v_add_f32_e32 v36, v32, v21
	v_fma_f32 v21, v54, v24, -v35
	v_add_f32_e32 v7, v7, v27
	ds_load_b128 v[26:29], v13 offset:1056
	v_mul_f32_e32 v23, v54, v23
	v_fma_f32 v20, v54, v22, -v20
	v_add_f32_e32 v24, v33, v21
	v_add_f32_e32 v34, v36, v34
	s_delay_alu instid0(VALU_DEP_4) | instskip(NEXT) | instid1(VALU_DEP_4)
	v_fmac_f32_e32 v23, v55, v22
	v_dual_add_f32 v35, v30, v20 :: v_dual_mul_f32 v20, v41, v17
	s_delay_alu instid0(VALU_DEP_2) | instskip(SKIP_1) | instid1(VALU_DEP_3)
	v_add_f32_e32 v37, v31, v23
	v_mul_f32_e32 v31, v41, v19
	v_fma_f32 v30, v40, v16, -v20
	ds_load_2addr_b64 v[20:23], v12 offset0:160 offset1:176
	v_fma_f32 v39, v40, v18, -v31
	v_add_f32_e32 v1, v1, v30
	ds_load_b128 v[30:33], v13 offset:1072
	s_waitcnt lgkmcnt(2)
	v_mul_f32_e32 v36, v26, v19
	v_mul_f32_e32 v40, v27, v17
	s_delay_alu instid0(VALU_DEP_2) | instskip(NEXT) | instid1(VALU_DEP_2)
	v_dual_fmac_f32 v36, v27, v18 :: v_dual_mul_f32 v17, v26, v17
	v_fma_f32 v38, v26, v16, -v40
	s_delay_alu instid0(VALU_DEP_2)
	v_fmac_f32_e32 v17, v27, v16
	v_add_f32_e32 v7, v7, v39
	v_mul_f32_e32 v39, v27, v19
	s_waitcnt lgkmcnt(1)
	v_mul_f32_e32 v27, v42, v21
	v_mul_f32_e32 v19, v43, v21
	s_delay_alu instid0(VALU_DEP_3) | instskip(NEXT) | instid1(VALU_DEP_1)
	v_fma_f32 v16, v26, v18, -v39
	v_add_f32_e32 v24, v24, v16
	s_delay_alu instid0(VALU_DEP_4) | instskip(SKIP_1) | instid1(VALU_DEP_2)
	v_fmac_f32_e32 v27, v43, v20
	v_add_f32_e32 v36, v25, v36
	v_add_f32_e32 v6, v6, v27
	;; [unrolled: 1-line block ×3, first 2 shown]
	v_fma_f32 v37, v42, v20, -v19
	ds_load_2addr_b64 v[16:19], v12 offset0:192 offset1:208
	v_mul_f32_e32 v25, v42, v23
	v_add_f32_e32 v35, v35, v38
	v_dual_mul_f32 v38, v43, v23 :: v_dual_mul_f32 v27, v29, v21
	v_mul_f32_e32 v21, v28, v21
	s_delay_alu instid0(VALU_DEP_4) | instskip(NEXT) | instid1(VALU_DEP_3)
	v_fmac_f32_e32 v25, v43, v22
	v_fma_f32 v27, v28, v20, -v27
	s_delay_alu instid0(VALU_DEP_2) | instskip(NEXT) | instid1(VALU_DEP_1)
	v_dual_fmac_f32 v21, v29, v20 :: v_dual_add_f32 v20, v34, v25
	v_add_f32_e32 v21, v26, v21
	s_waitcnt lgkmcnt(0)
	v_mul_f32_e32 v34, v45, v17
	v_add_f32_e32 v1, v1, v37
	v_fma_f32 v37, v42, v22, -v38
	s_delay_alu instid0(VALU_DEP_3) | instskip(NEXT) | instid1(VALU_DEP_2)
	v_fma_f32 v34, v44, v16, -v34
	v_add_f32_e32 v7, v7, v37
	v_mul_f32_e32 v37, v29, v23
	v_mul_f32_e32 v23, v28, v23
	s_delay_alu instid0(VALU_DEP_2) | instskip(SKIP_3) | instid1(VALU_DEP_2)
	v_fma_f32 v25, v28, v22, -v37
	v_add_f32_e32 v28, v35, v27
	v_mul_f32_e32 v35, v45, v19
	v_dual_add_f32 v1, v1, v34 :: v_dual_mul_f32 v34, v31, v17
	v_fma_f32 v35, v44, v18, -v35
	s_delay_alu instid0(VALU_DEP_1)
	v_add_f32_e32 v7, v7, v35
	v_dual_fmac_f32 v23, v29, v22 :: v_dual_add_f32 v22, v24, v25
	ds_load_2addr_b64 v[24:27], v12 offset0:224 offset1:240
	s_waitcnt lgkmcnt(0)
	s_barrier
	v_add_f32_e32 v23, v36, v23
	v_mul_f32_e32 v29, v44, v17
	v_dual_mul_f32 v36, v44, v19 :: v_dual_mul_f32 v17, v30, v17
	buffer_gl0_inv
	v_fmac_f32_e32 v29, v45, v16
	v_dual_fmac_f32 v36, v45, v18 :: v_dual_fmac_f32 v17, v31, v16
	s_delay_alu instid0(VALU_DEP_2) | instskip(SKIP_1) | instid1(VALU_DEP_3)
	v_add_f32_e32 v6, v6, v29
	v_fma_f32 v29, v30, v16, -v34
	v_dual_mul_f32 v34, v31, v19 :: v_dual_add_f32 v35, v20, v36
	s_delay_alu instid0(VALU_DEP_2) | instskip(NEXT) | instid1(VALU_DEP_2)
	v_dual_mul_f32 v19, v30, v19 :: v_dual_add_f32 v16, v28, v29
	v_fma_f32 v20, v30, v18, -v34
	v_mul_f32_e32 v28, v47, v25
	v_mul_f32_e32 v29, v46, v25
	s_delay_alu instid0(VALU_DEP_3) | instskip(NEXT) | instid1(VALU_DEP_3)
	v_dual_fmac_f32 v19, v31, v18 :: v_dual_add_f32 v30, v22, v20
	v_fma_f32 v18, v46, v24, -v28
	s_delay_alu instid0(VALU_DEP_3)
	v_fmac_f32_e32 v29, v47, v24
	v_dual_mul_f32 v20, v47, v27 :: v_dual_add_f32 v17, v21, v17
	v_mul_f32_e32 v21, v46, v27
	v_add_f32_e32 v28, v23, v19
	v_add_f32_e32 v22, v1, v18
	v_dual_mul_f32 v18, v33, v27 :: v_dual_add_f32 v23, v6, v29
	v_fma_f32 v1, v46, v26, -v20
	v_mul_f32_e32 v6, v33, v25
	v_mul_f32_e32 v19, v32, v25
	;; [unrolled: 1-line block ×3, first 2 shown]
	v_fmac_f32_e32 v21, v47, v26
	v_add_f32_e32 v20, v7, v1
	v_fma_f32 v1, v32, v24, -v6
	v_fmac_f32_e32 v19, v33, v24
	v_fma_f32 v6, v32, v26, -v18
	v_fmac_f32_e32 v25, v33, v26
	v_add_f32_e32 v21, v35, v21
	s_delay_alu instid0(VALU_DEP_4) | instskip(NEXT) | instid1(VALU_DEP_3)
	v_dual_add_f32 v18, v16, v1 :: v_dual_add_f32 v19, v17, v19
	v_dual_add_f32 v16, v30, v6 :: v_dual_add_f32 v17, v28, v25
	s_cbranch_vccnz .LBB1148_9
.LBB1148_3:                             ; =>This Inner Loop Header: Depth=1
	v_add_co_u32 v6, s10, v11, s8
	s_delay_alu instid0(VALU_DEP_1) | instskip(NEXT) | instid1(VALU_DEP_1)
	v_add_co_ci_u32_e64 v7, null, 0, s9, s10
	v_cmp_le_i64_e32 vcc_lo, s[16:17], v[6:7]
	s_or_b32 s10, s3, vcc_lo
	s_delay_alu instid0(SALU_CYCLE_1) | instskip(NEXT) | instid1(SALU_CYCLE_1)
	s_and_saveexec_b32 s11, s10
	s_xor_b32 s10, exec_lo, s11
	s_cbranch_execz .LBB1148_5
; %bb.4:                                ;   in Loop: Header=BB1148_3 Depth=1
	v_mov_b32_e32 v1, v0
	ds_store_b64 v14, v[0:1]
.LBB1148_5:                             ;   in Loop: Header=BB1148_3 Depth=1
	s_and_not1_saveexec_b32 s10, s10
	s_cbranch_execz .LBB1148_7
; %bb.6:                                ;   in Loop: Header=BB1148_3 Depth=1
	global_load_b64 v[6:7], v[2:3], off
	s_waitcnt vmcnt(0)
	ds_store_b64 v14, v[6:7]
.LBB1148_7:                             ;   in Loop: Header=BB1148_3 Depth=1
	s_or_b32 exec_lo, exec_lo, s10
	v_add_co_u32 v6, s10, v10, s8
	s_delay_alu instid0(VALU_DEP_1) | instskip(NEXT) | instid1(VALU_DEP_1)
	v_add_co_ci_u32_e64 v7, null, 0, s9, s10
	v_cmp_gt_i64_e32 vcc_lo, s[16:17], v[6:7]
	v_dual_mov_b32 v6, 0 :: v_dual_mov_b32 v7, 0
	s_and_b32 s11, vcc_lo, s2
	s_delay_alu instid0(SALU_CYCLE_1)
	s_and_saveexec_b32 s10, s11
	s_cbranch_execz .LBB1148_2
; %bb.8:                                ;   in Loop: Header=BB1148_3 Depth=1
	global_load_b64 v[6:7], v[4:5], off offset:-4
	s_branch .LBB1148_2
.LBB1148_9:
	s_load_b256 s[4:11], s[0:1], 0x48
	v_add_nc_u32_e32 v4, s14, v9
	s_delay_alu instid0(VALU_DEP_1) | instskip(SKIP_3) | instid1(VALU_DEP_3)
	v_ashrrev_i32_e32 v0, 31, v4
	s_waitcnt lgkmcnt(0)
	v_mul_lo_u32 v3, v4, s9
	v_mad_u64_u32 v[1:2], null, v4, s8, 0
	v_mul_lo_u32 v0, v0, s8
	s_mul_i32 s1, s15, s11
	s_mul_hi_u32 s2, s15, s10
	s_mul_i32 s0, s15, s10
	s_add_i32 s1, s2, s1
	s_delay_alu instid0(SALU_CYCLE_1) | instskip(NEXT) | instid1(VALU_DEP_1)
	s_lshl_b64 s[2:3], s[0:1], 3
	v_add3_u32 v2, v2, v3, v0
	v_add_nc_u32_e32 v0, s13, v8
	s_add_u32 s2, s6, s2
	s_addc_u32 s3, s7, s3
	s_delay_alu instid0(VALU_DEP_2) | instskip(NEXT) | instid1(VALU_DEP_2)
	v_lshlrev_b64 v[1:2], 3, v[1:2]
	v_cmp_le_i32_e64 s0, v4, v0
	v_cmp_gt_i32_e32 vcc_lo, s12, v0
	s_delay_alu instid0(VALU_DEP_3) | instskip(NEXT) | instid1(VALU_DEP_1)
	v_add_co_u32 v5, s1, s2, v1
	v_add_co_ci_u32_e64 v6, s1, s3, v2, s1
	s_delay_alu instid0(VALU_DEP_4) | instskip(NEXT) | instid1(SALU_CYCLE_1)
	s_and_b32 s0, s0, vcc_lo
	s_and_saveexec_b32 s1, s0
	s_cbranch_execz .LBB1148_11
; %bb.10:
	v_ashrrev_i32_e32 v1, 31, v0
	s_delay_alu instid0(VALU_DEP_1) | instskip(NEXT) | instid1(VALU_DEP_1)
	v_lshlrev_b64 v[1:2], 3, v[0:1]
	v_add_co_u32 v1, s0, v5, v1
	s_delay_alu instid0(VALU_DEP_1)
	v_add_co_ci_u32_e64 v2, s0, v6, v2, s0
	global_load_b64 v[7:8], v[1:2], off
	v_mul_f32_e32 v3, s19, v23
	s_waitcnt vmcnt(0)
	v_dual_mul_f32 v9, s18, v23 :: v_dual_mul_f32 v10, s5, v8
	v_mul_f32_e32 v8, s4, v8
	s_delay_alu instid0(VALU_DEP_3) | instskip(NEXT) | instid1(VALU_DEP_3)
	v_fma_f32 v3, v22, s18, -v3
	v_fmac_f32_e32 v9, s19, v22
	s_delay_alu instid0(VALU_DEP_4) | instskip(NEXT) | instid1(VALU_DEP_1)
	v_fma_f32 v10, v7, s4, -v10
	v_dual_fmac_f32 v8, s5, v7 :: v_dual_add_f32 v7, v3, v10
	s_delay_alu instid0(VALU_DEP_1)
	v_add_f32_e32 v8, v9, v8
	global_store_b64 v[1:2], v[7:8], off
.LBB1148_11:
	s_or_b32 exec_lo, exec_lo, s1
	v_add_nc_u32_e32 v2, 16, v0
	s_delay_alu instid0(VALU_DEP_1) | instskip(SKIP_1) | instid1(VALU_DEP_1)
	v_cmp_le_i32_e64 s1, v4, v2
	v_cmp_gt_i32_e64 s0, s12, v2
	s_and_b32 s1, s1, s0
	s_delay_alu instid0(SALU_CYCLE_1)
	s_and_saveexec_b32 s6, s1
	s_cbranch_execz .LBB1148_13
; %bb.12:
	v_ashrrev_i32_e32 v3, 31, v2
	s_delay_alu instid0(VALU_DEP_1) | instskip(NEXT) | instid1(VALU_DEP_1)
	v_lshlrev_b64 v[7:8], 3, v[2:3]
	v_add_co_u32 v5, s1, v5, v7
	s_delay_alu instid0(VALU_DEP_1)
	v_add_co_ci_u32_e64 v6, s1, v6, v8, s1
	global_load_b64 v[7:8], v[5:6], off
	v_mul_f32_e32 v1, s19, v21
	s_waitcnt vmcnt(0)
	v_mul_f32_e32 v9, s5, v8
	v_dual_mul_f32 v8, s4, v8 :: v_dual_mul_f32 v3, s18, v21
	s_delay_alu instid0(VALU_DEP_3) | instskip(NEXT) | instid1(VALU_DEP_3)
	v_fma_f32 v1, v20, s18, -v1
	v_fma_f32 v9, v7, s4, -v9
	s_delay_alu instid0(VALU_DEP_3) | instskip(NEXT) | instid1(VALU_DEP_1)
	v_dual_fmac_f32 v8, s5, v7 :: v_dual_fmac_f32 v3, s19, v20
	v_dual_add_f32 v7, v1, v9 :: v_dual_add_f32 v8, v3, v8
	global_store_b64 v[5:6], v[7:8], off
.LBB1148_13:
	s_or_b32 exec_lo, exec_lo, s6
	v_add_nc_u32_e32 v3, 16, v4
	s_delay_alu instid0(VALU_DEP_1) | instskip(SKIP_3) | instid1(VALU_DEP_4)
	v_ashrrev_i32_e32 v1, 31, v3
	v_mul_lo_u32 v6, v3, s9
	v_mad_u64_u32 v[4:5], null, v3, s8, 0
	v_cmp_le_i32_e64 s1, v3, v0
	v_mul_lo_u32 v1, v1, s8
	s_delay_alu instid0(VALU_DEP_1) | instskip(NEXT) | instid1(VALU_DEP_1)
	v_add3_u32 v5, v5, v6, v1
	v_lshlrev_b64 v[4:5], 3, v[4:5]
	s_delay_alu instid0(VALU_DEP_1) | instskip(NEXT) | instid1(VALU_DEP_1)
	v_add_co_u32 v4, s2, s2, v4
	v_add_co_ci_u32_e64 v5, s2, s3, v5, s2
	s_and_b32 s2, s1, vcc_lo
	s_delay_alu instid0(SALU_CYCLE_1)
	s_and_saveexec_b32 s1, s2
	s_cbranch_execz .LBB1148_15
; %bb.14:
	v_ashrrev_i32_e32 v1, 31, v0
	s_delay_alu instid0(VALU_DEP_1) | instskip(NEXT) | instid1(VALU_DEP_1)
	v_lshlrev_b64 v[0:1], 3, v[0:1]
	v_add_co_u32 v0, vcc_lo, v4, v0
	s_delay_alu instid0(VALU_DEP_2) | instskip(SKIP_4) | instid1(VALU_DEP_1)
	v_add_co_ci_u32_e32 v1, vcc_lo, v5, v1, vcc_lo
	global_load_b64 v[6:7], v[0:1], off
	s_waitcnt vmcnt(0)
	v_mul_f32_e32 v10, s5, v7
	v_mul_f32_e32 v7, s4, v7
	v_fmac_f32_e32 v7, s5, v6
	s_delay_alu instid0(VALU_DEP_3) | instskip(SKIP_1) | instid1(VALU_DEP_1)
	v_fma_f32 v10, v6, s4, -v10
	v_mul_f32_e32 v9, s18, v19
	v_dual_mul_f32 v8, s19, v19 :: v_dual_fmac_f32 v9, s19, v18
	s_delay_alu instid0(VALU_DEP_1) | instskip(NEXT) | instid1(VALU_DEP_1)
	v_fma_f32 v8, v18, s18, -v8
	v_dual_add_f32 v7, v9, v7 :: v_dual_add_f32 v6, v8, v10
	global_store_b64 v[0:1], v[6:7], off
.LBB1148_15:
	s_or_b32 exec_lo, exec_lo, s1
	v_cmp_le_i32_e32 vcc_lo, v3, v2
	s_and_b32 s0, vcc_lo, s0
	s_delay_alu instid0(SALU_CYCLE_1)
	s_and_saveexec_b32 s1, s0
	s_cbranch_execz .LBB1148_17
; %bb.16:
	v_ashrrev_i32_e32 v3, 31, v2
	s_delay_alu instid0(VALU_DEP_1) | instskip(NEXT) | instid1(VALU_DEP_1)
	v_lshlrev_b64 v[0:1], 3, v[2:3]
	v_add_co_u32 v0, vcc_lo, v4, v0
	s_delay_alu instid0(VALU_DEP_2)
	v_add_co_ci_u32_e32 v1, vcc_lo, v5, v1, vcc_lo
	global_load_b64 v[2:3], v[0:1], off
	v_mul_f32_e32 v4, s19, v17
	s_waitcnt vmcnt(0)
	v_dual_mul_f32 v5, s18, v17 :: v_dual_mul_f32 v6, s5, v3
	v_mul_f32_e32 v3, s4, v3
	s_delay_alu instid0(VALU_DEP_3) | instskip(NEXT) | instid1(VALU_DEP_3)
	v_fma_f32 v4, v16, s18, -v4
	v_fma_f32 v6, v2, s4, -v6
	s_delay_alu instid0(VALU_DEP_4) | instskip(NEXT) | instid1(VALU_DEP_4)
	v_fmac_f32_e32 v5, s19, v16
	v_fmac_f32_e32 v3, s5, v2
	s_delay_alu instid0(VALU_DEP_1)
	v_dual_add_f32 v2, v4, v6 :: v_dual_add_f32 v3, v5, v3
	global_store_b64 v[0:1], v[2:3], off
.LBB1148_17:
	s_nop 0
	s_sendmsg sendmsg(MSG_DEALLOC_VGPRS)
	s_endpgm
	.section	.rodata,"a",@progbits
	.p2align	6, 0x0
	.amdhsa_kernel _ZL34rocblas_syrkx_herkx_general_kernelIl19rocblas_complex_numIfELi16ELi32ELi8ELb0ELb0ELc78ELc76EKS1_S1_EviT_T0_PT8_S3_lS6_S3_lS4_PT9_S3_li
		.amdhsa_group_segment_fixed_size 4096
		.amdhsa_private_segment_fixed_size 0
		.amdhsa_kernarg_size 108
		.amdhsa_user_sgpr_count 13
		.amdhsa_user_sgpr_dispatch_ptr 0
		.amdhsa_user_sgpr_queue_ptr 0
		.amdhsa_user_sgpr_kernarg_segment_ptr 1
		.amdhsa_user_sgpr_dispatch_id 0
		.amdhsa_user_sgpr_private_segment_size 0
		.amdhsa_wavefront_size32 1
		.amdhsa_uses_dynamic_stack 0
		.amdhsa_enable_private_segment 0
		.amdhsa_system_sgpr_workgroup_id_x 1
		.amdhsa_system_sgpr_workgroup_id_y 1
		.amdhsa_system_sgpr_workgroup_id_z 1
		.amdhsa_system_sgpr_workgroup_info 0
		.amdhsa_system_vgpr_workitem_id 1
		.amdhsa_next_free_vgpr 59
		.amdhsa_next_free_sgpr 32
		.amdhsa_reserve_vcc 1
		.amdhsa_float_round_mode_32 0
		.amdhsa_float_round_mode_16_64 0
		.amdhsa_float_denorm_mode_32 3
		.amdhsa_float_denorm_mode_16_64 3
		.amdhsa_dx10_clamp 1
		.amdhsa_ieee_mode 1
		.amdhsa_fp16_overflow 0
		.amdhsa_workgroup_processor_mode 1
		.amdhsa_memory_ordered 1
		.amdhsa_forward_progress 0
		.amdhsa_shared_vgpr_count 0
		.amdhsa_exception_fp_ieee_invalid_op 0
		.amdhsa_exception_fp_denorm_src 0
		.amdhsa_exception_fp_ieee_div_zero 0
		.amdhsa_exception_fp_ieee_overflow 0
		.amdhsa_exception_fp_ieee_underflow 0
		.amdhsa_exception_fp_ieee_inexact 0
		.amdhsa_exception_int_div_zero 0
	.end_amdhsa_kernel
	.section	.text._ZL34rocblas_syrkx_herkx_general_kernelIl19rocblas_complex_numIfELi16ELi32ELi8ELb0ELb0ELc78ELc76EKS1_S1_EviT_T0_PT8_S3_lS6_S3_lS4_PT9_S3_li,"axG",@progbits,_ZL34rocblas_syrkx_herkx_general_kernelIl19rocblas_complex_numIfELi16ELi32ELi8ELb0ELb0ELc78ELc76EKS1_S1_EviT_T0_PT8_S3_lS6_S3_lS4_PT9_S3_li,comdat
.Lfunc_end1148:
	.size	_ZL34rocblas_syrkx_herkx_general_kernelIl19rocblas_complex_numIfELi16ELi32ELi8ELb0ELb0ELc78ELc76EKS1_S1_EviT_T0_PT8_S3_lS6_S3_lS4_PT9_S3_li, .Lfunc_end1148-_ZL34rocblas_syrkx_herkx_general_kernelIl19rocblas_complex_numIfELi16ELi32ELi8ELb0ELb0ELc78ELc76EKS1_S1_EviT_T0_PT8_S3_lS6_S3_lS4_PT9_S3_li
                                        ; -- End function
	.section	.AMDGPU.csdata,"",@progbits
; Kernel info:
; codeLenInByte = 2724
; NumSgprs: 34
; NumVgprs: 59
; ScratchSize: 0
; MemoryBound: 1
; FloatMode: 240
; IeeeMode: 1
; LDSByteSize: 4096 bytes/workgroup (compile time only)
; SGPRBlocks: 4
; VGPRBlocks: 7
; NumSGPRsForWavesPerEU: 34
; NumVGPRsForWavesPerEU: 59
; Occupancy: 16
; WaveLimiterHint : 0
; COMPUTE_PGM_RSRC2:SCRATCH_EN: 0
; COMPUTE_PGM_RSRC2:USER_SGPR: 13
; COMPUTE_PGM_RSRC2:TRAP_HANDLER: 0
; COMPUTE_PGM_RSRC2:TGID_X_EN: 1
; COMPUTE_PGM_RSRC2:TGID_Y_EN: 1
; COMPUTE_PGM_RSRC2:TGID_Z_EN: 1
; COMPUTE_PGM_RSRC2:TIDIG_COMP_CNT: 1
	.section	.text._ZL34rocblas_syrkx_herkx_general_kernelIl19rocblas_complex_numIfELi16ELi32ELi8ELb0ELb0ELc84ELc85EKS1_S1_EviT_T0_PT8_S3_lS6_S3_lS4_PT9_S3_li,"axG",@progbits,_ZL34rocblas_syrkx_herkx_general_kernelIl19rocblas_complex_numIfELi16ELi32ELi8ELb0ELb0ELc84ELc85EKS1_S1_EviT_T0_PT8_S3_lS6_S3_lS4_PT9_S3_li,comdat
	.globl	_ZL34rocblas_syrkx_herkx_general_kernelIl19rocblas_complex_numIfELi16ELi32ELi8ELb0ELb0ELc84ELc85EKS1_S1_EviT_T0_PT8_S3_lS6_S3_lS4_PT9_S3_li ; -- Begin function _ZL34rocblas_syrkx_herkx_general_kernelIl19rocblas_complex_numIfELi16ELi32ELi8ELb0ELb0ELc84ELc85EKS1_S1_EviT_T0_PT8_S3_lS6_S3_lS4_PT9_S3_li
	.p2align	8
	.type	_ZL34rocblas_syrkx_herkx_general_kernelIl19rocblas_complex_numIfELi16ELi32ELi8ELb0ELb0ELc84ELc85EKS1_S1_EviT_T0_PT8_S3_lS6_S3_lS4_PT9_S3_li,@function
_ZL34rocblas_syrkx_herkx_general_kernelIl19rocblas_complex_numIfELi16ELi32ELi8ELb0ELb0ELc84ELc85EKS1_S1_EviT_T0_PT8_S3_lS6_S3_lS4_PT9_S3_li: ; @_ZL34rocblas_syrkx_herkx_general_kernelIl19rocblas_complex_numIfELi16ELi32ELi8ELb0ELb0ELc84ELc85EKS1_S1_EviT_T0_PT8_S3_lS6_S3_lS4_PT9_S3_li
; %bb.0:
	s_clause 0x1
	s_load_b512 s[16:31], s[0:1], 0x8
	s_load_b32 s12, s[0:1], 0x0
	v_dual_mov_b32 v20, 0 :: v_dual_mov_b32 v21, 0
	v_dual_mov_b32 v18, 0 :: v_dual_mov_b32 v19, 0
	;; [unrolled: 1-line block ×4, first 2 shown]
	v_and_b32_e32 v6, 0x3ff, v0
	v_bfe_u32 v7, v0, 10, 10
	s_lshl_b32 s13, s13, 5
	s_lshl_b32 s14, s14, 5
	s_waitcnt lgkmcnt(0)
	v_cmp_lt_i64_e64 s2, s[16:17], 1
	s_delay_alu instid0(VALU_DEP_1)
	s_and_b32 vcc_lo, exec_lo, s2
	s_cbranch_vccnz .LBB1149_11
; %bb.1:
	v_lshl_add_u32 v1, v7, 4, v6
	v_mov_b32_e32 v0, 0
	v_and_b32_e32 v8, 7, v6
	s_mul_i32 s3, s25, s15
	s_mul_hi_u32 s4, s24, s15
	v_and_b32_e32 v3, 31, v1
	v_lshrrev_b32_e32 v5, 3, v1
	v_lshrrev_b32_e32 v11, 5, v1
	v_lshlrev_b32_e32 v15, 3, v8
	s_mul_i32 s2, s24, s15
	v_add_nc_u32_e32 v4, s13, v3
	v_add_nc_u32_e32 v13, s14, v5
	v_or_b32_e32 v16, s13, v3
	v_dual_mov_b32 v20, 0 :: v_dual_lshlrev_b32 v17, 3, v3
	s_delay_alu instid0(VALU_DEP_4) | instskip(SKIP_3) | instid1(VALU_DEP_4)
	v_ashrrev_i32_e32 v12, 31, v4
	v_mul_lo_u32 v14, s23, v4
	v_mad_u64_u32 v[1:2], null, s22, v4, 0
	v_cmp_gt_i32_e32 vcc_lo, s12, v16
	v_mul_lo_u32 v12, s22, v12
	v_mov_b32_e32 v16, 0
	v_ashrrev_i32_e32 v18, 31, v13
	v_mul_lo_u32 v19, s29, v13
	v_mad_u64_u32 v[3:4], null, s28, v13, 0
	s_add_i32 s3, s4, s3
	v_lshlrev_b32_e32 v9, 3, v6
	v_add3_u32 v2, v2, v12, v14
	v_mul_lo_u32 v14, s28, v18
	v_mov_b32_e32 v18, 0
	v_lshl_or_b32 v5, v5, 6, v15
	s_lshl_b64 s[4:5], s[2:3], 3
	v_lshlrev_b64 v[1:2], 3, v[1:2]
	v_cmp_gt_i32_e64 s2, s12, v13
	v_lshl_add_u32 v10, v7, 6, 0x800
	v_add_nc_u32_e32 v13, 0x800, v5
	v_add3_u32 v4, v4, v14, v19
	v_lshl_or_b32 v12, v11, 8, v17
	v_add_co_u32 v5, s3, v1, s4
	s_delay_alu instid0(VALU_DEP_1)
	v_add_co_ci_u32_e64 v14, s3, s5, v2, s3
	s_mul_i32 s3, s31, s15
	s_mul_hi_u32 s4, s30, s15
	v_lshlrev_b64 v[1:2], 3, v[3:4]
	s_add_i32 s5, s4, s3
	s_mul_i32 s4, s30, s15
	v_lshlrev_b32_e32 v3, 3, v11
	s_lshl_b64 s[4:5], s[4:5], 3
	v_mov_b32_e32 v17, 0
	v_add_co_u32 v1, s3, v1, s4
	s_delay_alu instid0(VALU_DEP_1) | instskip(SKIP_1) | instid1(VALU_DEP_1)
	v_add_co_ci_u32_e64 v2, s3, s5, v2, s3
	v_add_co_u32 v3, s3, v5, v3
	v_add_co_ci_u32_e64 v4, s3, 0, v14, s3
	v_mov_b32_e32 v14, 0
	v_add_co_u32 v1, s3, v1, v15
	s_delay_alu instid0(VALU_DEP_1) | instskip(SKIP_1) | instid1(VALU_DEP_1)
	v_add_co_ci_u32_e64 v5, s3, 0, v2, s3
	v_add_co_u32 v2, s3, s20, v3
	v_add_co_ci_u32_e64 v3, s3, s21, v4, s3
	s_delay_alu instid0(VALU_DEP_4) | instskip(NEXT) | instid1(VALU_DEP_1)
	v_add_co_u32 v4, s3, s26, v1
	v_add_co_ci_u32_e64 v5, s3, s27, v5, s3
	v_mov_b32_e32 v15, 0
	v_mov_b32_e32 v19, 0
	;; [unrolled: 1-line block ×3, first 2 shown]
	s_mov_b64 s[4:5], 0
	s_xor_b32 s3, vcc_lo, -1
	s_xor_b32 s2, s2, -1
	s_branch .LBB1149_3
.LBB1149_2:                             ;   in Loop: Header=BB1149_3 Depth=1
	s_or_b32 exec_lo, exec_lo, s6
	s_waitcnt lgkmcnt(0)
	s_barrier
	buffer_gl0_inv
	ds_load_2addr_b64 v[22:25], v9 offset1:16
	ds_load_b128 v[26:29], v10
	ds_load_b128 v[30:33], v10 offset:1024
	ds_load_b128 v[34:37], v10 offset:16
	;; [unrolled: 1-line block ×4, first 2 shown]
	ds_load_2addr_b64 v[46:49], v9 offset0:32 offset1:48
	ds_load_b128 v[50:53], v10 offset:1040
	s_add_u32 s4, s4, 8
	s_addc_u32 s5, s5, 0
	v_add_co_u32 v2, vcc_lo, v2, 64
	v_cmp_ge_i64_e64 s6, s[4:5], s[16:17]
	v_add_co_ci_u32_e32 v3, vcc_lo, 0, v3, vcc_lo
	v_add_co_u32 v4, vcc_lo, v4, 64
	v_add_co_ci_u32_e32 v5, vcc_lo, 0, v5, vcc_lo
	s_delay_alu instid0(VALU_DEP_4)
	s_and_b32 vcc_lo, exec_lo, s6
	s_waitcnt lgkmcnt(6)
	v_dual_mul_f32 v1, v27, v23 :: v_dual_mul_f32 v56, v26, v25
	v_dual_mul_f32 v54, v26, v23 :: v_dual_mul_f32 v55, v27, v25
	s_waitcnt lgkmcnt(5)
	v_mul_f32_e32 v58, v31, v25
	s_delay_alu instid0(VALU_DEP_3) | instskip(SKIP_3) | instid1(VALU_DEP_4)
	v_fma_f32 v1, v26, v22, -v1
	v_dual_mul_f32 v25, v30, v25 :: v_dual_fmac_f32 v56, v27, v24
	v_fmac_f32_e32 v54, v27, v22
	v_fma_f32 v26, v26, v24, -v55
	v_add_f32_e32 v1, v20, v1
	v_mul_f32_e32 v57, v31, v23
	s_delay_alu instid0(VALU_DEP_4) | instskip(SKIP_2) | instid1(VALU_DEP_4)
	v_dual_mul_f32 v23, v30, v23 :: v_dual_add_f32 v20, v21, v54
	v_fmac_f32_e32 v25, v31, v24
	v_dual_add_f32 v21, v18, v26 :: v_dual_add_f32 v26, v19, v56
	v_fma_f32 v27, v30, v22, -v57
	s_delay_alu instid0(VALU_DEP_4) | instskip(SKIP_3) | instid1(VALU_DEP_2)
	v_fmac_f32_e32 v23, v31, v22
	v_fma_f32 v22, v30, v24, -v58
	s_waitcnt lgkmcnt(1)
	v_mul_f32_e32 v30, v29, v47
	v_dual_add_f32 v27, v16, v27 :: v_dual_add_f32 v14, v14, v22
	v_dual_mul_f32 v22, v28, v47 :: v_dual_add_f32 v15, v15, v25
	v_mul_f32_e32 v25, v28, v49
	s_delay_alu instid0(VALU_DEP_4) | instskip(NEXT) | instid1(VALU_DEP_3)
	v_fma_f32 v24, v28, v46, -v30
	v_fmac_f32_e32 v22, v29, v46
	v_add_f32_e32 v23, v17, v23
	ds_load_2addr_b64 v[16:19], v9 offset0:64 offset1:80
	v_mul_f32_e32 v30, v29, v49
	v_fmac_f32_e32 v25, v29, v48
	v_add_f32_e32 v1, v1, v24
	s_delay_alu instid0(VALU_DEP_2) | instskip(SKIP_1) | instid1(VALU_DEP_1)
	v_add_f32_e32 v25, v26, v25
	v_mul_f32_e32 v26, v32, v49
	v_fmac_f32_e32 v26, v33, v48
	s_waitcnt lgkmcnt(0)
	s_delay_alu instid0(VALU_DEP_1) | instskip(SKIP_1) | instid1(VALU_DEP_2)
	v_dual_add_f32 v26, v15, v26 :: v_dual_mul_f32 v29, v34, v17
	v_mul_f32_e32 v15, v34, v19
	v_fmac_f32_e32 v29, v35, v16
	v_fma_f32 v24, v28, v48, -v30
	v_mul_f32_e32 v28, v33, v47
	v_add_f32_e32 v30, v20, v22
	v_mul_f32_e32 v20, v32, v47
	v_mul_f32_e32 v22, v33, v49
	v_add_f32_e32 v24, v21, v24
	v_fma_f32 v21, v32, v46, -v28
	s_delay_alu instid0(VALU_DEP_4) | instskip(SKIP_1) | instid1(VALU_DEP_3)
	v_dual_add_f32 v29, v30, v29 :: v_dual_fmac_f32 v20, v33, v46
	v_fmac_f32_e32 v15, v35, v18
	v_add_f32_e32 v27, v27, v21
	v_fma_f32 v21, v32, v48, -v22
	v_mul_f32_e32 v22, v35, v17
	v_mul_f32_e32 v32, v35, v19
	v_add_f32_e32 v28, v23, v20
	s_delay_alu instid0(VALU_DEP_4) | instskip(NEXT) | instid1(VALU_DEP_4)
	v_add_f32_e32 v14, v14, v21
	v_fma_f32 v31, v34, v16, -v22
	ds_load_2addr_b64 v[20:23], v9 offset0:96 offset1:112
	v_add_f32_e32 v1, v1, v31
	v_fma_f32 v31, v34, v18, -v32
	s_delay_alu instid0(VALU_DEP_1) | instskip(SKIP_3) | instid1(VALU_DEP_3)
	v_add_f32_e32 v24, v24, v31
	v_mul_f32_e32 v31, v51, v19
	v_mul_f32_e32 v19, v50, v19
	v_add_f32_e32 v32, v25, v15
	v_fma_f32 v15, v50, v18, -v31
	s_delay_alu instid0(VALU_DEP_3)
	v_fmac_f32_e32 v19, v51, v18
	v_mul_f32_e32 v30, v51, v17
	v_mul_f32_e32 v17, v50, v17
	s_waitcnt lgkmcnt(0)
	v_dual_mul_f32 v18, v37, v21 :: v_dual_add_f32 v31, v14, v15
	v_add_f32_e32 v33, v26, v19
	v_fma_f32 v30, v50, v16, -v30
	v_fmac_f32_e32 v17, v51, v16
	s_delay_alu instid0(VALU_DEP_4) | instskip(SKIP_1) | instid1(VALU_DEP_4)
	v_fma_f32 v18, v36, v20, -v18
	v_mul_f32_e32 v25, v36, v21
	v_dual_mul_f32 v19, v36, v23 :: v_dual_add_f32 v30, v27, v30
	s_delay_alu instid0(VALU_DEP_4) | instskip(SKIP_4) | instid1(VALU_DEP_2)
	v_add_f32_e32 v28, v28, v17
	ds_load_2addr_b64 v[14:17], v9 offset0:128 offset1:144
	v_add_f32_e32 v1, v1, v18
	v_mul_f32_e32 v18, v53, v21
	v_fmac_f32_e32 v19, v37, v22
	v_fma_f32 v18, v52, v20, -v18
	v_mul_f32_e32 v27, v37, v23
	s_delay_alu instid0(VALU_DEP_1) | instskip(NEXT) | instid1(VALU_DEP_3)
	v_fma_f32 v26, v36, v22, -v27
	v_add_f32_e32 v36, v30, v18
	s_waitcnt lgkmcnt(0)
	s_delay_alu instid0(VALU_DEP_2) | instskip(SKIP_2) | instid1(VALU_DEP_3)
	v_dual_add_f32 v35, v24, v26 :: v_dual_mul_f32 v46, v38, v15
	v_dual_fmac_f32 v25, v37, v20 :: v_dual_add_f32 v32, v32, v19
	v_mul_f32_e32 v18, v39, v15
	v_fmac_f32_e32 v46, v39, v14
	s_delay_alu instid0(VALU_DEP_3)
	v_add_f32_e32 v34, v29, v25
	v_mul_f32_e32 v29, v53, v23
	v_mul_f32_e32 v23, v52, v23
	ds_load_b128 v[24:27], v10 offset:1056
	v_add_f32_e32 v34, v34, v46
	v_fma_f32 v19, v52, v22, -v29
	v_mul_f32_e32 v21, v52, v21
	v_fmac_f32_e32 v23, v53, v22
	v_mul_f32_e32 v29, v39, v17
	s_delay_alu instid0(VALU_DEP_3) | instskip(NEXT) | instid1(VALU_DEP_3)
	v_dual_add_f32 v22, v31, v19 :: v_dual_fmac_f32 v21, v53, v20
	v_add_f32_e32 v23, v33, v23
	s_delay_alu instid0(VALU_DEP_2) | instskip(SKIP_4) | instid1(VALU_DEP_2)
	v_add_f32_e32 v37, v28, v21
	v_fma_f32 v28, v38, v14, -v18
	ds_load_2addr_b64 v[18:21], v9 offset0:160 offset1:176
	v_mul_f32_e32 v33, v38, v17
	v_fma_f32 v38, v38, v16, -v29
	v_fmac_f32_e32 v33, v39, v16
	s_delay_alu instid0(VALU_DEP_1)
	v_dual_add_f32 v35, v35, v38 :: v_dual_add_f32 v32, v32, v33
	v_add_f32_e32 v1, v1, v28
	ds_load_b128 v[28:31], v10 offset:1072
	s_waitcnt lgkmcnt(2)
	v_mul_f32_e32 v47, v25, v15
	v_mul_f32_e32 v15, v24, v15
	;; [unrolled: 1-line block ×4, first 2 shown]
	s_delay_alu instid0(VALU_DEP_4) | instskip(NEXT) | instid1(VALU_DEP_4)
	v_fma_f32 v38, v24, v14, -v47
	v_fmac_f32_e32 v15, v25, v14
	s_delay_alu instid0(VALU_DEP_4)
	v_fma_f32 v14, v24, v16, -v39
	s_waitcnt lgkmcnt(1)
	v_mul_f32_e32 v17, v41, v19
	v_dual_fmac_f32 v33, v25, v16 :: v_dual_add_f32 v36, v36, v38
	v_add_f32_e32 v24, v37, v15
	v_add_f32_e32 v22, v22, v14
	s_delay_alu instid0(VALU_DEP_4) | instskip(SKIP_2) | instid1(VALU_DEP_1)
	v_fma_f32 v37, v40, v18, -v17
	ds_load_2addr_b64 v[14:17], v9 offset0:192 offset1:208
	v_dual_mul_f32 v25, v40, v19 :: v_dual_mul_f32 v38, v41, v21
	v_fmac_f32_e32 v25, v41, v18
	s_delay_alu instid0(VALU_DEP_1) | instskip(SKIP_4) | instid1(VALU_DEP_3)
	v_add_f32_e32 v34, v34, v25
	v_add_f32_e32 v33, v23, v33
	v_mul_f32_e32 v23, v40, v21
	v_mul_f32_e32 v25, v27, v19
	;; [unrolled: 1-line block ×3, first 2 shown]
	v_fmac_f32_e32 v23, v41, v20
	s_delay_alu instid0(VALU_DEP_3) | instskip(NEXT) | instid1(VALU_DEP_2)
	v_fma_f32 v25, v26, v18, -v25
	v_dual_fmac_f32 v19, v27, v18 :: v_dual_add_f32 v18, v32, v23
	s_waitcnt lgkmcnt(0)
	v_dual_mul_f32 v32, v43, v15 :: v_dual_add_f32 v1, v1, v37
	v_fma_f32 v37, v40, v20, -v38
	s_delay_alu instid0(VALU_DEP_3) | instskip(NEXT) | instid1(VALU_DEP_3)
	v_add_f32_e32 v19, v24, v19
	v_fma_f32 v32, v42, v14, -v32
	s_delay_alu instid0(VALU_DEP_1) | instskip(NEXT) | instid1(VALU_DEP_4)
	v_add_f32_e32 v1, v1, v32
	v_add_f32_e32 v35, v35, v37
	v_mul_f32_e32 v37, v27, v21
	v_dual_mul_f32 v21, v26, v21 :: v_dual_mul_f32 v32, v29, v15
	s_delay_alu instid0(VALU_DEP_2) | instskip(NEXT) | instid1(VALU_DEP_2)
	v_fma_f32 v23, v26, v20, -v37
	v_dual_add_f32 v26, v36, v25 :: v_dual_fmac_f32 v21, v27, v20
	v_mul_f32_e32 v27, v42, v15
	v_mul_f32_e32 v15, v28, v15
	s_delay_alu instid0(VALU_DEP_4)
	v_add_f32_e32 v20, v22, v23
	ds_load_2addr_b64 v[22:25], v9 offset0:224 offset1:240
	v_fma_f32 v32, v28, v14, -v32
	v_dual_fmac_f32 v27, v43, v14 :: v_dual_mul_f32 v36, v42, v17
	v_fmac_f32_e32 v15, v29, v14
	s_waitcnt lgkmcnt(0)
	s_delay_alu instid0(VALU_DEP_3) | instskip(NEXT) | instid1(VALU_DEP_3)
	v_add_f32_e32 v14, v26, v32
	v_dual_add_f32 v27, v34, v27 :: v_dual_fmac_f32 v36, v43, v16
	s_delay_alu instid0(VALU_DEP_3)
	v_dual_mul_f32 v34, v29, v17 :: v_dual_add_f32 v15, v19, v15
	s_barrier
	buffer_gl0_inv
	v_mul_f32_e32 v26, v45, v23
	v_add_f32_e32 v21, v33, v21
	v_mul_f32_e32 v33, v43, v17
	v_mul_f32_e32 v17, v28, v17
	;; [unrolled: 1-line block ×3, first 2 shown]
	s_delay_alu instid0(VALU_DEP_3) | instskip(NEXT) | instid1(VALU_DEP_3)
	v_fma_f32 v33, v42, v16, -v33
	v_fmac_f32_e32 v17, v29, v16
	s_delay_alu instid0(VALU_DEP_3) | instskip(NEXT) | instid1(VALU_DEP_3)
	v_fmac_f32_e32 v19, v45, v24
	v_add_f32_e32 v33, v35, v33
	v_add_f32_e32 v35, v18, v36
	v_fma_f32 v18, v28, v16, -v34
	v_fma_f32 v16, v44, v22, -v26
	v_mul_f32_e32 v28, v44, v23
	v_dual_add_f32 v26, v21, v17 :: v_dual_mul_f32 v17, v30, v23
	s_delay_alu instid0(VALU_DEP_4) | instskip(NEXT) | instid1(VALU_DEP_4)
	v_dual_add_f32 v29, v20, v18 :: v_dual_mul_f32 v18, v45, v25
	v_add_f32_e32 v20, v1, v16
	v_mul_f32_e32 v16, v31, v23
	v_mul_f32_e32 v23, v31, v25
	;; [unrolled: 1-line block ×3, first 2 shown]
	v_fma_f32 v1, v44, v24, -v18
	v_fmac_f32_e32 v28, v45, v22
	v_fmac_f32_e32 v17, v31, v22
	v_add_f32_e32 v19, v35, v19
	s_delay_alu instid0(VALU_DEP_4)
	v_dual_fmac_f32 v25, v31, v24 :: v_dual_add_f32 v18, v33, v1
	v_fma_f32 v1, v30, v22, -v16
	v_fma_f32 v22, v30, v24, -v23
	v_add_f32_e32 v21, v27, v28
	v_add_f32_e32 v17, v15, v17
	;; [unrolled: 1-line block ×5, first 2 shown]
	s_cbranch_vccnz .LBB1149_11
.LBB1149_3:                             ; =>This Inner Loop Header: Depth=1
	v_add_co_u32 v22, s6, v11, s4
	s_delay_alu instid0(VALU_DEP_1) | instskip(NEXT) | instid1(VALU_DEP_1)
	v_add_co_ci_u32_e64 v23, null, 0, s5, s6
	v_cmp_le_i64_e32 vcc_lo, s[16:17], v[22:23]
	s_or_b32 s6, s3, vcc_lo
	s_delay_alu instid0(SALU_CYCLE_1) | instskip(NEXT) | instid1(SALU_CYCLE_1)
	s_and_saveexec_b32 s7, s6
	s_xor_b32 s6, exec_lo, s7
	s_cbranch_execz .LBB1149_5
; %bb.4:                                ;   in Loop: Header=BB1149_3 Depth=1
	v_mov_b32_e32 v1, v0
	ds_store_b64 v12, v[0:1]
.LBB1149_5:                             ;   in Loop: Header=BB1149_3 Depth=1
	s_and_not1_saveexec_b32 s6, s6
	s_cbranch_execz .LBB1149_7
; %bb.6:                                ;   in Loop: Header=BB1149_3 Depth=1
	global_load_b64 v[22:23], v[2:3], off
	s_waitcnt vmcnt(0)
	ds_store_b64 v12, v[22:23]
.LBB1149_7:                             ;   in Loop: Header=BB1149_3 Depth=1
	s_or_b32 exec_lo, exec_lo, s6
	v_add_co_u32 v22, s6, v8, s4
	s_delay_alu instid0(VALU_DEP_1) | instskip(NEXT) | instid1(VALU_DEP_1)
	v_add_co_ci_u32_e64 v23, null, 0, s5, s6
	v_cmp_le_i64_e32 vcc_lo, s[16:17], v[22:23]
	s_or_b32 s6, vcc_lo, s2
	s_delay_alu instid0(SALU_CYCLE_1) | instskip(NEXT) | instid1(SALU_CYCLE_1)
	s_and_saveexec_b32 s7, s6
	s_xor_b32 s6, exec_lo, s7
	s_cbranch_execz .LBB1149_9
; %bb.8:                                ;   in Loop: Header=BB1149_3 Depth=1
	v_mov_b32_e32 v1, v0
	ds_store_b64 v13, v[0:1]
.LBB1149_9:                             ;   in Loop: Header=BB1149_3 Depth=1
	s_and_not1_saveexec_b32 s6, s6
	s_cbranch_execz .LBB1149_2
; %bb.10:                               ;   in Loop: Header=BB1149_3 Depth=1
	global_load_b64 v[22:23], v[4:5], off
	s_waitcnt vmcnt(0)
	ds_store_b64 v13, v[22:23]
	s_branch .LBB1149_2
.LBB1149_11:
	s_load_b256 s[4:11], s[0:1], 0x48
	v_add_nc_u32_e32 v4, s14, v7
	s_delay_alu instid0(VALU_DEP_1)
	v_ashrrev_i32_e32 v0, 31, v4
	v_cmp_gt_i32_e32 vcc_lo, s12, v4
	s_waitcnt lgkmcnt(0)
	v_mul_lo_u32 v3, v4, s9
	v_mad_u64_u32 v[1:2], null, v4, s8, 0
	v_mul_lo_u32 v0, v0, s8
	s_mul_i32 s1, s15, s11
	s_mul_hi_u32 s2, s15, s10
	s_mul_i32 s0, s15, s10
	s_add_i32 s1, s2, s1
	s_delay_alu instid0(SALU_CYCLE_1) | instskip(NEXT) | instid1(VALU_DEP_1)
	s_lshl_b64 s[2:3], s[0:1], 3
	v_add3_u32 v2, v2, v3, v0
	v_add_nc_u32_e32 v0, s13, v6
	s_add_u32 s2, s6, s2
	s_addc_u32 s3, s7, s3
	s_delay_alu instid0(VALU_DEP_2) | instskip(NEXT) | instid1(VALU_DEP_2)
	v_lshlrev_b64 v[1:2], 3, v[1:2]
	v_cmp_le_i32_e64 s0, v0, v4
	s_delay_alu instid0(VALU_DEP_1) | instskip(NEXT) | instid1(VALU_DEP_2)
	s_and_b32 s0, vcc_lo, s0
	v_add_co_u32 v5, s1, s2, v1
	s_delay_alu instid0(VALU_DEP_1)
	v_add_co_ci_u32_e64 v6, s1, s3, v2, s1
	s_and_saveexec_b32 s1, s0
	s_cbranch_execz .LBB1149_13
; %bb.12:
	v_ashrrev_i32_e32 v1, 31, v0
	s_delay_alu instid0(VALU_DEP_1) | instskip(NEXT) | instid1(VALU_DEP_1)
	v_lshlrev_b64 v[1:2], 3, v[0:1]
	v_add_co_u32 v1, s0, v5, v1
	s_delay_alu instid0(VALU_DEP_1)
	v_add_co_ci_u32_e64 v2, s0, v6, v2, s0
	global_load_b64 v[7:8], v[1:2], off
	v_mul_f32_e32 v3, s19, v21
	s_waitcnt vmcnt(0)
	v_dual_mul_f32 v9, s18, v21 :: v_dual_mul_f32 v10, s5, v8
	v_mul_f32_e32 v8, s4, v8
	s_delay_alu instid0(VALU_DEP_3) | instskip(NEXT) | instid1(VALU_DEP_3)
	v_fma_f32 v3, v20, s18, -v3
	v_fmac_f32_e32 v9, s19, v20
	s_delay_alu instid0(VALU_DEP_4) | instskip(NEXT) | instid1(VALU_DEP_1)
	v_fma_f32 v10, v7, s4, -v10
	v_dual_fmac_f32 v8, s5, v7 :: v_dual_add_f32 v7, v3, v10
	s_delay_alu instid0(VALU_DEP_1)
	v_add_f32_e32 v8, v9, v8
	global_store_b64 v[1:2], v[7:8], off
.LBB1149_13:
	s_or_b32 exec_lo, exec_lo, s1
	v_add_nc_u32_e32 v2, 16, v0
	s_delay_alu instid0(VALU_DEP_1) | instskip(NEXT) | instid1(VALU_DEP_1)
	v_cmp_le_i32_e64 s0, v2, v4
	s_and_b32 s1, vcc_lo, s0
	s_delay_alu instid0(SALU_CYCLE_1)
	s_and_saveexec_b32 s0, s1
	s_cbranch_execz .LBB1149_15
; %bb.14:
	v_ashrrev_i32_e32 v3, 31, v2
	s_delay_alu instid0(VALU_DEP_1) | instskip(SKIP_1) | instid1(VALU_DEP_1)
	v_lshlrev_b64 v[7:8], 3, v[2:3]
	v_mul_f32_e32 v3, s18, v19
	v_fmac_f32_e32 v3, s19, v18
	s_delay_alu instid0(VALU_DEP_3) | instskip(NEXT) | instid1(VALU_DEP_4)
	v_add_co_u32 v5, vcc_lo, v5, v7
	v_add_co_ci_u32_e32 v6, vcc_lo, v6, v8, vcc_lo
	global_load_b64 v[7:8], v[5:6], off
	v_mul_f32_e32 v1, s19, v19
	s_waitcnt vmcnt(0)
	v_mul_f32_e32 v9, s5, v8
	v_mul_f32_e32 v8, s4, v8
	s_delay_alu instid0(VALU_DEP_3) | instskip(NEXT) | instid1(VALU_DEP_2)
	v_fma_f32 v1, v18, s18, -v1
	v_fmac_f32_e32 v8, s5, v7
	s_delay_alu instid0(VALU_DEP_4) | instskip(NEXT) | instid1(VALU_DEP_1)
	v_fma_f32 v9, v7, s4, -v9
	v_dual_add_f32 v8, v3, v8 :: v_dual_add_f32 v7, v1, v9
	global_store_b64 v[5:6], v[7:8], off
.LBB1149_15:
	s_or_b32 exec_lo, exec_lo, s0
	v_add_nc_u32_e32 v3, 16, v4
	s_delay_alu instid0(VALU_DEP_1) | instskip(SKIP_3) | instid1(VALU_DEP_4)
	v_ashrrev_i32_e32 v1, 31, v3
	v_mul_lo_u32 v6, v3, s9
	v_mad_u64_u32 v[4:5], null, v3, s8, 0
	v_cmp_gt_i32_e32 vcc_lo, s12, v3
	v_mul_lo_u32 v1, v1, s8
	v_cmp_le_i32_e64 s0, v0, v3
	s_delay_alu instid0(VALU_DEP_1) | instskip(NEXT) | instid1(VALU_DEP_2)
	s_and_b32 s0, vcc_lo, s0
	v_add3_u32 v5, v5, v6, v1
	s_delay_alu instid0(VALU_DEP_1) | instskip(NEXT) | instid1(VALU_DEP_1)
	v_lshlrev_b64 v[4:5], 3, v[4:5]
	v_add_co_u32 v4, s1, s2, v4
	s_delay_alu instid0(VALU_DEP_1)
	v_add_co_ci_u32_e64 v5, s1, s3, v5, s1
	s_and_saveexec_b32 s1, s0
	s_cbranch_execz .LBB1149_17
; %bb.16:
	v_ashrrev_i32_e32 v1, 31, v0
	s_delay_alu instid0(VALU_DEP_1) | instskip(NEXT) | instid1(VALU_DEP_1)
	v_lshlrev_b64 v[0:1], 3, v[0:1]
	v_add_co_u32 v0, s0, v4, v0
	s_delay_alu instid0(VALU_DEP_1)
	v_add_co_ci_u32_e64 v1, s0, v5, v1, s0
	global_load_b64 v[6:7], v[0:1], off
	v_mul_f32_e32 v8, s19, v17
	s_waitcnt vmcnt(0)
	v_dual_mul_f32 v9, s18, v17 :: v_dual_mul_f32 v10, s5, v7
	v_mul_f32_e32 v7, s4, v7
	s_delay_alu instid0(VALU_DEP_3) | instskip(NEXT) | instid1(VALU_DEP_3)
	v_fma_f32 v8, v16, s18, -v8
	v_fma_f32 v10, v6, s4, -v10
	s_delay_alu instid0(VALU_DEP_4) | instskip(NEXT) | instid1(VALU_DEP_4)
	v_fmac_f32_e32 v9, s19, v16
	v_fmac_f32_e32 v7, s5, v6
	s_delay_alu instid0(VALU_DEP_1)
	v_dual_add_f32 v6, v8, v10 :: v_dual_add_f32 v7, v9, v7
	global_store_b64 v[0:1], v[6:7], off
.LBB1149_17:
	s_or_b32 exec_lo, exec_lo, s1
	v_cmp_le_i32_e64 s0, v2, v3
	s_delay_alu instid0(VALU_DEP_1) | instskip(NEXT) | instid1(SALU_CYCLE_1)
	s_and_b32 s0, vcc_lo, s0
	s_and_saveexec_b32 s1, s0
	s_cbranch_execz .LBB1149_19
; %bb.18:
	v_ashrrev_i32_e32 v3, 31, v2
	s_delay_alu instid0(VALU_DEP_1) | instskip(NEXT) | instid1(VALU_DEP_1)
	v_lshlrev_b64 v[0:1], 3, v[2:3]
	v_add_co_u32 v0, vcc_lo, v4, v0
	s_delay_alu instid0(VALU_DEP_2) | instskip(SKIP_4) | instid1(VALU_DEP_1)
	v_add_co_ci_u32_e32 v1, vcc_lo, v5, v1, vcc_lo
	global_load_b64 v[2:3], v[0:1], off
	s_waitcnt vmcnt(0)
	v_mul_f32_e32 v6, s5, v3
	v_mul_f32_e32 v3, s4, v3
	v_fmac_f32_e32 v3, s5, v2
	s_delay_alu instid0(VALU_DEP_3) | instskip(SKIP_1) | instid1(VALU_DEP_1)
	v_fma_f32 v6, v2, s4, -v6
	v_mul_f32_e32 v5, s18, v15
	v_dual_mul_f32 v4, s19, v15 :: v_dual_fmac_f32 v5, s19, v14
	s_delay_alu instid0(VALU_DEP_1) | instskip(NEXT) | instid1(VALU_DEP_1)
	v_fma_f32 v4, v14, s18, -v4
	v_dual_add_f32 v3, v5, v3 :: v_dual_add_f32 v2, v4, v6
	global_store_b64 v[0:1], v[2:3], off
.LBB1149_19:
	s_nop 0
	s_sendmsg sendmsg(MSG_DEALLOC_VGPRS)
	s_endpgm
	.section	.rodata,"a",@progbits
	.p2align	6, 0x0
	.amdhsa_kernel _ZL34rocblas_syrkx_herkx_general_kernelIl19rocblas_complex_numIfELi16ELi32ELi8ELb0ELb0ELc84ELc85EKS1_S1_EviT_T0_PT8_S3_lS6_S3_lS4_PT9_S3_li
		.amdhsa_group_segment_fixed_size 4096
		.amdhsa_private_segment_fixed_size 0
		.amdhsa_kernarg_size 108
		.amdhsa_user_sgpr_count 13
		.amdhsa_user_sgpr_dispatch_ptr 0
		.amdhsa_user_sgpr_queue_ptr 0
		.amdhsa_user_sgpr_kernarg_segment_ptr 1
		.amdhsa_user_sgpr_dispatch_id 0
		.amdhsa_user_sgpr_private_segment_size 0
		.amdhsa_wavefront_size32 1
		.amdhsa_uses_dynamic_stack 0
		.amdhsa_enable_private_segment 0
		.amdhsa_system_sgpr_workgroup_id_x 1
		.amdhsa_system_sgpr_workgroup_id_y 1
		.amdhsa_system_sgpr_workgroup_id_z 1
		.amdhsa_system_sgpr_workgroup_info 0
		.amdhsa_system_vgpr_workitem_id 1
		.amdhsa_next_free_vgpr 59
		.amdhsa_next_free_sgpr 32
		.amdhsa_reserve_vcc 1
		.amdhsa_float_round_mode_32 0
		.amdhsa_float_round_mode_16_64 0
		.amdhsa_float_denorm_mode_32 3
		.amdhsa_float_denorm_mode_16_64 3
		.amdhsa_dx10_clamp 1
		.amdhsa_ieee_mode 1
		.amdhsa_fp16_overflow 0
		.amdhsa_workgroup_processor_mode 1
		.amdhsa_memory_ordered 1
		.amdhsa_forward_progress 0
		.amdhsa_shared_vgpr_count 0
		.amdhsa_exception_fp_ieee_invalid_op 0
		.amdhsa_exception_fp_denorm_src 0
		.amdhsa_exception_fp_ieee_div_zero 0
		.amdhsa_exception_fp_ieee_overflow 0
		.amdhsa_exception_fp_ieee_underflow 0
		.amdhsa_exception_fp_ieee_inexact 0
		.amdhsa_exception_int_div_zero 0
	.end_amdhsa_kernel
	.section	.text._ZL34rocblas_syrkx_herkx_general_kernelIl19rocblas_complex_numIfELi16ELi32ELi8ELb0ELb0ELc84ELc85EKS1_S1_EviT_T0_PT8_S3_lS6_S3_lS4_PT9_S3_li,"axG",@progbits,_ZL34rocblas_syrkx_herkx_general_kernelIl19rocblas_complex_numIfELi16ELi32ELi8ELb0ELb0ELc84ELc85EKS1_S1_EviT_T0_PT8_S3_lS6_S3_lS4_PT9_S3_li,comdat
.Lfunc_end1149:
	.size	_ZL34rocblas_syrkx_herkx_general_kernelIl19rocblas_complex_numIfELi16ELi32ELi8ELb0ELb0ELc84ELc85EKS1_S1_EviT_T0_PT8_S3_lS6_S3_lS4_PT9_S3_li, .Lfunc_end1149-_ZL34rocblas_syrkx_herkx_general_kernelIl19rocblas_complex_numIfELi16ELi32ELi8ELb0ELb0ELc84ELc85EKS1_S1_EviT_T0_PT8_S3_lS6_S3_lS4_PT9_S3_li
                                        ; -- End function
	.section	.AMDGPU.csdata,"",@progbits
; Kernel info:
; codeLenInByte = 2736
; NumSgprs: 34
; NumVgprs: 59
; ScratchSize: 0
; MemoryBound: 1
; FloatMode: 240
; IeeeMode: 1
; LDSByteSize: 4096 bytes/workgroup (compile time only)
; SGPRBlocks: 4
; VGPRBlocks: 7
; NumSGPRsForWavesPerEU: 34
; NumVGPRsForWavesPerEU: 59
; Occupancy: 16
; WaveLimiterHint : 0
; COMPUTE_PGM_RSRC2:SCRATCH_EN: 0
; COMPUTE_PGM_RSRC2:USER_SGPR: 13
; COMPUTE_PGM_RSRC2:TRAP_HANDLER: 0
; COMPUTE_PGM_RSRC2:TGID_X_EN: 1
; COMPUTE_PGM_RSRC2:TGID_Y_EN: 1
; COMPUTE_PGM_RSRC2:TGID_Z_EN: 1
; COMPUTE_PGM_RSRC2:TIDIG_COMP_CNT: 1
	.section	.text._ZL34rocblas_syrkx_herkx_general_kernelIl19rocblas_complex_numIfELi16ELi32ELi8ELb0ELb0ELc67ELc85EKS1_S1_EviT_T0_PT8_S3_lS6_S3_lS4_PT9_S3_li,"axG",@progbits,_ZL34rocblas_syrkx_herkx_general_kernelIl19rocblas_complex_numIfELi16ELi32ELi8ELb0ELb0ELc67ELc85EKS1_S1_EviT_T0_PT8_S3_lS6_S3_lS4_PT9_S3_li,comdat
	.globl	_ZL34rocblas_syrkx_herkx_general_kernelIl19rocblas_complex_numIfELi16ELi32ELi8ELb0ELb0ELc67ELc85EKS1_S1_EviT_T0_PT8_S3_lS6_S3_lS4_PT9_S3_li ; -- Begin function _ZL34rocblas_syrkx_herkx_general_kernelIl19rocblas_complex_numIfELi16ELi32ELi8ELb0ELb0ELc67ELc85EKS1_S1_EviT_T0_PT8_S3_lS6_S3_lS4_PT9_S3_li
	.p2align	8
	.type	_ZL34rocblas_syrkx_herkx_general_kernelIl19rocblas_complex_numIfELi16ELi32ELi8ELb0ELb0ELc67ELc85EKS1_S1_EviT_T0_PT8_S3_lS6_S3_lS4_PT9_S3_li,@function
_ZL34rocblas_syrkx_herkx_general_kernelIl19rocblas_complex_numIfELi16ELi32ELi8ELb0ELb0ELc67ELc85EKS1_S1_EviT_T0_PT8_S3_lS6_S3_lS4_PT9_S3_li: ; @_ZL34rocblas_syrkx_herkx_general_kernelIl19rocblas_complex_numIfELi16ELi32ELi8ELb0ELb0ELc67ELc85EKS1_S1_EviT_T0_PT8_S3_lS6_S3_lS4_PT9_S3_li
; %bb.0:
	s_clause 0x1
	s_load_b512 s[16:31], s[0:1], 0x8
	s_load_b32 s12, s[0:1], 0x0
	v_dual_mov_b32 v22, 0 :: v_dual_mov_b32 v23, 0
	v_dual_mov_b32 v20, 0 :: v_dual_mov_b32 v21, 0
	;; [unrolled: 1-line block ×4, first 2 shown]
	v_and_b32_e32 v8, 0x3ff, v0
	v_bfe_u32 v9, v0, 10, 10
	s_lshl_b32 s13, s13, 5
	s_lshl_b32 s14, s14, 5
	s_waitcnt lgkmcnt(0)
	v_cmp_lt_i64_e64 s2, s[16:17], 1
	s_delay_alu instid0(VALU_DEP_1)
	s_and_b32 vcc_lo, exec_lo, s2
	s_cbranch_vccnz .LBB1150_9
; %bb.1:
	v_lshl_add_u32 v1, v9, 4, v8
	v_mov_b32_e32 v0, 0
	v_and_b32_e32 v10, 7, v8
	s_mul_i32 s3, s25, s15
	s_mul_hi_u32 s4, s24, s15
	v_and_b32_e32 v3, 31, v1
	v_lshrrev_b32_e32 v5, 3, v1
	v_lshrrev_b32_e32 v13, 5, v1
	s_mul_i32 s2, s24, s15
	s_add_i32 s3, s4, s3
	v_add_nc_u32_e32 v4, s13, v3
	v_add_nc_u32_e32 v7, s14, v5
	v_dual_mov_b32 v20, 0 :: v_dual_lshlrev_b32 v17, 3, v3
	v_or_b32_e32 v15, s13, v3
	s_delay_alu instid0(VALU_DEP_4) | instskip(SKIP_3) | instid1(VALU_DEP_4)
	v_ashrrev_i32_e32 v6, 31, v4
	v_mul_lo_u32 v14, s23, v4
	v_mad_u64_u32 v[1:2], null, s22, v4, 0
	v_ashrrev_i32_e32 v18, 31, v7
	v_mul_lo_u32 v6, s22, v6
	s_lshl_b64 s[4:5], s[2:3], 3
	v_cmp_gt_i32_e64 s2, s12, v15
	v_lshlrev_b32_e32 v11, 3, v8
	v_lshl_add_u32 v12, v9, 6, 0x800
	v_mov_b32_e32 v23, 0
	v_dual_mov_b32 v21, 0 :: v_dual_mov_b32 v22, 0
	v_add3_u32 v2, v2, v6, v14
	v_mul_lo_u32 v6, s28, v18
	v_lshl_or_b32 v14, v13, 8, v17
	v_dual_mov_b32 v17, 0 :: v_dual_lshlrev_b32 v16, 3, v10
	v_mov_b32_e32 v18, 0
	v_mul_lo_u32 v19, s29, v7
	v_mad_u64_u32 v[3:4], null, s28, v7, 0
	v_lshlrev_b64 v[1:2], 3, v[1:2]
	v_lshl_or_b32 v5, v5, 6, v16
	v_cmp_gt_i32_e32 vcc_lo, s12, v7
	v_lshlrev_b32_e32 v7, 3, v13
	v_add3_u32 v4, v4, v6, v19
	s_delay_alu instid0(VALU_DEP_4) | instskip(SKIP_1) | instid1(VALU_DEP_1)
	v_add_nc_u32_e32 v15, 0x800, v5
	v_add_co_u32 v5, s3, v1, s4
	v_add_co_ci_u32_e64 v6, s3, s5, v2, s3
	s_mul_i32 s3, s31, s15
	s_mul_hi_u32 s4, s30, s15
	v_lshlrev_b64 v[1:2], 3, v[3:4]
	s_add_i32 s5, s4, s3
	s_mul_i32 s4, s30, s15
	v_add_co_u32 v3, s3, v5, v7
	s_lshl_b64 s[4:5], s[4:5], 3
	v_add_co_ci_u32_e64 v4, s3, 0, v6, s3
	v_add_co_u32 v1, s3, v1, s4
	s_delay_alu instid0(VALU_DEP_1) | instskip(SKIP_1) | instid1(VALU_DEP_1)
	v_add_co_ci_u32_e64 v2, s3, s5, v2, s3
	v_add_co_u32 v3, s3, v3, s20
	v_add_co_ci_u32_e64 v4, s3, s21, v4, s3
	s_delay_alu instid0(VALU_DEP_4) | instskip(NEXT) | instid1(VALU_DEP_1)
	v_add_co_u32 v1, s3, v1, v16
	v_add_co_ci_u32_e64 v5, s3, 0, v2, s3
	s_delay_alu instid0(VALU_DEP_4) | instskip(NEXT) | instid1(VALU_DEP_1)
	;; [unrolled: 3-line block ×3, first 2 shown]
	v_add_co_u32 v4, s3, s26, v1
	v_add_co_ci_u32_e64 v5, s3, s27, v5, s3
	v_dual_mov_b32 v16, 0 :: v_dual_mov_b32 v19, 0
	s_mov_b64 s[4:5], 0
	s_xor_b32 s3, vcc_lo, -1
	s_branch .LBB1150_3
.LBB1150_2:                             ;   in Loop: Header=BB1150_3 Depth=1
	s_or_b32 exec_lo, exec_lo, s6
	s_waitcnt lgkmcnt(0)
	s_barrier
	buffer_gl0_inv
	ds_load_2addr_b64 v[24:27], v11 offset1:16
	ds_load_b128 v[28:31], v12
	ds_load_b128 v[32:35], v12 offset:1024
	ds_load_b128 v[36:39], v12 offset:16
	;; [unrolled: 1-line block ×4, first 2 shown]
	ds_load_2addr_b64 v[48:51], v11 offset0:32 offset1:48
	ds_load_b128 v[52:55], v12 offset:1040
	s_add_u32 s4, s4, 8
	s_addc_u32 s5, s5, 0
	v_add_co_u32 v2, vcc_lo, v2, 64
	v_cmp_ge_i64_e64 s6, s[4:5], s[16:17]
	v_add_co_ci_u32_e32 v3, vcc_lo, 0, v3, vcc_lo
	v_add_co_u32 v4, vcc_lo, v4, 64
	v_add_co_ci_u32_e32 v5, vcc_lo, 0, v5, vcc_lo
	s_delay_alu instid0(VALU_DEP_4)
	s_and_b32 vcc_lo, exec_lo, s6
	s_waitcnt lgkmcnt(6)
	v_dual_mul_f32 v1, v29, v25 :: v_dual_mul_f32 v56, v28, v27
	v_dual_mul_f32 v6, v28, v25 :: v_dual_mul_f32 v7, v29, v27
	s_waitcnt lgkmcnt(5)
	v_mul_f32_e32 v58, v33, v27
	s_delay_alu instid0(VALU_DEP_3) | instskip(SKIP_3) | instid1(VALU_DEP_4)
	v_fma_f32 v1, v28, v24, -v1
	v_dual_mul_f32 v27, v32, v27 :: v_dual_fmac_f32 v56, v29, v26
	v_fmac_f32_e32 v6, v29, v24
	v_fma_f32 v7, v28, v26, -v7
	v_add_f32_e32 v1, v22, v1
	v_mul_f32_e32 v57, v33, v25
	s_delay_alu instid0(VALU_DEP_4) | instskip(NEXT) | instid1(VALU_DEP_4)
	v_dual_mul_f32 v25, v32, v25 :: v_dual_add_f32 v6, v23, v6
	v_dual_add_f32 v7, v20, v7 :: v_dual_add_f32 v22, v21, v56
	s_delay_alu instid0(VALU_DEP_3) | instskip(NEXT) | instid1(VALU_DEP_3)
	v_fma_f32 v28, v32, v24, -v57
	v_fmac_f32_e32 v25, v33, v24
	v_fma_f32 v24, v32, v26, -v58
	v_fmac_f32_e32 v27, v33, v26
	s_waitcnt lgkmcnt(1)
	v_dual_add_f32 v23, v18, v28 :: v_dual_mul_f32 v28, v31, v49
	s_delay_alu instid0(VALU_DEP_3)
	v_dual_add_f32 v25, v19, v25 :: v_dual_add_f32 v16, v16, v24
	v_mul_f32_e32 v24, v30, v49
	ds_load_2addr_b64 v[18:21], v11 offset0:64 offset1:80
	v_fma_f32 v26, v30, v48, -v28
	v_mul_f32_e32 v28, v31, v51
	v_dual_add_f32 v17, v17, v27 :: v_dual_fmac_f32 v24, v31, v48
	v_mul_f32_e32 v27, v30, v51
	s_delay_alu instid0(VALU_DEP_4) | instskip(NEXT) | instid1(VALU_DEP_4)
	v_add_f32_e32 v1, v1, v26
	v_fma_f32 v26, v30, v50, -v28
	v_mul_f32_e32 v28, v35, v49
	s_delay_alu instid0(VALU_DEP_4) | instskip(SKIP_1) | instid1(VALU_DEP_1)
	v_dual_add_f32 v6, v6, v24 :: v_dual_fmac_f32 v27, v31, v50
	v_mul_f32_e32 v24, v34, v49
	v_dual_add_f32 v27, v22, v27 :: v_dual_fmac_f32 v24, v35, v48
	v_add_f32_e32 v7, v7, v26
	v_fma_f32 v26, v34, v48, -v28
	v_mul_f32_e32 v29, v34, v51
	s_waitcnt lgkmcnt(0)
	v_mul_f32_e32 v30, v36, v19
	v_mul_f32_e32 v32, v37, v21
	v_add_f32_e32 v26, v23, v26
	v_fmac_f32_e32 v29, v35, v50
	v_mul_f32_e32 v28, v35, v51
	v_fmac_f32_e32 v30, v37, v18
	s_delay_alu instid0(VALU_DEP_3) | instskip(SKIP_1) | instid1(VALU_DEP_4)
	v_add_f32_e32 v29, v17, v29
	v_mul_f32_e32 v17, v36, v21
	v_fma_f32 v22, v34, v50, -v28
	v_mul_f32_e32 v23, v37, v19
	v_add_f32_e32 v28, v25, v24
	v_add_f32_e32 v6, v6, v30
	v_mul_f32_e32 v30, v53, v19
	v_add_f32_e32 v16, v16, v22
	v_fma_f32 v31, v36, v18, -v23
	ds_load_2addr_b64 v[22:25], v11 offset0:96 offset1:112
	v_mul_f32_e32 v19, v52, v19
	v_add_f32_e32 v1, v1, v31
	v_fma_f32 v31, v36, v20, -v32
	s_delay_alu instid0(VALU_DEP_1) | instskip(SKIP_4) | instid1(VALU_DEP_2)
	v_add_f32_e32 v7, v7, v31
	v_mul_f32_e32 v31, v53, v21
	v_mul_f32_e32 v21, v52, v21
	v_fma_f32 v30, v52, v18, -v30
	v_fmac_f32_e32 v17, v37, v20
	v_dual_fmac_f32 v21, v53, v20 :: v_dual_add_f32 v30, v26, v30
	s_delay_alu instid0(VALU_DEP_2)
	v_dual_fmac_f32 v19, v53, v18 :: v_dual_add_f32 v32, v27, v17
	v_fma_f32 v17, v52, v20, -v31
	s_waitcnt lgkmcnt(0)
	v_mul_f32_e32 v26, v38, v23
	v_mul_f32_e32 v20, v39, v23
	v_dual_add_f32 v31, v28, v19 :: v_dual_add_f32 v34, v29, v21
	v_add_f32_e32 v33, v16, v17
	ds_load_2addr_b64 v[16:19], v11 offset0:128 offset1:144
	v_fmac_f32_e32 v26, v39, v22
	v_mul_f32_e32 v27, v39, v25
	v_mul_f32_e32 v21, v38, v25
	;; [unrolled: 1-line block ×4, first 2 shown]
	v_fma_f32 v20, v38, v22, -v20
	v_add_f32_e32 v6, v6, v26
	v_fma_f32 v27, v38, v24, -v27
	s_waitcnt lgkmcnt(0)
	v_dual_fmac_f32 v25, v55, v24 :: v_dual_mul_f32 v38, v40, v17
	s_delay_alu instid0(VALU_DEP_1) | instskip(NEXT) | instid1(VALU_DEP_2)
	v_dual_add_f32 v25, v34, v25 :: v_dual_mul_f32 v34, v40, v19
	v_fmac_f32_e32 v38, v41, v16
	v_fmac_f32_e32 v21, v39, v24
	v_dual_add_f32 v1, v1, v20 :: v_dual_mul_f32 v20, v55, v23
	s_delay_alu instid0(VALU_DEP_4) | instskip(NEXT) | instid1(VALU_DEP_4)
	v_fmac_f32_e32 v34, v41, v18
	v_add_f32_e32 v6, v6, v38
	s_delay_alu instid0(VALU_DEP_4)
	v_add_f32_e32 v36, v32, v21
	v_fma_f32 v21, v54, v24, -v35
	v_add_f32_e32 v7, v7, v27
	ds_load_b128 v[26:29], v12 offset:1056
	v_mul_f32_e32 v23, v54, v23
	v_fma_f32 v20, v54, v22, -v20
	v_add_f32_e32 v24, v33, v21
	v_add_f32_e32 v34, v36, v34
	s_delay_alu instid0(VALU_DEP_4) | instskip(NEXT) | instid1(VALU_DEP_4)
	v_fmac_f32_e32 v23, v55, v22
	v_dual_add_f32 v35, v30, v20 :: v_dual_mul_f32 v20, v41, v17
	s_delay_alu instid0(VALU_DEP_2) | instskip(SKIP_1) | instid1(VALU_DEP_3)
	v_add_f32_e32 v37, v31, v23
	v_mul_f32_e32 v31, v41, v19
	v_fma_f32 v30, v40, v16, -v20
	ds_load_2addr_b64 v[20:23], v11 offset0:160 offset1:176
	v_fma_f32 v39, v40, v18, -v31
	v_add_f32_e32 v1, v1, v30
	ds_load_b128 v[30:33], v12 offset:1072
	s_waitcnt lgkmcnt(2)
	v_mul_f32_e32 v36, v26, v19
	v_mul_f32_e32 v40, v27, v17
	s_delay_alu instid0(VALU_DEP_2) | instskip(NEXT) | instid1(VALU_DEP_2)
	v_dual_fmac_f32 v36, v27, v18 :: v_dual_mul_f32 v17, v26, v17
	v_fma_f32 v38, v26, v16, -v40
	s_delay_alu instid0(VALU_DEP_2)
	v_fmac_f32_e32 v17, v27, v16
	v_add_f32_e32 v7, v7, v39
	v_mul_f32_e32 v39, v27, v19
	s_waitcnt lgkmcnt(1)
	v_mul_f32_e32 v27, v42, v21
	v_mul_f32_e32 v19, v43, v21
	s_delay_alu instid0(VALU_DEP_3) | instskip(NEXT) | instid1(VALU_DEP_1)
	v_fma_f32 v16, v26, v18, -v39
	v_add_f32_e32 v24, v24, v16
	s_delay_alu instid0(VALU_DEP_4) | instskip(SKIP_1) | instid1(VALU_DEP_2)
	v_fmac_f32_e32 v27, v43, v20
	v_add_f32_e32 v36, v25, v36
	v_add_f32_e32 v6, v6, v27
	;; [unrolled: 1-line block ×3, first 2 shown]
	v_fma_f32 v37, v42, v20, -v19
	ds_load_2addr_b64 v[16:19], v11 offset0:192 offset1:208
	v_mul_f32_e32 v25, v42, v23
	v_add_f32_e32 v35, v35, v38
	v_dual_mul_f32 v38, v43, v23 :: v_dual_mul_f32 v27, v29, v21
	v_mul_f32_e32 v21, v28, v21
	s_delay_alu instid0(VALU_DEP_4) | instskip(NEXT) | instid1(VALU_DEP_3)
	v_fmac_f32_e32 v25, v43, v22
	v_fma_f32 v27, v28, v20, -v27
	s_delay_alu instid0(VALU_DEP_2) | instskip(NEXT) | instid1(VALU_DEP_1)
	v_dual_fmac_f32 v21, v29, v20 :: v_dual_add_f32 v20, v34, v25
	v_add_f32_e32 v21, v26, v21
	s_waitcnt lgkmcnt(0)
	v_mul_f32_e32 v34, v45, v17
	v_add_f32_e32 v1, v1, v37
	v_fma_f32 v37, v42, v22, -v38
	s_delay_alu instid0(VALU_DEP_3) | instskip(NEXT) | instid1(VALU_DEP_2)
	v_fma_f32 v34, v44, v16, -v34
	v_add_f32_e32 v7, v7, v37
	v_mul_f32_e32 v37, v29, v23
	v_mul_f32_e32 v23, v28, v23
	s_delay_alu instid0(VALU_DEP_2) | instskip(SKIP_3) | instid1(VALU_DEP_2)
	v_fma_f32 v25, v28, v22, -v37
	v_add_f32_e32 v28, v35, v27
	v_mul_f32_e32 v35, v45, v19
	v_dual_add_f32 v1, v1, v34 :: v_dual_mul_f32 v34, v31, v17
	v_fma_f32 v35, v44, v18, -v35
	s_delay_alu instid0(VALU_DEP_1)
	v_add_f32_e32 v7, v7, v35
	v_dual_fmac_f32 v23, v29, v22 :: v_dual_add_f32 v22, v24, v25
	ds_load_2addr_b64 v[24:27], v11 offset0:224 offset1:240
	s_waitcnt lgkmcnt(0)
	s_barrier
	v_add_f32_e32 v23, v36, v23
	v_mul_f32_e32 v29, v44, v17
	v_dual_mul_f32 v36, v44, v19 :: v_dual_mul_f32 v17, v30, v17
	buffer_gl0_inv
	v_fmac_f32_e32 v29, v45, v16
	v_dual_fmac_f32 v36, v45, v18 :: v_dual_fmac_f32 v17, v31, v16
	s_delay_alu instid0(VALU_DEP_2) | instskip(SKIP_1) | instid1(VALU_DEP_3)
	v_add_f32_e32 v6, v6, v29
	v_fma_f32 v29, v30, v16, -v34
	v_dual_mul_f32 v34, v31, v19 :: v_dual_add_f32 v35, v20, v36
	s_delay_alu instid0(VALU_DEP_2) | instskip(NEXT) | instid1(VALU_DEP_2)
	v_dual_mul_f32 v19, v30, v19 :: v_dual_add_f32 v16, v28, v29
	v_fma_f32 v20, v30, v18, -v34
	v_mul_f32_e32 v28, v47, v25
	v_mul_f32_e32 v29, v46, v25
	s_delay_alu instid0(VALU_DEP_3) | instskip(NEXT) | instid1(VALU_DEP_3)
	v_dual_fmac_f32 v19, v31, v18 :: v_dual_add_f32 v30, v22, v20
	v_fma_f32 v18, v46, v24, -v28
	s_delay_alu instid0(VALU_DEP_3)
	v_fmac_f32_e32 v29, v47, v24
	v_dual_mul_f32 v20, v47, v27 :: v_dual_add_f32 v17, v21, v17
	v_mul_f32_e32 v21, v46, v27
	v_add_f32_e32 v28, v23, v19
	v_add_f32_e32 v22, v1, v18
	v_dual_mul_f32 v18, v33, v27 :: v_dual_add_f32 v23, v6, v29
	v_fma_f32 v1, v46, v26, -v20
	v_mul_f32_e32 v6, v33, v25
	v_mul_f32_e32 v19, v32, v25
	;; [unrolled: 1-line block ×3, first 2 shown]
	v_fmac_f32_e32 v21, v47, v26
	v_add_f32_e32 v20, v7, v1
	v_fma_f32 v1, v32, v24, -v6
	v_fmac_f32_e32 v19, v33, v24
	v_fma_f32 v6, v32, v26, -v18
	v_fmac_f32_e32 v25, v33, v26
	v_add_f32_e32 v21, v35, v21
	s_delay_alu instid0(VALU_DEP_4) | instskip(NEXT) | instid1(VALU_DEP_3)
	v_dual_add_f32 v18, v16, v1 :: v_dual_add_f32 v19, v17, v19
	v_dual_add_f32 v16, v30, v6 :: v_dual_add_f32 v17, v28, v25
	s_cbranch_vccnz .LBB1150_9
.LBB1150_3:                             ; =>This Inner Loop Header: Depth=1
	v_add_co_u32 v6, s6, v13, s4
	s_delay_alu instid0(VALU_DEP_1) | instskip(NEXT) | instid1(VALU_DEP_1)
	v_add_co_ci_u32_e64 v7, null, 0, s5, s6
	v_cmp_gt_i64_e32 vcc_lo, s[16:17], v[6:7]
	v_dual_mov_b32 v6, 0 :: v_dual_mov_b32 v7, 0
	s_and_b32 s7, s2, vcc_lo
	s_delay_alu instid0(SALU_CYCLE_1)
	s_and_saveexec_b32 s6, s7
	s_cbranch_execz .LBB1150_5
; %bb.4:                                ;   in Loop: Header=BB1150_3 Depth=1
	global_load_b64 v[6:7], v[2:3], off offset:-4
.LBB1150_5:                             ;   in Loop: Header=BB1150_3 Depth=1
	s_or_b32 exec_lo, exec_lo, s6
	v_add_co_u32 v24, s6, v10, s4
	s_delay_alu instid0(VALU_DEP_1) | instskip(SKIP_4) | instid1(SALU_CYCLE_1)
	v_add_co_ci_u32_e64 v25, null, 0, s5, s6
	s_waitcnt vmcnt(0)
	ds_store_b64 v14, v[6:7]
	v_cmp_le_i64_e32 vcc_lo, s[16:17], v[24:25]
	s_or_b32 s6, vcc_lo, s3
	s_and_saveexec_b32 s7, s6
	s_delay_alu instid0(SALU_CYCLE_1)
	s_xor_b32 s6, exec_lo, s7
	s_cbranch_execz .LBB1150_7
; %bb.6:                                ;   in Loop: Header=BB1150_3 Depth=1
	v_mov_b32_e32 v1, v0
	ds_store_b64 v15, v[0:1]
.LBB1150_7:                             ;   in Loop: Header=BB1150_3 Depth=1
	s_and_not1_saveexec_b32 s6, s6
	s_cbranch_execz .LBB1150_2
; %bb.8:                                ;   in Loop: Header=BB1150_3 Depth=1
	global_load_b64 v[6:7], v[4:5], off
	s_waitcnt vmcnt(0)
	ds_store_b64 v15, v[6:7]
	s_branch .LBB1150_2
.LBB1150_9:
	s_load_b256 s[4:11], s[0:1], 0x48
	v_add_nc_u32_e32 v4, s14, v9
	s_delay_alu instid0(VALU_DEP_1)
	v_ashrrev_i32_e32 v0, 31, v4
	v_cmp_gt_i32_e32 vcc_lo, s12, v4
	s_waitcnt lgkmcnt(0)
	v_mul_lo_u32 v3, v4, s9
	v_mad_u64_u32 v[1:2], null, v4, s8, 0
	v_mul_lo_u32 v0, v0, s8
	s_mul_i32 s1, s15, s11
	s_mul_hi_u32 s2, s15, s10
	s_mul_i32 s0, s15, s10
	s_add_i32 s1, s2, s1
	s_delay_alu instid0(SALU_CYCLE_1) | instskip(NEXT) | instid1(VALU_DEP_1)
	s_lshl_b64 s[2:3], s[0:1], 3
	v_add3_u32 v2, v2, v3, v0
	v_add_nc_u32_e32 v0, s13, v8
	s_add_u32 s2, s6, s2
	s_addc_u32 s3, s7, s3
	s_delay_alu instid0(VALU_DEP_2) | instskip(NEXT) | instid1(VALU_DEP_2)
	v_lshlrev_b64 v[1:2], 3, v[1:2]
	v_cmp_le_i32_e64 s0, v0, v4
	s_delay_alu instid0(VALU_DEP_1) | instskip(NEXT) | instid1(VALU_DEP_2)
	s_and_b32 s0, vcc_lo, s0
	v_add_co_u32 v5, s1, s2, v1
	s_delay_alu instid0(VALU_DEP_1)
	v_add_co_ci_u32_e64 v6, s1, s3, v2, s1
	s_and_saveexec_b32 s1, s0
	s_cbranch_execz .LBB1150_11
; %bb.10:
	v_ashrrev_i32_e32 v1, 31, v0
	s_delay_alu instid0(VALU_DEP_1) | instskip(NEXT) | instid1(VALU_DEP_1)
	v_lshlrev_b64 v[1:2], 3, v[0:1]
	v_add_co_u32 v1, s0, v5, v1
	s_delay_alu instid0(VALU_DEP_1)
	v_add_co_ci_u32_e64 v2, s0, v6, v2, s0
	global_load_b64 v[7:8], v[1:2], off
	v_mul_f32_e32 v3, s19, v23
	s_waitcnt vmcnt(0)
	v_dual_mul_f32 v9, s18, v23 :: v_dual_mul_f32 v10, s5, v8
	v_mul_f32_e32 v8, s4, v8
	s_delay_alu instid0(VALU_DEP_3) | instskip(NEXT) | instid1(VALU_DEP_3)
	v_fma_f32 v3, v22, s18, -v3
	v_fmac_f32_e32 v9, s19, v22
	s_delay_alu instid0(VALU_DEP_4) | instskip(NEXT) | instid1(VALU_DEP_1)
	v_fma_f32 v10, v7, s4, -v10
	v_dual_fmac_f32 v8, s5, v7 :: v_dual_add_f32 v7, v3, v10
	s_delay_alu instid0(VALU_DEP_1)
	v_add_f32_e32 v8, v9, v8
	global_store_b64 v[1:2], v[7:8], off
.LBB1150_11:
	s_or_b32 exec_lo, exec_lo, s1
	v_add_nc_u32_e32 v2, 16, v0
	s_delay_alu instid0(VALU_DEP_1) | instskip(NEXT) | instid1(VALU_DEP_1)
	v_cmp_le_i32_e64 s0, v2, v4
	s_and_b32 s1, vcc_lo, s0
	s_delay_alu instid0(SALU_CYCLE_1)
	s_and_saveexec_b32 s0, s1
	s_cbranch_execz .LBB1150_13
; %bb.12:
	v_ashrrev_i32_e32 v3, 31, v2
	s_delay_alu instid0(VALU_DEP_1) | instskip(NEXT) | instid1(VALU_DEP_1)
	v_lshlrev_b64 v[7:8], 3, v[2:3]
	v_add_co_u32 v5, vcc_lo, v5, v7
	s_delay_alu instid0(VALU_DEP_2)
	v_add_co_ci_u32_e32 v6, vcc_lo, v6, v8, vcc_lo
	global_load_b64 v[7:8], v[5:6], off
	v_mul_f32_e32 v1, s19, v21
	s_waitcnt vmcnt(0)
	v_mul_f32_e32 v9, s5, v8
	v_dual_mul_f32 v8, s4, v8 :: v_dual_mul_f32 v3, s18, v21
	s_delay_alu instid0(VALU_DEP_3) | instskip(NEXT) | instid1(VALU_DEP_3)
	v_fma_f32 v1, v20, s18, -v1
	v_fma_f32 v9, v7, s4, -v9
	s_delay_alu instid0(VALU_DEP_3) | instskip(NEXT) | instid1(VALU_DEP_1)
	v_dual_fmac_f32 v8, s5, v7 :: v_dual_fmac_f32 v3, s19, v20
	v_dual_add_f32 v7, v1, v9 :: v_dual_add_f32 v8, v3, v8
	global_store_b64 v[5:6], v[7:8], off
.LBB1150_13:
	s_or_b32 exec_lo, exec_lo, s0
	v_add_nc_u32_e32 v3, 16, v4
	s_delay_alu instid0(VALU_DEP_1) | instskip(SKIP_3) | instid1(VALU_DEP_4)
	v_ashrrev_i32_e32 v1, 31, v3
	v_mul_lo_u32 v6, v3, s9
	v_mad_u64_u32 v[4:5], null, v3, s8, 0
	v_cmp_gt_i32_e32 vcc_lo, s12, v3
	v_mul_lo_u32 v1, v1, s8
	v_cmp_le_i32_e64 s0, v0, v3
	s_delay_alu instid0(VALU_DEP_1) | instskip(NEXT) | instid1(VALU_DEP_2)
	s_and_b32 s0, vcc_lo, s0
	v_add3_u32 v5, v5, v6, v1
	s_delay_alu instid0(VALU_DEP_1) | instskip(NEXT) | instid1(VALU_DEP_1)
	v_lshlrev_b64 v[4:5], 3, v[4:5]
	v_add_co_u32 v4, s1, s2, v4
	s_delay_alu instid0(VALU_DEP_1)
	v_add_co_ci_u32_e64 v5, s1, s3, v5, s1
	s_and_saveexec_b32 s1, s0
	s_cbranch_execz .LBB1150_15
; %bb.14:
	v_ashrrev_i32_e32 v1, 31, v0
	s_delay_alu instid0(VALU_DEP_1) | instskip(NEXT) | instid1(VALU_DEP_1)
	v_lshlrev_b64 v[0:1], 3, v[0:1]
	v_add_co_u32 v0, s0, v4, v0
	s_delay_alu instid0(VALU_DEP_1) | instskip(SKIP_4) | instid1(VALU_DEP_1)
	v_add_co_ci_u32_e64 v1, s0, v5, v1, s0
	global_load_b64 v[6:7], v[0:1], off
	s_waitcnt vmcnt(0)
	v_mul_f32_e32 v10, s5, v7
	v_mul_f32_e32 v7, s4, v7
	v_fmac_f32_e32 v7, s5, v6
	s_delay_alu instid0(VALU_DEP_3) | instskip(SKIP_1) | instid1(VALU_DEP_1)
	v_fma_f32 v10, v6, s4, -v10
	v_mul_f32_e32 v9, s18, v19
	v_dual_mul_f32 v8, s19, v19 :: v_dual_fmac_f32 v9, s19, v18
	s_delay_alu instid0(VALU_DEP_1) | instskip(NEXT) | instid1(VALU_DEP_1)
	v_fma_f32 v8, v18, s18, -v8
	v_dual_add_f32 v7, v9, v7 :: v_dual_add_f32 v6, v8, v10
	global_store_b64 v[0:1], v[6:7], off
.LBB1150_15:
	s_or_b32 exec_lo, exec_lo, s1
	v_cmp_le_i32_e64 s0, v2, v3
	s_delay_alu instid0(VALU_DEP_1) | instskip(NEXT) | instid1(SALU_CYCLE_1)
	s_and_b32 s0, vcc_lo, s0
	s_and_saveexec_b32 s1, s0
	s_cbranch_execz .LBB1150_17
; %bb.16:
	v_ashrrev_i32_e32 v3, 31, v2
	s_delay_alu instid0(VALU_DEP_1) | instskip(NEXT) | instid1(VALU_DEP_1)
	v_lshlrev_b64 v[0:1], 3, v[2:3]
	v_add_co_u32 v0, vcc_lo, v4, v0
	s_delay_alu instid0(VALU_DEP_2)
	v_add_co_ci_u32_e32 v1, vcc_lo, v5, v1, vcc_lo
	global_load_b64 v[2:3], v[0:1], off
	v_mul_f32_e32 v4, s19, v17
	s_waitcnt vmcnt(0)
	v_dual_mul_f32 v5, s18, v17 :: v_dual_mul_f32 v6, s5, v3
	v_mul_f32_e32 v3, s4, v3
	s_delay_alu instid0(VALU_DEP_3) | instskip(NEXT) | instid1(VALU_DEP_3)
	v_fma_f32 v4, v16, s18, -v4
	v_fma_f32 v6, v2, s4, -v6
	s_delay_alu instid0(VALU_DEP_4) | instskip(NEXT) | instid1(VALU_DEP_4)
	v_fmac_f32_e32 v5, s19, v16
	v_fmac_f32_e32 v3, s5, v2
	s_delay_alu instid0(VALU_DEP_1)
	v_dual_add_f32 v2, v4, v6 :: v_dual_add_f32 v3, v5, v3
	global_store_b64 v[0:1], v[2:3], off
.LBB1150_17:
	s_nop 0
	s_sendmsg sendmsg(MSG_DEALLOC_VGPRS)
	s_endpgm
	.section	.rodata,"a",@progbits
	.p2align	6, 0x0
	.amdhsa_kernel _ZL34rocblas_syrkx_herkx_general_kernelIl19rocblas_complex_numIfELi16ELi32ELi8ELb0ELb0ELc67ELc85EKS1_S1_EviT_T0_PT8_S3_lS6_S3_lS4_PT9_S3_li
		.amdhsa_group_segment_fixed_size 4096
		.amdhsa_private_segment_fixed_size 0
		.amdhsa_kernarg_size 108
		.amdhsa_user_sgpr_count 13
		.amdhsa_user_sgpr_dispatch_ptr 0
		.amdhsa_user_sgpr_queue_ptr 0
		.amdhsa_user_sgpr_kernarg_segment_ptr 1
		.amdhsa_user_sgpr_dispatch_id 0
		.amdhsa_user_sgpr_private_segment_size 0
		.amdhsa_wavefront_size32 1
		.amdhsa_uses_dynamic_stack 0
		.amdhsa_enable_private_segment 0
		.amdhsa_system_sgpr_workgroup_id_x 1
		.amdhsa_system_sgpr_workgroup_id_y 1
		.amdhsa_system_sgpr_workgroup_id_z 1
		.amdhsa_system_sgpr_workgroup_info 0
		.amdhsa_system_vgpr_workitem_id 1
		.amdhsa_next_free_vgpr 59
		.amdhsa_next_free_sgpr 32
		.amdhsa_reserve_vcc 1
		.amdhsa_float_round_mode_32 0
		.amdhsa_float_round_mode_16_64 0
		.amdhsa_float_denorm_mode_32 3
		.amdhsa_float_denorm_mode_16_64 3
		.amdhsa_dx10_clamp 1
		.amdhsa_ieee_mode 1
		.amdhsa_fp16_overflow 0
		.amdhsa_workgroup_processor_mode 1
		.amdhsa_memory_ordered 1
		.amdhsa_forward_progress 0
		.amdhsa_shared_vgpr_count 0
		.amdhsa_exception_fp_ieee_invalid_op 0
		.amdhsa_exception_fp_denorm_src 0
		.amdhsa_exception_fp_ieee_div_zero 0
		.amdhsa_exception_fp_ieee_overflow 0
		.amdhsa_exception_fp_ieee_underflow 0
		.amdhsa_exception_fp_ieee_inexact 0
		.amdhsa_exception_int_div_zero 0
	.end_amdhsa_kernel
	.section	.text._ZL34rocblas_syrkx_herkx_general_kernelIl19rocblas_complex_numIfELi16ELi32ELi8ELb0ELb0ELc67ELc85EKS1_S1_EviT_T0_PT8_S3_lS6_S3_lS4_PT9_S3_li,"axG",@progbits,_ZL34rocblas_syrkx_herkx_general_kernelIl19rocblas_complex_numIfELi16ELi32ELi8ELb0ELb0ELc67ELc85EKS1_S1_EviT_T0_PT8_S3_lS6_S3_lS4_PT9_S3_li,comdat
.Lfunc_end1150:
	.size	_ZL34rocblas_syrkx_herkx_general_kernelIl19rocblas_complex_numIfELi16ELi32ELi8ELb0ELb0ELc67ELc85EKS1_S1_EviT_T0_PT8_S3_lS6_S3_lS4_PT9_S3_li, .Lfunc_end1150-_ZL34rocblas_syrkx_herkx_general_kernelIl19rocblas_complex_numIfELi16ELi32ELi8ELb0ELb0ELc67ELc85EKS1_S1_EviT_T0_PT8_S3_lS6_S3_lS4_PT9_S3_li
                                        ; -- End function
	.section	.AMDGPU.csdata,"",@progbits
; Kernel info:
; codeLenInByte = 2716
; NumSgprs: 34
; NumVgprs: 59
; ScratchSize: 0
; MemoryBound: 1
; FloatMode: 240
; IeeeMode: 1
; LDSByteSize: 4096 bytes/workgroup (compile time only)
; SGPRBlocks: 4
; VGPRBlocks: 7
; NumSGPRsForWavesPerEU: 34
; NumVGPRsForWavesPerEU: 59
; Occupancy: 16
; WaveLimiterHint : 0
; COMPUTE_PGM_RSRC2:SCRATCH_EN: 0
; COMPUTE_PGM_RSRC2:USER_SGPR: 13
; COMPUTE_PGM_RSRC2:TRAP_HANDLER: 0
; COMPUTE_PGM_RSRC2:TGID_X_EN: 1
; COMPUTE_PGM_RSRC2:TGID_Y_EN: 1
; COMPUTE_PGM_RSRC2:TGID_Z_EN: 1
; COMPUTE_PGM_RSRC2:TIDIG_COMP_CNT: 1
	.section	.text._ZL34rocblas_syrkx_herkx_general_kernelIl19rocblas_complex_numIfELi16ELi32ELi8ELb0ELb0ELc78ELc85EKS1_S1_EviT_T0_PT8_S3_lS6_S3_lS4_PT9_S3_li,"axG",@progbits,_ZL34rocblas_syrkx_herkx_general_kernelIl19rocblas_complex_numIfELi16ELi32ELi8ELb0ELb0ELc78ELc85EKS1_S1_EviT_T0_PT8_S3_lS6_S3_lS4_PT9_S3_li,comdat
	.globl	_ZL34rocblas_syrkx_herkx_general_kernelIl19rocblas_complex_numIfELi16ELi32ELi8ELb0ELb0ELc78ELc85EKS1_S1_EviT_T0_PT8_S3_lS6_S3_lS4_PT9_S3_li ; -- Begin function _ZL34rocblas_syrkx_herkx_general_kernelIl19rocblas_complex_numIfELi16ELi32ELi8ELb0ELb0ELc78ELc85EKS1_S1_EviT_T0_PT8_S3_lS6_S3_lS4_PT9_S3_li
	.p2align	8
	.type	_ZL34rocblas_syrkx_herkx_general_kernelIl19rocblas_complex_numIfELi16ELi32ELi8ELb0ELb0ELc78ELc85EKS1_S1_EviT_T0_PT8_S3_lS6_S3_lS4_PT9_S3_li,@function
_ZL34rocblas_syrkx_herkx_general_kernelIl19rocblas_complex_numIfELi16ELi32ELi8ELb0ELb0ELc78ELc85EKS1_S1_EviT_T0_PT8_S3_lS6_S3_lS4_PT9_S3_li: ; @_ZL34rocblas_syrkx_herkx_general_kernelIl19rocblas_complex_numIfELi16ELi32ELi8ELb0ELb0ELc78ELc85EKS1_S1_EviT_T0_PT8_S3_lS6_S3_lS4_PT9_S3_li
; %bb.0:
	s_clause 0x1
	s_load_b512 s[16:31], s[0:1], 0x8
	s_load_b32 s12, s[0:1], 0x0
	v_dual_mov_b32 v22, 0 :: v_dual_mov_b32 v23, 0
	v_dual_mov_b32 v20, 0 :: v_dual_mov_b32 v21, 0
	;; [unrolled: 1-line block ×4, first 2 shown]
	v_and_b32_e32 v8, 0x3ff, v0
	v_bfe_u32 v9, v0, 10, 10
	s_lshl_b32 s13, s13, 5
	s_lshl_b32 s14, s14, 5
	s_waitcnt lgkmcnt(0)
	v_cmp_lt_i64_e64 s2, s[16:17], 1
	s_delay_alu instid0(VALU_DEP_1)
	s_and_b32 vcc_lo, exec_lo, s2
	s_cbranch_vccnz .LBB1151_9
; %bb.1:
	v_lshl_add_u32 v5, v9, 4, v8
	v_and_b32_e32 v10, 7, v8
	s_mul_i32 s3, s25, s15
	s_mul_hi_u32 s4, s24, s15
	s_mul_i32 s2, s24, s15
	v_lshrrev_b32_e32 v11, 5, v5
	v_mad_u64_u32 v[3:4], null, s28, v10, 0
	v_lshrrev_b32_e32 v7, 3, v5
	v_dual_mov_b32 v21, 0 :: v_dual_and_b32 v14, 31, v5
	s_delay_alu instid0(VALU_DEP_4) | instskip(SKIP_1) | instid1(VALU_DEP_2)
	v_mad_u64_u32 v[1:2], null, s22, v11, 0
	s_add_i32 s3, s4, s3
	v_or_b32_e32 v15, s13, v14
	v_dual_mov_b32 v0, 0 :: v_dual_lshlrev_b32 v17, 3, v14
	s_lshl_b64 s[4:5], s[2:3], 3
	v_mov_b32_e32 v23, 0
	s_delay_alu instid0(VALU_DEP_4)
	v_mad_u64_u32 v[5:6], null, s23, v11, v[2:3]
	v_lshlrev_b32_e32 v2, 3, v10
	v_add_nc_u32_e32 v6, s14, v7
	v_cmp_gt_i32_e32 vcc_lo, s12, v15
	v_add_nc_u32_e32 v16, s13, v14
	s_mul_i32 s6, s31, s15
	v_lshl_or_b32 v7, v7, 6, v2
	v_mov_b32_e32 v2, v5
	v_mad_u64_u32 v[18:19], null, s29, v10, v[4:5]
	v_lshl_or_b32 v14, v11, 8, v17
	s_delay_alu instid0(VALU_DEP_4) | instskip(NEXT) | instid1(VALU_DEP_4)
	v_add_nc_u32_e32 v15, 0x800, v7
	v_lshlrev_b64 v[1:2], 3, v[1:2]
	v_ashrrev_i32_e32 v17, 31, v16
	v_ashrrev_i32_e32 v7, 31, v6
	v_dual_mov_b32 v19, 0 :: v_dual_lshlrev_b32 v12, 3, v8
	v_mov_b32_e32 v4, v18
	v_add_co_u32 v5, s3, v1, s4
	s_delay_alu instid0(VALU_DEP_1) | instskip(SKIP_1) | instid1(VALU_DEP_3)
	v_add_co_ci_u32_e64 v18, s3, s5, v2, s3
	s_mul_hi_u32 s3, s30, s15
	v_lshlrev_b64 v[1:2], 3, v[3:4]
	s_add_i32 s5, s3, s6
	s_mul_i32 s4, s30, s15
	v_lshlrev_b64 v[3:4], 3, v[16:17]
	s_lshl_b64 s[4:5], s[4:5], 3
	v_lshl_add_u32 v13, v9, 6, 0x800
	v_add_co_u32 v16, s3, s4, v1
	s_delay_alu instid0(VALU_DEP_1) | instskip(SKIP_2) | instid1(VALU_DEP_1)
	v_add_co_ci_u32_e64 v17, s3, s5, v2, s3
	v_lshlrev_b64 v[1:2], 3, v[6:7]
	v_add_co_u32 v3, s3, v5, v3
	v_add_co_ci_u32_e64 v4, s3, v18, v4, s3
	v_cmp_gt_i32_e64 s2, s12, v6
	s_delay_alu instid0(VALU_DEP_4) | instskip(NEXT) | instid1(VALU_DEP_1)
	v_add_co_u32 v1, s3, v16, v1
	v_add_co_ci_u32_e64 v5, s3, v17, v2, s3
	v_add_co_u32 v2, s3, s20, v3
	s_delay_alu instid0(VALU_DEP_1) | instskip(NEXT) | instid1(VALU_DEP_4)
	v_add_co_ci_u32_e64 v3, s3, s21, v4, s3
	v_add_co_u32 v1, s3, v1, s26
	s_delay_alu instid0(VALU_DEP_1) | instskip(SKIP_1) | instid1(VALU_DEP_3)
	v_add_co_ci_u32_e64 v5, s3, s27, v5, s3
	v_mov_b32_e32 v17, 0
	v_add_co_u32 v4, s3, v1, 4
	s_delay_alu instid0(VALU_DEP_1)
	v_add_co_ci_u32_e64 v5, s3, 0, v5, s3
	v_mov_b32_e32 v16, 0
	v_mov_b32_e32 v18, 0
	v_mov_b32_e32 v20, 0
	v_mov_b32_e32 v22, 0
	s_lshl_b64 s[4:5], s[22:23], 6
	s_lshl_b64 s[6:7], s[28:29], 6
	s_mov_b64 s[8:9], 0
	s_xor_b32 s3, vcc_lo, -1
	s_branch .LBB1151_3
.LBB1151_2:                             ;   in Loop: Header=BB1151_3 Depth=1
	s_or_b32 exec_lo, exec_lo, s10
	s_waitcnt vmcnt(0)
	ds_store_b64 v15, v[6:7]
	s_waitcnt lgkmcnt(0)
	s_barrier
	buffer_gl0_inv
	ds_load_2addr_b64 v[24:27], v12 offset1:16
	ds_load_b128 v[28:31], v13
	ds_load_b128 v[32:35], v13 offset:1024
	ds_load_b128 v[36:39], v13 offset:16
	;; [unrolled: 1-line block ×4, first 2 shown]
	ds_load_2addr_b64 v[48:51], v12 offset0:32 offset1:48
	ds_load_b128 v[52:55], v13 offset:1040
	s_add_u32 s8, s8, 8
	s_addc_u32 s9, s9, 0
	v_add_co_u32 v2, vcc_lo, v2, s4
	v_cmp_ge_i64_e64 s10, s[8:9], s[16:17]
	v_add_co_ci_u32_e32 v3, vcc_lo, s5, v3, vcc_lo
	v_add_co_u32 v4, vcc_lo, v4, s6
	v_add_co_ci_u32_e32 v5, vcc_lo, s7, v5, vcc_lo
	s_delay_alu instid0(VALU_DEP_4)
	s_and_b32 vcc_lo, exec_lo, s10
	s_waitcnt lgkmcnt(6)
	v_dual_mul_f32 v1, v29, v25 :: v_dual_mul_f32 v56, v28, v27
	v_dual_mul_f32 v6, v28, v25 :: v_dual_mul_f32 v7, v29, v27
	s_waitcnt lgkmcnt(5)
	v_mul_f32_e32 v58, v33, v27
	s_delay_alu instid0(VALU_DEP_3) | instskip(SKIP_3) | instid1(VALU_DEP_4)
	v_fma_f32 v1, v28, v24, -v1
	v_dual_mul_f32 v27, v32, v27 :: v_dual_fmac_f32 v56, v29, v26
	v_fmac_f32_e32 v6, v29, v24
	v_fma_f32 v7, v28, v26, -v7
	v_add_f32_e32 v1, v22, v1
	v_mul_f32_e32 v57, v33, v25
	s_delay_alu instid0(VALU_DEP_4) | instskip(NEXT) | instid1(VALU_DEP_4)
	v_dual_mul_f32 v25, v32, v25 :: v_dual_add_f32 v6, v23, v6
	v_dual_add_f32 v7, v20, v7 :: v_dual_add_f32 v22, v21, v56
	s_delay_alu instid0(VALU_DEP_3) | instskip(NEXT) | instid1(VALU_DEP_3)
	v_fma_f32 v28, v32, v24, -v57
	v_fmac_f32_e32 v25, v33, v24
	v_fma_f32 v24, v32, v26, -v58
	v_fmac_f32_e32 v27, v33, v26
	s_waitcnt lgkmcnt(1)
	v_dual_add_f32 v23, v18, v28 :: v_dual_mul_f32 v28, v31, v49
	s_delay_alu instid0(VALU_DEP_3)
	v_dual_add_f32 v25, v19, v25 :: v_dual_add_f32 v16, v16, v24
	v_mul_f32_e32 v24, v30, v49
	ds_load_2addr_b64 v[18:21], v12 offset0:64 offset1:80
	v_fma_f32 v26, v30, v48, -v28
	v_mul_f32_e32 v28, v31, v51
	v_dual_add_f32 v17, v17, v27 :: v_dual_fmac_f32 v24, v31, v48
	v_mul_f32_e32 v27, v30, v51
	s_delay_alu instid0(VALU_DEP_4) | instskip(NEXT) | instid1(VALU_DEP_4)
	v_add_f32_e32 v1, v1, v26
	v_fma_f32 v26, v30, v50, -v28
	v_mul_f32_e32 v28, v35, v49
	s_delay_alu instid0(VALU_DEP_4) | instskip(SKIP_1) | instid1(VALU_DEP_1)
	v_dual_add_f32 v6, v6, v24 :: v_dual_fmac_f32 v27, v31, v50
	v_mul_f32_e32 v24, v34, v49
	v_dual_add_f32 v27, v22, v27 :: v_dual_fmac_f32 v24, v35, v48
	v_add_f32_e32 v7, v7, v26
	v_fma_f32 v26, v34, v48, -v28
	v_mul_f32_e32 v29, v34, v51
	s_waitcnt lgkmcnt(0)
	v_mul_f32_e32 v30, v36, v19
	v_mul_f32_e32 v32, v37, v21
	v_add_f32_e32 v26, v23, v26
	v_fmac_f32_e32 v29, v35, v50
	v_mul_f32_e32 v28, v35, v51
	v_fmac_f32_e32 v30, v37, v18
	s_delay_alu instid0(VALU_DEP_3) | instskip(SKIP_1) | instid1(VALU_DEP_4)
	v_add_f32_e32 v29, v17, v29
	v_mul_f32_e32 v17, v36, v21
	v_fma_f32 v22, v34, v50, -v28
	v_mul_f32_e32 v23, v37, v19
	v_add_f32_e32 v28, v25, v24
	v_add_f32_e32 v6, v6, v30
	v_mul_f32_e32 v30, v53, v19
	v_add_f32_e32 v16, v16, v22
	v_fma_f32 v31, v36, v18, -v23
	ds_load_2addr_b64 v[22:25], v12 offset0:96 offset1:112
	v_mul_f32_e32 v19, v52, v19
	v_add_f32_e32 v1, v1, v31
	v_fma_f32 v31, v36, v20, -v32
	s_delay_alu instid0(VALU_DEP_1) | instskip(SKIP_4) | instid1(VALU_DEP_2)
	v_add_f32_e32 v7, v7, v31
	v_mul_f32_e32 v31, v53, v21
	v_mul_f32_e32 v21, v52, v21
	v_fma_f32 v30, v52, v18, -v30
	v_fmac_f32_e32 v17, v37, v20
	v_dual_fmac_f32 v21, v53, v20 :: v_dual_add_f32 v30, v26, v30
	s_delay_alu instid0(VALU_DEP_2)
	v_dual_fmac_f32 v19, v53, v18 :: v_dual_add_f32 v32, v27, v17
	v_fma_f32 v17, v52, v20, -v31
	s_waitcnt lgkmcnt(0)
	v_mul_f32_e32 v26, v38, v23
	v_mul_f32_e32 v20, v39, v23
	v_dual_add_f32 v31, v28, v19 :: v_dual_add_f32 v34, v29, v21
	v_add_f32_e32 v33, v16, v17
	ds_load_2addr_b64 v[16:19], v12 offset0:128 offset1:144
	v_fmac_f32_e32 v26, v39, v22
	v_mul_f32_e32 v27, v39, v25
	v_mul_f32_e32 v21, v38, v25
	;; [unrolled: 1-line block ×4, first 2 shown]
	v_fma_f32 v20, v38, v22, -v20
	v_add_f32_e32 v6, v6, v26
	v_fma_f32 v27, v38, v24, -v27
	s_waitcnt lgkmcnt(0)
	v_dual_fmac_f32 v25, v55, v24 :: v_dual_mul_f32 v38, v40, v17
	s_delay_alu instid0(VALU_DEP_1) | instskip(NEXT) | instid1(VALU_DEP_2)
	v_dual_add_f32 v25, v34, v25 :: v_dual_mul_f32 v34, v40, v19
	v_fmac_f32_e32 v38, v41, v16
	v_fmac_f32_e32 v21, v39, v24
	v_dual_add_f32 v1, v1, v20 :: v_dual_mul_f32 v20, v55, v23
	s_delay_alu instid0(VALU_DEP_4) | instskip(NEXT) | instid1(VALU_DEP_4)
	v_fmac_f32_e32 v34, v41, v18
	v_add_f32_e32 v6, v6, v38
	s_delay_alu instid0(VALU_DEP_4)
	v_add_f32_e32 v36, v32, v21
	v_fma_f32 v21, v54, v24, -v35
	v_add_f32_e32 v7, v7, v27
	ds_load_b128 v[26:29], v13 offset:1056
	v_mul_f32_e32 v23, v54, v23
	v_fma_f32 v20, v54, v22, -v20
	v_add_f32_e32 v24, v33, v21
	v_add_f32_e32 v34, v36, v34
	s_delay_alu instid0(VALU_DEP_4) | instskip(NEXT) | instid1(VALU_DEP_4)
	v_fmac_f32_e32 v23, v55, v22
	v_dual_add_f32 v35, v30, v20 :: v_dual_mul_f32 v20, v41, v17
	s_delay_alu instid0(VALU_DEP_2) | instskip(SKIP_1) | instid1(VALU_DEP_3)
	v_add_f32_e32 v37, v31, v23
	v_mul_f32_e32 v31, v41, v19
	v_fma_f32 v30, v40, v16, -v20
	ds_load_2addr_b64 v[20:23], v12 offset0:160 offset1:176
	v_fma_f32 v39, v40, v18, -v31
	v_add_f32_e32 v1, v1, v30
	ds_load_b128 v[30:33], v13 offset:1072
	s_waitcnt lgkmcnt(2)
	v_mul_f32_e32 v36, v26, v19
	v_mul_f32_e32 v40, v27, v17
	s_delay_alu instid0(VALU_DEP_2) | instskip(NEXT) | instid1(VALU_DEP_2)
	v_dual_fmac_f32 v36, v27, v18 :: v_dual_mul_f32 v17, v26, v17
	v_fma_f32 v38, v26, v16, -v40
	s_delay_alu instid0(VALU_DEP_2)
	v_fmac_f32_e32 v17, v27, v16
	v_add_f32_e32 v7, v7, v39
	v_mul_f32_e32 v39, v27, v19
	s_waitcnt lgkmcnt(1)
	v_mul_f32_e32 v27, v42, v21
	v_mul_f32_e32 v19, v43, v21
	s_delay_alu instid0(VALU_DEP_3) | instskip(NEXT) | instid1(VALU_DEP_1)
	v_fma_f32 v16, v26, v18, -v39
	v_add_f32_e32 v24, v24, v16
	s_delay_alu instid0(VALU_DEP_4) | instskip(SKIP_1) | instid1(VALU_DEP_2)
	v_fmac_f32_e32 v27, v43, v20
	v_add_f32_e32 v36, v25, v36
	v_add_f32_e32 v6, v6, v27
	;; [unrolled: 1-line block ×3, first 2 shown]
	v_fma_f32 v37, v42, v20, -v19
	ds_load_2addr_b64 v[16:19], v12 offset0:192 offset1:208
	v_mul_f32_e32 v25, v42, v23
	v_add_f32_e32 v35, v35, v38
	v_dual_mul_f32 v38, v43, v23 :: v_dual_mul_f32 v27, v29, v21
	v_mul_f32_e32 v21, v28, v21
	s_delay_alu instid0(VALU_DEP_4) | instskip(NEXT) | instid1(VALU_DEP_3)
	v_fmac_f32_e32 v25, v43, v22
	v_fma_f32 v27, v28, v20, -v27
	s_delay_alu instid0(VALU_DEP_2) | instskip(NEXT) | instid1(VALU_DEP_1)
	v_dual_fmac_f32 v21, v29, v20 :: v_dual_add_f32 v20, v34, v25
	v_add_f32_e32 v21, v26, v21
	s_waitcnt lgkmcnt(0)
	v_mul_f32_e32 v34, v45, v17
	v_add_f32_e32 v1, v1, v37
	v_fma_f32 v37, v42, v22, -v38
	s_delay_alu instid0(VALU_DEP_3) | instskip(NEXT) | instid1(VALU_DEP_2)
	v_fma_f32 v34, v44, v16, -v34
	v_add_f32_e32 v7, v7, v37
	v_mul_f32_e32 v37, v29, v23
	v_mul_f32_e32 v23, v28, v23
	s_delay_alu instid0(VALU_DEP_2) | instskip(SKIP_3) | instid1(VALU_DEP_2)
	v_fma_f32 v25, v28, v22, -v37
	v_add_f32_e32 v28, v35, v27
	v_mul_f32_e32 v35, v45, v19
	v_dual_add_f32 v1, v1, v34 :: v_dual_mul_f32 v34, v31, v17
	v_fma_f32 v35, v44, v18, -v35
	s_delay_alu instid0(VALU_DEP_1)
	v_add_f32_e32 v7, v7, v35
	v_dual_fmac_f32 v23, v29, v22 :: v_dual_add_f32 v22, v24, v25
	ds_load_2addr_b64 v[24:27], v12 offset0:224 offset1:240
	s_waitcnt lgkmcnt(0)
	s_barrier
	v_add_f32_e32 v23, v36, v23
	v_mul_f32_e32 v29, v44, v17
	v_dual_mul_f32 v36, v44, v19 :: v_dual_mul_f32 v17, v30, v17
	buffer_gl0_inv
	v_fmac_f32_e32 v29, v45, v16
	v_dual_fmac_f32 v36, v45, v18 :: v_dual_fmac_f32 v17, v31, v16
	s_delay_alu instid0(VALU_DEP_2) | instskip(SKIP_1) | instid1(VALU_DEP_3)
	v_add_f32_e32 v6, v6, v29
	v_fma_f32 v29, v30, v16, -v34
	v_dual_mul_f32 v34, v31, v19 :: v_dual_add_f32 v35, v20, v36
	s_delay_alu instid0(VALU_DEP_2) | instskip(NEXT) | instid1(VALU_DEP_2)
	v_dual_mul_f32 v19, v30, v19 :: v_dual_add_f32 v16, v28, v29
	v_fma_f32 v20, v30, v18, -v34
	v_mul_f32_e32 v28, v47, v25
	v_mul_f32_e32 v29, v46, v25
	s_delay_alu instid0(VALU_DEP_3) | instskip(NEXT) | instid1(VALU_DEP_3)
	v_dual_fmac_f32 v19, v31, v18 :: v_dual_add_f32 v30, v22, v20
	v_fma_f32 v18, v46, v24, -v28
	s_delay_alu instid0(VALU_DEP_3)
	v_fmac_f32_e32 v29, v47, v24
	v_dual_mul_f32 v20, v47, v27 :: v_dual_add_f32 v17, v21, v17
	v_mul_f32_e32 v21, v46, v27
	v_add_f32_e32 v28, v23, v19
	v_add_f32_e32 v22, v1, v18
	v_dual_mul_f32 v18, v33, v27 :: v_dual_add_f32 v23, v6, v29
	v_fma_f32 v1, v46, v26, -v20
	v_mul_f32_e32 v6, v33, v25
	v_mul_f32_e32 v19, v32, v25
	;; [unrolled: 1-line block ×3, first 2 shown]
	v_fmac_f32_e32 v21, v47, v26
	v_add_f32_e32 v20, v7, v1
	v_fma_f32 v1, v32, v24, -v6
	v_fmac_f32_e32 v19, v33, v24
	v_fma_f32 v6, v32, v26, -v18
	v_fmac_f32_e32 v25, v33, v26
	v_add_f32_e32 v21, v35, v21
	s_delay_alu instid0(VALU_DEP_4) | instskip(NEXT) | instid1(VALU_DEP_3)
	v_dual_add_f32 v18, v16, v1 :: v_dual_add_f32 v19, v17, v19
	v_dual_add_f32 v16, v30, v6 :: v_dual_add_f32 v17, v28, v25
	s_cbranch_vccnz .LBB1151_9
.LBB1151_3:                             ; =>This Inner Loop Header: Depth=1
	v_add_co_u32 v6, s10, v11, s8
	s_delay_alu instid0(VALU_DEP_1) | instskip(NEXT) | instid1(VALU_DEP_1)
	v_add_co_ci_u32_e64 v7, null, 0, s9, s10
	v_cmp_le_i64_e32 vcc_lo, s[16:17], v[6:7]
	s_or_b32 s10, s3, vcc_lo
	s_delay_alu instid0(SALU_CYCLE_1) | instskip(NEXT) | instid1(SALU_CYCLE_1)
	s_and_saveexec_b32 s11, s10
	s_xor_b32 s10, exec_lo, s11
	s_cbranch_execz .LBB1151_5
; %bb.4:                                ;   in Loop: Header=BB1151_3 Depth=1
	v_mov_b32_e32 v1, v0
	ds_store_b64 v14, v[0:1]
.LBB1151_5:                             ;   in Loop: Header=BB1151_3 Depth=1
	s_and_not1_saveexec_b32 s10, s10
	s_cbranch_execz .LBB1151_7
; %bb.6:                                ;   in Loop: Header=BB1151_3 Depth=1
	global_load_b64 v[6:7], v[2:3], off
	s_waitcnt vmcnt(0)
	ds_store_b64 v14, v[6:7]
.LBB1151_7:                             ;   in Loop: Header=BB1151_3 Depth=1
	s_or_b32 exec_lo, exec_lo, s10
	v_add_co_u32 v6, s10, v10, s8
	s_delay_alu instid0(VALU_DEP_1) | instskip(NEXT) | instid1(VALU_DEP_1)
	v_add_co_ci_u32_e64 v7, null, 0, s9, s10
	v_cmp_gt_i64_e32 vcc_lo, s[16:17], v[6:7]
	v_dual_mov_b32 v6, 0 :: v_dual_mov_b32 v7, 0
	s_and_b32 s11, vcc_lo, s2
	s_delay_alu instid0(SALU_CYCLE_1)
	s_and_saveexec_b32 s10, s11
	s_cbranch_execz .LBB1151_2
; %bb.8:                                ;   in Loop: Header=BB1151_3 Depth=1
	global_load_b64 v[6:7], v[4:5], off offset:-4
	s_branch .LBB1151_2
.LBB1151_9:
	s_load_b256 s[4:11], s[0:1], 0x48
	v_add_nc_u32_e32 v4, s14, v9
	s_delay_alu instid0(VALU_DEP_1)
	v_ashrrev_i32_e32 v0, 31, v4
	v_cmp_gt_i32_e32 vcc_lo, s12, v4
	s_waitcnt lgkmcnt(0)
	v_mul_lo_u32 v3, v4, s9
	v_mad_u64_u32 v[1:2], null, v4, s8, 0
	v_mul_lo_u32 v0, v0, s8
	s_mul_i32 s1, s15, s11
	s_mul_hi_u32 s2, s15, s10
	s_mul_i32 s0, s15, s10
	s_add_i32 s1, s2, s1
	s_delay_alu instid0(SALU_CYCLE_1) | instskip(NEXT) | instid1(VALU_DEP_1)
	s_lshl_b64 s[2:3], s[0:1], 3
	v_add3_u32 v2, v2, v3, v0
	v_add_nc_u32_e32 v0, s13, v8
	s_add_u32 s2, s6, s2
	s_addc_u32 s3, s7, s3
	s_delay_alu instid0(VALU_DEP_2) | instskip(NEXT) | instid1(VALU_DEP_2)
	v_lshlrev_b64 v[1:2], 3, v[1:2]
	v_cmp_le_i32_e64 s0, v0, v4
	s_delay_alu instid0(VALU_DEP_1) | instskip(NEXT) | instid1(VALU_DEP_2)
	s_and_b32 s0, vcc_lo, s0
	v_add_co_u32 v5, s1, s2, v1
	s_delay_alu instid0(VALU_DEP_1)
	v_add_co_ci_u32_e64 v6, s1, s3, v2, s1
	s_and_saveexec_b32 s1, s0
	s_cbranch_execz .LBB1151_11
; %bb.10:
	v_ashrrev_i32_e32 v1, 31, v0
	s_delay_alu instid0(VALU_DEP_1) | instskip(NEXT) | instid1(VALU_DEP_1)
	v_lshlrev_b64 v[1:2], 3, v[0:1]
	v_add_co_u32 v1, s0, v5, v1
	s_delay_alu instid0(VALU_DEP_1)
	v_add_co_ci_u32_e64 v2, s0, v6, v2, s0
	global_load_b64 v[7:8], v[1:2], off
	v_mul_f32_e32 v3, s19, v23
	s_waitcnt vmcnt(0)
	v_dual_mul_f32 v9, s18, v23 :: v_dual_mul_f32 v10, s5, v8
	v_mul_f32_e32 v8, s4, v8
	s_delay_alu instid0(VALU_DEP_3) | instskip(NEXT) | instid1(VALU_DEP_3)
	v_fma_f32 v3, v22, s18, -v3
	v_fmac_f32_e32 v9, s19, v22
	s_delay_alu instid0(VALU_DEP_4) | instskip(NEXT) | instid1(VALU_DEP_1)
	v_fma_f32 v10, v7, s4, -v10
	v_dual_fmac_f32 v8, s5, v7 :: v_dual_add_f32 v7, v3, v10
	s_delay_alu instid0(VALU_DEP_1)
	v_add_f32_e32 v8, v9, v8
	global_store_b64 v[1:2], v[7:8], off
.LBB1151_11:
	s_or_b32 exec_lo, exec_lo, s1
	v_add_nc_u32_e32 v2, 16, v0
	s_delay_alu instid0(VALU_DEP_1) | instskip(NEXT) | instid1(VALU_DEP_1)
	v_cmp_le_i32_e64 s0, v2, v4
	s_and_b32 s1, vcc_lo, s0
	s_delay_alu instid0(SALU_CYCLE_1)
	s_and_saveexec_b32 s0, s1
	s_cbranch_execz .LBB1151_13
; %bb.12:
	v_ashrrev_i32_e32 v3, 31, v2
	s_delay_alu instid0(VALU_DEP_1) | instskip(NEXT) | instid1(VALU_DEP_1)
	v_lshlrev_b64 v[7:8], 3, v[2:3]
	v_add_co_u32 v5, vcc_lo, v5, v7
	s_delay_alu instid0(VALU_DEP_2)
	v_add_co_ci_u32_e32 v6, vcc_lo, v6, v8, vcc_lo
	global_load_b64 v[7:8], v[5:6], off
	v_mul_f32_e32 v1, s19, v21
	s_waitcnt vmcnt(0)
	v_mul_f32_e32 v9, s5, v8
	v_dual_mul_f32 v8, s4, v8 :: v_dual_mul_f32 v3, s18, v21
	s_delay_alu instid0(VALU_DEP_3) | instskip(NEXT) | instid1(VALU_DEP_3)
	v_fma_f32 v1, v20, s18, -v1
	v_fma_f32 v9, v7, s4, -v9
	s_delay_alu instid0(VALU_DEP_3) | instskip(NEXT) | instid1(VALU_DEP_1)
	v_dual_fmac_f32 v8, s5, v7 :: v_dual_fmac_f32 v3, s19, v20
	v_dual_add_f32 v7, v1, v9 :: v_dual_add_f32 v8, v3, v8
	global_store_b64 v[5:6], v[7:8], off
.LBB1151_13:
	s_or_b32 exec_lo, exec_lo, s0
	v_add_nc_u32_e32 v3, 16, v4
	s_delay_alu instid0(VALU_DEP_1) | instskip(SKIP_3) | instid1(VALU_DEP_4)
	v_ashrrev_i32_e32 v1, 31, v3
	v_mul_lo_u32 v6, v3, s9
	v_mad_u64_u32 v[4:5], null, v3, s8, 0
	v_cmp_gt_i32_e32 vcc_lo, s12, v3
	v_mul_lo_u32 v1, v1, s8
	v_cmp_le_i32_e64 s0, v0, v3
	s_delay_alu instid0(VALU_DEP_1) | instskip(NEXT) | instid1(VALU_DEP_2)
	s_and_b32 s0, vcc_lo, s0
	v_add3_u32 v5, v5, v6, v1
	s_delay_alu instid0(VALU_DEP_1) | instskip(NEXT) | instid1(VALU_DEP_1)
	v_lshlrev_b64 v[4:5], 3, v[4:5]
	v_add_co_u32 v4, s1, s2, v4
	s_delay_alu instid0(VALU_DEP_1)
	v_add_co_ci_u32_e64 v5, s1, s3, v5, s1
	s_and_saveexec_b32 s1, s0
	s_cbranch_execz .LBB1151_15
; %bb.14:
	v_ashrrev_i32_e32 v1, 31, v0
	s_delay_alu instid0(VALU_DEP_1) | instskip(NEXT) | instid1(VALU_DEP_1)
	v_lshlrev_b64 v[0:1], 3, v[0:1]
	v_add_co_u32 v0, s0, v4, v0
	s_delay_alu instid0(VALU_DEP_1) | instskip(SKIP_4) | instid1(VALU_DEP_1)
	v_add_co_ci_u32_e64 v1, s0, v5, v1, s0
	global_load_b64 v[6:7], v[0:1], off
	s_waitcnt vmcnt(0)
	v_mul_f32_e32 v10, s5, v7
	v_mul_f32_e32 v7, s4, v7
	v_fmac_f32_e32 v7, s5, v6
	s_delay_alu instid0(VALU_DEP_3) | instskip(SKIP_1) | instid1(VALU_DEP_1)
	v_fma_f32 v10, v6, s4, -v10
	v_mul_f32_e32 v9, s18, v19
	v_dual_mul_f32 v8, s19, v19 :: v_dual_fmac_f32 v9, s19, v18
	s_delay_alu instid0(VALU_DEP_1) | instskip(NEXT) | instid1(VALU_DEP_1)
	v_fma_f32 v8, v18, s18, -v8
	v_dual_add_f32 v7, v9, v7 :: v_dual_add_f32 v6, v8, v10
	global_store_b64 v[0:1], v[6:7], off
.LBB1151_15:
	s_or_b32 exec_lo, exec_lo, s1
	v_cmp_le_i32_e64 s0, v2, v3
	s_delay_alu instid0(VALU_DEP_1) | instskip(NEXT) | instid1(SALU_CYCLE_1)
	s_and_b32 s0, vcc_lo, s0
	s_and_saveexec_b32 s1, s0
	s_cbranch_execz .LBB1151_17
; %bb.16:
	v_ashrrev_i32_e32 v3, 31, v2
	s_delay_alu instid0(VALU_DEP_1) | instskip(NEXT) | instid1(VALU_DEP_1)
	v_lshlrev_b64 v[0:1], 3, v[2:3]
	v_add_co_u32 v0, vcc_lo, v4, v0
	s_delay_alu instid0(VALU_DEP_2)
	v_add_co_ci_u32_e32 v1, vcc_lo, v5, v1, vcc_lo
	global_load_b64 v[2:3], v[0:1], off
	v_mul_f32_e32 v4, s19, v17
	s_waitcnt vmcnt(0)
	v_dual_mul_f32 v5, s18, v17 :: v_dual_mul_f32 v6, s5, v3
	v_mul_f32_e32 v3, s4, v3
	s_delay_alu instid0(VALU_DEP_3) | instskip(NEXT) | instid1(VALU_DEP_3)
	v_fma_f32 v4, v16, s18, -v4
	v_fma_f32 v6, v2, s4, -v6
	s_delay_alu instid0(VALU_DEP_4) | instskip(NEXT) | instid1(VALU_DEP_4)
	v_fmac_f32_e32 v5, s19, v16
	v_fmac_f32_e32 v3, s5, v2
	s_delay_alu instid0(VALU_DEP_1)
	v_dual_add_f32 v2, v4, v6 :: v_dual_add_f32 v3, v5, v3
	global_store_b64 v[0:1], v[2:3], off
.LBB1151_17:
	s_nop 0
	s_sendmsg sendmsg(MSG_DEALLOC_VGPRS)
	s_endpgm
	.section	.rodata,"a",@progbits
	.p2align	6, 0x0
	.amdhsa_kernel _ZL34rocblas_syrkx_herkx_general_kernelIl19rocblas_complex_numIfELi16ELi32ELi8ELb0ELb0ELc78ELc85EKS1_S1_EviT_T0_PT8_S3_lS6_S3_lS4_PT9_S3_li
		.amdhsa_group_segment_fixed_size 4096
		.amdhsa_private_segment_fixed_size 0
		.amdhsa_kernarg_size 108
		.amdhsa_user_sgpr_count 13
		.amdhsa_user_sgpr_dispatch_ptr 0
		.amdhsa_user_sgpr_queue_ptr 0
		.amdhsa_user_sgpr_kernarg_segment_ptr 1
		.amdhsa_user_sgpr_dispatch_id 0
		.amdhsa_user_sgpr_private_segment_size 0
		.amdhsa_wavefront_size32 1
		.amdhsa_uses_dynamic_stack 0
		.amdhsa_enable_private_segment 0
		.amdhsa_system_sgpr_workgroup_id_x 1
		.amdhsa_system_sgpr_workgroup_id_y 1
		.amdhsa_system_sgpr_workgroup_id_z 1
		.amdhsa_system_sgpr_workgroup_info 0
		.amdhsa_system_vgpr_workitem_id 1
		.amdhsa_next_free_vgpr 59
		.amdhsa_next_free_sgpr 32
		.amdhsa_reserve_vcc 1
		.amdhsa_float_round_mode_32 0
		.amdhsa_float_round_mode_16_64 0
		.amdhsa_float_denorm_mode_32 3
		.amdhsa_float_denorm_mode_16_64 3
		.amdhsa_dx10_clamp 1
		.amdhsa_ieee_mode 1
		.amdhsa_fp16_overflow 0
		.amdhsa_workgroup_processor_mode 1
		.amdhsa_memory_ordered 1
		.amdhsa_forward_progress 0
		.amdhsa_shared_vgpr_count 0
		.amdhsa_exception_fp_ieee_invalid_op 0
		.amdhsa_exception_fp_denorm_src 0
		.amdhsa_exception_fp_ieee_div_zero 0
		.amdhsa_exception_fp_ieee_overflow 0
		.amdhsa_exception_fp_ieee_underflow 0
		.amdhsa_exception_fp_ieee_inexact 0
		.amdhsa_exception_int_div_zero 0
	.end_amdhsa_kernel
	.section	.text._ZL34rocblas_syrkx_herkx_general_kernelIl19rocblas_complex_numIfELi16ELi32ELi8ELb0ELb0ELc78ELc85EKS1_S1_EviT_T0_PT8_S3_lS6_S3_lS4_PT9_S3_li,"axG",@progbits,_ZL34rocblas_syrkx_herkx_general_kernelIl19rocblas_complex_numIfELi16ELi32ELi8ELb0ELb0ELc78ELc85EKS1_S1_EviT_T0_PT8_S3_lS6_S3_lS4_PT9_S3_li,comdat
.Lfunc_end1151:
	.size	_ZL34rocblas_syrkx_herkx_general_kernelIl19rocblas_complex_numIfELi16ELi32ELi8ELb0ELb0ELc78ELc85EKS1_S1_EviT_T0_PT8_S3_lS6_S3_lS4_PT9_S3_li, .Lfunc_end1151-_ZL34rocblas_syrkx_herkx_general_kernelIl19rocblas_complex_numIfELi16ELi32ELi8ELb0ELb0ELc78ELc85EKS1_S1_EviT_T0_PT8_S3_lS6_S3_lS4_PT9_S3_li
                                        ; -- End function
	.section	.AMDGPU.csdata,"",@progbits
; Kernel info:
; codeLenInByte = 2724
; NumSgprs: 34
; NumVgprs: 59
; ScratchSize: 0
; MemoryBound: 1
; FloatMode: 240
; IeeeMode: 1
; LDSByteSize: 4096 bytes/workgroup (compile time only)
; SGPRBlocks: 4
; VGPRBlocks: 7
; NumSGPRsForWavesPerEU: 34
; NumVGPRsForWavesPerEU: 59
; Occupancy: 16
; WaveLimiterHint : 0
; COMPUTE_PGM_RSRC2:SCRATCH_EN: 0
; COMPUTE_PGM_RSRC2:USER_SGPR: 13
; COMPUTE_PGM_RSRC2:TRAP_HANDLER: 0
; COMPUTE_PGM_RSRC2:TGID_X_EN: 1
; COMPUTE_PGM_RSRC2:TGID_Y_EN: 1
; COMPUTE_PGM_RSRC2:TGID_Z_EN: 1
; COMPUTE_PGM_RSRC2:TIDIG_COMP_CNT: 1
	.section	.text._ZL26rocblas_syr2k_scale_kernelIlLi128ELi8ELb0E19rocblas_complex_numIfES1_PS1_EvbiT_T3_T4_T5_S3_li,"axG",@progbits,_ZL26rocblas_syr2k_scale_kernelIlLi128ELi8ELb0E19rocblas_complex_numIfES1_PS1_EvbiT_T3_T4_T5_S3_li,comdat
	.globl	_ZL26rocblas_syr2k_scale_kernelIlLi128ELi8ELb0E19rocblas_complex_numIfES1_PS1_EvbiT_T3_T4_T5_S3_li ; -- Begin function _ZL26rocblas_syr2k_scale_kernelIlLi128ELi8ELb0E19rocblas_complex_numIfES1_PS1_EvbiT_T3_T4_T5_S3_li
	.p2align	8
	.type	_ZL26rocblas_syr2k_scale_kernelIlLi128ELi8ELb0E19rocblas_complex_numIfES1_PS1_EvbiT_T3_T4_T5_S3_li,@function
_ZL26rocblas_syr2k_scale_kernelIlLi128ELi8ELb0E19rocblas_complex_numIfES1_PS1_EvbiT_T3_T4_T5_S3_li: ; @_ZL26rocblas_syr2k_scale_kernelIlLi128ELi8ELb0E19rocblas_complex_numIfES1_PS1_EvbiT_T3_T4_T5_S3_li
; %bb.0:
	s_load_b64 s[4:5], s[0:1], 0x18
	s_waitcnt lgkmcnt(0)
	v_cmp_eq_f32_e64 s2, s4, 1.0
	v_cmp_eq_f32_e64 s3, s5, 0
	s_delay_alu instid0(VALU_DEP_1) | instskip(NEXT) | instid1(SALU_CYCLE_1)
	s_and_b32 s2, s2, s3
	s_and_b32 vcc_lo, exec_lo, s2
	s_cbranch_vccnz .LBB1152_5
; %bb.1:
	s_clause 0x1
	s_load_b64 s[2:3], s[0:1], 0x0
	s_load_b32 s6, s[0:1], 0x4c
	v_and_b32_e32 v2, 0x3ff, v0
	v_bfe_u32 v3, v0, 10, 10
	s_waitcnt lgkmcnt(0)
	s_bitcmp1_b32 s2, 0
	s_cselect_b32 vcc_lo, -1, 0
	s_lshr_b32 s2, s6, 16
	s_and_b32 s6, s6, 0xffff
	s_delay_alu instid0(SALU_CYCLE_1) | instskip(SKIP_1) | instid1(VALU_DEP_1)
	v_mad_u64_u32 v[0:1], null, s13, s6, v[2:3]
	v_mad_u64_u32 v[1:2], null, s14, s2, v[3:4]
	v_cndmask_b32_e32 v2, v1, v0, vcc_lo
	v_max_u32_e32 v3, v0, v1
	v_cndmask_b32_e32 v4, v0, v1, vcc_lo
	s_delay_alu instid0(VALU_DEP_2) | instskip(NEXT) | instid1(VALU_DEP_2)
	v_cmp_gt_u32_e32 vcc_lo, s3, v3
	v_cmp_le_i32_e64 s2, v2, v4
	s_delay_alu instid0(VALU_DEP_1) | instskip(NEXT) | instid1(SALU_CYCLE_1)
	s_and_b32 s2, vcc_lo, s2
	s_and_saveexec_b32 s3, s2
	s_cbranch_execz .LBB1152_5
; %bb.2:
	s_clause 0x1
	s_load_b128 s[8:11], s[0:1], 0x20
	s_load_b64 s[0:1], s[0:1], 0x30
	s_waitcnt lgkmcnt(0)
	v_mad_u64_u32 v[2:3], null, v1, s10, 0
	s_mul_i32 s1, s15, s1
	s_mul_hi_u32 s2, s15, s0
	s_mul_i32 s0, s15, s0
	s_add_i32 s1, s2, s1
	s_delay_alu instid0(SALU_CYCLE_1) | instskip(NEXT) | instid1(VALU_DEP_1)
	s_lshl_b64 s[0:1], s[0:1], 3
	v_mad_u64_u32 v[4:5], null, v1, s11, v[3:4]
	v_mov_b32_e32 v1, 0
	s_add_u32 s0, s8, s0
	s_addc_u32 s1, s9, s1
	s_or_b32 s2, s4, s5
	s_delay_alu instid0(SALU_CYCLE_1) | instskip(NEXT) | instid1(VALU_DEP_2)
	s_bitset0_b32 s2, 31
	v_mov_b32_e32 v3, v4
	v_lshlrev_b64 v[4:5], 3, v[0:1]
	s_cmp_eq_u32 s2, 0
	s_delay_alu instid0(VALU_DEP_2) | instskip(NEXT) | instid1(VALU_DEP_1)
	v_lshlrev_b64 v[2:3], 3, v[2:3]
	v_add_co_u32 v0, vcc_lo, s0, v2
	s_delay_alu instid0(VALU_DEP_2) | instskip(NEXT) | instid1(VALU_DEP_2)
	v_add_co_ci_u32_e32 v3, vcc_lo, s1, v3, vcc_lo
	v_add_co_u32 v2, vcc_lo, v0, v4
	v_mov_b32_e32 v0, v1
	s_delay_alu instid0(VALU_DEP_3)
	v_add_co_ci_u32_e32 v3, vcc_lo, v3, v5, vcc_lo
	s_cbranch_scc1 .LBB1152_4
; %bb.3:
	global_load_b64 v[4:5], v[2:3], off
	s_waitcnt vmcnt(0)
	v_mul_f32_e32 v1, s4, v5
	s_delay_alu instid0(VALU_DEP_1) | instskip(NEXT) | instid1(VALU_DEP_1)
	v_dual_mul_f32 v0, s5, v5 :: v_dual_fmac_f32 v1, s5, v4
	v_fma_f32 v0, v4, s4, -v0
.LBB1152_4:
	global_store_b64 v[2:3], v[0:1], off
.LBB1152_5:
	s_nop 0
	s_sendmsg sendmsg(MSG_DEALLOC_VGPRS)
	s_endpgm
	.section	.rodata,"a",@progbits
	.p2align	6, 0x0
	.amdhsa_kernel _ZL26rocblas_syr2k_scale_kernelIlLi128ELi8ELb0E19rocblas_complex_numIfES1_PS1_EvbiT_T3_T4_T5_S3_li
		.amdhsa_group_segment_fixed_size 0
		.amdhsa_private_segment_fixed_size 0
		.amdhsa_kernarg_size 320
		.amdhsa_user_sgpr_count 13
		.amdhsa_user_sgpr_dispatch_ptr 0
		.amdhsa_user_sgpr_queue_ptr 0
		.amdhsa_user_sgpr_kernarg_segment_ptr 1
		.amdhsa_user_sgpr_dispatch_id 0
		.amdhsa_user_sgpr_private_segment_size 0
		.amdhsa_wavefront_size32 1
		.amdhsa_uses_dynamic_stack 0
		.amdhsa_enable_private_segment 0
		.amdhsa_system_sgpr_workgroup_id_x 1
		.amdhsa_system_sgpr_workgroup_id_y 1
		.amdhsa_system_sgpr_workgroup_id_z 1
		.amdhsa_system_sgpr_workgroup_info 0
		.amdhsa_system_vgpr_workitem_id 1
		.amdhsa_next_free_vgpr 6
		.amdhsa_next_free_sgpr 16
		.amdhsa_reserve_vcc 1
		.amdhsa_float_round_mode_32 0
		.amdhsa_float_round_mode_16_64 0
		.amdhsa_float_denorm_mode_32 3
		.amdhsa_float_denorm_mode_16_64 3
		.amdhsa_dx10_clamp 1
		.amdhsa_ieee_mode 1
		.amdhsa_fp16_overflow 0
		.amdhsa_workgroup_processor_mode 1
		.amdhsa_memory_ordered 1
		.amdhsa_forward_progress 0
		.amdhsa_shared_vgpr_count 0
		.amdhsa_exception_fp_ieee_invalid_op 0
		.amdhsa_exception_fp_denorm_src 0
		.amdhsa_exception_fp_ieee_div_zero 0
		.amdhsa_exception_fp_ieee_overflow 0
		.amdhsa_exception_fp_ieee_underflow 0
		.amdhsa_exception_fp_ieee_inexact 0
		.amdhsa_exception_int_div_zero 0
	.end_amdhsa_kernel
	.section	.text._ZL26rocblas_syr2k_scale_kernelIlLi128ELi8ELb0E19rocblas_complex_numIfES1_PS1_EvbiT_T3_T4_T5_S3_li,"axG",@progbits,_ZL26rocblas_syr2k_scale_kernelIlLi128ELi8ELb0E19rocblas_complex_numIfES1_PS1_EvbiT_T3_T4_T5_S3_li,comdat
.Lfunc_end1152:
	.size	_ZL26rocblas_syr2k_scale_kernelIlLi128ELi8ELb0E19rocblas_complex_numIfES1_PS1_EvbiT_T3_T4_T5_S3_li, .Lfunc_end1152-_ZL26rocblas_syr2k_scale_kernelIlLi128ELi8ELb0E19rocblas_complex_numIfES1_PS1_EvbiT_T3_T4_T5_S3_li
                                        ; -- End function
	.section	.AMDGPU.csdata,"",@progbits
; Kernel info:
; codeLenInByte = 380
; NumSgprs: 18
; NumVgprs: 6
; ScratchSize: 0
; MemoryBound: 0
; FloatMode: 240
; IeeeMode: 1
; LDSByteSize: 0 bytes/workgroup (compile time only)
; SGPRBlocks: 2
; VGPRBlocks: 0
; NumSGPRsForWavesPerEU: 18
; NumVGPRsForWavesPerEU: 6
; Occupancy: 16
; WaveLimiterHint : 0
; COMPUTE_PGM_RSRC2:SCRATCH_EN: 0
; COMPUTE_PGM_RSRC2:USER_SGPR: 13
; COMPUTE_PGM_RSRC2:TRAP_HANDLER: 0
; COMPUTE_PGM_RSRC2:TGID_X_EN: 1
; COMPUTE_PGM_RSRC2:TGID_Y_EN: 1
; COMPUTE_PGM_RSRC2:TGID_Z_EN: 1
; COMPUTE_PGM_RSRC2:TIDIG_COMP_CNT: 1
	.section	.text._ZL26rocblas_syr2k_her2k_kernelIlLb0ELb0ELb0ELi32EPK19rocblas_complex_numIfES3_PS1_EvbiT_T4_T5_S5_lS7_S5_lT6_S5_li,"axG",@progbits,_ZL26rocblas_syr2k_her2k_kernelIlLb0ELb0ELb0ELi32EPK19rocblas_complex_numIfES3_PS1_EvbiT_T4_T5_S5_lS7_S5_lT6_S5_li,comdat
	.globl	_ZL26rocblas_syr2k_her2k_kernelIlLb0ELb0ELb0ELi32EPK19rocblas_complex_numIfES3_PS1_EvbiT_T4_T5_S5_lS7_S5_lT6_S5_li ; -- Begin function _ZL26rocblas_syr2k_her2k_kernelIlLb0ELb0ELb0ELi32EPK19rocblas_complex_numIfES3_PS1_EvbiT_T4_T5_S5_lS7_S5_lT6_S5_li
	.p2align	8
	.type	_ZL26rocblas_syr2k_her2k_kernelIlLb0ELb0ELb0ELi32EPK19rocblas_complex_numIfES3_PS1_EvbiT_T4_T5_S5_lS7_S5_lT6_S5_li,@function
_ZL26rocblas_syr2k_her2k_kernelIlLb0ELb0ELb0ELi32EPK19rocblas_complex_numIfES3_PS1_EvbiT_T4_T5_S5_lS7_S5_lT6_S5_li: ; @_ZL26rocblas_syr2k_her2k_kernelIlLb0ELb0ELb0ELi32EPK19rocblas_complex_numIfES3_PS1_EvbiT_T4_T5_S5_lS7_S5_lT6_S5_li
; %bb.0:
	s_load_b512 s[16:31], s[0:1], 0x8
	s_waitcnt lgkmcnt(0)
	s_load_b64 s[8:9], s[18:19], 0x0
	s_waitcnt lgkmcnt(0)
	v_cmp_eq_f32_e64 s2, s8, 0
	v_cmp_eq_f32_e64 s3, s9, 0
	s_delay_alu instid0(VALU_DEP_1) | instskip(NEXT) | instid1(SALU_CYCLE_1)
	s_and_b32 s2, s2, s3
	s_and_b32 vcc_lo, exec_lo, s2
	s_cbranch_vccnz .LBB1153_11
; %bb.1:
	s_load_b64 s[2:3], s[0:1], 0x0
	s_lshl_b32 s10, s14, 5
	s_lshl_b32 s11, s13, 5
	s_waitcnt lgkmcnt(0)
	s_and_b32 s2, 1, s2
	s_delay_alu instid0(SALU_CYCLE_1) | instskip(SKIP_1) | instid1(SALU_CYCLE_1)
	s_cmp_eq_u32 s2, 1
	s_cselect_b32 s2, -1, 0
	s_and_b32 s4, s2, exec_lo
	s_cselect_b32 s4, s11, s10
	s_cselect_b32 s5, s10, s11
	s_delay_alu instid0(SALU_CYCLE_1)
	s_cmp_gt_i32 s4, s5
	s_cbranch_scc1 .LBB1153_11
; %bb.2:
	v_cmp_lt_i64_e64 s4, s[16:17], 1
	s_delay_alu instid0(VALU_DEP_1)
	s_and_b32 vcc_lo, exec_lo, s4
	s_cbranch_vccnz .LBB1153_11
; %bb.3:
	s_clause 0x1
	s_load_b64 s[12:13], s[0:1], 0x58
	s_load_b128 s[4:7], s[0:1], 0x48
	v_bfe_u32 v10, v0, 10, 10
	v_and_b32_e32 v11, 0x3ff, v0
	s_delay_alu instid0(VALU_DEP_2) | instskip(NEXT) | instid1(VALU_DEP_1)
	v_dual_mov_b32 v3, 0 :: v_dual_add_nc_u32 v4, s10, v10
	v_dual_mov_b32 v5, v3 :: v_dual_add_nc_u32 v2, s11, v11
	v_lshlrev_b32_e32 v8, 3, v10
	v_lshlrev_b32_e32 v12, 8, v11
	s_delay_alu instid0(VALU_DEP_4) | instskip(NEXT) | instid1(VALU_DEP_4)
	v_ashrrev_i32_e32 v1, 31, v4
	v_max_i32_e32 v0, v2, v4
	v_cndmask_b32_e64 v6, v2, v4, s2
	v_cndmask_b32_e64 v7, v4, v2, s2
	v_or_b32_e32 v13, 0x2000, v8
	v_add_nc_u32_e32 v14, v12, v8
	v_cmp_gt_i32_e32 vcc_lo, s3, v0
	v_mov_b32_e32 v8, v2
	s_waitcnt lgkmcnt(0)
	s_mul_i32 s1, s15, s13
	v_mul_lo_u32 v9, v1, s6
	v_mul_lo_u32 v16, v4, s7
	v_mad_u64_u32 v[0:1], null, v4, s6, 0
	s_mul_hi_u32 s2, s15, s12
	s_mul_i32 s0, s15, s12
	s_add_i32 s1, s2, s1
	v_cmp_le_i32_e64 s2, v7, v6
	v_mad_u64_u32 v[6:7], null, s28, v11, 0
	s_delay_alu instid0(VALU_DEP_3) | instskip(SKIP_3) | instid1(VALU_DEP_3)
	v_add3_u32 v1, v1, v16, v9
	v_mad_u64_u32 v[16:17], null, s22, v10, 0
	s_lshl_b64 s[0:1], s[0:1], 3
	v_ashrrev_i32_e32 v9, 31, v2
	v_lshlrev_b64 v[0:1], 3, v[0:1]
	v_mad_u64_u32 v[18:19], null, s29, v11, v[7:8]
	s_add_u32 s4, s4, s0
	s_mov_b32 s10, s3
	s_addc_u32 s5, s5, s1
	s_ashr_i32 s11, s3, 31
	s_mul_hi_u32 s3, s30, s15
	v_cmp_gt_i64_e64 s0, s[10:11], v[2:3]
	s_delay_alu instid0(VALU_DEP_2)
	v_mov_b32_e32 v7, v18
	v_cmp_gt_i64_e64 s1, s[10:11], v[4:5]
	s_and_b32 s10, s2, vcc_lo
	v_add_co_u32 v19, vcc_lo, s4, v0
	v_add_co_ci_u32_e32 v20, vcc_lo, s5, v1, vcc_lo
	v_lshlrev_b64 v[0:1], 3, v[8:9]
	v_mov_b32_e32 v8, v17
	s_mul_i32 s2, s31, s15
	v_lshlrev_b64 v[6:7], 3, v[6:7]
	s_add_i32 s3, s3, s2
	s_mul_i32 s2, s30, s15
	v_mad_u64_u32 v[17:18], null, s23, v10, v[8:9]
	v_add_co_u32 v0, vcc_lo, v19, v0
	s_lshl_b64 s[2:3], s[2:3], 3
	v_add_co_ci_u32_e32 v1, vcc_lo, v20, v1, vcc_lo
	v_add_co_u32 v8, vcc_lo, s2, v6
	v_add_co_ci_u32_e32 v9, vcc_lo, s3, v7, vcc_lo
	s_mul_i32 s2, s25, s15
	s_mul_hi_u32 s3, s24, s15
	v_lshlrev_b64 v[6:7], 3, v[16:17]
	v_add_nc_u32_e32 v17, 0x1000, v13
	s_add_i32 s3, s3, s2
	s_mul_i32 s2, s24, s15
	v_lshlrev_b64 v[4:5], 3, v[4:5]
	s_lshl_b64 s[2:3], s[2:3], 3
	v_lshlrev_b64 v[2:3], 3, v[2:3]
	v_add_co_u32 v6, vcc_lo, s2, v6
	v_add_co_ci_u32_e32 v7, vcc_lo, s3, v7, vcc_lo
	s_delay_alu instid0(VALU_DEP_4) | instskip(SKIP_1) | instid1(VALU_DEP_4)
	v_add_co_u32 v4, vcc_lo, v8, v4
	v_add_co_ci_u32_e32 v5, vcc_lo, v9, v5, vcc_lo
	v_add_co_u32 v2, vcc_lo, v6, v2
	s_delay_alu instid0(VALU_DEP_4) | instskip(NEXT) | instid1(VALU_DEP_4)
	v_add_co_ci_u32_e32 v3, vcc_lo, v7, v3, vcc_lo
	v_add_co_u32 v4, vcc_lo, v4, s26
	s_delay_alu instid0(VALU_DEP_4) | instskip(NEXT) | instid1(VALU_DEP_4)
	;; [unrolled: 3-line block ×4, first 2 shown]
	v_add_co_ci_u32_e32 v3, vcc_lo, 0, v5, vcc_lo
	v_add_co_u32 v4, vcc_lo, v6, 4
	v_add_nc_u32_e32 v15, v13, v12
	v_add_co_ci_u32_e32 v5, vcc_lo, 0, v7, vcc_lo
	v_add_nc_u32_e32 v16, 0x800, v13
	v_add_nc_u32_e32 v18, 0x1800, v13
	s_lshl_b64 s[2:3], s[28:29], 8
	s_lshl_b64 s[4:5], s[22:23], 8
	s_mov_b64 s[6:7], 0
	s_branch .LBB1153_5
.LBB1153_4:                             ;   in Loop: Header=BB1153_5 Depth=1
	s_or_b32 exec_lo, exec_lo, s11
	s_add_u32 s6, s6, 32
	s_addc_u32 s7, s7, 0
	v_add_co_u32 v2, vcc_lo, v2, s2
	v_cmp_lt_i64_e64 s11, s[6:7], s[16:17]
	v_add_co_ci_u32_e32 v3, vcc_lo, s3, v3, vcc_lo
	v_add_co_u32 v4, vcc_lo, v4, s4
	v_add_co_ci_u32_e32 v5, vcc_lo, s5, v5, vcc_lo
	s_delay_alu instid0(VALU_DEP_4)
	s_and_b32 vcc_lo, exec_lo, s11
	s_waitcnt_vscnt null, 0x0
	s_barrier
	buffer_gl0_inv
	s_cbranch_vccz .LBB1153_11
.LBB1153_5:                             ; =>This Inner Loop Header: Depth=1
	v_add_co_u32 v6, s11, v10, s6
	s_delay_alu instid0(VALU_DEP_1) | instskip(NEXT) | instid1(VALU_DEP_1)
	v_add_co_ci_u32_e64 v7, null, 0, s7, s11
	v_cmp_gt_i64_e32 vcc_lo, s[16:17], v[6:7]
	v_dual_mov_b32 v6, 0 :: v_dual_mov_b32 v7, 0
	s_and_b32 s12, s0, vcc_lo
	s_delay_alu instid0(SALU_CYCLE_1)
	s_and_saveexec_b32 s11, s12
	s_cbranch_execz .LBB1153_7
; %bb.6:                                ;   in Loop: Header=BB1153_5 Depth=1
	global_load_b64 v[6:7], v[4:5], off offset:-4
.LBB1153_7:                             ;   in Loop: Header=BB1153_5 Depth=1
	s_or_b32 exec_lo, exec_lo, s11
	v_add_co_u32 v8, s11, v11, s6
	s_delay_alu instid0(VALU_DEP_1)
	v_add_co_ci_u32_e64 v9, null, 0, s7, s11
	s_waitcnt vmcnt(0)
	ds_store_b64 v14, v[6:7]
	v_cmp_gt_i64_e32 vcc_lo, s[16:17], v[8:9]
	v_dual_mov_b32 v8, 0 :: v_dual_mov_b32 v9, 0
	s_and_b32 s12, s1, vcc_lo
	s_delay_alu instid0(SALU_CYCLE_1)
	s_and_saveexec_b32 s11, s12
	s_cbranch_execz .LBB1153_9
; %bb.8:                                ;   in Loop: Header=BB1153_5 Depth=1
	global_load_b64 v[8:9], v[2:3], off offset:-4
.LBB1153_9:                             ;   in Loop: Header=BB1153_5 Depth=1
	s_or_b32 exec_lo, exec_lo, s11
	s_waitcnt vmcnt(0)
	ds_store_b64 v15, v[8:9]
	s_waitcnt lgkmcnt(0)
	s_barrier
	buffer_gl0_inv
	s_and_saveexec_b32 s11, s10
	s_cbranch_execz .LBB1153_4
; %bb.10:                               ;   in Loop: Header=BB1153_5 Depth=1
	ds_load_b128 v[6:9], v12
	ds_load_b128 v[19:22], v12 offset:16
	ds_load_b128 v[23:26], v12 offset:32
	;; [unrolled: 1-line block ×3, first 2 shown]
	ds_load_2addr_b64 v[31:34], v13 offset1:32
	s_waitcnt lgkmcnt(0)
	v_mul_f32_e32 v35, v32, v7
	v_mul_f32_e32 v7, v31, v7
	s_delay_alu instid0(VALU_DEP_2) | instskip(NEXT) | instid1(VALU_DEP_2)
	v_fma_f32 v35, v31, v6, -v35
	v_fmac_f32_e32 v7, v32, v6
	v_mul_f32_e32 v31, v34, v9
	s_delay_alu instid0(VALU_DEP_3) | instskip(NEXT) | instid1(VALU_DEP_3)
	v_dual_mul_f32 v9, v33, v9 :: v_dual_add_f32 v6, 0, v35
	v_add_f32_e32 v7, 0, v7
	s_delay_alu instid0(VALU_DEP_3) | instskip(NEXT) | instid1(VALU_DEP_3)
	v_fma_f32 v31, v33, v8, -v31
	v_fmac_f32_e32 v9, v34, v8
	s_delay_alu instid0(VALU_DEP_1) | instskip(SKIP_3) | instid1(VALU_DEP_1)
	v_dual_add_f32 v31, v6, v31 :: v_dual_add_f32 v32, v7, v9
	ds_load_2addr_b64 v[6:9], v13 offset0:64 offset1:96
	s_waitcnt lgkmcnt(0)
	v_mul_f32_e32 v33, v7, v20
	v_fma_f32 v33, v6, v19, -v33
	v_mul_f32_e32 v6, v6, v20
	s_delay_alu instid0(VALU_DEP_1) | instskip(NEXT) | instid1(VALU_DEP_1)
	v_dual_fmac_f32 v6, v7, v19 :: v_dual_mul_f32 v19, v9, v22
	v_add_f32_e32 v6, v32, v6
	s_delay_alu instid0(VALU_DEP_2) | instskip(SKIP_1) | instid1(VALU_DEP_1)
	v_fma_f32 v19, v8, v21, -v19
	v_mul_f32_e32 v8, v8, v22
	v_fmac_f32_e32 v8, v9, v21
	s_delay_alu instid0(VALU_DEP_1) | instskip(NEXT) | instid1(VALU_DEP_1)
	v_dual_add_f32 v7, v31, v33 :: v_dual_add_f32 v20, v6, v8
	v_add_f32_e32 v19, v7, v19
	ds_load_2addr_b64 v[6:9], v13 offset0:128 offset1:160
	s_waitcnt lgkmcnt(0)
	v_mul_f32_e32 v21, v7, v24
	s_delay_alu instid0(VALU_DEP_1) | instskip(SKIP_1) | instid1(VALU_DEP_1)
	v_fma_f32 v21, v6, v23, -v21
	v_mul_f32_e32 v6, v6, v24
	v_fmac_f32_e32 v6, v7, v23
	s_delay_alu instid0(VALU_DEP_1) | instskip(SKIP_1) | instid1(VALU_DEP_1)
	v_dual_add_f32 v6, v20, v6 :: v_dual_add_f32 v7, v19, v21
	v_mul_f32_e32 v19, v9, v26
	v_fma_f32 v19, v8, v25, -v19
	v_mul_f32_e32 v8, v8, v26
	s_delay_alu instid0(VALU_DEP_1) | instskip(NEXT) | instid1(VALU_DEP_1)
	v_fmac_f32_e32 v8, v9, v25
	v_dual_add_f32 v20, v6, v8 :: v_dual_add_f32 v19, v7, v19
	ds_load_2addr_b64 v[6:9], v13 offset0:192 offset1:224
	s_waitcnt lgkmcnt(0)
	v_mul_f32_e32 v21, v7, v28
	s_delay_alu instid0(VALU_DEP_1) | instskip(SKIP_1) | instid1(VALU_DEP_1)
	v_fma_f32 v21, v6, v27, -v21
	v_mul_f32_e32 v6, v6, v28
	v_fmac_f32_e32 v6, v7, v27
	s_delay_alu instid0(VALU_DEP_1) | instskip(SKIP_1) | instid1(VALU_DEP_1)
	v_dual_add_f32 v6, v20, v6 :: v_dual_add_f32 v7, v19, v21
	v_mul_f32_e32 v19, v9, v30
	v_fma_f32 v19, v8, v29, -v19
	v_mul_f32_e32 v8, v8, v30
	s_delay_alu instid0(VALU_DEP_1) | instskip(NEXT) | instid1(VALU_DEP_1)
	v_fmac_f32_e32 v8, v9, v29
	v_dual_add_f32 v24, v6, v8 :: v_dual_add_f32 v23, v7, v19
	ds_load_b128 v[6:9], v12 offset:64
	ds_load_2addr_b64 v[19:22], v16 offset1:32
	s_waitcnt lgkmcnt(0)
	v_mul_f32_e32 v25, v20, v7
	v_mul_f32_e32 v7, v19, v7
	s_delay_alu instid0(VALU_DEP_2) | instskip(SKIP_1) | instid1(VALU_DEP_3)
	v_fma_f32 v25, v19, v6, -v25
	v_mul_f32_e32 v19, v22, v9
	v_fmac_f32_e32 v7, v20, v6
	v_mul_f32_e32 v9, v21, v9
	s_delay_alu instid0(VALU_DEP_4) | instskip(NEXT) | instid1(VALU_DEP_4)
	v_add_f32_e32 v6, v23, v25
	v_fma_f32 v19, v21, v8, -v19
	s_delay_alu instid0(VALU_DEP_3) | instskip(NEXT) | instid1(VALU_DEP_2)
	v_fmac_f32_e32 v9, v22, v8
	v_add_f32_e32 v23, v6, v19
	v_add_f32_e32 v7, v24, v7
	s_delay_alu instid0(VALU_DEP_1)
	v_add_f32_e32 v24, v7, v9
	ds_load_b128 v[6:9], v12 offset:80
	ds_load_2addr_b64 v[19:22], v16 offset0:64 offset1:96
	s_waitcnt lgkmcnt(0)
	v_mul_f32_e32 v25, v20, v7
	v_mul_f32_e32 v7, v19, v7
	s_delay_alu instid0(VALU_DEP_2) | instskip(NEXT) | instid1(VALU_DEP_2)
	v_fma_f32 v25, v19, v6, -v25
	v_fmac_f32_e32 v7, v20, v6
	v_mul_f32_e32 v19, v22, v9
	v_mul_f32_e32 v9, v21, v9
	s_delay_alu instid0(VALU_DEP_3) | instskip(NEXT) | instid1(VALU_DEP_3)
	v_add_f32_e32 v7, v24, v7
	v_fma_f32 v19, v21, v8, -v19
	s_delay_alu instid0(VALU_DEP_3) | instskip(NEXT) | instid1(VALU_DEP_1)
	v_fmac_f32_e32 v9, v22, v8
	v_add_f32_e32 v24, v7, v9
	v_add_f32_e32 v6, v23, v25
	s_delay_alu instid0(VALU_DEP_1)
	v_add_f32_e32 v23, v6, v19
	ds_load_b128 v[6:9], v12 offset:96
	ds_load_2addr_b64 v[19:22], v16 offset0:128 offset1:160
	s_waitcnt lgkmcnt(0)
	v_mul_f32_e32 v25, v20, v7
	v_mul_f32_e32 v7, v19, v7
	s_delay_alu instid0(VALU_DEP_2) | instskip(NEXT) | instid1(VALU_DEP_2)
	v_fma_f32 v25, v19, v6, -v25
	v_fmac_f32_e32 v7, v20, v6
	v_mul_f32_e32 v19, v22, v9
	v_mul_f32_e32 v9, v21, v9
	s_delay_alu instid0(VALU_DEP_3) | instskip(NEXT) | instid1(VALU_DEP_3)
	v_dual_add_f32 v6, v23, v25 :: v_dual_add_f32 v7, v24, v7
	v_fma_f32 v19, v21, v8, -v19
	s_delay_alu instid0(VALU_DEP_3) | instskip(NEXT) | instid1(VALU_DEP_1)
	v_fmac_f32_e32 v9, v22, v8
	v_dual_add_f32 v23, v6, v19 :: v_dual_add_f32 v24, v7, v9
	ds_load_b128 v[6:9], v12 offset:112
	ds_load_2addr_b64 v[19:22], v16 offset0:192 offset1:224
	s_waitcnt lgkmcnt(0)
	v_mul_f32_e32 v25, v20, v7
	v_mul_f32_e32 v7, v19, v7
	s_delay_alu instid0(VALU_DEP_2) | instskip(NEXT) | instid1(VALU_DEP_2)
	v_fma_f32 v25, v19, v6, -v25
	v_fmac_f32_e32 v7, v20, v6
	v_mul_f32_e32 v19, v22, v9
	v_mul_f32_e32 v9, v21, v9
	s_delay_alu instid0(VALU_DEP_3) | instskip(NEXT) | instid1(VALU_DEP_3)
	v_dual_add_f32 v6, v23, v25 :: v_dual_add_f32 v7, v24, v7
	v_fma_f32 v19, v21, v8, -v19
	s_delay_alu instid0(VALU_DEP_3) | instskip(NEXT) | instid1(VALU_DEP_1)
	v_fmac_f32_e32 v9, v22, v8
	v_dual_add_f32 v23, v6, v19 :: v_dual_add_f32 v24, v7, v9
	ds_load_b128 v[6:9], v12 offset:128
	ds_load_2addr_b64 v[19:22], v17 offset1:32
	s_waitcnt lgkmcnt(0)
	v_mul_f32_e32 v25, v20, v7
	v_mul_f32_e32 v7, v19, v7
	s_delay_alu instid0(VALU_DEP_2) | instskip(NEXT) | instid1(VALU_DEP_2)
	v_fma_f32 v25, v19, v6, -v25
	v_fmac_f32_e32 v7, v20, v6
	v_mul_f32_e32 v19, v22, v9
	v_mul_f32_e32 v9, v21, v9
	s_delay_alu instid0(VALU_DEP_3) | instskip(NEXT) | instid1(VALU_DEP_3)
	v_dual_add_f32 v6, v23, v25 :: v_dual_add_f32 v7, v24, v7
	v_fma_f32 v19, v21, v8, -v19
	s_delay_alu instid0(VALU_DEP_3) | instskip(NEXT) | instid1(VALU_DEP_1)
	v_fmac_f32_e32 v9, v22, v8
	v_dual_add_f32 v23, v6, v19 :: v_dual_add_f32 v24, v7, v9
	ds_load_b128 v[6:9], v12 offset:144
	ds_load_2addr_b64 v[19:22], v17 offset0:64 offset1:96
	s_waitcnt lgkmcnt(0)
	v_mul_f32_e32 v25, v20, v7
	v_mul_f32_e32 v7, v19, v7
	s_delay_alu instid0(VALU_DEP_2) | instskip(NEXT) | instid1(VALU_DEP_2)
	v_fma_f32 v25, v19, v6, -v25
	v_fmac_f32_e32 v7, v20, v6
	v_mul_f32_e32 v19, v22, v9
	v_mul_f32_e32 v9, v21, v9
	s_delay_alu instid0(VALU_DEP_3) | instskip(NEXT) | instid1(VALU_DEP_3)
	v_dual_add_f32 v6, v23, v25 :: v_dual_add_f32 v7, v24, v7
	v_fma_f32 v19, v21, v8, -v19
	s_delay_alu instid0(VALU_DEP_3) | instskip(NEXT) | instid1(VALU_DEP_1)
	v_fmac_f32_e32 v9, v22, v8
	v_dual_add_f32 v23, v6, v19 :: v_dual_add_f32 v24, v7, v9
	ds_load_b128 v[6:9], v12 offset:160
	ds_load_2addr_b64 v[19:22], v17 offset0:128 offset1:160
	;; [unrolled: 16-line block ×3, first 2 shown]
	s_waitcnt lgkmcnt(0)
	v_mul_f32_e32 v25, v20, v7
	v_mul_f32_e32 v7, v19, v7
	s_delay_alu instid0(VALU_DEP_2) | instskip(NEXT) | instid1(VALU_DEP_2)
	v_fma_f32 v25, v19, v6, -v25
	v_fmac_f32_e32 v7, v20, v6
	v_mul_f32_e32 v19, v22, v9
	v_mul_f32_e32 v9, v21, v9
	s_delay_alu instid0(VALU_DEP_3) | instskip(NEXT) | instid1(VALU_DEP_3)
	v_dual_add_f32 v6, v23, v25 :: v_dual_add_f32 v7, v24, v7
	v_fma_f32 v19, v21, v8, -v19
	s_delay_alu instid0(VALU_DEP_3) | instskip(NEXT) | instid1(VALU_DEP_1)
	v_fmac_f32_e32 v9, v22, v8
	v_dual_add_f32 v23, v6, v19 :: v_dual_add_f32 v24, v7, v9
	ds_load_b128 v[6:9], v12 offset:192
	ds_load_2addr_b64 v[19:22], v18 offset1:32
	s_waitcnt lgkmcnt(0)
	v_mul_f32_e32 v25, v20, v7
	v_mul_f32_e32 v7, v19, v7
	s_delay_alu instid0(VALU_DEP_2) | instskip(NEXT) | instid1(VALU_DEP_2)
	v_fma_f32 v25, v19, v6, -v25
	v_fmac_f32_e32 v7, v20, v6
	v_mul_f32_e32 v19, v22, v9
	v_mul_f32_e32 v9, v21, v9
	s_delay_alu instid0(VALU_DEP_3) | instskip(NEXT) | instid1(VALU_DEP_3)
	v_dual_add_f32 v6, v23, v25 :: v_dual_add_f32 v7, v24, v7
	v_fma_f32 v19, v21, v8, -v19
	s_delay_alu instid0(VALU_DEP_3) | instskip(NEXT) | instid1(VALU_DEP_1)
	v_fmac_f32_e32 v9, v22, v8
	v_dual_add_f32 v23, v6, v19 :: v_dual_add_f32 v24, v7, v9
	ds_load_b128 v[6:9], v12 offset:208
	ds_load_2addr_b64 v[19:22], v18 offset0:64 offset1:96
	s_waitcnt lgkmcnt(0)
	v_mul_f32_e32 v25, v20, v7
	v_mul_f32_e32 v7, v19, v7
	s_delay_alu instid0(VALU_DEP_2) | instskip(NEXT) | instid1(VALU_DEP_2)
	v_fma_f32 v25, v19, v6, -v25
	v_fmac_f32_e32 v7, v20, v6
	v_mul_f32_e32 v19, v22, v9
	v_mul_f32_e32 v9, v21, v9
	s_delay_alu instid0(VALU_DEP_3) | instskip(NEXT) | instid1(VALU_DEP_3)
	v_dual_add_f32 v6, v23, v25 :: v_dual_add_f32 v7, v24, v7
	v_fma_f32 v19, v21, v8, -v19
	s_delay_alu instid0(VALU_DEP_3) | instskip(NEXT) | instid1(VALU_DEP_1)
	v_fmac_f32_e32 v9, v22, v8
	v_dual_add_f32 v23, v6, v19 :: v_dual_add_f32 v24, v7, v9
	ds_load_b128 v[6:9], v12 offset:224
	ds_load_2addr_b64 v[19:22], v18 offset0:128 offset1:160
	;; [unrolled: 16-line block ×3, first 2 shown]
	s_waitcnt lgkmcnt(0)
	v_mul_f32_e32 v25, v20, v7
	v_mul_f32_e32 v7, v19, v7
	s_delay_alu instid0(VALU_DEP_2) | instskip(NEXT) | instid1(VALU_DEP_2)
	v_fma_f32 v25, v19, v6, -v25
	v_fmac_f32_e32 v7, v20, v6
	v_mul_f32_e32 v19, v22, v9
	v_mul_f32_e32 v9, v21, v9
	s_delay_alu instid0(VALU_DEP_3) | instskip(NEXT) | instid1(VALU_DEP_3)
	v_dual_add_f32 v6, v23, v25 :: v_dual_add_f32 v7, v24, v7
	v_fma_f32 v19, v21, v8, -v19
	s_delay_alu instid0(VALU_DEP_3) | instskip(NEXT) | instid1(VALU_DEP_1)
	v_fmac_f32_e32 v9, v22, v8
	v_dual_add_f32 v8, v6, v19 :: v_dual_add_f32 v9, v7, v9
	s_delay_alu instid0(VALU_DEP_1) | instskip(NEXT) | instid1(VALU_DEP_1)
	v_dual_mul_f32 v7, s9, v8 :: v_dual_mul_f32 v6, s9, v9
	v_fmac_f32_e32 v7, s8, v9
	s_delay_alu instid0(VALU_DEP_2)
	v_fma_f32 v6, s8, v8, -v6
	global_load_b64 v[8:9], v[0:1], off
	s_waitcnt vmcnt(0)
	v_dual_add_f32 v6, v8, v6 :: v_dual_add_f32 v7, v9, v7
	global_store_b64 v[0:1], v[6:7], off
	s_branch .LBB1153_4
.LBB1153_11:
	s_endpgm
	.section	.rodata,"a",@progbits
	.p2align	6, 0x0
	.amdhsa_kernel _ZL26rocblas_syr2k_her2k_kernelIlLb0ELb0ELb0ELi32EPK19rocblas_complex_numIfES3_PS1_EvbiT_T4_T5_S5_lS7_S5_lT6_S5_li
		.amdhsa_group_segment_fixed_size 16384
		.amdhsa_private_segment_fixed_size 0
		.amdhsa_kernarg_size 100
		.amdhsa_user_sgpr_count 13
		.amdhsa_user_sgpr_dispatch_ptr 0
		.amdhsa_user_sgpr_queue_ptr 0
		.amdhsa_user_sgpr_kernarg_segment_ptr 1
		.amdhsa_user_sgpr_dispatch_id 0
		.amdhsa_user_sgpr_private_segment_size 0
		.amdhsa_wavefront_size32 1
		.amdhsa_uses_dynamic_stack 0
		.amdhsa_enable_private_segment 0
		.amdhsa_system_sgpr_workgroup_id_x 1
		.amdhsa_system_sgpr_workgroup_id_y 1
		.amdhsa_system_sgpr_workgroup_id_z 1
		.amdhsa_system_sgpr_workgroup_info 0
		.amdhsa_system_vgpr_workitem_id 1
		.amdhsa_next_free_vgpr 36
		.amdhsa_next_free_sgpr 32
		.amdhsa_reserve_vcc 1
		.amdhsa_float_round_mode_32 0
		.amdhsa_float_round_mode_16_64 0
		.amdhsa_float_denorm_mode_32 3
		.amdhsa_float_denorm_mode_16_64 3
		.amdhsa_dx10_clamp 1
		.amdhsa_ieee_mode 1
		.amdhsa_fp16_overflow 0
		.amdhsa_workgroup_processor_mode 1
		.amdhsa_memory_ordered 1
		.amdhsa_forward_progress 0
		.amdhsa_shared_vgpr_count 0
		.amdhsa_exception_fp_ieee_invalid_op 0
		.amdhsa_exception_fp_denorm_src 0
		.amdhsa_exception_fp_ieee_div_zero 0
		.amdhsa_exception_fp_ieee_overflow 0
		.amdhsa_exception_fp_ieee_underflow 0
		.amdhsa_exception_fp_ieee_inexact 0
		.amdhsa_exception_int_div_zero 0
	.end_amdhsa_kernel
	.section	.text._ZL26rocblas_syr2k_her2k_kernelIlLb0ELb0ELb0ELi32EPK19rocblas_complex_numIfES3_PS1_EvbiT_T4_T5_S5_lS7_S5_lT6_S5_li,"axG",@progbits,_ZL26rocblas_syr2k_her2k_kernelIlLb0ELb0ELb0ELi32EPK19rocblas_complex_numIfES3_PS1_EvbiT_T4_T5_S5_lS7_S5_lT6_S5_li,comdat
.Lfunc_end1153:
	.size	_ZL26rocblas_syr2k_her2k_kernelIlLb0ELb0ELb0ELi32EPK19rocblas_complex_numIfES3_PS1_EvbiT_T4_T5_S5_lS7_S5_lT6_S5_li, .Lfunc_end1153-_ZL26rocblas_syr2k_her2k_kernelIlLb0ELb0ELb0ELi32EPK19rocblas_complex_numIfES3_PS1_EvbiT_T4_T5_S5_lS7_S5_lT6_S5_li
                                        ; -- End function
	.section	.AMDGPU.csdata,"",@progbits
; Kernel info:
; codeLenInByte = 2396
; NumSgprs: 34
; NumVgprs: 36
; ScratchSize: 0
; MemoryBound: 0
; FloatMode: 240
; IeeeMode: 1
; LDSByteSize: 16384 bytes/workgroup (compile time only)
; SGPRBlocks: 4
; VGPRBlocks: 4
; NumSGPRsForWavesPerEU: 34
; NumVGPRsForWavesPerEU: 36
; Occupancy: 16
; WaveLimiterHint : 0
; COMPUTE_PGM_RSRC2:SCRATCH_EN: 0
; COMPUTE_PGM_RSRC2:USER_SGPR: 13
; COMPUTE_PGM_RSRC2:TRAP_HANDLER: 0
; COMPUTE_PGM_RSRC2:TGID_X_EN: 1
; COMPUTE_PGM_RSRC2:TGID_Y_EN: 1
; COMPUTE_PGM_RSRC2:TGID_Z_EN: 1
; COMPUTE_PGM_RSRC2:TIDIG_COMP_CNT: 1
	.section	.text._ZL26rocblas_syr2k_her2k_kernelIlLb0ELb0ELb1ELi32EPK19rocblas_complex_numIfES3_PS1_EvbiT_T4_T5_S5_lS7_S5_lT6_S5_li,"axG",@progbits,_ZL26rocblas_syr2k_her2k_kernelIlLb0ELb0ELb1ELi32EPK19rocblas_complex_numIfES3_PS1_EvbiT_T4_T5_S5_lS7_S5_lT6_S5_li,comdat
	.globl	_ZL26rocblas_syr2k_her2k_kernelIlLb0ELb0ELb1ELi32EPK19rocblas_complex_numIfES3_PS1_EvbiT_T4_T5_S5_lS7_S5_lT6_S5_li ; -- Begin function _ZL26rocblas_syr2k_her2k_kernelIlLb0ELb0ELb1ELi32EPK19rocblas_complex_numIfES3_PS1_EvbiT_T4_T5_S5_lS7_S5_lT6_S5_li
	.p2align	8
	.type	_ZL26rocblas_syr2k_her2k_kernelIlLb0ELb0ELb1ELi32EPK19rocblas_complex_numIfES3_PS1_EvbiT_T4_T5_S5_lS7_S5_lT6_S5_li,@function
_ZL26rocblas_syr2k_her2k_kernelIlLb0ELb0ELb1ELi32EPK19rocblas_complex_numIfES3_PS1_EvbiT_T4_T5_S5_lS7_S5_lT6_S5_li: ; @_ZL26rocblas_syr2k_her2k_kernelIlLb0ELb0ELb1ELi32EPK19rocblas_complex_numIfES3_PS1_EvbiT_T4_T5_S5_lS7_S5_lT6_S5_li
; %bb.0:
	s_load_b512 s[16:31], s[0:1], 0x8
	s_waitcnt lgkmcnt(0)
	s_load_b64 s[8:9], s[18:19], 0x0
	s_waitcnt lgkmcnt(0)
	v_cmp_eq_f32_e64 s2, s8, 0
	v_cmp_eq_f32_e64 s3, s9, 0
	s_delay_alu instid0(VALU_DEP_1) | instskip(NEXT) | instid1(SALU_CYCLE_1)
	s_and_b32 s2, s2, s3
	s_and_b32 vcc_lo, exec_lo, s2
	s_cbranch_vccnz .LBB1154_11
; %bb.1:
	s_load_b64 s[2:3], s[0:1], 0x0
	s_lshl_b32 s10, s14, 5
	s_lshl_b32 s11, s13, 5
	s_waitcnt lgkmcnt(0)
	s_and_b32 s2, 1, s2
	s_delay_alu instid0(SALU_CYCLE_1) | instskip(SKIP_1) | instid1(SALU_CYCLE_1)
	s_cmp_eq_u32 s2, 1
	s_cselect_b32 s2, -1, 0
	s_and_b32 s4, s2, exec_lo
	s_cselect_b32 s4, s11, s10
	s_cselect_b32 s5, s10, s11
	s_delay_alu instid0(SALU_CYCLE_1)
	s_cmp_gt_i32 s4, s5
	s_cbranch_scc1 .LBB1154_11
; %bb.2:
	v_cmp_lt_i64_e64 s4, s[16:17], 1
	s_delay_alu instid0(VALU_DEP_1)
	s_and_b32 vcc_lo, exec_lo, s4
	s_cbranch_vccnz .LBB1154_11
; %bb.3:
	s_clause 0x1
	s_load_b64 s[12:13], s[0:1], 0x58
	s_load_b128 s[4:7], s[0:1], 0x48
	v_bfe_u32 v10, v0, 10, 10
	v_mov_b32_e32 v1, 0
	v_and_b32_e32 v11, 0x3ff, v0
	s_delay_alu instid0(VALU_DEP_2) | instskip(NEXT) | instid1(VALU_DEP_2)
	v_dual_mov_b32 v3, v1 :: v_dual_add_nc_u32 v2, s10, v10
	v_add_nc_u32_e32 v0, s11, v11
	s_mov_b32 s10, s3
	s_delay_alu instid0(VALU_DEP_2) | instskip(SKIP_1) | instid1(VALU_DEP_3)
	v_ashrrev_i32_e32 v4, 31, v2
	v_mad_u64_u32 v[6:7], null, s28, v2, 0
	v_cndmask_b32_e64 v8, v0, v2, s2
	v_cndmask_b32_e64 v9, v2, v0, s2
	v_lshlrev_b32_e32 v18, 3, v10
	v_max_i32_e32 v19, v0, v2
	s_waitcnt lgkmcnt(0)
	s_mul_i32 s1, s15, s13
	v_mul_lo_u32 v16, v4, s6
	v_mul_lo_u32 v17, v2, s7
	v_mad_u64_u32 v[4:5], null, v2, s6, 0
	s_mul_hi_u32 s2, s15, s12
	s_mul_i32 s0, s15, s12
	s_add_i32 s1, s2, s1
	v_cmp_le_i32_e64 s2, v9, v8
	s_lshl_b64 s[0:1], s[0:1], 3
	v_mad_u64_u32 v[8:9], null, s22, v0, 0
	s_delay_alu instid0(VALU_DEP_3)
	v_add3_u32 v5, v5, v17, v16
	s_add_u32 s4, s4, s0
	s_addc_u32 s5, s5, s1
	s_ashr_i32 s11, s3, 31
	v_lshlrev_b32_e32 v12, 8, v11
	v_lshlrev_b64 v[4:5], 3, v[4:5]
	v_cmp_gt_i64_e64 s1, s[10:11], v[2:3]
	v_mov_b32_e32 v3, v7
	v_cmp_gt_i64_e64 s0, s[10:11], v[0:1]
	v_ashrrev_i32_e32 v1, 31, v0
	v_cmp_gt_i32_e32 vcc_lo, s3, v19
	v_or_b32_e32 v13, 0x2000, v18
	v_mad_u64_u32 v[16:17], null, s29, v2, v[3:4]
	v_mov_b32_e32 v3, v9
	v_add_co_u32 v17, s3, s4, v4
	s_delay_alu instid0(VALU_DEP_1) | instskip(NEXT) | instid1(VALU_DEP_3)
	v_add_co_ci_u32_e64 v19, s3, s5, v5, s3
	v_mad_u64_u32 v[4:5], null, s23, v0, v[3:4]
	v_mov_b32_e32 v7, v16
	v_lshlrev_b64 v[1:2], 3, v[0:1]
	s_mul_i32 s3, s31, s15
	s_mul_hi_u32 s4, s30, s15
	v_add_nc_u32_e32 v16, 0x800, v13
	v_lshlrev_b64 v[5:6], 3, v[6:7]
	s_add_i32 s5, s4, s3
	s_mul_i32 s4, s30, s15
	v_add_co_u32 v0, s3, v17, v1
	s_lshl_b64 s[4:5], s[4:5], 3
	v_mov_b32_e32 v9, v4
	v_add_co_ci_u32_e64 v1, s3, v19, v2, s3
	v_add_co_u32 v4, s3, s4, v5
	s_delay_alu instid0(VALU_DEP_1)
	v_add_co_ci_u32_e64 v5, s3, s5, v6, s3
	s_mul_i32 s3, s25, s15
	s_mul_hi_u32 s4, s24, s15
	v_lshlrev_b64 v[2:3], 3, v[8:9]
	s_add_i32 s5, s4, s3
	s_mul_i32 s4, s24, s15
	v_lshlrev_b32_e32 v6, 3, v11
	s_lshl_b64 s[4:5], s[4:5], 3
	v_add_nc_u32_e32 v14, v12, v18
	v_add_co_u32 v2, s3, s4, v2
	s_delay_alu instid0(VALU_DEP_1) | instskip(SKIP_1) | instid1(VALU_DEP_1)
	v_add_co_ci_u32_e64 v3, s3, s5, v3, s3
	v_add_co_u32 v4, s3, v4, v6
	v_add_co_ci_u32_e64 v5, s3, 0, v5, s3
	s_delay_alu instid0(VALU_DEP_4) | instskip(NEXT) | instid1(VALU_DEP_1)
	v_add_co_u32 v2, s3, v2, v18
	v_add_co_ci_u32_e64 v3, s3, 0, v3, s3
	s_delay_alu instid0(VALU_DEP_4) | instskip(NEXT) | instid1(VALU_DEP_1)
	;; [unrolled: 3-line block ×4, first 2 shown]
	v_add_co_u32 v2, s3, v4, 4
	v_add_co_ci_u32_e64 v3, s3, 0, v5, s3
	s_delay_alu instid0(VALU_DEP_4)
	v_add_co_u32 v4, s3, v6, 4
	v_add_nc_u32_e32 v15, v13, v12
	v_add_co_ci_u32_e64 v5, s3, 0, v7, s3
	v_add_nc_u32_e32 v17, 0x1000, v13
	v_add_nc_u32_e32 v18, 0x1800, v13
	s_and_b32 s4, s2, vcc_lo
	s_mov_b64 s[2:3], 0
	s_branch .LBB1154_5
.LBB1154_4:                             ;   in Loop: Header=BB1154_5 Depth=1
	s_or_b32 exec_lo, exec_lo, s5
	s_add_u32 s2, s2, 32
	s_addc_u32 s3, s3, 0
	v_add_co_u32 v2, vcc_lo, 0x100, v2
	v_cmp_lt_i64_e64 s5, s[2:3], s[16:17]
	v_add_co_ci_u32_e32 v3, vcc_lo, 0, v3, vcc_lo
	v_add_co_u32 v4, vcc_lo, 0x100, v4
	v_add_co_ci_u32_e32 v5, vcc_lo, 0, v5, vcc_lo
	s_delay_alu instid0(VALU_DEP_4)
	s_and_b32 vcc_lo, exec_lo, s5
	s_waitcnt_vscnt null, 0x0
	s_barrier
	buffer_gl0_inv
	s_cbranch_vccz .LBB1154_11
.LBB1154_5:                             ; =>This Inner Loop Header: Depth=1
	v_add_co_u32 v6, s5, v10, s2
	s_delay_alu instid0(VALU_DEP_1) | instskip(NEXT) | instid1(VALU_DEP_1)
	v_add_co_ci_u32_e64 v7, null, 0, s3, s5
	v_cmp_gt_i64_e32 vcc_lo, s[16:17], v[6:7]
	v_dual_mov_b32 v6, 0 :: v_dual_mov_b32 v7, 0
	s_and_b32 s6, s0, vcc_lo
	s_delay_alu instid0(SALU_CYCLE_1)
	s_and_saveexec_b32 s5, s6
	s_cbranch_execz .LBB1154_7
; %bb.6:                                ;   in Loop: Header=BB1154_5 Depth=1
	global_load_b64 v[6:7], v[4:5], off offset:-4
.LBB1154_7:                             ;   in Loop: Header=BB1154_5 Depth=1
	s_or_b32 exec_lo, exec_lo, s5
	v_add_co_u32 v8, s5, v11, s2
	s_delay_alu instid0(VALU_DEP_1)
	v_add_co_ci_u32_e64 v9, null, 0, s3, s5
	s_waitcnt vmcnt(0)
	ds_store_b64 v14, v[6:7]
	v_cmp_gt_i64_e32 vcc_lo, s[16:17], v[8:9]
	v_dual_mov_b32 v8, 0 :: v_dual_mov_b32 v9, 0
	s_and_b32 s6, s1, vcc_lo
	s_delay_alu instid0(SALU_CYCLE_1)
	s_and_saveexec_b32 s5, s6
	s_cbranch_execz .LBB1154_9
; %bb.8:                                ;   in Loop: Header=BB1154_5 Depth=1
	global_load_b64 v[8:9], v[2:3], off offset:-4
.LBB1154_9:                             ;   in Loop: Header=BB1154_5 Depth=1
	s_or_b32 exec_lo, exec_lo, s5
	s_waitcnt vmcnt(0)
	ds_store_b64 v15, v[8:9]
	s_waitcnt lgkmcnt(0)
	s_barrier
	buffer_gl0_inv
	s_and_saveexec_b32 s5, s4
	s_cbranch_execz .LBB1154_4
; %bb.10:                               ;   in Loop: Header=BB1154_5 Depth=1
	ds_load_b128 v[6:9], v12
	ds_load_b128 v[19:22], v12 offset:16
	ds_load_b128 v[23:26], v12 offset:32
	;; [unrolled: 1-line block ×3, first 2 shown]
	ds_load_2addr_b64 v[31:34], v13 offset1:32
	s_waitcnt lgkmcnt(0)
	v_mul_f32_e32 v35, v32, v7
	v_mul_f32_e32 v7, v31, v7
	s_delay_alu instid0(VALU_DEP_2) | instskip(NEXT) | instid1(VALU_DEP_2)
	v_fma_f32 v35, v31, v6, -v35
	v_fmac_f32_e32 v7, v32, v6
	v_mul_f32_e32 v31, v34, v9
	s_delay_alu instid0(VALU_DEP_3) | instskip(NEXT) | instid1(VALU_DEP_3)
	v_dual_mul_f32 v9, v33, v9 :: v_dual_add_f32 v6, 0, v35
	v_add_f32_e32 v7, 0, v7
	s_delay_alu instid0(VALU_DEP_3) | instskip(NEXT) | instid1(VALU_DEP_3)
	v_fma_f32 v31, v33, v8, -v31
	v_fmac_f32_e32 v9, v34, v8
	s_delay_alu instid0(VALU_DEP_1) | instskip(SKIP_3) | instid1(VALU_DEP_1)
	v_dual_add_f32 v31, v6, v31 :: v_dual_add_f32 v32, v7, v9
	ds_load_2addr_b64 v[6:9], v13 offset0:64 offset1:96
	s_waitcnt lgkmcnt(0)
	v_mul_f32_e32 v33, v7, v20
	v_fma_f32 v33, v6, v19, -v33
	v_mul_f32_e32 v6, v6, v20
	s_delay_alu instid0(VALU_DEP_1) | instskip(NEXT) | instid1(VALU_DEP_1)
	v_dual_fmac_f32 v6, v7, v19 :: v_dual_mul_f32 v19, v9, v22
	v_add_f32_e32 v6, v32, v6
	s_delay_alu instid0(VALU_DEP_2) | instskip(SKIP_1) | instid1(VALU_DEP_1)
	v_fma_f32 v19, v8, v21, -v19
	v_mul_f32_e32 v8, v8, v22
	v_fmac_f32_e32 v8, v9, v21
	s_delay_alu instid0(VALU_DEP_1) | instskip(NEXT) | instid1(VALU_DEP_1)
	v_dual_add_f32 v7, v31, v33 :: v_dual_add_f32 v20, v6, v8
	v_add_f32_e32 v19, v7, v19
	ds_load_2addr_b64 v[6:9], v13 offset0:128 offset1:160
	s_waitcnt lgkmcnt(0)
	v_mul_f32_e32 v21, v7, v24
	s_delay_alu instid0(VALU_DEP_1) | instskip(SKIP_1) | instid1(VALU_DEP_1)
	v_fma_f32 v21, v6, v23, -v21
	v_mul_f32_e32 v6, v6, v24
	v_fmac_f32_e32 v6, v7, v23
	s_delay_alu instid0(VALU_DEP_1) | instskip(SKIP_1) | instid1(VALU_DEP_1)
	v_dual_add_f32 v6, v20, v6 :: v_dual_add_f32 v7, v19, v21
	v_mul_f32_e32 v19, v9, v26
	v_fma_f32 v19, v8, v25, -v19
	v_mul_f32_e32 v8, v8, v26
	s_delay_alu instid0(VALU_DEP_1) | instskip(NEXT) | instid1(VALU_DEP_1)
	v_fmac_f32_e32 v8, v9, v25
	v_dual_add_f32 v20, v6, v8 :: v_dual_add_f32 v19, v7, v19
	ds_load_2addr_b64 v[6:9], v13 offset0:192 offset1:224
	s_waitcnt lgkmcnt(0)
	v_mul_f32_e32 v21, v7, v28
	s_delay_alu instid0(VALU_DEP_1) | instskip(SKIP_1) | instid1(VALU_DEP_1)
	v_fma_f32 v21, v6, v27, -v21
	v_mul_f32_e32 v6, v6, v28
	v_fmac_f32_e32 v6, v7, v27
	s_delay_alu instid0(VALU_DEP_1) | instskip(SKIP_1) | instid1(VALU_DEP_1)
	v_dual_add_f32 v6, v20, v6 :: v_dual_add_f32 v7, v19, v21
	v_mul_f32_e32 v19, v9, v30
	v_fma_f32 v19, v8, v29, -v19
	v_mul_f32_e32 v8, v8, v30
	s_delay_alu instid0(VALU_DEP_1) | instskip(NEXT) | instid1(VALU_DEP_1)
	v_fmac_f32_e32 v8, v9, v29
	v_dual_add_f32 v24, v6, v8 :: v_dual_add_f32 v23, v7, v19
	ds_load_b128 v[6:9], v12 offset:64
	ds_load_2addr_b64 v[19:22], v16 offset1:32
	s_waitcnt lgkmcnt(0)
	v_mul_f32_e32 v25, v20, v7
	v_mul_f32_e32 v7, v19, v7
	s_delay_alu instid0(VALU_DEP_2) | instskip(SKIP_1) | instid1(VALU_DEP_3)
	v_fma_f32 v25, v19, v6, -v25
	v_mul_f32_e32 v19, v22, v9
	v_fmac_f32_e32 v7, v20, v6
	v_mul_f32_e32 v9, v21, v9
	s_delay_alu instid0(VALU_DEP_4) | instskip(NEXT) | instid1(VALU_DEP_4)
	v_add_f32_e32 v6, v23, v25
	v_fma_f32 v19, v21, v8, -v19
	s_delay_alu instid0(VALU_DEP_3) | instskip(NEXT) | instid1(VALU_DEP_2)
	v_fmac_f32_e32 v9, v22, v8
	v_add_f32_e32 v23, v6, v19
	v_add_f32_e32 v7, v24, v7
	s_delay_alu instid0(VALU_DEP_1)
	v_add_f32_e32 v24, v7, v9
	ds_load_b128 v[6:9], v12 offset:80
	ds_load_2addr_b64 v[19:22], v16 offset0:64 offset1:96
	s_waitcnt lgkmcnt(0)
	v_mul_f32_e32 v25, v20, v7
	v_mul_f32_e32 v7, v19, v7
	s_delay_alu instid0(VALU_DEP_2) | instskip(NEXT) | instid1(VALU_DEP_2)
	v_fma_f32 v25, v19, v6, -v25
	v_fmac_f32_e32 v7, v20, v6
	v_mul_f32_e32 v19, v22, v9
	v_mul_f32_e32 v9, v21, v9
	s_delay_alu instid0(VALU_DEP_3) | instskip(NEXT) | instid1(VALU_DEP_3)
	v_add_f32_e32 v7, v24, v7
	v_fma_f32 v19, v21, v8, -v19
	s_delay_alu instid0(VALU_DEP_3) | instskip(NEXT) | instid1(VALU_DEP_1)
	v_fmac_f32_e32 v9, v22, v8
	v_add_f32_e32 v24, v7, v9
	v_add_f32_e32 v6, v23, v25
	s_delay_alu instid0(VALU_DEP_1)
	v_add_f32_e32 v23, v6, v19
	ds_load_b128 v[6:9], v12 offset:96
	ds_load_2addr_b64 v[19:22], v16 offset0:128 offset1:160
	s_waitcnt lgkmcnt(0)
	v_mul_f32_e32 v25, v20, v7
	v_mul_f32_e32 v7, v19, v7
	s_delay_alu instid0(VALU_DEP_2) | instskip(NEXT) | instid1(VALU_DEP_2)
	v_fma_f32 v25, v19, v6, -v25
	v_fmac_f32_e32 v7, v20, v6
	v_mul_f32_e32 v19, v22, v9
	v_mul_f32_e32 v9, v21, v9
	s_delay_alu instid0(VALU_DEP_3) | instskip(NEXT) | instid1(VALU_DEP_3)
	v_dual_add_f32 v6, v23, v25 :: v_dual_add_f32 v7, v24, v7
	v_fma_f32 v19, v21, v8, -v19
	s_delay_alu instid0(VALU_DEP_3) | instskip(NEXT) | instid1(VALU_DEP_1)
	v_fmac_f32_e32 v9, v22, v8
	v_dual_add_f32 v23, v6, v19 :: v_dual_add_f32 v24, v7, v9
	ds_load_b128 v[6:9], v12 offset:112
	ds_load_2addr_b64 v[19:22], v16 offset0:192 offset1:224
	s_waitcnt lgkmcnt(0)
	v_mul_f32_e32 v25, v20, v7
	v_mul_f32_e32 v7, v19, v7
	s_delay_alu instid0(VALU_DEP_2) | instskip(NEXT) | instid1(VALU_DEP_2)
	v_fma_f32 v25, v19, v6, -v25
	v_fmac_f32_e32 v7, v20, v6
	v_mul_f32_e32 v19, v22, v9
	v_mul_f32_e32 v9, v21, v9
	s_delay_alu instid0(VALU_DEP_3) | instskip(NEXT) | instid1(VALU_DEP_3)
	v_dual_add_f32 v6, v23, v25 :: v_dual_add_f32 v7, v24, v7
	v_fma_f32 v19, v21, v8, -v19
	s_delay_alu instid0(VALU_DEP_3) | instskip(NEXT) | instid1(VALU_DEP_1)
	v_fmac_f32_e32 v9, v22, v8
	v_dual_add_f32 v23, v6, v19 :: v_dual_add_f32 v24, v7, v9
	ds_load_b128 v[6:9], v12 offset:128
	ds_load_2addr_b64 v[19:22], v17 offset1:32
	s_waitcnt lgkmcnt(0)
	v_mul_f32_e32 v25, v20, v7
	v_mul_f32_e32 v7, v19, v7
	s_delay_alu instid0(VALU_DEP_2) | instskip(NEXT) | instid1(VALU_DEP_2)
	v_fma_f32 v25, v19, v6, -v25
	v_fmac_f32_e32 v7, v20, v6
	v_mul_f32_e32 v19, v22, v9
	v_mul_f32_e32 v9, v21, v9
	s_delay_alu instid0(VALU_DEP_3) | instskip(NEXT) | instid1(VALU_DEP_3)
	v_dual_add_f32 v6, v23, v25 :: v_dual_add_f32 v7, v24, v7
	v_fma_f32 v19, v21, v8, -v19
	s_delay_alu instid0(VALU_DEP_3) | instskip(NEXT) | instid1(VALU_DEP_1)
	v_fmac_f32_e32 v9, v22, v8
	v_dual_add_f32 v23, v6, v19 :: v_dual_add_f32 v24, v7, v9
	ds_load_b128 v[6:9], v12 offset:144
	ds_load_2addr_b64 v[19:22], v17 offset0:64 offset1:96
	s_waitcnt lgkmcnt(0)
	v_mul_f32_e32 v25, v20, v7
	v_mul_f32_e32 v7, v19, v7
	s_delay_alu instid0(VALU_DEP_2) | instskip(NEXT) | instid1(VALU_DEP_2)
	v_fma_f32 v25, v19, v6, -v25
	v_fmac_f32_e32 v7, v20, v6
	v_mul_f32_e32 v19, v22, v9
	v_mul_f32_e32 v9, v21, v9
	s_delay_alu instid0(VALU_DEP_3) | instskip(NEXT) | instid1(VALU_DEP_3)
	v_dual_add_f32 v6, v23, v25 :: v_dual_add_f32 v7, v24, v7
	v_fma_f32 v19, v21, v8, -v19
	s_delay_alu instid0(VALU_DEP_3) | instskip(NEXT) | instid1(VALU_DEP_1)
	v_fmac_f32_e32 v9, v22, v8
	v_dual_add_f32 v23, v6, v19 :: v_dual_add_f32 v24, v7, v9
	ds_load_b128 v[6:9], v12 offset:160
	ds_load_2addr_b64 v[19:22], v17 offset0:128 offset1:160
	;; [unrolled: 16-line block ×3, first 2 shown]
	s_waitcnt lgkmcnt(0)
	v_mul_f32_e32 v25, v20, v7
	v_mul_f32_e32 v7, v19, v7
	s_delay_alu instid0(VALU_DEP_2) | instskip(NEXT) | instid1(VALU_DEP_2)
	v_fma_f32 v25, v19, v6, -v25
	v_fmac_f32_e32 v7, v20, v6
	v_mul_f32_e32 v19, v22, v9
	v_mul_f32_e32 v9, v21, v9
	s_delay_alu instid0(VALU_DEP_3) | instskip(NEXT) | instid1(VALU_DEP_3)
	v_dual_add_f32 v6, v23, v25 :: v_dual_add_f32 v7, v24, v7
	v_fma_f32 v19, v21, v8, -v19
	s_delay_alu instid0(VALU_DEP_3) | instskip(NEXT) | instid1(VALU_DEP_1)
	v_fmac_f32_e32 v9, v22, v8
	v_dual_add_f32 v23, v6, v19 :: v_dual_add_f32 v24, v7, v9
	ds_load_b128 v[6:9], v12 offset:192
	ds_load_2addr_b64 v[19:22], v18 offset1:32
	s_waitcnt lgkmcnt(0)
	v_mul_f32_e32 v25, v20, v7
	v_mul_f32_e32 v7, v19, v7
	s_delay_alu instid0(VALU_DEP_2) | instskip(NEXT) | instid1(VALU_DEP_2)
	v_fma_f32 v25, v19, v6, -v25
	v_fmac_f32_e32 v7, v20, v6
	v_mul_f32_e32 v19, v22, v9
	v_mul_f32_e32 v9, v21, v9
	s_delay_alu instid0(VALU_DEP_3) | instskip(NEXT) | instid1(VALU_DEP_3)
	v_dual_add_f32 v6, v23, v25 :: v_dual_add_f32 v7, v24, v7
	v_fma_f32 v19, v21, v8, -v19
	s_delay_alu instid0(VALU_DEP_3) | instskip(NEXT) | instid1(VALU_DEP_1)
	v_fmac_f32_e32 v9, v22, v8
	v_dual_add_f32 v23, v6, v19 :: v_dual_add_f32 v24, v7, v9
	ds_load_b128 v[6:9], v12 offset:208
	ds_load_2addr_b64 v[19:22], v18 offset0:64 offset1:96
	s_waitcnt lgkmcnt(0)
	v_mul_f32_e32 v25, v20, v7
	v_mul_f32_e32 v7, v19, v7
	s_delay_alu instid0(VALU_DEP_2) | instskip(NEXT) | instid1(VALU_DEP_2)
	v_fma_f32 v25, v19, v6, -v25
	v_fmac_f32_e32 v7, v20, v6
	v_mul_f32_e32 v19, v22, v9
	v_mul_f32_e32 v9, v21, v9
	s_delay_alu instid0(VALU_DEP_3) | instskip(NEXT) | instid1(VALU_DEP_3)
	v_dual_add_f32 v6, v23, v25 :: v_dual_add_f32 v7, v24, v7
	v_fma_f32 v19, v21, v8, -v19
	s_delay_alu instid0(VALU_DEP_3) | instskip(NEXT) | instid1(VALU_DEP_1)
	v_fmac_f32_e32 v9, v22, v8
	v_dual_add_f32 v23, v6, v19 :: v_dual_add_f32 v24, v7, v9
	ds_load_b128 v[6:9], v12 offset:224
	ds_load_2addr_b64 v[19:22], v18 offset0:128 offset1:160
	;; [unrolled: 16-line block ×3, first 2 shown]
	s_waitcnt lgkmcnt(0)
	v_mul_f32_e32 v25, v20, v7
	v_mul_f32_e32 v7, v19, v7
	s_delay_alu instid0(VALU_DEP_2) | instskip(NEXT) | instid1(VALU_DEP_2)
	v_fma_f32 v25, v19, v6, -v25
	v_fmac_f32_e32 v7, v20, v6
	v_mul_f32_e32 v19, v22, v9
	v_mul_f32_e32 v9, v21, v9
	s_delay_alu instid0(VALU_DEP_3) | instskip(NEXT) | instid1(VALU_DEP_3)
	v_dual_add_f32 v6, v23, v25 :: v_dual_add_f32 v7, v24, v7
	v_fma_f32 v19, v21, v8, -v19
	s_delay_alu instid0(VALU_DEP_3) | instskip(NEXT) | instid1(VALU_DEP_1)
	v_fmac_f32_e32 v9, v22, v8
	v_dual_add_f32 v8, v6, v19 :: v_dual_add_f32 v9, v7, v9
	s_delay_alu instid0(VALU_DEP_1) | instskip(NEXT) | instid1(VALU_DEP_1)
	v_dual_mul_f32 v7, s9, v8 :: v_dual_mul_f32 v6, s9, v9
	v_fmac_f32_e32 v7, s8, v9
	s_delay_alu instid0(VALU_DEP_2)
	v_fma_f32 v6, s8, v8, -v6
	global_load_b64 v[8:9], v[0:1], off
	s_waitcnt vmcnt(0)
	v_dual_add_f32 v6, v8, v6 :: v_dual_add_f32 v7, v9, v7
	global_store_b64 v[0:1], v[6:7], off
	s_branch .LBB1154_4
.LBB1154_11:
	s_endpgm
	.section	.rodata,"a",@progbits
	.p2align	6, 0x0
	.amdhsa_kernel _ZL26rocblas_syr2k_her2k_kernelIlLb0ELb0ELb1ELi32EPK19rocblas_complex_numIfES3_PS1_EvbiT_T4_T5_S5_lS7_S5_lT6_S5_li
		.amdhsa_group_segment_fixed_size 16384
		.amdhsa_private_segment_fixed_size 0
		.amdhsa_kernarg_size 100
		.amdhsa_user_sgpr_count 13
		.amdhsa_user_sgpr_dispatch_ptr 0
		.amdhsa_user_sgpr_queue_ptr 0
		.amdhsa_user_sgpr_kernarg_segment_ptr 1
		.amdhsa_user_sgpr_dispatch_id 0
		.amdhsa_user_sgpr_private_segment_size 0
		.amdhsa_wavefront_size32 1
		.amdhsa_uses_dynamic_stack 0
		.amdhsa_enable_private_segment 0
		.amdhsa_system_sgpr_workgroup_id_x 1
		.amdhsa_system_sgpr_workgroup_id_y 1
		.amdhsa_system_sgpr_workgroup_id_z 1
		.amdhsa_system_sgpr_workgroup_info 0
		.amdhsa_system_vgpr_workitem_id 1
		.amdhsa_next_free_vgpr 36
		.amdhsa_next_free_sgpr 32
		.amdhsa_reserve_vcc 1
		.amdhsa_float_round_mode_32 0
		.amdhsa_float_round_mode_16_64 0
		.amdhsa_float_denorm_mode_32 3
		.amdhsa_float_denorm_mode_16_64 3
		.amdhsa_dx10_clamp 1
		.amdhsa_ieee_mode 1
		.amdhsa_fp16_overflow 0
		.amdhsa_workgroup_processor_mode 1
		.amdhsa_memory_ordered 1
		.amdhsa_forward_progress 0
		.amdhsa_shared_vgpr_count 0
		.amdhsa_exception_fp_ieee_invalid_op 0
		.amdhsa_exception_fp_denorm_src 0
		.amdhsa_exception_fp_ieee_div_zero 0
		.amdhsa_exception_fp_ieee_overflow 0
		.amdhsa_exception_fp_ieee_underflow 0
		.amdhsa_exception_fp_ieee_inexact 0
		.amdhsa_exception_int_div_zero 0
	.end_amdhsa_kernel
	.section	.text._ZL26rocblas_syr2k_her2k_kernelIlLb0ELb0ELb1ELi32EPK19rocblas_complex_numIfES3_PS1_EvbiT_T4_T5_S5_lS7_S5_lT6_S5_li,"axG",@progbits,_ZL26rocblas_syr2k_her2k_kernelIlLb0ELb0ELb1ELi32EPK19rocblas_complex_numIfES3_PS1_EvbiT_T4_T5_S5_lS7_S5_lT6_S5_li,comdat
.Lfunc_end1154:
	.size	_ZL26rocblas_syr2k_her2k_kernelIlLb0ELb0ELb1ELi32EPK19rocblas_complex_numIfES3_PS1_EvbiT_T4_T5_S5_lS7_S5_lT6_S5_li, .Lfunc_end1154-_ZL26rocblas_syr2k_her2k_kernelIlLb0ELb0ELb1ELi32EPK19rocblas_complex_numIfES3_PS1_EvbiT_T4_T5_S5_lS7_S5_lT6_S5_li
                                        ; -- End function
	.section	.AMDGPU.csdata,"",@progbits
; Kernel info:
; codeLenInByte = 2436
; NumSgprs: 34
; NumVgprs: 36
; ScratchSize: 0
; MemoryBound: 0
; FloatMode: 240
; IeeeMode: 1
; LDSByteSize: 16384 bytes/workgroup (compile time only)
; SGPRBlocks: 4
; VGPRBlocks: 4
; NumSGPRsForWavesPerEU: 34
; NumVGPRsForWavesPerEU: 36
; Occupancy: 16
; WaveLimiterHint : 0
; COMPUTE_PGM_RSRC2:SCRATCH_EN: 0
; COMPUTE_PGM_RSRC2:USER_SGPR: 13
; COMPUTE_PGM_RSRC2:TRAP_HANDLER: 0
; COMPUTE_PGM_RSRC2:TGID_X_EN: 1
; COMPUTE_PGM_RSRC2:TGID_Y_EN: 1
; COMPUTE_PGM_RSRC2:TGID_Z_EN: 1
; COMPUTE_PGM_RSRC2:TIDIG_COMP_CNT: 1
	.section	.text._ZL26rocblas_syr2k_her2k_kernelIlLb0ELb0ELb0ELi32E19rocblas_complex_numIdEPKS1_PS1_EvbiT_T4_T5_S5_lS7_S5_lT6_S5_li,"axG",@progbits,_ZL26rocblas_syr2k_her2k_kernelIlLb0ELb0ELb0ELi32E19rocblas_complex_numIdEPKS1_PS1_EvbiT_T4_T5_S5_lS7_S5_lT6_S5_li,comdat
	.globl	_ZL26rocblas_syr2k_her2k_kernelIlLb0ELb0ELb0ELi32E19rocblas_complex_numIdEPKS1_PS1_EvbiT_T4_T5_S5_lS7_S5_lT6_S5_li ; -- Begin function _ZL26rocblas_syr2k_her2k_kernelIlLb0ELb0ELb0ELi32E19rocblas_complex_numIdEPKS1_PS1_EvbiT_T4_T5_S5_lS7_S5_lT6_S5_li
	.p2align	8
	.type	_ZL26rocblas_syr2k_her2k_kernelIlLb0ELb0ELb0ELi32E19rocblas_complex_numIdEPKS1_PS1_EvbiT_T4_T5_S5_lS7_S5_lT6_S5_li,@function
_ZL26rocblas_syr2k_her2k_kernelIlLb0ELb0ELb0ELi32E19rocblas_complex_numIdEPKS1_PS1_EvbiT_T4_T5_S5_lS7_S5_lT6_S5_li: ; @_ZL26rocblas_syr2k_her2k_kernelIlLb0ELb0ELb0ELi32E19rocblas_complex_numIdEPKS1_PS1_EvbiT_T4_T5_S5_lS7_S5_lT6_S5_li
; %bb.0:
	s_load_b512 s[16:31], s[0:1], 0x8
	s_waitcnt lgkmcnt(0)
	v_cmp_eq_f64_e64 s2, s[18:19], 0
	v_cmp_eq_f64_e64 s3, s[20:21], 0
	s_delay_alu instid0(VALU_DEP_1) | instskip(NEXT) | instid1(SALU_CYCLE_1)
	s_and_b32 s2, s2, s3
	s_and_b32 vcc_lo, exec_lo, s2
	s_cbranch_vccnz .LBB1155_11
; %bb.1:
	s_load_b64 s[2:3], s[0:1], 0x0
	s_lshl_b32 s12, s14, 5
	s_lshl_b32 s13, s13, 5
	s_waitcnt lgkmcnt(0)
	s_and_b32 s2, 1, s2
	s_delay_alu instid0(SALU_CYCLE_1) | instskip(SKIP_1) | instid1(SALU_CYCLE_1)
	s_cmp_eq_u32 s2, 1
	s_cselect_b32 s2, -1, 0
	s_and_b32 s4, s2, exec_lo
	s_cselect_b32 s4, s13, s12
	s_cselect_b32 s5, s12, s13
	s_delay_alu instid0(SALU_CYCLE_1)
	s_cmp_gt_i32 s4, s5
	s_cbranch_scc1 .LBB1155_11
; %bb.2:
	v_cmp_lt_i64_e64 s4, s[16:17], 1
	s_delay_alu instid0(VALU_DEP_1)
	s_and_b32 vcc_lo, exec_lo, s4
	s_cbranch_vccnz .LBB1155_11
; %bb.3:
	s_load_b256 s[4:11], s[0:1], 0x48
	v_bfe_u32 v14, v0, 10, 10
	v_and_b32_e32 v15, 0x3ff, v0
	s_delay_alu instid0(VALU_DEP_2) | instskip(NEXT) | instid1(VALU_DEP_1)
	v_dual_mov_b32 v1, 0 :: v_dual_add_nc_u32 v2, s12, v14
	v_dual_mov_b32 v3, v1 :: v_dual_add_nc_u32 v0, s13, v15
	v_lshlrev_b32_e32 v8, 4, v14
	v_lshlrev_b32_e32 v16, 9, v15
	s_delay_alu instid0(VALU_DEP_4) | instskip(NEXT) | instid1(VALU_DEP_4)
	v_ashrrev_i32_e32 v5, 31, v2
	v_max_i32_e32 v4, v0, v2
	v_cndmask_b32_e64 v6, v0, v2, s2
	v_cndmask_b32_e64 v7, v2, v0, s2
	v_or_b32_e32 v17, 0x4000, v8
	v_add_nc_u32_e32 v18, v16, v8
	v_cmp_gt_i32_e32 vcc_lo, s3, v4
	v_mov_b32_e32 v8, v0
	s_mov_b32 s12, s3
	s_waitcnt lgkmcnt(0)
	v_mul_lo_u32 v9, v5, s8
	v_mul_lo_u32 v10, v2, s9
	v_mad_u64_u32 v[4:5], null, v2, s8, 0
	s_mul_i32 s1, s15, s11
	s_mul_hi_u32 s2, s15, s10
	s_mul_i32 s0, s15, s10
	s_add_i32 s1, s2, s1
	v_cmp_le_i32_e64 s2, v7, v6
	v_mad_u64_u32 v[6:7], null, s30, v15, 0
	s_delay_alu instid0(VALU_DEP_3) | instskip(SKIP_3) | instid1(VALU_DEP_3)
	v_add3_u32 v5, v5, v10, v9
	v_mad_u64_u32 v[10:11], null, s24, v14, 0
	s_lshl_b64 s[0:1], s[0:1], 4
	v_ashrrev_i32_e32 v9, 31, v0
	v_lshlrev_b64 v[4:5], 4, v[4:5]
	v_mad_u64_u32 v[12:13], null, s31, v15, v[7:8]
	s_add_u32 s6, s6, s0
	s_addc_u32 s7, s7, s1
	s_and_b32 s8, s2, vcc_lo
	s_delay_alu instid0(VALU_DEP_2)
	v_add_co_u32 v13, vcc_lo, s6, v4
	v_add_nc_u32_e32 v19, v17, v16
	v_add_co_ci_u32_e32 v20, vcc_lo, s7, v5, vcc_lo
	v_lshlrev_b64 v[4:5], 4, v[8:9]
	v_dual_mov_b32 v8, v11 :: v_dual_mov_b32 v7, v12
	s_ashr_i32 s13, s3, 31
	s_mul_i32 s2, s5, s15
	s_mul_hi_u32 s3, s4, s15
	s_delay_alu instid0(VALU_DEP_1)
	v_mad_u64_u32 v[11:12], null, s25, v14, v[8:9]
	v_lshlrev_b64 v[6:7], 4, v[6:7]
	s_add_i32 s3, s3, s2
	s_mul_i32 s2, s4, s15
	v_add_co_u32 v8, vcc_lo, v13, v4
	s_lshl_b64 s[2:3], s[2:3], 4
	v_add_co_ci_u32_e32 v9, vcc_lo, v20, v5, vcc_lo
	v_add_co_u32 v6, vcc_lo, s2, v6
	v_add_co_ci_u32_e32 v7, vcc_lo, s3, v7, vcc_lo
	s_mul_i32 s2, s27, s15
	s_mul_hi_u32 s3, s26, s15
	v_lshlrev_b64 v[4:5], 4, v[10:11]
	s_add_i32 s3, s3, s2
	s_mul_i32 s2, s26, s15
	v_cmp_gt_i64_e64 s1, s[12:13], v[2:3]
	v_lshlrev_b64 v[2:3], 4, v[2:3]
	s_lshl_b64 s[2:3], s[2:3], 4
	v_cmp_gt_i64_e64 s0, s[12:13], v[0:1]
	v_add_co_u32 v4, vcc_lo, s2, v4
	v_lshlrev_b64 v[0:1], 4, v[0:1]
	v_add_co_ci_u32_e32 v5, vcc_lo, s3, v5, vcc_lo
	v_add_co_u32 v2, vcc_lo, v6, v2
	v_add_co_ci_u32_e32 v3, vcc_lo, v7, v3, vcc_lo
	s_delay_alu instid0(VALU_DEP_4) | instskip(NEXT) | instid1(VALU_DEP_4)
	v_add_co_u32 v0, vcc_lo, v4, v0
	v_add_co_ci_u32_e32 v1, vcc_lo, v5, v1, vcc_lo
	s_delay_alu instid0(VALU_DEP_4) | instskip(NEXT) | instid1(VALU_DEP_4)
	;; [unrolled: 3-line block ×5, first 2 shown]
	v_add_co_u32 v12, vcc_lo, v0, 8
	v_add_co_ci_u32_e32 v13, vcc_lo, 0, v1, vcc_lo
	s_lshl_b64 s[2:3], s[30:31], 9
	s_lshl_b64 s[4:5], s[24:25], 9
	s_mov_b64 s[6:7], 0
	s_branch .LBB1155_5
.LBB1155_4:                             ;   in Loop: Header=BB1155_5 Depth=1
	s_or_b32 exec_lo, exec_lo, s9
	s_add_u32 s6, s6, 32
	s_addc_u32 s7, s7, 0
	v_add_co_u32 v10, vcc_lo, v10, s2
	v_cmp_lt_i64_e64 s9, s[6:7], s[16:17]
	v_add_co_ci_u32_e32 v11, vcc_lo, s3, v11, vcc_lo
	v_add_co_u32 v12, vcc_lo, v12, s4
	v_add_co_ci_u32_e32 v13, vcc_lo, s5, v13, vcc_lo
	s_delay_alu instid0(VALU_DEP_4)
	s_and_b32 vcc_lo, exec_lo, s9
	s_waitcnt_vscnt null, 0x0
	s_barrier
	buffer_gl0_inv
	s_cbranch_vccz .LBB1155_11
.LBB1155_5:                             ; =>This Inner Loop Header: Depth=1
	v_add_co_u32 v2, s9, v14, s6
	s_delay_alu instid0(VALU_DEP_1) | instskip(SKIP_2) | instid1(VALU_DEP_3)
	v_add_co_ci_u32_e64 v3, null, 0, s7, s9
	v_mov_b32_e32 v0, 0
	v_mov_b32_e32 v1, 0
	v_cmp_gt_i64_e32 vcc_lo, s[16:17], v[2:3]
	s_delay_alu instid0(VALU_DEP_2) | instskip(SKIP_2) | instid1(SALU_CYCLE_1)
	v_dual_mov_b32 v5, v1 :: v_dual_mov_b32 v4, v0
	v_dual_mov_b32 v7, v1 :: v_dual_mov_b32 v6, v0
	s_and_b32 s10, s0, vcc_lo
	s_and_saveexec_b32 s9, s10
	s_cbranch_execz .LBB1155_7
; %bb.6:                                ;   in Loop: Header=BB1155_5 Depth=1
	global_load_b128 v[4:7], v[12:13], off offset:-8
.LBB1155_7:                             ;   in Loop: Header=BB1155_5 Depth=1
	s_or_b32 exec_lo, exec_lo, s9
	v_add_co_u32 v2, s9, v15, s6
	s_delay_alu instid0(VALU_DEP_1)
	v_add_co_ci_u32_e64 v3, null, 0, s7, s9
	s_waitcnt vmcnt(0)
	ds_store_b128 v18, v[4:7]
	v_cmp_gt_i64_e32 vcc_lo, s[16:17], v[2:3]
	v_dual_mov_b32 v3, v1 :: v_dual_mov_b32 v2, v0
	s_and_b32 s10, s1, vcc_lo
	s_delay_alu instid0(SALU_CYCLE_1)
	s_and_saveexec_b32 s9, s10
	s_cbranch_execz .LBB1155_9
; %bb.8:                                ;   in Loop: Header=BB1155_5 Depth=1
	global_load_b128 v[0:3], v[10:11], off offset:-8
.LBB1155_9:                             ;   in Loop: Header=BB1155_5 Depth=1
	s_or_b32 exec_lo, exec_lo, s9
	s_waitcnt vmcnt(0)
	ds_store_b128 v19, v[0:3]
	s_waitcnt lgkmcnt(0)
	s_barrier
	buffer_gl0_inv
	s_and_saveexec_b32 s9, s8
	s_cbranch_execz .LBB1155_4
; %bb.10:                               ;   in Loop: Header=BB1155_5 Depth=1
	ds_load_b128 v[0:3], v17
	ds_load_b128 v[4:7], v16
	ds_load_b128 v[20:23], v16 offset:16
	ds_load_b128 v[24:27], v17 offset:512
	s_waitcnt lgkmcnt(2)
	v_mul_f64 v[28:29], v[0:1], v[6:7]
	v_mul_f64 v[6:7], v[2:3], v[6:7]
	s_waitcnt lgkmcnt(0)
	v_mul_f64 v[36:37], v[26:27], v[22:23]
	v_mul_f64 v[22:23], v[24:25], v[22:23]
	s_delay_alu instid0(VALU_DEP_4) | instskip(NEXT) | instid1(VALU_DEP_4)
	v_fma_f64 v[38:39], v[2:3], v[4:5], v[28:29]
	v_fma_f64 v[40:41], v[0:1], v[4:5], -v[6:7]
	ds_load_b128 v[0:3], v17 offset:1024
	ds_load_b128 v[4:7], v16 offset:32
	;; [unrolled: 1-line block ×4, first 2 shown]
	v_fma_f64 v[24:25], v[24:25], v[20:21], -v[36:37]
	v_fma_f64 v[20:21], v[26:27], v[20:21], v[22:23]
	s_waitcnt lgkmcnt(2)
	v_mul_f64 v[42:43], v[2:3], v[6:7]
	v_mul_f64 v[6:7], v[0:1], v[6:7]
	s_waitcnt lgkmcnt(0)
	v_mul_f64 v[36:37], v[34:35], v[30:31]
	v_mul_f64 v[30:31], v[32:33], v[30:31]
	v_add_f64 v[22:23], v[38:39], 0
	v_add_f64 v[26:27], v[40:41], 0
	v_fma_f64 v[38:39], v[0:1], v[4:5], -v[42:43]
	v_fma_f64 v[40:41], v[2:3], v[4:5], v[6:7]
	v_fma_f64 v[32:33], v[32:33], v[28:29], -v[36:37]
	v_fma_f64 v[28:29], v[34:35], v[28:29], v[30:31]
	v_add_f64 v[42:43], v[22:23], v[20:21]
	v_add_f64 v[44:45], v[26:27], v[24:25]
	ds_load_b128 v[0:3], v16 offset:64
	ds_load_b128 v[4:7], v17 offset:2048
	ds_load_b128 v[20:23], v17 offset:2560
	ds_load_b128 v[24:27], v16 offset:80
	s_waitcnt lgkmcnt(2)
	v_mul_f64 v[46:47], v[6:7], v[2:3]
	v_mul_f64 v[2:3], v[4:5], v[2:3]
	s_waitcnt lgkmcnt(0)
	v_mul_f64 v[36:37], v[22:23], v[26:27]
	v_add_f64 v[30:31], v[42:43], v[40:41]
	v_add_f64 v[34:35], v[44:45], v[38:39]
	v_mul_f64 v[38:39], v[20:21], v[26:27]
	v_fma_f64 v[40:41], v[4:5], v[0:1], -v[46:47]
	v_fma_f64 v[42:43], v[6:7], v[0:1], v[2:3]
	v_fma_f64 v[20:21], v[20:21], v[24:25], -v[36:37]
	v_add_f64 v[44:45], v[30:31], v[28:29]
	v_add_f64 v[34:35], v[34:35], v[32:33]
	ds_load_b128 v[0:3], v16 offset:96
	ds_load_b128 v[4:7], v17 offset:3072
	ds_load_b128 v[26:29], v17 offset:3584
	ds_load_b128 v[30:33], v16 offset:112
	v_fma_f64 v[22:23], v[22:23], v[24:25], v[38:39]
	s_waitcnt lgkmcnt(2)
	v_mul_f64 v[46:47], v[6:7], v[2:3]
	v_mul_f64 v[2:3], v[4:5], v[2:3]
	s_waitcnt lgkmcnt(0)
	v_mul_f64 v[36:37], v[28:29], v[32:33]
	v_mul_f64 v[38:39], v[26:27], v[32:33]
	v_add_f64 v[24:25], v[44:45], v[42:43]
	v_add_f64 v[34:35], v[34:35], v[40:41]
	v_fma_f64 v[40:41], v[4:5], v[0:1], -v[46:47]
	v_fma_f64 v[42:43], v[6:7], v[0:1], v[2:3]
	v_fma_f64 v[26:27], v[26:27], v[30:31], -v[36:37]
	v_fma_f64 v[28:29], v[28:29], v[30:31], v[38:39]
	v_add_f64 v[24:25], v[24:25], v[22:23]
	v_add_f64 v[44:45], v[34:35], v[20:21]
	ds_load_b128 v[0:3], v16 offset:128
	ds_load_b128 v[4:7], v17 offset:4096
	ds_load_b128 v[20:23], v17 offset:4608
	ds_load_b128 v[32:35], v16 offset:144
	s_waitcnt lgkmcnt(2)
	v_mul_f64 v[46:47], v[6:7], v[2:3]
	v_mul_f64 v[2:3], v[4:5], v[2:3]
	s_waitcnt lgkmcnt(0)
	v_mul_f64 v[36:37], v[22:23], v[34:35]
	v_mul_f64 v[34:35], v[20:21], v[34:35]
	v_add_f64 v[24:25], v[24:25], v[42:43]
	v_add_f64 v[30:31], v[44:45], v[40:41]
	v_fma_f64 v[38:39], v[4:5], v[0:1], -v[46:47]
	v_fma_f64 v[40:41], v[6:7], v[0:1], v[2:3]
	v_fma_f64 v[20:21], v[20:21], v[32:33], -v[36:37]
	v_fma_f64 v[22:23], v[22:23], v[32:33], v[34:35]
	v_add_f64 v[42:43], v[24:25], v[28:29]
	v_add_f64 v[44:45], v[30:31], v[26:27]
	ds_load_b128 v[0:3], v16 offset:160
	ds_load_b128 v[4:7], v17 offset:5120
	ds_load_b128 v[24:27], v17 offset:5632
	ds_load_b128 v[28:31], v16 offset:176
	s_waitcnt lgkmcnt(2)
	v_mul_f64 v[46:47], v[6:7], v[2:3]
	v_mul_f64 v[2:3], v[4:5], v[2:3]
	s_waitcnt lgkmcnt(0)
	v_mul_f64 v[36:37], v[26:27], v[30:31]
	v_add_f64 v[32:33], v[42:43], v[40:41]
	v_add_f64 v[34:35], v[44:45], v[38:39]
	v_mul_f64 v[38:39], v[24:25], v[30:31]
	v_fma_f64 v[40:41], v[4:5], v[0:1], -v[46:47]
	v_fma_f64 v[42:43], v[6:7], v[0:1], v[2:3]
	v_fma_f64 v[24:25], v[24:25], v[28:29], -v[36:37]
	v_add_f64 v[44:45], v[32:33], v[22:23]
	v_add_f64 v[34:35], v[34:35], v[20:21]
	ds_load_b128 v[0:3], v16 offset:192
	ds_load_b128 v[4:7], v17 offset:6144
	ds_load_b128 v[20:23], v17 offset:6656
	ds_load_b128 v[30:33], v16 offset:208
	v_fma_f64 v[26:27], v[26:27], v[28:29], v[38:39]
	s_waitcnt lgkmcnt(2)
	v_mul_f64 v[46:47], v[6:7], v[2:3]
	v_mul_f64 v[2:3], v[4:5], v[2:3]
	s_waitcnt lgkmcnt(0)
	v_mul_f64 v[36:37], v[22:23], v[32:33]
	v_mul_f64 v[38:39], v[20:21], v[32:33]
	v_add_f64 v[28:29], v[44:45], v[42:43]
	v_add_f64 v[34:35], v[34:35], v[40:41]
	v_fma_f64 v[40:41], v[4:5], v[0:1], -v[46:47]
	v_fma_f64 v[42:43], v[6:7], v[0:1], v[2:3]
	v_fma_f64 v[20:21], v[20:21], v[30:31], -v[36:37]
	v_fma_f64 v[22:23], v[22:23], v[30:31], v[38:39]
	v_add_f64 v[28:29], v[28:29], v[26:27]
	v_add_f64 v[44:45], v[34:35], v[24:25]
	ds_load_b128 v[0:3], v16 offset:224
	ds_load_b128 v[4:7], v17 offset:7168
	ds_load_b128 v[24:27], v17 offset:7680
	ds_load_b128 v[32:35], v16 offset:240
	;; [unrolled: 54-line block ×4, first 2 shown]
	s_waitcnt lgkmcnt(2)
	v_mul_f64 v[46:47], v[6:7], v[2:3]
	v_mul_f64 v[2:3], v[4:5], v[2:3]
	s_waitcnt lgkmcnt(0)
	v_mul_f64 v[38:39], v[26:27], v[34:35]
	v_add_f64 v[28:29], v[28:29], v[42:43]
	v_add_f64 v[30:31], v[44:45], v[40:41]
	v_mul_f64 v[40:41], v[24:25], v[34:35]
	v_fma_f64 v[42:43], v[4:5], v[0:1], -v[46:47]
	v_fma_f64 v[44:45], v[6:7], v[0:1], v[2:3]
	ds_load_b128 v[0:3], v16 offset:448
	ds_load_b128 v[4:7], v17 offset:14336
	v_fma_f64 v[24:25], v[24:25], v[32:33], -v[38:39]
	v_add_f64 v[46:47], v[28:29], v[22:23]
	v_add_f64 v[48:49], v[30:31], v[20:21]
	global_load_b128 v[20:23], v[8:9], off
	v_fma_f64 v[26:27], v[26:27], v[32:33], v[40:41]
	s_waitcnt lgkmcnt(0)
	v_mul_f64 v[50:51], v[6:7], v[2:3]
	v_mul_f64 v[2:3], v[4:5], v[2:3]
	ds_load_b128 v[28:31], v17 offset:14848
	ds_load_b128 v[34:37], v16 offset:464
	s_waitcnt lgkmcnt(0)
	v_mul_f64 v[40:41], v[30:31], v[36:37]
	v_add_f64 v[32:33], v[46:47], v[44:45]
	v_add_f64 v[38:39], v[48:49], v[42:43]
	v_mul_f64 v[42:43], v[28:29], v[36:37]
	v_fma_f64 v[44:45], v[4:5], v[0:1], -v[50:51]
	v_fma_f64 v[46:47], v[6:7], v[0:1], v[2:3]
	v_fma_f64 v[28:29], v[28:29], v[34:35], -v[40:41]
	v_add_f64 v[32:33], v[32:33], v[26:27]
	v_add_f64 v[48:49], v[38:39], v[24:25]
	ds_load_b128 v[0:3], v16 offset:480
	ds_load_b128 v[4:7], v17 offset:15360
	;; [unrolled: 1-line block ×4, first 2 shown]
	v_fma_f64 v[30:31], v[30:31], v[34:35], v[42:43]
	s_waitcnt lgkmcnt(2)
	v_mul_f64 v[50:51], v[6:7], v[2:3]
	v_mul_f64 v[2:3], v[4:5], v[2:3]
	s_waitcnt lgkmcnt(0)
	v_mul_f64 v[40:41], v[26:27], v[38:39]
	v_mul_f64 v[38:39], v[24:25], v[38:39]
	v_add_f64 v[32:33], v[32:33], v[46:47]
	v_add_f64 v[34:35], v[48:49], v[44:45]
	v_fma_f64 v[4:5], v[4:5], v[0:1], -v[50:51]
	v_fma_f64 v[0:1], v[6:7], v[0:1], v[2:3]
	v_fma_f64 v[24:25], v[24:25], v[36:37], -v[40:41]
	v_fma_f64 v[26:27], v[26:27], v[36:37], v[38:39]
	v_add_f64 v[2:3], v[32:33], v[30:31]
	v_add_f64 v[6:7], v[34:35], v[28:29]
	s_delay_alu instid0(VALU_DEP_2) | instskip(NEXT) | instid1(VALU_DEP_2)
	v_add_f64 v[0:1], v[2:3], v[0:1]
	v_add_f64 v[2:3], v[6:7], v[4:5]
	s_delay_alu instid0(VALU_DEP_2) | instskip(NEXT) | instid1(VALU_DEP_2)
	;; [unrolled: 3-line block ×3, first 2 shown]
	v_mul_f64 v[4:5], s[20:21], v[0:1]
	v_mul_f64 v[6:7], s[20:21], v[2:3]
	s_delay_alu instid0(VALU_DEP_2) | instskip(NEXT) | instid1(VALU_DEP_2)
	v_fma_f64 v[2:3], s[18:19], v[2:3], -v[4:5]
	v_fma_f64 v[4:5], s[18:19], v[0:1], v[6:7]
	s_waitcnt vmcnt(0)
	s_delay_alu instid0(VALU_DEP_2) | instskip(NEXT) | instid1(VALU_DEP_2)
	v_add_f64 v[0:1], v[20:21], v[2:3]
	v_add_f64 v[2:3], v[22:23], v[4:5]
	global_store_b128 v[8:9], v[0:3], off
	s_branch .LBB1155_4
.LBB1155_11:
	s_endpgm
	.section	.rodata,"a",@progbits
	.p2align	6, 0x0
	.amdhsa_kernel _ZL26rocblas_syr2k_her2k_kernelIlLb0ELb0ELb0ELi32E19rocblas_complex_numIdEPKS1_PS1_EvbiT_T4_T5_S5_lS7_S5_lT6_S5_li
		.amdhsa_group_segment_fixed_size 32768
		.amdhsa_private_segment_fixed_size 0
		.amdhsa_kernarg_size 108
		.amdhsa_user_sgpr_count 13
		.amdhsa_user_sgpr_dispatch_ptr 0
		.amdhsa_user_sgpr_queue_ptr 0
		.amdhsa_user_sgpr_kernarg_segment_ptr 1
		.amdhsa_user_sgpr_dispatch_id 0
		.amdhsa_user_sgpr_private_segment_size 0
		.amdhsa_wavefront_size32 1
		.amdhsa_uses_dynamic_stack 0
		.amdhsa_enable_private_segment 0
		.amdhsa_system_sgpr_workgroup_id_x 1
		.amdhsa_system_sgpr_workgroup_id_y 1
		.amdhsa_system_sgpr_workgroup_id_z 1
		.amdhsa_system_sgpr_workgroup_info 0
		.amdhsa_system_vgpr_workitem_id 1
		.amdhsa_next_free_vgpr 52
		.amdhsa_next_free_sgpr 32
		.amdhsa_reserve_vcc 1
		.amdhsa_float_round_mode_32 0
		.amdhsa_float_round_mode_16_64 0
		.amdhsa_float_denorm_mode_32 3
		.amdhsa_float_denorm_mode_16_64 3
		.amdhsa_dx10_clamp 1
		.amdhsa_ieee_mode 1
		.amdhsa_fp16_overflow 0
		.amdhsa_workgroup_processor_mode 1
		.amdhsa_memory_ordered 1
		.amdhsa_forward_progress 0
		.amdhsa_shared_vgpr_count 0
		.amdhsa_exception_fp_ieee_invalid_op 0
		.amdhsa_exception_fp_denorm_src 0
		.amdhsa_exception_fp_ieee_div_zero 0
		.amdhsa_exception_fp_ieee_overflow 0
		.amdhsa_exception_fp_ieee_underflow 0
		.amdhsa_exception_fp_ieee_inexact 0
		.amdhsa_exception_int_div_zero 0
	.end_amdhsa_kernel
	.section	.text._ZL26rocblas_syr2k_her2k_kernelIlLb0ELb0ELb0ELi32E19rocblas_complex_numIdEPKS1_PS1_EvbiT_T4_T5_S5_lS7_S5_lT6_S5_li,"axG",@progbits,_ZL26rocblas_syr2k_her2k_kernelIlLb0ELb0ELb0ELi32E19rocblas_complex_numIdEPKS1_PS1_EvbiT_T4_T5_S5_lS7_S5_lT6_S5_li,comdat
.Lfunc_end1155:
	.size	_ZL26rocblas_syr2k_her2k_kernelIlLb0ELb0ELb0ELi32E19rocblas_complex_numIdEPKS1_PS1_EvbiT_T4_T5_S5_lS7_S5_lT6_S5_li, .Lfunc_end1155-_ZL26rocblas_syr2k_her2k_kernelIlLb0ELb0ELb0ELi32E19rocblas_complex_numIdEPKS1_PS1_EvbiT_T4_T5_S5_lS7_S5_lT6_S5_li
                                        ; -- End function
	.section	.AMDGPU.csdata,"",@progbits
; Kernel info:
; codeLenInByte = 3160
; NumSgprs: 34
; NumVgprs: 52
; ScratchSize: 0
; MemoryBound: 1
; FloatMode: 240
; IeeeMode: 1
; LDSByteSize: 32768 bytes/workgroup (compile time only)
; SGPRBlocks: 4
; VGPRBlocks: 6
; NumSGPRsForWavesPerEU: 34
; NumVGPRsForWavesPerEU: 52
; Occupancy: 16
; WaveLimiterHint : 0
; COMPUTE_PGM_RSRC2:SCRATCH_EN: 0
; COMPUTE_PGM_RSRC2:USER_SGPR: 13
; COMPUTE_PGM_RSRC2:TRAP_HANDLER: 0
; COMPUTE_PGM_RSRC2:TGID_X_EN: 1
; COMPUTE_PGM_RSRC2:TGID_Y_EN: 1
; COMPUTE_PGM_RSRC2:TGID_Z_EN: 1
; COMPUTE_PGM_RSRC2:TIDIG_COMP_CNT: 1
	.section	.text._ZL26rocblas_syr2k_her2k_kernelIlLb0ELb0ELb1ELi32E19rocblas_complex_numIdEPKS1_PS1_EvbiT_T4_T5_S5_lS7_S5_lT6_S5_li,"axG",@progbits,_ZL26rocblas_syr2k_her2k_kernelIlLb0ELb0ELb1ELi32E19rocblas_complex_numIdEPKS1_PS1_EvbiT_T4_T5_S5_lS7_S5_lT6_S5_li,comdat
	.globl	_ZL26rocblas_syr2k_her2k_kernelIlLb0ELb0ELb1ELi32E19rocblas_complex_numIdEPKS1_PS1_EvbiT_T4_T5_S5_lS7_S5_lT6_S5_li ; -- Begin function _ZL26rocblas_syr2k_her2k_kernelIlLb0ELb0ELb1ELi32E19rocblas_complex_numIdEPKS1_PS1_EvbiT_T4_T5_S5_lS7_S5_lT6_S5_li
	.p2align	8
	.type	_ZL26rocblas_syr2k_her2k_kernelIlLb0ELb0ELb1ELi32E19rocblas_complex_numIdEPKS1_PS1_EvbiT_T4_T5_S5_lS7_S5_lT6_S5_li,@function
_ZL26rocblas_syr2k_her2k_kernelIlLb0ELb0ELb1ELi32E19rocblas_complex_numIdEPKS1_PS1_EvbiT_T4_T5_S5_lS7_S5_lT6_S5_li: ; @_ZL26rocblas_syr2k_her2k_kernelIlLb0ELb0ELb1ELi32E19rocblas_complex_numIdEPKS1_PS1_EvbiT_T4_T5_S5_lS7_S5_lT6_S5_li
; %bb.0:
	s_load_b512 s[16:31], s[0:1], 0x8
	s_waitcnt lgkmcnt(0)
	v_cmp_eq_f64_e64 s2, s[18:19], 0
	v_cmp_eq_f64_e64 s3, s[20:21], 0
	s_delay_alu instid0(VALU_DEP_1) | instskip(NEXT) | instid1(SALU_CYCLE_1)
	s_and_b32 s2, s2, s3
	s_and_b32 vcc_lo, exec_lo, s2
	s_cbranch_vccnz .LBB1156_11
; %bb.1:
	s_load_b64 s[2:3], s[0:1], 0x0
	s_lshl_b32 s12, s14, 5
	s_lshl_b32 s13, s13, 5
	s_waitcnt lgkmcnt(0)
	s_and_b32 s2, 1, s2
	s_delay_alu instid0(SALU_CYCLE_1) | instskip(SKIP_1) | instid1(SALU_CYCLE_1)
	s_cmp_eq_u32 s2, 1
	s_cselect_b32 s2, -1, 0
	s_and_b32 s4, s2, exec_lo
	s_cselect_b32 s4, s13, s12
	s_cselect_b32 s5, s12, s13
	s_delay_alu instid0(SALU_CYCLE_1)
	s_cmp_gt_i32 s4, s5
	s_cbranch_scc1 .LBB1156_11
; %bb.2:
	v_cmp_lt_i64_e64 s4, s[16:17], 1
	s_delay_alu instid0(VALU_DEP_1)
	s_and_b32 vcc_lo, exec_lo, s4
	s_cbranch_vccnz .LBB1156_11
; %bb.3:
	s_load_b256 s[4:11], s[0:1], 0x48
	v_bfe_u32 v14, v0, 10, 10
	v_mov_b32_e32 v1, 0
	v_and_b32_e32 v15, 0x3ff, v0
	s_delay_alu instid0(VALU_DEP_2) | instskip(NEXT) | instid1(VALU_DEP_2)
	v_dual_mov_b32 v3, v1 :: v_dual_add_nc_u32 v2, s12, v14
	v_add_nc_u32_e32 v0, s13, v15
	s_mov_b32 s12, s3
	s_delay_alu instid0(VALU_DEP_2) | instskip(SKIP_1) | instid1(VALU_DEP_3)
	v_ashrrev_i32_e32 v4, 31, v2
	v_mad_u64_u32 v[6:7], null, s30, v2, 0
	v_cndmask_b32_e64 v8, v0, v2, s2
	v_cndmask_b32_e64 v9, v2, v0, s2
	v_max_i32_e32 v10, v0, v2
	v_lshlrev_b32_e32 v12, 4, v14
	s_waitcnt lgkmcnt(0)
	v_mul_lo_u32 v11, v4, s8
	v_mul_lo_u32 v13, v2, s9
	v_mad_u64_u32 v[4:5], null, v2, s8, 0
	s_mul_i32 s1, s15, s11
	s_mul_hi_u32 s2, s15, s10
	s_mul_i32 s0, s15, s10
	s_add_i32 s1, s2, s1
	v_cmp_gt_i32_e32 vcc_lo, s3, v10
	s_lshl_b64 s[0:1], s[0:1], 4
	s_delay_alu instid0(VALU_DEP_2)
	v_add3_u32 v5, v5, v13, v11
	s_add_u32 s6, s6, s0
	v_mad_u64_u32 v[10:11], null, s24, v0, 0
	s_addc_u32 s7, s7, s1
	s_ashr_i32 s13, s3, 31
	v_lshlrev_b64 v[4:5], 4, v[4:5]
	v_cmp_gt_i64_e64 s1, s[12:13], v[2:3]
	v_dual_mov_b32 v3, v7 :: v_dual_lshlrev_b32 v16, 9, v15
	v_cmp_le_i32_e64 s2, v9, v8
	v_cmp_gt_i64_e64 s0, s[12:13], v[0:1]
	v_ashrrev_i32_e32 v1, 31, v0
	s_delay_alu instid0(VALU_DEP_4) | instskip(SKIP_2) | instid1(VALU_DEP_1)
	v_mad_u64_u32 v[7:8], null, s31, v2, v[3:4]
	v_mov_b32_e32 v3, v11
	v_add_co_u32 v8, s3, s6, v4
	v_add_co_ci_u32_e64 v9, s3, s7, v5, s3
	s_delay_alu instid0(VALU_DEP_3)
	v_mad_u64_u32 v[4:5], null, s25, v0, v[3:4]
	v_lshlrev_b64 v[1:2], 4, v[0:1]
	s_mul_i32 s3, s5, s15
	s_mul_hi_u32 s5, s4, s15
	v_lshlrev_b64 v[5:6], 4, v[6:7]
	s_add_i32 s5, s5, s3
	s_mul_i32 s4, s4, s15
	v_add_co_u32 v8, s3, v8, v1
	s_lshl_b64 s[4:5], s[4:5], 4
	v_dual_mov_b32 v11, v4 :: v_dual_lshlrev_b32 v4, 4, v15
	v_add_co_ci_u32_e64 v9, s3, v9, v2, s3
	v_add_co_u32 v2, s3, s4, v5
	s_delay_alu instid0(VALU_DEP_1)
	v_add_co_ci_u32_e64 v3, s3, s5, v6, s3
	s_mul_i32 s3, s27, s15
	s_mul_hi_u32 s4, s26, s15
	v_lshlrev_b64 v[0:1], 4, v[10:11]
	s_add_i32 s5, s4, s3
	s_mul_i32 s4, s26, s15
	v_or_b32_e32 v17, 0x4000, v12
	s_lshl_b64 s[4:5], s[4:5], 4
	v_add_nc_u32_e32 v18, v16, v12
	v_add_co_u32 v0, s3, s4, v0
	s_delay_alu instid0(VALU_DEP_1) | instskip(SKIP_1) | instid1(VALU_DEP_1)
	v_add_co_ci_u32_e64 v1, s3, s5, v1, s3
	v_add_co_u32 v2, s3, v2, v4
	v_add_co_ci_u32_e64 v3, s3, 0, v3, s3
	s_delay_alu instid0(VALU_DEP_4) | instskip(NEXT) | instid1(VALU_DEP_1)
	v_add_co_u32 v0, s3, v0, v12
	v_add_co_ci_u32_e64 v1, s3, 0, v1, s3
	s_delay_alu instid0(VALU_DEP_4) | instskip(NEXT) | instid1(VALU_DEP_1)
	v_add_co_u32 v2, s3, v2, s28
	v_add_co_ci_u32_e64 v3, s3, s29, v3, s3
	s_delay_alu instid0(VALU_DEP_4) | instskip(NEXT) | instid1(VALU_DEP_1)
	v_add_co_u32 v0, s3, v0, s22
	v_add_co_ci_u32_e64 v1, s3, s23, v1, s3
	s_delay_alu instid0(VALU_DEP_4) | instskip(NEXT) | instid1(VALU_DEP_1)
	v_add_co_u32 v10, s3, v2, 8
	v_add_co_ci_u32_e64 v11, s3, 0, v3, s3
	s_delay_alu instid0(VALU_DEP_4)
	v_add_co_u32 v12, s3, v0, 8
	v_add_nc_u32_e32 v19, v17, v16
	v_add_co_ci_u32_e64 v13, s3, 0, v1, s3
	s_and_b32 s4, s2, vcc_lo
	s_mov_b64 s[2:3], 0
	s_branch .LBB1156_5
.LBB1156_4:                             ;   in Loop: Header=BB1156_5 Depth=1
	s_or_b32 exec_lo, exec_lo, s5
	s_add_u32 s2, s2, 32
	s_addc_u32 s3, s3, 0
	v_add_co_u32 v10, vcc_lo, 0x200, v10
	v_cmp_lt_i64_e64 s5, s[2:3], s[16:17]
	v_add_co_ci_u32_e32 v11, vcc_lo, 0, v11, vcc_lo
	v_add_co_u32 v12, vcc_lo, 0x200, v12
	v_add_co_ci_u32_e32 v13, vcc_lo, 0, v13, vcc_lo
	s_delay_alu instid0(VALU_DEP_4)
	s_and_b32 vcc_lo, exec_lo, s5
	s_waitcnt_vscnt null, 0x0
	s_barrier
	buffer_gl0_inv
	s_cbranch_vccz .LBB1156_11
.LBB1156_5:                             ; =>This Inner Loop Header: Depth=1
	v_add_co_u32 v2, s5, v14, s2
	s_delay_alu instid0(VALU_DEP_1) | instskip(SKIP_2) | instid1(VALU_DEP_3)
	v_add_co_ci_u32_e64 v3, null, 0, s3, s5
	v_mov_b32_e32 v0, 0
	v_mov_b32_e32 v1, 0
	v_cmp_gt_i64_e32 vcc_lo, s[16:17], v[2:3]
	s_delay_alu instid0(VALU_DEP_2) | instskip(SKIP_2) | instid1(SALU_CYCLE_1)
	v_dual_mov_b32 v5, v1 :: v_dual_mov_b32 v4, v0
	v_dual_mov_b32 v7, v1 :: v_dual_mov_b32 v6, v0
	s_and_b32 s6, s0, vcc_lo
	s_and_saveexec_b32 s5, s6
	s_cbranch_execz .LBB1156_7
; %bb.6:                                ;   in Loop: Header=BB1156_5 Depth=1
	global_load_b128 v[4:7], v[12:13], off offset:-8
.LBB1156_7:                             ;   in Loop: Header=BB1156_5 Depth=1
	s_or_b32 exec_lo, exec_lo, s5
	v_add_co_u32 v2, s5, v15, s2
	s_delay_alu instid0(VALU_DEP_1)
	v_add_co_ci_u32_e64 v3, null, 0, s3, s5
	s_waitcnt vmcnt(0)
	ds_store_b128 v18, v[4:7]
	v_cmp_gt_i64_e32 vcc_lo, s[16:17], v[2:3]
	v_dual_mov_b32 v3, v1 :: v_dual_mov_b32 v2, v0
	s_and_b32 s6, s1, vcc_lo
	s_delay_alu instid0(SALU_CYCLE_1)
	s_and_saveexec_b32 s5, s6
	s_cbranch_execz .LBB1156_9
; %bb.8:                                ;   in Loop: Header=BB1156_5 Depth=1
	global_load_b128 v[0:3], v[10:11], off offset:-8
.LBB1156_9:                             ;   in Loop: Header=BB1156_5 Depth=1
	s_or_b32 exec_lo, exec_lo, s5
	s_waitcnt vmcnt(0)
	ds_store_b128 v19, v[0:3]
	s_waitcnt lgkmcnt(0)
	s_barrier
	buffer_gl0_inv
	s_and_saveexec_b32 s5, s4
	s_cbranch_execz .LBB1156_4
; %bb.10:                               ;   in Loop: Header=BB1156_5 Depth=1
	ds_load_b128 v[0:3], v17
	ds_load_b128 v[4:7], v16
	ds_load_b128 v[20:23], v16 offset:16
	ds_load_b128 v[24:27], v17 offset:512
	s_waitcnt lgkmcnt(2)
	v_mul_f64 v[28:29], v[0:1], v[6:7]
	v_mul_f64 v[6:7], v[2:3], v[6:7]
	s_waitcnt lgkmcnt(0)
	v_mul_f64 v[36:37], v[26:27], v[22:23]
	v_mul_f64 v[22:23], v[24:25], v[22:23]
	s_delay_alu instid0(VALU_DEP_4) | instskip(NEXT) | instid1(VALU_DEP_4)
	v_fma_f64 v[38:39], v[2:3], v[4:5], v[28:29]
	v_fma_f64 v[40:41], v[0:1], v[4:5], -v[6:7]
	ds_load_b128 v[0:3], v17 offset:1024
	ds_load_b128 v[4:7], v16 offset:32
	;; [unrolled: 1-line block ×4, first 2 shown]
	v_fma_f64 v[24:25], v[24:25], v[20:21], -v[36:37]
	v_fma_f64 v[20:21], v[26:27], v[20:21], v[22:23]
	s_waitcnt lgkmcnt(2)
	v_mul_f64 v[42:43], v[2:3], v[6:7]
	v_mul_f64 v[6:7], v[0:1], v[6:7]
	s_waitcnt lgkmcnt(0)
	v_mul_f64 v[36:37], v[34:35], v[30:31]
	v_mul_f64 v[30:31], v[32:33], v[30:31]
	v_add_f64 v[22:23], v[38:39], 0
	v_add_f64 v[26:27], v[40:41], 0
	v_fma_f64 v[38:39], v[0:1], v[4:5], -v[42:43]
	v_fma_f64 v[40:41], v[2:3], v[4:5], v[6:7]
	v_fma_f64 v[32:33], v[32:33], v[28:29], -v[36:37]
	v_fma_f64 v[28:29], v[34:35], v[28:29], v[30:31]
	v_add_f64 v[42:43], v[22:23], v[20:21]
	v_add_f64 v[44:45], v[26:27], v[24:25]
	ds_load_b128 v[0:3], v16 offset:64
	ds_load_b128 v[4:7], v17 offset:2048
	ds_load_b128 v[20:23], v17 offset:2560
	ds_load_b128 v[24:27], v16 offset:80
	s_waitcnt lgkmcnt(2)
	v_mul_f64 v[46:47], v[6:7], v[2:3]
	v_mul_f64 v[2:3], v[4:5], v[2:3]
	s_waitcnt lgkmcnt(0)
	v_mul_f64 v[36:37], v[22:23], v[26:27]
	v_add_f64 v[30:31], v[42:43], v[40:41]
	v_add_f64 v[34:35], v[44:45], v[38:39]
	v_mul_f64 v[38:39], v[20:21], v[26:27]
	v_fma_f64 v[40:41], v[4:5], v[0:1], -v[46:47]
	v_fma_f64 v[42:43], v[6:7], v[0:1], v[2:3]
	v_fma_f64 v[20:21], v[20:21], v[24:25], -v[36:37]
	v_add_f64 v[44:45], v[30:31], v[28:29]
	v_add_f64 v[34:35], v[34:35], v[32:33]
	ds_load_b128 v[0:3], v16 offset:96
	ds_load_b128 v[4:7], v17 offset:3072
	ds_load_b128 v[26:29], v17 offset:3584
	ds_load_b128 v[30:33], v16 offset:112
	v_fma_f64 v[22:23], v[22:23], v[24:25], v[38:39]
	s_waitcnt lgkmcnt(2)
	v_mul_f64 v[46:47], v[6:7], v[2:3]
	v_mul_f64 v[2:3], v[4:5], v[2:3]
	s_waitcnt lgkmcnt(0)
	v_mul_f64 v[36:37], v[28:29], v[32:33]
	v_mul_f64 v[38:39], v[26:27], v[32:33]
	v_add_f64 v[24:25], v[44:45], v[42:43]
	v_add_f64 v[34:35], v[34:35], v[40:41]
	v_fma_f64 v[40:41], v[4:5], v[0:1], -v[46:47]
	v_fma_f64 v[42:43], v[6:7], v[0:1], v[2:3]
	v_fma_f64 v[26:27], v[26:27], v[30:31], -v[36:37]
	v_fma_f64 v[28:29], v[28:29], v[30:31], v[38:39]
	v_add_f64 v[24:25], v[24:25], v[22:23]
	v_add_f64 v[44:45], v[34:35], v[20:21]
	ds_load_b128 v[0:3], v16 offset:128
	ds_load_b128 v[4:7], v17 offset:4096
	ds_load_b128 v[20:23], v17 offset:4608
	ds_load_b128 v[32:35], v16 offset:144
	s_waitcnt lgkmcnt(2)
	v_mul_f64 v[46:47], v[6:7], v[2:3]
	v_mul_f64 v[2:3], v[4:5], v[2:3]
	s_waitcnt lgkmcnt(0)
	v_mul_f64 v[36:37], v[22:23], v[34:35]
	v_mul_f64 v[34:35], v[20:21], v[34:35]
	v_add_f64 v[24:25], v[24:25], v[42:43]
	v_add_f64 v[30:31], v[44:45], v[40:41]
	v_fma_f64 v[38:39], v[4:5], v[0:1], -v[46:47]
	v_fma_f64 v[40:41], v[6:7], v[0:1], v[2:3]
	v_fma_f64 v[20:21], v[20:21], v[32:33], -v[36:37]
	v_fma_f64 v[22:23], v[22:23], v[32:33], v[34:35]
	v_add_f64 v[42:43], v[24:25], v[28:29]
	v_add_f64 v[44:45], v[30:31], v[26:27]
	ds_load_b128 v[0:3], v16 offset:160
	ds_load_b128 v[4:7], v17 offset:5120
	ds_load_b128 v[24:27], v17 offset:5632
	ds_load_b128 v[28:31], v16 offset:176
	s_waitcnt lgkmcnt(2)
	v_mul_f64 v[46:47], v[6:7], v[2:3]
	v_mul_f64 v[2:3], v[4:5], v[2:3]
	s_waitcnt lgkmcnt(0)
	v_mul_f64 v[36:37], v[26:27], v[30:31]
	v_add_f64 v[32:33], v[42:43], v[40:41]
	v_add_f64 v[34:35], v[44:45], v[38:39]
	v_mul_f64 v[38:39], v[24:25], v[30:31]
	v_fma_f64 v[40:41], v[4:5], v[0:1], -v[46:47]
	v_fma_f64 v[42:43], v[6:7], v[0:1], v[2:3]
	v_fma_f64 v[24:25], v[24:25], v[28:29], -v[36:37]
	v_add_f64 v[44:45], v[32:33], v[22:23]
	v_add_f64 v[34:35], v[34:35], v[20:21]
	ds_load_b128 v[0:3], v16 offset:192
	ds_load_b128 v[4:7], v17 offset:6144
	ds_load_b128 v[20:23], v17 offset:6656
	ds_load_b128 v[30:33], v16 offset:208
	v_fma_f64 v[26:27], v[26:27], v[28:29], v[38:39]
	s_waitcnt lgkmcnt(2)
	v_mul_f64 v[46:47], v[6:7], v[2:3]
	v_mul_f64 v[2:3], v[4:5], v[2:3]
	s_waitcnt lgkmcnt(0)
	v_mul_f64 v[36:37], v[22:23], v[32:33]
	v_mul_f64 v[38:39], v[20:21], v[32:33]
	v_add_f64 v[28:29], v[44:45], v[42:43]
	v_add_f64 v[34:35], v[34:35], v[40:41]
	v_fma_f64 v[40:41], v[4:5], v[0:1], -v[46:47]
	v_fma_f64 v[42:43], v[6:7], v[0:1], v[2:3]
	v_fma_f64 v[20:21], v[20:21], v[30:31], -v[36:37]
	v_fma_f64 v[22:23], v[22:23], v[30:31], v[38:39]
	v_add_f64 v[28:29], v[28:29], v[26:27]
	v_add_f64 v[44:45], v[34:35], v[24:25]
	ds_load_b128 v[0:3], v16 offset:224
	ds_load_b128 v[4:7], v17 offset:7168
	ds_load_b128 v[24:27], v17 offset:7680
	ds_load_b128 v[32:35], v16 offset:240
	;; [unrolled: 54-line block ×4, first 2 shown]
	s_waitcnt lgkmcnt(2)
	v_mul_f64 v[46:47], v[6:7], v[2:3]
	v_mul_f64 v[2:3], v[4:5], v[2:3]
	s_waitcnt lgkmcnt(0)
	v_mul_f64 v[38:39], v[26:27], v[34:35]
	v_add_f64 v[28:29], v[28:29], v[42:43]
	v_add_f64 v[30:31], v[44:45], v[40:41]
	v_mul_f64 v[40:41], v[24:25], v[34:35]
	v_fma_f64 v[42:43], v[4:5], v[0:1], -v[46:47]
	v_fma_f64 v[44:45], v[6:7], v[0:1], v[2:3]
	ds_load_b128 v[0:3], v16 offset:448
	ds_load_b128 v[4:7], v17 offset:14336
	v_fma_f64 v[24:25], v[24:25], v[32:33], -v[38:39]
	v_add_f64 v[46:47], v[28:29], v[22:23]
	v_add_f64 v[48:49], v[30:31], v[20:21]
	global_load_b128 v[20:23], v[8:9], off
	v_fma_f64 v[26:27], v[26:27], v[32:33], v[40:41]
	s_waitcnt lgkmcnt(0)
	v_mul_f64 v[50:51], v[6:7], v[2:3]
	v_mul_f64 v[2:3], v[4:5], v[2:3]
	ds_load_b128 v[28:31], v17 offset:14848
	ds_load_b128 v[34:37], v16 offset:464
	s_waitcnt lgkmcnt(0)
	v_mul_f64 v[40:41], v[30:31], v[36:37]
	v_add_f64 v[32:33], v[46:47], v[44:45]
	v_add_f64 v[38:39], v[48:49], v[42:43]
	v_mul_f64 v[42:43], v[28:29], v[36:37]
	v_fma_f64 v[44:45], v[4:5], v[0:1], -v[50:51]
	v_fma_f64 v[46:47], v[6:7], v[0:1], v[2:3]
	v_fma_f64 v[28:29], v[28:29], v[34:35], -v[40:41]
	v_add_f64 v[32:33], v[32:33], v[26:27]
	v_add_f64 v[48:49], v[38:39], v[24:25]
	ds_load_b128 v[0:3], v16 offset:480
	ds_load_b128 v[4:7], v17 offset:15360
	;; [unrolled: 1-line block ×4, first 2 shown]
	v_fma_f64 v[30:31], v[30:31], v[34:35], v[42:43]
	s_waitcnt lgkmcnt(2)
	v_mul_f64 v[50:51], v[6:7], v[2:3]
	v_mul_f64 v[2:3], v[4:5], v[2:3]
	s_waitcnt lgkmcnt(0)
	v_mul_f64 v[40:41], v[26:27], v[38:39]
	v_mul_f64 v[38:39], v[24:25], v[38:39]
	v_add_f64 v[32:33], v[32:33], v[46:47]
	v_add_f64 v[34:35], v[48:49], v[44:45]
	v_fma_f64 v[4:5], v[4:5], v[0:1], -v[50:51]
	v_fma_f64 v[0:1], v[6:7], v[0:1], v[2:3]
	v_fma_f64 v[24:25], v[24:25], v[36:37], -v[40:41]
	v_fma_f64 v[26:27], v[26:27], v[36:37], v[38:39]
	v_add_f64 v[2:3], v[32:33], v[30:31]
	v_add_f64 v[6:7], v[34:35], v[28:29]
	s_delay_alu instid0(VALU_DEP_2) | instskip(NEXT) | instid1(VALU_DEP_2)
	v_add_f64 v[0:1], v[2:3], v[0:1]
	v_add_f64 v[2:3], v[6:7], v[4:5]
	s_delay_alu instid0(VALU_DEP_2) | instskip(NEXT) | instid1(VALU_DEP_2)
	;; [unrolled: 3-line block ×3, first 2 shown]
	v_mul_f64 v[4:5], s[20:21], v[0:1]
	v_mul_f64 v[6:7], s[20:21], v[2:3]
	s_delay_alu instid0(VALU_DEP_2) | instskip(NEXT) | instid1(VALU_DEP_2)
	v_fma_f64 v[2:3], s[18:19], v[2:3], -v[4:5]
	v_fma_f64 v[4:5], s[18:19], v[0:1], v[6:7]
	s_waitcnt vmcnt(0)
	s_delay_alu instid0(VALU_DEP_2) | instskip(NEXT) | instid1(VALU_DEP_2)
	v_add_f64 v[0:1], v[20:21], v[2:3]
	v_add_f64 v[2:3], v[22:23], v[4:5]
	global_store_b128 v[8:9], v[0:3], off
	s_branch .LBB1156_4
.LBB1156_11:
	s_endpgm
	.section	.rodata,"a",@progbits
	.p2align	6, 0x0
	.amdhsa_kernel _ZL26rocblas_syr2k_her2k_kernelIlLb0ELb0ELb1ELi32E19rocblas_complex_numIdEPKS1_PS1_EvbiT_T4_T5_S5_lS7_S5_lT6_S5_li
		.amdhsa_group_segment_fixed_size 32768
		.amdhsa_private_segment_fixed_size 0
		.amdhsa_kernarg_size 108
		.amdhsa_user_sgpr_count 13
		.amdhsa_user_sgpr_dispatch_ptr 0
		.amdhsa_user_sgpr_queue_ptr 0
		.amdhsa_user_sgpr_kernarg_segment_ptr 1
		.amdhsa_user_sgpr_dispatch_id 0
		.amdhsa_user_sgpr_private_segment_size 0
		.amdhsa_wavefront_size32 1
		.amdhsa_uses_dynamic_stack 0
		.amdhsa_enable_private_segment 0
		.amdhsa_system_sgpr_workgroup_id_x 1
		.amdhsa_system_sgpr_workgroup_id_y 1
		.amdhsa_system_sgpr_workgroup_id_z 1
		.amdhsa_system_sgpr_workgroup_info 0
		.amdhsa_system_vgpr_workitem_id 1
		.amdhsa_next_free_vgpr 52
		.amdhsa_next_free_sgpr 32
		.amdhsa_reserve_vcc 1
		.amdhsa_float_round_mode_32 0
		.amdhsa_float_round_mode_16_64 0
		.amdhsa_float_denorm_mode_32 3
		.amdhsa_float_denorm_mode_16_64 3
		.amdhsa_dx10_clamp 1
		.amdhsa_ieee_mode 1
		.amdhsa_fp16_overflow 0
		.amdhsa_workgroup_processor_mode 1
		.amdhsa_memory_ordered 1
		.amdhsa_forward_progress 0
		.amdhsa_shared_vgpr_count 0
		.amdhsa_exception_fp_ieee_invalid_op 0
		.amdhsa_exception_fp_denorm_src 0
		.amdhsa_exception_fp_ieee_div_zero 0
		.amdhsa_exception_fp_ieee_overflow 0
		.amdhsa_exception_fp_ieee_underflow 0
		.amdhsa_exception_fp_ieee_inexact 0
		.amdhsa_exception_int_div_zero 0
	.end_amdhsa_kernel
	.section	.text._ZL26rocblas_syr2k_her2k_kernelIlLb0ELb0ELb1ELi32E19rocblas_complex_numIdEPKS1_PS1_EvbiT_T4_T5_S5_lS7_S5_lT6_S5_li,"axG",@progbits,_ZL26rocblas_syr2k_her2k_kernelIlLb0ELb0ELb1ELi32E19rocblas_complex_numIdEPKS1_PS1_EvbiT_T4_T5_S5_lS7_S5_lT6_S5_li,comdat
.Lfunc_end1156:
	.size	_ZL26rocblas_syr2k_her2k_kernelIlLb0ELb0ELb1ELi32E19rocblas_complex_numIdEPKS1_PS1_EvbiT_T4_T5_S5_lS7_S5_lT6_S5_li, .Lfunc_end1156-_ZL26rocblas_syr2k_her2k_kernelIlLb0ELb0ELb1ELi32E19rocblas_complex_numIdEPKS1_PS1_EvbiT_T4_T5_S5_lS7_S5_lT6_S5_li
                                        ; -- End function
	.section	.AMDGPU.csdata,"",@progbits
; Kernel info:
; codeLenInByte = 3196
; NumSgprs: 34
; NumVgprs: 52
; ScratchSize: 0
; MemoryBound: 1
; FloatMode: 240
; IeeeMode: 1
; LDSByteSize: 32768 bytes/workgroup (compile time only)
; SGPRBlocks: 4
; VGPRBlocks: 6
; NumSGPRsForWavesPerEU: 34
; NumVGPRsForWavesPerEU: 52
; Occupancy: 16
; WaveLimiterHint : 0
; COMPUTE_PGM_RSRC2:SCRATCH_EN: 0
; COMPUTE_PGM_RSRC2:USER_SGPR: 13
; COMPUTE_PGM_RSRC2:TRAP_HANDLER: 0
; COMPUTE_PGM_RSRC2:TGID_X_EN: 1
; COMPUTE_PGM_RSRC2:TGID_Y_EN: 1
; COMPUTE_PGM_RSRC2:TGID_Z_EN: 1
; COMPUTE_PGM_RSRC2:TIDIG_COMP_CNT: 1
	.section	.text._ZL37rocblas_syrkx_herkx_restricted_kernelIl19rocblas_complex_numIdELi16ELi32ELi8ELi1ELi1ELb0ELc84ELc76EKS1_S1_EviT_PT9_S3_lS5_S3_lPT10_S3_li,"axG",@progbits,_ZL37rocblas_syrkx_herkx_restricted_kernelIl19rocblas_complex_numIdELi16ELi32ELi8ELi1ELi1ELb0ELc84ELc76EKS1_S1_EviT_PT9_S3_lS5_S3_lPT10_S3_li,comdat
	.globl	_ZL37rocblas_syrkx_herkx_restricted_kernelIl19rocblas_complex_numIdELi16ELi32ELi8ELi1ELi1ELb0ELc84ELc76EKS1_S1_EviT_PT9_S3_lS5_S3_lPT10_S3_li ; -- Begin function _ZL37rocblas_syrkx_herkx_restricted_kernelIl19rocblas_complex_numIdELi16ELi32ELi8ELi1ELi1ELb0ELc84ELc76EKS1_S1_EviT_PT9_S3_lS5_S3_lPT10_S3_li
	.p2align	8
	.type	_ZL37rocblas_syrkx_herkx_restricted_kernelIl19rocblas_complex_numIdELi16ELi32ELi8ELi1ELi1ELb0ELc84ELc76EKS1_S1_EviT_PT9_S3_lS5_S3_lPT10_S3_li,@function
_ZL37rocblas_syrkx_herkx_restricted_kernelIl19rocblas_complex_numIdELi16ELi32ELi8ELi1ELi1ELb0ELc84ELc76EKS1_S1_EviT_PT9_S3_lS5_S3_lPT10_S3_li: ; @_ZL37rocblas_syrkx_herkx_restricted_kernelIl19rocblas_complex_numIdELi16ELi32ELi8ELi1ELi1ELb0ELc84ELc76EKS1_S1_EviT_PT9_S3_lS5_S3_lPT10_S3_li
; %bb.0:
	s_load_b512 s[16:31], s[0:1], 0x8
	v_mov_b32_e32 v16, 0
	v_dual_mov_b32 v17, 0 :: v_dual_and_b32 v20, 0x3ff, v0
	v_bfe_u32 v21, v0, 10, 10
	s_delay_alu instid0(VALU_DEP_3) | instskip(NEXT) | instid1(VALU_DEP_3)
	v_mov_b32_e32 v14, v16
	v_dual_mov_b32 v12, v16 :: v_dual_mov_b32 v13, v17
	v_dual_mov_b32 v19, v17 :: v_dual_mov_b32 v18, v16
	;; [unrolled: 1-line block ×6, first 2 shown]
	v_mov_b32_e32 v5, v17
	s_lshl_b32 s8, s13, 5
	s_waitcnt lgkmcnt(0)
	v_cmp_lt_i64_e64 s2, s[16:17], 1
	s_lshl_b32 s9, s14, 5
	s_delay_alu instid0(VALU_DEP_1)
	s_and_b32 vcc_lo, exec_lo, s2
	s_cbranch_vccnz .LBB1157_3
; %bb.1:
	v_lshl_add_u32 v2, v21, 4, v20
	v_dual_mov_b32 v1, 0 :: v_dual_and_b32 v0, 7, v20
	v_lshlrev_b32_e32 v22, 4, v20
	s_mul_i32 s3, s23, s15
	s_delay_alu instid0(VALU_DEP_3)
	v_and_b32_e32 v8, 31, v2
	v_lshrrev_b32_e32 v9, 3, v2
	v_lshrrev_b32_e32 v2, 5, v2
	v_mov_b32_e32 v3, v1
	v_lshlrev_b32_e32 v11, 4, v0
	v_add_nc_u32_e32 v6, s8, v8
	v_add_nc_u32_e32 v10, s9, v9
	s_mul_hi_u32 s4, s22, s15
	s_mul_i32 s2, s22, s15
	s_add_i32 s3, s4, s3
	v_ashrrev_i32_e32 v7, 31, v6
	v_ashrrev_i32_e32 v12, 31, v10
	v_mad_u64_u32 v[4:5], null, s20, v6, v[2:3]
	v_mul_lo_u32 v3, s21, v6
	s_delay_alu instid0(VALU_DEP_4)
	v_mul_lo_u32 v13, s20, v7
	v_mul_lo_u32 v14, v10, s27
	v_mad_u64_u32 v[6:7], null, v10, s26, v[0:1]
	v_mul_lo_u32 v0, v12, s26
	v_lshlrev_b32_e32 v1, 4, v8
	s_lshl_b64 s[2:3], s[2:3], 4
	s_mul_hi_u32 s5, s28, s15
	v_add3_u32 v5, v3, v5, v13
	s_add_u32 s4, s18, s2
	v_lshl_or_b32 v23, v2, 9, v1
	s_mul_i32 s2, s29, s15
	v_add3_u32 v7, v0, v7, v14
	v_lshlrev_b64 v[0:1], 4, v[4:5]
	s_addc_u32 s6, s19, s3
	s_add_i32 s3, s5, s2
	s_mul_i32 s2, s28, s15
	v_lshlrev_b64 v[2:3], 4, v[6:7]
	s_lshl_b64 s[2:3], s[2:3], 4
	v_add_co_u32 v0, vcc_lo, s4, v0
	s_add_u32 s2, s24, s2
	v_add_co_ci_u32_e32 v1, vcc_lo, s6, v1, vcc_lo
	v_mov_b32_e32 v4, 0
	v_lshl_or_b32 v8, v9, 7, v11
	s_addc_u32 s3, s25, s3
	v_add_co_u32 v2, vcc_lo, s2, v2
	v_mov_b32_e32 v5, 0
	v_add_co_ci_u32_e32 v3, vcc_lo, s3, v3, vcc_lo
	v_add_co_u32 v0, vcc_lo, v0, 8
	s_delay_alu instid0(VALU_DEP_3)
	v_dual_mov_b32 v11, v5 :: v_dual_add_nc_u32 v24, 0x1000, v8
	v_add_co_ci_u32_e32 v1, vcc_lo, 0, v1, vcc_lo
	v_mov_b32_e32 v9, v5
	v_add_co_u32 v2, vcc_lo, v2, 8
	v_dual_mov_b32 v8, v4 :: v_dual_mov_b32 v13, v5
	v_dual_mov_b32 v10, v4 :: v_dual_mov_b32 v15, v5
	;; [unrolled: 1-line block ×4, first 2 shown]
	v_mov_b32_e32 v17, v5
	v_lshl_add_u32 v25, v21, 7, 0x1000
	v_add_co_ci_u32_e32 v3, vcc_lo, 0, v3, vcc_lo
	v_mov_b32_e32 v6, v4
	v_mov_b32_e32 v18, v4
	;; [unrolled: 1-line block ×3, first 2 shown]
	s_mov_b64 s[2:3], 0
.LBB1157_2:                             ; =>This Inner Loop Header: Depth=1
	global_load_b128 v[26:29], v[0:1], off offset:-8
	global_load_b128 v[30:33], v[2:3], off offset:-8
	s_add_u32 s2, s2, 8
	v_add_co_u32 v0, vcc_lo, 0x80, v0
	s_addc_u32 s3, s3, 0
	v_add_co_ci_u32_e32 v1, vcc_lo, 0, v1, vcc_lo
	v_cmp_ge_u64_e64 s4, s[2:3], s[16:17]
	v_add_co_u32 v2, vcc_lo, 0x80, v2
	v_add_co_ci_u32_e32 v3, vcc_lo, 0, v3, vcc_lo
	s_waitcnt vmcnt(1)
	ds_store_b128 v23, v[26:29]
	s_waitcnt vmcnt(0)
	ds_store_b128 v24, v[30:33]
	s_waitcnt lgkmcnt(0)
	s_barrier
	buffer_gl0_inv
	ds_load_b128 v[26:29], v25
	ds_load_b128 v[30:33], v22
	ds_load_b128 v[34:37], v22 offset:256
	ds_load_b128 v[38:41], v25 offset:2048
	;; [unrolled: 1-line block ×13, first 2 shown]
	s_and_b32 vcc_lo, exec_lo, s4
	s_waitcnt lgkmcnt(13)
	v_mul_f64 v[86:87], v[28:29], v[32:33]
	v_mul_f64 v[88:89], v[26:27], v[32:33]
	s_waitcnt lgkmcnt(12)
	v_mul_f64 v[90:91], v[28:29], v[36:37]
	v_mul_f64 v[92:93], v[26:27], v[36:37]
	;; [unrolled: 3-line block ×3, first 2 shown]
	v_mul_f64 v[96:97], v[40:41], v[36:37]
	v_mul_f64 v[36:37], v[38:39], v[36:37]
	s_waitcnt lgkmcnt(8)
	v_mul_f64 v[98:99], v[44:45], v[52:53]
	v_mul_f64 v[100:101], v[42:43], v[52:53]
	s_waitcnt lgkmcnt(7)
	v_mul_f64 v[102:103], v[44:45], v[56:57]
	v_mul_f64 v[104:105], v[42:43], v[56:57]
	;; [unrolled: 1-line block ×6, first 2 shown]
	s_waitcnt lgkmcnt(3)
	v_mul_f64 v[112:113], v[58:59], v[72:73]
	s_waitcnt lgkmcnt(2)
	v_mul_f64 v[114:115], v[76:77], v[68:69]
	v_mul_f64 v[116:117], v[76:77], v[72:73]
	v_fma_f64 v[86:87], v[26:27], v[30:31], -v[86:87]
	v_fma_f64 v[88:89], v[28:29], v[30:31], v[88:89]
	v_fma_f64 v[90:91], v[26:27], v[34:35], -v[90:91]
	v_fma_f64 v[92:93], v[28:29], v[34:35], v[92:93]
	;; [unrolled: 2-line block ×4, first 2 shown]
	v_mul_f64 v[36:37], v[60:61], v[68:69]
	v_mul_f64 v[40:41], v[58:59], v[68:69]
	;; [unrolled: 1-line block ×5, first 2 shown]
	v_fma_f64 v[98:99], v[42:43], v[50:51], -v[98:99]
	v_fma_f64 v[100:101], v[44:45], v[50:51], v[100:101]
	v_fma_f64 v[42:43], v[42:43], v[54:55], -v[102:103]
	v_fma_f64 v[44:45], v[44:45], v[54:55], v[104:105]
	;; [unrolled: 2-line block ×4, first 2 shown]
	ds_load_b128 v[26:29], v22 offset:1792
	ds_load_b128 v[30:33], v22 offset:2048
	s_waitcnt lgkmcnt(2)
	v_mul_f64 v[56:57], v[64:65], v[84:85]
	v_add_f64 v[16:17], v[16:17], v[86:87]
	v_add_f64 v[18:19], v[18:19], v[88:89]
	v_add_f64 v[14:15], v[14:15], v[90:91]
	v_add_f64 v[12:13], v[12:13], v[92:93]
	v_add_f64 v[52:53], v[10:11], v[94:95]
	v_add_f64 v[54:55], v[8:9], v[110:111]
	v_add_f64 v[38:39], v[6:7], v[38:39]
	v_add_f64 v[34:35], v[4:5], v[34:35]
	v_mul_f64 v[86:87], v[62:63], v[84:85]
	s_waitcnt lgkmcnt(1)
	v_mul_f64 v[88:89], v[64:65], v[28:29]
	v_mul_f64 v[90:91], v[62:63], v[28:29]
	;; [unrolled: 1-line block ×6, first 2 shown]
	v_fma_f64 v[104:105], v[58:59], v[66:67], -v[36:37]
	v_fma_f64 v[106:107], v[60:61], v[66:67], v[40:41]
	v_fma_f64 v[58:59], v[58:59], v[70:71], -v[96:97]
	v_fma_f64 v[60:61], v[60:61], v[70:71], v[112:113]
	;; [unrolled: 2-line block ×4, first 2 shown]
	ds_load_b128 v[4:7], v22 offset:2304
	ds_load_b128 v[8:11], v25 offset:64
	v_fma_f64 v[56:57], v[62:63], v[82:83], -v[56:57]
	v_add_f64 v[72:73], v[16:17], v[98:99]
	v_add_f64 v[74:75], v[18:19], v[100:101]
	;; [unrolled: 1-line block ×8, first 2 shown]
	ds_load_b128 v[12:15], v25 offset:2112
	ds_load_b128 v[16:19], v25 offset:80
	;; [unrolled: 1-line block ×4, first 2 shown]
	s_waitcnt lgkmcnt(4)
	v_mul_f64 v[54:55], v[10:11], v[32:33]
	v_mul_f64 v[76:77], v[8:9], v[32:33]
	;; [unrolled: 1-line block ×4, first 2 shown]
	v_fma_f64 v[86:87], v[64:65], v[82:83], v[86:87]
	v_fma_f64 v[62:63], v[62:63], v[26:27], -v[88:89]
	v_fma_f64 v[64:65], v[64:65], v[26:27], v[90:91]
	v_fma_f64 v[88:89], v[78:79], v[82:83], -v[92:93]
	v_fma_f64 v[82:83], v[80:81], v[82:83], v[84:85]
	v_fma_f64 v[78:79], v[78:79], v[26:27], -v[94:95]
	v_fma_f64 v[80:81], v[80:81], v[26:27], v[28:29]
	s_waitcnt lgkmcnt(3)
	v_mul_f64 v[102:103], v[14:15], v[32:33]
	v_mul_f64 v[32:33], v[12:13], v[32:33]
	;; [unrolled: 1-line block ×4, first 2 shown]
	s_waitcnt lgkmcnt(0)
	v_mul_f64 v[90:91], v[18:19], v[40:41]
	v_mul_f64 v[92:93], v[16:17], v[40:41]
	v_add_f64 v[72:73], v[72:73], v[104:105]
	v_add_f64 v[74:75], v[74:75], v[106:107]
	;; [unrolled: 1-line block ×8, first 2 shown]
	ds_load_b128 v[26:29], v22 offset:2816
	ds_load_b128 v[42:45], v22 offset:3072
	;; [unrolled: 1-line block ×4, first 2 shown]
	v_mul_f64 v[104:105], v[36:37], v[40:41]
	v_mul_f64 v[40:41], v[34:35], v[40:41]
	v_fma_f64 v[54:55], v[8:9], v[30:31], -v[54:55]
	v_fma_f64 v[76:77], v[10:11], v[30:31], v[76:77]
	v_fma_f64 v[98:99], v[8:9], v[4:5], -v[98:99]
	v_fma_f64 v[100:101], v[10:11], v[4:5], v[100:101]
	s_waitcnt lgkmcnt(3)
	v_mul_f64 v[94:95], v[18:19], v[28:29]
	v_mul_f64 v[96:97], v[16:17], v[28:29]
	v_mul_f64 v[106:107], v[36:37], v[28:29]
	v_mul_f64 v[110:111], v[34:35], v[28:29]
	v_fma_f64 v[102:103], v[12:13], v[30:31], -v[102:103]
	v_fma_f64 v[32:33], v[14:15], v[30:31], v[32:33]
	v_fma_f64 v[108:109], v[12:13], v[4:5], -v[108:109]
	v_fma_f64 v[112:113], v[14:15], v[4:5], v[6:7]
	ds_load_b128 v[4:7], v25 offset:2144
	ds_load_b128 v[8:11], v25 offset:112
	;; [unrolled: 1-line block ×4, first 2 shown]
	v_add_f64 v[56:57], v[72:73], v[56:57]
	v_add_f64 v[72:73], v[74:75], v[86:87]
	;; [unrolled: 1-line block ×8, first 2 shown]
	s_waitcnt lgkmcnt(4)
	v_mul_f64 v[70:71], v[52:53], v[44:45]
	v_mul_f64 v[74:75], v[50:51], v[44:45]
	;; [unrolled: 1-line block ×4, first 2 shown]
	s_waitcnt lgkmcnt(3)
	v_mul_f64 v[82:83], v[6:7], v[44:45]
	v_mul_f64 v[44:45], v[4:5], v[44:45]
	v_mul_f64 v[84:85], v[6:7], v[48:49]
	v_mul_f64 v[48:49], v[4:5], v[48:49]
	v_fma_f64 v[86:87], v[16:17], v[38:39], -v[90:91]
	v_fma_f64 v[88:89], v[18:19], v[38:39], v[92:93]
	v_fma_f64 v[90:91], v[16:17], v[26:27], -v[94:95]
	v_fma_f64 v[92:93], v[18:19], v[26:27], v[96:97]
	;; [unrolled: 2-line block ×4, first 2 shown]
	ds_load_b128 v[16:19], v22 offset:3840
	s_waitcnt lgkmcnt(0)
	s_barrier
	buffer_gl0_inv
	v_add_f64 v[36:37], v[56:57], v[54:55]
	v_add_f64 v[40:41], v[72:73], v[76:77]
	;; [unrolled: 1-line block ×8, first 2 shown]
	v_mul_f64 v[64:65], v[10:11], v[30:31]
	v_mul_f64 v[66:67], v[8:9], v[30:31]
	;; [unrolled: 1-line block ×4, first 2 shown]
	v_fma_f64 v[70:71], v[50:51], v[42:43], -v[70:71]
	v_mul_f64 v[68:69], v[10:11], v[18:19]
	v_mul_f64 v[72:73], v[8:9], v[18:19]
	v_mul_f64 v[96:97], v[14:15], v[18:19]
	v_mul_f64 v[18:19], v[12:13], v[18:19]
	v_fma_f64 v[74:75], v[52:53], v[42:43], v[74:75]
	v_fma_f64 v[50:51], v[50:51], v[46:47], -v[78:79]
	v_fma_f64 v[52:53], v[52:53], v[46:47], v[80:81]
	v_fma_f64 v[78:79], v[4:5], v[42:43], -v[82:83]
	;; [unrolled: 2-line block ×3, first 2 shown]
	v_fma_f64 v[6:7], v[6:7], v[46:47], v[48:49]
	v_add_f64 v[36:37], v[36:37], v[86:87]
	v_add_f64 v[40:41], v[40:41], v[88:89]
	;; [unrolled: 1-line block ×8, first 2 shown]
	v_fma_f64 v[38:39], v[8:9], v[28:29], -v[64:65]
	v_fma_f64 v[54:55], v[10:11], v[28:29], v[66:67]
	v_fma_f64 v[56:57], v[12:13], v[28:29], -v[76:77]
	v_fma_f64 v[28:29], v[14:15], v[28:29], v[30:31]
	;; [unrolled: 2-line block ×4, first 2 shown]
	v_add_f64 v[12:13], v[36:37], v[70:71]
	v_add_f64 v[14:15], v[40:41], v[74:75]
	;; [unrolled: 1-line block ×16, first 2 shown]
	s_cbranch_vccz .LBB1157_2
.LBB1157_3:
	s_load_b128 s[4:7], s[0:1], 0x48
	v_add_nc_u32_e32 v21, s9, v21
	s_load_b32 s9, s[0:1], 0x0
	s_delay_alu instid0(VALU_DEP_1) | instskip(SKIP_1) | instid1(VALU_DEP_1)
	v_ashrrev_i32_e32 v0, 31, v21
	s_waitcnt lgkmcnt(0)
	v_mul_lo_u32 v3, v0, s4
	v_mul_lo_u32 v22, v21, s5
	v_mad_u64_u32 v[1:2], null, v21, s4, 0
	s_mul_i32 s1, s15, s7
	s_mul_hi_u32 s3, s15, s6
	s_mul_i32 s2, s15, s6
	s_add_i32 s3, s3, s1
	v_add_nc_u32_e32 v0, s8, v20
	s_lshl_b64 s[2:3], s[2:3], 4
	s_delay_alu instid0(VALU_DEP_2)
	v_add3_u32 v2, v2, v22, v3
	s_add_u32 s2, s30, s2
	s_addc_u32 s3, s31, s3
	v_cmp_le_i32_e64 s0, v21, v0
	v_cmp_gt_i32_e32 vcc_lo, s9, v0
	v_lshlrev_b64 v[1:2], 4, v[1:2]
	s_delay_alu instid0(VALU_DEP_3) | instskip(NEXT) | instid1(VALU_DEP_1)
	s_and_b32 s0, s0, vcc_lo
	v_add_co_u32 v20, s1, s2, v1
	s_delay_alu instid0(VALU_DEP_1)
	v_add_co_ci_u32_e64 v22, s1, s3, v2, s1
	s_and_saveexec_b32 s1, s0
	s_cbranch_execz .LBB1157_5
; %bb.4:
	v_ashrrev_i32_e32 v1, 31, v0
	s_delay_alu instid0(VALU_DEP_1) | instskip(NEXT) | instid1(VALU_DEP_1)
	v_lshlrev_b64 v[1:2], 4, v[0:1]
	v_add_co_u32 v1, s0, v20, v1
	s_delay_alu instid0(VALU_DEP_1)
	v_add_co_ci_u32_e64 v2, s0, v22, v2, s0
	global_load_b128 v[23:26], v[1:2], off
	s_waitcnt vmcnt(0)
	v_add_f64 v[16:17], v[16:17], v[23:24]
	v_add_f64 v[18:19], v[18:19], v[25:26]
	global_store_b128 v[1:2], v[16:19], off
.LBB1157_5:
	s_or_b32 exec_lo, exec_lo, s1
	v_add_nc_u32_e32 v2, 16, v0
	s_delay_alu instid0(VALU_DEP_1) | instskip(SKIP_1) | instid1(VALU_DEP_1)
	v_cmp_le_i32_e64 s1, v21, v2
	v_cmp_gt_i32_e64 s0, s9, v2
	s_and_b32 s1, s1, s0
	s_delay_alu instid0(SALU_CYCLE_1)
	s_and_saveexec_b32 s6, s1
	s_cbranch_execz .LBB1157_7
; %bb.6:
	v_ashrrev_i32_e32 v3, 31, v2
	s_delay_alu instid0(VALU_DEP_1) | instskip(NEXT) | instid1(VALU_DEP_1)
	v_lshlrev_b64 v[16:17], 4, v[2:3]
	v_add_co_u32 v23, s1, v20, v16
	s_delay_alu instid0(VALU_DEP_1)
	v_add_co_ci_u32_e64 v24, s1, v22, v17, s1
	global_load_b128 v[16:19], v[23:24], off
	s_waitcnt vmcnt(0)
	v_add_f64 v[14:15], v[14:15], v[16:17]
	v_add_f64 v[16:17], v[12:13], v[18:19]
	global_store_b128 v[23:24], v[14:17], off
.LBB1157_7:
	s_or_b32 exec_lo, exec_lo, s6
	v_add_nc_u32_e32 v3, 16, v21
	s_delay_alu instid0(VALU_DEP_1) | instskip(SKIP_3) | instid1(VALU_DEP_4)
	v_ashrrev_i32_e32 v1, 31, v3
	v_mul_lo_u32 v14, v3, s5
	v_mad_u64_u32 v[12:13], null, v3, s4, 0
	v_cmp_le_i32_e64 s1, v3, v0
	v_mul_lo_u32 v1, v1, s4
	s_delay_alu instid0(VALU_DEP_1) | instskip(NEXT) | instid1(VALU_DEP_1)
	v_add3_u32 v13, v13, v14, v1
	v_lshlrev_b64 v[12:13], 4, v[12:13]
	s_delay_alu instid0(VALU_DEP_1) | instskip(NEXT) | instid1(VALU_DEP_1)
	v_add_co_u32 v12, s2, s2, v12
	v_add_co_ci_u32_e64 v13, s2, s3, v13, s2
	s_and_b32 s2, s1, vcc_lo
	s_delay_alu instid0(SALU_CYCLE_1)
	s_and_saveexec_b32 s1, s2
	s_cbranch_execz .LBB1157_9
; %bb.8:
	v_ashrrev_i32_e32 v1, 31, v0
	s_delay_alu instid0(VALU_DEP_1) | instskip(NEXT) | instid1(VALU_DEP_1)
	v_lshlrev_b64 v[0:1], 4, v[0:1]
	v_add_co_u32 v0, vcc_lo, v12, v0
	s_delay_alu instid0(VALU_DEP_2)
	v_add_co_ci_u32_e32 v1, vcc_lo, v13, v1, vcc_lo
	global_load_b128 v[14:17], v[0:1], off
	s_waitcnt vmcnt(0)
	v_add_f64 v[14:15], v[10:11], v[14:15]
	v_add_f64 v[16:17], v[8:9], v[16:17]
	global_store_b128 v[0:1], v[14:17], off
.LBB1157_9:
	s_or_b32 exec_lo, exec_lo, s1
	v_cmp_le_i32_e32 vcc_lo, v3, v2
	s_and_b32 s0, vcc_lo, s0
	s_delay_alu instid0(SALU_CYCLE_1)
	s_and_saveexec_b32 s1, s0
	s_cbranch_execz .LBB1157_11
; %bb.10:
	v_ashrrev_i32_e32 v3, 31, v2
	s_delay_alu instid0(VALU_DEP_1) | instskip(NEXT) | instid1(VALU_DEP_1)
	v_lshlrev_b64 v[0:1], 4, v[2:3]
	v_add_co_u32 v8, vcc_lo, v12, v0
	s_delay_alu instid0(VALU_DEP_2)
	v_add_co_ci_u32_e32 v9, vcc_lo, v13, v1, vcc_lo
	global_load_b128 v[0:3], v[8:9], off
	s_waitcnt vmcnt(0)
	v_add_f64 v[0:1], v[6:7], v[0:1]
	v_add_f64 v[2:3], v[4:5], v[2:3]
	global_store_b128 v[8:9], v[0:3], off
.LBB1157_11:
	s_nop 0
	s_sendmsg sendmsg(MSG_DEALLOC_VGPRS)
	s_endpgm
	.section	.rodata,"a",@progbits
	.p2align	6, 0x0
	.amdhsa_kernel _ZL37rocblas_syrkx_herkx_restricted_kernelIl19rocblas_complex_numIdELi16ELi32ELi8ELi1ELi1ELb0ELc84ELc76EKS1_S1_EviT_PT9_S3_lS5_S3_lPT10_S3_li
		.amdhsa_group_segment_fixed_size 8192
		.amdhsa_private_segment_fixed_size 0
		.amdhsa_kernarg_size 92
		.amdhsa_user_sgpr_count 13
		.amdhsa_user_sgpr_dispatch_ptr 0
		.amdhsa_user_sgpr_queue_ptr 0
		.amdhsa_user_sgpr_kernarg_segment_ptr 1
		.amdhsa_user_sgpr_dispatch_id 0
		.amdhsa_user_sgpr_private_segment_size 0
		.amdhsa_wavefront_size32 1
		.amdhsa_uses_dynamic_stack 0
		.amdhsa_enable_private_segment 0
		.amdhsa_system_sgpr_workgroup_id_x 1
		.amdhsa_system_sgpr_workgroup_id_y 1
		.amdhsa_system_sgpr_workgroup_id_z 1
		.amdhsa_system_sgpr_workgroup_info 0
		.amdhsa_system_vgpr_workitem_id 1
		.amdhsa_next_free_vgpr 118
		.amdhsa_next_free_sgpr 32
		.amdhsa_reserve_vcc 1
		.amdhsa_float_round_mode_32 0
		.amdhsa_float_round_mode_16_64 0
		.amdhsa_float_denorm_mode_32 3
		.amdhsa_float_denorm_mode_16_64 3
		.amdhsa_dx10_clamp 1
		.amdhsa_ieee_mode 1
		.amdhsa_fp16_overflow 0
		.amdhsa_workgroup_processor_mode 1
		.amdhsa_memory_ordered 1
		.amdhsa_forward_progress 0
		.amdhsa_shared_vgpr_count 0
		.amdhsa_exception_fp_ieee_invalid_op 0
		.amdhsa_exception_fp_denorm_src 0
		.amdhsa_exception_fp_ieee_div_zero 0
		.amdhsa_exception_fp_ieee_overflow 0
		.amdhsa_exception_fp_ieee_underflow 0
		.amdhsa_exception_fp_ieee_inexact 0
		.amdhsa_exception_int_div_zero 0
	.end_amdhsa_kernel
	.section	.text._ZL37rocblas_syrkx_herkx_restricted_kernelIl19rocblas_complex_numIdELi16ELi32ELi8ELi1ELi1ELb0ELc84ELc76EKS1_S1_EviT_PT9_S3_lS5_S3_lPT10_S3_li,"axG",@progbits,_ZL37rocblas_syrkx_herkx_restricted_kernelIl19rocblas_complex_numIdELi16ELi32ELi8ELi1ELi1ELb0ELc84ELc76EKS1_S1_EviT_PT9_S3_lS5_S3_lPT10_S3_li,comdat
.Lfunc_end1157:
	.size	_ZL37rocblas_syrkx_herkx_restricted_kernelIl19rocblas_complex_numIdELi16ELi32ELi8ELi1ELi1ELb0ELc84ELc76EKS1_S1_EviT_PT9_S3_lS5_S3_lPT10_S3_li, .Lfunc_end1157-_ZL37rocblas_syrkx_herkx_restricted_kernelIl19rocblas_complex_numIdELi16ELi32ELi8ELi1ELi1ELb0ELc84ELc76EKS1_S1_EviT_PT9_S3_lS5_S3_lPT10_S3_li
                                        ; -- End function
	.section	.AMDGPU.csdata,"",@progbits
; Kernel info:
; codeLenInByte = 3084
; NumSgprs: 34
; NumVgprs: 118
; ScratchSize: 0
; MemoryBound: 0
; FloatMode: 240
; IeeeMode: 1
; LDSByteSize: 8192 bytes/workgroup (compile time only)
; SGPRBlocks: 4
; VGPRBlocks: 14
; NumSGPRsForWavesPerEU: 34
; NumVGPRsForWavesPerEU: 118
; Occupancy: 12
; WaveLimiterHint : 1
; COMPUTE_PGM_RSRC2:SCRATCH_EN: 0
; COMPUTE_PGM_RSRC2:USER_SGPR: 13
; COMPUTE_PGM_RSRC2:TRAP_HANDLER: 0
; COMPUTE_PGM_RSRC2:TGID_X_EN: 1
; COMPUTE_PGM_RSRC2:TGID_Y_EN: 1
; COMPUTE_PGM_RSRC2:TGID_Z_EN: 1
; COMPUTE_PGM_RSRC2:TIDIG_COMP_CNT: 1
	.section	.text._ZL37rocblas_syrkx_herkx_restricted_kernelIl19rocblas_complex_numIdELi16ELi32ELi8ELi1ELi1ELb0ELc67ELc76EKS1_S1_EviT_PT9_S3_lS5_S3_lPT10_S3_li,"axG",@progbits,_ZL37rocblas_syrkx_herkx_restricted_kernelIl19rocblas_complex_numIdELi16ELi32ELi8ELi1ELi1ELb0ELc67ELc76EKS1_S1_EviT_PT9_S3_lS5_S3_lPT10_S3_li,comdat
	.globl	_ZL37rocblas_syrkx_herkx_restricted_kernelIl19rocblas_complex_numIdELi16ELi32ELi8ELi1ELi1ELb0ELc67ELc76EKS1_S1_EviT_PT9_S3_lS5_S3_lPT10_S3_li ; -- Begin function _ZL37rocblas_syrkx_herkx_restricted_kernelIl19rocblas_complex_numIdELi16ELi32ELi8ELi1ELi1ELb0ELc67ELc76EKS1_S1_EviT_PT9_S3_lS5_S3_lPT10_S3_li
	.p2align	8
	.type	_ZL37rocblas_syrkx_herkx_restricted_kernelIl19rocblas_complex_numIdELi16ELi32ELi8ELi1ELi1ELb0ELc67ELc76EKS1_S1_EviT_PT9_S3_lS5_S3_lPT10_S3_li,@function
_ZL37rocblas_syrkx_herkx_restricted_kernelIl19rocblas_complex_numIdELi16ELi32ELi8ELi1ELi1ELb0ELc67ELc76EKS1_S1_EviT_PT9_S3_lS5_S3_lPT10_S3_li: ; @_ZL37rocblas_syrkx_herkx_restricted_kernelIl19rocblas_complex_numIdELi16ELi32ELi8ELi1ELi1ELb0ELc67ELc76EKS1_S1_EviT_PT9_S3_lS5_S3_lPT10_S3_li
; %bb.0:
	s_load_b512 s[16:31], s[0:1], 0x8
	v_mov_b32_e32 v16, 0
	v_dual_mov_b32 v17, 0 :: v_dual_and_b32 v20, 0x3ff, v0
	v_bfe_u32 v21, v0, 10, 10
	s_delay_alu instid0(VALU_DEP_3) | instskip(NEXT) | instid1(VALU_DEP_3)
	v_mov_b32_e32 v14, v16
	v_dual_mov_b32 v12, v16 :: v_dual_mov_b32 v13, v17
	v_dual_mov_b32 v19, v17 :: v_dual_mov_b32 v18, v16
	;; [unrolled: 1-line block ×6, first 2 shown]
	v_mov_b32_e32 v5, v17
	s_lshl_b32 s8, s13, 5
	s_waitcnt lgkmcnt(0)
	v_cmp_lt_i64_e64 s2, s[16:17], 1
	s_lshl_b32 s9, s14, 5
	s_delay_alu instid0(VALU_DEP_1)
	s_and_b32 vcc_lo, exec_lo, s2
	s_cbranch_vccnz .LBB1158_3
; %bb.1:
	v_lshl_add_u32 v2, v21, 4, v20
	v_dual_mov_b32 v1, 0 :: v_dual_and_b32 v0, 7, v20
	v_lshlrev_b32_e32 v22, 4, v20
	s_mul_i32 s3, s23, s15
	s_delay_alu instid0(VALU_DEP_3)
	v_and_b32_e32 v8, 31, v2
	v_lshrrev_b32_e32 v9, 3, v2
	v_lshrrev_b32_e32 v2, 5, v2
	v_mov_b32_e32 v3, v1
	v_lshlrev_b32_e32 v11, 4, v0
	v_add_nc_u32_e32 v6, s8, v8
	v_add_nc_u32_e32 v10, s9, v9
	s_mul_hi_u32 s4, s22, s15
	s_mul_i32 s2, s22, s15
	s_add_i32 s3, s4, s3
	v_ashrrev_i32_e32 v7, 31, v6
	v_ashrrev_i32_e32 v12, 31, v10
	v_mad_u64_u32 v[4:5], null, s20, v6, v[2:3]
	v_mul_lo_u32 v3, s21, v6
	s_delay_alu instid0(VALU_DEP_4)
	v_mul_lo_u32 v13, s20, v7
	v_mul_lo_u32 v14, v10, s27
	v_mad_u64_u32 v[6:7], null, v10, s26, v[0:1]
	v_mul_lo_u32 v0, v12, s26
	v_lshlrev_b32_e32 v1, 4, v8
	s_lshl_b64 s[2:3], s[2:3], 4
	s_mul_hi_u32 s5, s28, s15
	v_add3_u32 v5, v3, v5, v13
	s_add_u32 s4, s18, s2
	v_lshl_or_b32 v23, v2, 9, v1
	s_mul_i32 s2, s29, s15
	v_add3_u32 v7, v0, v7, v14
	v_lshlrev_b64 v[0:1], 4, v[4:5]
	s_addc_u32 s6, s19, s3
	s_add_i32 s3, s5, s2
	s_mul_i32 s2, s28, s15
	v_lshlrev_b64 v[2:3], 4, v[6:7]
	s_lshl_b64 s[2:3], s[2:3], 4
	v_add_co_u32 v0, vcc_lo, s4, v0
	s_add_u32 s2, s24, s2
	v_add_co_ci_u32_e32 v1, vcc_lo, s6, v1, vcc_lo
	v_mov_b32_e32 v4, 0
	v_lshl_or_b32 v8, v9, 7, v11
	s_addc_u32 s3, s25, s3
	v_add_co_u32 v2, vcc_lo, s2, v2
	v_mov_b32_e32 v5, 0
	v_add_co_ci_u32_e32 v3, vcc_lo, s3, v3, vcc_lo
	v_add_co_u32 v0, vcc_lo, v0, 8
	s_delay_alu instid0(VALU_DEP_3)
	v_dual_mov_b32 v11, v5 :: v_dual_add_nc_u32 v24, 0x1000, v8
	v_add_co_ci_u32_e32 v1, vcc_lo, 0, v1, vcc_lo
	v_mov_b32_e32 v9, v5
	v_add_co_u32 v2, vcc_lo, v2, 8
	v_dual_mov_b32 v8, v4 :: v_dual_mov_b32 v13, v5
	v_dual_mov_b32 v10, v4 :: v_dual_mov_b32 v15, v5
	;; [unrolled: 1-line block ×4, first 2 shown]
	v_mov_b32_e32 v17, v5
	v_lshl_add_u32 v25, v21, 7, 0x1000
	v_add_co_ci_u32_e32 v3, vcc_lo, 0, v3, vcc_lo
	v_mov_b32_e32 v6, v4
	v_mov_b32_e32 v18, v4
	;; [unrolled: 1-line block ×3, first 2 shown]
	s_mov_b64 s[2:3], 0
.LBB1158_2:                             ; =>This Inner Loop Header: Depth=1
	global_load_b128 v[26:29], v[0:1], off offset:-8
	global_load_b128 v[30:33], v[2:3], off offset:-8
	s_add_u32 s2, s2, 8
	v_add_co_u32 v0, vcc_lo, 0x80, v0
	s_addc_u32 s3, s3, 0
	v_add_co_ci_u32_e32 v1, vcc_lo, 0, v1, vcc_lo
	v_cmp_ge_u64_e64 s4, s[2:3], s[16:17]
	v_add_co_u32 v2, vcc_lo, 0x80, v2
	v_add_co_ci_u32_e32 v3, vcc_lo, 0, v3, vcc_lo
	s_waitcnt vmcnt(1)
	ds_store_b128 v23, v[26:29]
	s_waitcnt vmcnt(0)
	ds_store_b128 v24, v[30:33]
	s_waitcnt lgkmcnt(0)
	s_barrier
	buffer_gl0_inv
	ds_load_b128 v[26:29], v25
	ds_load_b128 v[30:33], v22
	ds_load_b128 v[34:37], v22 offset:256
	ds_load_b128 v[38:41], v25 offset:2048
	;; [unrolled: 1-line block ×13, first 2 shown]
	s_and_b32 vcc_lo, exec_lo, s4
	s_waitcnt lgkmcnt(13)
	v_mul_f64 v[86:87], v[28:29], v[32:33]
	v_mul_f64 v[88:89], v[26:27], v[32:33]
	s_waitcnt lgkmcnt(12)
	v_mul_f64 v[90:91], v[28:29], v[36:37]
	v_mul_f64 v[92:93], v[26:27], v[36:37]
	;; [unrolled: 3-line block ×3, first 2 shown]
	v_mul_f64 v[96:97], v[40:41], v[36:37]
	v_mul_f64 v[36:37], v[38:39], v[36:37]
	s_waitcnt lgkmcnt(8)
	v_mul_f64 v[98:99], v[44:45], v[52:53]
	v_mul_f64 v[100:101], v[42:43], v[52:53]
	s_waitcnt lgkmcnt(7)
	v_mul_f64 v[102:103], v[44:45], v[56:57]
	v_mul_f64 v[104:105], v[42:43], v[56:57]
	;; [unrolled: 1-line block ×6, first 2 shown]
	s_waitcnt lgkmcnt(3)
	v_mul_f64 v[112:113], v[58:59], v[72:73]
	s_waitcnt lgkmcnt(2)
	v_mul_f64 v[114:115], v[76:77], v[68:69]
	v_mul_f64 v[116:117], v[76:77], v[72:73]
	v_fma_f64 v[86:87], v[26:27], v[30:31], -v[86:87]
	v_fma_f64 v[88:89], v[28:29], v[30:31], v[88:89]
	v_fma_f64 v[90:91], v[26:27], v[34:35], -v[90:91]
	v_fma_f64 v[92:93], v[28:29], v[34:35], v[92:93]
	v_fma_f64 v[94:95], v[38:39], v[30:31], -v[94:95]
	v_fma_f64 v[110:111], v[40:41], v[30:31], v[32:33]
	v_fma_f64 v[38:39], v[38:39], v[34:35], -v[96:97]
	v_fma_f64 v[34:35], v[40:41], v[34:35], v[36:37]
	v_mul_f64 v[36:37], v[60:61], v[68:69]
	v_mul_f64 v[40:41], v[58:59], v[68:69]
	;; [unrolled: 1-line block ×5, first 2 shown]
	v_fma_f64 v[98:99], v[42:43], v[50:51], -v[98:99]
	v_fma_f64 v[100:101], v[44:45], v[50:51], v[100:101]
	v_fma_f64 v[42:43], v[42:43], v[54:55], -v[102:103]
	v_fma_f64 v[44:45], v[44:45], v[54:55], v[104:105]
	v_fma_f64 v[102:103], v[46:47], v[50:51], -v[106:107]
	v_fma_f64 v[50:51], v[48:49], v[50:51], v[52:53]
	v_fma_f64 v[46:47], v[46:47], v[54:55], -v[108:109]
	v_fma_f64 v[48:49], v[48:49], v[54:55], v[56:57]
	ds_load_b128 v[26:29], v22 offset:1792
	ds_load_b128 v[30:33], v22 offset:2048
	s_waitcnt lgkmcnt(2)
	v_mul_f64 v[56:57], v[64:65], v[84:85]
	v_add_f64 v[16:17], v[16:17], v[86:87]
	v_add_f64 v[18:19], v[18:19], v[88:89]
	;; [unrolled: 1-line block ×8, first 2 shown]
	v_mul_f64 v[86:87], v[62:63], v[84:85]
	s_waitcnt lgkmcnt(1)
	v_mul_f64 v[88:89], v[64:65], v[28:29]
	v_mul_f64 v[90:91], v[62:63], v[28:29]
	;; [unrolled: 1-line block ×6, first 2 shown]
	v_fma_f64 v[104:105], v[58:59], v[66:67], -v[36:37]
	v_fma_f64 v[106:107], v[60:61], v[66:67], v[40:41]
	v_fma_f64 v[58:59], v[58:59], v[70:71], -v[96:97]
	v_fma_f64 v[60:61], v[60:61], v[70:71], v[112:113]
	;; [unrolled: 2-line block ×4, first 2 shown]
	ds_load_b128 v[4:7], v22 offset:2304
	ds_load_b128 v[8:11], v25 offset:64
	v_fma_f64 v[56:57], v[62:63], v[82:83], -v[56:57]
	v_add_f64 v[72:73], v[16:17], v[98:99]
	v_add_f64 v[74:75], v[18:19], v[100:101]
	;; [unrolled: 1-line block ×8, first 2 shown]
	ds_load_b128 v[12:15], v25 offset:2112
	ds_load_b128 v[16:19], v25 offset:80
	;; [unrolled: 1-line block ×4, first 2 shown]
	s_waitcnt lgkmcnt(4)
	v_mul_f64 v[54:55], v[10:11], v[32:33]
	v_mul_f64 v[76:77], v[8:9], v[32:33]
	;; [unrolled: 1-line block ×4, first 2 shown]
	v_fma_f64 v[86:87], v[64:65], v[82:83], v[86:87]
	v_fma_f64 v[62:63], v[62:63], v[26:27], -v[88:89]
	v_fma_f64 v[64:65], v[64:65], v[26:27], v[90:91]
	v_fma_f64 v[88:89], v[78:79], v[82:83], -v[92:93]
	;; [unrolled: 2-line block ×3, first 2 shown]
	v_fma_f64 v[80:81], v[80:81], v[26:27], v[28:29]
	s_waitcnt lgkmcnt(3)
	v_mul_f64 v[102:103], v[14:15], v[32:33]
	v_mul_f64 v[32:33], v[12:13], v[32:33]
	v_mul_f64 v[108:109], v[14:15], v[6:7]
	v_mul_f64 v[6:7], v[12:13], v[6:7]
	s_waitcnt lgkmcnt(0)
	v_mul_f64 v[90:91], v[18:19], v[40:41]
	v_mul_f64 v[92:93], v[16:17], v[40:41]
	v_add_f64 v[72:73], v[72:73], v[104:105]
	v_add_f64 v[74:75], v[74:75], v[106:107]
	v_add_f64 v[58:59], v[42:43], v[58:59]
	v_add_f64 v[60:61], v[44:45], v[60:61]
	v_add_f64 v[84:85], v[52:53], v[96:97]
	v_add_f64 v[66:67], v[50:51], v[66:67]
	v_add_f64 v[68:69], v[46:47], v[68:69]
	v_add_f64 v[70:71], v[48:49], v[70:71]
	ds_load_b128 v[26:29], v22 offset:2816
	ds_load_b128 v[42:45], v22 offset:3072
	;; [unrolled: 1-line block ×4, first 2 shown]
	v_mul_f64 v[104:105], v[36:37], v[40:41]
	v_mul_f64 v[40:41], v[34:35], v[40:41]
	v_fma_f64 v[54:55], v[8:9], v[30:31], -v[54:55]
	v_fma_f64 v[76:77], v[10:11], v[30:31], v[76:77]
	v_fma_f64 v[98:99], v[8:9], v[4:5], -v[98:99]
	v_fma_f64 v[100:101], v[10:11], v[4:5], v[100:101]
	s_waitcnt lgkmcnt(3)
	v_mul_f64 v[94:95], v[18:19], v[28:29]
	v_mul_f64 v[96:97], v[16:17], v[28:29]
	;; [unrolled: 1-line block ×4, first 2 shown]
	v_fma_f64 v[102:103], v[12:13], v[30:31], -v[102:103]
	v_fma_f64 v[32:33], v[14:15], v[30:31], v[32:33]
	v_fma_f64 v[108:109], v[12:13], v[4:5], -v[108:109]
	v_fma_f64 v[112:113], v[14:15], v[4:5], v[6:7]
	ds_load_b128 v[4:7], v25 offset:2144
	ds_load_b128 v[8:11], v25 offset:112
	ds_load_b128 v[12:15], v25 offset:2160
	ds_load_b128 v[28:31], v22 offset:3584
	v_add_f64 v[56:57], v[72:73], v[56:57]
	v_add_f64 v[72:73], v[74:75], v[86:87]
	;; [unrolled: 1-line block ×8, first 2 shown]
	s_waitcnt lgkmcnt(4)
	v_mul_f64 v[70:71], v[52:53], v[44:45]
	v_mul_f64 v[74:75], v[50:51], v[44:45]
	;; [unrolled: 1-line block ×4, first 2 shown]
	s_waitcnt lgkmcnt(3)
	v_mul_f64 v[82:83], v[6:7], v[44:45]
	v_mul_f64 v[44:45], v[4:5], v[44:45]
	;; [unrolled: 1-line block ×4, first 2 shown]
	v_fma_f64 v[86:87], v[16:17], v[38:39], -v[90:91]
	v_fma_f64 v[88:89], v[18:19], v[38:39], v[92:93]
	v_fma_f64 v[90:91], v[16:17], v[26:27], -v[94:95]
	v_fma_f64 v[92:93], v[18:19], v[26:27], v[96:97]
	;; [unrolled: 2-line block ×4, first 2 shown]
	ds_load_b128 v[16:19], v22 offset:3840
	s_waitcnt lgkmcnt(0)
	s_barrier
	buffer_gl0_inv
	v_add_f64 v[36:37], v[56:57], v[54:55]
	v_add_f64 v[40:41], v[72:73], v[76:77]
	;; [unrolled: 1-line block ×8, first 2 shown]
	v_mul_f64 v[64:65], v[10:11], v[30:31]
	v_mul_f64 v[66:67], v[8:9], v[30:31]
	;; [unrolled: 1-line block ×4, first 2 shown]
	v_fma_f64 v[70:71], v[50:51], v[42:43], -v[70:71]
	v_mul_f64 v[68:69], v[10:11], v[18:19]
	v_mul_f64 v[72:73], v[8:9], v[18:19]
	;; [unrolled: 1-line block ×4, first 2 shown]
	v_fma_f64 v[74:75], v[52:53], v[42:43], v[74:75]
	v_fma_f64 v[50:51], v[50:51], v[46:47], -v[78:79]
	v_fma_f64 v[52:53], v[52:53], v[46:47], v[80:81]
	v_fma_f64 v[78:79], v[4:5], v[42:43], -v[82:83]
	;; [unrolled: 2-line block ×3, first 2 shown]
	v_fma_f64 v[6:7], v[6:7], v[46:47], v[48:49]
	v_add_f64 v[36:37], v[36:37], v[86:87]
	v_add_f64 v[40:41], v[40:41], v[88:89]
	;; [unrolled: 1-line block ×8, first 2 shown]
	v_fma_f64 v[38:39], v[8:9], v[28:29], -v[64:65]
	v_fma_f64 v[54:55], v[10:11], v[28:29], v[66:67]
	v_fma_f64 v[56:57], v[12:13], v[28:29], -v[76:77]
	v_fma_f64 v[28:29], v[14:15], v[28:29], v[30:31]
	;; [unrolled: 2-line block ×4, first 2 shown]
	v_add_f64 v[12:13], v[36:37], v[70:71]
	v_add_f64 v[14:15], v[40:41], v[74:75]
	;; [unrolled: 1-line block ×16, first 2 shown]
	s_cbranch_vccz .LBB1158_2
.LBB1158_3:
	s_load_b128 s[4:7], s[0:1], 0x48
	v_add_nc_u32_e32 v21, s9, v21
	s_load_b32 s9, s[0:1], 0x0
	s_delay_alu instid0(VALU_DEP_1) | instskip(SKIP_1) | instid1(VALU_DEP_1)
	v_ashrrev_i32_e32 v0, 31, v21
	s_waitcnt lgkmcnt(0)
	v_mul_lo_u32 v3, v0, s4
	v_mul_lo_u32 v22, v21, s5
	v_mad_u64_u32 v[1:2], null, v21, s4, 0
	s_mul_i32 s1, s15, s7
	s_mul_hi_u32 s3, s15, s6
	s_mul_i32 s2, s15, s6
	s_add_i32 s3, s3, s1
	v_add_nc_u32_e32 v0, s8, v20
	s_lshl_b64 s[2:3], s[2:3], 4
	s_delay_alu instid0(VALU_DEP_2)
	v_add3_u32 v2, v2, v22, v3
	s_add_u32 s2, s30, s2
	s_addc_u32 s3, s31, s3
	v_cmp_le_i32_e64 s0, v21, v0
	v_cmp_gt_i32_e32 vcc_lo, s9, v0
	v_lshlrev_b64 v[1:2], 4, v[1:2]
	s_delay_alu instid0(VALU_DEP_3) | instskip(NEXT) | instid1(VALU_DEP_1)
	s_and_b32 s0, s0, vcc_lo
	v_add_co_u32 v20, s1, s2, v1
	s_delay_alu instid0(VALU_DEP_1)
	v_add_co_ci_u32_e64 v22, s1, s3, v2, s1
	s_and_saveexec_b32 s1, s0
	s_cbranch_execz .LBB1158_5
; %bb.4:
	v_ashrrev_i32_e32 v1, 31, v0
	s_delay_alu instid0(VALU_DEP_1) | instskip(NEXT) | instid1(VALU_DEP_1)
	v_lshlrev_b64 v[1:2], 4, v[0:1]
	v_add_co_u32 v1, s0, v20, v1
	s_delay_alu instid0(VALU_DEP_1)
	v_add_co_ci_u32_e64 v2, s0, v22, v2, s0
	global_load_b128 v[23:26], v[1:2], off
	s_waitcnt vmcnt(0)
	v_add_f64 v[16:17], v[16:17], v[23:24]
	v_add_f64 v[18:19], v[18:19], v[25:26]
	global_store_b128 v[1:2], v[16:19], off
.LBB1158_5:
	s_or_b32 exec_lo, exec_lo, s1
	v_add_nc_u32_e32 v2, 16, v0
	s_delay_alu instid0(VALU_DEP_1) | instskip(SKIP_1) | instid1(VALU_DEP_1)
	v_cmp_le_i32_e64 s1, v21, v2
	v_cmp_gt_i32_e64 s0, s9, v2
	s_and_b32 s1, s1, s0
	s_delay_alu instid0(SALU_CYCLE_1)
	s_and_saveexec_b32 s6, s1
	s_cbranch_execz .LBB1158_7
; %bb.6:
	v_ashrrev_i32_e32 v3, 31, v2
	s_delay_alu instid0(VALU_DEP_1) | instskip(NEXT) | instid1(VALU_DEP_1)
	v_lshlrev_b64 v[16:17], 4, v[2:3]
	v_add_co_u32 v23, s1, v20, v16
	s_delay_alu instid0(VALU_DEP_1)
	v_add_co_ci_u32_e64 v24, s1, v22, v17, s1
	global_load_b128 v[16:19], v[23:24], off
	s_waitcnt vmcnt(0)
	v_add_f64 v[14:15], v[14:15], v[16:17]
	v_add_f64 v[16:17], v[12:13], v[18:19]
	global_store_b128 v[23:24], v[14:17], off
.LBB1158_7:
	s_or_b32 exec_lo, exec_lo, s6
	v_add_nc_u32_e32 v3, 16, v21
	s_delay_alu instid0(VALU_DEP_1) | instskip(SKIP_3) | instid1(VALU_DEP_4)
	v_ashrrev_i32_e32 v1, 31, v3
	v_mul_lo_u32 v14, v3, s5
	v_mad_u64_u32 v[12:13], null, v3, s4, 0
	v_cmp_le_i32_e64 s1, v3, v0
	v_mul_lo_u32 v1, v1, s4
	s_delay_alu instid0(VALU_DEP_1) | instskip(NEXT) | instid1(VALU_DEP_1)
	v_add3_u32 v13, v13, v14, v1
	v_lshlrev_b64 v[12:13], 4, v[12:13]
	s_delay_alu instid0(VALU_DEP_1) | instskip(NEXT) | instid1(VALU_DEP_1)
	v_add_co_u32 v12, s2, s2, v12
	v_add_co_ci_u32_e64 v13, s2, s3, v13, s2
	s_and_b32 s2, s1, vcc_lo
	s_delay_alu instid0(SALU_CYCLE_1)
	s_and_saveexec_b32 s1, s2
	s_cbranch_execz .LBB1158_9
; %bb.8:
	v_ashrrev_i32_e32 v1, 31, v0
	s_delay_alu instid0(VALU_DEP_1) | instskip(NEXT) | instid1(VALU_DEP_1)
	v_lshlrev_b64 v[0:1], 4, v[0:1]
	v_add_co_u32 v0, vcc_lo, v12, v0
	s_delay_alu instid0(VALU_DEP_2)
	v_add_co_ci_u32_e32 v1, vcc_lo, v13, v1, vcc_lo
	global_load_b128 v[14:17], v[0:1], off
	s_waitcnt vmcnt(0)
	v_add_f64 v[14:15], v[10:11], v[14:15]
	v_add_f64 v[16:17], v[8:9], v[16:17]
	global_store_b128 v[0:1], v[14:17], off
.LBB1158_9:
	s_or_b32 exec_lo, exec_lo, s1
	v_cmp_le_i32_e32 vcc_lo, v3, v2
	s_and_b32 s0, vcc_lo, s0
	s_delay_alu instid0(SALU_CYCLE_1)
	s_and_saveexec_b32 s1, s0
	s_cbranch_execz .LBB1158_11
; %bb.10:
	v_ashrrev_i32_e32 v3, 31, v2
	s_delay_alu instid0(VALU_DEP_1) | instskip(NEXT) | instid1(VALU_DEP_1)
	v_lshlrev_b64 v[0:1], 4, v[2:3]
	v_add_co_u32 v8, vcc_lo, v12, v0
	s_delay_alu instid0(VALU_DEP_2)
	v_add_co_ci_u32_e32 v9, vcc_lo, v13, v1, vcc_lo
	global_load_b128 v[0:3], v[8:9], off
	s_waitcnt vmcnt(0)
	v_add_f64 v[0:1], v[6:7], v[0:1]
	v_add_f64 v[2:3], v[4:5], v[2:3]
	global_store_b128 v[8:9], v[0:3], off
.LBB1158_11:
	s_nop 0
	s_sendmsg sendmsg(MSG_DEALLOC_VGPRS)
	s_endpgm
	.section	.rodata,"a",@progbits
	.p2align	6, 0x0
	.amdhsa_kernel _ZL37rocblas_syrkx_herkx_restricted_kernelIl19rocblas_complex_numIdELi16ELi32ELi8ELi1ELi1ELb0ELc67ELc76EKS1_S1_EviT_PT9_S3_lS5_S3_lPT10_S3_li
		.amdhsa_group_segment_fixed_size 8192
		.amdhsa_private_segment_fixed_size 0
		.amdhsa_kernarg_size 92
		.amdhsa_user_sgpr_count 13
		.amdhsa_user_sgpr_dispatch_ptr 0
		.amdhsa_user_sgpr_queue_ptr 0
		.amdhsa_user_sgpr_kernarg_segment_ptr 1
		.amdhsa_user_sgpr_dispatch_id 0
		.amdhsa_user_sgpr_private_segment_size 0
		.amdhsa_wavefront_size32 1
		.amdhsa_uses_dynamic_stack 0
		.amdhsa_enable_private_segment 0
		.amdhsa_system_sgpr_workgroup_id_x 1
		.amdhsa_system_sgpr_workgroup_id_y 1
		.amdhsa_system_sgpr_workgroup_id_z 1
		.amdhsa_system_sgpr_workgroup_info 0
		.amdhsa_system_vgpr_workitem_id 1
		.amdhsa_next_free_vgpr 118
		.amdhsa_next_free_sgpr 32
		.amdhsa_reserve_vcc 1
		.amdhsa_float_round_mode_32 0
		.amdhsa_float_round_mode_16_64 0
		.amdhsa_float_denorm_mode_32 3
		.amdhsa_float_denorm_mode_16_64 3
		.amdhsa_dx10_clamp 1
		.amdhsa_ieee_mode 1
		.amdhsa_fp16_overflow 0
		.amdhsa_workgroup_processor_mode 1
		.amdhsa_memory_ordered 1
		.amdhsa_forward_progress 0
		.amdhsa_shared_vgpr_count 0
		.amdhsa_exception_fp_ieee_invalid_op 0
		.amdhsa_exception_fp_denorm_src 0
		.amdhsa_exception_fp_ieee_div_zero 0
		.amdhsa_exception_fp_ieee_overflow 0
		.amdhsa_exception_fp_ieee_underflow 0
		.amdhsa_exception_fp_ieee_inexact 0
		.amdhsa_exception_int_div_zero 0
	.end_amdhsa_kernel
	.section	.text._ZL37rocblas_syrkx_herkx_restricted_kernelIl19rocblas_complex_numIdELi16ELi32ELi8ELi1ELi1ELb0ELc67ELc76EKS1_S1_EviT_PT9_S3_lS5_S3_lPT10_S3_li,"axG",@progbits,_ZL37rocblas_syrkx_herkx_restricted_kernelIl19rocblas_complex_numIdELi16ELi32ELi8ELi1ELi1ELb0ELc67ELc76EKS1_S1_EviT_PT9_S3_lS5_S3_lPT10_S3_li,comdat
.Lfunc_end1158:
	.size	_ZL37rocblas_syrkx_herkx_restricted_kernelIl19rocblas_complex_numIdELi16ELi32ELi8ELi1ELi1ELb0ELc67ELc76EKS1_S1_EviT_PT9_S3_lS5_S3_lPT10_S3_li, .Lfunc_end1158-_ZL37rocblas_syrkx_herkx_restricted_kernelIl19rocblas_complex_numIdELi16ELi32ELi8ELi1ELi1ELb0ELc67ELc76EKS1_S1_EviT_PT9_S3_lS5_S3_lPT10_S3_li
                                        ; -- End function
	.section	.AMDGPU.csdata,"",@progbits
; Kernel info:
; codeLenInByte = 3084
; NumSgprs: 34
; NumVgprs: 118
; ScratchSize: 0
; MemoryBound: 0
; FloatMode: 240
; IeeeMode: 1
; LDSByteSize: 8192 bytes/workgroup (compile time only)
; SGPRBlocks: 4
; VGPRBlocks: 14
; NumSGPRsForWavesPerEU: 34
; NumVGPRsForWavesPerEU: 118
; Occupancy: 12
; WaveLimiterHint : 1
; COMPUTE_PGM_RSRC2:SCRATCH_EN: 0
; COMPUTE_PGM_RSRC2:USER_SGPR: 13
; COMPUTE_PGM_RSRC2:TRAP_HANDLER: 0
; COMPUTE_PGM_RSRC2:TGID_X_EN: 1
; COMPUTE_PGM_RSRC2:TGID_Y_EN: 1
; COMPUTE_PGM_RSRC2:TGID_Z_EN: 1
; COMPUTE_PGM_RSRC2:TIDIG_COMP_CNT: 1
	.section	.text._ZL37rocblas_syrkx_herkx_restricted_kernelIl19rocblas_complex_numIdELi16ELi32ELi8ELi1ELi1ELb0ELc78ELc76EKS1_S1_EviT_PT9_S3_lS5_S3_lPT10_S3_li,"axG",@progbits,_ZL37rocblas_syrkx_herkx_restricted_kernelIl19rocblas_complex_numIdELi16ELi32ELi8ELi1ELi1ELb0ELc78ELc76EKS1_S1_EviT_PT9_S3_lS5_S3_lPT10_S3_li,comdat
	.globl	_ZL37rocblas_syrkx_herkx_restricted_kernelIl19rocblas_complex_numIdELi16ELi32ELi8ELi1ELi1ELb0ELc78ELc76EKS1_S1_EviT_PT9_S3_lS5_S3_lPT10_S3_li ; -- Begin function _ZL37rocblas_syrkx_herkx_restricted_kernelIl19rocblas_complex_numIdELi16ELi32ELi8ELi1ELi1ELb0ELc78ELc76EKS1_S1_EviT_PT9_S3_lS5_S3_lPT10_S3_li
	.p2align	8
	.type	_ZL37rocblas_syrkx_herkx_restricted_kernelIl19rocblas_complex_numIdELi16ELi32ELi8ELi1ELi1ELb0ELc78ELc76EKS1_S1_EviT_PT9_S3_lS5_S3_lPT10_S3_li,@function
_ZL37rocblas_syrkx_herkx_restricted_kernelIl19rocblas_complex_numIdELi16ELi32ELi8ELi1ELi1ELb0ELc78ELc76EKS1_S1_EviT_PT9_S3_lS5_S3_lPT10_S3_li: ; @_ZL37rocblas_syrkx_herkx_restricted_kernelIl19rocblas_complex_numIdELi16ELi32ELi8ELi1ELi1ELb0ELc78ELc76EKS1_S1_EviT_PT9_S3_lS5_S3_lPT10_S3_li
; %bb.0:
	s_load_b512 s[16:31], s[0:1], 0x8
	v_mov_b32_e32 v16, 0
	v_dual_mov_b32 v17, 0 :: v_dual_and_b32 v20, 0x3ff, v0
	v_bfe_u32 v21, v0, 10, 10
	s_delay_alu instid0(VALU_DEP_3) | instskip(NEXT) | instid1(VALU_DEP_3)
	v_mov_b32_e32 v14, v16
	v_dual_mov_b32 v12, v16 :: v_dual_mov_b32 v13, v17
	v_dual_mov_b32 v19, v17 :: v_dual_mov_b32 v18, v16
	;; [unrolled: 1-line block ×6, first 2 shown]
	v_mov_b32_e32 v5, v17
	s_lshl_b32 s8, s13, 5
	s_waitcnt lgkmcnt(0)
	v_cmp_lt_i64_e64 s2, s[16:17], 1
	s_lshl_b32 s9, s14, 5
	s_delay_alu instid0(VALU_DEP_1)
	s_and_b32 vcc_lo, exec_lo, s2
	s_cbranch_vccnz .LBB1159_3
; %bb.1:
	v_lshl_add_u32 v1, v21, 4, v20
	v_and_b32_e32 v10, 7, v20
	s_mul_i32 s3, s23, s15
	s_mul_hi_u32 s5, s22, s15
	s_mul_i32 s2, s22, s15
	v_dual_mov_b32 v4, 0 :: v_dual_and_b32 v9, 31, v1
	v_lshrrev_b32_e32 v11, 3, v1
	v_mov_b32_e32 v5, 0
	v_lshrrev_b32_e32 v12, 5, v1
	s_delay_alu instid0(VALU_DEP_4)
	v_add_nc_u32_e32 v0, s8, v9
	s_add_i32 s3, s5, s3
	v_add_nc_u32_e32 v2, s9, v11
	s_lshl_b64 s[2:3], s[2:3], 4
	s_mul_i32 s6, s29, s15
	v_ashrrev_i32_e32 v1, 31, v0
	s_mul_hi_u32 s7, s28, s15
	v_ashrrev_i32_e32 v3, 31, v2
	s_add_u32 s10, s18, s2
	s_mul_i32 s4, s28, s15
	v_mad_u64_u32 v[6:7], null, v12, s20, v[0:1]
	s_delay_alu instid0(VALU_DEP_2) | instskip(SKIP_4) | instid1(VALU_DEP_2)
	v_mad_u64_u32 v[0:1], null, v10, s26, v[2:3]
	s_addc_u32 s11, s19, s3
	s_add_i32 s5, s7, s6
	s_lshl_b64 s[2:3], s[20:21], 7
	s_lshl_b64 s[4:5], s[4:5], 4
	v_dual_mov_b32 v2, v7 :: v_dual_lshlrev_b32 v13, 4, v10
	s_add_u32 s4, s24, s4
	s_addc_u32 s5, s25, s5
	v_lshl_add_u32 v23, v21, 7, 0x1000
	s_delay_alu instid0(VALU_DEP_2)
	v_mad_u64_u32 v[7:8], null, v12, s21, v[2:3]
	v_mad_u64_u32 v[2:3], null, v10, s27, v[1:2]
	v_lshlrev_b32_e32 v22, 4, v20
	v_lshlrev_b32_e32 v8, 4, v9
	v_lshl_or_b32 v9, v11, 7, v13
	v_dual_mov_b32 v11, v5 :: v_dual_mov_b32 v10, v4
	v_mov_b32_e32 v15, v5
	v_mov_b32_e32 v1, v2
	v_lshlrev_b64 v[2:3], 4, v[6:7]
	v_lshl_or_b32 v24, v12, 9, v8
	v_add_nc_u32_e32 v25, 0x1000, v9
	v_mov_b32_e32 v9, v5
	v_lshlrev_b64 v[0:1], 4, v[0:1]
	v_dual_mov_b32 v8, v4 :: v_dual_mov_b32 v13, v5
	v_add_co_u32 v2, vcc_lo, s10, v2
	v_add_co_ci_u32_e32 v3, vcc_lo, s11, v3, vcc_lo
	s_delay_alu instid0(VALU_DEP_4) | instskip(SKIP_1) | instid1(VALU_DEP_4)
	v_add_co_u32 v6, vcc_lo, s4, v0
	v_add_co_ci_u32_e32 v7, vcc_lo, s5, v1, vcc_lo
	v_add_co_u32 v0, vcc_lo, v2, 8
	s_delay_alu instid0(VALU_DEP_4) | instskip(NEXT) | instid1(VALU_DEP_4)
	v_add_co_ci_u32_e32 v1, vcc_lo, 0, v3, vcc_lo
	v_add_co_u32 v2, vcc_lo, v6, 8
	s_delay_alu instid0(VALU_DEP_4)
	v_add_co_ci_u32_e32 v3, vcc_lo, 0, v7, vcc_lo
	v_dual_mov_b32 v7, v5 :: v_dual_mov_b32 v12, v4
	v_dual_mov_b32 v19, v5 :: v_dual_mov_b32 v14, v4
	;; [unrolled: 1-line block ×3, first 2 shown]
	v_mov_b32_e32 v18, v4
	v_mov_b32_e32 v16, v4
	s_lshl_b64 s[4:5], s[26:27], 7
	s_mov_b64 s[6:7], 0
.LBB1159_2:                             ; =>This Inner Loop Header: Depth=1
	global_load_b128 v[26:29], v[0:1], off offset:-8
	global_load_b128 v[30:33], v[2:3], off offset:-8
	s_add_u32 s6, s6, 8
	v_add_co_u32 v0, vcc_lo, v0, s2
	s_addc_u32 s7, s7, 0
	v_add_co_ci_u32_e32 v1, vcc_lo, s3, v1, vcc_lo
	v_cmp_ge_u64_e64 s10, s[6:7], s[16:17]
	v_add_co_u32 v2, vcc_lo, v2, s4
	v_add_co_ci_u32_e32 v3, vcc_lo, s5, v3, vcc_lo
	s_waitcnt vmcnt(1)
	ds_store_b128 v24, v[26:29]
	s_waitcnt vmcnt(0)
	ds_store_b128 v25, v[30:33]
	s_waitcnt lgkmcnt(0)
	s_barrier
	buffer_gl0_inv
	ds_load_b128 v[26:29], v23
	ds_load_b128 v[30:33], v22
	ds_load_b128 v[34:37], v22 offset:256
	ds_load_b128 v[38:41], v23 offset:2048
	;; [unrolled: 1-line block ×13, first 2 shown]
	s_and_b32 vcc_lo, exec_lo, s10
	s_waitcnt lgkmcnt(13)
	v_mul_f64 v[86:87], v[28:29], v[32:33]
	v_mul_f64 v[88:89], v[26:27], v[32:33]
	s_waitcnt lgkmcnt(12)
	v_mul_f64 v[90:91], v[28:29], v[36:37]
	v_mul_f64 v[92:93], v[26:27], v[36:37]
	;; [unrolled: 3-line block ×3, first 2 shown]
	v_mul_f64 v[96:97], v[40:41], v[36:37]
	v_mul_f64 v[36:37], v[38:39], v[36:37]
	s_waitcnt lgkmcnt(8)
	v_mul_f64 v[98:99], v[44:45], v[52:53]
	v_mul_f64 v[100:101], v[42:43], v[52:53]
	s_waitcnt lgkmcnt(7)
	v_mul_f64 v[102:103], v[44:45], v[56:57]
	v_mul_f64 v[104:105], v[42:43], v[56:57]
	;; [unrolled: 1-line block ×6, first 2 shown]
	s_waitcnt lgkmcnt(3)
	v_mul_f64 v[112:113], v[58:59], v[72:73]
	s_waitcnt lgkmcnt(2)
	v_mul_f64 v[114:115], v[76:77], v[68:69]
	v_mul_f64 v[116:117], v[76:77], v[72:73]
	v_fma_f64 v[86:87], v[26:27], v[30:31], -v[86:87]
	v_fma_f64 v[88:89], v[28:29], v[30:31], v[88:89]
	v_fma_f64 v[90:91], v[26:27], v[34:35], -v[90:91]
	v_fma_f64 v[92:93], v[28:29], v[34:35], v[92:93]
	;; [unrolled: 2-line block ×4, first 2 shown]
	v_mul_f64 v[36:37], v[60:61], v[68:69]
	v_mul_f64 v[40:41], v[58:59], v[68:69]
	;; [unrolled: 1-line block ×5, first 2 shown]
	v_fma_f64 v[98:99], v[42:43], v[50:51], -v[98:99]
	v_fma_f64 v[100:101], v[44:45], v[50:51], v[100:101]
	v_fma_f64 v[42:43], v[42:43], v[54:55], -v[102:103]
	v_fma_f64 v[44:45], v[44:45], v[54:55], v[104:105]
	v_fma_f64 v[102:103], v[46:47], v[50:51], -v[106:107]
	v_fma_f64 v[50:51], v[48:49], v[50:51], v[52:53]
	v_fma_f64 v[46:47], v[46:47], v[54:55], -v[108:109]
	v_fma_f64 v[48:49], v[48:49], v[54:55], v[56:57]
	ds_load_b128 v[26:29], v22 offset:1792
	ds_load_b128 v[30:33], v22 offset:2048
	s_waitcnt lgkmcnt(2)
	v_mul_f64 v[56:57], v[64:65], v[84:85]
	v_add_f64 v[16:17], v[16:17], v[86:87]
	v_add_f64 v[18:19], v[18:19], v[88:89]
	;; [unrolled: 1-line block ×8, first 2 shown]
	v_mul_f64 v[86:87], v[62:63], v[84:85]
	s_waitcnt lgkmcnt(1)
	v_mul_f64 v[88:89], v[64:65], v[28:29]
	v_mul_f64 v[90:91], v[62:63], v[28:29]
	;; [unrolled: 1-line block ×6, first 2 shown]
	v_fma_f64 v[104:105], v[58:59], v[66:67], -v[36:37]
	v_fma_f64 v[106:107], v[60:61], v[66:67], v[40:41]
	v_fma_f64 v[58:59], v[58:59], v[70:71], -v[96:97]
	v_fma_f64 v[60:61], v[60:61], v[70:71], v[112:113]
	;; [unrolled: 2-line block ×4, first 2 shown]
	ds_load_b128 v[4:7], v22 offset:2304
	ds_load_b128 v[8:11], v23 offset:64
	v_fma_f64 v[56:57], v[62:63], v[82:83], -v[56:57]
	v_add_f64 v[72:73], v[16:17], v[98:99]
	v_add_f64 v[74:75], v[18:19], v[100:101]
	;; [unrolled: 1-line block ×8, first 2 shown]
	ds_load_b128 v[12:15], v23 offset:2112
	ds_load_b128 v[16:19], v23 offset:80
	;; [unrolled: 1-line block ×4, first 2 shown]
	s_waitcnt lgkmcnt(4)
	v_mul_f64 v[54:55], v[10:11], v[32:33]
	v_mul_f64 v[76:77], v[8:9], v[32:33]
	;; [unrolled: 1-line block ×4, first 2 shown]
	v_fma_f64 v[86:87], v[64:65], v[82:83], v[86:87]
	v_fma_f64 v[62:63], v[62:63], v[26:27], -v[88:89]
	v_fma_f64 v[64:65], v[64:65], v[26:27], v[90:91]
	v_fma_f64 v[88:89], v[78:79], v[82:83], -v[92:93]
	;; [unrolled: 2-line block ×3, first 2 shown]
	v_fma_f64 v[80:81], v[80:81], v[26:27], v[28:29]
	s_waitcnt lgkmcnt(3)
	v_mul_f64 v[102:103], v[14:15], v[32:33]
	v_mul_f64 v[32:33], v[12:13], v[32:33]
	;; [unrolled: 1-line block ×4, first 2 shown]
	s_waitcnt lgkmcnt(0)
	v_mul_f64 v[90:91], v[18:19], v[40:41]
	v_mul_f64 v[92:93], v[16:17], v[40:41]
	v_add_f64 v[72:73], v[72:73], v[104:105]
	v_add_f64 v[74:75], v[74:75], v[106:107]
	;; [unrolled: 1-line block ×8, first 2 shown]
	ds_load_b128 v[26:29], v22 offset:2816
	ds_load_b128 v[42:45], v22 offset:3072
	;; [unrolled: 1-line block ×4, first 2 shown]
	v_mul_f64 v[104:105], v[36:37], v[40:41]
	v_mul_f64 v[40:41], v[34:35], v[40:41]
	v_fma_f64 v[54:55], v[8:9], v[30:31], -v[54:55]
	v_fma_f64 v[76:77], v[10:11], v[30:31], v[76:77]
	v_fma_f64 v[98:99], v[8:9], v[4:5], -v[98:99]
	v_fma_f64 v[100:101], v[10:11], v[4:5], v[100:101]
	s_waitcnt lgkmcnt(3)
	v_mul_f64 v[94:95], v[18:19], v[28:29]
	v_mul_f64 v[96:97], v[16:17], v[28:29]
	;; [unrolled: 1-line block ×4, first 2 shown]
	v_fma_f64 v[102:103], v[12:13], v[30:31], -v[102:103]
	v_fma_f64 v[32:33], v[14:15], v[30:31], v[32:33]
	v_fma_f64 v[108:109], v[12:13], v[4:5], -v[108:109]
	v_fma_f64 v[112:113], v[14:15], v[4:5], v[6:7]
	ds_load_b128 v[4:7], v23 offset:2144
	ds_load_b128 v[8:11], v23 offset:112
	;; [unrolled: 1-line block ×4, first 2 shown]
	v_add_f64 v[56:57], v[72:73], v[56:57]
	v_add_f64 v[72:73], v[74:75], v[86:87]
	;; [unrolled: 1-line block ×8, first 2 shown]
	s_waitcnt lgkmcnt(4)
	v_mul_f64 v[70:71], v[52:53], v[44:45]
	v_mul_f64 v[74:75], v[50:51], v[44:45]
	;; [unrolled: 1-line block ×4, first 2 shown]
	s_waitcnt lgkmcnt(3)
	v_mul_f64 v[82:83], v[6:7], v[44:45]
	v_mul_f64 v[44:45], v[4:5], v[44:45]
	;; [unrolled: 1-line block ×4, first 2 shown]
	v_fma_f64 v[86:87], v[16:17], v[38:39], -v[90:91]
	v_fma_f64 v[88:89], v[18:19], v[38:39], v[92:93]
	v_fma_f64 v[90:91], v[16:17], v[26:27], -v[94:95]
	v_fma_f64 v[92:93], v[18:19], v[26:27], v[96:97]
	v_fma_f64 v[94:95], v[34:35], v[38:39], -v[104:105]
	v_fma_f64 v[38:39], v[36:37], v[38:39], v[40:41]
	v_fma_f64 v[34:35], v[34:35], v[26:27], -v[106:107]
	v_fma_f64 v[26:27], v[36:37], v[26:27], v[110:111]
	ds_load_b128 v[16:19], v22 offset:3840
	s_waitcnt lgkmcnt(0)
	s_barrier
	buffer_gl0_inv
	v_add_f64 v[36:37], v[56:57], v[54:55]
	v_add_f64 v[40:41], v[72:73], v[76:77]
	v_add_f64 v[54:55], v[58:59], v[98:99]
	v_add_f64 v[56:57], v[60:61], v[100:101]
	v_add_f64 v[58:59], v[62:63], v[102:103]
	v_add_f64 v[32:33], v[64:65], v[32:33]
	v_add_f64 v[60:61], v[66:67], v[108:109]
	v_add_f64 v[62:63], v[68:69], v[112:113]
	v_mul_f64 v[64:65], v[10:11], v[30:31]
	v_mul_f64 v[66:67], v[8:9], v[30:31]
	v_mul_f64 v[76:77], v[14:15], v[30:31]
	v_mul_f64 v[30:31], v[12:13], v[30:31]
	v_fma_f64 v[70:71], v[50:51], v[42:43], -v[70:71]
	v_mul_f64 v[68:69], v[10:11], v[18:19]
	v_mul_f64 v[72:73], v[8:9], v[18:19]
	;; [unrolled: 1-line block ×4, first 2 shown]
	v_fma_f64 v[74:75], v[52:53], v[42:43], v[74:75]
	v_fma_f64 v[50:51], v[50:51], v[46:47], -v[78:79]
	v_fma_f64 v[52:53], v[52:53], v[46:47], v[80:81]
	v_fma_f64 v[78:79], v[4:5], v[42:43], -v[82:83]
	;; [unrolled: 2-line block ×3, first 2 shown]
	v_fma_f64 v[6:7], v[6:7], v[46:47], v[48:49]
	v_add_f64 v[36:37], v[36:37], v[86:87]
	v_add_f64 v[40:41], v[40:41], v[88:89]
	v_add_f64 v[44:45], v[54:55], v[90:91]
	v_add_f64 v[46:47], v[56:57], v[92:93]
	v_add_f64 v[48:49], v[58:59], v[94:95]
	v_add_f64 v[32:33], v[32:33], v[38:39]
	v_add_f64 v[34:35], v[60:61], v[34:35]
	v_add_f64 v[26:27], v[62:63], v[26:27]
	v_fma_f64 v[38:39], v[8:9], v[28:29], -v[64:65]
	v_fma_f64 v[54:55], v[10:11], v[28:29], v[66:67]
	v_fma_f64 v[56:57], v[12:13], v[28:29], -v[76:77]
	v_fma_f64 v[28:29], v[14:15], v[28:29], v[30:31]
	v_fma_f64 v[8:9], v[8:9], v[16:17], -v[68:69]
	v_fma_f64 v[10:11], v[10:11], v[16:17], v[72:73]
	v_fma_f64 v[30:31], v[12:13], v[16:17], -v[96:97]
	v_fma_f64 v[58:59], v[14:15], v[16:17], v[18:19]
	v_add_f64 v[12:13], v[36:37], v[70:71]
	v_add_f64 v[14:15], v[40:41], v[74:75]
	;; [unrolled: 1-line block ×16, first 2 shown]
	s_cbranch_vccz .LBB1159_2
.LBB1159_3:
	s_load_b128 s[4:7], s[0:1], 0x48
	v_add_nc_u32_e32 v21, s9, v21
	s_load_b32 s9, s[0:1], 0x0
	s_delay_alu instid0(VALU_DEP_1) | instskip(SKIP_1) | instid1(VALU_DEP_1)
	v_ashrrev_i32_e32 v0, 31, v21
	s_waitcnt lgkmcnt(0)
	v_mul_lo_u32 v3, v0, s4
	v_mul_lo_u32 v22, v21, s5
	v_mad_u64_u32 v[1:2], null, v21, s4, 0
	s_mul_i32 s1, s15, s7
	s_mul_hi_u32 s3, s15, s6
	s_mul_i32 s2, s15, s6
	s_add_i32 s3, s3, s1
	v_add_nc_u32_e32 v0, s8, v20
	s_lshl_b64 s[2:3], s[2:3], 4
	s_delay_alu instid0(VALU_DEP_2)
	v_add3_u32 v2, v2, v22, v3
	s_add_u32 s2, s30, s2
	s_addc_u32 s3, s31, s3
	v_cmp_le_i32_e64 s0, v21, v0
	v_cmp_gt_i32_e32 vcc_lo, s9, v0
	v_lshlrev_b64 v[1:2], 4, v[1:2]
	s_delay_alu instid0(VALU_DEP_3) | instskip(NEXT) | instid1(VALU_DEP_1)
	s_and_b32 s0, s0, vcc_lo
	v_add_co_u32 v20, s1, s2, v1
	s_delay_alu instid0(VALU_DEP_1)
	v_add_co_ci_u32_e64 v22, s1, s3, v2, s1
	s_and_saveexec_b32 s1, s0
	s_cbranch_execz .LBB1159_5
; %bb.4:
	v_ashrrev_i32_e32 v1, 31, v0
	s_delay_alu instid0(VALU_DEP_1) | instskip(NEXT) | instid1(VALU_DEP_1)
	v_lshlrev_b64 v[1:2], 4, v[0:1]
	v_add_co_u32 v1, s0, v20, v1
	s_delay_alu instid0(VALU_DEP_1)
	v_add_co_ci_u32_e64 v2, s0, v22, v2, s0
	global_load_b128 v[23:26], v[1:2], off
	s_waitcnt vmcnt(0)
	v_add_f64 v[16:17], v[16:17], v[23:24]
	v_add_f64 v[18:19], v[18:19], v[25:26]
	global_store_b128 v[1:2], v[16:19], off
.LBB1159_5:
	s_or_b32 exec_lo, exec_lo, s1
	v_add_nc_u32_e32 v2, 16, v0
	s_delay_alu instid0(VALU_DEP_1) | instskip(SKIP_1) | instid1(VALU_DEP_1)
	v_cmp_le_i32_e64 s1, v21, v2
	v_cmp_gt_i32_e64 s0, s9, v2
	s_and_b32 s1, s1, s0
	s_delay_alu instid0(SALU_CYCLE_1)
	s_and_saveexec_b32 s6, s1
	s_cbranch_execz .LBB1159_7
; %bb.6:
	v_ashrrev_i32_e32 v3, 31, v2
	s_delay_alu instid0(VALU_DEP_1) | instskip(NEXT) | instid1(VALU_DEP_1)
	v_lshlrev_b64 v[16:17], 4, v[2:3]
	v_add_co_u32 v23, s1, v20, v16
	s_delay_alu instid0(VALU_DEP_1)
	v_add_co_ci_u32_e64 v24, s1, v22, v17, s1
	global_load_b128 v[16:19], v[23:24], off
	s_waitcnt vmcnt(0)
	v_add_f64 v[14:15], v[14:15], v[16:17]
	v_add_f64 v[16:17], v[12:13], v[18:19]
	global_store_b128 v[23:24], v[14:17], off
.LBB1159_7:
	s_or_b32 exec_lo, exec_lo, s6
	v_add_nc_u32_e32 v3, 16, v21
	s_delay_alu instid0(VALU_DEP_1) | instskip(SKIP_3) | instid1(VALU_DEP_4)
	v_ashrrev_i32_e32 v1, 31, v3
	v_mul_lo_u32 v14, v3, s5
	v_mad_u64_u32 v[12:13], null, v3, s4, 0
	v_cmp_le_i32_e64 s1, v3, v0
	v_mul_lo_u32 v1, v1, s4
	s_delay_alu instid0(VALU_DEP_1) | instskip(NEXT) | instid1(VALU_DEP_1)
	v_add3_u32 v13, v13, v14, v1
	v_lshlrev_b64 v[12:13], 4, v[12:13]
	s_delay_alu instid0(VALU_DEP_1) | instskip(NEXT) | instid1(VALU_DEP_1)
	v_add_co_u32 v12, s2, s2, v12
	v_add_co_ci_u32_e64 v13, s2, s3, v13, s2
	s_and_b32 s2, s1, vcc_lo
	s_delay_alu instid0(SALU_CYCLE_1)
	s_and_saveexec_b32 s1, s2
	s_cbranch_execz .LBB1159_9
; %bb.8:
	v_ashrrev_i32_e32 v1, 31, v0
	s_delay_alu instid0(VALU_DEP_1) | instskip(NEXT) | instid1(VALU_DEP_1)
	v_lshlrev_b64 v[0:1], 4, v[0:1]
	v_add_co_u32 v0, vcc_lo, v12, v0
	s_delay_alu instid0(VALU_DEP_2)
	v_add_co_ci_u32_e32 v1, vcc_lo, v13, v1, vcc_lo
	global_load_b128 v[14:17], v[0:1], off
	s_waitcnt vmcnt(0)
	v_add_f64 v[14:15], v[10:11], v[14:15]
	v_add_f64 v[16:17], v[8:9], v[16:17]
	global_store_b128 v[0:1], v[14:17], off
.LBB1159_9:
	s_or_b32 exec_lo, exec_lo, s1
	v_cmp_le_i32_e32 vcc_lo, v3, v2
	s_and_b32 s0, vcc_lo, s0
	s_delay_alu instid0(SALU_CYCLE_1)
	s_and_saveexec_b32 s1, s0
	s_cbranch_execz .LBB1159_11
; %bb.10:
	v_ashrrev_i32_e32 v3, 31, v2
	s_delay_alu instid0(VALU_DEP_1) | instskip(NEXT) | instid1(VALU_DEP_1)
	v_lshlrev_b64 v[0:1], 4, v[2:3]
	v_add_co_u32 v8, vcc_lo, v12, v0
	s_delay_alu instid0(VALU_DEP_2)
	v_add_co_ci_u32_e32 v9, vcc_lo, v13, v1, vcc_lo
	global_load_b128 v[0:3], v[8:9], off
	s_waitcnt vmcnt(0)
	v_add_f64 v[0:1], v[6:7], v[0:1]
	v_add_f64 v[2:3], v[4:5], v[2:3]
	global_store_b128 v[8:9], v[0:3], off
.LBB1159_11:
	s_nop 0
	s_sendmsg sendmsg(MSG_DEALLOC_VGPRS)
	s_endpgm
	.section	.rodata,"a",@progbits
	.p2align	6, 0x0
	.amdhsa_kernel _ZL37rocblas_syrkx_herkx_restricted_kernelIl19rocblas_complex_numIdELi16ELi32ELi8ELi1ELi1ELb0ELc78ELc76EKS1_S1_EviT_PT9_S3_lS5_S3_lPT10_S3_li
		.amdhsa_group_segment_fixed_size 8192
		.amdhsa_private_segment_fixed_size 0
		.amdhsa_kernarg_size 92
		.amdhsa_user_sgpr_count 13
		.amdhsa_user_sgpr_dispatch_ptr 0
		.amdhsa_user_sgpr_queue_ptr 0
		.amdhsa_user_sgpr_kernarg_segment_ptr 1
		.amdhsa_user_sgpr_dispatch_id 0
		.amdhsa_user_sgpr_private_segment_size 0
		.amdhsa_wavefront_size32 1
		.amdhsa_uses_dynamic_stack 0
		.amdhsa_enable_private_segment 0
		.amdhsa_system_sgpr_workgroup_id_x 1
		.amdhsa_system_sgpr_workgroup_id_y 1
		.amdhsa_system_sgpr_workgroup_id_z 1
		.amdhsa_system_sgpr_workgroup_info 0
		.amdhsa_system_vgpr_workitem_id 1
		.amdhsa_next_free_vgpr 118
		.amdhsa_next_free_sgpr 32
		.amdhsa_reserve_vcc 1
		.amdhsa_float_round_mode_32 0
		.amdhsa_float_round_mode_16_64 0
		.amdhsa_float_denorm_mode_32 3
		.amdhsa_float_denorm_mode_16_64 3
		.amdhsa_dx10_clamp 1
		.amdhsa_ieee_mode 1
		.amdhsa_fp16_overflow 0
		.amdhsa_workgroup_processor_mode 1
		.amdhsa_memory_ordered 1
		.amdhsa_forward_progress 0
		.amdhsa_shared_vgpr_count 0
		.amdhsa_exception_fp_ieee_invalid_op 0
		.amdhsa_exception_fp_denorm_src 0
		.amdhsa_exception_fp_ieee_div_zero 0
		.amdhsa_exception_fp_ieee_overflow 0
		.amdhsa_exception_fp_ieee_underflow 0
		.amdhsa_exception_fp_ieee_inexact 0
		.amdhsa_exception_int_div_zero 0
	.end_amdhsa_kernel
	.section	.text._ZL37rocblas_syrkx_herkx_restricted_kernelIl19rocblas_complex_numIdELi16ELi32ELi8ELi1ELi1ELb0ELc78ELc76EKS1_S1_EviT_PT9_S3_lS5_S3_lPT10_S3_li,"axG",@progbits,_ZL37rocblas_syrkx_herkx_restricted_kernelIl19rocblas_complex_numIdELi16ELi32ELi8ELi1ELi1ELb0ELc78ELc76EKS1_S1_EviT_PT9_S3_lS5_S3_lPT10_S3_li,comdat
.Lfunc_end1159:
	.size	_ZL37rocblas_syrkx_herkx_restricted_kernelIl19rocblas_complex_numIdELi16ELi32ELi8ELi1ELi1ELb0ELc78ELc76EKS1_S1_EviT_PT9_S3_lS5_S3_lPT10_S3_li, .Lfunc_end1159-_ZL37rocblas_syrkx_herkx_restricted_kernelIl19rocblas_complex_numIdELi16ELi32ELi8ELi1ELi1ELb0ELc78ELc76EKS1_S1_EviT_PT9_S3_lS5_S3_lPT10_S3_li
                                        ; -- End function
	.section	.AMDGPU.csdata,"",@progbits
; Kernel info:
; codeLenInByte = 3064
; NumSgprs: 34
; NumVgprs: 118
; ScratchSize: 0
; MemoryBound: 0
; FloatMode: 240
; IeeeMode: 1
; LDSByteSize: 8192 bytes/workgroup (compile time only)
; SGPRBlocks: 4
; VGPRBlocks: 14
; NumSGPRsForWavesPerEU: 34
; NumVGPRsForWavesPerEU: 118
; Occupancy: 12
; WaveLimiterHint : 1
; COMPUTE_PGM_RSRC2:SCRATCH_EN: 0
; COMPUTE_PGM_RSRC2:USER_SGPR: 13
; COMPUTE_PGM_RSRC2:TRAP_HANDLER: 0
; COMPUTE_PGM_RSRC2:TGID_X_EN: 1
; COMPUTE_PGM_RSRC2:TGID_Y_EN: 1
; COMPUTE_PGM_RSRC2:TGID_Z_EN: 1
; COMPUTE_PGM_RSRC2:TIDIG_COMP_CNT: 1
	.section	.text._ZL37rocblas_syrkx_herkx_restricted_kernelIl19rocblas_complex_numIdELi16ELi32ELi8ELi1ELi1ELb0ELc84ELc85EKS1_S1_EviT_PT9_S3_lS5_S3_lPT10_S3_li,"axG",@progbits,_ZL37rocblas_syrkx_herkx_restricted_kernelIl19rocblas_complex_numIdELi16ELi32ELi8ELi1ELi1ELb0ELc84ELc85EKS1_S1_EviT_PT9_S3_lS5_S3_lPT10_S3_li,comdat
	.globl	_ZL37rocblas_syrkx_herkx_restricted_kernelIl19rocblas_complex_numIdELi16ELi32ELi8ELi1ELi1ELb0ELc84ELc85EKS1_S1_EviT_PT9_S3_lS5_S3_lPT10_S3_li ; -- Begin function _ZL37rocblas_syrkx_herkx_restricted_kernelIl19rocblas_complex_numIdELi16ELi32ELi8ELi1ELi1ELb0ELc84ELc85EKS1_S1_EviT_PT9_S3_lS5_S3_lPT10_S3_li
	.p2align	8
	.type	_ZL37rocblas_syrkx_herkx_restricted_kernelIl19rocblas_complex_numIdELi16ELi32ELi8ELi1ELi1ELb0ELc84ELc85EKS1_S1_EviT_PT9_S3_lS5_S3_lPT10_S3_li,@function
_ZL37rocblas_syrkx_herkx_restricted_kernelIl19rocblas_complex_numIdELi16ELi32ELi8ELi1ELi1ELb0ELc84ELc85EKS1_S1_EviT_PT9_S3_lS5_S3_lPT10_S3_li: ; @_ZL37rocblas_syrkx_herkx_restricted_kernelIl19rocblas_complex_numIdELi16ELi32ELi8ELi1ELi1ELb0ELc84ELc85EKS1_S1_EviT_PT9_S3_lS5_S3_lPT10_S3_li
; %bb.0:
	s_load_b512 s[16:31], s[0:1], 0x8
	v_mov_b32_e32 v16, 0
	v_dual_mov_b32 v17, 0 :: v_dual_and_b32 v20, 0x3ff, v0
	v_bfe_u32 v21, v0, 10, 10
	s_delay_alu instid0(VALU_DEP_3) | instskip(NEXT) | instid1(VALU_DEP_3)
	v_mov_b32_e32 v14, v16
	v_dual_mov_b32 v12, v16 :: v_dual_mov_b32 v13, v17
	v_dual_mov_b32 v19, v17 :: v_dual_mov_b32 v18, v16
	;; [unrolled: 1-line block ×6, first 2 shown]
	v_mov_b32_e32 v5, v17
	s_lshl_b32 s8, s13, 5
	s_waitcnt lgkmcnt(0)
	v_cmp_lt_i64_e64 s2, s[16:17], 1
	s_lshl_b32 s9, s14, 5
	s_delay_alu instid0(VALU_DEP_1)
	s_and_b32 vcc_lo, exec_lo, s2
	s_cbranch_vccnz .LBB1160_3
; %bb.1:
	v_lshl_add_u32 v2, v21, 4, v20
	v_dual_mov_b32 v1, 0 :: v_dual_and_b32 v0, 7, v20
	v_lshlrev_b32_e32 v22, 4, v20
	s_mul_i32 s3, s23, s15
	s_delay_alu instid0(VALU_DEP_3)
	v_and_b32_e32 v8, 31, v2
	v_lshrrev_b32_e32 v9, 3, v2
	v_lshrrev_b32_e32 v2, 5, v2
	v_mov_b32_e32 v3, v1
	v_lshlrev_b32_e32 v11, 4, v0
	v_add_nc_u32_e32 v6, s8, v8
	v_add_nc_u32_e32 v10, s9, v9
	s_mul_hi_u32 s4, s22, s15
	s_mul_i32 s2, s22, s15
	s_add_i32 s3, s4, s3
	v_ashrrev_i32_e32 v7, 31, v6
	v_ashrrev_i32_e32 v12, 31, v10
	v_mad_u64_u32 v[4:5], null, s20, v6, v[2:3]
	v_mul_lo_u32 v3, s21, v6
	s_delay_alu instid0(VALU_DEP_4)
	v_mul_lo_u32 v13, s20, v7
	v_mul_lo_u32 v14, v10, s27
	v_mad_u64_u32 v[6:7], null, v10, s26, v[0:1]
	v_mul_lo_u32 v0, v12, s26
	v_lshlrev_b32_e32 v1, 4, v8
	s_lshl_b64 s[2:3], s[2:3], 4
	s_mul_hi_u32 s5, s28, s15
	v_add3_u32 v5, v3, v5, v13
	s_add_u32 s4, s18, s2
	v_lshl_or_b32 v23, v2, 9, v1
	s_mul_i32 s2, s29, s15
	v_add3_u32 v7, v0, v7, v14
	v_lshlrev_b64 v[0:1], 4, v[4:5]
	s_addc_u32 s6, s19, s3
	s_add_i32 s3, s5, s2
	s_mul_i32 s2, s28, s15
	v_lshlrev_b64 v[2:3], 4, v[6:7]
	s_lshl_b64 s[2:3], s[2:3], 4
	v_add_co_u32 v0, vcc_lo, s4, v0
	s_add_u32 s2, s24, s2
	v_add_co_ci_u32_e32 v1, vcc_lo, s6, v1, vcc_lo
	v_mov_b32_e32 v4, 0
	v_lshl_or_b32 v8, v9, 7, v11
	s_addc_u32 s3, s25, s3
	v_add_co_u32 v2, vcc_lo, s2, v2
	v_mov_b32_e32 v5, 0
	v_add_co_ci_u32_e32 v3, vcc_lo, s3, v3, vcc_lo
	v_add_co_u32 v0, vcc_lo, v0, 8
	s_delay_alu instid0(VALU_DEP_3)
	v_dual_mov_b32 v11, v5 :: v_dual_add_nc_u32 v24, 0x1000, v8
	v_add_co_ci_u32_e32 v1, vcc_lo, 0, v1, vcc_lo
	v_mov_b32_e32 v9, v5
	v_add_co_u32 v2, vcc_lo, v2, 8
	v_dual_mov_b32 v8, v4 :: v_dual_mov_b32 v13, v5
	v_dual_mov_b32 v10, v4 :: v_dual_mov_b32 v15, v5
	v_dual_mov_b32 v7, v5 :: v_dual_mov_b32 v12, v4
	v_dual_mov_b32 v19, v5 :: v_dual_mov_b32 v14, v4
	v_mov_b32_e32 v17, v5
	v_lshl_add_u32 v25, v21, 7, 0x1000
	v_add_co_ci_u32_e32 v3, vcc_lo, 0, v3, vcc_lo
	v_mov_b32_e32 v6, v4
	v_mov_b32_e32 v18, v4
	;; [unrolled: 1-line block ×3, first 2 shown]
	s_mov_b64 s[2:3], 0
.LBB1160_2:                             ; =>This Inner Loop Header: Depth=1
	global_load_b128 v[26:29], v[0:1], off offset:-8
	global_load_b128 v[30:33], v[2:3], off offset:-8
	s_add_u32 s2, s2, 8
	v_add_co_u32 v0, vcc_lo, 0x80, v0
	s_addc_u32 s3, s3, 0
	v_add_co_ci_u32_e32 v1, vcc_lo, 0, v1, vcc_lo
	v_cmp_ge_u64_e64 s4, s[2:3], s[16:17]
	v_add_co_u32 v2, vcc_lo, 0x80, v2
	v_add_co_ci_u32_e32 v3, vcc_lo, 0, v3, vcc_lo
	s_waitcnt vmcnt(1)
	ds_store_b128 v23, v[26:29]
	s_waitcnt vmcnt(0)
	ds_store_b128 v24, v[30:33]
	s_waitcnt lgkmcnt(0)
	s_barrier
	buffer_gl0_inv
	ds_load_b128 v[26:29], v25
	ds_load_b128 v[30:33], v22
	ds_load_b128 v[34:37], v22 offset:256
	ds_load_b128 v[38:41], v25 offset:2048
	;; [unrolled: 1-line block ×13, first 2 shown]
	s_and_b32 vcc_lo, exec_lo, s4
	s_waitcnt lgkmcnt(13)
	v_mul_f64 v[86:87], v[28:29], v[32:33]
	v_mul_f64 v[88:89], v[26:27], v[32:33]
	s_waitcnt lgkmcnt(12)
	v_mul_f64 v[90:91], v[28:29], v[36:37]
	v_mul_f64 v[92:93], v[26:27], v[36:37]
	;; [unrolled: 3-line block ×3, first 2 shown]
	v_mul_f64 v[96:97], v[40:41], v[36:37]
	v_mul_f64 v[36:37], v[38:39], v[36:37]
	s_waitcnt lgkmcnt(8)
	v_mul_f64 v[98:99], v[44:45], v[52:53]
	v_mul_f64 v[100:101], v[42:43], v[52:53]
	s_waitcnt lgkmcnt(7)
	v_mul_f64 v[102:103], v[44:45], v[56:57]
	v_mul_f64 v[104:105], v[42:43], v[56:57]
	;; [unrolled: 1-line block ×6, first 2 shown]
	s_waitcnt lgkmcnt(3)
	v_mul_f64 v[112:113], v[58:59], v[72:73]
	s_waitcnt lgkmcnt(2)
	v_mul_f64 v[114:115], v[76:77], v[68:69]
	v_mul_f64 v[116:117], v[76:77], v[72:73]
	v_fma_f64 v[86:87], v[26:27], v[30:31], -v[86:87]
	v_fma_f64 v[88:89], v[28:29], v[30:31], v[88:89]
	v_fma_f64 v[90:91], v[26:27], v[34:35], -v[90:91]
	v_fma_f64 v[92:93], v[28:29], v[34:35], v[92:93]
	;; [unrolled: 2-line block ×4, first 2 shown]
	v_mul_f64 v[36:37], v[60:61], v[68:69]
	v_mul_f64 v[40:41], v[58:59], v[68:69]
	;; [unrolled: 1-line block ×5, first 2 shown]
	v_fma_f64 v[98:99], v[42:43], v[50:51], -v[98:99]
	v_fma_f64 v[100:101], v[44:45], v[50:51], v[100:101]
	v_fma_f64 v[42:43], v[42:43], v[54:55], -v[102:103]
	v_fma_f64 v[44:45], v[44:45], v[54:55], v[104:105]
	;; [unrolled: 2-line block ×4, first 2 shown]
	ds_load_b128 v[26:29], v22 offset:1792
	ds_load_b128 v[30:33], v22 offset:2048
	s_waitcnt lgkmcnt(2)
	v_mul_f64 v[56:57], v[64:65], v[84:85]
	v_add_f64 v[16:17], v[16:17], v[86:87]
	v_add_f64 v[18:19], v[18:19], v[88:89]
	;; [unrolled: 1-line block ×8, first 2 shown]
	v_mul_f64 v[86:87], v[62:63], v[84:85]
	s_waitcnt lgkmcnt(1)
	v_mul_f64 v[88:89], v[64:65], v[28:29]
	v_mul_f64 v[90:91], v[62:63], v[28:29]
	;; [unrolled: 1-line block ×6, first 2 shown]
	v_fma_f64 v[104:105], v[58:59], v[66:67], -v[36:37]
	v_fma_f64 v[106:107], v[60:61], v[66:67], v[40:41]
	v_fma_f64 v[58:59], v[58:59], v[70:71], -v[96:97]
	v_fma_f64 v[60:61], v[60:61], v[70:71], v[112:113]
	;; [unrolled: 2-line block ×4, first 2 shown]
	ds_load_b128 v[4:7], v22 offset:2304
	ds_load_b128 v[8:11], v25 offset:64
	v_fma_f64 v[56:57], v[62:63], v[82:83], -v[56:57]
	v_add_f64 v[72:73], v[16:17], v[98:99]
	v_add_f64 v[74:75], v[18:19], v[100:101]
	v_add_f64 v[42:43], v[14:15], v[42:43]
	v_add_f64 v[44:45], v[12:13], v[44:45]
	v_add_f64 v[52:53], v[52:53], v[102:103]
	v_add_f64 v[50:51], v[54:55], v[50:51]
	v_add_f64 v[46:47], v[38:39], v[46:47]
	v_add_f64 v[48:49], v[34:35], v[48:49]
	ds_load_b128 v[12:15], v25 offset:2112
	ds_load_b128 v[16:19], v25 offset:80
	ds_load_b128 v[34:37], v25 offset:2128
	ds_load_b128 v[38:41], v22 offset:2560
	s_waitcnt lgkmcnt(4)
	v_mul_f64 v[54:55], v[10:11], v[32:33]
	v_mul_f64 v[76:77], v[8:9], v[32:33]
	;; [unrolled: 1-line block ×4, first 2 shown]
	v_fma_f64 v[86:87], v[64:65], v[82:83], v[86:87]
	v_fma_f64 v[62:63], v[62:63], v[26:27], -v[88:89]
	v_fma_f64 v[64:65], v[64:65], v[26:27], v[90:91]
	v_fma_f64 v[88:89], v[78:79], v[82:83], -v[92:93]
	;; [unrolled: 2-line block ×3, first 2 shown]
	v_fma_f64 v[80:81], v[80:81], v[26:27], v[28:29]
	s_waitcnt lgkmcnt(3)
	v_mul_f64 v[102:103], v[14:15], v[32:33]
	v_mul_f64 v[32:33], v[12:13], v[32:33]
	;; [unrolled: 1-line block ×4, first 2 shown]
	s_waitcnt lgkmcnt(0)
	v_mul_f64 v[90:91], v[18:19], v[40:41]
	v_mul_f64 v[92:93], v[16:17], v[40:41]
	v_add_f64 v[72:73], v[72:73], v[104:105]
	v_add_f64 v[74:75], v[74:75], v[106:107]
	;; [unrolled: 1-line block ×8, first 2 shown]
	ds_load_b128 v[26:29], v22 offset:2816
	ds_load_b128 v[42:45], v22 offset:3072
	;; [unrolled: 1-line block ×4, first 2 shown]
	v_mul_f64 v[104:105], v[36:37], v[40:41]
	v_mul_f64 v[40:41], v[34:35], v[40:41]
	v_fma_f64 v[54:55], v[8:9], v[30:31], -v[54:55]
	v_fma_f64 v[76:77], v[10:11], v[30:31], v[76:77]
	v_fma_f64 v[98:99], v[8:9], v[4:5], -v[98:99]
	v_fma_f64 v[100:101], v[10:11], v[4:5], v[100:101]
	s_waitcnt lgkmcnt(3)
	v_mul_f64 v[94:95], v[18:19], v[28:29]
	v_mul_f64 v[96:97], v[16:17], v[28:29]
	;; [unrolled: 1-line block ×4, first 2 shown]
	v_fma_f64 v[102:103], v[12:13], v[30:31], -v[102:103]
	v_fma_f64 v[32:33], v[14:15], v[30:31], v[32:33]
	v_fma_f64 v[108:109], v[12:13], v[4:5], -v[108:109]
	v_fma_f64 v[112:113], v[14:15], v[4:5], v[6:7]
	ds_load_b128 v[4:7], v25 offset:2144
	ds_load_b128 v[8:11], v25 offset:112
	;; [unrolled: 1-line block ×4, first 2 shown]
	v_add_f64 v[56:57], v[72:73], v[56:57]
	v_add_f64 v[72:73], v[74:75], v[86:87]
	;; [unrolled: 1-line block ×8, first 2 shown]
	s_waitcnt lgkmcnt(4)
	v_mul_f64 v[70:71], v[52:53], v[44:45]
	v_mul_f64 v[74:75], v[50:51], v[44:45]
	;; [unrolled: 1-line block ×4, first 2 shown]
	s_waitcnt lgkmcnt(3)
	v_mul_f64 v[82:83], v[6:7], v[44:45]
	v_mul_f64 v[44:45], v[4:5], v[44:45]
	;; [unrolled: 1-line block ×4, first 2 shown]
	v_fma_f64 v[86:87], v[16:17], v[38:39], -v[90:91]
	v_fma_f64 v[88:89], v[18:19], v[38:39], v[92:93]
	v_fma_f64 v[90:91], v[16:17], v[26:27], -v[94:95]
	v_fma_f64 v[92:93], v[18:19], v[26:27], v[96:97]
	;; [unrolled: 2-line block ×4, first 2 shown]
	ds_load_b128 v[16:19], v22 offset:3840
	s_waitcnt lgkmcnt(0)
	s_barrier
	buffer_gl0_inv
	v_add_f64 v[36:37], v[56:57], v[54:55]
	v_add_f64 v[40:41], v[72:73], v[76:77]
	;; [unrolled: 1-line block ×8, first 2 shown]
	v_mul_f64 v[64:65], v[10:11], v[30:31]
	v_mul_f64 v[66:67], v[8:9], v[30:31]
	;; [unrolled: 1-line block ×4, first 2 shown]
	v_fma_f64 v[70:71], v[50:51], v[42:43], -v[70:71]
	v_mul_f64 v[68:69], v[10:11], v[18:19]
	v_mul_f64 v[72:73], v[8:9], v[18:19]
	;; [unrolled: 1-line block ×4, first 2 shown]
	v_fma_f64 v[74:75], v[52:53], v[42:43], v[74:75]
	v_fma_f64 v[50:51], v[50:51], v[46:47], -v[78:79]
	v_fma_f64 v[52:53], v[52:53], v[46:47], v[80:81]
	v_fma_f64 v[78:79], v[4:5], v[42:43], -v[82:83]
	;; [unrolled: 2-line block ×3, first 2 shown]
	v_fma_f64 v[6:7], v[6:7], v[46:47], v[48:49]
	v_add_f64 v[36:37], v[36:37], v[86:87]
	v_add_f64 v[40:41], v[40:41], v[88:89]
	;; [unrolled: 1-line block ×8, first 2 shown]
	v_fma_f64 v[38:39], v[8:9], v[28:29], -v[64:65]
	v_fma_f64 v[54:55], v[10:11], v[28:29], v[66:67]
	v_fma_f64 v[56:57], v[12:13], v[28:29], -v[76:77]
	v_fma_f64 v[28:29], v[14:15], v[28:29], v[30:31]
	;; [unrolled: 2-line block ×4, first 2 shown]
	v_add_f64 v[12:13], v[36:37], v[70:71]
	v_add_f64 v[14:15], v[40:41], v[74:75]
	;; [unrolled: 1-line block ×16, first 2 shown]
	s_cbranch_vccz .LBB1160_2
.LBB1160_3:
	s_clause 0x1
	s_load_b128 s[4:7], s[0:1], 0x48
	s_load_b32 s2, s[0:1], 0x0
	v_add_nc_u32_e32 v21, s9, v21
	s_delay_alu instid0(VALU_DEP_1) | instskip(SKIP_1) | instid1(VALU_DEP_1)
	v_ashrrev_i32_e32 v0, 31, v21
	s_waitcnt lgkmcnt(0)
	v_mul_lo_u32 v3, v0, s4
	v_mul_lo_u32 v22, v21, s5
	v_mad_u64_u32 v[1:2], null, v21, s4, 0
	s_mul_i32 s1, s15, s7
	s_mul_hi_u32 s3, s15, s6
	s_mul_i32 s6, s15, s6
	s_add_i32 s7, s3, s1
	v_add_nc_u32_e32 v0, s8, v20
	s_lshl_b64 s[6:7], s[6:7], 4
	s_delay_alu instid0(VALU_DEP_2)
	v_add3_u32 v2, v2, v22, v3
	s_add_u32 s3, s30, s6
	v_cmp_gt_i32_e32 vcc_lo, s2, v21
	v_cmp_le_i32_e64 s0, v0, v21
	s_addc_u32 s6, s31, s7
	v_lshlrev_b64 v[1:2], 4, v[1:2]
	s_delay_alu instid0(VALU_DEP_2) | instskip(NEXT) | instid1(VALU_DEP_1)
	s_and_b32 s0, vcc_lo, s0
	v_add_co_u32 v20, s1, s3, v1
	s_delay_alu instid0(VALU_DEP_1)
	v_add_co_ci_u32_e64 v22, s1, s6, v2, s1
	s_and_saveexec_b32 s1, s0
	s_cbranch_execz .LBB1160_5
; %bb.4:
	v_ashrrev_i32_e32 v1, 31, v0
	s_delay_alu instid0(VALU_DEP_1) | instskip(NEXT) | instid1(VALU_DEP_1)
	v_lshlrev_b64 v[1:2], 4, v[0:1]
	v_add_co_u32 v1, s0, v20, v1
	s_delay_alu instid0(VALU_DEP_1)
	v_add_co_ci_u32_e64 v2, s0, v22, v2, s0
	global_load_b128 v[23:26], v[1:2], off
	s_waitcnt vmcnt(0)
	v_add_f64 v[16:17], v[16:17], v[23:24]
	v_add_f64 v[18:19], v[18:19], v[25:26]
	global_store_b128 v[1:2], v[16:19], off
.LBB1160_5:
	s_or_b32 exec_lo, exec_lo, s1
	v_add_nc_u32_e32 v2, 16, v0
	s_delay_alu instid0(VALU_DEP_1) | instskip(NEXT) | instid1(VALU_DEP_1)
	v_cmp_le_i32_e64 s0, v2, v21
	s_and_b32 s1, vcc_lo, s0
	s_delay_alu instid0(SALU_CYCLE_1)
	s_and_saveexec_b32 s0, s1
	s_cbranch_execz .LBB1160_7
; %bb.6:
	v_ashrrev_i32_e32 v3, 31, v2
	s_delay_alu instid0(VALU_DEP_1) | instskip(NEXT) | instid1(VALU_DEP_1)
	v_lshlrev_b64 v[16:17], 4, v[2:3]
	v_add_co_u32 v23, vcc_lo, v20, v16
	s_delay_alu instid0(VALU_DEP_2)
	v_add_co_ci_u32_e32 v24, vcc_lo, v22, v17, vcc_lo
	global_load_b128 v[16:19], v[23:24], off
	s_waitcnt vmcnt(0)
	v_add_f64 v[14:15], v[14:15], v[16:17]
	v_add_f64 v[16:17], v[12:13], v[18:19]
	global_store_b128 v[23:24], v[14:17], off
.LBB1160_7:
	s_or_b32 exec_lo, exec_lo, s0
	v_add_nc_u32_e32 v3, 16, v21
	s_delay_alu instid0(VALU_DEP_1) | instskip(SKIP_3) | instid1(VALU_DEP_4)
	v_ashrrev_i32_e32 v1, 31, v3
	v_mul_lo_u32 v14, v3, s5
	v_mad_u64_u32 v[12:13], null, v3, s4, 0
	v_cmp_gt_i32_e32 vcc_lo, s2, v3
	v_mul_lo_u32 v1, v1, s4
	v_cmp_le_i32_e64 s0, v0, v3
	s_delay_alu instid0(VALU_DEP_1) | instskip(NEXT) | instid1(VALU_DEP_2)
	s_and_b32 s0, vcc_lo, s0
	v_add3_u32 v13, v13, v14, v1
	s_delay_alu instid0(VALU_DEP_1) | instskip(NEXT) | instid1(VALU_DEP_1)
	v_lshlrev_b64 v[12:13], 4, v[12:13]
	v_add_co_u32 v12, s1, s3, v12
	s_delay_alu instid0(VALU_DEP_1)
	v_add_co_ci_u32_e64 v13, s1, s6, v13, s1
	s_and_saveexec_b32 s1, s0
	s_cbranch_execz .LBB1160_9
; %bb.8:
	v_ashrrev_i32_e32 v1, 31, v0
	s_delay_alu instid0(VALU_DEP_1) | instskip(NEXT) | instid1(VALU_DEP_1)
	v_lshlrev_b64 v[0:1], 4, v[0:1]
	v_add_co_u32 v0, s0, v12, v0
	s_delay_alu instid0(VALU_DEP_1)
	v_add_co_ci_u32_e64 v1, s0, v13, v1, s0
	global_load_b128 v[14:17], v[0:1], off
	s_waitcnt vmcnt(0)
	v_add_f64 v[14:15], v[10:11], v[14:15]
	v_add_f64 v[16:17], v[8:9], v[16:17]
	global_store_b128 v[0:1], v[14:17], off
.LBB1160_9:
	s_or_b32 exec_lo, exec_lo, s1
	v_cmp_le_i32_e64 s0, v2, v3
	s_delay_alu instid0(VALU_DEP_1) | instskip(NEXT) | instid1(SALU_CYCLE_1)
	s_and_b32 s0, vcc_lo, s0
	s_and_saveexec_b32 s1, s0
	s_cbranch_execz .LBB1160_11
; %bb.10:
	v_ashrrev_i32_e32 v3, 31, v2
	s_delay_alu instid0(VALU_DEP_1) | instskip(NEXT) | instid1(VALU_DEP_1)
	v_lshlrev_b64 v[0:1], 4, v[2:3]
	v_add_co_u32 v8, vcc_lo, v12, v0
	s_delay_alu instid0(VALU_DEP_2)
	v_add_co_ci_u32_e32 v9, vcc_lo, v13, v1, vcc_lo
	global_load_b128 v[0:3], v[8:9], off
	s_waitcnt vmcnt(0)
	v_add_f64 v[0:1], v[6:7], v[0:1]
	v_add_f64 v[2:3], v[4:5], v[2:3]
	global_store_b128 v[8:9], v[0:3], off
.LBB1160_11:
	s_nop 0
	s_sendmsg sendmsg(MSG_DEALLOC_VGPRS)
	s_endpgm
	.section	.rodata,"a",@progbits
	.p2align	6, 0x0
	.amdhsa_kernel _ZL37rocblas_syrkx_herkx_restricted_kernelIl19rocblas_complex_numIdELi16ELi32ELi8ELi1ELi1ELb0ELc84ELc85EKS1_S1_EviT_PT9_S3_lS5_S3_lPT10_S3_li
		.amdhsa_group_segment_fixed_size 8192
		.amdhsa_private_segment_fixed_size 0
		.amdhsa_kernarg_size 92
		.amdhsa_user_sgpr_count 13
		.amdhsa_user_sgpr_dispatch_ptr 0
		.amdhsa_user_sgpr_queue_ptr 0
		.amdhsa_user_sgpr_kernarg_segment_ptr 1
		.amdhsa_user_sgpr_dispatch_id 0
		.amdhsa_user_sgpr_private_segment_size 0
		.amdhsa_wavefront_size32 1
		.amdhsa_uses_dynamic_stack 0
		.amdhsa_enable_private_segment 0
		.amdhsa_system_sgpr_workgroup_id_x 1
		.amdhsa_system_sgpr_workgroup_id_y 1
		.amdhsa_system_sgpr_workgroup_id_z 1
		.amdhsa_system_sgpr_workgroup_info 0
		.amdhsa_system_vgpr_workitem_id 1
		.amdhsa_next_free_vgpr 118
		.amdhsa_next_free_sgpr 32
		.amdhsa_reserve_vcc 1
		.amdhsa_float_round_mode_32 0
		.amdhsa_float_round_mode_16_64 0
		.amdhsa_float_denorm_mode_32 3
		.amdhsa_float_denorm_mode_16_64 3
		.amdhsa_dx10_clamp 1
		.amdhsa_ieee_mode 1
		.amdhsa_fp16_overflow 0
		.amdhsa_workgroup_processor_mode 1
		.amdhsa_memory_ordered 1
		.amdhsa_forward_progress 0
		.amdhsa_shared_vgpr_count 0
		.amdhsa_exception_fp_ieee_invalid_op 0
		.amdhsa_exception_fp_denorm_src 0
		.amdhsa_exception_fp_ieee_div_zero 0
		.amdhsa_exception_fp_ieee_overflow 0
		.amdhsa_exception_fp_ieee_underflow 0
		.amdhsa_exception_fp_ieee_inexact 0
		.amdhsa_exception_int_div_zero 0
	.end_amdhsa_kernel
	.section	.text._ZL37rocblas_syrkx_herkx_restricted_kernelIl19rocblas_complex_numIdELi16ELi32ELi8ELi1ELi1ELb0ELc84ELc85EKS1_S1_EviT_PT9_S3_lS5_S3_lPT10_S3_li,"axG",@progbits,_ZL37rocblas_syrkx_herkx_restricted_kernelIl19rocblas_complex_numIdELi16ELi32ELi8ELi1ELi1ELb0ELc84ELc85EKS1_S1_EviT_PT9_S3_lS5_S3_lPT10_S3_li,comdat
.Lfunc_end1160:
	.size	_ZL37rocblas_syrkx_herkx_restricted_kernelIl19rocblas_complex_numIdELi16ELi32ELi8ELi1ELi1ELb0ELc84ELc85EKS1_S1_EviT_PT9_S3_lS5_S3_lPT10_S3_li, .Lfunc_end1160-_ZL37rocblas_syrkx_herkx_restricted_kernelIl19rocblas_complex_numIdELi16ELi32ELi8ELi1ELi1ELb0ELc84ELc85EKS1_S1_EviT_PT9_S3_lS5_S3_lPT10_S3_li
                                        ; -- End function
	.section	.AMDGPU.csdata,"",@progbits
; Kernel info:
; codeLenInByte = 3088
; NumSgprs: 34
; NumVgprs: 118
; ScratchSize: 0
; MemoryBound: 0
; FloatMode: 240
; IeeeMode: 1
; LDSByteSize: 8192 bytes/workgroup (compile time only)
; SGPRBlocks: 4
; VGPRBlocks: 14
; NumSGPRsForWavesPerEU: 34
; NumVGPRsForWavesPerEU: 118
; Occupancy: 12
; WaveLimiterHint : 1
; COMPUTE_PGM_RSRC2:SCRATCH_EN: 0
; COMPUTE_PGM_RSRC2:USER_SGPR: 13
; COMPUTE_PGM_RSRC2:TRAP_HANDLER: 0
; COMPUTE_PGM_RSRC2:TGID_X_EN: 1
; COMPUTE_PGM_RSRC2:TGID_Y_EN: 1
; COMPUTE_PGM_RSRC2:TGID_Z_EN: 1
; COMPUTE_PGM_RSRC2:TIDIG_COMP_CNT: 1
	.section	.text._ZL37rocblas_syrkx_herkx_restricted_kernelIl19rocblas_complex_numIdELi16ELi32ELi8ELi1ELi1ELb0ELc67ELc85EKS1_S1_EviT_PT9_S3_lS5_S3_lPT10_S3_li,"axG",@progbits,_ZL37rocblas_syrkx_herkx_restricted_kernelIl19rocblas_complex_numIdELi16ELi32ELi8ELi1ELi1ELb0ELc67ELc85EKS1_S1_EviT_PT9_S3_lS5_S3_lPT10_S3_li,comdat
	.globl	_ZL37rocblas_syrkx_herkx_restricted_kernelIl19rocblas_complex_numIdELi16ELi32ELi8ELi1ELi1ELb0ELc67ELc85EKS1_S1_EviT_PT9_S3_lS5_S3_lPT10_S3_li ; -- Begin function _ZL37rocblas_syrkx_herkx_restricted_kernelIl19rocblas_complex_numIdELi16ELi32ELi8ELi1ELi1ELb0ELc67ELc85EKS1_S1_EviT_PT9_S3_lS5_S3_lPT10_S3_li
	.p2align	8
	.type	_ZL37rocblas_syrkx_herkx_restricted_kernelIl19rocblas_complex_numIdELi16ELi32ELi8ELi1ELi1ELb0ELc67ELc85EKS1_S1_EviT_PT9_S3_lS5_S3_lPT10_S3_li,@function
_ZL37rocblas_syrkx_herkx_restricted_kernelIl19rocblas_complex_numIdELi16ELi32ELi8ELi1ELi1ELb0ELc67ELc85EKS1_S1_EviT_PT9_S3_lS5_S3_lPT10_S3_li: ; @_ZL37rocblas_syrkx_herkx_restricted_kernelIl19rocblas_complex_numIdELi16ELi32ELi8ELi1ELi1ELb0ELc67ELc85EKS1_S1_EviT_PT9_S3_lS5_S3_lPT10_S3_li
; %bb.0:
	s_load_b512 s[16:31], s[0:1], 0x8
	v_mov_b32_e32 v16, 0
	v_dual_mov_b32 v17, 0 :: v_dual_and_b32 v20, 0x3ff, v0
	v_bfe_u32 v21, v0, 10, 10
	s_delay_alu instid0(VALU_DEP_3) | instskip(NEXT) | instid1(VALU_DEP_3)
	v_mov_b32_e32 v14, v16
	v_dual_mov_b32 v12, v16 :: v_dual_mov_b32 v13, v17
	v_dual_mov_b32 v19, v17 :: v_dual_mov_b32 v18, v16
	;; [unrolled: 1-line block ×6, first 2 shown]
	v_mov_b32_e32 v5, v17
	s_lshl_b32 s8, s13, 5
	s_waitcnt lgkmcnt(0)
	v_cmp_lt_i64_e64 s2, s[16:17], 1
	s_lshl_b32 s9, s14, 5
	s_delay_alu instid0(VALU_DEP_1)
	s_and_b32 vcc_lo, exec_lo, s2
	s_cbranch_vccnz .LBB1161_3
; %bb.1:
	v_lshl_add_u32 v2, v21, 4, v20
	v_dual_mov_b32 v1, 0 :: v_dual_and_b32 v0, 7, v20
	v_lshlrev_b32_e32 v22, 4, v20
	s_mul_i32 s3, s23, s15
	s_delay_alu instid0(VALU_DEP_3)
	v_and_b32_e32 v8, 31, v2
	v_lshrrev_b32_e32 v9, 3, v2
	v_lshrrev_b32_e32 v2, 5, v2
	v_mov_b32_e32 v3, v1
	v_lshlrev_b32_e32 v11, 4, v0
	v_add_nc_u32_e32 v6, s8, v8
	v_add_nc_u32_e32 v10, s9, v9
	s_mul_hi_u32 s4, s22, s15
	s_mul_i32 s2, s22, s15
	s_add_i32 s3, s4, s3
	v_ashrrev_i32_e32 v7, 31, v6
	v_ashrrev_i32_e32 v12, 31, v10
	v_mad_u64_u32 v[4:5], null, s20, v6, v[2:3]
	v_mul_lo_u32 v3, s21, v6
	s_delay_alu instid0(VALU_DEP_4)
	v_mul_lo_u32 v13, s20, v7
	v_mul_lo_u32 v14, v10, s27
	v_mad_u64_u32 v[6:7], null, v10, s26, v[0:1]
	v_mul_lo_u32 v0, v12, s26
	v_lshlrev_b32_e32 v1, 4, v8
	s_lshl_b64 s[2:3], s[2:3], 4
	s_mul_hi_u32 s5, s28, s15
	v_add3_u32 v5, v3, v5, v13
	s_add_u32 s4, s18, s2
	v_lshl_or_b32 v23, v2, 9, v1
	s_mul_i32 s2, s29, s15
	v_add3_u32 v7, v0, v7, v14
	v_lshlrev_b64 v[0:1], 4, v[4:5]
	s_addc_u32 s6, s19, s3
	s_add_i32 s3, s5, s2
	s_mul_i32 s2, s28, s15
	v_lshlrev_b64 v[2:3], 4, v[6:7]
	s_lshl_b64 s[2:3], s[2:3], 4
	v_add_co_u32 v0, vcc_lo, s4, v0
	s_add_u32 s2, s24, s2
	v_add_co_ci_u32_e32 v1, vcc_lo, s6, v1, vcc_lo
	v_mov_b32_e32 v4, 0
	v_lshl_or_b32 v8, v9, 7, v11
	s_addc_u32 s3, s25, s3
	v_add_co_u32 v2, vcc_lo, s2, v2
	v_mov_b32_e32 v5, 0
	v_add_co_ci_u32_e32 v3, vcc_lo, s3, v3, vcc_lo
	v_add_co_u32 v0, vcc_lo, v0, 8
	s_delay_alu instid0(VALU_DEP_3)
	v_dual_mov_b32 v11, v5 :: v_dual_add_nc_u32 v24, 0x1000, v8
	v_add_co_ci_u32_e32 v1, vcc_lo, 0, v1, vcc_lo
	v_mov_b32_e32 v9, v5
	v_add_co_u32 v2, vcc_lo, v2, 8
	v_dual_mov_b32 v8, v4 :: v_dual_mov_b32 v13, v5
	v_dual_mov_b32 v10, v4 :: v_dual_mov_b32 v15, v5
	v_dual_mov_b32 v7, v5 :: v_dual_mov_b32 v12, v4
	v_dual_mov_b32 v19, v5 :: v_dual_mov_b32 v14, v4
	v_mov_b32_e32 v17, v5
	v_lshl_add_u32 v25, v21, 7, 0x1000
	v_add_co_ci_u32_e32 v3, vcc_lo, 0, v3, vcc_lo
	v_mov_b32_e32 v6, v4
	v_mov_b32_e32 v18, v4
	;; [unrolled: 1-line block ×3, first 2 shown]
	s_mov_b64 s[2:3], 0
.LBB1161_2:                             ; =>This Inner Loop Header: Depth=1
	global_load_b128 v[26:29], v[0:1], off offset:-8
	global_load_b128 v[30:33], v[2:3], off offset:-8
	s_add_u32 s2, s2, 8
	v_add_co_u32 v0, vcc_lo, 0x80, v0
	s_addc_u32 s3, s3, 0
	v_add_co_ci_u32_e32 v1, vcc_lo, 0, v1, vcc_lo
	v_cmp_ge_u64_e64 s4, s[2:3], s[16:17]
	v_add_co_u32 v2, vcc_lo, 0x80, v2
	v_add_co_ci_u32_e32 v3, vcc_lo, 0, v3, vcc_lo
	s_waitcnt vmcnt(1)
	ds_store_b128 v23, v[26:29]
	s_waitcnt vmcnt(0)
	ds_store_b128 v24, v[30:33]
	s_waitcnt lgkmcnt(0)
	s_barrier
	buffer_gl0_inv
	ds_load_b128 v[26:29], v25
	ds_load_b128 v[30:33], v22
	ds_load_b128 v[34:37], v22 offset:256
	ds_load_b128 v[38:41], v25 offset:2048
	;; [unrolled: 1-line block ×13, first 2 shown]
	s_and_b32 vcc_lo, exec_lo, s4
	s_waitcnt lgkmcnt(13)
	v_mul_f64 v[86:87], v[28:29], v[32:33]
	v_mul_f64 v[88:89], v[26:27], v[32:33]
	s_waitcnt lgkmcnt(12)
	v_mul_f64 v[90:91], v[28:29], v[36:37]
	v_mul_f64 v[92:93], v[26:27], v[36:37]
	;; [unrolled: 3-line block ×3, first 2 shown]
	v_mul_f64 v[96:97], v[40:41], v[36:37]
	v_mul_f64 v[36:37], v[38:39], v[36:37]
	s_waitcnt lgkmcnt(8)
	v_mul_f64 v[98:99], v[44:45], v[52:53]
	v_mul_f64 v[100:101], v[42:43], v[52:53]
	s_waitcnt lgkmcnt(7)
	v_mul_f64 v[102:103], v[44:45], v[56:57]
	v_mul_f64 v[104:105], v[42:43], v[56:57]
	;; [unrolled: 1-line block ×6, first 2 shown]
	s_waitcnt lgkmcnt(3)
	v_mul_f64 v[112:113], v[58:59], v[72:73]
	s_waitcnt lgkmcnt(2)
	v_mul_f64 v[114:115], v[76:77], v[68:69]
	v_mul_f64 v[116:117], v[76:77], v[72:73]
	v_fma_f64 v[86:87], v[26:27], v[30:31], -v[86:87]
	v_fma_f64 v[88:89], v[28:29], v[30:31], v[88:89]
	v_fma_f64 v[90:91], v[26:27], v[34:35], -v[90:91]
	v_fma_f64 v[92:93], v[28:29], v[34:35], v[92:93]
	;; [unrolled: 2-line block ×4, first 2 shown]
	v_mul_f64 v[36:37], v[60:61], v[68:69]
	v_mul_f64 v[40:41], v[58:59], v[68:69]
	;; [unrolled: 1-line block ×5, first 2 shown]
	v_fma_f64 v[98:99], v[42:43], v[50:51], -v[98:99]
	v_fma_f64 v[100:101], v[44:45], v[50:51], v[100:101]
	v_fma_f64 v[42:43], v[42:43], v[54:55], -v[102:103]
	v_fma_f64 v[44:45], v[44:45], v[54:55], v[104:105]
	v_fma_f64 v[102:103], v[46:47], v[50:51], -v[106:107]
	v_fma_f64 v[50:51], v[48:49], v[50:51], v[52:53]
	v_fma_f64 v[46:47], v[46:47], v[54:55], -v[108:109]
	v_fma_f64 v[48:49], v[48:49], v[54:55], v[56:57]
	ds_load_b128 v[26:29], v22 offset:1792
	ds_load_b128 v[30:33], v22 offset:2048
	s_waitcnt lgkmcnt(2)
	v_mul_f64 v[56:57], v[64:65], v[84:85]
	v_add_f64 v[16:17], v[16:17], v[86:87]
	v_add_f64 v[18:19], v[18:19], v[88:89]
	;; [unrolled: 1-line block ×8, first 2 shown]
	v_mul_f64 v[86:87], v[62:63], v[84:85]
	s_waitcnt lgkmcnt(1)
	v_mul_f64 v[88:89], v[64:65], v[28:29]
	v_mul_f64 v[90:91], v[62:63], v[28:29]
	;; [unrolled: 1-line block ×6, first 2 shown]
	v_fma_f64 v[104:105], v[58:59], v[66:67], -v[36:37]
	v_fma_f64 v[106:107], v[60:61], v[66:67], v[40:41]
	v_fma_f64 v[58:59], v[58:59], v[70:71], -v[96:97]
	v_fma_f64 v[60:61], v[60:61], v[70:71], v[112:113]
	;; [unrolled: 2-line block ×4, first 2 shown]
	ds_load_b128 v[4:7], v22 offset:2304
	ds_load_b128 v[8:11], v25 offset:64
	v_fma_f64 v[56:57], v[62:63], v[82:83], -v[56:57]
	v_add_f64 v[72:73], v[16:17], v[98:99]
	v_add_f64 v[74:75], v[18:19], v[100:101]
	;; [unrolled: 1-line block ×8, first 2 shown]
	ds_load_b128 v[12:15], v25 offset:2112
	ds_load_b128 v[16:19], v25 offset:80
	;; [unrolled: 1-line block ×4, first 2 shown]
	s_waitcnt lgkmcnt(4)
	v_mul_f64 v[54:55], v[10:11], v[32:33]
	v_mul_f64 v[76:77], v[8:9], v[32:33]
	v_mul_f64 v[98:99], v[10:11], v[6:7]
	v_mul_f64 v[100:101], v[8:9], v[6:7]
	v_fma_f64 v[86:87], v[64:65], v[82:83], v[86:87]
	v_fma_f64 v[62:63], v[62:63], v[26:27], -v[88:89]
	v_fma_f64 v[64:65], v[64:65], v[26:27], v[90:91]
	v_fma_f64 v[88:89], v[78:79], v[82:83], -v[92:93]
	;; [unrolled: 2-line block ×3, first 2 shown]
	v_fma_f64 v[80:81], v[80:81], v[26:27], v[28:29]
	s_waitcnt lgkmcnt(3)
	v_mul_f64 v[102:103], v[14:15], v[32:33]
	v_mul_f64 v[32:33], v[12:13], v[32:33]
	;; [unrolled: 1-line block ×4, first 2 shown]
	s_waitcnt lgkmcnt(0)
	v_mul_f64 v[90:91], v[18:19], v[40:41]
	v_mul_f64 v[92:93], v[16:17], v[40:41]
	v_add_f64 v[72:73], v[72:73], v[104:105]
	v_add_f64 v[74:75], v[74:75], v[106:107]
	;; [unrolled: 1-line block ×8, first 2 shown]
	ds_load_b128 v[26:29], v22 offset:2816
	ds_load_b128 v[42:45], v22 offset:3072
	;; [unrolled: 1-line block ×4, first 2 shown]
	v_mul_f64 v[104:105], v[36:37], v[40:41]
	v_mul_f64 v[40:41], v[34:35], v[40:41]
	v_fma_f64 v[54:55], v[8:9], v[30:31], -v[54:55]
	v_fma_f64 v[76:77], v[10:11], v[30:31], v[76:77]
	v_fma_f64 v[98:99], v[8:9], v[4:5], -v[98:99]
	v_fma_f64 v[100:101], v[10:11], v[4:5], v[100:101]
	s_waitcnt lgkmcnt(3)
	v_mul_f64 v[94:95], v[18:19], v[28:29]
	v_mul_f64 v[96:97], v[16:17], v[28:29]
	;; [unrolled: 1-line block ×4, first 2 shown]
	v_fma_f64 v[102:103], v[12:13], v[30:31], -v[102:103]
	v_fma_f64 v[32:33], v[14:15], v[30:31], v[32:33]
	v_fma_f64 v[108:109], v[12:13], v[4:5], -v[108:109]
	v_fma_f64 v[112:113], v[14:15], v[4:5], v[6:7]
	ds_load_b128 v[4:7], v25 offset:2144
	ds_load_b128 v[8:11], v25 offset:112
	ds_load_b128 v[12:15], v25 offset:2160
	ds_load_b128 v[28:31], v22 offset:3584
	v_add_f64 v[56:57], v[72:73], v[56:57]
	v_add_f64 v[72:73], v[74:75], v[86:87]
	;; [unrolled: 1-line block ×8, first 2 shown]
	s_waitcnt lgkmcnt(4)
	v_mul_f64 v[70:71], v[52:53], v[44:45]
	v_mul_f64 v[74:75], v[50:51], v[44:45]
	;; [unrolled: 1-line block ×4, first 2 shown]
	s_waitcnt lgkmcnt(3)
	v_mul_f64 v[82:83], v[6:7], v[44:45]
	v_mul_f64 v[44:45], v[4:5], v[44:45]
	;; [unrolled: 1-line block ×4, first 2 shown]
	v_fma_f64 v[86:87], v[16:17], v[38:39], -v[90:91]
	v_fma_f64 v[88:89], v[18:19], v[38:39], v[92:93]
	v_fma_f64 v[90:91], v[16:17], v[26:27], -v[94:95]
	v_fma_f64 v[92:93], v[18:19], v[26:27], v[96:97]
	;; [unrolled: 2-line block ×4, first 2 shown]
	ds_load_b128 v[16:19], v22 offset:3840
	s_waitcnt lgkmcnt(0)
	s_barrier
	buffer_gl0_inv
	v_add_f64 v[36:37], v[56:57], v[54:55]
	v_add_f64 v[40:41], v[72:73], v[76:77]
	;; [unrolled: 1-line block ×8, first 2 shown]
	v_mul_f64 v[64:65], v[10:11], v[30:31]
	v_mul_f64 v[66:67], v[8:9], v[30:31]
	;; [unrolled: 1-line block ×4, first 2 shown]
	v_fma_f64 v[70:71], v[50:51], v[42:43], -v[70:71]
	v_mul_f64 v[68:69], v[10:11], v[18:19]
	v_mul_f64 v[72:73], v[8:9], v[18:19]
	;; [unrolled: 1-line block ×4, first 2 shown]
	v_fma_f64 v[74:75], v[52:53], v[42:43], v[74:75]
	v_fma_f64 v[50:51], v[50:51], v[46:47], -v[78:79]
	v_fma_f64 v[52:53], v[52:53], v[46:47], v[80:81]
	v_fma_f64 v[78:79], v[4:5], v[42:43], -v[82:83]
	;; [unrolled: 2-line block ×3, first 2 shown]
	v_fma_f64 v[6:7], v[6:7], v[46:47], v[48:49]
	v_add_f64 v[36:37], v[36:37], v[86:87]
	v_add_f64 v[40:41], v[40:41], v[88:89]
	;; [unrolled: 1-line block ×8, first 2 shown]
	v_fma_f64 v[38:39], v[8:9], v[28:29], -v[64:65]
	v_fma_f64 v[54:55], v[10:11], v[28:29], v[66:67]
	v_fma_f64 v[56:57], v[12:13], v[28:29], -v[76:77]
	v_fma_f64 v[28:29], v[14:15], v[28:29], v[30:31]
	;; [unrolled: 2-line block ×4, first 2 shown]
	v_add_f64 v[12:13], v[36:37], v[70:71]
	v_add_f64 v[14:15], v[40:41], v[74:75]
	;; [unrolled: 1-line block ×16, first 2 shown]
	s_cbranch_vccz .LBB1161_2
.LBB1161_3:
	s_clause 0x1
	s_load_b128 s[4:7], s[0:1], 0x48
	s_load_b32 s2, s[0:1], 0x0
	v_add_nc_u32_e32 v21, s9, v21
	s_delay_alu instid0(VALU_DEP_1) | instskip(SKIP_1) | instid1(VALU_DEP_1)
	v_ashrrev_i32_e32 v0, 31, v21
	s_waitcnt lgkmcnt(0)
	v_mul_lo_u32 v3, v0, s4
	v_mul_lo_u32 v22, v21, s5
	v_mad_u64_u32 v[1:2], null, v21, s4, 0
	s_mul_i32 s1, s15, s7
	s_mul_hi_u32 s3, s15, s6
	s_mul_i32 s6, s15, s6
	s_add_i32 s7, s3, s1
	v_add_nc_u32_e32 v0, s8, v20
	s_lshl_b64 s[6:7], s[6:7], 4
	s_delay_alu instid0(VALU_DEP_2)
	v_add3_u32 v2, v2, v22, v3
	s_add_u32 s3, s30, s6
	v_cmp_gt_i32_e32 vcc_lo, s2, v21
	v_cmp_le_i32_e64 s0, v0, v21
	s_addc_u32 s6, s31, s7
	v_lshlrev_b64 v[1:2], 4, v[1:2]
	s_delay_alu instid0(VALU_DEP_2) | instskip(NEXT) | instid1(VALU_DEP_1)
	s_and_b32 s0, vcc_lo, s0
	v_add_co_u32 v20, s1, s3, v1
	s_delay_alu instid0(VALU_DEP_1)
	v_add_co_ci_u32_e64 v22, s1, s6, v2, s1
	s_and_saveexec_b32 s1, s0
	s_cbranch_execz .LBB1161_5
; %bb.4:
	v_ashrrev_i32_e32 v1, 31, v0
	s_delay_alu instid0(VALU_DEP_1) | instskip(NEXT) | instid1(VALU_DEP_1)
	v_lshlrev_b64 v[1:2], 4, v[0:1]
	v_add_co_u32 v1, s0, v20, v1
	s_delay_alu instid0(VALU_DEP_1)
	v_add_co_ci_u32_e64 v2, s0, v22, v2, s0
	global_load_b128 v[23:26], v[1:2], off
	s_waitcnt vmcnt(0)
	v_add_f64 v[16:17], v[16:17], v[23:24]
	v_add_f64 v[18:19], v[18:19], v[25:26]
	global_store_b128 v[1:2], v[16:19], off
.LBB1161_5:
	s_or_b32 exec_lo, exec_lo, s1
	v_add_nc_u32_e32 v2, 16, v0
	s_delay_alu instid0(VALU_DEP_1) | instskip(NEXT) | instid1(VALU_DEP_1)
	v_cmp_le_i32_e64 s0, v2, v21
	s_and_b32 s1, vcc_lo, s0
	s_delay_alu instid0(SALU_CYCLE_1)
	s_and_saveexec_b32 s0, s1
	s_cbranch_execz .LBB1161_7
; %bb.6:
	v_ashrrev_i32_e32 v3, 31, v2
	s_delay_alu instid0(VALU_DEP_1) | instskip(NEXT) | instid1(VALU_DEP_1)
	v_lshlrev_b64 v[16:17], 4, v[2:3]
	v_add_co_u32 v23, vcc_lo, v20, v16
	s_delay_alu instid0(VALU_DEP_2)
	v_add_co_ci_u32_e32 v24, vcc_lo, v22, v17, vcc_lo
	global_load_b128 v[16:19], v[23:24], off
	s_waitcnt vmcnt(0)
	v_add_f64 v[14:15], v[14:15], v[16:17]
	v_add_f64 v[16:17], v[12:13], v[18:19]
	global_store_b128 v[23:24], v[14:17], off
.LBB1161_7:
	s_or_b32 exec_lo, exec_lo, s0
	v_add_nc_u32_e32 v3, 16, v21
	s_delay_alu instid0(VALU_DEP_1) | instskip(SKIP_3) | instid1(VALU_DEP_4)
	v_ashrrev_i32_e32 v1, 31, v3
	v_mul_lo_u32 v14, v3, s5
	v_mad_u64_u32 v[12:13], null, v3, s4, 0
	v_cmp_gt_i32_e32 vcc_lo, s2, v3
	v_mul_lo_u32 v1, v1, s4
	v_cmp_le_i32_e64 s0, v0, v3
	s_delay_alu instid0(VALU_DEP_1) | instskip(NEXT) | instid1(VALU_DEP_2)
	s_and_b32 s0, vcc_lo, s0
	v_add3_u32 v13, v13, v14, v1
	s_delay_alu instid0(VALU_DEP_1) | instskip(NEXT) | instid1(VALU_DEP_1)
	v_lshlrev_b64 v[12:13], 4, v[12:13]
	v_add_co_u32 v12, s1, s3, v12
	s_delay_alu instid0(VALU_DEP_1)
	v_add_co_ci_u32_e64 v13, s1, s6, v13, s1
	s_and_saveexec_b32 s1, s0
	s_cbranch_execz .LBB1161_9
; %bb.8:
	v_ashrrev_i32_e32 v1, 31, v0
	s_delay_alu instid0(VALU_DEP_1) | instskip(NEXT) | instid1(VALU_DEP_1)
	v_lshlrev_b64 v[0:1], 4, v[0:1]
	v_add_co_u32 v0, s0, v12, v0
	s_delay_alu instid0(VALU_DEP_1)
	v_add_co_ci_u32_e64 v1, s0, v13, v1, s0
	global_load_b128 v[14:17], v[0:1], off
	s_waitcnt vmcnt(0)
	v_add_f64 v[14:15], v[10:11], v[14:15]
	v_add_f64 v[16:17], v[8:9], v[16:17]
	global_store_b128 v[0:1], v[14:17], off
.LBB1161_9:
	s_or_b32 exec_lo, exec_lo, s1
	v_cmp_le_i32_e64 s0, v2, v3
	s_delay_alu instid0(VALU_DEP_1) | instskip(NEXT) | instid1(SALU_CYCLE_1)
	s_and_b32 s0, vcc_lo, s0
	s_and_saveexec_b32 s1, s0
	s_cbranch_execz .LBB1161_11
; %bb.10:
	v_ashrrev_i32_e32 v3, 31, v2
	s_delay_alu instid0(VALU_DEP_1) | instskip(NEXT) | instid1(VALU_DEP_1)
	v_lshlrev_b64 v[0:1], 4, v[2:3]
	v_add_co_u32 v8, vcc_lo, v12, v0
	s_delay_alu instid0(VALU_DEP_2)
	v_add_co_ci_u32_e32 v9, vcc_lo, v13, v1, vcc_lo
	global_load_b128 v[0:3], v[8:9], off
	s_waitcnt vmcnt(0)
	v_add_f64 v[0:1], v[6:7], v[0:1]
	v_add_f64 v[2:3], v[4:5], v[2:3]
	global_store_b128 v[8:9], v[0:3], off
.LBB1161_11:
	s_nop 0
	s_sendmsg sendmsg(MSG_DEALLOC_VGPRS)
	s_endpgm
	.section	.rodata,"a",@progbits
	.p2align	6, 0x0
	.amdhsa_kernel _ZL37rocblas_syrkx_herkx_restricted_kernelIl19rocblas_complex_numIdELi16ELi32ELi8ELi1ELi1ELb0ELc67ELc85EKS1_S1_EviT_PT9_S3_lS5_S3_lPT10_S3_li
		.amdhsa_group_segment_fixed_size 8192
		.amdhsa_private_segment_fixed_size 0
		.amdhsa_kernarg_size 92
		.amdhsa_user_sgpr_count 13
		.amdhsa_user_sgpr_dispatch_ptr 0
		.amdhsa_user_sgpr_queue_ptr 0
		.amdhsa_user_sgpr_kernarg_segment_ptr 1
		.amdhsa_user_sgpr_dispatch_id 0
		.amdhsa_user_sgpr_private_segment_size 0
		.amdhsa_wavefront_size32 1
		.amdhsa_uses_dynamic_stack 0
		.amdhsa_enable_private_segment 0
		.amdhsa_system_sgpr_workgroup_id_x 1
		.amdhsa_system_sgpr_workgroup_id_y 1
		.amdhsa_system_sgpr_workgroup_id_z 1
		.amdhsa_system_sgpr_workgroup_info 0
		.amdhsa_system_vgpr_workitem_id 1
		.amdhsa_next_free_vgpr 118
		.amdhsa_next_free_sgpr 32
		.amdhsa_reserve_vcc 1
		.amdhsa_float_round_mode_32 0
		.amdhsa_float_round_mode_16_64 0
		.amdhsa_float_denorm_mode_32 3
		.amdhsa_float_denorm_mode_16_64 3
		.amdhsa_dx10_clamp 1
		.amdhsa_ieee_mode 1
		.amdhsa_fp16_overflow 0
		.amdhsa_workgroup_processor_mode 1
		.amdhsa_memory_ordered 1
		.amdhsa_forward_progress 0
		.amdhsa_shared_vgpr_count 0
		.amdhsa_exception_fp_ieee_invalid_op 0
		.amdhsa_exception_fp_denorm_src 0
		.amdhsa_exception_fp_ieee_div_zero 0
		.amdhsa_exception_fp_ieee_overflow 0
		.amdhsa_exception_fp_ieee_underflow 0
		.amdhsa_exception_fp_ieee_inexact 0
		.amdhsa_exception_int_div_zero 0
	.end_amdhsa_kernel
	.section	.text._ZL37rocblas_syrkx_herkx_restricted_kernelIl19rocblas_complex_numIdELi16ELi32ELi8ELi1ELi1ELb0ELc67ELc85EKS1_S1_EviT_PT9_S3_lS5_S3_lPT10_S3_li,"axG",@progbits,_ZL37rocblas_syrkx_herkx_restricted_kernelIl19rocblas_complex_numIdELi16ELi32ELi8ELi1ELi1ELb0ELc67ELc85EKS1_S1_EviT_PT9_S3_lS5_S3_lPT10_S3_li,comdat
.Lfunc_end1161:
	.size	_ZL37rocblas_syrkx_herkx_restricted_kernelIl19rocblas_complex_numIdELi16ELi32ELi8ELi1ELi1ELb0ELc67ELc85EKS1_S1_EviT_PT9_S3_lS5_S3_lPT10_S3_li, .Lfunc_end1161-_ZL37rocblas_syrkx_herkx_restricted_kernelIl19rocblas_complex_numIdELi16ELi32ELi8ELi1ELi1ELb0ELc67ELc85EKS1_S1_EviT_PT9_S3_lS5_S3_lPT10_S3_li
                                        ; -- End function
	.section	.AMDGPU.csdata,"",@progbits
; Kernel info:
; codeLenInByte = 3088
; NumSgprs: 34
; NumVgprs: 118
; ScratchSize: 0
; MemoryBound: 0
; FloatMode: 240
; IeeeMode: 1
; LDSByteSize: 8192 bytes/workgroup (compile time only)
; SGPRBlocks: 4
; VGPRBlocks: 14
; NumSGPRsForWavesPerEU: 34
; NumVGPRsForWavesPerEU: 118
; Occupancy: 12
; WaveLimiterHint : 1
; COMPUTE_PGM_RSRC2:SCRATCH_EN: 0
; COMPUTE_PGM_RSRC2:USER_SGPR: 13
; COMPUTE_PGM_RSRC2:TRAP_HANDLER: 0
; COMPUTE_PGM_RSRC2:TGID_X_EN: 1
; COMPUTE_PGM_RSRC2:TGID_Y_EN: 1
; COMPUTE_PGM_RSRC2:TGID_Z_EN: 1
; COMPUTE_PGM_RSRC2:TIDIG_COMP_CNT: 1
	.section	.text._ZL37rocblas_syrkx_herkx_restricted_kernelIl19rocblas_complex_numIdELi16ELi32ELi8ELi1ELi1ELb0ELc78ELc85EKS1_S1_EviT_PT9_S3_lS5_S3_lPT10_S3_li,"axG",@progbits,_ZL37rocblas_syrkx_herkx_restricted_kernelIl19rocblas_complex_numIdELi16ELi32ELi8ELi1ELi1ELb0ELc78ELc85EKS1_S1_EviT_PT9_S3_lS5_S3_lPT10_S3_li,comdat
	.globl	_ZL37rocblas_syrkx_herkx_restricted_kernelIl19rocblas_complex_numIdELi16ELi32ELi8ELi1ELi1ELb0ELc78ELc85EKS1_S1_EviT_PT9_S3_lS5_S3_lPT10_S3_li ; -- Begin function _ZL37rocblas_syrkx_herkx_restricted_kernelIl19rocblas_complex_numIdELi16ELi32ELi8ELi1ELi1ELb0ELc78ELc85EKS1_S1_EviT_PT9_S3_lS5_S3_lPT10_S3_li
	.p2align	8
	.type	_ZL37rocblas_syrkx_herkx_restricted_kernelIl19rocblas_complex_numIdELi16ELi32ELi8ELi1ELi1ELb0ELc78ELc85EKS1_S1_EviT_PT9_S3_lS5_S3_lPT10_S3_li,@function
_ZL37rocblas_syrkx_herkx_restricted_kernelIl19rocblas_complex_numIdELi16ELi32ELi8ELi1ELi1ELb0ELc78ELc85EKS1_S1_EviT_PT9_S3_lS5_S3_lPT10_S3_li: ; @_ZL37rocblas_syrkx_herkx_restricted_kernelIl19rocblas_complex_numIdELi16ELi32ELi8ELi1ELi1ELb0ELc78ELc85EKS1_S1_EviT_PT9_S3_lS5_S3_lPT10_S3_li
; %bb.0:
	s_load_b512 s[16:31], s[0:1], 0x8
	v_mov_b32_e32 v16, 0
	v_dual_mov_b32 v17, 0 :: v_dual_and_b32 v20, 0x3ff, v0
	v_bfe_u32 v21, v0, 10, 10
	s_delay_alu instid0(VALU_DEP_3) | instskip(NEXT) | instid1(VALU_DEP_3)
	v_mov_b32_e32 v14, v16
	v_dual_mov_b32 v12, v16 :: v_dual_mov_b32 v13, v17
	v_dual_mov_b32 v19, v17 :: v_dual_mov_b32 v18, v16
	;; [unrolled: 1-line block ×6, first 2 shown]
	v_mov_b32_e32 v5, v17
	s_lshl_b32 s8, s13, 5
	s_waitcnt lgkmcnt(0)
	v_cmp_lt_i64_e64 s2, s[16:17], 1
	s_lshl_b32 s9, s14, 5
	s_delay_alu instid0(VALU_DEP_1)
	s_and_b32 vcc_lo, exec_lo, s2
	s_cbranch_vccnz .LBB1162_3
; %bb.1:
	v_lshl_add_u32 v1, v21, 4, v20
	v_and_b32_e32 v10, 7, v20
	s_mul_i32 s3, s23, s15
	s_mul_hi_u32 s5, s22, s15
	s_mul_i32 s2, s22, s15
	v_dual_mov_b32 v4, 0 :: v_dual_and_b32 v9, 31, v1
	v_lshrrev_b32_e32 v11, 3, v1
	v_mov_b32_e32 v5, 0
	v_lshrrev_b32_e32 v12, 5, v1
	s_delay_alu instid0(VALU_DEP_4)
	v_add_nc_u32_e32 v0, s8, v9
	s_add_i32 s3, s5, s3
	v_add_nc_u32_e32 v2, s9, v11
	s_lshl_b64 s[2:3], s[2:3], 4
	s_mul_i32 s6, s29, s15
	v_ashrrev_i32_e32 v1, 31, v0
	s_mul_hi_u32 s7, s28, s15
	v_ashrrev_i32_e32 v3, 31, v2
	s_add_u32 s10, s18, s2
	s_mul_i32 s4, s28, s15
	v_mad_u64_u32 v[6:7], null, v12, s20, v[0:1]
	s_delay_alu instid0(VALU_DEP_2) | instskip(SKIP_4) | instid1(VALU_DEP_2)
	v_mad_u64_u32 v[0:1], null, v10, s26, v[2:3]
	s_addc_u32 s11, s19, s3
	s_add_i32 s5, s7, s6
	s_lshl_b64 s[2:3], s[20:21], 7
	s_lshl_b64 s[4:5], s[4:5], 4
	v_dual_mov_b32 v2, v7 :: v_dual_lshlrev_b32 v13, 4, v10
	s_add_u32 s4, s24, s4
	s_addc_u32 s5, s25, s5
	v_lshl_add_u32 v23, v21, 7, 0x1000
	s_delay_alu instid0(VALU_DEP_2)
	v_mad_u64_u32 v[7:8], null, v12, s21, v[2:3]
	v_mad_u64_u32 v[2:3], null, v10, s27, v[1:2]
	v_lshlrev_b32_e32 v22, 4, v20
	v_lshlrev_b32_e32 v8, 4, v9
	v_lshl_or_b32 v9, v11, 7, v13
	v_dual_mov_b32 v11, v5 :: v_dual_mov_b32 v10, v4
	v_mov_b32_e32 v15, v5
	v_mov_b32_e32 v1, v2
	v_lshlrev_b64 v[2:3], 4, v[6:7]
	v_lshl_or_b32 v24, v12, 9, v8
	v_add_nc_u32_e32 v25, 0x1000, v9
	v_mov_b32_e32 v9, v5
	v_lshlrev_b64 v[0:1], 4, v[0:1]
	v_dual_mov_b32 v8, v4 :: v_dual_mov_b32 v13, v5
	v_add_co_u32 v2, vcc_lo, s10, v2
	v_add_co_ci_u32_e32 v3, vcc_lo, s11, v3, vcc_lo
	s_delay_alu instid0(VALU_DEP_4) | instskip(SKIP_1) | instid1(VALU_DEP_4)
	v_add_co_u32 v6, vcc_lo, s4, v0
	v_add_co_ci_u32_e32 v7, vcc_lo, s5, v1, vcc_lo
	v_add_co_u32 v0, vcc_lo, v2, 8
	s_delay_alu instid0(VALU_DEP_4) | instskip(NEXT) | instid1(VALU_DEP_4)
	v_add_co_ci_u32_e32 v1, vcc_lo, 0, v3, vcc_lo
	v_add_co_u32 v2, vcc_lo, v6, 8
	s_delay_alu instid0(VALU_DEP_4)
	v_add_co_ci_u32_e32 v3, vcc_lo, 0, v7, vcc_lo
	v_dual_mov_b32 v7, v5 :: v_dual_mov_b32 v12, v4
	v_dual_mov_b32 v19, v5 :: v_dual_mov_b32 v14, v4
	;; [unrolled: 1-line block ×3, first 2 shown]
	v_mov_b32_e32 v18, v4
	v_mov_b32_e32 v16, v4
	s_lshl_b64 s[4:5], s[26:27], 7
	s_mov_b64 s[6:7], 0
.LBB1162_2:                             ; =>This Inner Loop Header: Depth=1
	global_load_b128 v[26:29], v[0:1], off offset:-8
	global_load_b128 v[30:33], v[2:3], off offset:-8
	s_add_u32 s6, s6, 8
	v_add_co_u32 v0, vcc_lo, v0, s2
	s_addc_u32 s7, s7, 0
	v_add_co_ci_u32_e32 v1, vcc_lo, s3, v1, vcc_lo
	v_cmp_ge_u64_e64 s10, s[6:7], s[16:17]
	v_add_co_u32 v2, vcc_lo, v2, s4
	v_add_co_ci_u32_e32 v3, vcc_lo, s5, v3, vcc_lo
	s_waitcnt vmcnt(1)
	ds_store_b128 v24, v[26:29]
	s_waitcnt vmcnt(0)
	ds_store_b128 v25, v[30:33]
	s_waitcnt lgkmcnt(0)
	s_barrier
	buffer_gl0_inv
	ds_load_b128 v[26:29], v23
	ds_load_b128 v[30:33], v22
	ds_load_b128 v[34:37], v22 offset:256
	ds_load_b128 v[38:41], v23 offset:2048
	;; [unrolled: 1-line block ×13, first 2 shown]
	s_and_b32 vcc_lo, exec_lo, s10
	s_waitcnt lgkmcnt(13)
	v_mul_f64 v[86:87], v[28:29], v[32:33]
	v_mul_f64 v[88:89], v[26:27], v[32:33]
	s_waitcnt lgkmcnt(12)
	v_mul_f64 v[90:91], v[28:29], v[36:37]
	v_mul_f64 v[92:93], v[26:27], v[36:37]
	;; [unrolled: 3-line block ×3, first 2 shown]
	v_mul_f64 v[96:97], v[40:41], v[36:37]
	v_mul_f64 v[36:37], v[38:39], v[36:37]
	s_waitcnt lgkmcnt(8)
	v_mul_f64 v[98:99], v[44:45], v[52:53]
	v_mul_f64 v[100:101], v[42:43], v[52:53]
	s_waitcnt lgkmcnt(7)
	v_mul_f64 v[102:103], v[44:45], v[56:57]
	v_mul_f64 v[104:105], v[42:43], v[56:57]
	;; [unrolled: 1-line block ×6, first 2 shown]
	s_waitcnt lgkmcnt(3)
	v_mul_f64 v[112:113], v[58:59], v[72:73]
	s_waitcnt lgkmcnt(2)
	v_mul_f64 v[114:115], v[76:77], v[68:69]
	v_mul_f64 v[116:117], v[76:77], v[72:73]
	v_fma_f64 v[86:87], v[26:27], v[30:31], -v[86:87]
	v_fma_f64 v[88:89], v[28:29], v[30:31], v[88:89]
	v_fma_f64 v[90:91], v[26:27], v[34:35], -v[90:91]
	v_fma_f64 v[92:93], v[28:29], v[34:35], v[92:93]
	;; [unrolled: 2-line block ×4, first 2 shown]
	v_mul_f64 v[36:37], v[60:61], v[68:69]
	v_mul_f64 v[40:41], v[58:59], v[68:69]
	;; [unrolled: 1-line block ×5, first 2 shown]
	v_fma_f64 v[98:99], v[42:43], v[50:51], -v[98:99]
	v_fma_f64 v[100:101], v[44:45], v[50:51], v[100:101]
	v_fma_f64 v[42:43], v[42:43], v[54:55], -v[102:103]
	v_fma_f64 v[44:45], v[44:45], v[54:55], v[104:105]
	;; [unrolled: 2-line block ×4, first 2 shown]
	ds_load_b128 v[26:29], v22 offset:1792
	ds_load_b128 v[30:33], v22 offset:2048
	s_waitcnt lgkmcnt(2)
	v_mul_f64 v[56:57], v[64:65], v[84:85]
	v_add_f64 v[16:17], v[16:17], v[86:87]
	v_add_f64 v[18:19], v[18:19], v[88:89]
	;; [unrolled: 1-line block ×8, first 2 shown]
	v_mul_f64 v[86:87], v[62:63], v[84:85]
	s_waitcnt lgkmcnt(1)
	v_mul_f64 v[88:89], v[64:65], v[28:29]
	v_mul_f64 v[90:91], v[62:63], v[28:29]
	;; [unrolled: 1-line block ×6, first 2 shown]
	v_fma_f64 v[104:105], v[58:59], v[66:67], -v[36:37]
	v_fma_f64 v[106:107], v[60:61], v[66:67], v[40:41]
	v_fma_f64 v[58:59], v[58:59], v[70:71], -v[96:97]
	v_fma_f64 v[60:61], v[60:61], v[70:71], v[112:113]
	v_fma_f64 v[96:97], v[74:75], v[66:67], -v[114:115]
	v_fma_f64 v[66:67], v[76:77], v[66:67], v[68:69]
	v_fma_f64 v[68:69], v[74:75], v[70:71], -v[116:117]
	v_fma_f64 v[70:71], v[76:77], v[70:71], v[72:73]
	ds_load_b128 v[4:7], v22 offset:2304
	ds_load_b128 v[8:11], v23 offset:64
	v_fma_f64 v[56:57], v[62:63], v[82:83], -v[56:57]
	v_add_f64 v[72:73], v[16:17], v[98:99]
	v_add_f64 v[74:75], v[18:19], v[100:101]
	;; [unrolled: 1-line block ×8, first 2 shown]
	ds_load_b128 v[12:15], v23 offset:2112
	ds_load_b128 v[16:19], v23 offset:80
	;; [unrolled: 1-line block ×4, first 2 shown]
	s_waitcnt lgkmcnt(4)
	v_mul_f64 v[54:55], v[10:11], v[32:33]
	v_mul_f64 v[76:77], v[8:9], v[32:33]
	;; [unrolled: 1-line block ×4, first 2 shown]
	v_fma_f64 v[86:87], v[64:65], v[82:83], v[86:87]
	v_fma_f64 v[62:63], v[62:63], v[26:27], -v[88:89]
	v_fma_f64 v[64:65], v[64:65], v[26:27], v[90:91]
	v_fma_f64 v[88:89], v[78:79], v[82:83], -v[92:93]
	;; [unrolled: 2-line block ×3, first 2 shown]
	v_fma_f64 v[80:81], v[80:81], v[26:27], v[28:29]
	s_waitcnt lgkmcnt(3)
	v_mul_f64 v[102:103], v[14:15], v[32:33]
	v_mul_f64 v[32:33], v[12:13], v[32:33]
	;; [unrolled: 1-line block ×4, first 2 shown]
	s_waitcnt lgkmcnt(0)
	v_mul_f64 v[90:91], v[18:19], v[40:41]
	v_mul_f64 v[92:93], v[16:17], v[40:41]
	v_add_f64 v[72:73], v[72:73], v[104:105]
	v_add_f64 v[74:75], v[74:75], v[106:107]
	;; [unrolled: 1-line block ×8, first 2 shown]
	ds_load_b128 v[26:29], v22 offset:2816
	ds_load_b128 v[42:45], v22 offset:3072
	;; [unrolled: 1-line block ×4, first 2 shown]
	v_mul_f64 v[104:105], v[36:37], v[40:41]
	v_mul_f64 v[40:41], v[34:35], v[40:41]
	v_fma_f64 v[54:55], v[8:9], v[30:31], -v[54:55]
	v_fma_f64 v[76:77], v[10:11], v[30:31], v[76:77]
	v_fma_f64 v[98:99], v[8:9], v[4:5], -v[98:99]
	v_fma_f64 v[100:101], v[10:11], v[4:5], v[100:101]
	s_waitcnt lgkmcnt(3)
	v_mul_f64 v[94:95], v[18:19], v[28:29]
	v_mul_f64 v[96:97], v[16:17], v[28:29]
	;; [unrolled: 1-line block ×4, first 2 shown]
	v_fma_f64 v[102:103], v[12:13], v[30:31], -v[102:103]
	v_fma_f64 v[32:33], v[14:15], v[30:31], v[32:33]
	v_fma_f64 v[108:109], v[12:13], v[4:5], -v[108:109]
	v_fma_f64 v[112:113], v[14:15], v[4:5], v[6:7]
	ds_load_b128 v[4:7], v23 offset:2144
	ds_load_b128 v[8:11], v23 offset:112
	;; [unrolled: 1-line block ×4, first 2 shown]
	v_add_f64 v[56:57], v[72:73], v[56:57]
	v_add_f64 v[72:73], v[74:75], v[86:87]
	;; [unrolled: 1-line block ×8, first 2 shown]
	s_waitcnt lgkmcnt(4)
	v_mul_f64 v[70:71], v[52:53], v[44:45]
	v_mul_f64 v[74:75], v[50:51], v[44:45]
	;; [unrolled: 1-line block ×4, first 2 shown]
	s_waitcnt lgkmcnt(3)
	v_mul_f64 v[82:83], v[6:7], v[44:45]
	v_mul_f64 v[44:45], v[4:5], v[44:45]
	;; [unrolled: 1-line block ×4, first 2 shown]
	v_fma_f64 v[86:87], v[16:17], v[38:39], -v[90:91]
	v_fma_f64 v[88:89], v[18:19], v[38:39], v[92:93]
	v_fma_f64 v[90:91], v[16:17], v[26:27], -v[94:95]
	v_fma_f64 v[92:93], v[18:19], v[26:27], v[96:97]
	;; [unrolled: 2-line block ×4, first 2 shown]
	ds_load_b128 v[16:19], v22 offset:3840
	s_waitcnt lgkmcnt(0)
	s_barrier
	buffer_gl0_inv
	v_add_f64 v[36:37], v[56:57], v[54:55]
	v_add_f64 v[40:41], v[72:73], v[76:77]
	;; [unrolled: 1-line block ×8, first 2 shown]
	v_mul_f64 v[64:65], v[10:11], v[30:31]
	v_mul_f64 v[66:67], v[8:9], v[30:31]
	;; [unrolled: 1-line block ×4, first 2 shown]
	v_fma_f64 v[70:71], v[50:51], v[42:43], -v[70:71]
	v_mul_f64 v[68:69], v[10:11], v[18:19]
	v_mul_f64 v[72:73], v[8:9], v[18:19]
	;; [unrolled: 1-line block ×4, first 2 shown]
	v_fma_f64 v[74:75], v[52:53], v[42:43], v[74:75]
	v_fma_f64 v[50:51], v[50:51], v[46:47], -v[78:79]
	v_fma_f64 v[52:53], v[52:53], v[46:47], v[80:81]
	v_fma_f64 v[78:79], v[4:5], v[42:43], -v[82:83]
	;; [unrolled: 2-line block ×3, first 2 shown]
	v_fma_f64 v[6:7], v[6:7], v[46:47], v[48:49]
	v_add_f64 v[36:37], v[36:37], v[86:87]
	v_add_f64 v[40:41], v[40:41], v[88:89]
	;; [unrolled: 1-line block ×8, first 2 shown]
	v_fma_f64 v[38:39], v[8:9], v[28:29], -v[64:65]
	v_fma_f64 v[54:55], v[10:11], v[28:29], v[66:67]
	v_fma_f64 v[56:57], v[12:13], v[28:29], -v[76:77]
	v_fma_f64 v[28:29], v[14:15], v[28:29], v[30:31]
	;; [unrolled: 2-line block ×4, first 2 shown]
	v_add_f64 v[12:13], v[36:37], v[70:71]
	v_add_f64 v[14:15], v[40:41], v[74:75]
	;; [unrolled: 1-line block ×16, first 2 shown]
	s_cbranch_vccz .LBB1162_2
.LBB1162_3:
	s_clause 0x1
	s_load_b128 s[4:7], s[0:1], 0x48
	s_load_b32 s2, s[0:1], 0x0
	v_add_nc_u32_e32 v21, s9, v21
	s_delay_alu instid0(VALU_DEP_1) | instskip(SKIP_1) | instid1(VALU_DEP_1)
	v_ashrrev_i32_e32 v0, 31, v21
	s_waitcnt lgkmcnt(0)
	v_mul_lo_u32 v3, v0, s4
	v_mul_lo_u32 v22, v21, s5
	v_mad_u64_u32 v[1:2], null, v21, s4, 0
	s_mul_i32 s1, s15, s7
	s_mul_hi_u32 s3, s15, s6
	s_mul_i32 s6, s15, s6
	s_add_i32 s7, s3, s1
	v_add_nc_u32_e32 v0, s8, v20
	s_lshl_b64 s[6:7], s[6:7], 4
	s_delay_alu instid0(VALU_DEP_2)
	v_add3_u32 v2, v2, v22, v3
	s_add_u32 s3, s30, s6
	v_cmp_gt_i32_e32 vcc_lo, s2, v21
	v_cmp_le_i32_e64 s0, v0, v21
	s_addc_u32 s6, s31, s7
	v_lshlrev_b64 v[1:2], 4, v[1:2]
	s_delay_alu instid0(VALU_DEP_2) | instskip(NEXT) | instid1(VALU_DEP_1)
	s_and_b32 s0, vcc_lo, s0
	v_add_co_u32 v20, s1, s3, v1
	s_delay_alu instid0(VALU_DEP_1)
	v_add_co_ci_u32_e64 v22, s1, s6, v2, s1
	s_and_saveexec_b32 s1, s0
	s_cbranch_execz .LBB1162_5
; %bb.4:
	v_ashrrev_i32_e32 v1, 31, v0
	s_delay_alu instid0(VALU_DEP_1) | instskip(NEXT) | instid1(VALU_DEP_1)
	v_lshlrev_b64 v[1:2], 4, v[0:1]
	v_add_co_u32 v1, s0, v20, v1
	s_delay_alu instid0(VALU_DEP_1)
	v_add_co_ci_u32_e64 v2, s0, v22, v2, s0
	global_load_b128 v[23:26], v[1:2], off
	s_waitcnt vmcnt(0)
	v_add_f64 v[16:17], v[16:17], v[23:24]
	v_add_f64 v[18:19], v[18:19], v[25:26]
	global_store_b128 v[1:2], v[16:19], off
.LBB1162_5:
	s_or_b32 exec_lo, exec_lo, s1
	v_add_nc_u32_e32 v2, 16, v0
	s_delay_alu instid0(VALU_DEP_1) | instskip(NEXT) | instid1(VALU_DEP_1)
	v_cmp_le_i32_e64 s0, v2, v21
	s_and_b32 s1, vcc_lo, s0
	s_delay_alu instid0(SALU_CYCLE_1)
	s_and_saveexec_b32 s0, s1
	s_cbranch_execz .LBB1162_7
; %bb.6:
	v_ashrrev_i32_e32 v3, 31, v2
	s_delay_alu instid0(VALU_DEP_1) | instskip(NEXT) | instid1(VALU_DEP_1)
	v_lshlrev_b64 v[16:17], 4, v[2:3]
	v_add_co_u32 v23, vcc_lo, v20, v16
	s_delay_alu instid0(VALU_DEP_2)
	v_add_co_ci_u32_e32 v24, vcc_lo, v22, v17, vcc_lo
	global_load_b128 v[16:19], v[23:24], off
	s_waitcnt vmcnt(0)
	v_add_f64 v[14:15], v[14:15], v[16:17]
	v_add_f64 v[16:17], v[12:13], v[18:19]
	global_store_b128 v[23:24], v[14:17], off
.LBB1162_7:
	s_or_b32 exec_lo, exec_lo, s0
	v_add_nc_u32_e32 v3, 16, v21
	s_delay_alu instid0(VALU_DEP_1) | instskip(SKIP_3) | instid1(VALU_DEP_4)
	v_ashrrev_i32_e32 v1, 31, v3
	v_mul_lo_u32 v14, v3, s5
	v_mad_u64_u32 v[12:13], null, v3, s4, 0
	v_cmp_gt_i32_e32 vcc_lo, s2, v3
	v_mul_lo_u32 v1, v1, s4
	v_cmp_le_i32_e64 s0, v0, v3
	s_delay_alu instid0(VALU_DEP_1) | instskip(NEXT) | instid1(VALU_DEP_2)
	s_and_b32 s0, vcc_lo, s0
	v_add3_u32 v13, v13, v14, v1
	s_delay_alu instid0(VALU_DEP_1) | instskip(NEXT) | instid1(VALU_DEP_1)
	v_lshlrev_b64 v[12:13], 4, v[12:13]
	v_add_co_u32 v12, s1, s3, v12
	s_delay_alu instid0(VALU_DEP_1)
	v_add_co_ci_u32_e64 v13, s1, s6, v13, s1
	s_and_saveexec_b32 s1, s0
	s_cbranch_execz .LBB1162_9
; %bb.8:
	v_ashrrev_i32_e32 v1, 31, v0
	s_delay_alu instid0(VALU_DEP_1) | instskip(NEXT) | instid1(VALU_DEP_1)
	v_lshlrev_b64 v[0:1], 4, v[0:1]
	v_add_co_u32 v0, s0, v12, v0
	s_delay_alu instid0(VALU_DEP_1)
	v_add_co_ci_u32_e64 v1, s0, v13, v1, s0
	global_load_b128 v[14:17], v[0:1], off
	s_waitcnt vmcnt(0)
	v_add_f64 v[14:15], v[10:11], v[14:15]
	v_add_f64 v[16:17], v[8:9], v[16:17]
	global_store_b128 v[0:1], v[14:17], off
.LBB1162_9:
	s_or_b32 exec_lo, exec_lo, s1
	v_cmp_le_i32_e64 s0, v2, v3
	s_delay_alu instid0(VALU_DEP_1) | instskip(NEXT) | instid1(SALU_CYCLE_1)
	s_and_b32 s0, vcc_lo, s0
	s_and_saveexec_b32 s1, s0
	s_cbranch_execz .LBB1162_11
; %bb.10:
	v_ashrrev_i32_e32 v3, 31, v2
	s_delay_alu instid0(VALU_DEP_1) | instskip(NEXT) | instid1(VALU_DEP_1)
	v_lshlrev_b64 v[0:1], 4, v[2:3]
	v_add_co_u32 v8, vcc_lo, v12, v0
	s_delay_alu instid0(VALU_DEP_2)
	v_add_co_ci_u32_e32 v9, vcc_lo, v13, v1, vcc_lo
	global_load_b128 v[0:3], v[8:9], off
	s_waitcnt vmcnt(0)
	v_add_f64 v[0:1], v[6:7], v[0:1]
	v_add_f64 v[2:3], v[4:5], v[2:3]
	global_store_b128 v[8:9], v[0:3], off
.LBB1162_11:
	s_nop 0
	s_sendmsg sendmsg(MSG_DEALLOC_VGPRS)
	s_endpgm
	.section	.rodata,"a",@progbits
	.p2align	6, 0x0
	.amdhsa_kernel _ZL37rocblas_syrkx_herkx_restricted_kernelIl19rocblas_complex_numIdELi16ELi32ELi8ELi1ELi1ELb0ELc78ELc85EKS1_S1_EviT_PT9_S3_lS5_S3_lPT10_S3_li
		.amdhsa_group_segment_fixed_size 8192
		.amdhsa_private_segment_fixed_size 0
		.amdhsa_kernarg_size 92
		.amdhsa_user_sgpr_count 13
		.amdhsa_user_sgpr_dispatch_ptr 0
		.amdhsa_user_sgpr_queue_ptr 0
		.amdhsa_user_sgpr_kernarg_segment_ptr 1
		.amdhsa_user_sgpr_dispatch_id 0
		.amdhsa_user_sgpr_private_segment_size 0
		.amdhsa_wavefront_size32 1
		.amdhsa_uses_dynamic_stack 0
		.amdhsa_enable_private_segment 0
		.amdhsa_system_sgpr_workgroup_id_x 1
		.amdhsa_system_sgpr_workgroup_id_y 1
		.amdhsa_system_sgpr_workgroup_id_z 1
		.amdhsa_system_sgpr_workgroup_info 0
		.amdhsa_system_vgpr_workitem_id 1
		.amdhsa_next_free_vgpr 118
		.amdhsa_next_free_sgpr 32
		.amdhsa_reserve_vcc 1
		.amdhsa_float_round_mode_32 0
		.amdhsa_float_round_mode_16_64 0
		.amdhsa_float_denorm_mode_32 3
		.amdhsa_float_denorm_mode_16_64 3
		.amdhsa_dx10_clamp 1
		.amdhsa_ieee_mode 1
		.amdhsa_fp16_overflow 0
		.amdhsa_workgroup_processor_mode 1
		.amdhsa_memory_ordered 1
		.amdhsa_forward_progress 0
		.amdhsa_shared_vgpr_count 0
		.amdhsa_exception_fp_ieee_invalid_op 0
		.amdhsa_exception_fp_denorm_src 0
		.amdhsa_exception_fp_ieee_div_zero 0
		.amdhsa_exception_fp_ieee_overflow 0
		.amdhsa_exception_fp_ieee_underflow 0
		.amdhsa_exception_fp_ieee_inexact 0
		.amdhsa_exception_int_div_zero 0
	.end_amdhsa_kernel
	.section	.text._ZL37rocblas_syrkx_herkx_restricted_kernelIl19rocblas_complex_numIdELi16ELi32ELi8ELi1ELi1ELb0ELc78ELc85EKS1_S1_EviT_PT9_S3_lS5_S3_lPT10_S3_li,"axG",@progbits,_ZL37rocblas_syrkx_herkx_restricted_kernelIl19rocblas_complex_numIdELi16ELi32ELi8ELi1ELi1ELb0ELc78ELc85EKS1_S1_EviT_PT9_S3_lS5_S3_lPT10_S3_li,comdat
.Lfunc_end1162:
	.size	_ZL37rocblas_syrkx_herkx_restricted_kernelIl19rocblas_complex_numIdELi16ELi32ELi8ELi1ELi1ELb0ELc78ELc85EKS1_S1_EviT_PT9_S3_lS5_S3_lPT10_S3_li, .Lfunc_end1162-_ZL37rocblas_syrkx_herkx_restricted_kernelIl19rocblas_complex_numIdELi16ELi32ELi8ELi1ELi1ELb0ELc78ELc85EKS1_S1_EviT_PT9_S3_lS5_S3_lPT10_S3_li
                                        ; -- End function
	.section	.AMDGPU.csdata,"",@progbits
; Kernel info:
; codeLenInByte = 3068
; NumSgprs: 34
; NumVgprs: 118
; ScratchSize: 0
; MemoryBound: 0
; FloatMode: 240
; IeeeMode: 1
; LDSByteSize: 8192 bytes/workgroup (compile time only)
; SGPRBlocks: 4
; VGPRBlocks: 14
; NumSGPRsForWavesPerEU: 34
; NumVGPRsForWavesPerEU: 118
; Occupancy: 12
; WaveLimiterHint : 1
; COMPUTE_PGM_RSRC2:SCRATCH_EN: 0
; COMPUTE_PGM_RSRC2:USER_SGPR: 13
; COMPUTE_PGM_RSRC2:TRAP_HANDLER: 0
; COMPUTE_PGM_RSRC2:TGID_X_EN: 1
; COMPUTE_PGM_RSRC2:TGID_Y_EN: 1
; COMPUTE_PGM_RSRC2:TGID_Z_EN: 1
; COMPUTE_PGM_RSRC2:TIDIG_COMP_CNT: 1
	.section	.text._ZL37rocblas_syrkx_herkx_restricted_kernelIl19rocblas_complex_numIdELi16ELi32ELi8ELi1ELin1ELb0ELc84ELc76EKS1_S1_EviT_PT9_S3_lS5_S3_lPT10_S3_li,"axG",@progbits,_ZL37rocblas_syrkx_herkx_restricted_kernelIl19rocblas_complex_numIdELi16ELi32ELi8ELi1ELin1ELb0ELc84ELc76EKS1_S1_EviT_PT9_S3_lS5_S3_lPT10_S3_li,comdat
	.globl	_ZL37rocblas_syrkx_herkx_restricted_kernelIl19rocblas_complex_numIdELi16ELi32ELi8ELi1ELin1ELb0ELc84ELc76EKS1_S1_EviT_PT9_S3_lS5_S3_lPT10_S3_li ; -- Begin function _ZL37rocblas_syrkx_herkx_restricted_kernelIl19rocblas_complex_numIdELi16ELi32ELi8ELi1ELin1ELb0ELc84ELc76EKS1_S1_EviT_PT9_S3_lS5_S3_lPT10_S3_li
	.p2align	8
	.type	_ZL37rocblas_syrkx_herkx_restricted_kernelIl19rocblas_complex_numIdELi16ELi32ELi8ELi1ELin1ELb0ELc84ELc76EKS1_S1_EviT_PT9_S3_lS5_S3_lPT10_S3_li,@function
_ZL37rocblas_syrkx_herkx_restricted_kernelIl19rocblas_complex_numIdELi16ELi32ELi8ELi1ELin1ELb0ELc84ELc76EKS1_S1_EviT_PT9_S3_lS5_S3_lPT10_S3_li: ; @_ZL37rocblas_syrkx_herkx_restricted_kernelIl19rocblas_complex_numIdELi16ELi32ELi8ELi1ELin1ELb0ELc84ELc76EKS1_S1_EviT_PT9_S3_lS5_S3_lPT10_S3_li
; %bb.0:
	s_load_b512 s[16:31], s[0:1], 0x8
	v_mov_b32_e32 v16, 0
	v_dual_mov_b32 v17, 0 :: v_dual_and_b32 v20, 0x3ff, v0
	v_bfe_u32 v21, v0, 10, 10
	s_delay_alu instid0(VALU_DEP_3) | instskip(NEXT) | instid1(VALU_DEP_3)
	v_mov_b32_e32 v14, v16
	v_dual_mov_b32 v12, v16 :: v_dual_mov_b32 v13, v17
	v_dual_mov_b32 v19, v17 :: v_dual_mov_b32 v18, v16
	;; [unrolled: 1-line block ×6, first 2 shown]
	v_mov_b32_e32 v5, v17
	s_lshl_b32 s8, s13, 5
	s_waitcnt lgkmcnt(0)
	v_cmp_lt_i64_e64 s2, s[16:17], 1
	s_lshl_b32 s9, s14, 5
	s_delay_alu instid0(VALU_DEP_1)
	s_and_b32 vcc_lo, exec_lo, s2
	s_cbranch_vccnz .LBB1163_3
; %bb.1:
	v_lshl_add_u32 v2, v21, 4, v20
	v_dual_mov_b32 v1, 0 :: v_dual_and_b32 v0, 7, v20
	v_lshlrev_b32_e32 v22, 4, v20
	s_mul_i32 s3, s23, s15
	s_delay_alu instid0(VALU_DEP_3)
	v_and_b32_e32 v8, 31, v2
	v_lshrrev_b32_e32 v9, 3, v2
	v_lshrrev_b32_e32 v2, 5, v2
	v_mov_b32_e32 v3, v1
	v_lshlrev_b32_e32 v11, 4, v0
	v_add_nc_u32_e32 v6, s8, v8
	v_add_nc_u32_e32 v10, s9, v9
	s_mul_hi_u32 s4, s22, s15
	s_mul_i32 s2, s22, s15
	s_add_i32 s3, s4, s3
	v_ashrrev_i32_e32 v7, 31, v6
	v_ashrrev_i32_e32 v12, 31, v10
	v_mad_u64_u32 v[4:5], null, s20, v6, v[2:3]
	v_mul_lo_u32 v3, s21, v6
	s_delay_alu instid0(VALU_DEP_4)
	v_mul_lo_u32 v13, s20, v7
	v_mul_lo_u32 v14, v10, s27
	v_mad_u64_u32 v[6:7], null, v10, s26, v[0:1]
	v_mul_lo_u32 v0, v12, s26
	v_lshlrev_b32_e32 v1, 4, v8
	s_lshl_b64 s[2:3], s[2:3], 4
	s_mul_hi_u32 s5, s28, s15
	v_add3_u32 v5, v3, v5, v13
	s_add_u32 s4, s18, s2
	v_lshl_or_b32 v23, v2, 9, v1
	s_mul_i32 s2, s29, s15
	v_add3_u32 v7, v0, v7, v14
	v_lshlrev_b64 v[0:1], 4, v[4:5]
	s_addc_u32 s6, s19, s3
	s_add_i32 s3, s5, s2
	s_mul_i32 s2, s28, s15
	v_lshlrev_b64 v[2:3], 4, v[6:7]
	s_lshl_b64 s[2:3], s[2:3], 4
	v_add_co_u32 v0, vcc_lo, s4, v0
	s_add_u32 s2, s24, s2
	v_add_co_ci_u32_e32 v1, vcc_lo, s6, v1, vcc_lo
	v_mov_b32_e32 v4, 0
	v_lshl_or_b32 v8, v9, 7, v11
	s_addc_u32 s3, s25, s3
	v_add_co_u32 v2, vcc_lo, s2, v2
	v_mov_b32_e32 v5, 0
	v_add_co_ci_u32_e32 v3, vcc_lo, s3, v3, vcc_lo
	v_add_co_u32 v0, vcc_lo, v0, 8
	s_delay_alu instid0(VALU_DEP_3)
	v_dual_mov_b32 v11, v5 :: v_dual_add_nc_u32 v24, 0x1000, v8
	v_add_co_ci_u32_e32 v1, vcc_lo, 0, v1, vcc_lo
	v_mov_b32_e32 v9, v5
	v_add_co_u32 v2, vcc_lo, v2, 8
	v_dual_mov_b32 v8, v4 :: v_dual_mov_b32 v13, v5
	v_dual_mov_b32 v10, v4 :: v_dual_mov_b32 v15, v5
	;; [unrolled: 1-line block ×4, first 2 shown]
	v_mov_b32_e32 v17, v5
	v_lshl_add_u32 v25, v21, 7, 0x1000
	v_add_co_ci_u32_e32 v3, vcc_lo, 0, v3, vcc_lo
	v_mov_b32_e32 v6, v4
	v_mov_b32_e32 v18, v4
	;; [unrolled: 1-line block ×3, first 2 shown]
	s_mov_b64 s[2:3], 0
.LBB1163_2:                             ; =>This Inner Loop Header: Depth=1
	global_load_b128 v[26:29], v[0:1], off offset:-8
	global_load_b128 v[30:33], v[2:3], off offset:-8
	s_add_u32 s2, s2, 8
	v_add_co_u32 v0, vcc_lo, 0x80, v0
	s_addc_u32 s3, s3, 0
	v_add_co_ci_u32_e32 v1, vcc_lo, 0, v1, vcc_lo
	v_cmp_ge_u64_e64 s4, s[2:3], s[16:17]
	v_add_co_u32 v2, vcc_lo, 0x80, v2
	v_add_co_ci_u32_e32 v3, vcc_lo, 0, v3, vcc_lo
	s_waitcnt vmcnt(1)
	ds_store_b128 v23, v[26:29]
	s_waitcnt vmcnt(0)
	ds_store_b128 v24, v[30:33]
	s_waitcnt lgkmcnt(0)
	s_barrier
	buffer_gl0_inv
	ds_load_b128 v[26:29], v25
	ds_load_b128 v[30:33], v22
	ds_load_b128 v[34:37], v22 offset:256
	ds_load_b128 v[38:41], v25 offset:2048
	;; [unrolled: 1-line block ×13, first 2 shown]
	s_and_b32 vcc_lo, exec_lo, s4
	s_waitcnt lgkmcnt(13)
	v_mul_f64 v[86:87], v[28:29], v[32:33]
	v_mul_f64 v[88:89], v[26:27], v[32:33]
	s_waitcnt lgkmcnt(12)
	v_mul_f64 v[90:91], v[28:29], v[36:37]
	v_mul_f64 v[92:93], v[26:27], v[36:37]
	s_waitcnt lgkmcnt(11)
	v_mul_f64 v[94:95], v[40:41], v[32:33]
	v_mul_f64 v[32:33], v[38:39], v[32:33]
	v_mul_f64 v[96:97], v[40:41], v[36:37]
	v_mul_f64 v[36:37], v[38:39], v[36:37]
	s_waitcnt lgkmcnt(8)
	v_mul_f64 v[98:99], v[44:45], v[52:53]
	v_mul_f64 v[100:101], v[42:43], v[52:53]
	s_waitcnt lgkmcnt(7)
	v_mul_f64 v[102:103], v[44:45], v[56:57]
	v_mul_f64 v[104:105], v[42:43], v[56:57]
	;; [unrolled: 1-line block ×6, first 2 shown]
	s_waitcnt lgkmcnt(3)
	v_mul_f64 v[112:113], v[58:59], v[72:73]
	s_waitcnt lgkmcnt(2)
	v_mul_f64 v[114:115], v[76:77], v[68:69]
	v_mul_f64 v[116:117], v[76:77], v[72:73]
	v_fma_f64 v[86:87], v[26:27], v[30:31], -v[86:87]
	v_fma_f64 v[88:89], v[28:29], v[30:31], v[88:89]
	v_fma_f64 v[90:91], v[26:27], v[34:35], -v[90:91]
	v_fma_f64 v[92:93], v[28:29], v[34:35], v[92:93]
	;; [unrolled: 2-line block ×4, first 2 shown]
	v_mul_f64 v[36:37], v[60:61], v[68:69]
	v_mul_f64 v[40:41], v[58:59], v[68:69]
	;; [unrolled: 1-line block ×5, first 2 shown]
	v_fma_f64 v[98:99], v[42:43], v[50:51], -v[98:99]
	v_fma_f64 v[100:101], v[44:45], v[50:51], v[100:101]
	v_fma_f64 v[42:43], v[42:43], v[54:55], -v[102:103]
	v_fma_f64 v[44:45], v[44:45], v[54:55], v[104:105]
	;; [unrolled: 2-line block ×4, first 2 shown]
	ds_load_b128 v[26:29], v22 offset:1792
	ds_load_b128 v[30:33], v22 offset:2048
	s_waitcnt lgkmcnt(2)
	v_mul_f64 v[56:57], v[64:65], v[84:85]
	v_add_f64 v[16:17], v[16:17], v[86:87]
	v_add_f64 v[18:19], v[18:19], v[88:89]
	;; [unrolled: 1-line block ×8, first 2 shown]
	v_mul_f64 v[86:87], v[62:63], v[84:85]
	s_waitcnt lgkmcnt(1)
	v_mul_f64 v[88:89], v[64:65], v[28:29]
	v_mul_f64 v[90:91], v[62:63], v[28:29]
	;; [unrolled: 1-line block ×6, first 2 shown]
	v_fma_f64 v[104:105], v[58:59], v[66:67], -v[36:37]
	v_fma_f64 v[106:107], v[60:61], v[66:67], v[40:41]
	v_fma_f64 v[58:59], v[58:59], v[70:71], -v[96:97]
	v_fma_f64 v[60:61], v[60:61], v[70:71], v[112:113]
	;; [unrolled: 2-line block ×4, first 2 shown]
	ds_load_b128 v[4:7], v22 offset:2304
	ds_load_b128 v[8:11], v25 offset:64
	v_fma_f64 v[56:57], v[62:63], v[82:83], -v[56:57]
	v_add_f64 v[72:73], v[16:17], v[98:99]
	v_add_f64 v[74:75], v[18:19], v[100:101]
	;; [unrolled: 1-line block ×8, first 2 shown]
	ds_load_b128 v[12:15], v25 offset:2112
	ds_load_b128 v[16:19], v25 offset:80
	;; [unrolled: 1-line block ×4, first 2 shown]
	s_waitcnt lgkmcnt(4)
	v_mul_f64 v[54:55], v[10:11], v[32:33]
	v_mul_f64 v[76:77], v[8:9], v[32:33]
	;; [unrolled: 1-line block ×4, first 2 shown]
	v_fma_f64 v[86:87], v[64:65], v[82:83], v[86:87]
	v_fma_f64 v[62:63], v[62:63], v[26:27], -v[88:89]
	v_fma_f64 v[64:65], v[64:65], v[26:27], v[90:91]
	v_fma_f64 v[88:89], v[78:79], v[82:83], -v[92:93]
	;; [unrolled: 2-line block ×3, first 2 shown]
	v_fma_f64 v[80:81], v[80:81], v[26:27], v[28:29]
	s_waitcnt lgkmcnt(3)
	v_mul_f64 v[102:103], v[14:15], v[32:33]
	v_mul_f64 v[32:33], v[12:13], v[32:33]
	v_mul_f64 v[108:109], v[14:15], v[6:7]
	v_mul_f64 v[6:7], v[12:13], v[6:7]
	s_waitcnt lgkmcnt(0)
	v_mul_f64 v[90:91], v[18:19], v[40:41]
	v_mul_f64 v[92:93], v[16:17], v[40:41]
	v_add_f64 v[72:73], v[72:73], v[104:105]
	v_add_f64 v[74:75], v[74:75], v[106:107]
	;; [unrolled: 1-line block ×8, first 2 shown]
	ds_load_b128 v[26:29], v22 offset:2816
	ds_load_b128 v[42:45], v22 offset:3072
	;; [unrolled: 1-line block ×4, first 2 shown]
	v_mul_f64 v[104:105], v[36:37], v[40:41]
	v_mul_f64 v[40:41], v[34:35], v[40:41]
	v_fma_f64 v[54:55], v[8:9], v[30:31], -v[54:55]
	v_fma_f64 v[76:77], v[10:11], v[30:31], v[76:77]
	v_fma_f64 v[98:99], v[8:9], v[4:5], -v[98:99]
	v_fma_f64 v[100:101], v[10:11], v[4:5], v[100:101]
	s_waitcnt lgkmcnt(3)
	v_mul_f64 v[94:95], v[18:19], v[28:29]
	v_mul_f64 v[96:97], v[16:17], v[28:29]
	;; [unrolled: 1-line block ×4, first 2 shown]
	v_fma_f64 v[102:103], v[12:13], v[30:31], -v[102:103]
	v_fma_f64 v[32:33], v[14:15], v[30:31], v[32:33]
	v_fma_f64 v[108:109], v[12:13], v[4:5], -v[108:109]
	v_fma_f64 v[112:113], v[14:15], v[4:5], v[6:7]
	ds_load_b128 v[4:7], v25 offset:2144
	ds_load_b128 v[8:11], v25 offset:112
	;; [unrolled: 1-line block ×4, first 2 shown]
	v_add_f64 v[56:57], v[72:73], v[56:57]
	v_add_f64 v[72:73], v[74:75], v[86:87]
	;; [unrolled: 1-line block ×8, first 2 shown]
	s_waitcnt lgkmcnt(4)
	v_mul_f64 v[70:71], v[52:53], v[44:45]
	v_mul_f64 v[74:75], v[50:51], v[44:45]
	;; [unrolled: 1-line block ×4, first 2 shown]
	s_waitcnt lgkmcnt(3)
	v_mul_f64 v[82:83], v[6:7], v[44:45]
	v_mul_f64 v[44:45], v[4:5], v[44:45]
	;; [unrolled: 1-line block ×4, first 2 shown]
	v_fma_f64 v[86:87], v[16:17], v[38:39], -v[90:91]
	v_fma_f64 v[88:89], v[18:19], v[38:39], v[92:93]
	v_fma_f64 v[90:91], v[16:17], v[26:27], -v[94:95]
	v_fma_f64 v[92:93], v[18:19], v[26:27], v[96:97]
	;; [unrolled: 2-line block ×4, first 2 shown]
	ds_load_b128 v[16:19], v22 offset:3840
	s_waitcnt lgkmcnt(0)
	s_barrier
	buffer_gl0_inv
	v_add_f64 v[36:37], v[56:57], v[54:55]
	v_add_f64 v[40:41], v[72:73], v[76:77]
	;; [unrolled: 1-line block ×8, first 2 shown]
	v_mul_f64 v[64:65], v[10:11], v[30:31]
	v_mul_f64 v[66:67], v[8:9], v[30:31]
	;; [unrolled: 1-line block ×4, first 2 shown]
	v_fma_f64 v[70:71], v[50:51], v[42:43], -v[70:71]
	v_mul_f64 v[68:69], v[10:11], v[18:19]
	v_mul_f64 v[72:73], v[8:9], v[18:19]
	;; [unrolled: 1-line block ×4, first 2 shown]
	v_fma_f64 v[74:75], v[52:53], v[42:43], v[74:75]
	v_fma_f64 v[50:51], v[50:51], v[46:47], -v[78:79]
	v_fma_f64 v[52:53], v[52:53], v[46:47], v[80:81]
	v_fma_f64 v[78:79], v[4:5], v[42:43], -v[82:83]
	;; [unrolled: 2-line block ×3, first 2 shown]
	v_fma_f64 v[6:7], v[6:7], v[46:47], v[48:49]
	v_add_f64 v[36:37], v[36:37], v[86:87]
	v_add_f64 v[40:41], v[40:41], v[88:89]
	;; [unrolled: 1-line block ×8, first 2 shown]
	v_fma_f64 v[38:39], v[8:9], v[28:29], -v[64:65]
	v_fma_f64 v[54:55], v[10:11], v[28:29], v[66:67]
	v_fma_f64 v[56:57], v[12:13], v[28:29], -v[76:77]
	v_fma_f64 v[28:29], v[14:15], v[28:29], v[30:31]
	;; [unrolled: 2-line block ×4, first 2 shown]
	v_add_f64 v[12:13], v[36:37], v[70:71]
	v_add_f64 v[14:15], v[40:41], v[74:75]
	;; [unrolled: 1-line block ×16, first 2 shown]
	s_cbranch_vccz .LBB1163_2
.LBB1163_3:
	s_load_b128 s[4:7], s[0:1], 0x48
	v_add_nc_u32_e32 v21, s9, v21
	s_load_b32 s9, s[0:1], 0x0
	s_delay_alu instid0(VALU_DEP_1) | instskip(SKIP_1) | instid1(VALU_DEP_1)
	v_ashrrev_i32_e32 v0, 31, v21
	s_waitcnt lgkmcnt(0)
	v_mul_lo_u32 v3, v0, s4
	v_mul_lo_u32 v22, v21, s5
	v_mad_u64_u32 v[1:2], null, v21, s4, 0
	s_mul_i32 s1, s15, s7
	s_mul_hi_u32 s3, s15, s6
	s_mul_i32 s2, s15, s6
	s_add_i32 s3, s3, s1
	v_add_nc_u32_e32 v0, s8, v20
	s_lshl_b64 s[2:3], s[2:3], 4
	s_delay_alu instid0(VALU_DEP_2)
	v_add3_u32 v2, v2, v22, v3
	s_add_u32 s2, s30, s2
	s_addc_u32 s3, s31, s3
	v_cmp_le_i32_e64 s0, v21, v0
	v_cmp_gt_i32_e32 vcc_lo, s9, v0
	v_lshlrev_b64 v[1:2], 4, v[1:2]
	s_delay_alu instid0(VALU_DEP_3) | instskip(NEXT) | instid1(VALU_DEP_1)
	s_and_b32 s0, s0, vcc_lo
	v_add_co_u32 v20, s1, s2, v1
	s_delay_alu instid0(VALU_DEP_1)
	v_add_co_ci_u32_e64 v22, s1, s3, v2, s1
	s_and_saveexec_b32 s1, s0
	s_cbranch_execz .LBB1163_5
; %bb.4:
	v_ashrrev_i32_e32 v1, 31, v0
	s_delay_alu instid0(VALU_DEP_1) | instskip(NEXT) | instid1(VALU_DEP_1)
	v_lshlrev_b64 v[1:2], 4, v[0:1]
	v_add_co_u32 v1, s0, v20, v1
	s_delay_alu instid0(VALU_DEP_1)
	v_add_co_ci_u32_e64 v2, s0, v22, v2, s0
	global_load_b128 v[23:26], v[1:2], off
	s_waitcnt vmcnt(0)
	v_add_f64 v[16:17], v[16:17], -v[23:24]
	v_add_f64 v[18:19], v[18:19], -v[25:26]
	global_store_b128 v[1:2], v[16:19], off
.LBB1163_5:
	s_or_b32 exec_lo, exec_lo, s1
	v_add_nc_u32_e32 v2, 16, v0
	s_delay_alu instid0(VALU_DEP_1) | instskip(SKIP_1) | instid1(VALU_DEP_1)
	v_cmp_le_i32_e64 s1, v21, v2
	v_cmp_gt_i32_e64 s0, s9, v2
	s_and_b32 s1, s1, s0
	s_delay_alu instid0(SALU_CYCLE_1)
	s_and_saveexec_b32 s6, s1
	s_cbranch_execz .LBB1163_7
; %bb.6:
	v_ashrrev_i32_e32 v3, 31, v2
	s_delay_alu instid0(VALU_DEP_1) | instskip(NEXT) | instid1(VALU_DEP_1)
	v_lshlrev_b64 v[16:17], 4, v[2:3]
	v_add_co_u32 v23, s1, v20, v16
	s_delay_alu instid0(VALU_DEP_1)
	v_add_co_ci_u32_e64 v24, s1, v22, v17, s1
	global_load_b128 v[16:19], v[23:24], off
	s_waitcnt vmcnt(0)
	v_add_f64 v[14:15], v[14:15], -v[16:17]
	v_add_f64 v[16:17], v[12:13], -v[18:19]
	global_store_b128 v[23:24], v[14:17], off
.LBB1163_7:
	s_or_b32 exec_lo, exec_lo, s6
	v_add_nc_u32_e32 v3, 16, v21
	s_delay_alu instid0(VALU_DEP_1) | instskip(SKIP_3) | instid1(VALU_DEP_4)
	v_ashrrev_i32_e32 v1, 31, v3
	v_mul_lo_u32 v14, v3, s5
	v_mad_u64_u32 v[12:13], null, v3, s4, 0
	v_cmp_le_i32_e64 s1, v3, v0
	v_mul_lo_u32 v1, v1, s4
	s_delay_alu instid0(VALU_DEP_1) | instskip(NEXT) | instid1(VALU_DEP_1)
	v_add3_u32 v13, v13, v14, v1
	v_lshlrev_b64 v[12:13], 4, v[12:13]
	s_delay_alu instid0(VALU_DEP_1) | instskip(NEXT) | instid1(VALU_DEP_1)
	v_add_co_u32 v12, s2, s2, v12
	v_add_co_ci_u32_e64 v13, s2, s3, v13, s2
	s_and_b32 s2, s1, vcc_lo
	s_delay_alu instid0(SALU_CYCLE_1)
	s_and_saveexec_b32 s1, s2
	s_cbranch_execz .LBB1163_9
; %bb.8:
	v_ashrrev_i32_e32 v1, 31, v0
	s_delay_alu instid0(VALU_DEP_1) | instskip(NEXT) | instid1(VALU_DEP_1)
	v_lshlrev_b64 v[0:1], 4, v[0:1]
	v_add_co_u32 v0, vcc_lo, v12, v0
	s_delay_alu instid0(VALU_DEP_2)
	v_add_co_ci_u32_e32 v1, vcc_lo, v13, v1, vcc_lo
	global_load_b128 v[14:17], v[0:1], off
	s_waitcnt vmcnt(0)
	v_add_f64 v[14:15], v[10:11], -v[14:15]
	v_add_f64 v[16:17], v[8:9], -v[16:17]
	global_store_b128 v[0:1], v[14:17], off
.LBB1163_9:
	s_or_b32 exec_lo, exec_lo, s1
	v_cmp_le_i32_e32 vcc_lo, v3, v2
	s_and_b32 s0, vcc_lo, s0
	s_delay_alu instid0(SALU_CYCLE_1)
	s_and_saveexec_b32 s1, s0
	s_cbranch_execz .LBB1163_11
; %bb.10:
	v_ashrrev_i32_e32 v3, 31, v2
	s_delay_alu instid0(VALU_DEP_1) | instskip(NEXT) | instid1(VALU_DEP_1)
	v_lshlrev_b64 v[0:1], 4, v[2:3]
	v_add_co_u32 v8, vcc_lo, v12, v0
	s_delay_alu instid0(VALU_DEP_2)
	v_add_co_ci_u32_e32 v9, vcc_lo, v13, v1, vcc_lo
	global_load_b128 v[0:3], v[8:9], off
	s_waitcnt vmcnt(0)
	v_add_f64 v[0:1], v[6:7], -v[0:1]
	v_add_f64 v[2:3], v[4:5], -v[2:3]
	global_store_b128 v[8:9], v[0:3], off
.LBB1163_11:
	s_nop 0
	s_sendmsg sendmsg(MSG_DEALLOC_VGPRS)
	s_endpgm
	.section	.rodata,"a",@progbits
	.p2align	6, 0x0
	.amdhsa_kernel _ZL37rocblas_syrkx_herkx_restricted_kernelIl19rocblas_complex_numIdELi16ELi32ELi8ELi1ELin1ELb0ELc84ELc76EKS1_S1_EviT_PT9_S3_lS5_S3_lPT10_S3_li
		.amdhsa_group_segment_fixed_size 8192
		.amdhsa_private_segment_fixed_size 0
		.amdhsa_kernarg_size 92
		.amdhsa_user_sgpr_count 13
		.amdhsa_user_sgpr_dispatch_ptr 0
		.amdhsa_user_sgpr_queue_ptr 0
		.amdhsa_user_sgpr_kernarg_segment_ptr 1
		.amdhsa_user_sgpr_dispatch_id 0
		.amdhsa_user_sgpr_private_segment_size 0
		.amdhsa_wavefront_size32 1
		.amdhsa_uses_dynamic_stack 0
		.amdhsa_enable_private_segment 0
		.amdhsa_system_sgpr_workgroup_id_x 1
		.amdhsa_system_sgpr_workgroup_id_y 1
		.amdhsa_system_sgpr_workgroup_id_z 1
		.amdhsa_system_sgpr_workgroup_info 0
		.amdhsa_system_vgpr_workitem_id 1
		.amdhsa_next_free_vgpr 118
		.amdhsa_next_free_sgpr 32
		.amdhsa_reserve_vcc 1
		.amdhsa_float_round_mode_32 0
		.amdhsa_float_round_mode_16_64 0
		.amdhsa_float_denorm_mode_32 3
		.amdhsa_float_denorm_mode_16_64 3
		.amdhsa_dx10_clamp 1
		.amdhsa_ieee_mode 1
		.amdhsa_fp16_overflow 0
		.amdhsa_workgroup_processor_mode 1
		.amdhsa_memory_ordered 1
		.amdhsa_forward_progress 0
		.amdhsa_shared_vgpr_count 0
		.amdhsa_exception_fp_ieee_invalid_op 0
		.amdhsa_exception_fp_denorm_src 0
		.amdhsa_exception_fp_ieee_div_zero 0
		.amdhsa_exception_fp_ieee_overflow 0
		.amdhsa_exception_fp_ieee_underflow 0
		.amdhsa_exception_fp_ieee_inexact 0
		.amdhsa_exception_int_div_zero 0
	.end_amdhsa_kernel
	.section	.text._ZL37rocblas_syrkx_herkx_restricted_kernelIl19rocblas_complex_numIdELi16ELi32ELi8ELi1ELin1ELb0ELc84ELc76EKS1_S1_EviT_PT9_S3_lS5_S3_lPT10_S3_li,"axG",@progbits,_ZL37rocblas_syrkx_herkx_restricted_kernelIl19rocblas_complex_numIdELi16ELi32ELi8ELi1ELin1ELb0ELc84ELc76EKS1_S1_EviT_PT9_S3_lS5_S3_lPT10_S3_li,comdat
.Lfunc_end1163:
	.size	_ZL37rocblas_syrkx_herkx_restricted_kernelIl19rocblas_complex_numIdELi16ELi32ELi8ELi1ELin1ELb0ELc84ELc76EKS1_S1_EviT_PT9_S3_lS5_S3_lPT10_S3_li, .Lfunc_end1163-_ZL37rocblas_syrkx_herkx_restricted_kernelIl19rocblas_complex_numIdELi16ELi32ELi8ELi1ELin1ELb0ELc84ELc76EKS1_S1_EviT_PT9_S3_lS5_S3_lPT10_S3_li
                                        ; -- End function
	.section	.AMDGPU.csdata,"",@progbits
; Kernel info:
; codeLenInByte = 3084
; NumSgprs: 34
; NumVgprs: 118
; ScratchSize: 0
; MemoryBound: 0
; FloatMode: 240
; IeeeMode: 1
; LDSByteSize: 8192 bytes/workgroup (compile time only)
; SGPRBlocks: 4
; VGPRBlocks: 14
; NumSGPRsForWavesPerEU: 34
; NumVGPRsForWavesPerEU: 118
; Occupancy: 12
; WaveLimiterHint : 1
; COMPUTE_PGM_RSRC2:SCRATCH_EN: 0
; COMPUTE_PGM_RSRC2:USER_SGPR: 13
; COMPUTE_PGM_RSRC2:TRAP_HANDLER: 0
; COMPUTE_PGM_RSRC2:TGID_X_EN: 1
; COMPUTE_PGM_RSRC2:TGID_Y_EN: 1
; COMPUTE_PGM_RSRC2:TGID_Z_EN: 1
; COMPUTE_PGM_RSRC2:TIDIG_COMP_CNT: 1
	.section	.text._ZL37rocblas_syrkx_herkx_restricted_kernelIl19rocblas_complex_numIdELi16ELi32ELi8ELi1ELin1ELb0ELc67ELc76EKS1_S1_EviT_PT9_S3_lS5_S3_lPT10_S3_li,"axG",@progbits,_ZL37rocblas_syrkx_herkx_restricted_kernelIl19rocblas_complex_numIdELi16ELi32ELi8ELi1ELin1ELb0ELc67ELc76EKS1_S1_EviT_PT9_S3_lS5_S3_lPT10_S3_li,comdat
	.globl	_ZL37rocblas_syrkx_herkx_restricted_kernelIl19rocblas_complex_numIdELi16ELi32ELi8ELi1ELin1ELb0ELc67ELc76EKS1_S1_EviT_PT9_S3_lS5_S3_lPT10_S3_li ; -- Begin function _ZL37rocblas_syrkx_herkx_restricted_kernelIl19rocblas_complex_numIdELi16ELi32ELi8ELi1ELin1ELb0ELc67ELc76EKS1_S1_EviT_PT9_S3_lS5_S3_lPT10_S3_li
	.p2align	8
	.type	_ZL37rocblas_syrkx_herkx_restricted_kernelIl19rocblas_complex_numIdELi16ELi32ELi8ELi1ELin1ELb0ELc67ELc76EKS1_S1_EviT_PT9_S3_lS5_S3_lPT10_S3_li,@function
_ZL37rocblas_syrkx_herkx_restricted_kernelIl19rocblas_complex_numIdELi16ELi32ELi8ELi1ELin1ELb0ELc67ELc76EKS1_S1_EviT_PT9_S3_lS5_S3_lPT10_S3_li: ; @_ZL37rocblas_syrkx_herkx_restricted_kernelIl19rocblas_complex_numIdELi16ELi32ELi8ELi1ELin1ELb0ELc67ELc76EKS1_S1_EviT_PT9_S3_lS5_S3_lPT10_S3_li
; %bb.0:
	s_load_b512 s[16:31], s[0:1], 0x8
	v_mov_b32_e32 v16, 0
	v_dual_mov_b32 v17, 0 :: v_dual_and_b32 v20, 0x3ff, v0
	v_bfe_u32 v21, v0, 10, 10
	s_delay_alu instid0(VALU_DEP_3) | instskip(NEXT) | instid1(VALU_DEP_3)
	v_mov_b32_e32 v14, v16
	v_dual_mov_b32 v12, v16 :: v_dual_mov_b32 v13, v17
	v_dual_mov_b32 v19, v17 :: v_dual_mov_b32 v18, v16
	;; [unrolled: 1-line block ×6, first 2 shown]
	v_mov_b32_e32 v5, v17
	s_lshl_b32 s8, s13, 5
	s_waitcnt lgkmcnt(0)
	v_cmp_lt_i64_e64 s2, s[16:17], 1
	s_lshl_b32 s9, s14, 5
	s_delay_alu instid0(VALU_DEP_1)
	s_and_b32 vcc_lo, exec_lo, s2
	s_cbranch_vccnz .LBB1164_3
; %bb.1:
	v_lshl_add_u32 v2, v21, 4, v20
	v_dual_mov_b32 v1, 0 :: v_dual_and_b32 v0, 7, v20
	v_lshlrev_b32_e32 v22, 4, v20
	s_mul_i32 s3, s23, s15
	s_delay_alu instid0(VALU_DEP_3)
	v_and_b32_e32 v8, 31, v2
	v_lshrrev_b32_e32 v9, 3, v2
	v_lshrrev_b32_e32 v2, 5, v2
	v_mov_b32_e32 v3, v1
	v_lshlrev_b32_e32 v11, 4, v0
	v_add_nc_u32_e32 v6, s8, v8
	v_add_nc_u32_e32 v10, s9, v9
	s_mul_hi_u32 s4, s22, s15
	s_mul_i32 s2, s22, s15
	s_add_i32 s3, s4, s3
	v_ashrrev_i32_e32 v7, 31, v6
	v_ashrrev_i32_e32 v12, 31, v10
	v_mad_u64_u32 v[4:5], null, s20, v6, v[2:3]
	v_mul_lo_u32 v3, s21, v6
	s_delay_alu instid0(VALU_DEP_4)
	v_mul_lo_u32 v13, s20, v7
	v_mul_lo_u32 v14, v10, s27
	v_mad_u64_u32 v[6:7], null, v10, s26, v[0:1]
	v_mul_lo_u32 v0, v12, s26
	v_lshlrev_b32_e32 v1, 4, v8
	s_lshl_b64 s[2:3], s[2:3], 4
	s_mul_hi_u32 s5, s28, s15
	v_add3_u32 v5, v3, v5, v13
	s_add_u32 s4, s18, s2
	v_lshl_or_b32 v23, v2, 9, v1
	s_mul_i32 s2, s29, s15
	v_add3_u32 v7, v0, v7, v14
	v_lshlrev_b64 v[0:1], 4, v[4:5]
	s_addc_u32 s6, s19, s3
	s_add_i32 s3, s5, s2
	s_mul_i32 s2, s28, s15
	v_lshlrev_b64 v[2:3], 4, v[6:7]
	s_lshl_b64 s[2:3], s[2:3], 4
	v_add_co_u32 v0, vcc_lo, s4, v0
	s_add_u32 s2, s24, s2
	v_add_co_ci_u32_e32 v1, vcc_lo, s6, v1, vcc_lo
	v_mov_b32_e32 v4, 0
	v_lshl_or_b32 v8, v9, 7, v11
	s_addc_u32 s3, s25, s3
	v_add_co_u32 v2, vcc_lo, s2, v2
	v_mov_b32_e32 v5, 0
	v_add_co_ci_u32_e32 v3, vcc_lo, s3, v3, vcc_lo
	v_add_co_u32 v0, vcc_lo, v0, 8
	s_delay_alu instid0(VALU_DEP_3)
	v_dual_mov_b32 v11, v5 :: v_dual_add_nc_u32 v24, 0x1000, v8
	v_add_co_ci_u32_e32 v1, vcc_lo, 0, v1, vcc_lo
	v_mov_b32_e32 v9, v5
	v_add_co_u32 v2, vcc_lo, v2, 8
	v_dual_mov_b32 v8, v4 :: v_dual_mov_b32 v13, v5
	v_dual_mov_b32 v10, v4 :: v_dual_mov_b32 v15, v5
	;; [unrolled: 1-line block ×4, first 2 shown]
	v_mov_b32_e32 v17, v5
	v_lshl_add_u32 v25, v21, 7, 0x1000
	v_add_co_ci_u32_e32 v3, vcc_lo, 0, v3, vcc_lo
	v_mov_b32_e32 v6, v4
	v_mov_b32_e32 v18, v4
	;; [unrolled: 1-line block ×3, first 2 shown]
	s_mov_b64 s[2:3], 0
.LBB1164_2:                             ; =>This Inner Loop Header: Depth=1
	global_load_b128 v[26:29], v[0:1], off offset:-8
	global_load_b128 v[30:33], v[2:3], off offset:-8
	s_add_u32 s2, s2, 8
	v_add_co_u32 v0, vcc_lo, 0x80, v0
	s_addc_u32 s3, s3, 0
	v_add_co_ci_u32_e32 v1, vcc_lo, 0, v1, vcc_lo
	v_cmp_ge_u64_e64 s4, s[2:3], s[16:17]
	v_add_co_u32 v2, vcc_lo, 0x80, v2
	v_add_co_ci_u32_e32 v3, vcc_lo, 0, v3, vcc_lo
	s_waitcnt vmcnt(1)
	ds_store_b128 v23, v[26:29]
	s_waitcnt vmcnt(0)
	ds_store_b128 v24, v[30:33]
	s_waitcnt lgkmcnt(0)
	s_barrier
	buffer_gl0_inv
	ds_load_b128 v[26:29], v25
	ds_load_b128 v[30:33], v22
	ds_load_b128 v[34:37], v22 offset:256
	ds_load_b128 v[38:41], v25 offset:2048
	;; [unrolled: 1-line block ×13, first 2 shown]
	s_and_b32 vcc_lo, exec_lo, s4
	s_waitcnt lgkmcnt(13)
	v_mul_f64 v[86:87], v[28:29], v[32:33]
	v_mul_f64 v[88:89], v[26:27], v[32:33]
	s_waitcnt lgkmcnt(12)
	v_mul_f64 v[90:91], v[28:29], v[36:37]
	v_mul_f64 v[92:93], v[26:27], v[36:37]
	;; [unrolled: 3-line block ×3, first 2 shown]
	v_mul_f64 v[96:97], v[40:41], v[36:37]
	v_mul_f64 v[36:37], v[38:39], v[36:37]
	s_waitcnt lgkmcnt(8)
	v_mul_f64 v[98:99], v[44:45], v[52:53]
	v_mul_f64 v[100:101], v[42:43], v[52:53]
	s_waitcnt lgkmcnt(7)
	v_mul_f64 v[102:103], v[44:45], v[56:57]
	v_mul_f64 v[104:105], v[42:43], v[56:57]
	;; [unrolled: 1-line block ×6, first 2 shown]
	s_waitcnt lgkmcnt(3)
	v_mul_f64 v[112:113], v[58:59], v[72:73]
	s_waitcnt lgkmcnt(2)
	v_mul_f64 v[114:115], v[76:77], v[68:69]
	v_mul_f64 v[116:117], v[76:77], v[72:73]
	v_fma_f64 v[86:87], v[26:27], v[30:31], -v[86:87]
	v_fma_f64 v[88:89], v[28:29], v[30:31], v[88:89]
	v_fma_f64 v[90:91], v[26:27], v[34:35], -v[90:91]
	v_fma_f64 v[92:93], v[28:29], v[34:35], v[92:93]
	;; [unrolled: 2-line block ×4, first 2 shown]
	v_mul_f64 v[36:37], v[60:61], v[68:69]
	v_mul_f64 v[40:41], v[58:59], v[68:69]
	;; [unrolled: 1-line block ×5, first 2 shown]
	v_fma_f64 v[98:99], v[42:43], v[50:51], -v[98:99]
	v_fma_f64 v[100:101], v[44:45], v[50:51], v[100:101]
	v_fma_f64 v[42:43], v[42:43], v[54:55], -v[102:103]
	v_fma_f64 v[44:45], v[44:45], v[54:55], v[104:105]
	;; [unrolled: 2-line block ×4, first 2 shown]
	ds_load_b128 v[26:29], v22 offset:1792
	ds_load_b128 v[30:33], v22 offset:2048
	s_waitcnt lgkmcnt(2)
	v_mul_f64 v[56:57], v[64:65], v[84:85]
	v_add_f64 v[16:17], v[16:17], v[86:87]
	v_add_f64 v[18:19], v[18:19], v[88:89]
	;; [unrolled: 1-line block ×8, first 2 shown]
	v_mul_f64 v[86:87], v[62:63], v[84:85]
	s_waitcnt lgkmcnt(1)
	v_mul_f64 v[88:89], v[64:65], v[28:29]
	v_mul_f64 v[90:91], v[62:63], v[28:29]
	v_mul_f64 v[92:93], v[80:81], v[84:85]
	v_mul_f64 v[84:85], v[78:79], v[84:85]
	v_mul_f64 v[94:95], v[80:81], v[28:29]
	v_mul_f64 v[28:29], v[78:79], v[28:29]
	v_fma_f64 v[104:105], v[58:59], v[66:67], -v[36:37]
	v_fma_f64 v[106:107], v[60:61], v[66:67], v[40:41]
	v_fma_f64 v[58:59], v[58:59], v[70:71], -v[96:97]
	v_fma_f64 v[60:61], v[60:61], v[70:71], v[112:113]
	;; [unrolled: 2-line block ×4, first 2 shown]
	ds_load_b128 v[4:7], v22 offset:2304
	ds_load_b128 v[8:11], v25 offset:64
	v_fma_f64 v[56:57], v[62:63], v[82:83], -v[56:57]
	v_add_f64 v[72:73], v[16:17], v[98:99]
	v_add_f64 v[74:75], v[18:19], v[100:101]
	;; [unrolled: 1-line block ×8, first 2 shown]
	ds_load_b128 v[12:15], v25 offset:2112
	ds_load_b128 v[16:19], v25 offset:80
	ds_load_b128 v[34:37], v25 offset:2128
	ds_load_b128 v[38:41], v22 offset:2560
	s_waitcnt lgkmcnt(4)
	v_mul_f64 v[54:55], v[10:11], v[32:33]
	v_mul_f64 v[76:77], v[8:9], v[32:33]
	;; [unrolled: 1-line block ×4, first 2 shown]
	v_fma_f64 v[86:87], v[64:65], v[82:83], v[86:87]
	v_fma_f64 v[62:63], v[62:63], v[26:27], -v[88:89]
	v_fma_f64 v[64:65], v[64:65], v[26:27], v[90:91]
	v_fma_f64 v[88:89], v[78:79], v[82:83], -v[92:93]
	;; [unrolled: 2-line block ×3, first 2 shown]
	v_fma_f64 v[80:81], v[80:81], v[26:27], v[28:29]
	s_waitcnt lgkmcnt(3)
	v_mul_f64 v[102:103], v[14:15], v[32:33]
	v_mul_f64 v[32:33], v[12:13], v[32:33]
	;; [unrolled: 1-line block ×4, first 2 shown]
	s_waitcnt lgkmcnt(0)
	v_mul_f64 v[90:91], v[18:19], v[40:41]
	v_mul_f64 v[92:93], v[16:17], v[40:41]
	v_add_f64 v[72:73], v[72:73], v[104:105]
	v_add_f64 v[74:75], v[74:75], v[106:107]
	;; [unrolled: 1-line block ×8, first 2 shown]
	ds_load_b128 v[26:29], v22 offset:2816
	ds_load_b128 v[42:45], v22 offset:3072
	;; [unrolled: 1-line block ×4, first 2 shown]
	v_mul_f64 v[104:105], v[36:37], v[40:41]
	v_mul_f64 v[40:41], v[34:35], v[40:41]
	v_fma_f64 v[54:55], v[8:9], v[30:31], -v[54:55]
	v_fma_f64 v[76:77], v[10:11], v[30:31], v[76:77]
	v_fma_f64 v[98:99], v[8:9], v[4:5], -v[98:99]
	v_fma_f64 v[100:101], v[10:11], v[4:5], v[100:101]
	s_waitcnt lgkmcnt(3)
	v_mul_f64 v[94:95], v[18:19], v[28:29]
	v_mul_f64 v[96:97], v[16:17], v[28:29]
	;; [unrolled: 1-line block ×4, first 2 shown]
	v_fma_f64 v[102:103], v[12:13], v[30:31], -v[102:103]
	v_fma_f64 v[32:33], v[14:15], v[30:31], v[32:33]
	v_fma_f64 v[108:109], v[12:13], v[4:5], -v[108:109]
	v_fma_f64 v[112:113], v[14:15], v[4:5], v[6:7]
	ds_load_b128 v[4:7], v25 offset:2144
	ds_load_b128 v[8:11], v25 offset:112
	ds_load_b128 v[12:15], v25 offset:2160
	ds_load_b128 v[28:31], v22 offset:3584
	v_add_f64 v[56:57], v[72:73], v[56:57]
	v_add_f64 v[72:73], v[74:75], v[86:87]
	;; [unrolled: 1-line block ×8, first 2 shown]
	s_waitcnt lgkmcnt(4)
	v_mul_f64 v[70:71], v[52:53], v[44:45]
	v_mul_f64 v[74:75], v[50:51], v[44:45]
	;; [unrolled: 1-line block ×4, first 2 shown]
	s_waitcnt lgkmcnt(3)
	v_mul_f64 v[82:83], v[6:7], v[44:45]
	v_mul_f64 v[44:45], v[4:5], v[44:45]
	v_mul_f64 v[84:85], v[6:7], v[48:49]
	v_mul_f64 v[48:49], v[4:5], v[48:49]
	v_fma_f64 v[86:87], v[16:17], v[38:39], -v[90:91]
	v_fma_f64 v[88:89], v[18:19], v[38:39], v[92:93]
	v_fma_f64 v[90:91], v[16:17], v[26:27], -v[94:95]
	v_fma_f64 v[92:93], v[18:19], v[26:27], v[96:97]
	;; [unrolled: 2-line block ×4, first 2 shown]
	ds_load_b128 v[16:19], v22 offset:3840
	s_waitcnt lgkmcnt(0)
	s_barrier
	buffer_gl0_inv
	v_add_f64 v[36:37], v[56:57], v[54:55]
	v_add_f64 v[40:41], v[72:73], v[76:77]
	;; [unrolled: 1-line block ×8, first 2 shown]
	v_mul_f64 v[64:65], v[10:11], v[30:31]
	v_mul_f64 v[66:67], v[8:9], v[30:31]
	;; [unrolled: 1-line block ×4, first 2 shown]
	v_fma_f64 v[70:71], v[50:51], v[42:43], -v[70:71]
	v_mul_f64 v[68:69], v[10:11], v[18:19]
	v_mul_f64 v[72:73], v[8:9], v[18:19]
	;; [unrolled: 1-line block ×4, first 2 shown]
	v_fma_f64 v[74:75], v[52:53], v[42:43], v[74:75]
	v_fma_f64 v[50:51], v[50:51], v[46:47], -v[78:79]
	v_fma_f64 v[52:53], v[52:53], v[46:47], v[80:81]
	v_fma_f64 v[78:79], v[4:5], v[42:43], -v[82:83]
	;; [unrolled: 2-line block ×3, first 2 shown]
	v_fma_f64 v[6:7], v[6:7], v[46:47], v[48:49]
	v_add_f64 v[36:37], v[36:37], v[86:87]
	v_add_f64 v[40:41], v[40:41], v[88:89]
	;; [unrolled: 1-line block ×8, first 2 shown]
	v_fma_f64 v[38:39], v[8:9], v[28:29], -v[64:65]
	v_fma_f64 v[54:55], v[10:11], v[28:29], v[66:67]
	v_fma_f64 v[56:57], v[12:13], v[28:29], -v[76:77]
	v_fma_f64 v[28:29], v[14:15], v[28:29], v[30:31]
	;; [unrolled: 2-line block ×4, first 2 shown]
	v_add_f64 v[12:13], v[36:37], v[70:71]
	v_add_f64 v[14:15], v[40:41], v[74:75]
	;; [unrolled: 1-line block ×16, first 2 shown]
	s_cbranch_vccz .LBB1164_2
.LBB1164_3:
	s_load_b128 s[4:7], s[0:1], 0x48
	v_add_nc_u32_e32 v21, s9, v21
	s_load_b32 s9, s[0:1], 0x0
	s_delay_alu instid0(VALU_DEP_1) | instskip(SKIP_1) | instid1(VALU_DEP_1)
	v_ashrrev_i32_e32 v0, 31, v21
	s_waitcnt lgkmcnt(0)
	v_mul_lo_u32 v3, v0, s4
	v_mul_lo_u32 v22, v21, s5
	v_mad_u64_u32 v[1:2], null, v21, s4, 0
	s_mul_i32 s1, s15, s7
	s_mul_hi_u32 s3, s15, s6
	s_mul_i32 s2, s15, s6
	s_add_i32 s3, s3, s1
	v_add_nc_u32_e32 v0, s8, v20
	s_lshl_b64 s[2:3], s[2:3], 4
	s_delay_alu instid0(VALU_DEP_2)
	v_add3_u32 v2, v2, v22, v3
	s_add_u32 s2, s30, s2
	s_addc_u32 s3, s31, s3
	v_cmp_le_i32_e64 s0, v21, v0
	v_cmp_gt_i32_e32 vcc_lo, s9, v0
	v_lshlrev_b64 v[1:2], 4, v[1:2]
	s_delay_alu instid0(VALU_DEP_3) | instskip(NEXT) | instid1(VALU_DEP_1)
	s_and_b32 s0, s0, vcc_lo
	v_add_co_u32 v20, s1, s2, v1
	s_delay_alu instid0(VALU_DEP_1)
	v_add_co_ci_u32_e64 v22, s1, s3, v2, s1
	s_and_saveexec_b32 s1, s0
	s_cbranch_execz .LBB1164_5
; %bb.4:
	v_ashrrev_i32_e32 v1, 31, v0
	s_delay_alu instid0(VALU_DEP_1) | instskip(NEXT) | instid1(VALU_DEP_1)
	v_lshlrev_b64 v[1:2], 4, v[0:1]
	v_add_co_u32 v1, s0, v20, v1
	s_delay_alu instid0(VALU_DEP_1)
	v_add_co_ci_u32_e64 v2, s0, v22, v2, s0
	global_load_b128 v[23:26], v[1:2], off
	s_waitcnt vmcnt(0)
	v_add_f64 v[16:17], v[16:17], -v[23:24]
	v_add_f64 v[18:19], v[18:19], -v[25:26]
	global_store_b128 v[1:2], v[16:19], off
.LBB1164_5:
	s_or_b32 exec_lo, exec_lo, s1
	v_add_nc_u32_e32 v2, 16, v0
	s_delay_alu instid0(VALU_DEP_1) | instskip(SKIP_1) | instid1(VALU_DEP_1)
	v_cmp_le_i32_e64 s1, v21, v2
	v_cmp_gt_i32_e64 s0, s9, v2
	s_and_b32 s1, s1, s0
	s_delay_alu instid0(SALU_CYCLE_1)
	s_and_saveexec_b32 s6, s1
	s_cbranch_execz .LBB1164_7
; %bb.6:
	v_ashrrev_i32_e32 v3, 31, v2
	s_delay_alu instid0(VALU_DEP_1) | instskip(NEXT) | instid1(VALU_DEP_1)
	v_lshlrev_b64 v[16:17], 4, v[2:3]
	v_add_co_u32 v23, s1, v20, v16
	s_delay_alu instid0(VALU_DEP_1)
	v_add_co_ci_u32_e64 v24, s1, v22, v17, s1
	global_load_b128 v[16:19], v[23:24], off
	s_waitcnt vmcnt(0)
	v_add_f64 v[14:15], v[14:15], -v[16:17]
	v_add_f64 v[16:17], v[12:13], -v[18:19]
	global_store_b128 v[23:24], v[14:17], off
.LBB1164_7:
	s_or_b32 exec_lo, exec_lo, s6
	v_add_nc_u32_e32 v3, 16, v21
	s_delay_alu instid0(VALU_DEP_1) | instskip(SKIP_3) | instid1(VALU_DEP_4)
	v_ashrrev_i32_e32 v1, 31, v3
	v_mul_lo_u32 v14, v3, s5
	v_mad_u64_u32 v[12:13], null, v3, s4, 0
	v_cmp_le_i32_e64 s1, v3, v0
	v_mul_lo_u32 v1, v1, s4
	s_delay_alu instid0(VALU_DEP_1) | instskip(NEXT) | instid1(VALU_DEP_1)
	v_add3_u32 v13, v13, v14, v1
	v_lshlrev_b64 v[12:13], 4, v[12:13]
	s_delay_alu instid0(VALU_DEP_1) | instskip(NEXT) | instid1(VALU_DEP_1)
	v_add_co_u32 v12, s2, s2, v12
	v_add_co_ci_u32_e64 v13, s2, s3, v13, s2
	s_and_b32 s2, s1, vcc_lo
	s_delay_alu instid0(SALU_CYCLE_1)
	s_and_saveexec_b32 s1, s2
	s_cbranch_execz .LBB1164_9
; %bb.8:
	v_ashrrev_i32_e32 v1, 31, v0
	s_delay_alu instid0(VALU_DEP_1) | instskip(NEXT) | instid1(VALU_DEP_1)
	v_lshlrev_b64 v[0:1], 4, v[0:1]
	v_add_co_u32 v0, vcc_lo, v12, v0
	s_delay_alu instid0(VALU_DEP_2)
	v_add_co_ci_u32_e32 v1, vcc_lo, v13, v1, vcc_lo
	global_load_b128 v[14:17], v[0:1], off
	s_waitcnt vmcnt(0)
	v_add_f64 v[14:15], v[10:11], -v[14:15]
	v_add_f64 v[16:17], v[8:9], -v[16:17]
	global_store_b128 v[0:1], v[14:17], off
.LBB1164_9:
	s_or_b32 exec_lo, exec_lo, s1
	v_cmp_le_i32_e32 vcc_lo, v3, v2
	s_and_b32 s0, vcc_lo, s0
	s_delay_alu instid0(SALU_CYCLE_1)
	s_and_saveexec_b32 s1, s0
	s_cbranch_execz .LBB1164_11
; %bb.10:
	v_ashrrev_i32_e32 v3, 31, v2
	s_delay_alu instid0(VALU_DEP_1) | instskip(NEXT) | instid1(VALU_DEP_1)
	v_lshlrev_b64 v[0:1], 4, v[2:3]
	v_add_co_u32 v8, vcc_lo, v12, v0
	s_delay_alu instid0(VALU_DEP_2)
	v_add_co_ci_u32_e32 v9, vcc_lo, v13, v1, vcc_lo
	global_load_b128 v[0:3], v[8:9], off
	s_waitcnt vmcnt(0)
	v_add_f64 v[0:1], v[6:7], -v[0:1]
	v_add_f64 v[2:3], v[4:5], -v[2:3]
	global_store_b128 v[8:9], v[0:3], off
.LBB1164_11:
	s_nop 0
	s_sendmsg sendmsg(MSG_DEALLOC_VGPRS)
	s_endpgm
	.section	.rodata,"a",@progbits
	.p2align	6, 0x0
	.amdhsa_kernel _ZL37rocblas_syrkx_herkx_restricted_kernelIl19rocblas_complex_numIdELi16ELi32ELi8ELi1ELin1ELb0ELc67ELc76EKS1_S1_EviT_PT9_S3_lS5_S3_lPT10_S3_li
		.amdhsa_group_segment_fixed_size 8192
		.amdhsa_private_segment_fixed_size 0
		.amdhsa_kernarg_size 92
		.amdhsa_user_sgpr_count 13
		.amdhsa_user_sgpr_dispatch_ptr 0
		.amdhsa_user_sgpr_queue_ptr 0
		.amdhsa_user_sgpr_kernarg_segment_ptr 1
		.amdhsa_user_sgpr_dispatch_id 0
		.amdhsa_user_sgpr_private_segment_size 0
		.amdhsa_wavefront_size32 1
		.amdhsa_uses_dynamic_stack 0
		.amdhsa_enable_private_segment 0
		.amdhsa_system_sgpr_workgroup_id_x 1
		.amdhsa_system_sgpr_workgroup_id_y 1
		.amdhsa_system_sgpr_workgroup_id_z 1
		.amdhsa_system_sgpr_workgroup_info 0
		.amdhsa_system_vgpr_workitem_id 1
		.amdhsa_next_free_vgpr 118
		.amdhsa_next_free_sgpr 32
		.amdhsa_reserve_vcc 1
		.amdhsa_float_round_mode_32 0
		.amdhsa_float_round_mode_16_64 0
		.amdhsa_float_denorm_mode_32 3
		.amdhsa_float_denorm_mode_16_64 3
		.amdhsa_dx10_clamp 1
		.amdhsa_ieee_mode 1
		.amdhsa_fp16_overflow 0
		.amdhsa_workgroup_processor_mode 1
		.amdhsa_memory_ordered 1
		.amdhsa_forward_progress 0
		.amdhsa_shared_vgpr_count 0
		.amdhsa_exception_fp_ieee_invalid_op 0
		.amdhsa_exception_fp_denorm_src 0
		.amdhsa_exception_fp_ieee_div_zero 0
		.amdhsa_exception_fp_ieee_overflow 0
		.amdhsa_exception_fp_ieee_underflow 0
		.amdhsa_exception_fp_ieee_inexact 0
		.amdhsa_exception_int_div_zero 0
	.end_amdhsa_kernel
	.section	.text._ZL37rocblas_syrkx_herkx_restricted_kernelIl19rocblas_complex_numIdELi16ELi32ELi8ELi1ELin1ELb0ELc67ELc76EKS1_S1_EviT_PT9_S3_lS5_S3_lPT10_S3_li,"axG",@progbits,_ZL37rocblas_syrkx_herkx_restricted_kernelIl19rocblas_complex_numIdELi16ELi32ELi8ELi1ELin1ELb0ELc67ELc76EKS1_S1_EviT_PT9_S3_lS5_S3_lPT10_S3_li,comdat
.Lfunc_end1164:
	.size	_ZL37rocblas_syrkx_herkx_restricted_kernelIl19rocblas_complex_numIdELi16ELi32ELi8ELi1ELin1ELb0ELc67ELc76EKS1_S1_EviT_PT9_S3_lS5_S3_lPT10_S3_li, .Lfunc_end1164-_ZL37rocblas_syrkx_herkx_restricted_kernelIl19rocblas_complex_numIdELi16ELi32ELi8ELi1ELin1ELb0ELc67ELc76EKS1_S1_EviT_PT9_S3_lS5_S3_lPT10_S3_li
                                        ; -- End function
	.section	.AMDGPU.csdata,"",@progbits
; Kernel info:
; codeLenInByte = 3084
; NumSgprs: 34
; NumVgprs: 118
; ScratchSize: 0
; MemoryBound: 0
; FloatMode: 240
; IeeeMode: 1
; LDSByteSize: 8192 bytes/workgroup (compile time only)
; SGPRBlocks: 4
; VGPRBlocks: 14
; NumSGPRsForWavesPerEU: 34
; NumVGPRsForWavesPerEU: 118
; Occupancy: 12
; WaveLimiterHint : 1
; COMPUTE_PGM_RSRC2:SCRATCH_EN: 0
; COMPUTE_PGM_RSRC2:USER_SGPR: 13
; COMPUTE_PGM_RSRC2:TRAP_HANDLER: 0
; COMPUTE_PGM_RSRC2:TGID_X_EN: 1
; COMPUTE_PGM_RSRC2:TGID_Y_EN: 1
; COMPUTE_PGM_RSRC2:TGID_Z_EN: 1
; COMPUTE_PGM_RSRC2:TIDIG_COMP_CNT: 1
	.section	.text._ZL37rocblas_syrkx_herkx_restricted_kernelIl19rocblas_complex_numIdELi16ELi32ELi8ELi1ELin1ELb0ELc78ELc76EKS1_S1_EviT_PT9_S3_lS5_S3_lPT10_S3_li,"axG",@progbits,_ZL37rocblas_syrkx_herkx_restricted_kernelIl19rocblas_complex_numIdELi16ELi32ELi8ELi1ELin1ELb0ELc78ELc76EKS1_S1_EviT_PT9_S3_lS5_S3_lPT10_S3_li,comdat
	.globl	_ZL37rocblas_syrkx_herkx_restricted_kernelIl19rocblas_complex_numIdELi16ELi32ELi8ELi1ELin1ELb0ELc78ELc76EKS1_S1_EviT_PT9_S3_lS5_S3_lPT10_S3_li ; -- Begin function _ZL37rocblas_syrkx_herkx_restricted_kernelIl19rocblas_complex_numIdELi16ELi32ELi8ELi1ELin1ELb0ELc78ELc76EKS1_S1_EviT_PT9_S3_lS5_S3_lPT10_S3_li
	.p2align	8
	.type	_ZL37rocblas_syrkx_herkx_restricted_kernelIl19rocblas_complex_numIdELi16ELi32ELi8ELi1ELin1ELb0ELc78ELc76EKS1_S1_EviT_PT9_S3_lS5_S3_lPT10_S3_li,@function
_ZL37rocblas_syrkx_herkx_restricted_kernelIl19rocblas_complex_numIdELi16ELi32ELi8ELi1ELin1ELb0ELc78ELc76EKS1_S1_EviT_PT9_S3_lS5_S3_lPT10_S3_li: ; @_ZL37rocblas_syrkx_herkx_restricted_kernelIl19rocblas_complex_numIdELi16ELi32ELi8ELi1ELin1ELb0ELc78ELc76EKS1_S1_EviT_PT9_S3_lS5_S3_lPT10_S3_li
; %bb.0:
	s_load_b512 s[16:31], s[0:1], 0x8
	v_mov_b32_e32 v16, 0
	v_dual_mov_b32 v17, 0 :: v_dual_and_b32 v20, 0x3ff, v0
	v_bfe_u32 v21, v0, 10, 10
	s_delay_alu instid0(VALU_DEP_3) | instskip(NEXT) | instid1(VALU_DEP_3)
	v_mov_b32_e32 v14, v16
	v_dual_mov_b32 v12, v16 :: v_dual_mov_b32 v13, v17
	v_dual_mov_b32 v19, v17 :: v_dual_mov_b32 v18, v16
	;; [unrolled: 1-line block ×6, first 2 shown]
	v_mov_b32_e32 v5, v17
	s_lshl_b32 s8, s13, 5
	s_waitcnt lgkmcnt(0)
	v_cmp_lt_i64_e64 s2, s[16:17], 1
	s_lshl_b32 s9, s14, 5
	s_delay_alu instid0(VALU_DEP_1)
	s_and_b32 vcc_lo, exec_lo, s2
	s_cbranch_vccnz .LBB1165_3
; %bb.1:
	v_lshl_add_u32 v1, v21, 4, v20
	v_and_b32_e32 v10, 7, v20
	s_mul_i32 s3, s23, s15
	s_mul_hi_u32 s5, s22, s15
	s_mul_i32 s2, s22, s15
	v_dual_mov_b32 v4, 0 :: v_dual_and_b32 v9, 31, v1
	v_lshrrev_b32_e32 v11, 3, v1
	v_mov_b32_e32 v5, 0
	v_lshrrev_b32_e32 v12, 5, v1
	s_delay_alu instid0(VALU_DEP_4)
	v_add_nc_u32_e32 v0, s8, v9
	s_add_i32 s3, s5, s3
	v_add_nc_u32_e32 v2, s9, v11
	s_lshl_b64 s[2:3], s[2:3], 4
	s_mul_i32 s6, s29, s15
	v_ashrrev_i32_e32 v1, 31, v0
	s_mul_hi_u32 s7, s28, s15
	v_ashrrev_i32_e32 v3, 31, v2
	s_add_u32 s10, s18, s2
	s_mul_i32 s4, s28, s15
	v_mad_u64_u32 v[6:7], null, v12, s20, v[0:1]
	s_delay_alu instid0(VALU_DEP_2) | instskip(SKIP_4) | instid1(VALU_DEP_2)
	v_mad_u64_u32 v[0:1], null, v10, s26, v[2:3]
	s_addc_u32 s11, s19, s3
	s_add_i32 s5, s7, s6
	s_lshl_b64 s[2:3], s[20:21], 7
	s_lshl_b64 s[4:5], s[4:5], 4
	v_dual_mov_b32 v2, v7 :: v_dual_lshlrev_b32 v13, 4, v10
	s_add_u32 s4, s24, s4
	s_addc_u32 s5, s25, s5
	v_lshl_add_u32 v23, v21, 7, 0x1000
	s_delay_alu instid0(VALU_DEP_2)
	v_mad_u64_u32 v[7:8], null, v12, s21, v[2:3]
	v_mad_u64_u32 v[2:3], null, v10, s27, v[1:2]
	v_lshlrev_b32_e32 v22, 4, v20
	v_lshlrev_b32_e32 v8, 4, v9
	v_lshl_or_b32 v9, v11, 7, v13
	v_dual_mov_b32 v11, v5 :: v_dual_mov_b32 v10, v4
	v_mov_b32_e32 v15, v5
	v_mov_b32_e32 v1, v2
	v_lshlrev_b64 v[2:3], 4, v[6:7]
	v_lshl_or_b32 v24, v12, 9, v8
	v_add_nc_u32_e32 v25, 0x1000, v9
	v_mov_b32_e32 v9, v5
	v_lshlrev_b64 v[0:1], 4, v[0:1]
	v_dual_mov_b32 v8, v4 :: v_dual_mov_b32 v13, v5
	v_add_co_u32 v2, vcc_lo, s10, v2
	v_add_co_ci_u32_e32 v3, vcc_lo, s11, v3, vcc_lo
	s_delay_alu instid0(VALU_DEP_4) | instskip(SKIP_1) | instid1(VALU_DEP_4)
	v_add_co_u32 v6, vcc_lo, s4, v0
	v_add_co_ci_u32_e32 v7, vcc_lo, s5, v1, vcc_lo
	v_add_co_u32 v0, vcc_lo, v2, 8
	s_delay_alu instid0(VALU_DEP_4) | instskip(NEXT) | instid1(VALU_DEP_4)
	v_add_co_ci_u32_e32 v1, vcc_lo, 0, v3, vcc_lo
	v_add_co_u32 v2, vcc_lo, v6, 8
	s_delay_alu instid0(VALU_DEP_4)
	v_add_co_ci_u32_e32 v3, vcc_lo, 0, v7, vcc_lo
	v_dual_mov_b32 v7, v5 :: v_dual_mov_b32 v12, v4
	v_dual_mov_b32 v19, v5 :: v_dual_mov_b32 v14, v4
	;; [unrolled: 1-line block ×3, first 2 shown]
	v_mov_b32_e32 v18, v4
	v_mov_b32_e32 v16, v4
	s_lshl_b64 s[4:5], s[26:27], 7
	s_mov_b64 s[6:7], 0
.LBB1165_2:                             ; =>This Inner Loop Header: Depth=1
	global_load_b128 v[26:29], v[0:1], off offset:-8
	global_load_b128 v[30:33], v[2:3], off offset:-8
	s_add_u32 s6, s6, 8
	v_add_co_u32 v0, vcc_lo, v0, s2
	s_addc_u32 s7, s7, 0
	v_add_co_ci_u32_e32 v1, vcc_lo, s3, v1, vcc_lo
	v_cmp_ge_u64_e64 s10, s[6:7], s[16:17]
	v_add_co_u32 v2, vcc_lo, v2, s4
	v_add_co_ci_u32_e32 v3, vcc_lo, s5, v3, vcc_lo
	s_waitcnt vmcnt(1)
	ds_store_b128 v24, v[26:29]
	s_waitcnt vmcnt(0)
	ds_store_b128 v25, v[30:33]
	s_waitcnt lgkmcnt(0)
	s_barrier
	buffer_gl0_inv
	ds_load_b128 v[26:29], v23
	ds_load_b128 v[30:33], v22
	ds_load_b128 v[34:37], v22 offset:256
	ds_load_b128 v[38:41], v23 offset:2048
	;; [unrolled: 1-line block ×13, first 2 shown]
	s_and_b32 vcc_lo, exec_lo, s10
	s_waitcnt lgkmcnt(13)
	v_mul_f64 v[86:87], v[28:29], v[32:33]
	v_mul_f64 v[88:89], v[26:27], v[32:33]
	s_waitcnt lgkmcnt(12)
	v_mul_f64 v[90:91], v[28:29], v[36:37]
	v_mul_f64 v[92:93], v[26:27], v[36:37]
	s_waitcnt lgkmcnt(11)
	v_mul_f64 v[94:95], v[40:41], v[32:33]
	v_mul_f64 v[32:33], v[38:39], v[32:33]
	v_mul_f64 v[96:97], v[40:41], v[36:37]
	v_mul_f64 v[36:37], v[38:39], v[36:37]
	s_waitcnt lgkmcnt(8)
	v_mul_f64 v[98:99], v[44:45], v[52:53]
	v_mul_f64 v[100:101], v[42:43], v[52:53]
	s_waitcnt lgkmcnt(7)
	v_mul_f64 v[102:103], v[44:45], v[56:57]
	v_mul_f64 v[104:105], v[42:43], v[56:57]
	;; [unrolled: 1-line block ×6, first 2 shown]
	s_waitcnt lgkmcnt(3)
	v_mul_f64 v[112:113], v[58:59], v[72:73]
	s_waitcnt lgkmcnt(2)
	v_mul_f64 v[114:115], v[76:77], v[68:69]
	v_mul_f64 v[116:117], v[76:77], v[72:73]
	v_fma_f64 v[86:87], v[26:27], v[30:31], -v[86:87]
	v_fma_f64 v[88:89], v[28:29], v[30:31], v[88:89]
	v_fma_f64 v[90:91], v[26:27], v[34:35], -v[90:91]
	v_fma_f64 v[92:93], v[28:29], v[34:35], v[92:93]
	;; [unrolled: 2-line block ×4, first 2 shown]
	v_mul_f64 v[36:37], v[60:61], v[68:69]
	v_mul_f64 v[40:41], v[58:59], v[68:69]
	;; [unrolled: 1-line block ×5, first 2 shown]
	v_fma_f64 v[98:99], v[42:43], v[50:51], -v[98:99]
	v_fma_f64 v[100:101], v[44:45], v[50:51], v[100:101]
	v_fma_f64 v[42:43], v[42:43], v[54:55], -v[102:103]
	v_fma_f64 v[44:45], v[44:45], v[54:55], v[104:105]
	;; [unrolled: 2-line block ×4, first 2 shown]
	ds_load_b128 v[26:29], v22 offset:1792
	ds_load_b128 v[30:33], v22 offset:2048
	s_waitcnt lgkmcnt(2)
	v_mul_f64 v[56:57], v[64:65], v[84:85]
	v_add_f64 v[16:17], v[16:17], v[86:87]
	v_add_f64 v[18:19], v[18:19], v[88:89]
	;; [unrolled: 1-line block ×8, first 2 shown]
	v_mul_f64 v[86:87], v[62:63], v[84:85]
	s_waitcnt lgkmcnt(1)
	v_mul_f64 v[88:89], v[64:65], v[28:29]
	v_mul_f64 v[90:91], v[62:63], v[28:29]
	;; [unrolled: 1-line block ×6, first 2 shown]
	v_fma_f64 v[104:105], v[58:59], v[66:67], -v[36:37]
	v_fma_f64 v[106:107], v[60:61], v[66:67], v[40:41]
	v_fma_f64 v[58:59], v[58:59], v[70:71], -v[96:97]
	v_fma_f64 v[60:61], v[60:61], v[70:71], v[112:113]
	;; [unrolled: 2-line block ×4, first 2 shown]
	ds_load_b128 v[4:7], v22 offset:2304
	ds_load_b128 v[8:11], v23 offset:64
	v_fma_f64 v[56:57], v[62:63], v[82:83], -v[56:57]
	v_add_f64 v[72:73], v[16:17], v[98:99]
	v_add_f64 v[74:75], v[18:19], v[100:101]
	;; [unrolled: 1-line block ×8, first 2 shown]
	ds_load_b128 v[12:15], v23 offset:2112
	ds_load_b128 v[16:19], v23 offset:80
	;; [unrolled: 1-line block ×4, first 2 shown]
	s_waitcnt lgkmcnt(4)
	v_mul_f64 v[54:55], v[10:11], v[32:33]
	v_mul_f64 v[76:77], v[8:9], v[32:33]
	;; [unrolled: 1-line block ×4, first 2 shown]
	v_fma_f64 v[86:87], v[64:65], v[82:83], v[86:87]
	v_fma_f64 v[62:63], v[62:63], v[26:27], -v[88:89]
	v_fma_f64 v[64:65], v[64:65], v[26:27], v[90:91]
	v_fma_f64 v[88:89], v[78:79], v[82:83], -v[92:93]
	;; [unrolled: 2-line block ×3, first 2 shown]
	v_fma_f64 v[80:81], v[80:81], v[26:27], v[28:29]
	s_waitcnt lgkmcnt(3)
	v_mul_f64 v[102:103], v[14:15], v[32:33]
	v_mul_f64 v[32:33], v[12:13], v[32:33]
	;; [unrolled: 1-line block ×4, first 2 shown]
	s_waitcnt lgkmcnt(0)
	v_mul_f64 v[90:91], v[18:19], v[40:41]
	v_mul_f64 v[92:93], v[16:17], v[40:41]
	v_add_f64 v[72:73], v[72:73], v[104:105]
	v_add_f64 v[74:75], v[74:75], v[106:107]
	;; [unrolled: 1-line block ×8, first 2 shown]
	ds_load_b128 v[26:29], v22 offset:2816
	ds_load_b128 v[42:45], v22 offset:3072
	;; [unrolled: 1-line block ×4, first 2 shown]
	v_mul_f64 v[104:105], v[36:37], v[40:41]
	v_mul_f64 v[40:41], v[34:35], v[40:41]
	v_fma_f64 v[54:55], v[8:9], v[30:31], -v[54:55]
	v_fma_f64 v[76:77], v[10:11], v[30:31], v[76:77]
	v_fma_f64 v[98:99], v[8:9], v[4:5], -v[98:99]
	v_fma_f64 v[100:101], v[10:11], v[4:5], v[100:101]
	s_waitcnt lgkmcnt(3)
	v_mul_f64 v[94:95], v[18:19], v[28:29]
	v_mul_f64 v[96:97], v[16:17], v[28:29]
	;; [unrolled: 1-line block ×4, first 2 shown]
	v_fma_f64 v[102:103], v[12:13], v[30:31], -v[102:103]
	v_fma_f64 v[32:33], v[14:15], v[30:31], v[32:33]
	v_fma_f64 v[108:109], v[12:13], v[4:5], -v[108:109]
	v_fma_f64 v[112:113], v[14:15], v[4:5], v[6:7]
	ds_load_b128 v[4:7], v23 offset:2144
	ds_load_b128 v[8:11], v23 offset:112
	ds_load_b128 v[12:15], v23 offset:2160
	ds_load_b128 v[28:31], v22 offset:3584
	v_add_f64 v[56:57], v[72:73], v[56:57]
	v_add_f64 v[72:73], v[74:75], v[86:87]
	;; [unrolled: 1-line block ×8, first 2 shown]
	s_waitcnt lgkmcnt(4)
	v_mul_f64 v[70:71], v[52:53], v[44:45]
	v_mul_f64 v[74:75], v[50:51], v[44:45]
	;; [unrolled: 1-line block ×4, first 2 shown]
	s_waitcnt lgkmcnt(3)
	v_mul_f64 v[82:83], v[6:7], v[44:45]
	v_mul_f64 v[44:45], v[4:5], v[44:45]
	;; [unrolled: 1-line block ×4, first 2 shown]
	v_fma_f64 v[86:87], v[16:17], v[38:39], -v[90:91]
	v_fma_f64 v[88:89], v[18:19], v[38:39], v[92:93]
	v_fma_f64 v[90:91], v[16:17], v[26:27], -v[94:95]
	v_fma_f64 v[92:93], v[18:19], v[26:27], v[96:97]
	;; [unrolled: 2-line block ×4, first 2 shown]
	ds_load_b128 v[16:19], v22 offset:3840
	s_waitcnt lgkmcnt(0)
	s_barrier
	buffer_gl0_inv
	v_add_f64 v[36:37], v[56:57], v[54:55]
	v_add_f64 v[40:41], v[72:73], v[76:77]
	;; [unrolled: 1-line block ×8, first 2 shown]
	v_mul_f64 v[64:65], v[10:11], v[30:31]
	v_mul_f64 v[66:67], v[8:9], v[30:31]
	;; [unrolled: 1-line block ×4, first 2 shown]
	v_fma_f64 v[70:71], v[50:51], v[42:43], -v[70:71]
	v_mul_f64 v[68:69], v[10:11], v[18:19]
	v_mul_f64 v[72:73], v[8:9], v[18:19]
	;; [unrolled: 1-line block ×4, first 2 shown]
	v_fma_f64 v[74:75], v[52:53], v[42:43], v[74:75]
	v_fma_f64 v[50:51], v[50:51], v[46:47], -v[78:79]
	v_fma_f64 v[52:53], v[52:53], v[46:47], v[80:81]
	v_fma_f64 v[78:79], v[4:5], v[42:43], -v[82:83]
	;; [unrolled: 2-line block ×3, first 2 shown]
	v_fma_f64 v[6:7], v[6:7], v[46:47], v[48:49]
	v_add_f64 v[36:37], v[36:37], v[86:87]
	v_add_f64 v[40:41], v[40:41], v[88:89]
	;; [unrolled: 1-line block ×8, first 2 shown]
	v_fma_f64 v[38:39], v[8:9], v[28:29], -v[64:65]
	v_fma_f64 v[54:55], v[10:11], v[28:29], v[66:67]
	v_fma_f64 v[56:57], v[12:13], v[28:29], -v[76:77]
	v_fma_f64 v[28:29], v[14:15], v[28:29], v[30:31]
	;; [unrolled: 2-line block ×4, first 2 shown]
	v_add_f64 v[12:13], v[36:37], v[70:71]
	v_add_f64 v[14:15], v[40:41], v[74:75]
	;; [unrolled: 1-line block ×16, first 2 shown]
	s_cbranch_vccz .LBB1165_2
.LBB1165_3:
	s_load_b128 s[4:7], s[0:1], 0x48
	v_add_nc_u32_e32 v21, s9, v21
	s_load_b32 s9, s[0:1], 0x0
	s_delay_alu instid0(VALU_DEP_1) | instskip(SKIP_1) | instid1(VALU_DEP_1)
	v_ashrrev_i32_e32 v0, 31, v21
	s_waitcnt lgkmcnt(0)
	v_mul_lo_u32 v3, v0, s4
	v_mul_lo_u32 v22, v21, s5
	v_mad_u64_u32 v[1:2], null, v21, s4, 0
	s_mul_i32 s1, s15, s7
	s_mul_hi_u32 s3, s15, s6
	s_mul_i32 s2, s15, s6
	s_add_i32 s3, s3, s1
	v_add_nc_u32_e32 v0, s8, v20
	s_lshl_b64 s[2:3], s[2:3], 4
	s_delay_alu instid0(VALU_DEP_2)
	v_add3_u32 v2, v2, v22, v3
	s_add_u32 s2, s30, s2
	s_addc_u32 s3, s31, s3
	v_cmp_le_i32_e64 s0, v21, v0
	v_cmp_gt_i32_e32 vcc_lo, s9, v0
	v_lshlrev_b64 v[1:2], 4, v[1:2]
	s_delay_alu instid0(VALU_DEP_3) | instskip(NEXT) | instid1(VALU_DEP_1)
	s_and_b32 s0, s0, vcc_lo
	v_add_co_u32 v20, s1, s2, v1
	s_delay_alu instid0(VALU_DEP_1)
	v_add_co_ci_u32_e64 v22, s1, s3, v2, s1
	s_and_saveexec_b32 s1, s0
	s_cbranch_execz .LBB1165_5
; %bb.4:
	v_ashrrev_i32_e32 v1, 31, v0
	s_delay_alu instid0(VALU_DEP_1) | instskip(NEXT) | instid1(VALU_DEP_1)
	v_lshlrev_b64 v[1:2], 4, v[0:1]
	v_add_co_u32 v1, s0, v20, v1
	s_delay_alu instid0(VALU_DEP_1)
	v_add_co_ci_u32_e64 v2, s0, v22, v2, s0
	global_load_b128 v[23:26], v[1:2], off
	s_waitcnt vmcnt(0)
	v_add_f64 v[16:17], v[16:17], -v[23:24]
	v_add_f64 v[18:19], v[18:19], -v[25:26]
	global_store_b128 v[1:2], v[16:19], off
.LBB1165_5:
	s_or_b32 exec_lo, exec_lo, s1
	v_add_nc_u32_e32 v2, 16, v0
	s_delay_alu instid0(VALU_DEP_1) | instskip(SKIP_1) | instid1(VALU_DEP_1)
	v_cmp_le_i32_e64 s1, v21, v2
	v_cmp_gt_i32_e64 s0, s9, v2
	s_and_b32 s1, s1, s0
	s_delay_alu instid0(SALU_CYCLE_1)
	s_and_saveexec_b32 s6, s1
	s_cbranch_execz .LBB1165_7
; %bb.6:
	v_ashrrev_i32_e32 v3, 31, v2
	s_delay_alu instid0(VALU_DEP_1) | instskip(NEXT) | instid1(VALU_DEP_1)
	v_lshlrev_b64 v[16:17], 4, v[2:3]
	v_add_co_u32 v23, s1, v20, v16
	s_delay_alu instid0(VALU_DEP_1)
	v_add_co_ci_u32_e64 v24, s1, v22, v17, s1
	global_load_b128 v[16:19], v[23:24], off
	s_waitcnt vmcnt(0)
	v_add_f64 v[14:15], v[14:15], -v[16:17]
	v_add_f64 v[16:17], v[12:13], -v[18:19]
	global_store_b128 v[23:24], v[14:17], off
.LBB1165_7:
	s_or_b32 exec_lo, exec_lo, s6
	v_add_nc_u32_e32 v3, 16, v21
	s_delay_alu instid0(VALU_DEP_1) | instskip(SKIP_3) | instid1(VALU_DEP_4)
	v_ashrrev_i32_e32 v1, 31, v3
	v_mul_lo_u32 v14, v3, s5
	v_mad_u64_u32 v[12:13], null, v3, s4, 0
	v_cmp_le_i32_e64 s1, v3, v0
	v_mul_lo_u32 v1, v1, s4
	s_delay_alu instid0(VALU_DEP_1) | instskip(NEXT) | instid1(VALU_DEP_1)
	v_add3_u32 v13, v13, v14, v1
	v_lshlrev_b64 v[12:13], 4, v[12:13]
	s_delay_alu instid0(VALU_DEP_1) | instskip(NEXT) | instid1(VALU_DEP_1)
	v_add_co_u32 v12, s2, s2, v12
	v_add_co_ci_u32_e64 v13, s2, s3, v13, s2
	s_and_b32 s2, s1, vcc_lo
	s_delay_alu instid0(SALU_CYCLE_1)
	s_and_saveexec_b32 s1, s2
	s_cbranch_execz .LBB1165_9
; %bb.8:
	v_ashrrev_i32_e32 v1, 31, v0
	s_delay_alu instid0(VALU_DEP_1) | instskip(NEXT) | instid1(VALU_DEP_1)
	v_lshlrev_b64 v[0:1], 4, v[0:1]
	v_add_co_u32 v0, vcc_lo, v12, v0
	s_delay_alu instid0(VALU_DEP_2)
	v_add_co_ci_u32_e32 v1, vcc_lo, v13, v1, vcc_lo
	global_load_b128 v[14:17], v[0:1], off
	s_waitcnt vmcnt(0)
	v_add_f64 v[14:15], v[10:11], -v[14:15]
	v_add_f64 v[16:17], v[8:9], -v[16:17]
	global_store_b128 v[0:1], v[14:17], off
.LBB1165_9:
	s_or_b32 exec_lo, exec_lo, s1
	v_cmp_le_i32_e32 vcc_lo, v3, v2
	s_and_b32 s0, vcc_lo, s0
	s_delay_alu instid0(SALU_CYCLE_1)
	s_and_saveexec_b32 s1, s0
	s_cbranch_execz .LBB1165_11
; %bb.10:
	v_ashrrev_i32_e32 v3, 31, v2
	s_delay_alu instid0(VALU_DEP_1) | instskip(NEXT) | instid1(VALU_DEP_1)
	v_lshlrev_b64 v[0:1], 4, v[2:3]
	v_add_co_u32 v8, vcc_lo, v12, v0
	s_delay_alu instid0(VALU_DEP_2)
	v_add_co_ci_u32_e32 v9, vcc_lo, v13, v1, vcc_lo
	global_load_b128 v[0:3], v[8:9], off
	s_waitcnt vmcnt(0)
	v_add_f64 v[0:1], v[6:7], -v[0:1]
	v_add_f64 v[2:3], v[4:5], -v[2:3]
	global_store_b128 v[8:9], v[0:3], off
.LBB1165_11:
	s_nop 0
	s_sendmsg sendmsg(MSG_DEALLOC_VGPRS)
	s_endpgm
	.section	.rodata,"a",@progbits
	.p2align	6, 0x0
	.amdhsa_kernel _ZL37rocblas_syrkx_herkx_restricted_kernelIl19rocblas_complex_numIdELi16ELi32ELi8ELi1ELin1ELb0ELc78ELc76EKS1_S1_EviT_PT9_S3_lS5_S3_lPT10_S3_li
		.amdhsa_group_segment_fixed_size 8192
		.amdhsa_private_segment_fixed_size 0
		.amdhsa_kernarg_size 92
		.amdhsa_user_sgpr_count 13
		.amdhsa_user_sgpr_dispatch_ptr 0
		.amdhsa_user_sgpr_queue_ptr 0
		.amdhsa_user_sgpr_kernarg_segment_ptr 1
		.amdhsa_user_sgpr_dispatch_id 0
		.amdhsa_user_sgpr_private_segment_size 0
		.amdhsa_wavefront_size32 1
		.amdhsa_uses_dynamic_stack 0
		.amdhsa_enable_private_segment 0
		.amdhsa_system_sgpr_workgroup_id_x 1
		.amdhsa_system_sgpr_workgroup_id_y 1
		.amdhsa_system_sgpr_workgroup_id_z 1
		.amdhsa_system_sgpr_workgroup_info 0
		.amdhsa_system_vgpr_workitem_id 1
		.amdhsa_next_free_vgpr 118
		.amdhsa_next_free_sgpr 32
		.amdhsa_reserve_vcc 1
		.amdhsa_float_round_mode_32 0
		.amdhsa_float_round_mode_16_64 0
		.amdhsa_float_denorm_mode_32 3
		.amdhsa_float_denorm_mode_16_64 3
		.amdhsa_dx10_clamp 1
		.amdhsa_ieee_mode 1
		.amdhsa_fp16_overflow 0
		.amdhsa_workgroup_processor_mode 1
		.amdhsa_memory_ordered 1
		.amdhsa_forward_progress 0
		.amdhsa_shared_vgpr_count 0
		.amdhsa_exception_fp_ieee_invalid_op 0
		.amdhsa_exception_fp_denorm_src 0
		.amdhsa_exception_fp_ieee_div_zero 0
		.amdhsa_exception_fp_ieee_overflow 0
		.amdhsa_exception_fp_ieee_underflow 0
		.amdhsa_exception_fp_ieee_inexact 0
		.amdhsa_exception_int_div_zero 0
	.end_amdhsa_kernel
	.section	.text._ZL37rocblas_syrkx_herkx_restricted_kernelIl19rocblas_complex_numIdELi16ELi32ELi8ELi1ELin1ELb0ELc78ELc76EKS1_S1_EviT_PT9_S3_lS5_S3_lPT10_S3_li,"axG",@progbits,_ZL37rocblas_syrkx_herkx_restricted_kernelIl19rocblas_complex_numIdELi16ELi32ELi8ELi1ELin1ELb0ELc78ELc76EKS1_S1_EviT_PT9_S3_lS5_S3_lPT10_S3_li,comdat
.Lfunc_end1165:
	.size	_ZL37rocblas_syrkx_herkx_restricted_kernelIl19rocblas_complex_numIdELi16ELi32ELi8ELi1ELin1ELb0ELc78ELc76EKS1_S1_EviT_PT9_S3_lS5_S3_lPT10_S3_li, .Lfunc_end1165-_ZL37rocblas_syrkx_herkx_restricted_kernelIl19rocblas_complex_numIdELi16ELi32ELi8ELi1ELin1ELb0ELc78ELc76EKS1_S1_EviT_PT9_S3_lS5_S3_lPT10_S3_li
                                        ; -- End function
	.section	.AMDGPU.csdata,"",@progbits
; Kernel info:
; codeLenInByte = 3064
; NumSgprs: 34
; NumVgprs: 118
; ScratchSize: 0
; MemoryBound: 0
; FloatMode: 240
; IeeeMode: 1
; LDSByteSize: 8192 bytes/workgroup (compile time only)
; SGPRBlocks: 4
; VGPRBlocks: 14
; NumSGPRsForWavesPerEU: 34
; NumVGPRsForWavesPerEU: 118
; Occupancy: 12
; WaveLimiterHint : 1
; COMPUTE_PGM_RSRC2:SCRATCH_EN: 0
; COMPUTE_PGM_RSRC2:USER_SGPR: 13
; COMPUTE_PGM_RSRC2:TRAP_HANDLER: 0
; COMPUTE_PGM_RSRC2:TGID_X_EN: 1
; COMPUTE_PGM_RSRC2:TGID_Y_EN: 1
; COMPUTE_PGM_RSRC2:TGID_Z_EN: 1
; COMPUTE_PGM_RSRC2:TIDIG_COMP_CNT: 1
	.section	.text._ZL37rocblas_syrkx_herkx_restricted_kernelIl19rocblas_complex_numIdELi16ELi32ELi8ELi1ELin1ELb0ELc84ELc85EKS1_S1_EviT_PT9_S3_lS5_S3_lPT10_S3_li,"axG",@progbits,_ZL37rocblas_syrkx_herkx_restricted_kernelIl19rocblas_complex_numIdELi16ELi32ELi8ELi1ELin1ELb0ELc84ELc85EKS1_S1_EviT_PT9_S3_lS5_S3_lPT10_S3_li,comdat
	.globl	_ZL37rocblas_syrkx_herkx_restricted_kernelIl19rocblas_complex_numIdELi16ELi32ELi8ELi1ELin1ELb0ELc84ELc85EKS1_S1_EviT_PT9_S3_lS5_S3_lPT10_S3_li ; -- Begin function _ZL37rocblas_syrkx_herkx_restricted_kernelIl19rocblas_complex_numIdELi16ELi32ELi8ELi1ELin1ELb0ELc84ELc85EKS1_S1_EviT_PT9_S3_lS5_S3_lPT10_S3_li
	.p2align	8
	.type	_ZL37rocblas_syrkx_herkx_restricted_kernelIl19rocblas_complex_numIdELi16ELi32ELi8ELi1ELin1ELb0ELc84ELc85EKS1_S1_EviT_PT9_S3_lS5_S3_lPT10_S3_li,@function
_ZL37rocblas_syrkx_herkx_restricted_kernelIl19rocblas_complex_numIdELi16ELi32ELi8ELi1ELin1ELb0ELc84ELc85EKS1_S1_EviT_PT9_S3_lS5_S3_lPT10_S3_li: ; @_ZL37rocblas_syrkx_herkx_restricted_kernelIl19rocblas_complex_numIdELi16ELi32ELi8ELi1ELin1ELb0ELc84ELc85EKS1_S1_EviT_PT9_S3_lS5_S3_lPT10_S3_li
; %bb.0:
	s_load_b512 s[16:31], s[0:1], 0x8
	v_mov_b32_e32 v16, 0
	v_dual_mov_b32 v17, 0 :: v_dual_and_b32 v20, 0x3ff, v0
	v_bfe_u32 v21, v0, 10, 10
	s_delay_alu instid0(VALU_DEP_3) | instskip(NEXT) | instid1(VALU_DEP_3)
	v_mov_b32_e32 v14, v16
	v_dual_mov_b32 v12, v16 :: v_dual_mov_b32 v13, v17
	v_dual_mov_b32 v19, v17 :: v_dual_mov_b32 v18, v16
	;; [unrolled: 1-line block ×6, first 2 shown]
	v_mov_b32_e32 v5, v17
	s_lshl_b32 s8, s13, 5
	s_waitcnt lgkmcnt(0)
	v_cmp_lt_i64_e64 s2, s[16:17], 1
	s_lshl_b32 s9, s14, 5
	s_delay_alu instid0(VALU_DEP_1)
	s_and_b32 vcc_lo, exec_lo, s2
	s_cbranch_vccnz .LBB1166_3
; %bb.1:
	v_lshl_add_u32 v2, v21, 4, v20
	v_dual_mov_b32 v1, 0 :: v_dual_and_b32 v0, 7, v20
	v_lshlrev_b32_e32 v22, 4, v20
	s_mul_i32 s3, s23, s15
	s_delay_alu instid0(VALU_DEP_3)
	v_and_b32_e32 v8, 31, v2
	v_lshrrev_b32_e32 v9, 3, v2
	v_lshrrev_b32_e32 v2, 5, v2
	v_mov_b32_e32 v3, v1
	v_lshlrev_b32_e32 v11, 4, v0
	v_add_nc_u32_e32 v6, s8, v8
	v_add_nc_u32_e32 v10, s9, v9
	s_mul_hi_u32 s4, s22, s15
	s_mul_i32 s2, s22, s15
	s_add_i32 s3, s4, s3
	v_ashrrev_i32_e32 v7, 31, v6
	v_ashrrev_i32_e32 v12, 31, v10
	v_mad_u64_u32 v[4:5], null, s20, v6, v[2:3]
	v_mul_lo_u32 v3, s21, v6
	s_delay_alu instid0(VALU_DEP_4)
	v_mul_lo_u32 v13, s20, v7
	v_mul_lo_u32 v14, v10, s27
	v_mad_u64_u32 v[6:7], null, v10, s26, v[0:1]
	v_mul_lo_u32 v0, v12, s26
	v_lshlrev_b32_e32 v1, 4, v8
	s_lshl_b64 s[2:3], s[2:3], 4
	s_mul_hi_u32 s5, s28, s15
	v_add3_u32 v5, v3, v5, v13
	s_add_u32 s4, s18, s2
	v_lshl_or_b32 v23, v2, 9, v1
	s_mul_i32 s2, s29, s15
	v_add3_u32 v7, v0, v7, v14
	v_lshlrev_b64 v[0:1], 4, v[4:5]
	s_addc_u32 s6, s19, s3
	s_add_i32 s3, s5, s2
	s_mul_i32 s2, s28, s15
	v_lshlrev_b64 v[2:3], 4, v[6:7]
	s_lshl_b64 s[2:3], s[2:3], 4
	v_add_co_u32 v0, vcc_lo, s4, v0
	s_add_u32 s2, s24, s2
	v_add_co_ci_u32_e32 v1, vcc_lo, s6, v1, vcc_lo
	v_mov_b32_e32 v4, 0
	v_lshl_or_b32 v8, v9, 7, v11
	s_addc_u32 s3, s25, s3
	v_add_co_u32 v2, vcc_lo, s2, v2
	v_mov_b32_e32 v5, 0
	v_add_co_ci_u32_e32 v3, vcc_lo, s3, v3, vcc_lo
	v_add_co_u32 v0, vcc_lo, v0, 8
	s_delay_alu instid0(VALU_DEP_3)
	v_dual_mov_b32 v11, v5 :: v_dual_add_nc_u32 v24, 0x1000, v8
	v_add_co_ci_u32_e32 v1, vcc_lo, 0, v1, vcc_lo
	v_mov_b32_e32 v9, v5
	v_add_co_u32 v2, vcc_lo, v2, 8
	v_dual_mov_b32 v8, v4 :: v_dual_mov_b32 v13, v5
	v_dual_mov_b32 v10, v4 :: v_dual_mov_b32 v15, v5
	;; [unrolled: 1-line block ×4, first 2 shown]
	v_mov_b32_e32 v17, v5
	v_lshl_add_u32 v25, v21, 7, 0x1000
	v_add_co_ci_u32_e32 v3, vcc_lo, 0, v3, vcc_lo
	v_mov_b32_e32 v6, v4
	v_mov_b32_e32 v18, v4
	;; [unrolled: 1-line block ×3, first 2 shown]
	s_mov_b64 s[2:3], 0
.LBB1166_2:                             ; =>This Inner Loop Header: Depth=1
	global_load_b128 v[26:29], v[0:1], off offset:-8
	global_load_b128 v[30:33], v[2:3], off offset:-8
	s_add_u32 s2, s2, 8
	v_add_co_u32 v0, vcc_lo, 0x80, v0
	s_addc_u32 s3, s3, 0
	v_add_co_ci_u32_e32 v1, vcc_lo, 0, v1, vcc_lo
	v_cmp_ge_u64_e64 s4, s[2:3], s[16:17]
	v_add_co_u32 v2, vcc_lo, 0x80, v2
	v_add_co_ci_u32_e32 v3, vcc_lo, 0, v3, vcc_lo
	s_waitcnt vmcnt(1)
	ds_store_b128 v23, v[26:29]
	s_waitcnt vmcnt(0)
	ds_store_b128 v24, v[30:33]
	s_waitcnt lgkmcnt(0)
	s_barrier
	buffer_gl0_inv
	ds_load_b128 v[26:29], v25
	ds_load_b128 v[30:33], v22
	ds_load_b128 v[34:37], v22 offset:256
	ds_load_b128 v[38:41], v25 offset:2048
	;; [unrolled: 1-line block ×13, first 2 shown]
	s_and_b32 vcc_lo, exec_lo, s4
	s_waitcnt lgkmcnt(13)
	v_mul_f64 v[86:87], v[28:29], v[32:33]
	v_mul_f64 v[88:89], v[26:27], v[32:33]
	s_waitcnt lgkmcnt(12)
	v_mul_f64 v[90:91], v[28:29], v[36:37]
	v_mul_f64 v[92:93], v[26:27], v[36:37]
	;; [unrolled: 3-line block ×3, first 2 shown]
	v_mul_f64 v[96:97], v[40:41], v[36:37]
	v_mul_f64 v[36:37], v[38:39], v[36:37]
	s_waitcnt lgkmcnt(8)
	v_mul_f64 v[98:99], v[44:45], v[52:53]
	v_mul_f64 v[100:101], v[42:43], v[52:53]
	s_waitcnt lgkmcnt(7)
	v_mul_f64 v[102:103], v[44:45], v[56:57]
	v_mul_f64 v[104:105], v[42:43], v[56:57]
	;; [unrolled: 1-line block ×6, first 2 shown]
	s_waitcnt lgkmcnt(3)
	v_mul_f64 v[112:113], v[58:59], v[72:73]
	s_waitcnt lgkmcnt(2)
	v_mul_f64 v[114:115], v[76:77], v[68:69]
	v_mul_f64 v[116:117], v[76:77], v[72:73]
	v_fma_f64 v[86:87], v[26:27], v[30:31], -v[86:87]
	v_fma_f64 v[88:89], v[28:29], v[30:31], v[88:89]
	v_fma_f64 v[90:91], v[26:27], v[34:35], -v[90:91]
	v_fma_f64 v[92:93], v[28:29], v[34:35], v[92:93]
	;; [unrolled: 2-line block ×4, first 2 shown]
	v_mul_f64 v[36:37], v[60:61], v[68:69]
	v_mul_f64 v[40:41], v[58:59], v[68:69]
	;; [unrolled: 1-line block ×5, first 2 shown]
	v_fma_f64 v[98:99], v[42:43], v[50:51], -v[98:99]
	v_fma_f64 v[100:101], v[44:45], v[50:51], v[100:101]
	v_fma_f64 v[42:43], v[42:43], v[54:55], -v[102:103]
	v_fma_f64 v[44:45], v[44:45], v[54:55], v[104:105]
	;; [unrolled: 2-line block ×4, first 2 shown]
	ds_load_b128 v[26:29], v22 offset:1792
	ds_load_b128 v[30:33], v22 offset:2048
	s_waitcnt lgkmcnt(2)
	v_mul_f64 v[56:57], v[64:65], v[84:85]
	v_add_f64 v[16:17], v[16:17], v[86:87]
	v_add_f64 v[18:19], v[18:19], v[88:89]
	;; [unrolled: 1-line block ×8, first 2 shown]
	v_mul_f64 v[86:87], v[62:63], v[84:85]
	s_waitcnt lgkmcnt(1)
	v_mul_f64 v[88:89], v[64:65], v[28:29]
	v_mul_f64 v[90:91], v[62:63], v[28:29]
	;; [unrolled: 1-line block ×6, first 2 shown]
	v_fma_f64 v[104:105], v[58:59], v[66:67], -v[36:37]
	v_fma_f64 v[106:107], v[60:61], v[66:67], v[40:41]
	v_fma_f64 v[58:59], v[58:59], v[70:71], -v[96:97]
	v_fma_f64 v[60:61], v[60:61], v[70:71], v[112:113]
	;; [unrolled: 2-line block ×4, first 2 shown]
	ds_load_b128 v[4:7], v22 offset:2304
	ds_load_b128 v[8:11], v25 offset:64
	v_fma_f64 v[56:57], v[62:63], v[82:83], -v[56:57]
	v_add_f64 v[72:73], v[16:17], v[98:99]
	v_add_f64 v[74:75], v[18:19], v[100:101]
	;; [unrolled: 1-line block ×8, first 2 shown]
	ds_load_b128 v[12:15], v25 offset:2112
	ds_load_b128 v[16:19], v25 offset:80
	;; [unrolled: 1-line block ×4, first 2 shown]
	s_waitcnt lgkmcnt(4)
	v_mul_f64 v[54:55], v[10:11], v[32:33]
	v_mul_f64 v[76:77], v[8:9], v[32:33]
	;; [unrolled: 1-line block ×4, first 2 shown]
	v_fma_f64 v[86:87], v[64:65], v[82:83], v[86:87]
	v_fma_f64 v[62:63], v[62:63], v[26:27], -v[88:89]
	v_fma_f64 v[64:65], v[64:65], v[26:27], v[90:91]
	v_fma_f64 v[88:89], v[78:79], v[82:83], -v[92:93]
	;; [unrolled: 2-line block ×3, first 2 shown]
	v_fma_f64 v[80:81], v[80:81], v[26:27], v[28:29]
	s_waitcnt lgkmcnt(3)
	v_mul_f64 v[102:103], v[14:15], v[32:33]
	v_mul_f64 v[32:33], v[12:13], v[32:33]
	v_mul_f64 v[108:109], v[14:15], v[6:7]
	v_mul_f64 v[6:7], v[12:13], v[6:7]
	s_waitcnt lgkmcnt(0)
	v_mul_f64 v[90:91], v[18:19], v[40:41]
	v_mul_f64 v[92:93], v[16:17], v[40:41]
	v_add_f64 v[72:73], v[72:73], v[104:105]
	v_add_f64 v[74:75], v[74:75], v[106:107]
	v_add_f64 v[58:59], v[42:43], v[58:59]
	v_add_f64 v[60:61], v[44:45], v[60:61]
	v_add_f64 v[84:85], v[52:53], v[96:97]
	v_add_f64 v[66:67], v[50:51], v[66:67]
	v_add_f64 v[68:69], v[46:47], v[68:69]
	v_add_f64 v[70:71], v[48:49], v[70:71]
	ds_load_b128 v[26:29], v22 offset:2816
	ds_load_b128 v[42:45], v22 offset:3072
	;; [unrolled: 1-line block ×4, first 2 shown]
	v_mul_f64 v[104:105], v[36:37], v[40:41]
	v_mul_f64 v[40:41], v[34:35], v[40:41]
	v_fma_f64 v[54:55], v[8:9], v[30:31], -v[54:55]
	v_fma_f64 v[76:77], v[10:11], v[30:31], v[76:77]
	v_fma_f64 v[98:99], v[8:9], v[4:5], -v[98:99]
	v_fma_f64 v[100:101], v[10:11], v[4:5], v[100:101]
	s_waitcnt lgkmcnt(3)
	v_mul_f64 v[94:95], v[18:19], v[28:29]
	v_mul_f64 v[96:97], v[16:17], v[28:29]
	v_mul_f64 v[106:107], v[36:37], v[28:29]
	v_mul_f64 v[110:111], v[34:35], v[28:29]
	v_fma_f64 v[102:103], v[12:13], v[30:31], -v[102:103]
	v_fma_f64 v[32:33], v[14:15], v[30:31], v[32:33]
	v_fma_f64 v[108:109], v[12:13], v[4:5], -v[108:109]
	v_fma_f64 v[112:113], v[14:15], v[4:5], v[6:7]
	ds_load_b128 v[4:7], v25 offset:2144
	ds_load_b128 v[8:11], v25 offset:112
	;; [unrolled: 1-line block ×4, first 2 shown]
	v_add_f64 v[56:57], v[72:73], v[56:57]
	v_add_f64 v[72:73], v[74:75], v[86:87]
	;; [unrolled: 1-line block ×8, first 2 shown]
	s_waitcnt lgkmcnt(4)
	v_mul_f64 v[70:71], v[52:53], v[44:45]
	v_mul_f64 v[74:75], v[50:51], v[44:45]
	;; [unrolled: 1-line block ×4, first 2 shown]
	s_waitcnt lgkmcnt(3)
	v_mul_f64 v[82:83], v[6:7], v[44:45]
	v_mul_f64 v[44:45], v[4:5], v[44:45]
	;; [unrolled: 1-line block ×4, first 2 shown]
	v_fma_f64 v[86:87], v[16:17], v[38:39], -v[90:91]
	v_fma_f64 v[88:89], v[18:19], v[38:39], v[92:93]
	v_fma_f64 v[90:91], v[16:17], v[26:27], -v[94:95]
	v_fma_f64 v[92:93], v[18:19], v[26:27], v[96:97]
	;; [unrolled: 2-line block ×4, first 2 shown]
	ds_load_b128 v[16:19], v22 offset:3840
	s_waitcnt lgkmcnt(0)
	s_barrier
	buffer_gl0_inv
	v_add_f64 v[36:37], v[56:57], v[54:55]
	v_add_f64 v[40:41], v[72:73], v[76:77]
	;; [unrolled: 1-line block ×8, first 2 shown]
	v_mul_f64 v[64:65], v[10:11], v[30:31]
	v_mul_f64 v[66:67], v[8:9], v[30:31]
	v_mul_f64 v[76:77], v[14:15], v[30:31]
	v_mul_f64 v[30:31], v[12:13], v[30:31]
	v_fma_f64 v[70:71], v[50:51], v[42:43], -v[70:71]
	v_mul_f64 v[68:69], v[10:11], v[18:19]
	v_mul_f64 v[72:73], v[8:9], v[18:19]
	;; [unrolled: 1-line block ×4, first 2 shown]
	v_fma_f64 v[74:75], v[52:53], v[42:43], v[74:75]
	v_fma_f64 v[50:51], v[50:51], v[46:47], -v[78:79]
	v_fma_f64 v[52:53], v[52:53], v[46:47], v[80:81]
	v_fma_f64 v[78:79], v[4:5], v[42:43], -v[82:83]
	;; [unrolled: 2-line block ×3, first 2 shown]
	v_fma_f64 v[6:7], v[6:7], v[46:47], v[48:49]
	v_add_f64 v[36:37], v[36:37], v[86:87]
	v_add_f64 v[40:41], v[40:41], v[88:89]
	;; [unrolled: 1-line block ×8, first 2 shown]
	v_fma_f64 v[38:39], v[8:9], v[28:29], -v[64:65]
	v_fma_f64 v[54:55], v[10:11], v[28:29], v[66:67]
	v_fma_f64 v[56:57], v[12:13], v[28:29], -v[76:77]
	v_fma_f64 v[28:29], v[14:15], v[28:29], v[30:31]
	;; [unrolled: 2-line block ×4, first 2 shown]
	v_add_f64 v[12:13], v[36:37], v[70:71]
	v_add_f64 v[14:15], v[40:41], v[74:75]
	;; [unrolled: 1-line block ×16, first 2 shown]
	s_cbranch_vccz .LBB1166_2
.LBB1166_3:
	s_clause 0x1
	s_load_b128 s[4:7], s[0:1], 0x48
	s_load_b32 s2, s[0:1], 0x0
	v_add_nc_u32_e32 v21, s9, v21
	s_delay_alu instid0(VALU_DEP_1) | instskip(SKIP_1) | instid1(VALU_DEP_1)
	v_ashrrev_i32_e32 v0, 31, v21
	s_waitcnt lgkmcnt(0)
	v_mul_lo_u32 v3, v0, s4
	v_mul_lo_u32 v22, v21, s5
	v_mad_u64_u32 v[1:2], null, v21, s4, 0
	s_mul_i32 s1, s15, s7
	s_mul_hi_u32 s3, s15, s6
	s_mul_i32 s6, s15, s6
	s_add_i32 s7, s3, s1
	v_add_nc_u32_e32 v0, s8, v20
	s_lshl_b64 s[6:7], s[6:7], 4
	s_delay_alu instid0(VALU_DEP_2)
	v_add3_u32 v2, v2, v22, v3
	s_add_u32 s3, s30, s6
	v_cmp_gt_i32_e32 vcc_lo, s2, v21
	v_cmp_le_i32_e64 s0, v0, v21
	s_addc_u32 s6, s31, s7
	v_lshlrev_b64 v[1:2], 4, v[1:2]
	s_delay_alu instid0(VALU_DEP_2) | instskip(NEXT) | instid1(VALU_DEP_1)
	s_and_b32 s0, vcc_lo, s0
	v_add_co_u32 v20, s1, s3, v1
	s_delay_alu instid0(VALU_DEP_1)
	v_add_co_ci_u32_e64 v22, s1, s6, v2, s1
	s_and_saveexec_b32 s1, s0
	s_cbranch_execz .LBB1166_5
; %bb.4:
	v_ashrrev_i32_e32 v1, 31, v0
	s_delay_alu instid0(VALU_DEP_1) | instskip(NEXT) | instid1(VALU_DEP_1)
	v_lshlrev_b64 v[1:2], 4, v[0:1]
	v_add_co_u32 v1, s0, v20, v1
	s_delay_alu instid0(VALU_DEP_1)
	v_add_co_ci_u32_e64 v2, s0, v22, v2, s0
	global_load_b128 v[23:26], v[1:2], off
	s_waitcnt vmcnt(0)
	v_add_f64 v[16:17], v[16:17], -v[23:24]
	v_add_f64 v[18:19], v[18:19], -v[25:26]
	global_store_b128 v[1:2], v[16:19], off
.LBB1166_5:
	s_or_b32 exec_lo, exec_lo, s1
	v_add_nc_u32_e32 v2, 16, v0
	s_delay_alu instid0(VALU_DEP_1) | instskip(NEXT) | instid1(VALU_DEP_1)
	v_cmp_le_i32_e64 s0, v2, v21
	s_and_b32 s1, vcc_lo, s0
	s_delay_alu instid0(SALU_CYCLE_1)
	s_and_saveexec_b32 s0, s1
	s_cbranch_execz .LBB1166_7
; %bb.6:
	v_ashrrev_i32_e32 v3, 31, v2
	s_delay_alu instid0(VALU_DEP_1) | instskip(NEXT) | instid1(VALU_DEP_1)
	v_lshlrev_b64 v[16:17], 4, v[2:3]
	v_add_co_u32 v23, vcc_lo, v20, v16
	s_delay_alu instid0(VALU_DEP_2)
	v_add_co_ci_u32_e32 v24, vcc_lo, v22, v17, vcc_lo
	global_load_b128 v[16:19], v[23:24], off
	s_waitcnt vmcnt(0)
	v_add_f64 v[14:15], v[14:15], -v[16:17]
	v_add_f64 v[16:17], v[12:13], -v[18:19]
	global_store_b128 v[23:24], v[14:17], off
.LBB1166_7:
	s_or_b32 exec_lo, exec_lo, s0
	v_add_nc_u32_e32 v3, 16, v21
	s_delay_alu instid0(VALU_DEP_1) | instskip(SKIP_3) | instid1(VALU_DEP_4)
	v_ashrrev_i32_e32 v1, 31, v3
	v_mul_lo_u32 v14, v3, s5
	v_mad_u64_u32 v[12:13], null, v3, s4, 0
	v_cmp_gt_i32_e32 vcc_lo, s2, v3
	v_mul_lo_u32 v1, v1, s4
	v_cmp_le_i32_e64 s0, v0, v3
	s_delay_alu instid0(VALU_DEP_1) | instskip(NEXT) | instid1(VALU_DEP_2)
	s_and_b32 s0, vcc_lo, s0
	v_add3_u32 v13, v13, v14, v1
	s_delay_alu instid0(VALU_DEP_1) | instskip(NEXT) | instid1(VALU_DEP_1)
	v_lshlrev_b64 v[12:13], 4, v[12:13]
	v_add_co_u32 v12, s1, s3, v12
	s_delay_alu instid0(VALU_DEP_1)
	v_add_co_ci_u32_e64 v13, s1, s6, v13, s1
	s_and_saveexec_b32 s1, s0
	s_cbranch_execz .LBB1166_9
; %bb.8:
	v_ashrrev_i32_e32 v1, 31, v0
	s_delay_alu instid0(VALU_DEP_1) | instskip(NEXT) | instid1(VALU_DEP_1)
	v_lshlrev_b64 v[0:1], 4, v[0:1]
	v_add_co_u32 v0, s0, v12, v0
	s_delay_alu instid0(VALU_DEP_1)
	v_add_co_ci_u32_e64 v1, s0, v13, v1, s0
	global_load_b128 v[14:17], v[0:1], off
	s_waitcnt vmcnt(0)
	v_add_f64 v[14:15], v[10:11], -v[14:15]
	v_add_f64 v[16:17], v[8:9], -v[16:17]
	global_store_b128 v[0:1], v[14:17], off
.LBB1166_9:
	s_or_b32 exec_lo, exec_lo, s1
	v_cmp_le_i32_e64 s0, v2, v3
	s_delay_alu instid0(VALU_DEP_1) | instskip(NEXT) | instid1(SALU_CYCLE_1)
	s_and_b32 s0, vcc_lo, s0
	s_and_saveexec_b32 s1, s0
	s_cbranch_execz .LBB1166_11
; %bb.10:
	v_ashrrev_i32_e32 v3, 31, v2
	s_delay_alu instid0(VALU_DEP_1) | instskip(NEXT) | instid1(VALU_DEP_1)
	v_lshlrev_b64 v[0:1], 4, v[2:3]
	v_add_co_u32 v8, vcc_lo, v12, v0
	s_delay_alu instid0(VALU_DEP_2)
	v_add_co_ci_u32_e32 v9, vcc_lo, v13, v1, vcc_lo
	global_load_b128 v[0:3], v[8:9], off
	s_waitcnt vmcnt(0)
	v_add_f64 v[0:1], v[6:7], -v[0:1]
	v_add_f64 v[2:3], v[4:5], -v[2:3]
	global_store_b128 v[8:9], v[0:3], off
.LBB1166_11:
	s_nop 0
	s_sendmsg sendmsg(MSG_DEALLOC_VGPRS)
	s_endpgm
	.section	.rodata,"a",@progbits
	.p2align	6, 0x0
	.amdhsa_kernel _ZL37rocblas_syrkx_herkx_restricted_kernelIl19rocblas_complex_numIdELi16ELi32ELi8ELi1ELin1ELb0ELc84ELc85EKS1_S1_EviT_PT9_S3_lS5_S3_lPT10_S3_li
		.amdhsa_group_segment_fixed_size 8192
		.amdhsa_private_segment_fixed_size 0
		.amdhsa_kernarg_size 92
		.amdhsa_user_sgpr_count 13
		.amdhsa_user_sgpr_dispatch_ptr 0
		.amdhsa_user_sgpr_queue_ptr 0
		.amdhsa_user_sgpr_kernarg_segment_ptr 1
		.amdhsa_user_sgpr_dispatch_id 0
		.amdhsa_user_sgpr_private_segment_size 0
		.amdhsa_wavefront_size32 1
		.amdhsa_uses_dynamic_stack 0
		.amdhsa_enable_private_segment 0
		.amdhsa_system_sgpr_workgroup_id_x 1
		.amdhsa_system_sgpr_workgroup_id_y 1
		.amdhsa_system_sgpr_workgroup_id_z 1
		.amdhsa_system_sgpr_workgroup_info 0
		.amdhsa_system_vgpr_workitem_id 1
		.amdhsa_next_free_vgpr 118
		.amdhsa_next_free_sgpr 32
		.amdhsa_reserve_vcc 1
		.amdhsa_float_round_mode_32 0
		.amdhsa_float_round_mode_16_64 0
		.amdhsa_float_denorm_mode_32 3
		.amdhsa_float_denorm_mode_16_64 3
		.amdhsa_dx10_clamp 1
		.amdhsa_ieee_mode 1
		.amdhsa_fp16_overflow 0
		.amdhsa_workgroup_processor_mode 1
		.amdhsa_memory_ordered 1
		.amdhsa_forward_progress 0
		.amdhsa_shared_vgpr_count 0
		.amdhsa_exception_fp_ieee_invalid_op 0
		.amdhsa_exception_fp_denorm_src 0
		.amdhsa_exception_fp_ieee_div_zero 0
		.amdhsa_exception_fp_ieee_overflow 0
		.amdhsa_exception_fp_ieee_underflow 0
		.amdhsa_exception_fp_ieee_inexact 0
		.amdhsa_exception_int_div_zero 0
	.end_amdhsa_kernel
	.section	.text._ZL37rocblas_syrkx_herkx_restricted_kernelIl19rocblas_complex_numIdELi16ELi32ELi8ELi1ELin1ELb0ELc84ELc85EKS1_S1_EviT_PT9_S3_lS5_S3_lPT10_S3_li,"axG",@progbits,_ZL37rocblas_syrkx_herkx_restricted_kernelIl19rocblas_complex_numIdELi16ELi32ELi8ELi1ELin1ELb0ELc84ELc85EKS1_S1_EviT_PT9_S3_lS5_S3_lPT10_S3_li,comdat
.Lfunc_end1166:
	.size	_ZL37rocblas_syrkx_herkx_restricted_kernelIl19rocblas_complex_numIdELi16ELi32ELi8ELi1ELin1ELb0ELc84ELc85EKS1_S1_EviT_PT9_S3_lS5_S3_lPT10_S3_li, .Lfunc_end1166-_ZL37rocblas_syrkx_herkx_restricted_kernelIl19rocblas_complex_numIdELi16ELi32ELi8ELi1ELin1ELb0ELc84ELc85EKS1_S1_EviT_PT9_S3_lS5_S3_lPT10_S3_li
                                        ; -- End function
	.section	.AMDGPU.csdata,"",@progbits
; Kernel info:
; codeLenInByte = 3088
; NumSgprs: 34
; NumVgprs: 118
; ScratchSize: 0
; MemoryBound: 0
; FloatMode: 240
; IeeeMode: 1
; LDSByteSize: 8192 bytes/workgroup (compile time only)
; SGPRBlocks: 4
; VGPRBlocks: 14
; NumSGPRsForWavesPerEU: 34
; NumVGPRsForWavesPerEU: 118
; Occupancy: 12
; WaveLimiterHint : 1
; COMPUTE_PGM_RSRC2:SCRATCH_EN: 0
; COMPUTE_PGM_RSRC2:USER_SGPR: 13
; COMPUTE_PGM_RSRC2:TRAP_HANDLER: 0
; COMPUTE_PGM_RSRC2:TGID_X_EN: 1
; COMPUTE_PGM_RSRC2:TGID_Y_EN: 1
; COMPUTE_PGM_RSRC2:TGID_Z_EN: 1
; COMPUTE_PGM_RSRC2:TIDIG_COMP_CNT: 1
	.section	.text._ZL37rocblas_syrkx_herkx_restricted_kernelIl19rocblas_complex_numIdELi16ELi32ELi8ELi1ELin1ELb0ELc67ELc85EKS1_S1_EviT_PT9_S3_lS5_S3_lPT10_S3_li,"axG",@progbits,_ZL37rocblas_syrkx_herkx_restricted_kernelIl19rocblas_complex_numIdELi16ELi32ELi8ELi1ELin1ELb0ELc67ELc85EKS1_S1_EviT_PT9_S3_lS5_S3_lPT10_S3_li,comdat
	.globl	_ZL37rocblas_syrkx_herkx_restricted_kernelIl19rocblas_complex_numIdELi16ELi32ELi8ELi1ELin1ELb0ELc67ELc85EKS1_S1_EviT_PT9_S3_lS5_S3_lPT10_S3_li ; -- Begin function _ZL37rocblas_syrkx_herkx_restricted_kernelIl19rocblas_complex_numIdELi16ELi32ELi8ELi1ELin1ELb0ELc67ELc85EKS1_S1_EviT_PT9_S3_lS5_S3_lPT10_S3_li
	.p2align	8
	.type	_ZL37rocblas_syrkx_herkx_restricted_kernelIl19rocblas_complex_numIdELi16ELi32ELi8ELi1ELin1ELb0ELc67ELc85EKS1_S1_EviT_PT9_S3_lS5_S3_lPT10_S3_li,@function
_ZL37rocblas_syrkx_herkx_restricted_kernelIl19rocblas_complex_numIdELi16ELi32ELi8ELi1ELin1ELb0ELc67ELc85EKS1_S1_EviT_PT9_S3_lS5_S3_lPT10_S3_li: ; @_ZL37rocblas_syrkx_herkx_restricted_kernelIl19rocblas_complex_numIdELi16ELi32ELi8ELi1ELin1ELb0ELc67ELc85EKS1_S1_EviT_PT9_S3_lS5_S3_lPT10_S3_li
; %bb.0:
	s_load_b512 s[16:31], s[0:1], 0x8
	v_mov_b32_e32 v16, 0
	v_dual_mov_b32 v17, 0 :: v_dual_and_b32 v20, 0x3ff, v0
	v_bfe_u32 v21, v0, 10, 10
	s_delay_alu instid0(VALU_DEP_3) | instskip(NEXT) | instid1(VALU_DEP_3)
	v_mov_b32_e32 v14, v16
	v_dual_mov_b32 v12, v16 :: v_dual_mov_b32 v13, v17
	v_dual_mov_b32 v19, v17 :: v_dual_mov_b32 v18, v16
	;; [unrolled: 1-line block ×6, first 2 shown]
	v_mov_b32_e32 v5, v17
	s_lshl_b32 s8, s13, 5
	s_waitcnt lgkmcnt(0)
	v_cmp_lt_i64_e64 s2, s[16:17], 1
	s_lshl_b32 s9, s14, 5
	s_delay_alu instid0(VALU_DEP_1)
	s_and_b32 vcc_lo, exec_lo, s2
	s_cbranch_vccnz .LBB1167_3
; %bb.1:
	v_lshl_add_u32 v2, v21, 4, v20
	v_dual_mov_b32 v1, 0 :: v_dual_and_b32 v0, 7, v20
	v_lshlrev_b32_e32 v22, 4, v20
	s_mul_i32 s3, s23, s15
	s_delay_alu instid0(VALU_DEP_3)
	v_and_b32_e32 v8, 31, v2
	v_lshrrev_b32_e32 v9, 3, v2
	v_lshrrev_b32_e32 v2, 5, v2
	v_mov_b32_e32 v3, v1
	v_lshlrev_b32_e32 v11, 4, v0
	v_add_nc_u32_e32 v6, s8, v8
	v_add_nc_u32_e32 v10, s9, v9
	s_mul_hi_u32 s4, s22, s15
	s_mul_i32 s2, s22, s15
	s_add_i32 s3, s4, s3
	v_ashrrev_i32_e32 v7, 31, v6
	v_ashrrev_i32_e32 v12, 31, v10
	v_mad_u64_u32 v[4:5], null, s20, v6, v[2:3]
	v_mul_lo_u32 v3, s21, v6
	s_delay_alu instid0(VALU_DEP_4)
	v_mul_lo_u32 v13, s20, v7
	v_mul_lo_u32 v14, v10, s27
	v_mad_u64_u32 v[6:7], null, v10, s26, v[0:1]
	v_mul_lo_u32 v0, v12, s26
	v_lshlrev_b32_e32 v1, 4, v8
	s_lshl_b64 s[2:3], s[2:3], 4
	s_mul_hi_u32 s5, s28, s15
	v_add3_u32 v5, v3, v5, v13
	s_add_u32 s4, s18, s2
	v_lshl_or_b32 v23, v2, 9, v1
	s_mul_i32 s2, s29, s15
	v_add3_u32 v7, v0, v7, v14
	v_lshlrev_b64 v[0:1], 4, v[4:5]
	s_addc_u32 s6, s19, s3
	s_add_i32 s3, s5, s2
	s_mul_i32 s2, s28, s15
	v_lshlrev_b64 v[2:3], 4, v[6:7]
	s_lshl_b64 s[2:3], s[2:3], 4
	v_add_co_u32 v0, vcc_lo, s4, v0
	s_add_u32 s2, s24, s2
	v_add_co_ci_u32_e32 v1, vcc_lo, s6, v1, vcc_lo
	v_mov_b32_e32 v4, 0
	v_lshl_or_b32 v8, v9, 7, v11
	s_addc_u32 s3, s25, s3
	v_add_co_u32 v2, vcc_lo, s2, v2
	v_mov_b32_e32 v5, 0
	v_add_co_ci_u32_e32 v3, vcc_lo, s3, v3, vcc_lo
	v_add_co_u32 v0, vcc_lo, v0, 8
	s_delay_alu instid0(VALU_DEP_3)
	v_dual_mov_b32 v11, v5 :: v_dual_add_nc_u32 v24, 0x1000, v8
	v_add_co_ci_u32_e32 v1, vcc_lo, 0, v1, vcc_lo
	v_mov_b32_e32 v9, v5
	v_add_co_u32 v2, vcc_lo, v2, 8
	v_dual_mov_b32 v8, v4 :: v_dual_mov_b32 v13, v5
	v_dual_mov_b32 v10, v4 :: v_dual_mov_b32 v15, v5
	;; [unrolled: 1-line block ×4, first 2 shown]
	v_mov_b32_e32 v17, v5
	v_lshl_add_u32 v25, v21, 7, 0x1000
	v_add_co_ci_u32_e32 v3, vcc_lo, 0, v3, vcc_lo
	v_mov_b32_e32 v6, v4
	v_mov_b32_e32 v18, v4
	;; [unrolled: 1-line block ×3, first 2 shown]
	s_mov_b64 s[2:3], 0
.LBB1167_2:                             ; =>This Inner Loop Header: Depth=1
	global_load_b128 v[26:29], v[0:1], off offset:-8
	global_load_b128 v[30:33], v[2:3], off offset:-8
	s_add_u32 s2, s2, 8
	v_add_co_u32 v0, vcc_lo, 0x80, v0
	s_addc_u32 s3, s3, 0
	v_add_co_ci_u32_e32 v1, vcc_lo, 0, v1, vcc_lo
	v_cmp_ge_u64_e64 s4, s[2:3], s[16:17]
	v_add_co_u32 v2, vcc_lo, 0x80, v2
	v_add_co_ci_u32_e32 v3, vcc_lo, 0, v3, vcc_lo
	s_waitcnt vmcnt(1)
	ds_store_b128 v23, v[26:29]
	s_waitcnt vmcnt(0)
	ds_store_b128 v24, v[30:33]
	s_waitcnt lgkmcnt(0)
	s_barrier
	buffer_gl0_inv
	ds_load_b128 v[26:29], v25
	ds_load_b128 v[30:33], v22
	ds_load_b128 v[34:37], v22 offset:256
	ds_load_b128 v[38:41], v25 offset:2048
	ds_load_b128 v[42:45], v25 offset:16
	ds_load_b128 v[46:49], v25 offset:2064
	ds_load_b128 v[50:53], v22 offset:512
	ds_load_b128 v[54:57], v22 offset:768
	ds_load_b128 v[58:61], v25 offset:32
	ds_load_b128 v[62:65], v25 offset:48
	ds_load_b128 v[66:69], v22 offset:1024
	ds_load_b128 v[70:73], v22 offset:1280
	ds_load_b128 v[74:77], v25 offset:2080
	ds_load_b128 v[78:81], v25 offset:2096
	ds_load_b128 v[82:85], v22 offset:1536
	s_and_b32 vcc_lo, exec_lo, s4
	s_waitcnt lgkmcnt(13)
	v_mul_f64 v[86:87], v[28:29], v[32:33]
	v_mul_f64 v[88:89], v[26:27], v[32:33]
	s_waitcnt lgkmcnt(12)
	v_mul_f64 v[90:91], v[28:29], v[36:37]
	v_mul_f64 v[92:93], v[26:27], v[36:37]
	;; [unrolled: 3-line block ×3, first 2 shown]
	v_mul_f64 v[96:97], v[40:41], v[36:37]
	v_mul_f64 v[36:37], v[38:39], v[36:37]
	s_waitcnt lgkmcnt(8)
	v_mul_f64 v[98:99], v[44:45], v[52:53]
	v_mul_f64 v[100:101], v[42:43], v[52:53]
	s_waitcnt lgkmcnt(7)
	v_mul_f64 v[102:103], v[44:45], v[56:57]
	v_mul_f64 v[104:105], v[42:43], v[56:57]
	v_mul_f64 v[106:107], v[48:49], v[52:53]
	v_mul_f64 v[52:53], v[46:47], v[52:53]
	v_mul_f64 v[108:109], v[48:49], v[56:57]
	v_mul_f64 v[56:57], v[46:47], v[56:57]
	s_waitcnt lgkmcnt(3)
	v_mul_f64 v[112:113], v[58:59], v[72:73]
	s_waitcnt lgkmcnt(2)
	v_mul_f64 v[114:115], v[76:77], v[68:69]
	v_mul_f64 v[116:117], v[76:77], v[72:73]
	v_fma_f64 v[86:87], v[26:27], v[30:31], -v[86:87]
	v_fma_f64 v[88:89], v[28:29], v[30:31], v[88:89]
	v_fma_f64 v[90:91], v[26:27], v[34:35], -v[90:91]
	v_fma_f64 v[92:93], v[28:29], v[34:35], v[92:93]
	;; [unrolled: 2-line block ×4, first 2 shown]
	v_mul_f64 v[36:37], v[60:61], v[68:69]
	v_mul_f64 v[40:41], v[58:59], v[68:69]
	;; [unrolled: 1-line block ×5, first 2 shown]
	v_fma_f64 v[98:99], v[42:43], v[50:51], -v[98:99]
	v_fma_f64 v[100:101], v[44:45], v[50:51], v[100:101]
	v_fma_f64 v[42:43], v[42:43], v[54:55], -v[102:103]
	v_fma_f64 v[44:45], v[44:45], v[54:55], v[104:105]
	;; [unrolled: 2-line block ×4, first 2 shown]
	ds_load_b128 v[26:29], v22 offset:1792
	ds_load_b128 v[30:33], v22 offset:2048
	s_waitcnt lgkmcnt(2)
	v_mul_f64 v[56:57], v[64:65], v[84:85]
	v_add_f64 v[16:17], v[16:17], v[86:87]
	v_add_f64 v[18:19], v[18:19], v[88:89]
	;; [unrolled: 1-line block ×8, first 2 shown]
	v_mul_f64 v[86:87], v[62:63], v[84:85]
	s_waitcnt lgkmcnt(1)
	v_mul_f64 v[88:89], v[64:65], v[28:29]
	v_mul_f64 v[90:91], v[62:63], v[28:29]
	v_mul_f64 v[92:93], v[80:81], v[84:85]
	v_mul_f64 v[84:85], v[78:79], v[84:85]
	v_mul_f64 v[94:95], v[80:81], v[28:29]
	v_mul_f64 v[28:29], v[78:79], v[28:29]
	v_fma_f64 v[104:105], v[58:59], v[66:67], -v[36:37]
	v_fma_f64 v[106:107], v[60:61], v[66:67], v[40:41]
	v_fma_f64 v[58:59], v[58:59], v[70:71], -v[96:97]
	v_fma_f64 v[60:61], v[60:61], v[70:71], v[112:113]
	;; [unrolled: 2-line block ×4, first 2 shown]
	ds_load_b128 v[4:7], v22 offset:2304
	ds_load_b128 v[8:11], v25 offset:64
	v_fma_f64 v[56:57], v[62:63], v[82:83], -v[56:57]
	v_add_f64 v[72:73], v[16:17], v[98:99]
	v_add_f64 v[74:75], v[18:19], v[100:101]
	v_add_f64 v[42:43], v[14:15], v[42:43]
	v_add_f64 v[44:45], v[12:13], v[44:45]
	v_add_f64 v[52:53], v[52:53], v[102:103]
	v_add_f64 v[50:51], v[54:55], v[50:51]
	v_add_f64 v[46:47], v[38:39], v[46:47]
	v_add_f64 v[48:49], v[34:35], v[48:49]
	ds_load_b128 v[12:15], v25 offset:2112
	ds_load_b128 v[16:19], v25 offset:80
	ds_load_b128 v[34:37], v25 offset:2128
	ds_load_b128 v[38:41], v22 offset:2560
	s_waitcnt lgkmcnt(4)
	v_mul_f64 v[54:55], v[10:11], v[32:33]
	v_mul_f64 v[76:77], v[8:9], v[32:33]
	v_mul_f64 v[98:99], v[10:11], v[6:7]
	v_mul_f64 v[100:101], v[8:9], v[6:7]
	v_fma_f64 v[86:87], v[64:65], v[82:83], v[86:87]
	v_fma_f64 v[62:63], v[62:63], v[26:27], -v[88:89]
	v_fma_f64 v[64:65], v[64:65], v[26:27], v[90:91]
	v_fma_f64 v[88:89], v[78:79], v[82:83], -v[92:93]
	;; [unrolled: 2-line block ×3, first 2 shown]
	v_fma_f64 v[80:81], v[80:81], v[26:27], v[28:29]
	s_waitcnt lgkmcnt(3)
	v_mul_f64 v[102:103], v[14:15], v[32:33]
	v_mul_f64 v[32:33], v[12:13], v[32:33]
	;; [unrolled: 1-line block ×4, first 2 shown]
	s_waitcnt lgkmcnt(0)
	v_mul_f64 v[90:91], v[18:19], v[40:41]
	v_mul_f64 v[92:93], v[16:17], v[40:41]
	v_add_f64 v[72:73], v[72:73], v[104:105]
	v_add_f64 v[74:75], v[74:75], v[106:107]
	v_add_f64 v[58:59], v[42:43], v[58:59]
	v_add_f64 v[60:61], v[44:45], v[60:61]
	v_add_f64 v[84:85], v[52:53], v[96:97]
	v_add_f64 v[66:67], v[50:51], v[66:67]
	v_add_f64 v[68:69], v[46:47], v[68:69]
	v_add_f64 v[70:71], v[48:49], v[70:71]
	ds_load_b128 v[26:29], v22 offset:2816
	ds_load_b128 v[42:45], v22 offset:3072
	;; [unrolled: 1-line block ×4, first 2 shown]
	v_mul_f64 v[104:105], v[36:37], v[40:41]
	v_mul_f64 v[40:41], v[34:35], v[40:41]
	v_fma_f64 v[54:55], v[8:9], v[30:31], -v[54:55]
	v_fma_f64 v[76:77], v[10:11], v[30:31], v[76:77]
	v_fma_f64 v[98:99], v[8:9], v[4:5], -v[98:99]
	v_fma_f64 v[100:101], v[10:11], v[4:5], v[100:101]
	s_waitcnt lgkmcnt(3)
	v_mul_f64 v[94:95], v[18:19], v[28:29]
	v_mul_f64 v[96:97], v[16:17], v[28:29]
	;; [unrolled: 1-line block ×4, first 2 shown]
	v_fma_f64 v[102:103], v[12:13], v[30:31], -v[102:103]
	v_fma_f64 v[32:33], v[14:15], v[30:31], v[32:33]
	v_fma_f64 v[108:109], v[12:13], v[4:5], -v[108:109]
	v_fma_f64 v[112:113], v[14:15], v[4:5], v[6:7]
	ds_load_b128 v[4:7], v25 offset:2144
	ds_load_b128 v[8:11], v25 offset:112
	;; [unrolled: 1-line block ×4, first 2 shown]
	v_add_f64 v[56:57], v[72:73], v[56:57]
	v_add_f64 v[72:73], v[74:75], v[86:87]
	;; [unrolled: 1-line block ×8, first 2 shown]
	s_waitcnt lgkmcnt(4)
	v_mul_f64 v[70:71], v[52:53], v[44:45]
	v_mul_f64 v[74:75], v[50:51], v[44:45]
	;; [unrolled: 1-line block ×4, first 2 shown]
	s_waitcnt lgkmcnt(3)
	v_mul_f64 v[82:83], v[6:7], v[44:45]
	v_mul_f64 v[44:45], v[4:5], v[44:45]
	;; [unrolled: 1-line block ×4, first 2 shown]
	v_fma_f64 v[86:87], v[16:17], v[38:39], -v[90:91]
	v_fma_f64 v[88:89], v[18:19], v[38:39], v[92:93]
	v_fma_f64 v[90:91], v[16:17], v[26:27], -v[94:95]
	v_fma_f64 v[92:93], v[18:19], v[26:27], v[96:97]
	;; [unrolled: 2-line block ×4, first 2 shown]
	ds_load_b128 v[16:19], v22 offset:3840
	s_waitcnt lgkmcnt(0)
	s_barrier
	buffer_gl0_inv
	v_add_f64 v[36:37], v[56:57], v[54:55]
	v_add_f64 v[40:41], v[72:73], v[76:77]
	;; [unrolled: 1-line block ×8, first 2 shown]
	v_mul_f64 v[64:65], v[10:11], v[30:31]
	v_mul_f64 v[66:67], v[8:9], v[30:31]
	;; [unrolled: 1-line block ×4, first 2 shown]
	v_fma_f64 v[70:71], v[50:51], v[42:43], -v[70:71]
	v_mul_f64 v[68:69], v[10:11], v[18:19]
	v_mul_f64 v[72:73], v[8:9], v[18:19]
	;; [unrolled: 1-line block ×4, first 2 shown]
	v_fma_f64 v[74:75], v[52:53], v[42:43], v[74:75]
	v_fma_f64 v[50:51], v[50:51], v[46:47], -v[78:79]
	v_fma_f64 v[52:53], v[52:53], v[46:47], v[80:81]
	v_fma_f64 v[78:79], v[4:5], v[42:43], -v[82:83]
	;; [unrolled: 2-line block ×3, first 2 shown]
	v_fma_f64 v[6:7], v[6:7], v[46:47], v[48:49]
	v_add_f64 v[36:37], v[36:37], v[86:87]
	v_add_f64 v[40:41], v[40:41], v[88:89]
	v_add_f64 v[44:45], v[54:55], v[90:91]
	v_add_f64 v[46:47], v[56:57], v[92:93]
	v_add_f64 v[48:49], v[58:59], v[94:95]
	v_add_f64 v[32:33], v[32:33], v[38:39]
	v_add_f64 v[34:35], v[60:61], v[34:35]
	v_add_f64 v[26:27], v[62:63], v[26:27]
	v_fma_f64 v[38:39], v[8:9], v[28:29], -v[64:65]
	v_fma_f64 v[54:55], v[10:11], v[28:29], v[66:67]
	v_fma_f64 v[56:57], v[12:13], v[28:29], -v[76:77]
	v_fma_f64 v[28:29], v[14:15], v[28:29], v[30:31]
	;; [unrolled: 2-line block ×4, first 2 shown]
	v_add_f64 v[12:13], v[36:37], v[70:71]
	v_add_f64 v[14:15], v[40:41], v[74:75]
	;; [unrolled: 1-line block ×16, first 2 shown]
	s_cbranch_vccz .LBB1167_2
.LBB1167_3:
	s_clause 0x1
	s_load_b128 s[4:7], s[0:1], 0x48
	s_load_b32 s2, s[0:1], 0x0
	v_add_nc_u32_e32 v21, s9, v21
	s_delay_alu instid0(VALU_DEP_1) | instskip(SKIP_1) | instid1(VALU_DEP_1)
	v_ashrrev_i32_e32 v0, 31, v21
	s_waitcnt lgkmcnt(0)
	v_mul_lo_u32 v3, v0, s4
	v_mul_lo_u32 v22, v21, s5
	v_mad_u64_u32 v[1:2], null, v21, s4, 0
	s_mul_i32 s1, s15, s7
	s_mul_hi_u32 s3, s15, s6
	s_mul_i32 s6, s15, s6
	s_add_i32 s7, s3, s1
	v_add_nc_u32_e32 v0, s8, v20
	s_lshl_b64 s[6:7], s[6:7], 4
	s_delay_alu instid0(VALU_DEP_2)
	v_add3_u32 v2, v2, v22, v3
	s_add_u32 s3, s30, s6
	v_cmp_gt_i32_e32 vcc_lo, s2, v21
	v_cmp_le_i32_e64 s0, v0, v21
	s_addc_u32 s6, s31, s7
	v_lshlrev_b64 v[1:2], 4, v[1:2]
	s_delay_alu instid0(VALU_DEP_2) | instskip(NEXT) | instid1(VALU_DEP_1)
	s_and_b32 s0, vcc_lo, s0
	v_add_co_u32 v20, s1, s3, v1
	s_delay_alu instid0(VALU_DEP_1)
	v_add_co_ci_u32_e64 v22, s1, s6, v2, s1
	s_and_saveexec_b32 s1, s0
	s_cbranch_execz .LBB1167_5
; %bb.4:
	v_ashrrev_i32_e32 v1, 31, v0
	s_delay_alu instid0(VALU_DEP_1) | instskip(NEXT) | instid1(VALU_DEP_1)
	v_lshlrev_b64 v[1:2], 4, v[0:1]
	v_add_co_u32 v1, s0, v20, v1
	s_delay_alu instid0(VALU_DEP_1)
	v_add_co_ci_u32_e64 v2, s0, v22, v2, s0
	global_load_b128 v[23:26], v[1:2], off
	s_waitcnt vmcnt(0)
	v_add_f64 v[16:17], v[16:17], -v[23:24]
	v_add_f64 v[18:19], v[18:19], -v[25:26]
	global_store_b128 v[1:2], v[16:19], off
.LBB1167_5:
	s_or_b32 exec_lo, exec_lo, s1
	v_add_nc_u32_e32 v2, 16, v0
	s_delay_alu instid0(VALU_DEP_1) | instskip(NEXT) | instid1(VALU_DEP_1)
	v_cmp_le_i32_e64 s0, v2, v21
	s_and_b32 s1, vcc_lo, s0
	s_delay_alu instid0(SALU_CYCLE_1)
	s_and_saveexec_b32 s0, s1
	s_cbranch_execz .LBB1167_7
; %bb.6:
	v_ashrrev_i32_e32 v3, 31, v2
	s_delay_alu instid0(VALU_DEP_1) | instskip(NEXT) | instid1(VALU_DEP_1)
	v_lshlrev_b64 v[16:17], 4, v[2:3]
	v_add_co_u32 v23, vcc_lo, v20, v16
	s_delay_alu instid0(VALU_DEP_2)
	v_add_co_ci_u32_e32 v24, vcc_lo, v22, v17, vcc_lo
	global_load_b128 v[16:19], v[23:24], off
	s_waitcnt vmcnt(0)
	v_add_f64 v[14:15], v[14:15], -v[16:17]
	v_add_f64 v[16:17], v[12:13], -v[18:19]
	global_store_b128 v[23:24], v[14:17], off
.LBB1167_7:
	s_or_b32 exec_lo, exec_lo, s0
	v_add_nc_u32_e32 v3, 16, v21
	s_delay_alu instid0(VALU_DEP_1) | instskip(SKIP_3) | instid1(VALU_DEP_4)
	v_ashrrev_i32_e32 v1, 31, v3
	v_mul_lo_u32 v14, v3, s5
	v_mad_u64_u32 v[12:13], null, v3, s4, 0
	v_cmp_gt_i32_e32 vcc_lo, s2, v3
	v_mul_lo_u32 v1, v1, s4
	v_cmp_le_i32_e64 s0, v0, v3
	s_delay_alu instid0(VALU_DEP_1) | instskip(NEXT) | instid1(VALU_DEP_2)
	s_and_b32 s0, vcc_lo, s0
	v_add3_u32 v13, v13, v14, v1
	s_delay_alu instid0(VALU_DEP_1) | instskip(NEXT) | instid1(VALU_DEP_1)
	v_lshlrev_b64 v[12:13], 4, v[12:13]
	v_add_co_u32 v12, s1, s3, v12
	s_delay_alu instid0(VALU_DEP_1)
	v_add_co_ci_u32_e64 v13, s1, s6, v13, s1
	s_and_saveexec_b32 s1, s0
	s_cbranch_execz .LBB1167_9
; %bb.8:
	v_ashrrev_i32_e32 v1, 31, v0
	s_delay_alu instid0(VALU_DEP_1) | instskip(NEXT) | instid1(VALU_DEP_1)
	v_lshlrev_b64 v[0:1], 4, v[0:1]
	v_add_co_u32 v0, s0, v12, v0
	s_delay_alu instid0(VALU_DEP_1)
	v_add_co_ci_u32_e64 v1, s0, v13, v1, s0
	global_load_b128 v[14:17], v[0:1], off
	s_waitcnt vmcnt(0)
	v_add_f64 v[14:15], v[10:11], -v[14:15]
	v_add_f64 v[16:17], v[8:9], -v[16:17]
	global_store_b128 v[0:1], v[14:17], off
.LBB1167_9:
	s_or_b32 exec_lo, exec_lo, s1
	v_cmp_le_i32_e64 s0, v2, v3
	s_delay_alu instid0(VALU_DEP_1) | instskip(NEXT) | instid1(SALU_CYCLE_1)
	s_and_b32 s0, vcc_lo, s0
	s_and_saveexec_b32 s1, s0
	s_cbranch_execz .LBB1167_11
; %bb.10:
	v_ashrrev_i32_e32 v3, 31, v2
	s_delay_alu instid0(VALU_DEP_1) | instskip(NEXT) | instid1(VALU_DEP_1)
	v_lshlrev_b64 v[0:1], 4, v[2:3]
	v_add_co_u32 v8, vcc_lo, v12, v0
	s_delay_alu instid0(VALU_DEP_2)
	v_add_co_ci_u32_e32 v9, vcc_lo, v13, v1, vcc_lo
	global_load_b128 v[0:3], v[8:9], off
	s_waitcnt vmcnt(0)
	v_add_f64 v[0:1], v[6:7], -v[0:1]
	v_add_f64 v[2:3], v[4:5], -v[2:3]
	global_store_b128 v[8:9], v[0:3], off
.LBB1167_11:
	s_nop 0
	s_sendmsg sendmsg(MSG_DEALLOC_VGPRS)
	s_endpgm
	.section	.rodata,"a",@progbits
	.p2align	6, 0x0
	.amdhsa_kernel _ZL37rocblas_syrkx_herkx_restricted_kernelIl19rocblas_complex_numIdELi16ELi32ELi8ELi1ELin1ELb0ELc67ELc85EKS1_S1_EviT_PT9_S3_lS5_S3_lPT10_S3_li
		.amdhsa_group_segment_fixed_size 8192
		.amdhsa_private_segment_fixed_size 0
		.amdhsa_kernarg_size 92
		.amdhsa_user_sgpr_count 13
		.amdhsa_user_sgpr_dispatch_ptr 0
		.amdhsa_user_sgpr_queue_ptr 0
		.amdhsa_user_sgpr_kernarg_segment_ptr 1
		.amdhsa_user_sgpr_dispatch_id 0
		.amdhsa_user_sgpr_private_segment_size 0
		.amdhsa_wavefront_size32 1
		.amdhsa_uses_dynamic_stack 0
		.amdhsa_enable_private_segment 0
		.amdhsa_system_sgpr_workgroup_id_x 1
		.amdhsa_system_sgpr_workgroup_id_y 1
		.amdhsa_system_sgpr_workgroup_id_z 1
		.amdhsa_system_sgpr_workgroup_info 0
		.amdhsa_system_vgpr_workitem_id 1
		.amdhsa_next_free_vgpr 118
		.amdhsa_next_free_sgpr 32
		.amdhsa_reserve_vcc 1
		.amdhsa_float_round_mode_32 0
		.amdhsa_float_round_mode_16_64 0
		.amdhsa_float_denorm_mode_32 3
		.amdhsa_float_denorm_mode_16_64 3
		.amdhsa_dx10_clamp 1
		.amdhsa_ieee_mode 1
		.amdhsa_fp16_overflow 0
		.amdhsa_workgroup_processor_mode 1
		.amdhsa_memory_ordered 1
		.amdhsa_forward_progress 0
		.amdhsa_shared_vgpr_count 0
		.amdhsa_exception_fp_ieee_invalid_op 0
		.amdhsa_exception_fp_denorm_src 0
		.amdhsa_exception_fp_ieee_div_zero 0
		.amdhsa_exception_fp_ieee_overflow 0
		.amdhsa_exception_fp_ieee_underflow 0
		.amdhsa_exception_fp_ieee_inexact 0
		.amdhsa_exception_int_div_zero 0
	.end_amdhsa_kernel
	.section	.text._ZL37rocblas_syrkx_herkx_restricted_kernelIl19rocblas_complex_numIdELi16ELi32ELi8ELi1ELin1ELb0ELc67ELc85EKS1_S1_EviT_PT9_S3_lS5_S3_lPT10_S3_li,"axG",@progbits,_ZL37rocblas_syrkx_herkx_restricted_kernelIl19rocblas_complex_numIdELi16ELi32ELi8ELi1ELin1ELb0ELc67ELc85EKS1_S1_EviT_PT9_S3_lS5_S3_lPT10_S3_li,comdat
.Lfunc_end1167:
	.size	_ZL37rocblas_syrkx_herkx_restricted_kernelIl19rocblas_complex_numIdELi16ELi32ELi8ELi1ELin1ELb0ELc67ELc85EKS1_S1_EviT_PT9_S3_lS5_S3_lPT10_S3_li, .Lfunc_end1167-_ZL37rocblas_syrkx_herkx_restricted_kernelIl19rocblas_complex_numIdELi16ELi32ELi8ELi1ELin1ELb0ELc67ELc85EKS1_S1_EviT_PT9_S3_lS5_S3_lPT10_S3_li
                                        ; -- End function
	.section	.AMDGPU.csdata,"",@progbits
; Kernel info:
; codeLenInByte = 3088
; NumSgprs: 34
; NumVgprs: 118
; ScratchSize: 0
; MemoryBound: 0
; FloatMode: 240
; IeeeMode: 1
; LDSByteSize: 8192 bytes/workgroup (compile time only)
; SGPRBlocks: 4
; VGPRBlocks: 14
; NumSGPRsForWavesPerEU: 34
; NumVGPRsForWavesPerEU: 118
; Occupancy: 12
; WaveLimiterHint : 1
; COMPUTE_PGM_RSRC2:SCRATCH_EN: 0
; COMPUTE_PGM_RSRC2:USER_SGPR: 13
; COMPUTE_PGM_RSRC2:TRAP_HANDLER: 0
; COMPUTE_PGM_RSRC2:TGID_X_EN: 1
; COMPUTE_PGM_RSRC2:TGID_Y_EN: 1
; COMPUTE_PGM_RSRC2:TGID_Z_EN: 1
; COMPUTE_PGM_RSRC2:TIDIG_COMP_CNT: 1
	.section	.text._ZL37rocblas_syrkx_herkx_restricted_kernelIl19rocblas_complex_numIdELi16ELi32ELi8ELi1ELin1ELb0ELc78ELc85EKS1_S1_EviT_PT9_S3_lS5_S3_lPT10_S3_li,"axG",@progbits,_ZL37rocblas_syrkx_herkx_restricted_kernelIl19rocblas_complex_numIdELi16ELi32ELi8ELi1ELin1ELb0ELc78ELc85EKS1_S1_EviT_PT9_S3_lS5_S3_lPT10_S3_li,comdat
	.globl	_ZL37rocblas_syrkx_herkx_restricted_kernelIl19rocblas_complex_numIdELi16ELi32ELi8ELi1ELin1ELb0ELc78ELc85EKS1_S1_EviT_PT9_S3_lS5_S3_lPT10_S3_li ; -- Begin function _ZL37rocblas_syrkx_herkx_restricted_kernelIl19rocblas_complex_numIdELi16ELi32ELi8ELi1ELin1ELb0ELc78ELc85EKS1_S1_EviT_PT9_S3_lS5_S3_lPT10_S3_li
	.p2align	8
	.type	_ZL37rocblas_syrkx_herkx_restricted_kernelIl19rocblas_complex_numIdELi16ELi32ELi8ELi1ELin1ELb0ELc78ELc85EKS1_S1_EviT_PT9_S3_lS5_S3_lPT10_S3_li,@function
_ZL37rocblas_syrkx_herkx_restricted_kernelIl19rocblas_complex_numIdELi16ELi32ELi8ELi1ELin1ELb0ELc78ELc85EKS1_S1_EviT_PT9_S3_lS5_S3_lPT10_S3_li: ; @_ZL37rocblas_syrkx_herkx_restricted_kernelIl19rocblas_complex_numIdELi16ELi32ELi8ELi1ELin1ELb0ELc78ELc85EKS1_S1_EviT_PT9_S3_lS5_S3_lPT10_S3_li
; %bb.0:
	s_load_b512 s[16:31], s[0:1], 0x8
	v_mov_b32_e32 v16, 0
	v_dual_mov_b32 v17, 0 :: v_dual_and_b32 v20, 0x3ff, v0
	v_bfe_u32 v21, v0, 10, 10
	s_delay_alu instid0(VALU_DEP_3) | instskip(NEXT) | instid1(VALU_DEP_3)
	v_mov_b32_e32 v14, v16
	v_dual_mov_b32 v12, v16 :: v_dual_mov_b32 v13, v17
	v_dual_mov_b32 v19, v17 :: v_dual_mov_b32 v18, v16
	;; [unrolled: 1-line block ×6, first 2 shown]
	v_mov_b32_e32 v5, v17
	s_lshl_b32 s8, s13, 5
	s_waitcnt lgkmcnt(0)
	v_cmp_lt_i64_e64 s2, s[16:17], 1
	s_lshl_b32 s9, s14, 5
	s_delay_alu instid0(VALU_DEP_1)
	s_and_b32 vcc_lo, exec_lo, s2
	s_cbranch_vccnz .LBB1168_3
; %bb.1:
	v_lshl_add_u32 v1, v21, 4, v20
	v_and_b32_e32 v10, 7, v20
	s_mul_i32 s3, s23, s15
	s_mul_hi_u32 s5, s22, s15
	s_mul_i32 s2, s22, s15
	v_dual_mov_b32 v4, 0 :: v_dual_and_b32 v9, 31, v1
	v_lshrrev_b32_e32 v11, 3, v1
	v_mov_b32_e32 v5, 0
	v_lshrrev_b32_e32 v12, 5, v1
	s_delay_alu instid0(VALU_DEP_4)
	v_add_nc_u32_e32 v0, s8, v9
	s_add_i32 s3, s5, s3
	v_add_nc_u32_e32 v2, s9, v11
	s_lshl_b64 s[2:3], s[2:3], 4
	s_mul_i32 s6, s29, s15
	v_ashrrev_i32_e32 v1, 31, v0
	s_mul_hi_u32 s7, s28, s15
	v_ashrrev_i32_e32 v3, 31, v2
	s_add_u32 s10, s18, s2
	s_mul_i32 s4, s28, s15
	v_mad_u64_u32 v[6:7], null, v12, s20, v[0:1]
	s_delay_alu instid0(VALU_DEP_2) | instskip(SKIP_4) | instid1(VALU_DEP_2)
	v_mad_u64_u32 v[0:1], null, v10, s26, v[2:3]
	s_addc_u32 s11, s19, s3
	s_add_i32 s5, s7, s6
	s_lshl_b64 s[2:3], s[20:21], 7
	s_lshl_b64 s[4:5], s[4:5], 4
	v_dual_mov_b32 v2, v7 :: v_dual_lshlrev_b32 v13, 4, v10
	s_add_u32 s4, s24, s4
	s_addc_u32 s5, s25, s5
	v_lshl_add_u32 v23, v21, 7, 0x1000
	s_delay_alu instid0(VALU_DEP_2)
	v_mad_u64_u32 v[7:8], null, v12, s21, v[2:3]
	v_mad_u64_u32 v[2:3], null, v10, s27, v[1:2]
	v_lshlrev_b32_e32 v22, 4, v20
	v_lshlrev_b32_e32 v8, 4, v9
	v_lshl_or_b32 v9, v11, 7, v13
	v_dual_mov_b32 v11, v5 :: v_dual_mov_b32 v10, v4
	v_mov_b32_e32 v15, v5
	v_mov_b32_e32 v1, v2
	v_lshlrev_b64 v[2:3], 4, v[6:7]
	v_lshl_or_b32 v24, v12, 9, v8
	v_add_nc_u32_e32 v25, 0x1000, v9
	v_mov_b32_e32 v9, v5
	v_lshlrev_b64 v[0:1], 4, v[0:1]
	v_dual_mov_b32 v8, v4 :: v_dual_mov_b32 v13, v5
	v_add_co_u32 v2, vcc_lo, s10, v2
	v_add_co_ci_u32_e32 v3, vcc_lo, s11, v3, vcc_lo
	s_delay_alu instid0(VALU_DEP_4) | instskip(SKIP_1) | instid1(VALU_DEP_4)
	v_add_co_u32 v6, vcc_lo, s4, v0
	v_add_co_ci_u32_e32 v7, vcc_lo, s5, v1, vcc_lo
	v_add_co_u32 v0, vcc_lo, v2, 8
	s_delay_alu instid0(VALU_DEP_4) | instskip(NEXT) | instid1(VALU_DEP_4)
	v_add_co_ci_u32_e32 v1, vcc_lo, 0, v3, vcc_lo
	v_add_co_u32 v2, vcc_lo, v6, 8
	s_delay_alu instid0(VALU_DEP_4)
	v_add_co_ci_u32_e32 v3, vcc_lo, 0, v7, vcc_lo
	v_dual_mov_b32 v7, v5 :: v_dual_mov_b32 v12, v4
	v_dual_mov_b32 v19, v5 :: v_dual_mov_b32 v14, v4
	;; [unrolled: 1-line block ×3, first 2 shown]
	v_mov_b32_e32 v18, v4
	v_mov_b32_e32 v16, v4
	s_lshl_b64 s[4:5], s[26:27], 7
	s_mov_b64 s[6:7], 0
.LBB1168_2:                             ; =>This Inner Loop Header: Depth=1
	global_load_b128 v[26:29], v[0:1], off offset:-8
	global_load_b128 v[30:33], v[2:3], off offset:-8
	s_add_u32 s6, s6, 8
	v_add_co_u32 v0, vcc_lo, v0, s2
	s_addc_u32 s7, s7, 0
	v_add_co_ci_u32_e32 v1, vcc_lo, s3, v1, vcc_lo
	v_cmp_ge_u64_e64 s10, s[6:7], s[16:17]
	v_add_co_u32 v2, vcc_lo, v2, s4
	v_add_co_ci_u32_e32 v3, vcc_lo, s5, v3, vcc_lo
	s_waitcnt vmcnt(1)
	ds_store_b128 v24, v[26:29]
	s_waitcnt vmcnt(0)
	ds_store_b128 v25, v[30:33]
	s_waitcnt lgkmcnt(0)
	s_barrier
	buffer_gl0_inv
	ds_load_b128 v[26:29], v23
	ds_load_b128 v[30:33], v22
	ds_load_b128 v[34:37], v22 offset:256
	ds_load_b128 v[38:41], v23 offset:2048
	;; [unrolled: 1-line block ×13, first 2 shown]
	s_and_b32 vcc_lo, exec_lo, s10
	s_waitcnt lgkmcnt(13)
	v_mul_f64 v[86:87], v[28:29], v[32:33]
	v_mul_f64 v[88:89], v[26:27], v[32:33]
	s_waitcnt lgkmcnt(12)
	v_mul_f64 v[90:91], v[28:29], v[36:37]
	v_mul_f64 v[92:93], v[26:27], v[36:37]
	;; [unrolled: 3-line block ×3, first 2 shown]
	v_mul_f64 v[96:97], v[40:41], v[36:37]
	v_mul_f64 v[36:37], v[38:39], v[36:37]
	s_waitcnt lgkmcnt(8)
	v_mul_f64 v[98:99], v[44:45], v[52:53]
	v_mul_f64 v[100:101], v[42:43], v[52:53]
	s_waitcnt lgkmcnt(7)
	v_mul_f64 v[102:103], v[44:45], v[56:57]
	v_mul_f64 v[104:105], v[42:43], v[56:57]
	v_mul_f64 v[106:107], v[48:49], v[52:53]
	v_mul_f64 v[52:53], v[46:47], v[52:53]
	v_mul_f64 v[108:109], v[48:49], v[56:57]
	v_mul_f64 v[56:57], v[46:47], v[56:57]
	s_waitcnt lgkmcnt(3)
	v_mul_f64 v[112:113], v[58:59], v[72:73]
	s_waitcnt lgkmcnt(2)
	v_mul_f64 v[114:115], v[76:77], v[68:69]
	v_mul_f64 v[116:117], v[76:77], v[72:73]
	v_fma_f64 v[86:87], v[26:27], v[30:31], -v[86:87]
	v_fma_f64 v[88:89], v[28:29], v[30:31], v[88:89]
	v_fma_f64 v[90:91], v[26:27], v[34:35], -v[90:91]
	v_fma_f64 v[92:93], v[28:29], v[34:35], v[92:93]
	;; [unrolled: 2-line block ×4, first 2 shown]
	v_mul_f64 v[36:37], v[60:61], v[68:69]
	v_mul_f64 v[40:41], v[58:59], v[68:69]
	;; [unrolled: 1-line block ×5, first 2 shown]
	v_fma_f64 v[98:99], v[42:43], v[50:51], -v[98:99]
	v_fma_f64 v[100:101], v[44:45], v[50:51], v[100:101]
	v_fma_f64 v[42:43], v[42:43], v[54:55], -v[102:103]
	v_fma_f64 v[44:45], v[44:45], v[54:55], v[104:105]
	;; [unrolled: 2-line block ×4, first 2 shown]
	ds_load_b128 v[26:29], v22 offset:1792
	ds_load_b128 v[30:33], v22 offset:2048
	s_waitcnt lgkmcnt(2)
	v_mul_f64 v[56:57], v[64:65], v[84:85]
	v_add_f64 v[16:17], v[16:17], v[86:87]
	v_add_f64 v[18:19], v[18:19], v[88:89]
	;; [unrolled: 1-line block ×8, first 2 shown]
	v_mul_f64 v[86:87], v[62:63], v[84:85]
	s_waitcnt lgkmcnt(1)
	v_mul_f64 v[88:89], v[64:65], v[28:29]
	v_mul_f64 v[90:91], v[62:63], v[28:29]
	;; [unrolled: 1-line block ×6, first 2 shown]
	v_fma_f64 v[104:105], v[58:59], v[66:67], -v[36:37]
	v_fma_f64 v[106:107], v[60:61], v[66:67], v[40:41]
	v_fma_f64 v[58:59], v[58:59], v[70:71], -v[96:97]
	v_fma_f64 v[60:61], v[60:61], v[70:71], v[112:113]
	v_fma_f64 v[96:97], v[74:75], v[66:67], -v[114:115]
	v_fma_f64 v[66:67], v[76:77], v[66:67], v[68:69]
	v_fma_f64 v[68:69], v[74:75], v[70:71], -v[116:117]
	v_fma_f64 v[70:71], v[76:77], v[70:71], v[72:73]
	ds_load_b128 v[4:7], v22 offset:2304
	ds_load_b128 v[8:11], v23 offset:64
	v_fma_f64 v[56:57], v[62:63], v[82:83], -v[56:57]
	v_add_f64 v[72:73], v[16:17], v[98:99]
	v_add_f64 v[74:75], v[18:19], v[100:101]
	;; [unrolled: 1-line block ×8, first 2 shown]
	ds_load_b128 v[12:15], v23 offset:2112
	ds_load_b128 v[16:19], v23 offset:80
	;; [unrolled: 1-line block ×4, first 2 shown]
	s_waitcnt lgkmcnt(4)
	v_mul_f64 v[54:55], v[10:11], v[32:33]
	v_mul_f64 v[76:77], v[8:9], v[32:33]
	;; [unrolled: 1-line block ×4, first 2 shown]
	v_fma_f64 v[86:87], v[64:65], v[82:83], v[86:87]
	v_fma_f64 v[62:63], v[62:63], v[26:27], -v[88:89]
	v_fma_f64 v[64:65], v[64:65], v[26:27], v[90:91]
	v_fma_f64 v[88:89], v[78:79], v[82:83], -v[92:93]
	;; [unrolled: 2-line block ×3, first 2 shown]
	v_fma_f64 v[80:81], v[80:81], v[26:27], v[28:29]
	s_waitcnt lgkmcnt(3)
	v_mul_f64 v[102:103], v[14:15], v[32:33]
	v_mul_f64 v[32:33], v[12:13], v[32:33]
	;; [unrolled: 1-line block ×4, first 2 shown]
	s_waitcnt lgkmcnt(0)
	v_mul_f64 v[90:91], v[18:19], v[40:41]
	v_mul_f64 v[92:93], v[16:17], v[40:41]
	v_add_f64 v[72:73], v[72:73], v[104:105]
	v_add_f64 v[74:75], v[74:75], v[106:107]
	;; [unrolled: 1-line block ×8, first 2 shown]
	ds_load_b128 v[26:29], v22 offset:2816
	ds_load_b128 v[42:45], v22 offset:3072
	;; [unrolled: 1-line block ×4, first 2 shown]
	v_mul_f64 v[104:105], v[36:37], v[40:41]
	v_mul_f64 v[40:41], v[34:35], v[40:41]
	v_fma_f64 v[54:55], v[8:9], v[30:31], -v[54:55]
	v_fma_f64 v[76:77], v[10:11], v[30:31], v[76:77]
	v_fma_f64 v[98:99], v[8:9], v[4:5], -v[98:99]
	v_fma_f64 v[100:101], v[10:11], v[4:5], v[100:101]
	s_waitcnt lgkmcnt(3)
	v_mul_f64 v[94:95], v[18:19], v[28:29]
	v_mul_f64 v[96:97], v[16:17], v[28:29]
	;; [unrolled: 1-line block ×4, first 2 shown]
	v_fma_f64 v[102:103], v[12:13], v[30:31], -v[102:103]
	v_fma_f64 v[32:33], v[14:15], v[30:31], v[32:33]
	v_fma_f64 v[108:109], v[12:13], v[4:5], -v[108:109]
	v_fma_f64 v[112:113], v[14:15], v[4:5], v[6:7]
	ds_load_b128 v[4:7], v23 offset:2144
	ds_load_b128 v[8:11], v23 offset:112
	;; [unrolled: 1-line block ×4, first 2 shown]
	v_add_f64 v[56:57], v[72:73], v[56:57]
	v_add_f64 v[72:73], v[74:75], v[86:87]
	;; [unrolled: 1-line block ×8, first 2 shown]
	s_waitcnt lgkmcnt(4)
	v_mul_f64 v[70:71], v[52:53], v[44:45]
	v_mul_f64 v[74:75], v[50:51], v[44:45]
	;; [unrolled: 1-line block ×4, first 2 shown]
	s_waitcnt lgkmcnt(3)
	v_mul_f64 v[82:83], v[6:7], v[44:45]
	v_mul_f64 v[44:45], v[4:5], v[44:45]
	;; [unrolled: 1-line block ×4, first 2 shown]
	v_fma_f64 v[86:87], v[16:17], v[38:39], -v[90:91]
	v_fma_f64 v[88:89], v[18:19], v[38:39], v[92:93]
	v_fma_f64 v[90:91], v[16:17], v[26:27], -v[94:95]
	v_fma_f64 v[92:93], v[18:19], v[26:27], v[96:97]
	;; [unrolled: 2-line block ×4, first 2 shown]
	ds_load_b128 v[16:19], v22 offset:3840
	s_waitcnt lgkmcnt(0)
	s_barrier
	buffer_gl0_inv
	v_add_f64 v[36:37], v[56:57], v[54:55]
	v_add_f64 v[40:41], v[72:73], v[76:77]
	v_add_f64 v[54:55], v[58:59], v[98:99]
	v_add_f64 v[56:57], v[60:61], v[100:101]
	v_add_f64 v[58:59], v[62:63], v[102:103]
	v_add_f64 v[32:33], v[64:65], v[32:33]
	v_add_f64 v[60:61], v[66:67], v[108:109]
	v_add_f64 v[62:63], v[68:69], v[112:113]
	v_mul_f64 v[64:65], v[10:11], v[30:31]
	v_mul_f64 v[66:67], v[8:9], v[30:31]
	;; [unrolled: 1-line block ×4, first 2 shown]
	v_fma_f64 v[70:71], v[50:51], v[42:43], -v[70:71]
	v_mul_f64 v[68:69], v[10:11], v[18:19]
	v_mul_f64 v[72:73], v[8:9], v[18:19]
	;; [unrolled: 1-line block ×4, first 2 shown]
	v_fma_f64 v[74:75], v[52:53], v[42:43], v[74:75]
	v_fma_f64 v[50:51], v[50:51], v[46:47], -v[78:79]
	v_fma_f64 v[52:53], v[52:53], v[46:47], v[80:81]
	v_fma_f64 v[78:79], v[4:5], v[42:43], -v[82:83]
	;; [unrolled: 2-line block ×3, first 2 shown]
	v_fma_f64 v[6:7], v[6:7], v[46:47], v[48:49]
	v_add_f64 v[36:37], v[36:37], v[86:87]
	v_add_f64 v[40:41], v[40:41], v[88:89]
	v_add_f64 v[44:45], v[54:55], v[90:91]
	v_add_f64 v[46:47], v[56:57], v[92:93]
	v_add_f64 v[48:49], v[58:59], v[94:95]
	v_add_f64 v[32:33], v[32:33], v[38:39]
	v_add_f64 v[34:35], v[60:61], v[34:35]
	v_add_f64 v[26:27], v[62:63], v[26:27]
	v_fma_f64 v[38:39], v[8:9], v[28:29], -v[64:65]
	v_fma_f64 v[54:55], v[10:11], v[28:29], v[66:67]
	v_fma_f64 v[56:57], v[12:13], v[28:29], -v[76:77]
	v_fma_f64 v[28:29], v[14:15], v[28:29], v[30:31]
	;; [unrolled: 2-line block ×4, first 2 shown]
	v_add_f64 v[12:13], v[36:37], v[70:71]
	v_add_f64 v[14:15], v[40:41], v[74:75]
	;; [unrolled: 1-line block ×16, first 2 shown]
	s_cbranch_vccz .LBB1168_2
.LBB1168_3:
	s_clause 0x1
	s_load_b128 s[4:7], s[0:1], 0x48
	s_load_b32 s2, s[0:1], 0x0
	v_add_nc_u32_e32 v21, s9, v21
	s_delay_alu instid0(VALU_DEP_1) | instskip(SKIP_1) | instid1(VALU_DEP_1)
	v_ashrrev_i32_e32 v0, 31, v21
	s_waitcnt lgkmcnt(0)
	v_mul_lo_u32 v3, v0, s4
	v_mul_lo_u32 v22, v21, s5
	v_mad_u64_u32 v[1:2], null, v21, s4, 0
	s_mul_i32 s1, s15, s7
	s_mul_hi_u32 s3, s15, s6
	s_mul_i32 s6, s15, s6
	s_add_i32 s7, s3, s1
	v_add_nc_u32_e32 v0, s8, v20
	s_lshl_b64 s[6:7], s[6:7], 4
	s_delay_alu instid0(VALU_DEP_2)
	v_add3_u32 v2, v2, v22, v3
	s_add_u32 s3, s30, s6
	v_cmp_gt_i32_e32 vcc_lo, s2, v21
	v_cmp_le_i32_e64 s0, v0, v21
	s_addc_u32 s6, s31, s7
	v_lshlrev_b64 v[1:2], 4, v[1:2]
	s_delay_alu instid0(VALU_DEP_2) | instskip(NEXT) | instid1(VALU_DEP_1)
	s_and_b32 s0, vcc_lo, s0
	v_add_co_u32 v20, s1, s3, v1
	s_delay_alu instid0(VALU_DEP_1)
	v_add_co_ci_u32_e64 v22, s1, s6, v2, s1
	s_and_saveexec_b32 s1, s0
	s_cbranch_execz .LBB1168_5
; %bb.4:
	v_ashrrev_i32_e32 v1, 31, v0
	s_delay_alu instid0(VALU_DEP_1) | instskip(NEXT) | instid1(VALU_DEP_1)
	v_lshlrev_b64 v[1:2], 4, v[0:1]
	v_add_co_u32 v1, s0, v20, v1
	s_delay_alu instid0(VALU_DEP_1)
	v_add_co_ci_u32_e64 v2, s0, v22, v2, s0
	global_load_b128 v[23:26], v[1:2], off
	s_waitcnt vmcnt(0)
	v_add_f64 v[16:17], v[16:17], -v[23:24]
	v_add_f64 v[18:19], v[18:19], -v[25:26]
	global_store_b128 v[1:2], v[16:19], off
.LBB1168_5:
	s_or_b32 exec_lo, exec_lo, s1
	v_add_nc_u32_e32 v2, 16, v0
	s_delay_alu instid0(VALU_DEP_1) | instskip(NEXT) | instid1(VALU_DEP_1)
	v_cmp_le_i32_e64 s0, v2, v21
	s_and_b32 s1, vcc_lo, s0
	s_delay_alu instid0(SALU_CYCLE_1)
	s_and_saveexec_b32 s0, s1
	s_cbranch_execz .LBB1168_7
; %bb.6:
	v_ashrrev_i32_e32 v3, 31, v2
	s_delay_alu instid0(VALU_DEP_1) | instskip(NEXT) | instid1(VALU_DEP_1)
	v_lshlrev_b64 v[16:17], 4, v[2:3]
	v_add_co_u32 v23, vcc_lo, v20, v16
	s_delay_alu instid0(VALU_DEP_2)
	v_add_co_ci_u32_e32 v24, vcc_lo, v22, v17, vcc_lo
	global_load_b128 v[16:19], v[23:24], off
	s_waitcnt vmcnt(0)
	v_add_f64 v[14:15], v[14:15], -v[16:17]
	v_add_f64 v[16:17], v[12:13], -v[18:19]
	global_store_b128 v[23:24], v[14:17], off
.LBB1168_7:
	s_or_b32 exec_lo, exec_lo, s0
	v_add_nc_u32_e32 v3, 16, v21
	s_delay_alu instid0(VALU_DEP_1) | instskip(SKIP_3) | instid1(VALU_DEP_4)
	v_ashrrev_i32_e32 v1, 31, v3
	v_mul_lo_u32 v14, v3, s5
	v_mad_u64_u32 v[12:13], null, v3, s4, 0
	v_cmp_gt_i32_e32 vcc_lo, s2, v3
	v_mul_lo_u32 v1, v1, s4
	v_cmp_le_i32_e64 s0, v0, v3
	s_delay_alu instid0(VALU_DEP_1) | instskip(NEXT) | instid1(VALU_DEP_2)
	s_and_b32 s0, vcc_lo, s0
	v_add3_u32 v13, v13, v14, v1
	s_delay_alu instid0(VALU_DEP_1) | instskip(NEXT) | instid1(VALU_DEP_1)
	v_lshlrev_b64 v[12:13], 4, v[12:13]
	v_add_co_u32 v12, s1, s3, v12
	s_delay_alu instid0(VALU_DEP_1)
	v_add_co_ci_u32_e64 v13, s1, s6, v13, s1
	s_and_saveexec_b32 s1, s0
	s_cbranch_execz .LBB1168_9
; %bb.8:
	v_ashrrev_i32_e32 v1, 31, v0
	s_delay_alu instid0(VALU_DEP_1) | instskip(NEXT) | instid1(VALU_DEP_1)
	v_lshlrev_b64 v[0:1], 4, v[0:1]
	v_add_co_u32 v0, s0, v12, v0
	s_delay_alu instid0(VALU_DEP_1)
	v_add_co_ci_u32_e64 v1, s0, v13, v1, s0
	global_load_b128 v[14:17], v[0:1], off
	s_waitcnt vmcnt(0)
	v_add_f64 v[14:15], v[10:11], -v[14:15]
	v_add_f64 v[16:17], v[8:9], -v[16:17]
	global_store_b128 v[0:1], v[14:17], off
.LBB1168_9:
	s_or_b32 exec_lo, exec_lo, s1
	v_cmp_le_i32_e64 s0, v2, v3
	s_delay_alu instid0(VALU_DEP_1) | instskip(NEXT) | instid1(SALU_CYCLE_1)
	s_and_b32 s0, vcc_lo, s0
	s_and_saveexec_b32 s1, s0
	s_cbranch_execz .LBB1168_11
; %bb.10:
	v_ashrrev_i32_e32 v3, 31, v2
	s_delay_alu instid0(VALU_DEP_1) | instskip(NEXT) | instid1(VALU_DEP_1)
	v_lshlrev_b64 v[0:1], 4, v[2:3]
	v_add_co_u32 v8, vcc_lo, v12, v0
	s_delay_alu instid0(VALU_DEP_2)
	v_add_co_ci_u32_e32 v9, vcc_lo, v13, v1, vcc_lo
	global_load_b128 v[0:3], v[8:9], off
	s_waitcnt vmcnt(0)
	v_add_f64 v[0:1], v[6:7], -v[0:1]
	v_add_f64 v[2:3], v[4:5], -v[2:3]
	global_store_b128 v[8:9], v[0:3], off
.LBB1168_11:
	s_nop 0
	s_sendmsg sendmsg(MSG_DEALLOC_VGPRS)
	s_endpgm
	.section	.rodata,"a",@progbits
	.p2align	6, 0x0
	.amdhsa_kernel _ZL37rocblas_syrkx_herkx_restricted_kernelIl19rocblas_complex_numIdELi16ELi32ELi8ELi1ELin1ELb0ELc78ELc85EKS1_S1_EviT_PT9_S3_lS5_S3_lPT10_S3_li
		.amdhsa_group_segment_fixed_size 8192
		.amdhsa_private_segment_fixed_size 0
		.amdhsa_kernarg_size 92
		.amdhsa_user_sgpr_count 13
		.amdhsa_user_sgpr_dispatch_ptr 0
		.amdhsa_user_sgpr_queue_ptr 0
		.amdhsa_user_sgpr_kernarg_segment_ptr 1
		.amdhsa_user_sgpr_dispatch_id 0
		.amdhsa_user_sgpr_private_segment_size 0
		.amdhsa_wavefront_size32 1
		.amdhsa_uses_dynamic_stack 0
		.amdhsa_enable_private_segment 0
		.amdhsa_system_sgpr_workgroup_id_x 1
		.amdhsa_system_sgpr_workgroup_id_y 1
		.amdhsa_system_sgpr_workgroup_id_z 1
		.amdhsa_system_sgpr_workgroup_info 0
		.amdhsa_system_vgpr_workitem_id 1
		.amdhsa_next_free_vgpr 118
		.amdhsa_next_free_sgpr 32
		.amdhsa_reserve_vcc 1
		.amdhsa_float_round_mode_32 0
		.amdhsa_float_round_mode_16_64 0
		.amdhsa_float_denorm_mode_32 3
		.amdhsa_float_denorm_mode_16_64 3
		.amdhsa_dx10_clamp 1
		.amdhsa_ieee_mode 1
		.amdhsa_fp16_overflow 0
		.amdhsa_workgroup_processor_mode 1
		.amdhsa_memory_ordered 1
		.amdhsa_forward_progress 0
		.amdhsa_shared_vgpr_count 0
		.amdhsa_exception_fp_ieee_invalid_op 0
		.amdhsa_exception_fp_denorm_src 0
		.amdhsa_exception_fp_ieee_div_zero 0
		.amdhsa_exception_fp_ieee_overflow 0
		.amdhsa_exception_fp_ieee_underflow 0
		.amdhsa_exception_fp_ieee_inexact 0
		.amdhsa_exception_int_div_zero 0
	.end_amdhsa_kernel
	.section	.text._ZL37rocblas_syrkx_herkx_restricted_kernelIl19rocblas_complex_numIdELi16ELi32ELi8ELi1ELin1ELb0ELc78ELc85EKS1_S1_EviT_PT9_S3_lS5_S3_lPT10_S3_li,"axG",@progbits,_ZL37rocblas_syrkx_herkx_restricted_kernelIl19rocblas_complex_numIdELi16ELi32ELi8ELi1ELin1ELb0ELc78ELc85EKS1_S1_EviT_PT9_S3_lS5_S3_lPT10_S3_li,comdat
.Lfunc_end1168:
	.size	_ZL37rocblas_syrkx_herkx_restricted_kernelIl19rocblas_complex_numIdELi16ELi32ELi8ELi1ELin1ELb0ELc78ELc85EKS1_S1_EviT_PT9_S3_lS5_S3_lPT10_S3_li, .Lfunc_end1168-_ZL37rocblas_syrkx_herkx_restricted_kernelIl19rocblas_complex_numIdELi16ELi32ELi8ELi1ELin1ELb0ELc78ELc85EKS1_S1_EviT_PT9_S3_lS5_S3_lPT10_S3_li
                                        ; -- End function
	.section	.AMDGPU.csdata,"",@progbits
; Kernel info:
; codeLenInByte = 3068
; NumSgprs: 34
; NumVgprs: 118
; ScratchSize: 0
; MemoryBound: 0
; FloatMode: 240
; IeeeMode: 1
; LDSByteSize: 8192 bytes/workgroup (compile time only)
; SGPRBlocks: 4
; VGPRBlocks: 14
; NumSGPRsForWavesPerEU: 34
; NumVGPRsForWavesPerEU: 118
; Occupancy: 12
; WaveLimiterHint : 1
; COMPUTE_PGM_RSRC2:SCRATCH_EN: 0
; COMPUTE_PGM_RSRC2:USER_SGPR: 13
; COMPUTE_PGM_RSRC2:TRAP_HANDLER: 0
; COMPUTE_PGM_RSRC2:TGID_X_EN: 1
; COMPUTE_PGM_RSRC2:TGID_Y_EN: 1
; COMPUTE_PGM_RSRC2:TGID_Z_EN: 1
; COMPUTE_PGM_RSRC2:TIDIG_COMP_CNT: 1
	.section	.text._ZL37rocblas_syrkx_herkx_restricted_kernelIl19rocblas_complex_numIdELi16ELi32ELi8ELi1ELi0ELb0ELc84ELc76EKS1_S1_EviT_PT9_S3_lS5_S3_lPT10_S3_li,"axG",@progbits,_ZL37rocblas_syrkx_herkx_restricted_kernelIl19rocblas_complex_numIdELi16ELi32ELi8ELi1ELi0ELb0ELc84ELc76EKS1_S1_EviT_PT9_S3_lS5_S3_lPT10_S3_li,comdat
	.globl	_ZL37rocblas_syrkx_herkx_restricted_kernelIl19rocblas_complex_numIdELi16ELi32ELi8ELi1ELi0ELb0ELc84ELc76EKS1_S1_EviT_PT9_S3_lS5_S3_lPT10_S3_li ; -- Begin function _ZL37rocblas_syrkx_herkx_restricted_kernelIl19rocblas_complex_numIdELi16ELi32ELi8ELi1ELi0ELb0ELc84ELc76EKS1_S1_EviT_PT9_S3_lS5_S3_lPT10_S3_li
	.p2align	8
	.type	_ZL37rocblas_syrkx_herkx_restricted_kernelIl19rocblas_complex_numIdELi16ELi32ELi8ELi1ELi0ELb0ELc84ELc76EKS1_S1_EviT_PT9_S3_lS5_S3_lPT10_S3_li,@function
_ZL37rocblas_syrkx_herkx_restricted_kernelIl19rocblas_complex_numIdELi16ELi32ELi8ELi1ELi0ELb0ELc84ELc76EKS1_S1_EviT_PT9_S3_lS5_S3_lPT10_S3_li: ; @_ZL37rocblas_syrkx_herkx_restricted_kernelIl19rocblas_complex_numIdELi16ELi32ELi8ELi1ELi0ELb0ELc84ELc76EKS1_S1_EviT_PT9_S3_lS5_S3_lPT10_S3_li
; %bb.0:
	s_load_b512 s[16:31], s[0:1], 0x8
	v_mov_b32_e32 v12, 0
	v_dual_mov_b32 v13, 0 :: v_dual_and_b32 v20, 0x3ff, v0
	v_bfe_u32 v21, v0, 10, 10
	s_delay_alu instid0(VALU_DEP_3) | instskip(NEXT) | instid1(VALU_DEP_3)
	v_mov_b32_e32 v8, v12
	v_dual_mov_b32 v10, v12 :: v_dual_mov_b32 v11, v13
	v_dual_mov_b32 v15, v13 :: v_dual_mov_b32 v14, v12
	;; [unrolled: 1-line block ×6, first 2 shown]
	v_mov_b32_e32 v3, v13
	s_lshl_b32 s8, s13, 5
	s_waitcnt lgkmcnt(0)
	v_cmp_lt_i64_e64 s2, s[16:17], 1
	s_lshl_b32 s9, s14, 5
	s_delay_alu instid0(VALU_DEP_1)
	s_and_b32 vcc_lo, exec_lo, s2
	s_cbranch_vccnz .LBB1169_3
; %bb.1:
	v_lshl_add_u32 v2, v21, 4, v20
	v_dual_mov_b32 v1, 0 :: v_dual_and_b32 v0, 7, v20
	v_lshlrev_b32_e32 v22, 4, v20
	s_mul_i32 s3, s23, s15
	s_delay_alu instid0(VALU_DEP_3)
	v_and_b32_e32 v8, 31, v2
	v_lshrrev_b32_e32 v9, 3, v2
	v_lshrrev_b32_e32 v2, 5, v2
	v_mov_b32_e32 v3, v1
	v_lshlrev_b32_e32 v11, 4, v0
	v_add_nc_u32_e32 v6, s8, v8
	v_add_nc_u32_e32 v10, s9, v9
	s_mul_hi_u32 s4, s22, s15
	s_mul_i32 s2, s22, s15
	s_add_i32 s3, s4, s3
	v_ashrrev_i32_e32 v7, 31, v6
	v_ashrrev_i32_e32 v12, 31, v10
	v_mad_u64_u32 v[4:5], null, s20, v6, v[2:3]
	v_mul_lo_u32 v3, s21, v6
	s_delay_alu instid0(VALU_DEP_4)
	v_mul_lo_u32 v13, s20, v7
	v_mul_lo_u32 v14, v10, s27
	v_mad_u64_u32 v[6:7], null, v10, s26, v[0:1]
	v_mul_lo_u32 v0, v12, s26
	v_lshlrev_b32_e32 v1, 4, v8
	s_lshl_b64 s[2:3], s[2:3], 4
	s_mul_hi_u32 s5, s28, s15
	v_add3_u32 v5, v3, v5, v13
	s_add_u32 s4, s18, s2
	v_lshl_or_b32 v23, v2, 9, v1
	s_mul_i32 s2, s29, s15
	v_add3_u32 v7, v0, v7, v14
	v_lshlrev_b64 v[0:1], 4, v[4:5]
	s_addc_u32 s6, s19, s3
	s_add_i32 s3, s5, s2
	s_mul_i32 s2, s28, s15
	v_lshlrev_b64 v[2:3], 4, v[6:7]
	s_lshl_b64 s[2:3], s[2:3], 4
	v_add_co_u32 v0, vcc_lo, s4, v0
	s_add_u32 s2, s24, s2
	v_add_co_ci_u32_e32 v1, vcc_lo, s6, v1, vcc_lo
	s_addc_u32 s3, s25, s3
	v_add_co_u32 v4, vcc_lo, s2, v2
	v_add_co_ci_u32_e32 v5, vcc_lo, s3, v3, vcc_lo
	v_mov_b32_e32 v2, 0
	v_lshl_or_b32 v8, v9, 7, v11
	v_mov_b32_e32 v3, 0
	v_add_co_u32 v16, vcc_lo, v0, 8
	v_add_co_ci_u32_e32 v17, vcc_lo, 0, v1, vcc_lo
	v_add_co_u32 v18, vcc_lo, v4, 8
	v_add_nc_u32_e32 v24, 0x1000, v8
	v_add_co_ci_u32_e32 v19, vcc_lo, 0, v5, vcc_lo
	v_dual_mov_b32 v5, v3 :: v_dual_mov_b32 v0, v2
	v_dual_mov_b32 v11, v3 :: v_dual_mov_b32 v4, v2
	v_mov_b32_e32 v9, v3
	v_dual_mov_b32 v7, v3 :: v_dual_mov_b32 v10, v2
	v_dual_mov_b32 v15, v3 :: v_dual_mov_b32 v8, v2
	v_mov_b32_e32 v13, v3
	v_lshl_add_u32 v25, v21, 7, 0x1000
	v_dual_mov_b32 v1, v3 :: v_dual_mov_b32 v6, v2
	v_mov_b32_e32 v14, v2
	v_mov_b32_e32 v12, v2
	s_mov_b64 s[2:3], 0
.LBB1169_2:                             ; =>This Inner Loop Header: Depth=1
	global_load_b128 v[26:29], v[16:17], off offset:-8
	global_load_b128 v[30:33], v[18:19], off offset:-8
	s_add_u32 s2, s2, 8
	v_add_co_u32 v16, vcc_lo, 0x80, v16
	s_addc_u32 s3, s3, 0
	v_add_co_ci_u32_e32 v17, vcc_lo, 0, v17, vcc_lo
	v_cmp_ge_u64_e64 s4, s[2:3], s[16:17]
	v_add_co_u32 v18, vcc_lo, 0x80, v18
	v_add_co_ci_u32_e32 v19, vcc_lo, 0, v19, vcc_lo
	s_waitcnt vmcnt(1)
	ds_store_b128 v23, v[26:29]
	s_waitcnt vmcnt(0)
	ds_store_b128 v24, v[30:33]
	s_waitcnt lgkmcnt(0)
	s_barrier
	buffer_gl0_inv
	ds_load_b128 v[26:29], v25
	ds_load_b128 v[30:33], v22
	ds_load_b128 v[34:37], v22 offset:256
	ds_load_b128 v[38:41], v25 offset:2048
	;; [unrolled: 1-line block ×13, first 2 shown]
	s_and_b32 vcc_lo, exec_lo, s4
	s_waitcnt lgkmcnt(13)
	v_mul_f64 v[86:87], v[28:29], v[32:33]
	v_mul_f64 v[88:89], v[26:27], v[32:33]
	s_waitcnt lgkmcnt(12)
	v_mul_f64 v[90:91], v[28:29], v[36:37]
	v_mul_f64 v[92:93], v[26:27], v[36:37]
	;; [unrolled: 3-line block ×3, first 2 shown]
	v_mul_f64 v[96:97], v[40:41], v[36:37]
	v_mul_f64 v[36:37], v[38:39], v[36:37]
	s_waitcnt lgkmcnt(8)
	v_mul_f64 v[98:99], v[44:45], v[52:53]
	v_mul_f64 v[100:101], v[42:43], v[52:53]
	s_waitcnt lgkmcnt(7)
	v_mul_f64 v[102:103], v[44:45], v[56:57]
	v_mul_f64 v[104:105], v[42:43], v[56:57]
	;; [unrolled: 1-line block ×6, first 2 shown]
	s_waitcnt lgkmcnt(3)
	v_mul_f64 v[112:113], v[58:59], v[72:73]
	s_waitcnt lgkmcnt(2)
	v_mul_f64 v[114:115], v[76:77], v[68:69]
	v_mul_f64 v[116:117], v[76:77], v[72:73]
	v_fma_f64 v[86:87], v[26:27], v[30:31], -v[86:87]
	v_fma_f64 v[88:89], v[28:29], v[30:31], v[88:89]
	v_fma_f64 v[90:91], v[26:27], v[34:35], -v[90:91]
	v_fma_f64 v[92:93], v[28:29], v[34:35], v[92:93]
	v_fma_f64 v[94:95], v[38:39], v[30:31], -v[94:95]
	v_fma_f64 v[110:111], v[40:41], v[30:31], v[32:33]
	v_fma_f64 v[38:39], v[38:39], v[34:35], -v[96:97]
	v_fma_f64 v[34:35], v[40:41], v[34:35], v[36:37]
	v_mul_f64 v[36:37], v[60:61], v[68:69]
	v_mul_f64 v[40:41], v[58:59], v[68:69]
	;; [unrolled: 1-line block ×5, first 2 shown]
	v_fma_f64 v[98:99], v[42:43], v[50:51], -v[98:99]
	v_fma_f64 v[100:101], v[44:45], v[50:51], v[100:101]
	v_fma_f64 v[42:43], v[42:43], v[54:55], -v[102:103]
	v_fma_f64 v[44:45], v[44:45], v[54:55], v[104:105]
	;; [unrolled: 2-line block ×4, first 2 shown]
	ds_load_b128 v[26:29], v22 offset:1792
	ds_load_b128 v[30:33], v22 offset:2048
	s_waitcnt lgkmcnt(2)
	v_mul_f64 v[56:57], v[64:65], v[84:85]
	v_add_f64 v[12:13], v[12:13], v[86:87]
	v_add_f64 v[14:15], v[14:15], v[88:89]
	;; [unrolled: 1-line block ×8, first 2 shown]
	v_mul_f64 v[86:87], v[62:63], v[84:85]
	s_waitcnt lgkmcnt(1)
	v_mul_f64 v[88:89], v[64:65], v[28:29]
	v_mul_f64 v[90:91], v[62:63], v[28:29]
	;; [unrolled: 1-line block ×6, first 2 shown]
	v_fma_f64 v[104:105], v[58:59], v[66:67], -v[36:37]
	v_fma_f64 v[106:107], v[60:61], v[66:67], v[40:41]
	v_fma_f64 v[58:59], v[58:59], v[70:71], -v[96:97]
	v_fma_f64 v[60:61], v[60:61], v[70:71], v[112:113]
	;; [unrolled: 2-line block ×4, first 2 shown]
	ds_load_b128 v[0:3], v22 offset:2304
	ds_load_b128 v[4:7], v25 offset:64
	v_fma_f64 v[56:57], v[62:63], v[82:83], -v[56:57]
	v_add_f64 v[72:73], v[12:13], v[98:99]
	v_add_f64 v[74:75], v[14:15], v[100:101]
	;; [unrolled: 1-line block ×8, first 2 shown]
	ds_load_b128 v[8:11], v25 offset:2112
	ds_load_b128 v[12:15], v25 offset:80
	;; [unrolled: 1-line block ×4, first 2 shown]
	s_waitcnt lgkmcnt(4)
	v_mul_f64 v[54:55], v[6:7], v[32:33]
	v_mul_f64 v[76:77], v[4:5], v[32:33]
	;; [unrolled: 1-line block ×4, first 2 shown]
	v_fma_f64 v[86:87], v[64:65], v[82:83], v[86:87]
	v_fma_f64 v[62:63], v[62:63], v[26:27], -v[88:89]
	v_fma_f64 v[64:65], v[64:65], v[26:27], v[90:91]
	v_fma_f64 v[88:89], v[78:79], v[82:83], -v[92:93]
	;; [unrolled: 2-line block ×3, first 2 shown]
	v_fma_f64 v[80:81], v[80:81], v[26:27], v[28:29]
	s_waitcnt lgkmcnt(3)
	v_mul_f64 v[102:103], v[10:11], v[32:33]
	v_mul_f64 v[32:33], v[8:9], v[32:33]
	;; [unrolled: 1-line block ×4, first 2 shown]
	s_waitcnt lgkmcnt(0)
	v_mul_f64 v[90:91], v[14:15], v[40:41]
	v_mul_f64 v[92:93], v[12:13], v[40:41]
	v_add_f64 v[72:73], v[72:73], v[104:105]
	v_add_f64 v[74:75], v[74:75], v[106:107]
	;; [unrolled: 1-line block ×8, first 2 shown]
	ds_load_b128 v[26:29], v22 offset:2816
	ds_load_b128 v[42:45], v22 offset:3072
	;; [unrolled: 1-line block ×4, first 2 shown]
	v_mul_f64 v[104:105], v[36:37], v[40:41]
	v_mul_f64 v[40:41], v[34:35], v[40:41]
	v_fma_f64 v[54:55], v[4:5], v[30:31], -v[54:55]
	v_fma_f64 v[76:77], v[6:7], v[30:31], v[76:77]
	v_fma_f64 v[98:99], v[4:5], v[0:1], -v[98:99]
	v_fma_f64 v[100:101], v[6:7], v[0:1], v[100:101]
	s_waitcnt lgkmcnt(3)
	v_mul_f64 v[94:95], v[14:15], v[28:29]
	v_mul_f64 v[96:97], v[12:13], v[28:29]
	v_mul_f64 v[106:107], v[36:37], v[28:29]
	v_mul_f64 v[110:111], v[34:35], v[28:29]
	v_fma_f64 v[102:103], v[8:9], v[30:31], -v[102:103]
	v_fma_f64 v[32:33], v[10:11], v[30:31], v[32:33]
	v_fma_f64 v[108:109], v[8:9], v[0:1], -v[108:109]
	v_fma_f64 v[112:113], v[10:11], v[0:1], v[2:3]
	ds_load_b128 v[0:3], v25 offset:2144
	ds_load_b128 v[4:7], v25 offset:112
	;; [unrolled: 1-line block ×4, first 2 shown]
	v_add_f64 v[56:57], v[72:73], v[56:57]
	v_add_f64 v[72:73], v[74:75], v[86:87]
	;; [unrolled: 1-line block ×8, first 2 shown]
	s_waitcnt lgkmcnt(4)
	v_mul_f64 v[70:71], v[52:53], v[44:45]
	v_mul_f64 v[74:75], v[50:51], v[44:45]
	v_mul_f64 v[78:79], v[52:53], v[48:49]
	v_mul_f64 v[80:81], v[50:51], v[48:49]
	s_waitcnt lgkmcnt(3)
	v_mul_f64 v[82:83], v[2:3], v[44:45]
	v_mul_f64 v[44:45], v[0:1], v[44:45]
	;; [unrolled: 1-line block ×4, first 2 shown]
	v_fma_f64 v[86:87], v[12:13], v[38:39], -v[90:91]
	v_fma_f64 v[88:89], v[14:15], v[38:39], v[92:93]
	v_fma_f64 v[90:91], v[12:13], v[26:27], -v[94:95]
	v_fma_f64 v[92:93], v[14:15], v[26:27], v[96:97]
	;; [unrolled: 2-line block ×4, first 2 shown]
	ds_load_b128 v[12:15], v22 offset:3840
	s_waitcnt lgkmcnt(0)
	s_barrier
	buffer_gl0_inv
	v_add_f64 v[36:37], v[56:57], v[54:55]
	v_add_f64 v[40:41], v[72:73], v[76:77]
	;; [unrolled: 1-line block ×8, first 2 shown]
	v_mul_f64 v[64:65], v[6:7], v[30:31]
	v_mul_f64 v[66:67], v[4:5], v[30:31]
	v_mul_f64 v[76:77], v[10:11], v[30:31]
	v_mul_f64 v[30:31], v[8:9], v[30:31]
	v_fma_f64 v[70:71], v[50:51], v[42:43], -v[70:71]
	v_mul_f64 v[68:69], v[6:7], v[14:15]
	v_mul_f64 v[72:73], v[4:5], v[14:15]
	;; [unrolled: 1-line block ×4, first 2 shown]
	v_fma_f64 v[74:75], v[52:53], v[42:43], v[74:75]
	v_fma_f64 v[50:51], v[50:51], v[46:47], -v[78:79]
	v_fma_f64 v[52:53], v[52:53], v[46:47], v[80:81]
	v_fma_f64 v[78:79], v[0:1], v[42:43], -v[82:83]
	;; [unrolled: 2-line block ×3, first 2 shown]
	v_fma_f64 v[2:3], v[2:3], v[46:47], v[48:49]
	v_add_f64 v[36:37], v[36:37], v[86:87]
	v_add_f64 v[40:41], v[40:41], v[88:89]
	;; [unrolled: 1-line block ×8, first 2 shown]
	v_fma_f64 v[38:39], v[4:5], v[28:29], -v[64:65]
	v_fma_f64 v[54:55], v[6:7], v[28:29], v[66:67]
	v_fma_f64 v[56:57], v[8:9], v[28:29], -v[76:77]
	v_fma_f64 v[28:29], v[10:11], v[28:29], v[30:31]
	;; [unrolled: 2-line block ×4, first 2 shown]
	v_add_f64 v[8:9], v[36:37], v[70:71]
	v_add_f64 v[10:11], v[40:41], v[74:75]
	v_add_f64 v[36:37], v[44:45], v[50:51]
	v_add_f64 v[40:41], v[46:47], v[52:53]
	v_add_f64 v[44:45], v[48:49], v[78:79]
	v_add_f64 v[32:33], v[32:33], v[42:43]
	v_add_f64 v[0:1], v[34:35], v[0:1]
	v_add_f64 v[2:3], v[26:27], v[2:3]
	v_add_f64 v[12:13], v[8:9], v[38:39]
	v_add_f64 v[14:15], v[10:11], v[54:55]
	v_add_f64 v[8:9], v[36:37], v[4:5]
	v_add_f64 v[10:11], v[40:41], v[6:7]
	v_add_f64 v[4:5], v[44:45], v[56:57]
	v_add_f64 v[6:7], v[32:33], v[28:29]
	v_add_f64 v[0:1], v[0:1], v[30:31]
	v_add_f64 v[2:3], v[2:3], v[58:59]
	s_cbranch_vccz .LBB1169_2
.LBB1169_3:
	s_load_b128 s[4:7], s[0:1], 0x48
	v_add_nc_u32_e32 v18, s9, v21
	s_load_b32 s9, s[0:1], 0x0
	s_delay_alu instid0(VALU_DEP_1) | instskip(SKIP_1) | instid1(VALU_DEP_1)
	v_ashrrev_i32_e32 v16, 31, v18
	s_waitcnt lgkmcnt(0)
	v_mul_lo_u32 v17, v16, s4
	v_mul_lo_u32 v19, v18, s5
	v_mad_u64_u32 v[21:22], null, v18, s4, 0
	s_mul_i32 s1, s15, s7
	s_mul_hi_u32 s3, s15, s6
	v_add_nc_u32_e32 v16, s8, v20
	s_mul_i32 s2, s15, s6
	s_add_i32 s3, s3, s1
	s_delay_alu instid0(VALU_DEP_2)
	v_add3_u32 v22, v22, v19, v17
	s_lshl_b64 s[2:3], s[2:3], 4
	v_cmp_le_i32_e64 s0, v18, v16
	s_add_u32 s2, s30, s2
	v_cmp_gt_i32_e32 vcc_lo, s9, v16
	v_lshlrev_b64 v[19:20], 4, v[21:22]
	s_addc_u32 s3, s31, s3
	s_and_b32 s0, s0, vcc_lo
	s_delay_alu instid0(VALU_DEP_1) | instskip(NEXT) | instid1(VALU_DEP_1)
	v_add_co_u32 v19, s1, s2, v19
	v_add_co_ci_u32_e64 v20, s1, s3, v20, s1
	s_and_saveexec_b32 s1, s0
	s_cbranch_execz .LBB1169_5
; %bb.4:
	v_ashrrev_i32_e32 v17, 31, v16
	s_delay_alu instid0(VALU_DEP_1) | instskip(NEXT) | instid1(VALU_DEP_1)
	v_lshlrev_b64 v[21:22], 4, v[16:17]
	v_add_co_u32 v21, s0, v19, v21
	s_delay_alu instid0(VALU_DEP_1)
	v_add_co_ci_u32_e64 v22, s0, v20, v22, s0
	global_store_b128 v[21:22], v[12:15], off
.LBB1169_5:
	s_or_b32 exec_lo, exec_lo, s1
	v_add_nc_u32_e32 v12, 16, v16
	s_delay_alu instid0(VALU_DEP_1) | instskip(SKIP_1) | instid1(VALU_DEP_1)
	v_cmp_le_i32_e64 s1, v18, v12
	v_cmp_gt_i32_e64 s0, s9, v12
	s_and_b32 s1, s1, s0
	s_delay_alu instid0(SALU_CYCLE_1)
	s_and_saveexec_b32 s6, s1
	s_cbranch_execz .LBB1169_7
; %bb.6:
	v_ashrrev_i32_e32 v13, 31, v12
	s_delay_alu instid0(VALU_DEP_1) | instskip(NEXT) | instid1(VALU_DEP_1)
	v_lshlrev_b64 v[13:14], 4, v[12:13]
	v_add_co_u32 v13, s1, v19, v13
	s_delay_alu instid0(VALU_DEP_1)
	v_add_co_ci_u32_e64 v14, s1, v20, v14, s1
	global_store_b128 v[13:14], v[8:11], off
.LBB1169_7:
	s_or_b32 exec_lo, exec_lo, s6
	v_add_nc_u32_e32 v8, 16, v18
	s_delay_alu instid0(VALU_DEP_1) | instskip(SKIP_3) | instid1(VALU_DEP_4)
	v_ashrrev_i32_e32 v11, 31, v8
	v_mul_lo_u32 v13, v8, s5
	v_mad_u64_u32 v[9:10], null, v8, s4, 0
	v_cmp_le_i32_e64 s1, v8, v16
	v_mul_lo_u32 v11, v11, s4
	s_delay_alu instid0(VALU_DEP_1) | instskip(NEXT) | instid1(VALU_DEP_1)
	v_add3_u32 v10, v10, v13, v11
	v_lshlrev_b64 v[9:10], 4, v[9:10]
	s_delay_alu instid0(VALU_DEP_1) | instskip(NEXT) | instid1(VALU_DEP_1)
	v_add_co_u32 v9, s2, s2, v9
	v_add_co_ci_u32_e64 v10, s2, s3, v10, s2
	s_and_b32 s2, s1, vcc_lo
	s_delay_alu instid0(SALU_CYCLE_1)
	s_and_saveexec_b32 s1, s2
	s_cbranch_execz .LBB1169_9
; %bb.8:
	v_ashrrev_i32_e32 v17, 31, v16
	s_delay_alu instid0(VALU_DEP_1) | instskip(NEXT) | instid1(VALU_DEP_1)
	v_lshlrev_b64 v[13:14], 4, v[16:17]
	v_add_co_u32 v13, vcc_lo, v9, v13
	s_delay_alu instid0(VALU_DEP_2)
	v_add_co_ci_u32_e32 v14, vcc_lo, v10, v14, vcc_lo
	global_store_b128 v[13:14], v[4:7], off
.LBB1169_9:
	s_or_b32 exec_lo, exec_lo, s1
	v_cmp_le_i32_e32 vcc_lo, v8, v12
	s_and_b32 s0, vcc_lo, s0
	s_delay_alu instid0(SALU_CYCLE_1)
	s_and_saveexec_b32 s1, s0
	s_cbranch_execz .LBB1169_11
; %bb.10:
	v_ashrrev_i32_e32 v13, 31, v12
	s_delay_alu instid0(VALU_DEP_1) | instskip(NEXT) | instid1(VALU_DEP_1)
	v_lshlrev_b64 v[4:5], 4, v[12:13]
	v_add_co_u32 v4, vcc_lo, v9, v4
	s_delay_alu instid0(VALU_DEP_2)
	v_add_co_ci_u32_e32 v5, vcc_lo, v10, v5, vcc_lo
	global_store_b128 v[4:5], v[0:3], off
.LBB1169_11:
	s_nop 0
	s_sendmsg sendmsg(MSG_DEALLOC_VGPRS)
	s_endpgm
	.section	.rodata,"a",@progbits
	.p2align	6, 0x0
	.amdhsa_kernel _ZL37rocblas_syrkx_herkx_restricted_kernelIl19rocblas_complex_numIdELi16ELi32ELi8ELi1ELi0ELb0ELc84ELc76EKS1_S1_EviT_PT9_S3_lS5_S3_lPT10_S3_li
		.amdhsa_group_segment_fixed_size 8192
		.amdhsa_private_segment_fixed_size 0
		.amdhsa_kernarg_size 92
		.amdhsa_user_sgpr_count 13
		.amdhsa_user_sgpr_dispatch_ptr 0
		.amdhsa_user_sgpr_queue_ptr 0
		.amdhsa_user_sgpr_kernarg_segment_ptr 1
		.amdhsa_user_sgpr_dispatch_id 0
		.amdhsa_user_sgpr_private_segment_size 0
		.amdhsa_wavefront_size32 1
		.amdhsa_uses_dynamic_stack 0
		.amdhsa_enable_private_segment 0
		.amdhsa_system_sgpr_workgroup_id_x 1
		.amdhsa_system_sgpr_workgroup_id_y 1
		.amdhsa_system_sgpr_workgroup_id_z 1
		.amdhsa_system_sgpr_workgroup_info 0
		.amdhsa_system_vgpr_workitem_id 1
		.amdhsa_next_free_vgpr 118
		.amdhsa_next_free_sgpr 32
		.amdhsa_reserve_vcc 1
		.amdhsa_float_round_mode_32 0
		.amdhsa_float_round_mode_16_64 0
		.amdhsa_float_denorm_mode_32 3
		.amdhsa_float_denorm_mode_16_64 3
		.amdhsa_dx10_clamp 1
		.amdhsa_ieee_mode 1
		.amdhsa_fp16_overflow 0
		.amdhsa_workgroup_processor_mode 1
		.amdhsa_memory_ordered 1
		.amdhsa_forward_progress 0
		.amdhsa_shared_vgpr_count 0
		.amdhsa_exception_fp_ieee_invalid_op 0
		.amdhsa_exception_fp_denorm_src 0
		.amdhsa_exception_fp_ieee_div_zero 0
		.amdhsa_exception_fp_ieee_overflow 0
		.amdhsa_exception_fp_ieee_underflow 0
		.amdhsa_exception_fp_ieee_inexact 0
		.amdhsa_exception_int_div_zero 0
	.end_amdhsa_kernel
	.section	.text._ZL37rocblas_syrkx_herkx_restricted_kernelIl19rocblas_complex_numIdELi16ELi32ELi8ELi1ELi0ELb0ELc84ELc76EKS1_S1_EviT_PT9_S3_lS5_S3_lPT10_S3_li,"axG",@progbits,_ZL37rocblas_syrkx_herkx_restricted_kernelIl19rocblas_complex_numIdELi16ELi32ELi8ELi1ELi0ELb0ELc84ELc76EKS1_S1_EviT_PT9_S3_lS5_S3_lPT10_S3_li,comdat
.Lfunc_end1169:
	.size	_ZL37rocblas_syrkx_herkx_restricted_kernelIl19rocblas_complex_numIdELi16ELi32ELi8ELi1ELi0ELb0ELc84ELc76EKS1_S1_EviT_PT9_S3_lS5_S3_lPT10_S3_li, .Lfunc_end1169-_ZL37rocblas_syrkx_herkx_restricted_kernelIl19rocblas_complex_numIdELi16ELi32ELi8ELi1ELi0ELb0ELc84ELc76EKS1_S1_EviT_PT9_S3_lS5_S3_lPT10_S3_li
                                        ; -- End function
	.section	.AMDGPU.csdata,"",@progbits
; Kernel info:
; codeLenInByte = 2964
; NumSgprs: 34
; NumVgprs: 118
; ScratchSize: 0
; MemoryBound: 0
; FloatMode: 240
; IeeeMode: 1
; LDSByteSize: 8192 bytes/workgroup (compile time only)
; SGPRBlocks: 4
; VGPRBlocks: 14
; NumSGPRsForWavesPerEU: 34
; NumVGPRsForWavesPerEU: 118
; Occupancy: 12
; WaveLimiterHint : 1
; COMPUTE_PGM_RSRC2:SCRATCH_EN: 0
; COMPUTE_PGM_RSRC2:USER_SGPR: 13
; COMPUTE_PGM_RSRC2:TRAP_HANDLER: 0
; COMPUTE_PGM_RSRC2:TGID_X_EN: 1
; COMPUTE_PGM_RSRC2:TGID_Y_EN: 1
; COMPUTE_PGM_RSRC2:TGID_Z_EN: 1
; COMPUTE_PGM_RSRC2:TIDIG_COMP_CNT: 1
	.section	.text._ZL37rocblas_syrkx_herkx_restricted_kernelIl19rocblas_complex_numIdELi16ELi32ELi8ELi1ELi0ELb0ELc67ELc76EKS1_S1_EviT_PT9_S3_lS5_S3_lPT10_S3_li,"axG",@progbits,_ZL37rocblas_syrkx_herkx_restricted_kernelIl19rocblas_complex_numIdELi16ELi32ELi8ELi1ELi0ELb0ELc67ELc76EKS1_S1_EviT_PT9_S3_lS5_S3_lPT10_S3_li,comdat
	.globl	_ZL37rocblas_syrkx_herkx_restricted_kernelIl19rocblas_complex_numIdELi16ELi32ELi8ELi1ELi0ELb0ELc67ELc76EKS1_S1_EviT_PT9_S3_lS5_S3_lPT10_S3_li ; -- Begin function _ZL37rocblas_syrkx_herkx_restricted_kernelIl19rocblas_complex_numIdELi16ELi32ELi8ELi1ELi0ELb0ELc67ELc76EKS1_S1_EviT_PT9_S3_lS5_S3_lPT10_S3_li
	.p2align	8
	.type	_ZL37rocblas_syrkx_herkx_restricted_kernelIl19rocblas_complex_numIdELi16ELi32ELi8ELi1ELi0ELb0ELc67ELc76EKS1_S1_EviT_PT9_S3_lS5_S3_lPT10_S3_li,@function
_ZL37rocblas_syrkx_herkx_restricted_kernelIl19rocblas_complex_numIdELi16ELi32ELi8ELi1ELi0ELb0ELc67ELc76EKS1_S1_EviT_PT9_S3_lS5_S3_lPT10_S3_li: ; @_ZL37rocblas_syrkx_herkx_restricted_kernelIl19rocblas_complex_numIdELi16ELi32ELi8ELi1ELi0ELb0ELc67ELc76EKS1_S1_EviT_PT9_S3_lS5_S3_lPT10_S3_li
; %bb.0:
	s_load_b512 s[16:31], s[0:1], 0x8
	v_mov_b32_e32 v12, 0
	v_dual_mov_b32 v13, 0 :: v_dual_and_b32 v20, 0x3ff, v0
	v_bfe_u32 v21, v0, 10, 10
	s_delay_alu instid0(VALU_DEP_3) | instskip(NEXT) | instid1(VALU_DEP_3)
	v_mov_b32_e32 v8, v12
	v_dual_mov_b32 v10, v12 :: v_dual_mov_b32 v11, v13
	v_dual_mov_b32 v15, v13 :: v_dual_mov_b32 v14, v12
	;; [unrolled: 1-line block ×6, first 2 shown]
	v_mov_b32_e32 v3, v13
	s_lshl_b32 s8, s13, 5
	s_waitcnt lgkmcnt(0)
	v_cmp_lt_i64_e64 s2, s[16:17], 1
	s_lshl_b32 s9, s14, 5
	s_delay_alu instid0(VALU_DEP_1)
	s_and_b32 vcc_lo, exec_lo, s2
	s_cbranch_vccnz .LBB1170_3
; %bb.1:
	v_lshl_add_u32 v2, v21, 4, v20
	v_dual_mov_b32 v1, 0 :: v_dual_and_b32 v0, 7, v20
	v_lshlrev_b32_e32 v22, 4, v20
	s_mul_i32 s3, s23, s15
	s_delay_alu instid0(VALU_DEP_3)
	v_and_b32_e32 v8, 31, v2
	v_lshrrev_b32_e32 v9, 3, v2
	v_lshrrev_b32_e32 v2, 5, v2
	v_mov_b32_e32 v3, v1
	v_lshlrev_b32_e32 v11, 4, v0
	v_add_nc_u32_e32 v6, s8, v8
	v_add_nc_u32_e32 v10, s9, v9
	s_mul_hi_u32 s4, s22, s15
	s_mul_i32 s2, s22, s15
	s_add_i32 s3, s4, s3
	v_ashrrev_i32_e32 v7, 31, v6
	v_ashrrev_i32_e32 v12, 31, v10
	v_mad_u64_u32 v[4:5], null, s20, v6, v[2:3]
	v_mul_lo_u32 v3, s21, v6
	s_delay_alu instid0(VALU_DEP_4)
	v_mul_lo_u32 v13, s20, v7
	v_mul_lo_u32 v14, v10, s27
	v_mad_u64_u32 v[6:7], null, v10, s26, v[0:1]
	v_mul_lo_u32 v0, v12, s26
	v_lshlrev_b32_e32 v1, 4, v8
	s_lshl_b64 s[2:3], s[2:3], 4
	s_mul_hi_u32 s5, s28, s15
	v_add3_u32 v5, v3, v5, v13
	s_add_u32 s4, s18, s2
	v_lshl_or_b32 v23, v2, 9, v1
	s_mul_i32 s2, s29, s15
	v_add3_u32 v7, v0, v7, v14
	v_lshlrev_b64 v[0:1], 4, v[4:5]
	s_addc_u32 s6, s19, s3
	s_add_i32 s3, s5, s2
	s_mul_i32 s2, s28, s15
	v_lshlrev_b64 v[2:3], 4, v[6:7]
	s_lshl_b64 s[2:3], s[2:3], 4
	v_add_co_u32 v0, vcc_lo, s4, v0
	s_add_u32 s2, s24, s2
	v_add_co_ci_u32_e32 v1, vcc_lo, s6, v1, vcc_lo
	s_addc_u32 s3, s25, s3
	v_add_co_u32 v4, vcc_lo, s2, v2
	v_add_co_ci_u32_e32 v5, vcc_lo, s3, v3, vcc_lo
	v_mov_b32_e32 v2, 0
	v_lshl_or_b32 v8, v9, 7, v11
	v_mov_b32_e32 v3, 0
	v_add_co_u32 v16, vcc_lo, v0, 8
	v_add_co_ci_u32_e32 v17, vcc_lo, 0, v1, vcc_lo
	v_add_co_u32 v18, vcc_lo, v4, 8
	v_add_nc_u32_e32 v24, 0x1000, v8
	v_add_co_ci_u32_e32 v19, vcc_lo, 0, v5, vcc_lo
	v_dual_mov_b32 v5, v3 :: v_dual_mov_b32 v0, v2
	v_dual_mov_b32 v11, v3 :: v_dual_mov_b32 v4, v2
	v_mov_b32_e32 v9, v3
	v_dual_mov_b32 v7, v3 :: v_dual_mov_b32 v10, v2
	v_dual_mov_b32 v15, v3 :: v_dual_mov_b32 v8, v2
	v_mov_b32_e32 v13, v3
	v_lshl_add_u32 v25, v21, 7, 0x1000
	v_dual_mov_b32 v1, v3 :: v_dual_mov_b32 v6, v2
	v_mov_b32_e32 v14, v2
	v_mov_b32_e32 v12, v2
	s_mov_b64 s[2:3], 0
.LBB1170_2:                             ; =>This Inner Loop Header: Depth=1
	global_load_b128 v[26:29], v[16:17], off offset:-8
	global_load_b128 v[30:33], v[18:19], off offset:-8
	s_add_u32 s2, s2, 8
	v_add_co_u32 v16, vcc_lo, 0x80, v16
	s_addc_u32 s3, s3, 0
	v_add_co_ci_u32_e32 v17, vcc_lo, 0, v17, vcc_lo
	v_cmp_ge_u64_e64 s4, s[2:3], s[16:17]
	v_add_co_u32 v18, vcc_lo, 0x80, v18
	v_add_co_ci_u32_e32 v19, vcc_lo, 0, v19, vcc_lo
	s_waitcnt vmcnt(1)
	ds_store_b128 v23, v[26:29]
	s_waitcnt vmcnt(0)
	ds_store_b128 v24, v[30:33]
	s_waitcnt lgkmcnt(0)
	s_barrier
	buffer_gl0_inv
	ds_load_b128 v[26:29], v25
	ds_load_b128 v[30:33], v22
	ds_load_b128 v[34:37], v22 offset:256
	ds_load_b128 v[38:41], v25 offset:2048
	;; [unrolled: 1-line block ×13, first 2 shown]
	s_and_b32 vcc_lo, exec_lo, s4
	s_waitcnt lgkmcnt(13)
	v_mul_f64 v[86:87], v[28:29], v[32:33]
	v_mul_f64 v[88:89], v[26:27], v[32:33]
	s_waitcnt lgkmcnt(12)
	v_mul_f64 v[90:91], v[28:29], v[36:37]
	v_mul_f64 v[92:93], v[26:27], v[36:37]
	;; [unrolled: 3-line block ×3, first 2 shown]
	v_mul_f64 v[96:97], v[40:41], v[36:37]
	v_mul_f64 v[36:37], v[38:39], v[36:37]
	s_waitcnt lgkmcnt(8)
	v_mul_f64 v[98:99], v[44:45], v[52:53]
	v_mul_f64 v[100:101], v[42:43], v[52:53]
	s_waitcnt lgkmcnt(7)
	v_mul_f64 v[102:103], v[44:45], v[56:57]
	v_mul_f64 v[104:105], v[42:43], v[56:57]
	;; [unrolled: 1-line block ×6, first 2 shown]
	s_waitcnt lgkmcnt(3)
	v_mul_f64 v[112:113], v[58:59], v[72:73]
	s_waitcnt lgkmcnt(2)
	v_mul_f64 v[114:115], v[76:77], v[68:69]
	v_mul_f64 v[116:117], v[76:77], v[72:73]
	v_fma_f64 v[86:87], v[26:27], v[30:31], -v[86:87]
	v_fma_f64 v[88:89], v[28:29], v[30:31], v[88:89]
	v_fma_f64 v[90:91], v[26:27], v[34:35], -v[90:91]
	v_fma_f64 v[92:93], v[28:29], v[34:35], v[92:93]
	;; [unrolled: 2-line block ×4, first 2 shown]
	v_mul_f64 v[36:37], v[60:61], v[68:69]
	v_mul_f64 v[40:41], v[58:59], v[68:69]
	;; [unrolled: 1-line block ×5, first 2 shown]
	v_fma_f64 v[98:99], v[42:43], v[50:51], -v[98:99]
	v_fma_f64 v[100:101], v[44:45], v[50:51], v[100:101]
	v_fma_f64 v[42:43], v[42:43], v[54:55], -v[102:103]
	v_fma_f64 v[44:45], v[44:45], v[54:55], v[104:105]
	v_fma_f64 v[102:103], v[46:47], v[50:51], -v[106:107]
	v_fma_f64 v[50:51], v[48:49], v[50:51], v[52:53]
	v_fma_f64 v[46:47], v[46:47], v[54:55], -v[108:109]
	v_fma_f64 v[48:49], v[48:49], v[54:55], v[56:57]
	ds_load_b128 v[26:29], v22 offset:1792
	ds_load_b128 v[30:33], v22 offset:2048
	s_waitcnt lgkmcnt(2)
	v_mul_f64 v[56:57], v[64:65], v[84:85]
	v_add_f64 v[12:13], v[12:13], v[86:87]
	v_add_f64 v[14:15], v[14:15], v[88:89]
	;; [unrolled: 1-line block ×8, first 2 shown]
	v_mul_f64 v[86:87], v[62:63], v[84:85]
	s_waitcnt lgkmcnt(1)
	v_mul_f64 v[88:89], v[64:65], v[28:29]
	v_mul_f64 v[90:91], v[62:63], v[28:29]
	;; [unrolled: 1-line block ×6, first 2 shown]
	v_fma_f64 v[104:105], v[58:59], v[66:67], -v[36:37]
	v_fma_f64 v[106:107], v[60:61], v[66:67], v[40:41]
	v_fma_f64 v[58:59], v[58:59], v[70:71], -v[96:97]
	v_fma_f64 v[60:61], v[60:61], v[70:71], v[112:113]
	;; [unrolled: 2-line block ×4, first 2 shown]
	ds_load_b128 v[0:3], v22 offset:2304
	ds_load_b128 v[4:7], v25 offset:64
	v_fma_f64 v[56:57], v[62:63], v[82:83], -v[56:57]
	v_add_f64 v[72:73], v[12:13], v[98:99]
	v_add_f64 v[74:75], v[14:15], v[100:101]
	v_add_f64 v[42:43], v[8:9], v[42:43]
	v_add_f64 v[44:45], v[10:11], v[44:45]
	v_add_f64 v[52:53], v[52:53], v[102:103]
	v_add_f64 v[50:51], v[54:55], v[50:51]
	v_add_f64 v[46:47], v[38:39], v[46:47]
	v_add_f64 v[48:49], v[34:35], v[48:49]
	ds_load_b128 v[8:11], v25 offset:2112
	ds_load_b128 v[12:15], v25 offset:80
	;; [unrolled: 1-line block ×4, first 2 shown]
	s_waitcnt lgkmcnt(4)
	v_mul_f64 v[54:55], v[6:7], v[32:33]
	v_mul_f64 v[76:77], v[4:5], v[32:33]
	;; [unrolled: 1-line block ×4, first 2 shown]
	v_fma_f64 v[86:87], v[64:65], v[82:83], v[86:87]
	v_fma_f64 v[62:63], v[62:63], v[26:27], -v[88:89]
	v_fma_f64 v[64:65], v[64:65], v[26:27], v[90:91]
	v_fma_f64 v[88:89], v[78:79], v[82:83], -v[92:93]
	;; [unrolled: 2-line block ×3, first 2 shown]
	v_fma_f64 v[80:81], v[80:81], v[26:27], v[28:29]
	s_waitcnt lgkmcnt(3)
	v_mul_f64 v[102:103], v[10:11], v[32:33]
	v_mul_f64 v[32:33], v[8:9], v[32:33]
	v_mul_f64 v[108:109], v[10:11], v[2:3]
	v_mul_f64 v[2:3], v[8:9], v[2:3]
	s_waitcnt lgkmcnt(0)
	v_mul_f64 v[90:91], v[14:15], v[40:41]
	v_mul_f64 v[92:93], v[12:13], v[40:41]
	v_add_f64 v[72:73], v[72:73], v[104:105]
	v_add_f64 v[74:75], v[74:75], v[106:107]
	;; [unrolled: 1-line block ×8, first 2 shown]
	ds_load_b128 v[26:29], v22 offset:2816
	ds_load_b128 v[42:45], v22 offset:3072
	;; [unrolled: 1-line block ×4, first 2 shown]
	v_mul_f64 v[104:105], v[36:37], v[40:41]
	v_mul_f64 v[40:41], v[34:35], v[40:41]
	v_fma_f64 v[54:55], v[4:5], v[30:31], -v[54:55]
	v_fma_f64 v[76:77], v[6:7], v[30:31], v[76:77]
	v_fma_f64 v[98:99], v[4:5], v[0:1], -v[98:99]
	v_fma_f64 v[100:101], v[6:7], v[0:1], v[100:101]
	s_waitcnt lgkmcnt(3)
	v_mul_f64 v[94:95], v[14:15], v[28:29]
	v_mul_f64 v[96:97], v[12:13], v[28:29]
	;; [unrolled: 1-line block ×4, first 2 shown]
	v_fma_f64 v[102:103], v[8:9], v[30:31], -v[102:103]
	v_fma_f64 v[32:33], v[10:11], v[30:31], v[32:33]
	v_fma_f64 v[108:109], v[8:9], v[0:1], -v[108:109]
	v_fma_f64 v[112:113], v[10:11], v[0:1], v[2:3]
	ds_load_b128 v[0:3], v25 offset:2144
	ds_load_b128 v[4:7], v25 offset:112
	;; [unrolled: 1-line block ×4, first 2 shown]
	v_add_f64 v[56:57], v[72:73], v[56:57]
	v_add_f64 v[72:73], v[74:75], v[86:87]
	;; [unrolled: 1-line block ×8, first 2 shown]
	s_waitcnt lgkmcnt(4)
	v_mul_f64 v[70:71], v[52:53], v[44:45]
	v_mul_f64 v[74:75], v[50:51], v[44:45]
	;; [unrolled: 1-line block ×4, first 2 shown]
	s_waitcnt lgkmcnt(3)
	v_mul_f64 v[82:83], v[2:3], v[44:45]
	v_mul_f64 v[44:45], v[0:1], v[44:45]
	;; [unrolled: 1-line block ×4, first 2 shown]
	v_fma_f64 v[86:87], v[12:13], v[38:39], -v[90:91]
	v_fma_f64 v[88:89], v[14:15], v[38:39], v[92:93]
	v_fma_f64 v[90:91], v[12:13], v[26:27], -v[94:95]
	v_fma_f64 v[92:93], v[14:15], v[26:27], v[96:97]
	;; [unrolled: 2-line block ×4, first 2 shown]
	ds_load_b128 v[12:15], v22 offset:3840
	s_waitcnt lgkmcnt(0)
	s_barrier
	buffer_gl0_inv
	v_add_f64 v[36:37], v[56:57], v[54:55]
	v_add_f64 v[40:41], v[72:73], v[76:77]
	;; [unrolled: 1-line block ×8, first 2 shown]
	v_mul_f64 v[64:65], v[6:7], v[30:31]
	v_mul_f64 v[66:67], v[4:5], v[30:31]
	;; [unrolled: 1-line block ×4, first 2 shown]
	v_fma_f64 v[70:71], v[50:51], v[42:43], -v[70:71]
	v_mul_f64 v[68:69], v[6:7], v[14:15]
	v_mul_f64 v[72:73], v[4:5], v[14:15]
	;; [unrolled: 1-line block ×4, first 2 shown]
	v_fma_f64 v[74:75], v[52:53], v[42:43], v[74:75]
	v_fma_f64 v[50:51], v[50:51], v[46:47], -v[78:79]
	v_fma_f64 v[52:53], v[52:53], v[46:47], v[80:81]
	v_fma_f64 v[78:79], v[0:1], v[42:43], -v[82:83]
	;; [unrolled: 2-line block ×3, first 2 shown]
	v_fma_f64 v[2:3], v[2:3], v[46:47], v[48:49]
	v_add_f64 v[36:37], v[36:37], v[86:87]
	v_add_f64 v[40:41], v[40:41], v[88:89]
	;; [unrolled: 1-line block ×8, first 2 shown]
	v_fma_f64 v[38:39], v[4:5], v[28:29], -v[64:65]
	v_fma_f64 v[54:55], v[6:7], v[28:29], v[66:67]
	v_fma_f64 v[56:57], v[8:9], v[28:29], -v[76:77]
	v_fma_f64 v[28:29], v[10:11], v[28:29], v[30:31]
	v_fma_f64 v[4:5], v[4:5], v[12:13], -v[68:69]
	v_fma_f64 v[6:7], v[6:7], v[12:13], v[72:73]
	v_fma_f64 v[30:31], v[8:9], v[12:13], -v[96:97]
	v_fma_f64 v[58:59], v[10:11], v[12:13], v[14:15]
	v_add_f64 v[8:9], v[36:37], v[70:71]
	v_add_f64 v[10:11], v[40:41], v[74:75]
	v_add_f64 v[36:37], v[44:45], v[50:51]
	v_add_f64 v[40:41], v[46:47], v[52:53]
	v_add_f64 v[44:45], v[48:49], v[78:79]
	v_add_f64 v[32:33], v[32:33], v[42:43]
	v_add_f64 v[0:1], v[34:35], v[0:1]
	v_add_f64 v[2:3], v[26:27], v[2:3]
	v_add_f64 v[12:13], v[8:9], v[38:39]
	v_add_f64 v[14:15], v[10:11], v[54:55]
	v_add_f64 v[8:9], v[36:37], v[4:5]
	v_add_f64 v[10:11], v[40:41], v[6:7]
	v_add_f64 v[4:5], v[44:45], v[56:57]
	v_add_f64 v[6:7], v[32:33], v[28:29]
	v_add_f64 v[0:1], v[0:1], v[30:31]
	v_add_f64 v[2:3], v[2:3], v[58:59]
	s_cbranch_vccz .LBB1170_2
.LBB1170_3:
	s_load_b128 s[4:7], s[0:1], 0x48
	v_add_nc_u32_e32 v18, s9, v21
	s_load_b32 s9, s[0:1], 0x0
	s_delay_alu instid0(VALU_DEP_1) | instskip(SKIP_1) | instid1(VALU_DEP_1)
	v_ashrrev_i32_e32 v16, 31, v18
	s_waitcnt lgkmcnt(0)
	v_mul_lo_u32 v17, v16, s4
	v_mul_lo_u32 v19, v18, s5
	v_mad_u64_u32 v[21:22], null, v18, s4, 0
	s_mul_i32 s1, s15, s7
	s_mul_hi_u32 s3, s15, s6
	v_add_nc_u32_e32 v16, s8, v20
	s_mul_i32 s2, s15, s6
	s_add_i32 s3, s3, s1
	s_delay_alu instid0(VALU_DEP_2)
	v_add3_u32 v22, v22, v19, v17
	s_lshl_b64 s[2:3], s[2:3], 4
	v_cmp_le_i32_e64 s0, v18, v16
	s_add_u32 s2, s30, s2
	v_cmp_gt_i32_e32 vcc_lo, s9, v16
	v_lshlrev_b64 v[19:20], 4, v[21:22]
	s_addc_u32 s3, s31, s3
	s_and_b32 s0, s0, vcc_lo
	s_delay_alu instid0(VALU_DEP_1) | instskip(NEXT) | instid1(VALU_DEP_1)
	v_add_co_u32 v19, s1, s2, v19
	v_add_co_ci_u32_e64 v20, s1, s3, v20, s1
	s_and_saveexec_b32 s1, s0
	s_cbranch_execz .LBB1170_5
; %bb.4:
	v_ashrrev_i32_e32 v17, 31, v16
	s_delay_alu instid0(VALU_DEP_1) | instskip(NEXT) | instid1(VALU_DEP_1)
	v_lshlrev_b64 v[21:22], 4, v[16:17]
	v_add_co_u32 v21, s0, v19, v21
	s_delay_alu instid0(VALU_DEP_1)
	v_add_co_ci_u32_e64 v22, s0, v20, v22, s0
	global_store_b128 v[21:22], v[12:15], off
.LBB1170_5:
	s_or_b32 exec_lo, exec_lo, s1
	v_add_nc_u32_e32 v12, 16, v16
	s_delay_alu instid0(VALU_DEP_1) | instskip(SKIP_1) | instid1(VALU_DEP_1)
	v_cmp_le_i32_e64 s1, v18, v12
	v_cmp_gt_i32_e64 s0, s9, v12
	s_and_b32 s1, s1, s0
	s_delay_alu instid0(SALU_CYCLE_1)
	s_and_saveexec_b32 s6, s1
	s_cbranch_execz .LBB1170_7
; %bb.6:
	v_ashrrev_i32_e32 v13, 31, v12
	s_delay_alu instid0(VALU_DEP_1) | instskip(NEXT) | instid1(VALU_DEP_1)
	v_lshlrev_b64 v[13:14], 4, v[12:13]
	v_add_co_u32 v13, s1, v19, v13
	s_delay_alu instid0(VALU_DEP_1)
	v_add_co_ci_u32_e64 v14, s1, v20, v14, s1
	global_store_b128 v[13:14], v[8:11], off
.LBB1170_7:
	s_or_b32 exec_lo, exec_lo, s6
	v_add_nc_u32_e32 v8, 16, v18
	s_delay_alu instid0(VALU_DEP_1) | instskip(SKIP_3) | instid1(VALU_DEP_4)
	v_ashrrev_i32_e32 v11, 31, v8
	v_mul_lo_u32 v13, v8, s5
	v_mad_u64_u32 v[9:10], null, v8, s4, 0
	v_cmp_le_i32_e64 s1, v8, v16
	v_mul_lo_u32 v11, v11, s4
	s_delay_alu instid0(VALU_DEP_1) | instskip(NEXT) | instid1(VALU_DEP_1)
	v_add3_u32 v10, v10, v13, v11
	v_lshlrev_b64 v[9:10], 4, v[9:10]
	s_delay_alu instid0(VALU_DEP_1) | instskip(NEXT) | instid1(VALU_DEP_1)
	v_add_co_u32 v9, s2, s2, v9
	v_add_co_ci_u32_e64 v10, s2, s3, v10, s2
	s_and_b32 s2, s1, vcc_lo
	s_delay_alu instid0(SALU_CYCLE_1)
	s_and_saveexec_b32 s1, s2
	s_cbranch_execz .LBB1170_9
; %bb.8:
	v_ashrrev_i32_e32 v17, 31, v16
	s_delay_alu instid0(VALU_DEP_1) | instskip(NEXT) | instid1(VALU_DEP_1)
	v_lshlrev_b64 v[13:14], 4, v[16:17]
	v_add_co_u32 v13, vcc_lo, v9, v13
	s_delay_alu instid0(VALU_DEP_2)
	v_add_co_ci_u32_e32 v14, vcc_lo, v10, v14, vcc_lo
	global_store_b128 v[13:14], v[4:7], off
.LBB1170_9:
	s_or_b32 exec_lo, exec_lo, s1
	v_cmp_le_i32_e32 vcc_lo, v8, v12
	s_and_b32 s0, vcc_lo, s0
	s_delay_alu instid0(SALU_CYCLE_1)
	s_and_saveexec_b32 s1, s0
	s_cbranch_execz .LBB1170_11
; %bb.10:
	v_ashrrev_i32_e32 v13, 31, v12
	s_delay_alu instid0(VALU_DEP_1) | instskip(NEXT) | instid1(VALU_DEP_1)
	v_lshlrev_b64 v[4:5], 4, v[12:13]
	v_add_co_u32 v4, vcc_lo, v9, v4
	s_delay_alu instid0(VALU_DEP_2)
	v_add_co_ci_u32_e32 v5, vcc_lo, v10, v5, vcc_lo
	global_store_b128 v[4:5], v[0:3], off
.LBB1170_11:
	s_nop 0
	s_sendmsg sendmsg(MSG_DEALLOC_VGPRS)
	s_endpgm
	.section	.rodata,"a",@progbits
	.p2align	6, 0x0
	.amdhsa_kernel _ZL37rocblas_syrkx_herkx_restricted_kernelIl19rocblas_complex_numIdELi16ELi32ELi8ELi1ELi0ELb0ELc67ELc76EKS1_S1_EviT_PT9_S3_lS5_S3_lPT10_S3_li
		.amdhsa_group_segment_fixed_size 8192
		.amdhsa_private_segment_fixed_size 0
		.amdhsa_kernarg_size 92
		.amdhsa_user_sgpr_count 13
		.amdhsa_user_sgpr_dispatch_ptr 0
		.amdhsa_user_sgpr_queue_ptr 0
		.amdhsa_user_sgpr_kernarg_segment_ptr 1
		.amdhsa_user_sgpr_dispatch_id 0
		.amdhsa_user_sgpr_private_segment_size 0
		.amdhsa_wavefront_size32 1
		.amdhsa_uses_dynamic_stack 0
		.amdhsa_enable_private_segment 0
		.amdhsa_system_sgpr_workgroup_id_x 1
		.amdhsa_system_sgpr_workgroup_id_y 1
		.amdhsa_system_sgpr_workgroup_id_z 1
		.amdhsa_system_sgpr_workgroup_info 0
		.amdhsa_system_vgpr_workitem_id 1
		.amdhsa_next_free_vgpr 118
		.amdhsa_next_free_sgpr 32
		.amdhsa_reserve_vcc 1
		.amdhsa_float_round_mode_32 0
		.amdhsa_float_round_mode_16_64 0
		.amdhsa_float_denorm_mode_32 3
		.amdhsa_float_denorm_mode_16_64 3
		.amdhsa_dx10_clamp 1
		.amdhsa_ieee_mode 1
		.amdhsa_fp16_overflow 0
		.amdhsa_workgroup_processor_mode 1
		.amdhsa_memory_ordered 1
		.amdhsa_forward_progress 0
		.amdhsa_shared_vgpr_count 0
		.amdhsa_exception_fp_ieee_invalid_op 0
		.amdhsa_exception_fp_denorm_src 0
		.amdhsa_exception_fp_ieee_div_zero 0
		.amdhsa_exception_fp_ieee_overflow 0
		.amdhsa_exception_fp_ieee_underflow 0
		.amdhsa_exception_fp_ieee_inexact 0
		.amdhsa_exception_int_div_zero 0
	.end_amdhsa_kernel
	.section	.text._ZL37rocblas_syrkx_herkx_restricted_kernelIl19rocblas_complex_numIdELi16ELi32ELi8ELi1ELi0ELb0ELc67ELc76EKS1_S1_EviT_PT9_S3_lS5_S3_lPT10_S3_li,"axG",@progbits,_ZL37rocblas_syrkx_herkx_restricted_kernelIl19rocblas_complex_numIdELi16ELi32ELi8ELi1ELi0ELb0ELc67ELc76EKS1_S1_EviT_PT9_S3_lS5_S3_lPT10_S3_li,comdat
.Lfunc_end1170:
	.size	_ZL37rocblas_syrkx_herkx_restricted_kernelIl19rocblas_complex_numIdELi16ELi32ELi8ELi1ELi0ELb0ELc67ELc76EKS1_S1_EviT_PT9_S3_lS5_S3_lPT10_S3_li, .Lfunc_end1170-_ZL37rocblas_syrkx_herkx_restricted_kernelIl19rocblas_complex_numIdELi16ELi32ELi8ELi1ELi0ELb0ELc67ELc76EKS1_S1_EviT_PT9_S3_lS5_S3_lPT10_S3_li
                                        ; -- End function
	.section	.AMDGPU.csdata,"",@progbits
; Kernel info:
; codeLenInByte = 2964
; NumSgprs: 34
; NumVgprs: 118
; ScratchSize: 0
; MemoryBound: 0
; FloatMode: 240
; IeeeMode: 1
; LDSByteSize: 8192 bytes/workgroup (compile time only)
; SGPRBlocks: 4
; VGPRBlocks: 14
; NumSGPRsForWavesPerEU: 34
; NumVGPRsForWavesPerEU: 118
; Occupancy: 12
; WaveLimiterHint : 1
; COMPUTE_PGM_RSRC2:SCRATCH_EN: 0
; COMPUTE_PGM_RSRC2:USER_SGPR: 13
; COMPUTE_PGM_RSRC2:TRAP_HANDLER: 0
; COMPUTE_PGM_RSRC2:TGID_X_EN: 1
; COMPUTE_PGM_RSRC2:TGID_Y_EN: 1
; COMPUTE_PGM_RSRC2:TGID_Z_EN: 1
; COMPUTE_PGM_RSRC2:TIDIG_COMP_CNT: 1
	.section	.text._ZL37rocblas_syrkx_herkx_restricted_kernelIl19rocblas_complex_numIdELi16ELi32ELi8ELi1ELi0ELb0ELc78ELc76EKS1_S1_EviT_PT9_S3_lS5_S3_lPT10_S3_li,"axG",@progbits,_ZL37rocblas_syrkx_herkx_restricted_kernelIl19rocblas_complex_numIdELi16ELi32ELi8ELi1ELi0ELb0ELc78ELc76EKS1_S1_EviT_PT9_S3_lS5_S3_lPT10_S3_li,comdat
	.globl	_ZL37rocblas_syrkx_herkx_restricted_kernelIl19rocblas_complex_numIdELi16ELi32ELi8ELi1ELi0ELb0ELc78ELc76EKS1_S1_EviT_PT9_S3_lS5_S3_lPT10_S3_li ; -- Begin function _ZL37rocblas_syrkx_herkx_restricted_kernelIl19rocblas_complex_numIdELi16ELi32ELi8ELi1ELi0ELb0ELc78ELc76EKS1_S1_EviT_PT9_S3_lS5_S3_lPT10_S3_li
	.p2align	8
	.type	_ZL37rocblas_syrkx_herkx_restricted_kernelIl19rocblas_complex_numIdELi16ELi32ELi8ELi1ELi0ELb0ELc78ELc76EKS1_S1_EviT_PT9_S3_lS5_S3_lPT10_S3_li,@function
_ZL37rocblas_syrkx_herkx_restricted_kernelIl19rocblas_complex_numIdELi16ELi32ELi8ELi1ELi0ELb0ELc78ELc76EKS1_S1_EviT_PT9_S3_lS5_S3_lPT10_S3_li: ; @_ZL37rocblas_syrkx_herkx_restricted_kernelIl19rocblas_complex_numIdELi16ELi32ELi8ELi1ELi0ELb0ELc78ELc76EKS1_S1_EviT_PT9_S3_lS5_S3_lPT10_S3_li
; %bb.0:
	s_load_b512 s[16:31], s[0:1], 0x8
	v_mov_b32_e32 v12, 0
	v_dual_mov_b32 v13, 0 :: v_dual_and_b32 v20, 0x3ff, v0
	v_bfe_u32 v21, v0, 10, 10
	s_delay_alu instid0(VALU_DEP_3) | instskip(NEXT) | instid1(VALU_DEP_3)
	v_mov_b32_e32 v8, v12
	v_dual_mov_b32 v10, v12 :: v_dual_mov_b32 v11, v13
	v_dual_mov_b32 v15, v13 :: v_dual_mov_b32 v14, v12
	;; [unrolled: 1-line block ×6, first 2 shown]
	v_mov_b32_e32 v3, v13
	s_lshl_b32 s8, s13, 5
	s_waitcnt lgkmcnt(0)
	v_cmp_lt_i64_e64 s2, s[16:17], 1
	s_lshl_b32 s9, s14, 5
	s_delay_alu instid0(VALU_DEP_1)
	s_and_b32 vcc_lo, exec_lo, s2
	s_cbranch_vccnz .LBB1171_3
; %bb.1:
	v_lshl_add_u32 v1, v21, 4, v20
	v_and_b32_e32 v10, 7, v20
	s_mul_i32 s3, s23, s15
	s_mul_hi_u32 s5, s22, s15
	s_mul_i32 s2, s22, s15
	v_and_b32_e32 v9, 31, v1
	v_lshrrev_b32_e32 v11, 3, v1
	v_lshrrev_b32_e32 v12, 5, v1
	s_add_i32 s3, s5, s3
	s_mul_i32 s6, s29, s15
	v_add_nc_u32_e32 v0, s8, v9
	v_add_nc_u32_e32 v2, s9, v11
	s_lshl_b64 s[2:3], s[2:3], 4
	s_mul_hi_u32 s7, s28, s15
	s_add_u32 s10, s18, s2
	v_ashrrev_i32_e32 v1, 31, v0
	v_ashrrev_i32_e32 v3, 31, v2
	s_mul_i32 s4, s28, s15
	s_addc_u32 s11, s19, s3
	s_add_i32 s5, s7, s6
	v_mad_u64_u32 v[4:5], null, v12, s20, v[0:1]
	v_mad_u64_u32 v[0:1], null, v10, s26, v[2:3]
	v_mov_b32_e32 v2, 0
	v_mov_b32_e32 v3, 0
	s_lshl_b64 s[4:5], s[4:5], 4
	s_lshl_b64 s[2:3], s[20:21], 7
	s_delay_alu instid0(VALU_DEP_4) | instskip(NEXT) | instid1(VALU_DEP_4)
	v_mad_u64_u32 v[6:7], null, v12, s21, v[5:6]
	v_mad_u64_u32 v[7:8], null, v10, s27, v[1:2]
	v_lshlrev_b32_e32 v22, 4, v20
	s_add_u32 s4, s24, s4
	s_addc_u32 s5, s25, s5
	v_lshlrev_b32_e32 v13, 4, v10
	s_delay_alu instid0(VALU_DEP_4) | instskip(NEXT) | instid1(VALU_DEP_4)
	v_dual_mov_b32 v5, v6 :: v_dual_lshlrev_b32 v6, 4, v9
	v_mov_b32_e32 v1, v7
	v_mov_b32_e32 v15, v3
	v_lshl_add_u32 v23, v21, 7, 0x1000
	s_delay_alu instid0(VALU_DEP_4) | instskip(SKIP_3) | instid1(VALU_DEP_3)
	v_lshlrev_b64 v[4:5], 4, v[4:5]
	s_mov_b64 s[6:7], 0
	v_lshlrev_b64 v[0:1], 4, v[0:1]
	v_mov_b32_e32 v14, v2
	v_add_co_u32 v4, vcc_lo, s10, v4
	s_delay_alu instid0(VALU_DEP_4) | instskip(NEXT) | instid1(VALU_DEP_4)
	v_add_co_ci_u32_e32 v5, vcc_lo, s11, v5, vcc_lo
	v_add_co_u32 v0, vcc_lo, s4, v0
	v_add_co_ci_u32_e32 v1, vcc_lo, s5, v1, vcc_lo
	s_delay_alu instid0(VALU_DEP_4) | instskip(NEXT) | instid1(VALU_DEP_4)
	v_add_co_u32 v16, vcc_lo, v4, 8
	v_add_co_ci_u32_e32 v17, vcc_lo, 0, v5, vcc_lo
	s_delay_alu instid0(VALU_DEP_4) | instskip(NEXT) | instid1(VALU_DEP_4)
	v_add_co_u32 v18, vcc_lo, v0, 8
	v_add_co_ci_u32_e32 v19, vcc_lo, 0, v1, vcc_lo
	v_mov_b32_e32 v0, v2
	v_lshl_or_b32 v8, v11, 7, v13
	v_mov_b32_e32 v1, v3
	v_lshl_or_b32 v24, v12, 9, v6
	v_mov_b32_e32 v7, v3
	v_mov_b32_e32 v5, v3
	v_dual_mov_b32 v6, v2 :: v_dual_add_nc_u32 v25, 0x1000, v8
	v_mov_b32_e32 v11, v3
	v_mov_b32_e32 v9, v3
	v_dual_mov_b32 v13, v3 :: v_dual_mov_b32 v4, v2
	v_mov_b32_e32 v10, v2
	v_mov_b32_e32 v8, v2
	;; [unrolled: 1-line block ×3, first 2 shown]
	s_lshl_b64 s[4:5], s[26:27], 7
.LBB1171_2:                             ; =>This Inner Loop Header: Depth=1
	global_load_b128 v[26:29], v[16:17], off offset:-8
	global_load_b128 v[30:33], v[18:19], off offset:-8
	s_add_u32 s6, s6, 8
	v_add_co_u32 v16, vcc_lo, v16, s2
	s_addc_u32 s7, s7, 0
	v_add_co_ci_u32_e32 v17, vcc_lo, s3, v17, vcc_lo
	v_cmp_ge_u64_e64 s10, s[6:7], s[16:17]
	v_add_co_u32 v18, vcc_lo, v18, s4
	v_add_co_ci_u32_e32 v19, vcc_lo, s5, v19, vcc_lo
	s_waitcnt vmcnt(1)
	ds_store_b128 v24, v[26:29]
	s_waitcnt vmcnt(0)
	ds_store_b128 v25, v[30:33]
	s_waitcnt lgkmcnt(0)
	s_barrier
	buffer_gl0_inv
	ds_load_b128 v[26:29], v23
	ds_load_b128 v[30:33], v22
	ds_load_b128 v[34:37], v22 offset:256
	ds_load_b128 v[38:41], v23 offset:2048
	ds_load_b128 v[42:45], v23 offset:16
	ds_load_b128 v[46:49], v23 offset:2064
	ds_load_b128 v[50:53], v22 offset:512
	ds_load_b128 v[54:57], v22 offset:768
	ds_load_b128 v[58:61], v23 offset:32
	ds_load_b128 v[62:65], v23 offset:48
	ds_load_b128 v[66:69], v22 offset:1024
	ds_load_b128 v[70:73], v22 offset:1280
	ds_load_b128 v[74:77], v23 offset:2080
	ds_load_b128 v[78:81], v23 offset:2096
	ds_load_b128 v[82:85], v22 offset:1536
	s_and_b32 vcc_lo, exec_lo, s10
	s_waitcnt lgkmcnt(13)
	v_mul_f64 v[86:87], v[28:29], v[32:33]
	v_mul_f64 v[88:89], v[26:27], v[32:33]
	s_waitcnt lgkmcnt(12)
	v_mul_f64 v[90:91], v[28:29], v[36:37]
	v_mul_f64 v[92:93], v[26:27], v[36:37]
	;; [unrolled: 3-line block ×3, first 2 shown]
	v_mul_f64 v[96:97], v[40:41], v[36:37]
	v_mul_f64 v[36:37], v[38:39], v[36:37]
	s_waitcnt lgkmcnt(8)
	v_mul_f64 v[98:99], v[44:45], v[52:53]
	v_mul_f64 v[100:101], v[42:43], v[52:53]
	s_waitcnt lgkmcnt(7)
	v_mul_f64 v[102:103], v[44:45], v[56:57]
	v_mul_f64 v[104:105], v[42:43], v[56:57]
	;; [unrolled: 1-line block ×6, first 2 shown]
	s_waitcnt lgkmcnt(3)
	v_mul_f64 v[112:113], v[58:59], v[72:73]
	s_waitcnt lgkmcnt(2)
	v_mul_f64 v[114:115], v[76:77], v[68:69]
	v_mul_f64 v[116:117], v[76:77], v[72:73]
	v_fma_f64 v[86:87], v[26:27], v[30:31], -v[86:87]
	v_fma_f64 v[88:89], v[28:29], v[30:31], v[88:89]
	v_fma_f64 v[90:91], v[26:27], v[34:35], -v[90:91]
	v_fma_f64 v[92:93], v[28:29], v[34:35], v[92:93]
	;; [unrolled: 2-line block ×4, first 2 shown]
	v_mul_f64 v[36:37], v[60:61], v[68:69]
	v_mul_f64 v[40:41], v[58:59], v[68:69]
	;; [unrolled: 1-line block ×5, first 2 shown]
	v_fma_f64 v[98:99], v[42:43], v[50:51], -v[98:99]
	v_fma_f64 v[100:101], v[44:45], v[50:51], v[100:101]
	v_fma_f64 v[42:43], v[42:43], v[54:55], -v[102:103]
	v_fma_f64 v[44:45], v[44:45], v[54:55], v[104:105]
	;; [unrolled: 2-line block ×4, first 2 shown]
	ds_load_b128 v[26:29], v22 offset:1792
	ds_load_b128 v[30:33], v22 offset:2048
	s_waitcnt lgkmcnt(2)
	v_mul_f64 v[56:57], v[64:65], v[84:85]
	v_add_f64 v[12:13], v[12:13], v[86:87]
	v_add_f64 v[14:15], v[14:15], v[88:89]
	;; [unrolled: 1-line block ×8, first 2 shown]
	v_mul_f64 v[86:87], v[62:63], v[84:85]
	s_waitcnt lgkmcnt(1)
	v_mul_f64 v[88:89], v[64:65], v[28:29]
	v_mul_f64 v[90:91], v[62:63], v[28:29]
	;; [unrolled: 1-line block ×6, first 2 shown]
	v_fma_f64 v[104:105], v[58:59], v[66:67], -v[36:37]
	v_fma_f64 v[106:107], v[60:61], v[66:67], v[40:41]
	v_fma_f64 v[58:59], v[58:59], v[70:71], -v[96:97]
	v_fma_f64 v[60:61], v[60:61], v[70:71], v[112:113]
	;; [unrolled: 2-line block ×4, first 2 shown]
	ds_load_b128 v[0:3], v22 offset:2304
	ds_load_b128 v[4:7], v23 offset:64
	v_fma_f64 v[56:57], v[62:63], v[82:83], -v[56:57]
	v_add_f64 v[72:73], v[12:13], v[98:99]
	v_add_f64 v[74:75], v[14:15], v[100:101]
	;; [unrolled: 1-line block ×8, first 2 shown]
	ds_load_b128 v[8:11], v23 offset:2112
	ds_load_b128 v[12:15], v23 offset:80
	;; [unrolled: 1-line block ×4, first 2 shown]
	s_waitcnt lgkmcnt(4)
	v_mul_f64 v[54:55], v[6:7], v[32:33]
	v_mul_f64 v[76:77], v[4:5], v[32:33]
	v_mul_f64 v[98:99], v[6:7], v[2:3]
	v_mul_f64 v[100:101], v[4:5], v[2:3]
	v_fma_f64 v[86:87], v[64:65], v[82:83], v[86:87]
	v_fma_f64 v[62:63], v[62:63], v[26:27], -v[88:89]
	v_fma_f64 v[64:65], v[64:65], v[26:27], v[90:91]
	v_fma_f64 v[88:89], v[78:79], v[82:83], -v[92:93]
	v_fma_f64 v[82:83], v[80:81], v[82:83], v[84:85]
	v_fma_f64 v[78:79], v[78:79], v[26:27], -v[94:95]
	v_fma_f64 v[80:81], v[80:81], v[26:27], v[28:29]
	s_waitcnt lgkmcnt(3)
	v_mul_f64 v[102:103], v[10:11], v[32:33]
	v_mul_f64 v[32:33], v[8:9], v[32:33]
	;; [unrolled: 1-line block ×4, first 2 shown]
	s_waitcnt lgkmcnt(0)
	v_mul_f64 v[90:91], v[14:15], v[40:41]
	v_mul_f64 v[92:93], v[12:13], v[40:41]
	v_add_f64 v[72:73], v[72:73], v[104:105]
	v_add_f64 v[74:75], v[74:75], v[106:107]
	;; [unrolled: 1-line block ×8, first 2 shown]
	ds_load_b128 v[26:29], v22 offset:2816
	ds_load_b128 v[42:45], v22 offset:3072
	;; [unrolled: 1-line block ×4, first 2 shown]
	v_mul_f64 v[104:105], v[36:37], v[40:41]
	v_mul_f64 v[40:41], v[34:35], v[40:41]
	v_fma_f64 v[54:55], v[4:5], v[30:31], -v[54:55]
	v_fma_f64 v[76:77], v[6:7], v[30:31], v[76:77]
	v_fma_f64 v[98:99], v[4:5], v[0:1], -v[98:99]
	v_fma_f64 v[100:101], v[6:7], v[0:1], v[100:101]
	s_waitcnt lgkmcnt(3)
	v_mul_f64 v[94:95], v[14:15], v[28:29]
	v_mul_f64 v[96:97], v[12:13], v[28:29]
	;; [unrolled: 1-line block ×4, first 2 shown]
	v_fma_f64 v[102:103], v[8:9], v[30:31], -v[102:103]
	v_fma_f64 v[32:33], v[10:11], v[30:31], v[32:33]
	v_fma_f64 v[108:109], v[8:9], v[0:1], -v[108:109]
	v_fma_f64 v[112:113], v[10:11], v[0:1], v[2:3]
	ds_load_b128 v[0:3], v23 offset:2144
	ds_load_b128 v[4:7], v23 offset:112
	;; [unrolled: 1-line block ×4, first 2 shown]
	v_add_f64 v[56:57], v[72:73], v[56:57]
	v_add_f64 v[72:73], v[74:75], v[86:87]
	;; [unrolled: 1-line block ×8, first 2 shown]
	s_waitcnt lgkmcnt(4)
	v_mul_f64 v[70:71], v[52:53], v[44:45]
	v_mul_f64 v[74:75], v[50:51], v[44:45]
	;; [unrolled: 1-line block ×4, first 2 shown]
	s_waitcnt lgkmcnt(3)
	v_mul_f64 v[82:83], v[2:3], v[44:45]
	v_mul_f64 v[44:45], v[0:1], v[44:45]
	;; [unrolled: 1-line block ×4, first 2 shown]
	v_fma_f64 v[86:87], v[12:13], v[38:39], -v[90:91]
	v_fma_f64 v[88:89], v[14:15], v[38:39], v[92:93]
	v_fma_f64 v[90:91], v[12:13], v[26:27], -v[94:95]
	v_fma_f64 v[92:93], v[14:15], v[26:27], v[96:97]
	v_fma_f64 v[94:95], v[34:35], v[38:39], -v[104:105]
	v_fma_f64 v[38:39], v[36:37], v[38:39], v[40:41]
	v_fma_f64 v[34:35], v[34:35], v[26:27], -v[106:107]
	v_fma_f64 v[26:27], v[36:37], v[26:27], v[110:111]
	ds_load_b128 v[12:15], v22 offset:3840
	s_waitcnt lgkmcnt(0)
	s_barrier
	buffer_gl0_inv
	v_add_f64 v[36:37], v[56:57], v[54:55]
	v_add_f64 v[40:41], v[72:73], v[76:77]
	;; [unrolled: 1-line block ×8, first 2 shown]
	v_mul_f64 v[64:65], v[6:7], v[30:31]
	v_mul_f64 v[66:67], v[4:5], v[30:31]
	;; [unrolled: 1-line block ×4, first 2 shown]
	v_fma_f64 v[70:71], v[50:51], v[42:43], -v[70:71]
	v_mul_f64 v[68:69], v[6:7], v[14:15]
	v_mul_f64 v[72:73], v[4:5], v[14:15]
	;; [unrolled: 1-line block ×4, first 2 shown]
	v_fma_f64 v[74:75], v[52:53], v[42:43], v[74:75]
	v_fma_f64 v[50:51], v[50:51], v[46:47], -v[78:79]
	v_fma_f64 v[52:53], v[52:53], v[46:47], v[80:81]
	v_fma_f64 v[78:79], v[0:1], v[42:43], -v[82:83]
	;; [unrolled: 2-line block ×3, first 2 shown]
	v_fma_f64 v[2:3], v[2:3], v[46:47], v[48:49]
	v_add_f64 v[36:37], v[36:37], v[86:87]
	v_add_f64 v[40:41], v[40:41], v[88:89]
	;; [unrolled: 1-line block ×8, first 2 shown]
	v_fma_f64 v[38:39], v[4:5], v[28:29], -v[64:65]
	v_fma_f64 v[54:55], v[6:7], v[28:29], v[66:67]
	v_fma_f64 v[56:57], v[8:9], v[28:29], -v[76:77]
	v_fma_f64 v[28:29], v[10:11], v[28:29], v[30:31]
	;; [unrolled: 2-line block ×4, first 2 shown]
	v_add_f64 v[8:9], v[36:37], v[70:71]
	v_add_f64 v[10:11], v[40:41], v[74:75]
	;; [unrolled: 1-line block ×16, first 2 shown]
	s_cbranch_vccz .LBB1171_2
.LBB1171_3:
	s_load_b128 s[4:7], s[0:1], 0x48
	v_add_nc_u32_e32 v18, s9, v21
	s_load_b32 s9, s[0:1], 0x0
	s_delay_alu instid0(VALU_DEP_1) | instskip(SKIP_1) | instid1(VALU_DEP_1)
	v_ashrrev_i32_e32 v16, 31, v18
	s_waitcnt lgkmcnt(0)
	v_mul_lo_u32 v17, v16, s4
	v_mul_lo_u32 v19, v18, s5
	v_mad_u64_u32 v[21:22], null, v18, s4, 0
	s_mul_i32 s1, s15, s7
	s_mul_hi_u32 s3, s15, s6
	v_add_nc_u32_e32 v16, s8, v20
	s_mul_i32 s2, s15, s6
	s_add_i32 s3, s3, s1
	s_delay_alu instid0(VALU_DEP_2)
	v_add3_u32 v22, v22, v19, v17
	s_lshl_b64 s[2:3], s[2:3], 4
	v_cmp_le_i32_e64 s0, v18, v16
	s_add_u32 s2, s30, s2
	v_cmp_gt_i32_e32 vcc_lo, s9, v16
	v_lshlrev_b64 v[19:20], 4, v[21:22]
	s_addc_u32 s3, s31, s3
	s_and_b32 s0, s0, vcc_lo
	s_delay_alu instid0(VALU_DEP_1) | instskip(NEXT) | instid1(VALU_DEP_1)
	v_add_co_u32 v19, s1, s2, v19
	v_add_co_ci_u32_e64 v20, s1, s3, v20, s1
	s_and_saveexec_b32 s1, s0
	s_cbranch_execz .LBB1171_5
; %bb.4:
	v_ashrrev_i32_e32 v17, 31, v16
	s_delay_alu instid0(VALU_DEP_1) | instskip(NEXT) | instid1(VALU_DEP_1)
	v_lshlrev_b64 v[21:22], 4, v[16:17]
	v_add_co_u32 v21, s0, v19, v21
	s_delay_alu instid0(VALU_DEP_1)
	v_add_co_ci_u32_e64 v22, s0, v20, v22, s0
	global_store_b128 v[21:22], v[12:15], off
.LBB1171_5:
	s_or_b32 exec_lo, exec_lo, s1
	v_add_nc_u32_e32 v12, 16, v16
	s_delay_alu instid0(VALU_DEP_1) | instskip(SKIP_1) | instid1(VALU_DEP_1)
	v_cmp_le_i32_e64 s1, v18, v12
	v_cmp_gt_i32_e64 s0, s9, v12
	s_and_b32 s1, s1, s0
	s_delay_alu instid0(SALU_CYCLE_1)
	s_and_saveexec_b32 s6, s1
	s_cbranch_execz .LBB1171_7
; %bb.6:
	v_ashrrev_i32_e32 v13, 31, v12
	s_delay_alu instid0(VALU_DEP_1) | instskip(NEXT) | instid1(VALU_DEP_1)
	v_lshlrev_b64 v[13:14], 4, v[12:13]
	v_add_co_u32 v13, s1, v19, v13
	s_delay_alu instid0(VALU_DEP_1)
	v_add_co_ci_u32_e64 v14, s1, v20, v14, s1
	global_store_b128 v[13:14], v[8:11], off
.LBB1171_7:
	s_or_b32 exec_lo, exec_lo, s6
	v_add_nc_u32_e32 v8, 16, v18
	s_delay_alu instid0(VALU_DEP_1) | instskip(SKIP_3) | instid1(VALU_DEP_4)
	v_ashrrev_i32_e32 v11, 31, v8
	v_mul_lo_u32 v13, v8, s5
	v_mad_u64_u32 v[9:10], null, v8, s4, 0
	v_cmp_le_i32_e64 s1, v8, v16
	v_mul_lo_u32 v11, v11, s4
	s_delay_alu instid0(VALU_DEP_1) | instskip(NEXT) | instid1(VALU_DEP_1)
	v_add3_u32 v10, v10, v13, v11
	v_lshlrev_b64 v[9:10], 4, v[9:10]
	s_delay_alu instid0(VALU_DEP_1) | instskip(NEXT) | instid1(VALU_DEP_1)
	v_add_co_u32 v9, s2, s2, v9
	v_add_co_ci_u32_e64 v10, s2, s3, v10, s2
	s_and_b32 s2, s1, vcc_lo
	s_delay_alu instid0(SALU_CYCLE_1)
	s_and_saveexec_b32 s1, s2
	s_cbranch_execz .LBB1171_9
; %bb.8:
	v_ashrrev_i32_e32 v17, 31, v16
	s_delay_alu instid0(VALU_DEP_1) | instskip(NEXT) | instid1(VALU_DEP_1)
	v_lshlrev_b64 v[13:14], 4, v[16:17]
	v_add_co_u32 v13, vcc_lo, v9, v13
	s_delay_alu instid0(VALU_DEP_2)
	v_add_co_ci_u32_e32 v14, vcc_lo, v10, v14, vcc_lo
	global_store_b128 v[13:14], v[4:7], off
.LBB1171_9:
	s_or_b32 exec_lo, exec_lo, s1
	v_cmp_le_i32_e32 vcc_lo, v8, v12
	s_and_b32 s0, vcc_lo, s0
	s_delay_alu instid0(SALU_CYCLE_1)
	s_and_saveexec_b32 s1, s0
	s_cbranch_execz .LBB1171_11
; %bb.10:
	v_ashrrev_i32_e32 v13, 31, v12
	s_delay_alu instid0(VALU_DEP_1) | instskip(NEXT) | instid1(VALU_DEP_1)
	v_lshlrev_b64 v[4:5], 4, v[12:13]
	v_add_co_u32 v4, vcc_lo, v9, v4
	s_delay_alu instid0(VALU_DEP_2)
	v_add_co_ci_u32_e32 v5, vcc_lo, v10, v5, vcc_lo
	global_store_b128 v[4:5], v[0:3], off
.LBB1171_11:
	s_nop 0
	s_sendmsg sendmsg(MSG_DEALLOC_VGPRS)
	s_endpgm
	.section	.rodata,"a",@progbits
	.p2align	6, 0x0
	.amdhsa_kernel _ZL37rocblas_syrkx_herkx_restricted_kernelIl19rocblas_complex_numIdELi16ELi32ELi8ELi1ELi0ELb0ELc78ELc76EKS1_S1_EviT_PT9_S3_lS5_S3_lPT10_S3_li
		.amdhsa_group_segment_fixed_size 8192
		.amdhsa_private_segment_fixed_size 0
		.amdhsa_kernarg_size 92
		.amdhsa_user_sgpr_count 13
		.amdhsa_user_sgpr_dispatch_ptr 0
		.amdhsa_user_sgpr_queue_ptr 0
		.amdhsa_user_sgpr_kernarg_segment_ptr 1
		.amdhsa_user_sgpr_dispatch_id 0
		.amdhsa_user_sgpr_private_segment_size 0
		.amdhsa_wavefront_size32 1
		.amdhsa_uses_dynamic_stack 0
		.amdhsa_enable_private_segment 0
		.amdhsa_system_sgpr_workgroup_id_x 1
		.amdhsa_system_sgpr_workgroup_id_y 1
		.amdhsa_system_sgpr_workgroup_id_z 1
		.amdhsa_system_sgpr_workgroup_info 0
		.amdhsa_system_vgpr_workitem_id 1
		.amdhsa_next_free_vgpr 118
		.amdhsa_next_free_sgpr 32
		.amdhsa_reserve_vcc 1
		.amdhsa_float_round_mode_32 0
		.amdhsa_float_round_mode_16_64 0
		.amdhsa_float_denorm_mode_32 3
		.amdhsa_float_denorm_mode_16_64 3
		.amdhsa_dx10_clamp 1
		.amdhsa_ieee_mode 1
		.amdhsa_fp16_overflow 0
		.amdhsa_workgroup_processor_mode 1
		.amdhsa_memory_ordered 1
		.amdhsa_forward_progress 0
		.amdhsa_shared_vgpr_count 0
		.amdhsa_exception_fp_ieee_invalid_op 0
		.amdhsa_exception_fp_denorm_src 0
		.amdhsa_exception_fp_ieee_div_zero 0
		.amdhsa_exception_fp_ieee_overflow 0
		.amdhsa_exception_fp_ieee_underflow 0
		.amdhsa_exception_fp_ieee_inexact 0
		.amdhsa_exception_int_div_zero 0
	.end_amdhsa_kernel
	.section	.text._ZL37rocblas_syrkx_herkx_restricted_kernelIl19rocblas_complex_numIdELi16ELi32ELi8ELi1ELi0ELb0ELc78ELc76EKS1_S1_EviT_PT9_S3_lS5_S3_lPT10_S3_li,"axG",@progbits,_ZL37rocblas_syrkx_herkx_restricted_kernelIl19rocblas_complex_numIdELi16ELi32ELi8ELi1ELi0ELb0ELc78ELc76EKS1_S1_EviT_PT9_S3_lS5_S3_lPT10_S3_li,comdat
.Lfunc_end1171:
	.size	_ZL37rocblas_syrkx_herkx_restricted_kernelIl19rocblas_complex_numIdELi16ELi32ELi8ELi1ELi0ELb0ELc78ELc76EKS1_S1_EviT_PT9_S3_lS5_S3_lPT10_S3_li, .Lfunc_end1171-_ZL37rocblas_syrkx_herkx_restricted_kernelIl19rocblas_complex_numIdELi16ELi32ELi8ELi1ELi0ELb0ELc78ELc76EKS1_S1_EviT_PT9_S3_lS5_S3_lPT10_S3_li
                                        ; -- End function
	.section	.AMDGPU.csdata,"",@progbits
; Kernel info:
; codeLenInByte = 2948
; NumSgprs: 34
; NumVgprs: 118
; ScratchSize: 0
; MemoryBound: 0
; FloatMode: 240
; IeeeMode: 1
; LDSByteSize: 8192 bytes/workgroup (compile time only)
; SGPRBlocks: 4
; VGPRBlocks: 14
; NumSGPRsForWavesPerEU: 34
; NumVGPRsForWavesPerEU: 118
; Occupancy: 12
; WaveLimiterHint : 1
; COMPUTE_PGM_RSRC2:SCRATCH_EN: 0
; COMPUTE_PGM_RSRC2:USER_SGPR: 13
; COMPUTE_PGM_RSRC2:TRAP_HANDLER: 0
; COMPUTE_PGM_RSRC2:TGID_X_EN: 1
; COMPUTE_PGM_RSRC2:TGID_Y_EN: 1
; COMPUTE_PGM_RSRC2:TGID_Z_EN: 1
; COMPUTE_PGM_RSRC2:TIDIG_COMP_CNT: 1
	.section	.text._ZL37rocblas_syrkx_herkx_restricted_kernelIl19rocblas_complex_numIdELi16ELi32ELi8ELi1ELi0ELb0ELc84ELc85EKS1_S1_EviT_PT9_S3_lS5_S3_lPT10_S3_li,"axG",@progbits,_ZL37rocblas_syrkx_herkx_restricted_kernelIl19rocblas_complex_numIdELi16ELi32ELi8ELi1ELi0ELb0ELc84ELc85EKS1_S1_EviT_PT9_S3_lS5_S3_lPT10_S3_li,comdat
	.globl	_ZL37rocblas_syrkx_herkx_restricted_kernelIl19rocblas_complex_numIdELi16ELi32ELi8ELi1ELi0ELb0ELc84ELc85EKS1_S1_EviT_PT9_S3_lS5_S3_lPT10_S3_li ; -- Begin function _ZL37rocblas_syrkx_herkx_restricted_kernelIl19rocblas_complex_numIdELi16ELi32ELi8ELi1ELi0ELb0ELc84ELc85EKS1_S1_EviT_PT9_S3_lS5_S3_lPT10_S3_li
	.p2align	8
	.type	_ZL37rocblas_syrkx_herkx_restricted_kernelIl19rocblas_complex_numIdELi16ELi32ELi8ELi1ELi0ELb0ELc84ELc85EKS1_S1_EviT_PT9_S3_lS5_S3_lPT10_S3_li,@function
_ZL37rocblas_syrkx_herkx_restricted_kernelIl19rocblas_complex_numIdELi16ELi32ELi8ELi1ELi0ELb0ELc84ELc85EKS1_S1_EviT_PT9_S3_lS5_S3_lPT10_S3_li: ; @_ZL37rocblas_syrkx_herkx_restricted_kernelIl19rocblas_complex_numIdELi16ELi32ELi8ELi1ELi0ELb0ELc84ELc85EKS1_S1_EviT_PT9_S3_lS5_S3_lPT10_S3_li
; %bb.0:
	s_load_b512 s[16:31], s[0:1], 0x8
	v_mov_b32_e32 v12, 0
	v_dual_mov_b32 v13, 0 :: v_dual_and_b32 v20, 0x3ff, v0
	v_bfe_u32 v21, v0, 10, 10
	s_delay_alu instid0(VALU_DEP_3) | instskip(NEXT) | instid1(VALU_DEP_3)
	v_mov_b32_e32 v8, v12
	v_dual_mov_b32 v10, v12 :: v_dual_mov_b32 v11, v13
	v_dual_mov_b32 v15, v13 :: v_dual_mov_b32 v14, v12
	;; [unrolled: 1-line block ×6, first 2 shown]
	v_mov_b32_e32 v3, v13
	s_lshl_b32 s8, s13, 5
	s_waitcnt lgkmcnt(0)
	v_cmp_lt_i64_e64 s2, s[16:17], 1
	s_lshl_b32 s9, s14, 5
	s_delay_alu instid0(VALU_DEP_1)
	s_and_b32 vcc_lo, exec_lo, s2
	s_cbranch_vccnz .LBB1172_3
; %bb.1:
	v_lshl_add_u32 v2, v21, 4, v20
	v_dual_mov_b32 v1, 0 :: v_dual_and_b32 v0, 7, v20
	v_lshlrev_b32_e32 v22, 4, v20
	s_mul_i32 s3, s23, s15
	s_delay_alu instid0(VALU_DEP_3)
	v_and_b32_e32 v8, 31, v2
	v_lshrrev_b32_e32 v9, 3, v2
	v_lshrrev_b32_e32 v2, 5, v2
	v_mov_b32_e32 v3, v1
	v_lshlrev_b32_e32 v11, 4, v0
	v_add_nc_u32_e32 v6, s8, v8
	v_add_nc_u32_e32 v10, s9, v9
	s_mul_hi_u32 s4, s22, s15
	s_mul_i32 s2, s22, s15
	s_add_i32 s3, s4, s3
	v_ashrrev_i32_e32 v7, 31, v6
	v_ashrrev_i32_e32 v12, 31, v10
	v_mad_u64_u32 v[4:5], null, s20, v6, v[2:3]
	v_mul_lo_u32 v3, s21, v6
	s_delay_alu instid0(VALU_DEP_4)
	v_mul_lo_u32 v13, s20, v7
	v_mul_lo_u32 v14, v10, s27
	v_mad_u64_u32 v[6:7], null, v10, s26, v[0:1]
	v_mul_lo_u32 v0, v12, s26
	v_lshlrev_b32_e32 v1, 4, v8
	s_lshl_b64 s[2:3], s[2:3], 4
	s_mul_hi_u32 s5, s28, s15
	v_add3_u32 v5, v3, v5, v13
	s_add_u32 s4, s18, s2
	v_lshl_or_b32 v23, v2, 9, v1
	s_mul_i32 s2, s29, s15
	v_add3_u32 v7, v0, v7, v14
	v_lshlrev_b64 v[0:1], 4, v[4:5]
	s_addc_u32 s6, s19, s3
	s_add_i32 s3, s5, s2
	s_mul_i32 s2, s28, s15
	v_lshlrev_b64 v[2:3], 4, v[6:7]
	s_lshl_b64 s[2:3], s[2:3], 4
	v_add_co_u32 v0, vcc_lo, s4, v0
	s_add_u32 s2, s24, s2
	v_add_co_ci_u32_e32 v1, vcc_lo, s6, v1, vcc_lo
	s_addc_u32 s3, s25, s3
	v_add_co_u32 v4, vcc_lo, s2, v2
	v_add_co_ci_u32_e32 v5, vcc_lo, s3, v3, vcc_lo
	v_mov_b32_e32 v2, 0
	v_lshl_or_b32 v8, v9, 7, v11
	v_mov_b32_e32 v3, 0
	v_add_co_u32 v16, vcc_lo, v0, 8
	v_add_co_ci_u32_e32 v17, vcc_lo, 0, v1, vcc_lo
	v_add_co_u32 v18, vcc_lo, v4, 8
	v_add_nc_u32_e32 v24, 0x1000, v8
	v_add_co_ci_u32_e32 v19, vcc_lo, 0, v5, vcc_lo
	v_dual_mov_b32 v5, v3 :: v_dual_mov_b32 v0, v2
	v_dual_mov_b32 v11, v3 :: v_dual_mov_b32 v4, v2
	v_mov_b32_e32 v9, v3
	v_dual_mov_b32 v7, v3 :: v_dual_mov_b32 v10, v2
	v_dual_mov_b32 v15, v3 :: v_dual_mov_b32 v8, v2
	v_mov_b32_e32 v13, v3
	v_lshl_add_u32 v25, v21, 7, 0x1000
	v_dual_mov_b32 v1, v3 :: v_dual_mov_b32 v6, v2
	v_mov_b32_e32 v14, v2
	v_mov_b32_e32 v12, v2
	s_mov_b64 s[2:3], 0
.LBB1172_2:                             ; =>This Inner Loop Header: Depth=1
	global_load_b128 v[26:29], v[16:17], off offset:-8
	global_load_b128 v[30:33], v[18:19], off offset:-8
	s_add_u32 s2, s2, 8
	v_add_co_u32 v16, vcc_lo, 0x80, v16
	s_addc_u32 s3, s3, 0
	v_add_co_ci_u32_e32 v17, vcc_lo, 0, v17, vcc_lo
	v_cmp_ge_u64_e64 s4, s[2:3], s[16:17]
	v_add_co_u32 v18, vcc_lo, 0x80, v18
	v_add_co_ci_u32_e32 v19, vcc_lo, 0, v19, vcc_lo
	s_waitcnt vmcnt(1)
	ds_store_b128 v23, v[26:29]
	s_waitcnt vmcnt(0)
	ds_store_b128 v24, v[30:33]
	s_waitcnt lgkmcnt(0)
	s_barrier
	buffer_gl0_inv
	ds_load_b128 v[26:29], v25
	ds_load_b128 v[30:33], v22
	ds_load_b128 v[34:37], v22 offset:256
	ds_load_b128 v[38:41], v25 offset:2048
	;; [unrolled: 1-line block ×13, first 2 shown]
	s_and_b32 vcc_lo, exec_lo, s4
	s_waitcnt lgkmcnt(13)
	v_mul_f64 v[86:87], v[28:29], v[32:33]
	v_mul_f64 v[88:89], v[26:27], v[32:33]
	s_waitcnt lgkmcnt(12)
	v_mul_f64 v[90:91], v[28:29], v[36:37]
	v_mul_f64 v[92:93], v[26:27], v[36:37]
	;; [unrolled: 3-line block ×3, first 2 shown]
	v_mul_f64 v[96:97], v[40:41], v[36:37]
	v_mul_f64 v[36:37], v[38:39], v[36:37]
	s_waitcnt lgkmcnt(8)
	v_mul_f64 v[98:99], v[44:45], v[52:53]
	v_mul_f64 v[100:101], v[42:43], v[52:53]
	s_waitcnt lgkmcnt(7)
	v_mul_f64 v[102:103], v[44:45], v[56:57]
	v_mul_f64 v[104:105], v[42:43], v[56:57]
	v_mul_f64 v[106:107], v[48:49], v[52:53]
	v_mul_f64 v[52:53], v[46:47], v[52:53]
	v_mul_f64 v[108:109], v[48:49], v[56:57]
	v_mul_f64 v[56:57], v[46:47], v[56:57]
	s_waitcnt lgkmcnt(3)
	v_mul_f64 v[112:113], v[58:59], v[72:73]
	s_waitcnt lgkmcnt(2)
	v_mul_f64 v[114:115], v[76:77], v[68:69]
	v_mul_f64 v[116:117], v[76:77], v[72:73]
	v_fma_f64 v[86:87], v[26:27], v[30:31], -v[86:87]
	v_fma_f64 v[88:89], v[28:29], v[30:31], v[88:89]
	v_fma_f64 v[90:91], v[26:27], v[34:35], -v[90:91]
	v_fma_f64 v[92:93], v[28:29], v[34:35], v[92:93]
	v_fma_f64 v[94:95], v[38:39], v[30:31], -v[94:95]
	v_fma_f64 v[110:111], v[40:41], v[30:31], v[32:33]
	v_fma_f64 v[38:39], v[38:39], v[34:35], -v[96:97]
	v_fma_f64 v[34:35], v[40:41], v[34:35], v[36:37]
	v_mul_f64 v[36:37], v[60:61], v[68:69]
	v_mul_f64 v[40:41], v[58:59], v[68:69]
	;; [unrolled: 1-line block ×5, first 2 shown]
	v_fma_f64 v[98:99], v[42:43], v[50:51], -v[98:99]
	v_fma_f64 v[100:101], v[44:45], v[50:51], v[100:101]
	v_fma_f64 v[42:43], v[42:43], v[54:55], -v[102:103]
	v_fma_f64 v[44:45], v[44:45], v[54:55], v[104:105]
	;; [unrolled: 2-line block ×4, first 2 shown]
	ds_load_b128 v[26:29], v22 offset:1792
	ds_load_b128 v[30:33], v22 offset:2048
	s_waitcnt lgkmcnt(2)
	v_mul_f64 v[56:57], v[64:65], v[84:85]
	v_add_f64 v[12:13], v[12:13], v[86:87]
	v_add_f64 v[14:15], v[14:15], v[88:89]
	;; [unrolled: 1-line block ×8, first 2 shown]
	v_mul_f64 v[86:87], v[62:63], v[84:85]
	s_waitcnt lgkmcnt(1)
	v_mul_f64 v[88:89], v[64:65], v[28:29]
	v_mul_f64 v[90:91], v[62:63], v[28:29]
	;; [unrolled: 1-line block ×6, first 2 shown]
	v_fma_f64 v[104:105], v[58:59], v[66:67], -v[36:37]
	v_fma_f64 v[106:107], v[60:61], v[66:67], v[40:41]
	v_fma_f64 v[58:59], v[58:59], v[70:71], -v[96:97]
	v_fma_f64 v[60:61], v[60:61], v[70:71], v[112:113]
	;; [unrolled: 2-line block ×4, first 2 shown]
	ds_load_b128 v[0:3], v22 offset:2304
	ds_load_b128 v[4:7], v25 offset:64
	v_fma_f64 v[56:57], v[62:63], v[82:83], -v[56:57]
	v_add_f64 v[72:73], v[12:13], v[98:99]
	v_add_f64 v[74:75], v[14:15], v[100:101]
	v_add_f64 v[42:43], v[8:9], v[42:43]
	v_add_f64 v[44:45], v[10:11], v[44:45]
	v_add_f64 v[52:53], v[52:53], v[102:103]
	v_add_f64 v[50:51], v[54:55], v[50:51]
	v_add_f64 v[46:47], v[38:39], v[46:47]
	v_add_f64 v[48:49], v[34:35], v[48:49]
	ds_load_b128 v[8:11], v25 offset:2112
	ds_load_b128 v[12:15], v25 offset:80
	;; [unrolled: 1-line block ×4, first 2 shown]
	s_waitcnt lgkmcnt(4)
	v_mul_f64 v[54:55], v[6:7], v[32:33]
	v_mul_f64 v[76:77], v[4:5], v[32:33]
	;; [unrolled: 1-line block ×4, first 2 shown]
	v_fma_f64 v[86:87], v[64:65], v[82:83], v[86:87]
	v_fma_f64 v[62:63], v[62:63], v[26:27], -v[88:89]
	v_fma_f64 v[64:65], v[64:65], v[26:27], v[90:91]
	v_fma_f64 v[88:89], v[78:79], v[82:83], -v[92:93]
	;; [unrolled: 2-line block ×3, first 2 shown]
	v_fma_f64 v[80:81], v[80:81], v[26:27], v[28:29]
	s_waitcnt lgkmcnt(3)
	v_mul_f64 v[102:103], v[10:11], v[32:33]
	v_mul_f64 v[32:33], v[8:9], v[32:33]
	;; [unrolled: 1-line block ×4, first 2 shown]
	s_waitcnt lgkmcnt(0)
	v_mul_f64 v[90:91], v[14:15], v[40:41]
	v_mul_f64 v[92:93], v[12:13], v[40:41]
	v_add_f64 v[72:73], v[72:73], v[104:105]
	v_add_f64 v[74:75], v[74:75], v[106:107]
	;; [unrolled: 1-line block ×8, first 2 shown]
	ds_load_b128 v[26:29], v22 offset:2816
	ds_load_b128 v[42:45], v22 offset:3072
	;; [unrolled: 1-line block ×4, first 2 shown]
	v_mul_f64 v[104:105], v[36:37], v[40:41]
	v_mul_f64 v[40:41], v[34:35], v[40:41]
	v_fma_f64 v[54:55], v[4:5], v[30:31], -v[54:55]
	v_fma_f64 v[76:77], v[6:7], v[30:31], v[76:77]
	v_fma_f64 v[98:99], v[4:5], v[0:1], -v[98:99]
	v_fma_f64 v[100:101], v[6:7], v[0:1], v[100:101]
	s_waitcnt lgkmcnt(3)
	v_mul_f64 v[94:95], v[14:15], v[28:29]
	v_mul_f64 v[96:97], v[12:13], v[28:29]
	;; [unrolled: 1-line block ×4, first 2 shown]
	v_fma_f64 v[102:103], v[8:9], v[30:31], -v[102:103]
	v_fma_f64 v[32:33], v[10:11], v[30:31], v[32:33]
	v_fma_f64 v[108:109], v[8:9], v[0:1], -v[108:109]
	v_fma_f64 v[112:113], v[10:11], v[0:1], v[2:3]
	ds_load_b128 v[0:3], v25 offset:2144
	ds_load_b128 v[4:7], v25 offset:112
	;; [unrolled: 1-line block ×4, first 2 shown]
	v_add_f64 v[56:57], v[72:73], v[56:57]
	v_add_f64 v[72:73], v[74:75], v[86:87]
	;; [unrolled: 1-line block ×8, first 2 shown]
	s_waitcnt lgkmcnt(4)
	v_mul_f64 v[70:71], v[52:53], v[44:45]
	v_mul_f64 v[74:75], v[50:51], v[44:45]
	;; [unrolled: 1-line block ×4, first 2 shown]
	s_waitcnt lgkmcnt(3)
	v_mul_f64 v[82:83], v[2:3], v[44:45]
	v_mul_f64 v[44:45], v[0:1], v[44:45]
	;; [unrolled: 1-line block ×4, first 2 shown]
	v_fma_f64 v[86:87], v[12:13], v[38:39], -v[90:91]
	v_fma_f64 v[88:89], v[14:15], v[38:39], v[92:93]
	v_fma_f64 v[90:91], v[12:13], v[26:27], -v[94:95]
	v_fma_f64 v[92:93], v[14:15], v[26:27], v[96:97]
	;; [unrolled: 2-line block ×4, first 2 shown]
	ds_load_b128 v[12:15], v22 offset:3840
	s_waitcnt lgkmcnt(0)
	s_barrier
	buffer_gl0_inv
	v_add_f64 v[36:37], v[56:57], v[54:55]
	v_add_f64 v[40:41], v[72:73], v[76:77]
	;; [unrolled: 1-line block ×8, first 2 shown]
	v_mul_f64 v[64:65], v[6:7], v[30:31]
	v_mul_f64 v[66:67], v[4:5], v[30:31]
	;; [unrolled: 1-line block ×4, first 2 shown]
	v_fma_f64 v[70:71], v[50:51], v[42:43], -v[70:71]
	v_mul_f64 v[68:69], v[6:7], v[14:15]
	v_mul_f64 v[72:73], v[4:5], v[14:15]
	;; [unrolled: 1-line block ×4, first 2 shown]
	v_fma_f64 v[74:75], v[52:53], v[42:43], v[74:75]
	v_fma_f64 v[50:51], v[50:51], v[46:47], -v[78:79]
	v_fma_f64 v[52:53], v[52:53], v[46:47], v[80:81]
	v_fma_f64 v[78:79], v[0:1], v[42:43], -v[82:83]
	;; [unrolled: 2-line block ×3, first 2 shown]
	v_fma_f64 v[2:3], v[2:3], v[46:47], v[48:49]
	v_add_f64 v[36:37], v[36:37], v[86:87]
	v_add_f64 v[40:41], v[40:41], v[88:89]
	;; [unrolled: 1-line block ×8, first 2 shown]
	v_fma_f64 v[38:39], v[4:5], v[28:29], -v[64:65]
	v_fma_f64 v[54:55], v[6:7], v[28:29], v[66:67]
	v_fma_f64 v[56:57], v[8:9], v[28:29], -v[76:77]
	v_fma_f64 v[28:29], v[10:11], v[28:29], v[30:31]
	;; [unrolled: 2-line block ×4, first 2 shown]
	v_add_f64 v[8:9], v[36:37], v[70:71]
	v_add_f64 v[10:11], v[40:41], v[74:75]
	;; [unrolled: 1-line block ×16, first 2 shown]
	s_cbranch_vccz .LBB1172_2
.LBB1172_3:
	s_clause 0x1
	s_load_b128 s[4:7], s[0:1], 0x48
	s_load_b32 s2, s[0:1], 0x0
	v_add_nc_u32_e32 v18, s9, v21
	s_delay_alu instid0(VALU_DEP_1) | instskip(SKIP_1) | instid1(VALU_DEP_1)
	v_ashrrev_i32_e32 v16, 31, v18
	s_waitcnt lgkmcnt(0)
	v_mul_lo_u32 v17, v16, s4
	v_mul_lo_u32 v19, v18, s5
	v_mad_u64_u32 v[21:22], null, v18, s4, 0
	s_mul_i32 s1, s15, s7
	s_mul_hi_u32 s3, s15, s6
	v_add_nc_u32_e32 v16, s8, v20
	s_mul_i32 s6, s15, s6
	s_add_i32 s7, s3, s1
	v_cmp_gt_i32_e32 vcc_lo, s2, v18
	s_delay_alu instid0(VALU_DEP_3)
	v_add3_u32 v22, v22, v19, v17
	s_lshl_b64 s[6:7], s[6:7], 4
	v_cmp_le_i32_e64 s0, v16, v18
	s_add_u32 s3, s30, s6
	s_addc_u32 s6, s31, s7
	v_lshlrev_b64 v[19:20], 4, v[21:22]
	s_delay_alu instid0(VALU_DEP_2) | instskip(NEXT) | instid1(VALU_DEP_1)
	s_and_b32 s0, vcc_lo, s0
	v_add_co_u32 v19, s1, s3, v19
	s_delay_alu instid0(VALU_DEP_1)
	v_add_co_ci_u32_e64 v20, s1, s6, v20, s1
	s_and_saveexec_b32 s1, s0
	s_cbranch_execz .LBB1172_5
; %bb.4:
	v_ashrrev_i32_e32 v17, 31, v16
	s_delay_alu instid0(VALU_DEP_1) | instskip(NEXT) | instid1(VALU_DEP_1)
	v_lshlrev_b64 v[21:22], 4, v[16:17]
	v_add_co_u32 v21, s0, v19, v21
	s_delay_alu instid0(VALU_DEP_1)
	v_add_co_ci_u32_e64 v22, s0, v20, v22, s0
	global_store_b128 v[21:22], v[12:15], off
.LBB1172_5:
	s_or_b32 exec_lo, exec_lo, s1
	v_add_nc_u32_e32 v12, 16, v16
	s_delay_alu instid0(VALU_DEP_1) | instskip(NEXT) | instid1(VALU_DEP_1)
	v_cmp_le_i32_e64 s0, v12, v18
	s_and_b32 s1, vcc_lo, s0
	s_delay_alu instid0(SALU_CYCLE_1)
	s_and_saveexec_b32 s0, s1
	s_cbranch_execz .LBB1172_7
; %bb.6:
	v_ashrrev_i32_e32 v13, 31, v12
	s_delay_alu instid0(VALU_DEP_1) | instskip(NEXT) | instid1(VALU_DEP_1)
	v_lshlrev_b64 v[13:14], 4, v[12:13]
	v_add_co_u32 v13, vcc_lo, v19, v13
	s_delay_alu instid0(VALU_DEP_2)
	v_add_co_ci_u32_e32 v14, vcc_lo, v20, v14, vcc_lo
	global_store_b128 v[13:14], v[8:11], off
.LBB1172_7:
	s_or_b32 exec_lo, exec_lo, s0
	v_add_nc_u32_e32 v8, 16, v18
	s_delay_alu instid0(VALU_DEP_1) | instskip(SKIP_3) | instid1(VALU_DEP_4)
	v_ashrrev_i32_e32 v11, 31, v8
	v_mul_lo_u32 v13, v8, s5
	v_mad_u64_u32 v[9:10], null, v8, s4, 0
	v_cmp_gt_i32_e32 vcc_lo, s2, v8
	v_mul_lo_u32 v11, v11, s4
	v_cmp_le_i32_e64 s0, v16, v8
	s_delay_alu instid0(VALU_DEP_1) | instskip(NEXT) | instid1(VALU_DEP_2)
	s_and_b32 s0, vcc_lo, s0
	v_add3_u32 v10, v10, v13, v11
	s_delay_alu instid0(VALU_DEP_1) | instskip(NEXT) | instid1(VALU_DEP_1)
	v_lshlrev_b64 v[9:10], 4, v[9:10]
	v_add_co_u32 v9, s1, s3, v9
	s_delay_alu instid0(VALU_DEP_1)
	v_add_co_ci_u32_e64 v10, s1, s6, v10, s1
	s_and_saveexec_b32 s1, s0
	s_cbranch_execz .LBB1172_9
; %bb.8:
	v_ashrrev_i32_e32 v17, 31, v16
	s_delay_alu instid0(VALU_DEP_1) | instskip(NEXT) | instid1(VALU_DEP_1)
	v_lshlrev_b64 v[13:14], 4, v[16:17]
	v_add_co_u32 v13, s0, v9, v13
	s_delay_alu instid0(VALU_DEP_1)
	v_add_co_ci_u32_e64 v14, s0, v10, v14, s0
	global_store_b128 v[13:14], v[4:7], off
.LBB1172_9:
	s_or_b32 exec_lo, exec_lo, s1
	v_cmp_le_i32_e64 s0, v12, v8
	s_delay_alu instid0(VALU_DEP_1) | instskip(NEXT) | instid1(SALU_CYCLE_1)
	s_and_b32 s0, vcc_lo, s0
	s_and_saveexec_b32 s1, s0
	s_cbranch_execz .LBB1172_11
; %bb.10:
	v_ashrrev_i32_e32 v13, 31, v12
	s_delay_alu instid0(VALU_DEP_1) | instskip(NEXT) | instid1(VALU_DEP_1)
	v_lshlrev_b64 v[4:5], 4, v[12:13]
	v_add_co_u32 v4, vcc_lo, v9, v4
	s_delay_alu instid0(VALU_DEP_2)
	v_add_co_ci_u32_e32 v5, vcc_lo, v10, v5, vcc_lo
	global_store_b128 v[4:5], v[0:3], off
.LBB1172_11:
	s_nop 0
	s_sendmsg sendmsg(MSG_DEALLOC_VGPRS)
	s_endpgm
	.section	.rodata,"a",@progbits
	.p2align	6, 0x0
	.amdhsa_kernel _ZL37rocblas_syrkx_herkx_restricted_kernelIl19rocblas_complex_numIdELi16ELi32ELi8ELi1ELi0ELb0ELc84ELc85EKS1_S1_EviT_PT9_S3_lS5_S3_lPT10_S3_li
		.amdhsa_group_segment_fixed_size 8192
		.amdhsa_private_segment_fixed_size 0
		.amdhsa_kernarg_size 92
		.amdhsa_user_sgpr_count 13
		.amdhsa_user_sgpr_dispatch_ptr 0
		.amdhsa_user_sgpr_queue_ptr 0
		.amdhsa_user_sgpr_kernarg_segment_ptr 1
		.amdhsa_user_sgpr_dispatch_id 0
		.amdhsa_user_sgpr_private_segment_size 0
		.amdhsa_wavefront_size32 1
		.amdhsa_uses_dynamic_stack 0
		.amdhsa_enable_private_segment 0
		.amdhsa_system_sgpr_workgroup_id_x 1
		.amdhsa_system_sgpr_workgroup_id_y 1
		.amdhsa_system_sgpr_workgroup_id_z 1
		.amdhsa_system_sgpr_workgroup_info 0
		.amdhsa_system_vgpr_workitem_id 1
		.amdhsa_next_free_vgpr 118
		.amdhsa_next_free_sgpr 32
		.amdhsa_reserve_vcc 1
		.amdhsa_float_round_mode_32 0
		.amdhsa_float_round_mode_16_64 0
		.amdhsa_float_denorm_mode_32 3
		.amdhsa_float_denorm_mode_16_64 3
		.amdhsa_dx10_clamp 1
		.amdhsa_ieee_mode 1
		.amdhsa_fp16_overflow 0
		.amdhsa_workgroup_processor_mode 1
		.amdhsa_memory_ordered 1
		.amdhsa_forward_progress 0
		.amdhsa_shared_vgpr_count 0
		.amdhsa_exception_fp_ieee_invalid_op 0
		.amdhsa_exception_fp_denorm_src 0
		.amdhsa_exception_fp_ieee_div_zero 0
		.amdhsa_exception_fp_ieee_overflow 0
		.amdhsa_exception_fp_ieee_underflow 0
		.amdhsa_exception_fp_ieee_inexact 0
		.amdhsa_exception_int_div_zero 0
	.end_amdhsa_kernel
	.section	.text._ZL37rocblas_syrkx_herkx_restricted_kernelIl19rocblas_complex_numIdELi16ELi32ELi8ELi1ELi0ELb0ELc84ELc85EKS1_S1_EviT_PT9_S3_lS5_S3_lPT10_S3_li,"axG",@progbits,_ZL37rocblas_syrkx_herkx_restricted_kernelIl19rocblas_complex_numIdELi16ELi32ELi8ELi1ELi0ELb0ELc84ELc85EKS1_S1_EviT_PT9_S3_lS5_S3_lPT10_S3_li,comdat
.Lfunc_end1172:
	.size	_ZL37rocblas_syrkx_herkx_restricted_kernelIl19rocblas_complex_numIdELi16ELi32ELi8ELi1ELi0ELb0ELc84ELc85EKS1_S1_EviT_PT9_S3_lS5_S3_lPT10_S3_li, .Lfunc_end1172-_ZL37rocblas_syrkx_herkx_restricted_kernelIl19rocblas_complex_numIdELi16ELi32ELi8ELi1ELi0ELb0ELc84ELc85EKS1_S1_EviT_PT9_S3_lS5_S3_lPT10_S3_li
                                        ; -- End function
	.section	.AMDGPU.csdata,"",@progbits
; Kernel info:
; codeLenInByte = 2972
; NumSgprs: 34
; NumVgprs: 118
; ScratchSize: 0
; MemoryBound: 0
; FloatMode: 240
; IeeeMode: 1
; LDSByteSize: 8192 bytes/workgroup (compile time only)
; SGPRBlocks: 4
; VGPRBlocks: 14
; NumSGPRsForWavesPerEU: 34
; NumVGPRsForWavesPerEU: 118
; Occupancy: 12
; WaveLimiterHint : 1
; COMPUTE_PGM_RSRC2:SCRATCH_EN: 0
; COMPUTE_PGM_RSRC2:USER_SGPR: 13
; COMPUTE_PGM_RSRC2:TRAP_HANDLER: 0
; COMPUTE_PGM_RSRC2:TGID_X_EN: 1
; COMPUTE_PGM_RSRC2:TGID_Y_EN: 1
; COMPUTE_PGM_RSRC2:TGID_Z_EN: 1
; COMPUTE_PGM_RSRC2:TIDIG_COMP_CNT: 1
	.section	.text._ZL37rocblas_syrkx_herkx_restricted_kernelIl19rocblas_complex_numIdELi16ELi32ELi8ELi1ELi0ELb0ELc67ELc85EKS1_S1_EviT_PT9_S3_lS5_S3_lPT10_S3_li,"axG",@progbits,_ZL37rocblas_syrkx_herkx_restricted_kernelIl19rocblas_complex_numIdELi16ELi32ELi8ELi1ELi0ELb0ELc67ELc85EKS1_S1_EviT_PT9_S3_lS5_S3_lPT10_S3_li,comdat
	.globl	_ZL37rocblas_syrkx_herkx_restricted_kernelIl19rocblas_complex_numIdELi16ELi32ELi8ELi1ELi0ELb0ELc67ELc85EKS1_S1_EviT_PT9_S3_lS5_S3_lPT10_S3_li ; -- Begin function _ZL37rocblas_syrkx_herkx_restricted_kernelIl19rocblas_complex_numIdELi16ELi32ELi8ELi1ELi0ELb0ELc67ELc85EKS1_S1_EviT_PT9_S3_lS5_S3_lPT10_S3_li
	.p2align	8
	.type	_ZL37rocblas_syrkx_herkx_restricted_kernelIl19rocblas_complex_numIdELi16ELi32ELi8ELi1ELi0ELb0ELc67ELc85EKS1_S1_EviT_PT9_S3_lS5_S3_lPT10_S3_li,@function
_ZL37rocblas_syrkx_herkx_restricted_kernelIl19rocblas_complex_numIdELi16ELi32ELi8ELi1ELi0ELb0ELc67ELc85EKS1_S1_EviT_PT9_S3_lS5_S3_lPT10_S3_li: ; @_ZL37rocblas_syrkx_herkx_restricted_kernelIl19rocblas_complex_numIdELi16ELi32ELi8ELi1ELi0ELb0ELc67ELc85EKS1_S1_EviT_PT9_S3_lS5_S3_lPT10_S3_li
; %bb.0:
	s_load_b512 s[16:31], s[0:1], 0x8
	v_mov_b32_e32 v12, 0
	v_dual_mov_b32 v13, 0 :: v_dual_and_b32 v20, 0x3ff, v0
	v_bfe_u32 v21, v0, 10, 10
	s_delay_alu instid0(VALU_DEP_3) | instskip(NEXT) | instid1(VALU_DEP_3)
	v_mov_b32_e32 v8, v12
	v_dual_mov_b32 v10, v12 :: v_dual_mov_b32 v11, v13
	v_dual_mov_b32 v15, v13 :: v_dual_mov_b32 v14, v12
	;; [unrolled: 1-line block ×6, first 2 shown]
	v_mov_b32_e32 v3, v13
	s_lshl_b32 s8, s13, 5
	s_waitcnt lgkmcnt(0)
	v_cmp_lt_i64_e64 s2, s[16:17], 1
	s_lshl_b32 s9, s14, 5
	s_delay_alu instid0(VALU_DEP_1)
	s_and_b32 vcc_lo, exec_lo, s2
	s_cbranch_vccnz .LBB1173_3
; %bb.1:
	v_lshl_add_u32 v2, v21, 4, v20
	v_dual_mov_b32 v1, 0 :: v_dual_and_b32 v0, 7, v20
	v_lshlrev_b32_e32 v22, 4, v20
	s_mul_i32 s3, s23, s15
	s_delay_alu instid0(VALU_DEP_3)
	v_and_b32_e32 v8, 31, v2
	v_lshrrev_b32_e32 v9, 3, v2
	v_lshrrev_b32_e32 v2, 5, v2
	v_mov_b32_e32 v3, v1
	v_lshlrev_b32_e32 v11, 4, v0
	v_add_nc_u32_e32 v6, s8, v8
	v_add_nc_u32_e32 v10, s9, v9
	s_mul_hi_u32 s4, s22, s15
	s_mul_i32 s2, s22, s15
	s_add_i32 s3, s4, s3
	v_ashrrev_i32_e32 v7, 31, v6
	v_ashrrev_i32_e32 v12, 31, v10
	v_mad_u64_u32 v[4:5], null, s20, v6, v[2:3]
	v_mul_lo_u32 v3, s21, v6
	s_delay_alu instid0(VALU_DEP_4)
	v_mul_lo_u32 v13, s20, v7
	v_mul_lo_u32 v14, v10, s27
	v_mad_u64_u32 v[6:7], null, v10, s26, v[0:1]
	v_mul_lo_u32 v0, v12, s26
	v_lshlrev_b32_e32 v1, 4, v8
	s_lshl_b64 s[2:3], s[2:3], 4
	s_mul_hi_u32 s5, s28, s15
	v_add3_u32 v5, v3, v5, v13
	s_add_u32 s4, s18, s2
	v_lshl_or_b32 v23, v2, 9, v1
	s_mul_i32 s2, s29, s15
	v_add3_u32 v7, v0, v7, v14
	v_lshlrev_b64 v[0:1], 4, v[4:5]
	s_addc_u32 s6, s19, s3
	s_add_i32 s3, s5, s2
	s_mul_i32 s2, s28, s15
	v_lshlrev_b64 v[2:3], 4, v[6:7]
	s_lshl_b64 s[2:3], s[2:3], 4
	v_add_co_u32 v0, vcc_lo, s4, v0
	s_add_u32 s2, s24, s2
	v_add_co_ci_u32_e32 v1, vcc_lo, s6, v1, vcc_lo
	s_addc_u32 s3, s25, s3
	v_add_co_u32 v4, vcc_lo, s2, v2
	v_add_co_ci_u32_e32 v5, vcc_lo, s3, v3, vcc_lo
	v_mov_b32_e32 v2, 0
	v_lshl_or_b32 v8, v9, 7, v11
	v_mov_b32_e32 v3, 0
	v_add_co_u32 v16, vcc_lo, v0, 8
	v_add_co_ci_u32_e32 v17, vcc_lo, 0, v1, vcc_lo
	v_add_co_u32 v18, vcc_lo, v4, 8
	v_add_nc_u32_e32 v24, 0x1000, v8
	v_add_co_ci_u32_e32 v19, vcc_lo, 0, v5, vcc_lo
	v_dual_mov_b32 v5, v3 :: v_dual_mov_b32 v0, v2
	v_dual_mov_b32 v11, v3 :: v_dual_mov_b32 v4, v2
	v_mov_b32_e32 v9, v3
	v_dual_mov_b32 v7, v3 :: v_dual_mov_b32 v10, v2
	v_dual_mov_b32 v15, v3 :: v_dual_mov_b32 v8, v2
	v_mov_b32_e32 v13, v3
	v_lshl_add_u32 v25, v21, 7, 0x1000
	v_dual_mov_b32 v1, v3 :: v_dual_mov_b32 v6, v2
	v_mov_b32_e32 v14, v2
	v_mov_b32_e32 v12, v2
	s_mov_b64 s[2:3], 0
.LBB1173_2:                             ; =>This Inner Loop Header: Depth=1
	global_load_b128 v[26:29], v[16:17], off offset:-8
	global_load_b128 v[30:33], v[18:19], off offset:-8
	s_add_u32 s2, s2, 8
	v_add_co_u32 v16, vcc_lo, 0x80, v16
	s_addc_u32 s3, s3, 0
	v_add_co_ci_u32_e32 v17, vcc_lo, 0, v17, vcc_lo
	v_cmp_ge_u64_e64 s4, s[2:3], s[16:17]
	v_add_co_u32 v18, vcc_lo, 0x80, v18
	v_add_co_ci_u32_e32 v19, vcc_lo, 0, v19, vcc_lo
	s_waitcnt vmcnt(1)
	ds_store_b128 v23, v[26:29]
	s_waitcnt vmcnt(0)
	ds_store_b128 v24, v[30:33]
	s_waitcnt lgkmcnt(0)
	s_barrier
	buffer_gl0_inv
	ds_load_b128 v[26:29], v25
	ds_load_b128 v[30:33], v22
	ds_load_b128 v[34:37], v22 offset:256
	ds_load_b128 v[38:41], v25 offset:2048
	;; [unrolled: 1-line block ×13, first 2 shown]
	s_and_b32 vcc_lo, exec_lo, s4
	s_waitcnt lgkmcnt(13)
	v_mul_f64 v[86:87], v[28:29], v[32:33]
	v_mul_f64 v[88:89], v[26:27], v[32:33]
	s_waitcnt lgkmcnt(12)
	v_mul_f64 v[90:91], v[28:29], v[36:37]
	v_mul_f64 v[92:93], v[26:27], v[36:37]
	;; [unrolled: 3-line block ×3, first 2 shown]
	v_mul_f64 v[96:97], v[40:41], v[36:37]
	v_mul_f64 v[36:37], v[38:39], v[36:37]
	s_waitcnt lgkmcnt(8)
	v_mul_f64 v[98:99], v[44:45], v[52:53]
	v_mul_f64 v[100:101], v[42:43], v[52:53]
	s_waitcnt lgkmcnt(7)
	v_mul_f64 v[102:103], v[44:45], v[56:57]
	v_mul_f64 v[104:105], v[42:43], v[56:57]
	;; [unrolled: 1-line block ×6, first 2 shown]
	s_waitcnt lgkmcnt(3)
	v_mul_f64 v[112:113], v[58:59], v[72:73]
	s_waitcnt lgkmcnt(2)
	v_mul_f64 v[114:115], v[76:77], v[68:69]
	v_mul_f64 v[116:117], v[76:77], v[72:73]
	v_fma_f64 v[86:87], v[26:27], v[30:31], -v[86:87]
	v_fma_f64 v[88:89], v[28:29], v[30:31], v[88:89]
	v_fma_f64 v[90:91], v[26:27], v[34:35], -v[90:91]
	v_fma_f64 v[92:93], v[28:29], v[34:35], v[92:93]
	;; [unrolled: 2-line block ×4, first 2 shown]
	v_mul_f64 v[36:37], v[60:61], v[68:69]
	v_mul_f64 v[40:41], v[58:59], v[68:69]
	;; [unrolled: 1-line block ×5, first 2 shown]
	v_fma_f64 v[98:99], v[42:43], v[50:51], -v[98:99]
	v_fma_f64 v[100:101], v[44:45], v[50:51], v[100:101]
	v_fma_f64 v[42:43], v[42:43], v[54:55], -v[102:103]
	v_fma_f64 v[44:45], v[44:45], v[54:55], v[104:105]
	;; [unrolled: 2-line block ×4, first 2 shown]
	ds_load_b128 v[26:29], v22 offset:1792
	ds_load_b128 v[30:33], v22 offset:2048
	s_waitcnt lgkmcnt(2)
	v_mul_f64 v[56:57], v[64:65], v[84:85]
	v_add_f64 v[12:13], v[12:13], v[86:87]
	v_add_f64 v[14:15], v[14:15], v[88:89]
	;; [unrolled: 1-line block ×8, first 2 shown]
	v_mul_f64 v[86:87], v[62:63], v[84:85]
	s_waitcnt lgkmcnt(1)
	v_mul_f64 v[88:89], v[64:65], v[28:29]
	v_mul_f64 v[90:91], v[62:63], v[28:29]
	;; [unrolled: 1-line block ×6, first 2 shown]
	v_fma_f64 v[104:105], v[58:59], v[66:67], -v[36:37]
	v_fma_f64 v[106:107], v[60:61], v[66:67], v[40:41]
	v_fma_f64 v[58:59], v[58:59], v[70:71], -v[96:97]
	v_fma_f64 v[60:61], v[60:61], v[70:71], v[112:113]
	;; [unrolled: 2-line block ×4, first 2 shown]
	ds_load_b128 v[0:3], v22 offset:2304
	ds_load_b128 v[4:7], v25 offset:64
	v_fma_f64 v[56:57], v[62:63], v[82:83], -v[56:57]
	v_add_f64 v[72:73], v[12:13], v[98:99]
	v_add_f64 v[74:75], v[14:15], v[100:101]
	;; [unrolled: 1-line block ×8, first 2 shown]
	ds_load_b128 v[8:11], v25 offset:2112
	ds_load_b128 v[12:15], v25 offset:80
	;; [unrolled: 1-line block ×4, first 2 shown]
	s_waitcnt lgkmcnt(4)
	v_mul_f64 v[54:55], v[6:7], v[32:33]
	v_mul_f64 v[76:77], v[4:5], v[32:33]
	;; [unrolled: 1-line block ×4, first 2 shown]
	v_fma_f64 v[86:87], v[64:65], v[82:83], v[86:87]
	v_fma_f64 v[62:63], v[62:63], v[26:27], -v[88:89]
	v_fma_f64 v[64:65], v[64:65], v[26:27], v[90:91]
	v_fma_f64 v[88:89], v[78:79], v[82:83], -v[92:93]
	;; [unrolled: 2-line block ×3, first 2 shown]
	v_fma_f64 v[80:81], v[80:81], v[26:27], v[28:29]
	s_waitcnt lgkmcnt(3)
	v_mul_f64 v[102:103], v[10:11], v[32:33]
	v_mul_f64 v[32:33], v[8:9], v[32:33]
	;; [unrolled: 1-line block ×4, first 2 shown]
	s_waitcnt lgkmcnt(0)
	v_mul_f64 v[90:91], v[14:15], v[40:41]
	v_mul_f64 v[92:93], v[12:13], v[40:41]
	v_add_f64 v[72:73], v[72:73], v[104:105]
	v_add_f64 v[74:75], v[74:75], v[106:107]
	;; [unrolled: 1-line block ×8, first 2 shown]
	ds_load_b128 v[26:29], v22 offset:2816
	ds_load_b128 v[42:45], v22 offset:3072
	;; [unrolled: 1-line block ×4, first 2 shown]
	v_mul_f64 v[104:105], v[36:37], v[40:41]
	v_mul_f64 v[40:41], v[34:35], v[40:41]
	v_fma_f64 v[54:55], v[4:5], v[30:31], -v[54:55]
	v_fma_f64 v[76:77], v[6:7], v[30:31], v[76:77]
	v_fma_f64 v[98:99], v[4:5], v[0:1], -v[98:99]
	v_fma_f64 v[100:101], v[6:7], v[0:1], v[100:101]
	s_waitcnt lgkmcnt(3)
	v_mul_f64 v[94:95], v[14:15], v[28:29]
	v_mul_f64 v[96:97], v[12:13], v[28:29]
	;; [unrolled: 1-line block ×4, first 2 shown]
	v_fma_f64 v[102:103], v[8:9], v[30:31], -v[102:103]
	v_fma_f64 v[32:33], v[10:11], v[30:31], v[32:33]
	v_fma_f64 v[108:109], v[8:9], v[0:1], -v[108:109]
	v_fma_f64 v[112:113], v[10:11], v[0:1], v[2:3]
	ds_load_b128 v[0:3], v25 offset:2144
	ds_load_b128 v[4:7], v25 offset:112
	;; [unrolled: 1-line block ×4, first 2 shown]
	v_add_f64 v[56:57], v[72:73], v[56:57]
	v_add_f64 v[72:73], v[74:75], v[86:87]
	;; [unrolled: 1-line block ×8, first 2 shown]
	s_waitcnt lgkmcnt(4)
	v_mul_f64 v[70:71], v[52:53], v[44:45]
	v_mul_f64 v[74:75], v[50:51], v[44:45]
	;; [unrolled: 1-line block ×4, first 2 shown]
	s_waitcnt lgkmcnt(3)
	v_mul_f64 v[82:83], v[2:3], v[44:45]
	v_mul_f64 v[44:45], v[0:1], v[44:45]
	v_mul_f64 v[84:85], v[2:3], v[48:49]
	v_mul_f64 v[48:49], v[0:1], v[48:49]
	v_fma_f64 v[86:87], v[12:13], v[38:39], -v[90:91]
	v_fma_f64 v[88:89], v[14:15], v[38:39], v[92:93]
	v_fma_f64 v[90:91], v[12:13], v[26:27], -v[94:95]
	v_fma_f64 v[92:93], v[14:15], v[26:27], v[96:97]
	;; [unrolled: 2-line block ×4, first 2 shown]
	ds_load_b128 v[12:15], v22 offset:3840
	s_waitcnt lgkmcnt(0)
	s_barrier
	buffer_gl0_inv
	v_add_f64 v[36:37], v[56:57], v[54:55]
	v_add_f64 v[40:41], v[72:73], v[76:77]
	v_add_f64 v[54:55], v[58:59], v[98:99]
	v_add_f64 v[56:57], v[60:61], v[100:101]
	v_add_f64 v[58:59], v[62:63], v[102:103]
	v_add_f64 v[32:33], v[64:65], v[32:33]
	v_add_f64 v[60:61], v[66:67], v[108:109]
	v_add_f64 v[62:63], v[68:69], v[112:113]
	v_mul_f64 v[64:65], v[6:7], v[30:31]
	v_mul_f64 v[66:67], v[4:5], v[30:31]
	;; [unrolled: 1-line block ×4, first 2 shown]
	v_fma_f64 v[70:71], v[50:51], v[42:43], -v[70:71]
	v_mul_f64 v[68:69], v[6:7], v[14:15]
	v_mul_f64 v[72:73], v[4:5], v[14:15]
	;; [unrolled: 1-line block ×4, first 2 shown]
	v_fma_f64 v[74:75], v[52:53], v[42:43], v[74:75]
	v_fma_f64 v[50:51], v[50:51], v[46:47], -v[78:79]
	v_fma_f64 v[52:53], v[52:53], v[46:47], v[80:81]
	v_fma_f64 v[78:79], v[0:1], v[42:43], -v[82:83]
	;; [unrolled: 2-line block ×3, first 2 shown]
	v_fma_f64 v[2:3], v[2:3], v[46:47], v[48:49]
	v_add_f64 v[36:37], v[36:37], v[86:87]
	v_add_f64 v[40:41], v[40:41], v[88:89]
	;; [unrolled: 1-line block ×8, first 2 shown]
	v_fma_f64 v[38:39], v[4:5], v[28:29], -v[64:65]
	v_fma_f64 v[54:55], v[6:7], v[28:29], v[66:67]
	v_fma_f64 v[56:57], v[8:9], v[28:29], -v[76:77]
	v_fma_f64 v[28:29], v[10:11], v[28:29], v[30:31]
	;; [unrolled: 2-line block ×4, first 2 shown]
	v_add_f64 v[8:9], v[36:37], v[70:71]
	v_add_f64 v[10:11], v[40:41], v[74:75]
	;; [unrolled: 1-line block ×16, first 2 shown]
	s_cbranch_vccz .LBB1173_2
.LBB1173_3:
	s_clause 0x1
	s_load_b128 s[4:7], s[0:1], 0x48
	s_load_b32 s2, s[0:1], 0x0
	v_add_nc_u32_e32 v18, s9, v21
	s_delay_alu instid0(VALU_DEP_1) | instskip(SKIP_1) | instid1(VALU_DEP_1)
	v_ashrrev_i32_e32 v16, 31, v18
	s_waitcnt lgkmcnt(0)
	v_mul_lo_u32 v17, v16, s4
	v_mul_lo_u32 v19, v18, s5
	v_mad_u64_u32 v[21:22], null, v18, s4, 0
	s_mul_i32 s1, s15, s7
	s_mul_hi_u32 s3, s15, s6
	v_add_nc_u32_e32 v16, s8, v20
	s_mul_i32 s6, s15, s6
	s_add_i32 s7, s3, s1
	v_cmp_gt_i32_e32 vcc_lo, s2, v18
	s_delay_alu instid0(VALU_DEP_3)
	v_add3_u32 v22, v22, v19, v17
	s_lshl_b64 s[6:7], s[6:7], 4
	v_cmp_le_i32_e64 s0, v16, v18
	s_add_u32 s3, s30, s6
	s_addc_u32 s6, s31, s7
	v_lshlrev_b64 v[19:20], 4, v[21:22]
	s_delay_alu instid0(VALU_DEP_2) | instskip(NEXT) | instid1(VALU_DEP_1)
	s_and_b32 s0, vcc_lo, s0
	v_add_co_u32 v19, s1, s3, v19
	s_delay_alu instid0(VALU_DEP_1)
	v_add_co_ci_u32_e64 v20, s1, s6, v20, s1
	s_and_saveexec_b32 s1, s0
	s_cbranch_execz .LBB1173_5
; %bb.4:
	v_ashrrev_i32_e32 v17, 31, v16
	s_delay_alu instid0(VALU_DEP_1) | instskip(NEXT) | instid1(VALU_DEP_1)
	v_lshlrev_b64 v[21:22], 4, v[16:17]
	v_add_co_u32 v21, s0, v19, v21
	s_delay_alu instid0(VALU_DEP_1)
	v_add_co_ci_u32_e64 v22, s0, v20, v22, s0
	global_store_b128 v[21:22], v[12:15], off
.LBB1173_5:
	s_or_b32 exec_lo, exec_lo, s1
	v_add_nc_u32_e32 v12, 16, v16
	s_delay_alu instid0(VALU_DEP_1) | instskip(NEXT) | instid1(VALU_DEP_1)
	v_cmp_le_i32_e64 s0, v12, v18
	s_and_b32 s1, vcc_lo, s0
	s_delay_alu instid0(SALU_CYCLE_1)
	s_and_saveexec_b32 s0, s1
	s_cbranch_execz .LBB1173_7
; %bb.6:
	v_ashrrev_i32_e32 v13, 31, v12
	s_delay_alu instid0(VALU_DEP_1) | instskip(NEXT) | instid1(VALU_DEP_1)
	v_lshlrev_b64 v[13:14], 4, v[12:13]
	v_add_co_u32 v13, vcc_lo, v19, v13
	s_delay_alu instid0(VALU_DEP_2)
	v_add_co_ci_u32_e32 v14, vcc_lo, v20, v14, vcc_lo
	global_store_b128 v[13:14], v[8:11], off
.LBB1173_7:
	s_or_b32 exec_lo, exec_lo, s0
	v_add_nc_u32_e32 v8, 16, v18
	s_delay_alu instid0(VALU_DEP_1) | instskip(SKIP_3) | instid1(VALU_DEP_4)
	v_ashrrev_i32_e32 v11, 31, v8
	v_mul_lo_u32 v13, v8, s5
	v_mad_u64_u32 v[9:10], null, v8, s4, 0
	v_cmp_gt_i32_e32 vcc_lo, s2, v8
	v_mul_lo_u32 v11, v11, s4
	v_cmp_le_i32_e64 s0, v16, v8
	s_delay_alu instid0(VALU_DEP_1) | instskip(NEXT) | instid1(VALU_DEP_2)
	s_and_b32 s0, vcc_lo, s0
	v_add3_u32 v10, v10, v13, v11
	s_delay_alu instid0(VALU_DEP_1) | instskip(NEXT) | instid1(VALU_DEP_1)
	v_lshlrev_b64 v[9:10], 4, v[9:10]
	v_add_co_u32 v9, s1, s3, v9
	s_delay_alu instid0(VALU_DEP_1)
	v_add_co_ci_u32_e64 v10, s1, s6, v10, s1
	s_and_saveexec_b32 s1, s0
	s_cbranch_execz .LBB1173_9
; %bb.8:
	v_ashrrev_i32_e32 v17, 31, v16
	s_delay_alu instid0(VALU_DEP_1) | instskip(NEXT) | instid1(VALU_DEP_1)
	v_lshlrev_b64 v[13:14], 4, v[16:17]
	v_add_co_u32 v13, s0, v9, v13
	s_delay_alu instid0(VALU_DEP_1)
	v_add_co_ci_u32_e64 v14, s0, v10, v14, s0
	global_store_b128 v[13:14], v[4:7], off
.LBB1173_9:
	s_or_b32 exec_lo, exec_lo, s1
	v_cmp_le_i32_e64 s0, v12, v8
	s_delay_alu instid0(VALU_DEP_1) | instskip(NEXT) | instid1(SALU_CYCLE_1)
	s_and_b32 s0, vcc_lo, s0
	s_and_saveexec_b32 s1, s0
	s_cbranch_execz .LBB1173_11
; %bb.10:
	v_ashrrev_i32_e32 v13, 31, v12
	s_delay_alu instid0(VALU_DEP_1) | instskip(NEXT) | instid1(VALU_DEP_1)
	v_lshlrev_b64 v[4:5], 4, v[12:13]
	v_add_co_u32 v4, vcc_lo, v9, v4
	s_delay_alu instid0(VALU_DEP_2)
	v_add_co_ci_u32_e32 v5, vcc_lo, v10, v5, vcc_lo
	global_store_b128 v[4:5], v[0:3], off
.LBB1173_11:
	s_nop 0
	s_sendmsg sendmsg(MSG_DEALLOC_VGPRS)
	s_endpgm
	.section	.rodata,"a",@progbits
	.p2align	6, 0x0
	.amdhsa_kernel _ZL37rocblas_syrkx_herkx_restricted_kernelIl19rocblas_complex_numIdELi16ELi32ELi8ELi1ELi0ELb0ELc67ELc85EKS1_S1_EviT_PT9_S3_lS5_S3_lPT10_S3_li
		.amdhsa_group_segment_fixed_size 8192
		.amdhsa_private_segment_fixed_size 0
		.amdhsa_kernarg_size 92
		.amdhsa_user_sgpr_count 13
		.amdhsa_user_sgpr_dispatch_ptr 0
		.amdhsa_user_sgpr_queue_ptr 0
		.amdhsa_user_sgpr_kernarg_segment_ptr 1
		.amdhsa_user_sgpr_dispatch_id 0
		.amdhsa_user_sgpr_private_segment_size 0
		.amdhsa_wavefront_size32 1
		.amdhsa_uses_dynamic_stack 0
		.amdhsa_enable_private_segment 0
		.amdhsa_system_sgpr_workgroup_id_x 1
		.amdhsa_system_sgpr_workgroup_id_y 1
		.amdhsa_system_sgpr_workgroup_id_z 1
		.amdhsa_system_sgpr_workgroup_info 0
		.amdhsa_system_vgpr_workitem_id 1
		.amdhsa_next_free_vgpr 118
		.amdhsa_next_free_sgpr 32
		.amdhsa_reserve_vcc 1
		.amdhsa_float_round_mode_32 0
		.amdhsa_float_round_mode_16_64 0
		.amdhsa_float_denorm_mode_32 3
		.amdhsa_float_denorm_mode_16_64 3
		.amdhsa_dx10_clamp 1
		.amdhsa_ieee_mode 1
		.amdhsa_fp16_overflow 0
		.amdhsa_workgroup_processor_mode 1
		.amdhsa_memory_ordered 1
		.amdhsa_forward_progress 0
		.amdhsa_shared_vgpr_count 0
		.amdhsa_exception_fp_ieee_invalid_op 0
		.amdhsa_exception_fp_denorm_src 0
		.amdhsa_exception_fp_ieee_div_zero 0
		.amdhsa_exception_fp_ieee_overflow 0
		.amdhsa_exception_fp_ieee_underflow 0
		.amdhsa_exception_fp_ieee_inexact 0
		.amdhsa_exception_int_div_zero 0
	.end_amdhsa_kernel
	.section	.text._ZL37rocblas_syrkx_herkx_restricted_kernelIl19rocblas_complex_numIdELi16ELi32ELi8ELi1ELi0ELb0ELc67ELc85EKS1_S1_EviT_PT9_S3_lS5_S3_lPT10_S3_li,"axG",@progbits,_ZL37rocblas_syrkx_herkx_restricted_kernelIl19rocblas_complex_numIdELi16ELi32ELi8ELi1ELi0ELb0ELc67ELc85EKS1_S1_EviT_PT9_S3_lS5_S3_lPT10_S3_li,comdat
.Lfunc_end1173:
	.size	_ZL37rocblas_syrkx_herkx_restricted_kernelIl19rocblas_complex_numIdELi16ELi32ELi8ELi1ELi0ELb0ELc67ELc85EKS1_S1_EviT_PT9_S3_lS5_S3_lPT10_S3_li, .Lfunc_end1173-_ZL37rocblas_syrkx_herkx_restricted_kernelIl19rocblas_complex_numIdELi16ELi32ELi8ELi1ELi0ELb0ELc67ELc85EKS1_S1_EviT_PT9_S3_lS5_S3_lPT10_S3_li
                                        ; -- End function
	.section	.AMDGPU.csdata,"",@progbits
; Kernel info:
; codeLenInByte = 2972
; NumSgprs: 34
; NumVgprs: 118
; ScratchSize: 0
; MemoryBound: 0
; FloatMode: 240
; IeeeMode: 1
; LDSByteSize: 8192 bytes/workgroup (compile time only)
; SGPRBlocks: 4
; VGPRBlocks: 14
; NumSGPRsForWavesPerEU: 34
; NumVGPRsForWavesPerEU: 118
; Occupancy: 12
; WaveLimiterHint : 1
; COMPUTE_PGM_RSRC2:SCRATCH_EN: 0
; COMPUTE_PGM_RSRC2:USER_SGPR: 13
; COMPUTE_PGM_RSRC2:TRAP_HANDLER: 0
; COMPUTE_PGM_RSRC2:TGID_X_EN: 1
; COMPUTE_PGM_RSRC2:TGID_Y_EN: 1
; COMPUTE_PGM_RSRC2:TGID_Z_EN: 1
; COMPUTE_PGM_RSRC2:TIDIG_COMP_CNT: 1
	.section	.text._ZL37rocblas_syrkx_herkx_restricted_kernelIl19rocblas_complex_numIdELi16ELi32ELi8ELi1ELi0ELb0ELc78ELc85EKS1_S1_EviT_PT9_S3_lS5_S3_lPT10_S3_li,"axG",@progbits,_ZL37rocblas_syrkx_herkx_restricted_kernelIl19rocblas_complex_numIdELi16ELi32ELi8ELi1ELi0ELb0ELc78ELc85EKS1_S1_EviT_PT9_S3_lS5_S3_lPT10_S3_li,comdat
	.globl	_ZL37rocblas_syrkx_herkx_restricted_kernelIl19rocblas_complex_numIdELi16ELi32ELi8ELi1ELi0ELb0ELc78ELc85EKS1_S1_EviT_PT9_S3_lS5_S3_lPT10_S3_li ; -- Begin function _ZL37rocblas_syrkx_herkx_restricted_kernelIl19rocblas_complex_numIdELi16ELi32ELi8ELi1ELi0ELb0ELc78ELc85EKS1_S1_EviT_PT9_S3_lS5_S3_lPT10_S3_li
	.p2align	8
	.type	_ZL37rocblas_syrkx_herkx_restricted_kernelIl19rocblas_complex_numIdELi16ELi32ELi8ELi1ELi0ELb0ELc78ELc85EKS1_S1_EviT_PT9_S3_lS5_S3_lPT10_S3_li,@function
_ZL37rocblas_syrkx_herkx_restricted_kernelIl19rocblas_complex_numIdELi16ELi32ELi8ELi1ELi0ELb0ELc78ELc85EKS1_S1_EviT_PT9_S3_lS5_S3_lPT10_S3_li: ; @_ZL37rocblas_syrkx_herkx_restricted_kernelIl19rocblas_complex_numIdELi16ELi32ELi8ELi1ELi0ELb0ELc78ELc85EKS1_S1_EviT_PT9_S3_lS5_S3_lPT10_S3_li
; %bb.0:
	s_load_b512 s[16:31], s[0:1], 0x8
	v_mov_b32_e32 v12, 0
	v_dual_mov_b32 v13, 0 :: v_dual_and_b32 v20, 0x3ff, v0
	v_bfe_u32 v21, v0, 10, 10
	s_delay_alu instid0(VALU_DEP_3) | instskip(NEXT) | instid1(VALU_DEP_3)
	v_mov_b32_e32 v8, v12
	v_dual_mov_b32 v10, v12 :: v_dual_mov_b32 v11, v13
	v_dual_mov_b32 v15, v13 :: v_dual_mov_b32 v14, v12
	;; [unrolled: 1-line block ×6, first 2 shown]
	v_mov_b32_e32 v3, v13
	s_lshl_b32 s8, s13, 5
	s_waitcnt lgkmcnt(0)
	v_cmp_lt_i64_e64 s2, s[16:17], 1
	s_lshl_b32 s9, s14, 5
	s_delay_alu instid0(VALU_DEP_1)
	s_and_b32 vcc_lo, exec_lo, s2
	s_cbranch_vccnz .LBB1174_3
; %bb.1:
	v_lshl_add_u32 v1, v21, 4, v20
	v_and_b32_e32 v10, 7, v20
	s_mul_i32 s3, s23, s15
	s_mul_hi_u32 s5, s22, s15
	s_mul_i32 s2, s22, s15
	v_and_b32_e32 v9, 31, v1
	v_lshrrev_b32_e32 v11, 3, v1
	v_lshrrev_b32_e32 v12, 5, v1
	s_add_i32 s3, s5, s3
	s_mul_i32 s6, s29, s15
	v_add_nc_u32_e32 v0, s8, v9
	v_add_nc_u32_e32 v2, s9, v11
	s_lshl_b64 s[2:3], s[2:3], 4
	s_mul_hi_u32 s7, s28, s15
	s_add_u32 s10, s18, s2
	v_ashrrev_i32_e32 v1, 31, v0
	v_ashrrev_i32_e32 v3, 31, v2
	s_mul_i32 s4, s28, s15
	s_addc_u32 s11, s19, s3
	s_add_i32 s5, s7, s6
	v_mad_u64_u32 v[4:5], null, v12, s20, v[0:1]
	v_mad_u64_u32 v[0:1], null, v10, s26, v[2:3]
	v_mov_b32_e32 v2, 0
	v_mov_b32_e32 v3, 0
	s_lshl_b64 s[4:5], s[4:5], 4
	s_lshl_b64 s[2:3], s[20:21], 7
	s_delay_alu instid0(VALU_DEP_4) | instskip(NEXT) | instid1(VALU_DEP_4)
	v_mad_u64_u32 v[6:7], null, v12, s21, v[5:6]
	v_mad_u64_u32 v[7:8], null, v10, s27, v[1:2]
	v_lshlrev_b32_e32 v22, 4, v20
	s_add_u32 s4, s24, s4
	s_addc_u32 s5, s25, s5
	v_lshlrev_b32_e32 v13, 4, v10
	s_delay_alu instid0(VALU_DEP_4) | instskip(NEXT) | instid1(VALU_DEP_4)
	v_dual_mov_b32 v5, v6 :: v_dual_lshlrev_b32 v6, 4, v9
	v_mov_b32_e32 v1, v7
	v_mov_b32_e32 v15, v3
	v_lshl_add_u32 v23, v21, 7, 0x1000
	s_delay_alu instid0(VALU_DEP_4) | instskip(SKIP_3) | instid1(VALU_DEP_3)
	v_lshlrev_b64 v[4:5], 4, v[4:5]
	s_mov_b64 s[6:7], 0
	v_lshlrev_b64 v[0:1], 4, v[0:1]
	v_mov_b32_e32 v14, v2
	v_add_co_u32 v4, vcc_lo, s10, v4
	s_delay_alu instid0(VALU_DEP_4) | instskip(NEXT) | instid1(VALU_DEP_4)
	v_add_co_ci_u32_e32 v5, vcc_lo, s11, v5, vcc_lo
	v_add_co_u32 v0, vcc_lo, s4, v0
	v_add_co_ci_u32_e32 v1, vcc_lo, s5, v1, vcc_lo
	s_delay_alu instid0(VALU_DEP_4) | instskip(NEXT) | instid1(VALU_DEP_4)
	v_add_co_u32 v16, vcc_lo, v4, 8
	v_add_co_ci_u32_e32 v17, vcc_lo, 0, v5, vcc_lo
	s_delay_alu instid0(VALU_DEP_4) | instskip(NEXT) | instid1(VALU_DEP_4)
	v_add_co_u32 v18, vcc_lo, v0, 8
	v_add_co_ci_u32_e32 v19, vcc_lo, 0, v1, vcc_lo
	v_mov_b32_e32 v0, v2
	v_lshl_or_b32 v8, v11, 7, v13
	v_mov_b32_e32 v1, v3
	v_lshl_or_b32 v24, v12, 9, v6
	v_mov_b32_e32 v7, v3
	v_mov_b32_e32 v5, v3
	v_dual_mov_b32 v6, v2 :: v_dual_add_nc_u32 v25, 0x1000, v8
	v_mov_b32_e32 v11, v3
	v_mov_b32_e32 v9, v3
	v_dual_mov_b32 v13, v3 :: v_dual_mov_b32 v4, v2
	v_mov_b32_e32 v10, v2
	v_mov_b32_e32 v8, v2
	;; [unrolled: 1-line block ×3, first 2 shown]
	s_lshl_b64 s[4:5], s[26:27], 7
.LBB1174_2:                             ; =>This Inner Loop Header: Depth=1
	global_load_b128 v[26:29], v[16:17], off offset:-8
	global_load_b128 v[30:33], v[18:19], off offset:-8
	s_add_u32 s6, s6, 8
	v_add_co_u32 v16, vcc_lo, v16, s2
	s_addc_u32 s7, s7, 0
	v_add_co_ci_u32_e32 v17, vcc_lo, s3, v17, vcc_lo
	v_cmp_ge_u64_e64 s10, s[6:7], s[16:17]
	v_add_co_u32 v18, vcc_lo, v18, s4
	v_add_co_ci_u32_e32 v19, vcc_lo, s5, v19, vcc_lo
	s_waitcnt vmcnt(1)
	ds_store_b128 v24, v[26:29]
	s_waitcnt vmcnt(0)
	ds_store_b128 v25, v[30:33]
	s_waitcnt lgkmcnt(0)
	s_barrier
	buffer_gl0_inv
	ds_load_b128 v[26:29], v23
	ds_load_b128 v[30:33], v22
	ds_load_b128 v[34:37], v22 offset:256
	ds_load_b128 v[38:41], v23 offset:2048
	;; [unrolled: 1-line block ×13, first 2 shown]
	s_and_b32 vcc_lo, exec_lo, s10
	s_waitcnt lgkmcnt(13)
	v_mul_f64 v[86:87], v[28:29], v[32:33]
	v_mul_f64 v[88:89], v[26:27], v[32:33]
	s_waitcnt lgkmcnt(12)
	v_mul_f64 v[90:91], v[28:29], v[36:37]
	v_mul_f64 v[92:93], v[26:27], v[36:37]
	;; [unrolled: 3-line block ×3, first 2 shown]
	v_mul_f64 v[96:97], v[40:41], v[36:37]
	v_mul_f64 v[36:37], v[38:39], v[36:37]
	s_waitcnt lgkmcnt(8)
	v_mul_f64 v[98:99], v[44:45], v[52:53]
	v_mul_f64 v[100:101], v[42:43], v[52:53]
	s_waitcnt lgkmcnt(7)
	v_mul_f64 v[102:103], v[44:45], v[56:57]
	v_mul_f64 v[104:105], v[42:43], v[56:57]
	;; [unrolled: 1-line block ×6, first 2 shown]
	s_waitcnt lgkmcnt(3)
	v_mul_f64 v[112:113], v[58:59], v[72:73]
	s_waitcnt lgkmcnt(2)
	v_mul_f64 v[114:115], v[76:77], v[68:69]
	v_mul_f64 v[116:117], v[76:77], v[72:73]
	v_fma_f64 v[86:87], v[26:27], v[30:31], -v[86:87]
	v_fma_f64 v[88:89], v[28:29], v[30:31], v[88:89]
	v_fma_f64 v[90:91], v[26:27], v[34:35], -v[90:91]
	v_fma_f64 v[92:93], v[28:29], v[34:35], v[92:93]
	;; [unrolled: 2-line block ×4, first 2 shown]
	v_mul_f64 v[36:37], v[60:61], v[68:69]
	v_mul_f64 v[40:41], v[58:59], v[68:69]
	;; [unrolled: 1-line block ×5, first 2 shown]
	v_fma_f64 v[98:99], v[42:43], v[50:51], -v[98:99]
	v_fma_f64 v[100:101], v[44:45], v[50:51], v[100:101]
	v_fma_f64 v[42:43], v[42:43], v[54:55], -v[102:103]
	v_fma_f64 v[44:45], v[44:45], v[54:55], v[104:105]
	;; [unrolled: 2-line block ×4, first 2 shown]
	ds_load_b128 v[26:29], v22 offset:1792
	ds_load_b128 v[30:33], v22 offset:2048
	s_waitcnt lgkmcnt(2)
	v_mul_f64 v[56:57], v[64:65], v[84:85]
	v_add_f64 v[12:13], v[12:13], v[86:87]
	v_add_f64 v[14:15], v[14:15], v[88:89]
	;; [unrolled: 1-line block ×8, first 2 shown]
	v_mul_f64 v[86:87], v[62:63], v[84:85]
	s_waitcnt lgkmcnt(1)
	v_mul_f64 v[88:89], v[64:65], v[28:29]
	v_mul_f64 v[90:91], v[62:63], v[28:29]
	;; [unrolled: 1-line block ×6, first 2 shown]
	v_fma_f64 v[104:105], v[58:59], v[66:67], -v[36:37]
	v_fma_f64 v[106:107], v[60:61], v[66:67], v[40:41]
	v_fma_f64 v[58:59], v[58:59], v[70:71], -v[96:97]
	v_fma_f64 v[60:61], v[60:61], v[70:71], v[112:113]
	;; [unrolled: 2-line block ×4, first 2 shown]
	ds_load_b128 v[0:3], v22 offset:2304
	ds_load_b128 v[4:7], v23 offset:64
	v_fma_f64 v[56:57], v[62:63], v[82:83], -v[56:57]
	v_add_f64 v[72:73], v[12:13], v[98:99]
	v_add_f64 v[74:75], v[14:15], v[100:101]
	;; [unrolled: 1-line block ×8, first 2 shown]
	ds_load_b128 v[8:11], v23 offset:2112
	ds_load_b128 v[12:15], v23 offset:80
	;; [unrolled: 1-line block ×4, first 2 shown]
	s_waitcnt lgkmcnt(4)
	v_mul_f64 v[54:55], v[6:7], v[32:33]
	v_mul_f64 v[76:77], v[4:5], v[32:33]
	;; [unrolled: 1-line block ×4, first 2 shown]
	v_fma_f64 v[86:87], v[64:65], v[82:83], v[86:87]
	v_fma_f64 v[62:63], v[62:63], v[26:27], -v[88:89]
	v_fma_f64 v[64:65], v[64:65], v[26:27], v[90:91]
	v_fma_f64 v[88:89], v[78:79], v[82:83], -v[92:93]
	;; [unrolled: 2-line block ×3, first 2 shown]
	v_fma_f64 v[80:81], v[80:81], v[26:27], v[28:29]
	s_waitcnt lgkmcnt(3)
	v_mul_f64 v[102:103], v[10:11], v[32:33]
	v_mul_f64 v[32:33], v[8:9], v[32:33]
	;; [unrolled: 1-line block ×4, first 2 shown]
	s_waitcnt lgkmcnt(0)
	v_mul_f64 v[90:91], v[14:15], v[40:41]
	v_mul_f64 v[92:93], v[12:13], v[40:41]
	v_add_f64 v[72:73], v[72:73], v[104:105]
	v_add_f64 v[74:75], v[74:75], v[106:107]
	;; [unrolled: 1-line block ×8, first 2 shown]
	ds_load_b128 v[26:29], v22 offset:2816
	ds_load_b128 v[42:45], v22 offset:3072
	;; [unrolled: 1-line block ×4, first 2 shown]
	v_mul_f64 v[104:105], v[36:37], v[40:41]
	v_mul_f64 v[40:41], v[34:35], v[40:41]
	v_fma_f64 v[54:55], v[4:5], v[30:31], -v[54:55]
	v_fma_f64 v[76:77], v[6:7], v[30:31], v[76:77]
	v_fma_f64 v[98:99], v[4:5], v[0:1], -v[98:99]
	v_fma_f64 v[100:101], v[6:7], v[0:1], v[100:101]
	s_waitcnt lgkmcnt(3)
	v_mul_f64 v[94:95], v[14:15], v[28:29]
	v_mul_f64 v[96:97], v[12:13], v[28:29]
	;; [unrolled: 1-line block ×4, first 2 shown]
	v_fma_f64 v[102:103], v[8:9], v[30:31], -v[102:103]
	v_fma_f64 v[32:33], v[10:11], v[30:31], v[32:33]
	v_fma_f64 v[108:109], v[8:9], v[0:1], -v[108:109]
	v_fma_f64 v[112:113], v[10:11], v[0:1], v[2:3]
	ds_load_b128 v[0:3], v23 offset:2144
	ds_load_b128 v[4:7], v23 offset:112
	;; [unrolled: 1-line block ×4, first 2 shown]
	v_add_f64 v[56:57], v[72:73], v[56:57]
	v_add_f64 v[72:73], v[74:75], v[86:87]
	;; [unrolled: 1-line block ×8, first 2 shown]
	s_waitcnt lgkmcnt(4)
	v_mul_f64 v[70:71], v[52:53], v[44:45]
	v_mul_f64 v[74:75], v[50:51], v[44:45]
	v_mul_f64 v[78:79], v[52:53], v[48:49]
	v_mul_f64 v[80:81], v[50:51], v[48:49]
	s_waitcnt lgkmcnt(3)
	v_mul_f64 v[82:83], v[2:3], v[44:45]
	v_mul_f64 v[44:45], v[0:1], v[44:45]
	;; [unrolled: 1-line block ×4, first 2 shown]
	v_fma_f64 v[86:87], v[12:13], v[38:39], -v[90:91]
	v_fma_f64 v[88:89], v[14:15], v[38:39], v[92:93]
	v_fma_f64 v[90:91], v[12:13], v[26:27], -v[94:95]
	v_fma_f64 v[92:93], v[14:15], v[26:27], v[96:97]
	v_fma_f64 v[94:95], v[34:35], v[38:39], -v[104:105]
	v_fma_f64 v[38:39], v[36:37], v[38:39], v[40:41]
	v_fma_f64 v[34:35], v[34:35], v[26:27], -v[106:107]
	v_fma_f64 v[26:27], v[36:37], v[26:27], v[110:111]
	ds_load_b128 v[12:15], v22 offset:3840
	s_waitcnt lgkmcnt(0)
	s_barrier
	buffer_gl0_inv
	v_add_f64 v[36:37], v[56:57], v[54:55]
	v_add_f64 v[40:41], v[72:73], v[76:77]
	;; [unrolled: 1-line block ×8, first 2 shown]
	v_mul_f64 v[64:65], v[6:7], v[30:31]
	v_mul_f64 v[66:67], v[4:5], v[30:31]
	;; [unrolled: 1-line block ×4, first 2 shown]
	v_fma_f64 v[70:71], v[50:51], v[42:43], -v[70:71]
	v_mul_f64 v[68:69], v[6:7], v[14:15]
	v_mul_f64 v[72:73], v[4:5], v[14:15]
	;; [unrolled: 1-line block ×4, first 2 shown]
	v_fma_f64 v[74:75], v[52:53], v[42:43], v[74:75]
	v_fma_f64 v[50:51], v[50:51], v[46:47], -v[78:79]
	v_fma_f64 v[52:53], v[52:53], v[46:47], v[80:81]
	v_fma_f64 v[78:79], v[0:1], v[42:43], -v[82:83]
	;; [unrolled: 2-line block ×3, first 2 shown]
	v_fma_f64 v[2:3], v[2:3], v[46:47], v[48:49]
	v_add_f64 v[36:37], v[36:37], v[86:87]
	v_add_f64 v[40:41], v[40:41], v[88:89]
	;; [unrolled: 1-line block ×8, first 2 shown]
	v_fma_f64 v[38:39], v[4:5], v[28:29], -v[64:65]
	v_fma_f64 v[54:55], v[6:7], v[28:29], v[66:67]
	v_fma_f64 v[56:57], v[8:9], v[28:29], -v[76:77]
	v_fma_f64 v[28:29], v[10:11], v[28:29], v[30:31]
	;; [unrolled: 2-line block ×4, first 2 shown]
	v_add_f64 v[8:9], v[36:37], v[70:71]
	v_add_f64 v[10:11], v[40:41], v[74:75]
	;; [unrolled: 1-line block ×16, first 2 shown]
	s_cbranch_vccz .LBB1174_2
.LBB1174_3:
	s_clause 0x1
	s_load_b128 s[4:7], s[0:1], 0x48
	s_load_b32 s2, s[0:1], 0x0
	v_add_nc_u32_e32 v18, s9, v21
	s_delay_alu instid0(VALU_DEP_1) | instskip(SKIP_1) | instid1(VALU_DEP_1)
	v_ashrrev_i32_e32 v16, 31, v18
	s_waitcnt lgkmcnt(0)
	v_mul_lo_u32 v17, v16, s4
	v_mul_lo_u32 v19, v18, s5
	v_mad_u64_u32 v[21:22], null, v18, s4, 0
	s_mul_i32 s1, s15, s7
	s_mul_hi_u32 s3, s15, s6
	v_add_nc_u32_e32 v16, s8, v20
	s_mul_i32 s6, s15, s6
	s_add_i32 s7, s3, s1
	v_cmp_gt_i32_e32 vcc_lo, s2, v18
	s_delay_alu instid0(VALU_DEP_3)
	v_add3_u32 v22, v22, v19, v17
	s_lshl_b64 s[6:7], s[6:7], 4
	v_cmp_le_i32_e64 s0, v16, v18
	s_add_u32 s3, s30, s6
	s_addc_u32 s6, s31, s7
	v_lshlrev_b64 v[19:20], 4, v[21:22]
	s_delay_alu instid0(VALU_DEP_2) | instskip(NEXT) | instid1(VALU_DEP_1)
	s_and_b32 s0, vcc_lo, s0
	v_add_co_u32 v19, s1, s3, v19
	s_delay_alu instid0(VALU_DEP_1)
	v_add_co_ci_u32_e64 v20, s1, s6, v20, s1
	s_and_saveexec_b32 s1, s0
	s_cbranch_execz .LBB1174_5
; %bb.4:
	v_ashrrev_i32_e32 v17, 31, v16
	s_delay_alu instid0(VALU_DEP_1) | instskip(NEXT) | instid1(VALU_DEP_1)
	v_lshlrev_b64 v[21:22], 4, v[16:17]
	v_add_co_u32 v21, s0, v19, v21
	s_delay_alu instid0(VALU_DEP_1)
	v_add_co_ci_u32_e64 v22, s0, v20, v22, s0
	global_store_b128 v[21:22], v[12:15], off
.LBB1174_5:
	s_or_b32 exec_lo, exec_lo, s1
	v_add_nc_u32_e32 v12, 16, v16
	s_delay_alu instid0(VALU_DEP_1) | instskip(NEXT) | instid1(VALU_DEP_1)
	v_cmp_le_i32_e64 s0, v12, v18
	s_and_b32 s1, vcc_lo, s0
	s_delay_alu instid0(SALU_CYCLE_1)
	s_and_saveexec_b32 s0, s1
	s_cbranch_execz .LBB1174_7
; %bb.6:
	v_ashrrev_i32_e32 v13, 31, v12
	s_delay_alu instid0(VALU_DEP_1) | instskip(NEXT) | instid1(VALU_DEP_1)
	v_lshlrev_b64 v[13:14], 4, v[12:13]
	v_add_co_u32 v13, vcc_lo, v19, v13
	s_delay_alu instid0(VALU_DEP_2)
	v_add_co_ci_u32_e32 v14, vcc_lo, v20, v14, vcc_lo
	global_store_b128 v[13:14], v[8:11], off
.LBB1174_7:
	s_or_b32 exec_lo, exec_lo, s0
	v_add_nc_u32_e32 v8, 16, v18
	s_delay_alu instid0(VALU_DEP_1) | instskip(SKIP_3) | instid1(VALU_DEP_4)
	v_ashrrev_i32_e32 v11, 31, v8
	v_mul_lo_u32 v13, v8, s5
	v_mad_u64_u32 v[9:10], null, v8, s4, 0
	v_cmp_gt_i32_e32 vcc_lo, s2, v8
	v_mul_lo_u32 v11, v11, s4
	v_cmp_le_i32_e64 s0, v16, v8
	s_delay_alu instid0(VALU_DEP_1) | instskip(NEXT) | instid1(VALU_DEP_2)
	s_and_b32 s0, vcc_lo, s0
	v_add3_u32 v10, v10, v13, v11
	s_delay_alu instid0(VALU_DEP_1) | instskip(NEXT) | instid1(VALU_DEP_1)
	v_lshlrev_b64 v[9:10], 4, v[9:10]
	v_add_co_u32 v9, s1, s3, v9
	s_delay_alu instid0(VALU_DEP_1)
	v_add_co_ci_u32_e64 v10, s1, s6, v10, s1
	s_and_saveexec_b32 s1, s0
	s_cbranch_execz .LBB1174_9
; %bb.8:
	v_ashrrev_i32_e32 v17, 31, v16
	s_delay_alu instid0(VALU_DEP_1) | instskip(NEXT) | instid1(VALU_DEP_1)
	v_lshlrev_b64 v[13:14], 4, v[16:17]
	v_add_co_u32 v13, s0, v9, v13
	s_delay_alu instid0(VALU_DEP_1)
	v_add_co_ci_u32_e64 v14, s0, v10, v14, s0
	global_store_b128 v[13:14], v[4:7], off
.LBB1174_9:
	s_or_b32 exec_lo, exec_lo, s1
	v_cmp_le_i32_e64 s0, v12, v8
	s_delay_alu instid0(VALU_DEP_1) | instskip(NEXT) | instid1(SALU_CYCLE_1)
	s_and_b32 s0, vcc_lo, s0
	s_and_saveexec_b32 s1, s0
	s_cbranch_execz .LBB1174_11
; %bb.10:
	v_ashrrev_i32_e32 v13, 31, v12
	s_delay_alu instid0(VALU_DEP_1) | instskip(NEXT) | instid1(VALU_DEP_1)
	v_lshlrev_b64 v[4:5], 4, v[12:13]
	v_add_co_u32 v4, vcc_lo, v9, v4
	s_delay_alu instid0(VALU_DEP_2)
	v_add_co_ci_u32_e32 v5, vcc_lo, v10, v5, vcc_lo
	global_store_b128 v[4:5], v[0:3], off
.LBB1174_11:
	s_nop 0
	s_sendmsg sendmsg(MSG_DEALLOC_VGPRS)
	s_endpgm
	.section	.rodata,"a",@progbits
	.p2align	6, 0x0
	.amdhsa_kernel _ZL37rocblas_syrkx_herkx_restricted_kernelIl19rocblas_complex_numIdELi16ELi32ELi8ELi1ELi0ELb0ELc78ELc85EKS1_S1_EviT_PT9_S3_lS5_S3_lPT10_S3_li
		.amdhsa_group_segment_fixed_size 8192
		.amdhsa_private_segment_fixed_size 0
		.amdhsa_kernarg_size 92
		.amdhsa_user_sgpr_count 13
		.amdhsa_user_sgpr_dispatch_ptr 0
		.amdhsa_user_sgpr_queue_ptr 0
		.amdhsa_user_sgpr_kernarg_segment_ptr 1
		.amdhsa_user_sgpr_dispatch_id 0
		.amdhsa_user_sgpr_private_segment_size 0
		.amdhsa_wavefront_size32 1
		.amdhsa_uses_dynamic_stack 0
		.amdhsa_enable_private_segment 0
		.amdhsa_system_sgpr_workgroup_id_x 1
		.amdhsa_system_sgpr_workgroup_id_y 1
		.amdhsa_system_sgpr_workgroup_id_z 1
		.amdhsa_system_sgpr_workgroup_info 0
		.amdhsa_system_vgpr_workitem_id 1
		.amdhsa_next_free_vgpr 118
		.amdhsa_next_free_sgpr 32
		.amdhsa_reserve_vcc 1
		.amdhsa_float_round_mode_32 0
		.amdhsa_float_round_mode_16_64 0
		.amdhsa_float_denorm_mode_32 3
		.amdhsa_float_denorm_mode_16_64 3
		.amdhsa_dx10_clamp 1
		.amdhsa_ieee_mode 1
		.amdhsa_fp16_overflow 0
		.amdhsa_workgroup_processor_mode 1
		.amdhsa_memory_ordered 1
		.amdhsa_forward_progress 0
		.amdhsa_shared_vgpr_count 0
		.amdhsa_exception_fp_ieee_invalid_op 0
		.amdhsa_exception_fp_denorm_src 0
		.amdhsa_exception_fp_ieee_div_zero 0
		.amdhsa_exception_fp_ieee_overflow 0
		.amdhsa_exception_fp_ieee_underflow 0
		.amdhsa_exception_fp_ieee_inexact 0
		.amdhsa_exception_int_div_zero 0
	.end_amdhsa_kernel
	.section	.text._ZL37rocblas_syrkx_herkx_restricted_kernelIl19rocblas_complex_numIdELi16ELi32ELi8ELi1ELi0ELb0ELc78ELc85EKS1_S1_EviT_PT9_S3_lS5_S3_lPT10_S3_li,"axG",@progbits,_ZL37rocblas_syrkx_herkx_restricted_kernelIl19rocblas_complex_numIdELi16ELi32ELi8ELi1ELi0ELb0ELc78ELc85EKS1_S1_EviT_PT9_S3_lS5_S3_lPT10_S3_li,comdat
.Lfunc_end1174:
	.size	_ZL37rocblas_syrkx_herkx_restricted_kernelIl19rocblas_complex_numIdELi16ELi32ELi8ELi1ELi0ELb0ELc78ELc85EKS1_S1_EviT_PT9_S3_lS5_S3_lPT10_S3_li, .Lfunc_end1174-_ZL37rocblas_syrkx_herkx_restricted_kernelIl19rocblas_complex_numIdELi16ELi32ELi8ELi1ELi0ELb0ELc78ELc85EKS1_S1_EviT_PT9_S3_lS5_S3_lPT10_S3_li
                                        ; -- End function
	.section	.AMDGPU.csdata,"",@progbits
; Kernel info:
; codeLenInByte = 2956
; NumSgprs: 34
; NumVgprs: 118
; ScratchSize: 0
; MemoryBound: 0
; FloatMode: 240
; IeeeMode: 1
; LDSByteSize: 8192 bytes/workgroup (compile time only)
; SGPRBlocks: 4
; VGPRBlocks: 14
; NumSGPRsForWavesPerEU: 34
; NumVGPRsForWavesPerEU: 118
; Occupancy: 12
; WaveLimiterHint : 1
; COMPUTE_PGM_RSRC2:SCRATCH_EN: 0
; COMPUTE_PGM_RSRC2:USER_SGPR: 13
; COMPUTE_PGM_RSRC2:TRAP_HANDLER: 0
; COMPUTE_PGM_RSRC2:TGID_X_EN: 1
; COMPUTE_PGM_RSRC2:TGID_Y_EN: 1
; COMPUTE_PGM_RSRC2:TGID_Z_EN: 1
; COMPUTE_PGM_RSRC2:TIDIG_COMP_CNT: 1
	.section	.text._ZL37rocblas_syrkx_herkx_restricted_kernelIl19rocblas_complex_numIdELi16ELi32ELi8ELin1ELi0ELb0ELc84ELc76EKS1_S1_EviT_PT9_S3_lS5_S3_lPT10_S3_li,"axG",@progbits,_ZL37rocblas_syrkx_herkx_restricted_kernelIl19rocblas_complex_numIdELi16ELi32ELi8ELin1ELi0ELb0ELc84ELc76EKS1_S1_EviT_PT9_S3_lS5_S3_lPT10_S3_li,comdat
	.globl	_ZL37rocblas_syrkx_herkx_restricted_kernelIl19rocblas_complex_numIdELi16ELi32ELi8ELin1ELi0ELb0ELc84ELc76EKS1_S1_EviT_PT9_S3_lS5_S3_lPT10_S3_li ; -- Begin function _ZL37rocblas_syrkx_herkx_restricted_kernelIl19rocblas_complex_numIdELi16ELi32ELi8ELin1ELi0ELb0ELc84ELc76EKS1_S1_EviT_PT9_S3_lS5_S3_lPT10_S3_li
	.p2align	8
	.type	_ZL37rocblas_syrkx_herkx_restricted_kernelIl19rocblas_complex_numIdELi16ELi32ELi8ELin1ELi0ELb0ELc84ELc76EKS1_S1_EviT_PT9_S3_lS5_S3_lPT10_S3_li,@function
_ZL37rocblas_syrkx_herkx_restricted_kernelIl19rocblas_complex_numIdELi16ELi32ELi8ELin1ELi0ELb0ELc84ELc76EKS1_S1_EviT_PT9_S3_lS5_S3_lPT10_S3_li: ; @_ZL37rocblas_syrkx_herkx_restricted_kernelIl19rocblas_complex_numIdELi16ELi32ELi8ELin1ELi0ELb0ELc84ELc76EKS1_S1_EviT_PT9_S3_lS5_S3_lPT10_S3_li
; %bb.0:
	s_load_b512 s[16:31], s[0:1], 0x8
	v_mov_b32_e32 v12, 0
	v_dual_mov_b32 v13, 0 :: v_dual_and_b32 v20, 0x3ff, v0
	v_bfe_u32 v21, v0, 10, 10
	s_delay_alu instid0(VALU_DEP_3) | instskip(NEXT) | instid1(VALU_DEP_3)
	v_mov_b32_e32 v8, v12
	v_dual_mov_b32 v10, v12 :: v_dual_mov_b32 v11, v13
	v_dual_mov_b32 v15, v13 :: v_dual_mov_b32 v14, v12
	;; [unrolled: 1-line block ×6, first 2 shown]
	v_mov_b32_e32 v3, v13
	s_lshl_b32 s8, s13, 5
	s_waitcnt lgkmcnt(0)
	v_cmp_lt_i64_e64 s2, s[16:17], 1
	s_lshl_b32 s9, s14, 5
	s_delay_alu instid0(VALU_DEP_1)
	s_and_b32 vcc_lo, exec_lo, s2
	s_cbranch_vccnz .LBB1175_3
; %bb.1:
	v_lshl_add_u32 v2, v21, 4, v20
	v_dual_mov_b32 v1, 0 :: v_dual_and_b32 v0, 7, v20
	v_lshlrev_b32_e32 v22, 4, v20
	s_mul_i32 s3, s23, s15
	s_delay_alu instid0(VALU_DEP_3)
	v_and_b32_e32 v8, 31, v2
	v_lshrrev_b32_e32 v9, 3, v2
	v_lshrrev_b32_e32 v2, 5, v2
	v_mov_b32_e32 v3, v1
	v_lshlrev_b32_e32 v11, 4, v0
	v_add_nc_u32_e32 v6, s8, v8
	v_add_nc_u32_e32 v10, s9, v9
	s_mul_hi_u32 s4, s22, s15
	s_mul_i32 s2, s22, s15
	s_add_i32 s3, s4, s3
	v_ashrrev_i32_e32 v7, 31, v6
	v_ashrrev_i32_e32 v12, 31, v10
	v_mad_u64_u32 v[4:5], null, s20, v6, v[2:3]
	v_mul_lo_u32 v3, s21, v6
	s_delay_alu instid0(VALU_DEP_4)
	v_mul_lo_u32 v13, s20, v7
	v_mul_lo_u32 v14, v10, s27
	v_mad_u64_u32 v[6:7], null, v10, s26, v[0:1]
	v_mul_lo_u32 v0, v12, s26
	v_lshlrev_b32_e32 v1, 4, v8
	s_lshl_b64 s[2:3], s[2:3], 4
	s_mul_hi_u32 s5, s28, s15
	v_add3_u32 v5, v3, v5, v13
	s_add_u32 s4, s18, s2
	v_lshl_or_b32 v23, v2, 9, v1
	s_mul_i32 s2, s29, s15
	v_add3_u32 v7, v0, v7, v14
	v_lshlrev_b64 v[0:1], 4, v[4:5]
	s_addc_u32 s6, s19, s3
	s_add_i32 s3, s5, s2
	s_mul_i32 s2, s28, s15
	v_lshlrev_b64 v[2:3], 4, v[6:7]
	s_lshl_b64 s[2:3], s[2:3], 4
	v_add_co_u32 v0, vcc_lo, s4, v0
	s_add_u32 s2, s24, s2
	v_add_co_ci_u32_e32 v1, vcc_lo, s6, v1, vcc_lo
	s_addc_u32 s3, s25, s3
	v_add_co_u32 v4, vcc_lo, s2, v2
	v_add_co_ci_u32_e32 v5, vcc_lo, s3, v3, vcc_lo
	v_mov_b32_e32 v2, 0
	v_lshl_or_b32 v8, v9, 7, v11
	v_mov_b32_e32 v3, 0
	v_add_co_u32 v16, vcc_lo, v0, 8
	v_add_co_ci_u32_e32 v17, vcc_lo, 0, v1, vcc_lo
	v_add_co_u32 v18, vcc_lo, v4, 8
	v_add_nc_u32_e32 v24, 0x1000, v8
	v_add_co_ci_u32_e32 v19, vcc_lo, 0, v5, vcc_lo
	v_dual_mov_b32 v5, v3 :: v_dual_mov_b32 v0, v2
	v_dual_mov_b32 v11, v3 :: v_dual_mov_b32 v4, v2
	v_mov_b32_e32 v9, v3
	v_dual_mov_b32 v7, v3 :: v_dual_mov_b32 v10, v2
	v_dual_mov_b32 v15, v3 :: v_dual_mov_b32 v8, v2
	v_mov_b32_e32 v13, v3
	v_lshl_add_u32 v25, v21, 7, 0x1000
	v_dual_mov_b32 v1, v3 :: v_dual_mov_b32 v6, v2
	v_mov_b32_e32 v14, v2
	v_mov_b32_e32 v12, v2
	s_mov_b64 s[2:3], 0
.LBB1175_2:                             ; =>This Inner Loop Header: Depth=1
	global_load_b128 v[26:29], v[16:17], off offset:-8
	global_load_b128 v[30:33], v[18:19], off offset:-8
	s_add_u32 s2, s2, 8
	v_add_co_u32 v16, vcc_lo, 0x80, v16
	s_addc_u32 s3, s3, 0
	v_add_co_ci_u32_e32 v17, vcc_lo, 0, v17, vcc_lo
	v_cmp_ge_u64_e64 s4, s[2:3], s[16:17]
	v_add_co_u32 v18, vcc_lo, 0x80, v18
	v_add_co_ci_u32_e32 v19, vcc_lo, 0, v19, vcc_lo
	s_waitcnt vmcnt(1)
	ds_store_b128 v23, v[26:29]
	s_waitcnt vmcnt(0)
	ds_store_b128 v24, v[30:33]
	s_waitcnt lgkmcnt(0)
	s_barrier
	buffer_gl0_inv
	ds_load_b128 v[26:29], v25
	ds_load_b128 v[30:33], v22
	ds_load_b128 v[34:37], v22 offset:256
	ds_load_b128 v[38:41], v25 offset:2048
	;; [unrolled: 1-line block ×13, first 2 shown]
	s_and_b32 vcc_lo, exec_lo, s4
	s_waitcnt lgkmcnt(13)
	v_mul_f64 v[86:87], v[28:29], v[32:33]
	v_mul_f64 v[88:89], v[26:27], v[32:33]
	s_waitcnt lgkmcnt(12)
	v_mul_f64 v[90:91], v[28:29], v[36:37]
	v_mul_f64 v[92:93], v[26:27], v[36:37]
	;; [unrolled: 3-line block ×3, first 2 shown]
	v_mul_f64 v[96:97], v[40:41], v[36:37]
	v_mul_f64 v[36:37], v[38:39], v[36:37]
	s_waitcnt lgkmcnt(8)
	v_mul_f64 v[98:99], v[44:45], v[52:53]
	v_mul_f64 v[100:101], v[42:43], v[52:53]
	s_waitcnt lgkmcnt(7)
	v_mul_f64 v[102:103], v[44:45], v[56:57]
	v_mul_f64 v[104:105], v[42:43], v[56:57]
	;; [unrolled: 1-line block ×6, first 2 shown]
	s_waitcnt lgkmcnt(3)
	v_mul_f64 v[112:113], v[58:59], v[72:73]
	s_waitcnt lgkmcnt(2)
	v_mul_f64 v[114:115], v[76:77], v[68:69]
	v_mul_f64 v[116:117], v[76:77], v[72:73]
	v_fma_f64 v[86:87], v[26:27], v[30:31], -v[86:87]
	v_fma_f64 v[88:89], v[28:29], v[30:31], v[88:89]
	v_fma_f64 v[90:91], v[26:27], v[34:35], -v[90:91]
	v_fma_f64 v[92:93], v[28:29], v[34:35], v[92:93]
	;; [unrolled: 2-line block ×4, first 2 shown]
	v_mul_f64 v[36:37], v[60:61], v[68:69]
	v_mul_f64 v[40:41], v[58:59], v[68:69]
	;; [unrolled: 1-line block ×5, first 2 shown]
	v_fma_f64 v[98:99], v[42:43], v[50:51], -v[98:99]
	v_fma_f64 v[100:101], v[44:45], v[50:51], v[100:101]
	v_fma_f64 v[42:43], v[42:43], v[54:55], -v[102:103]
	v_fma_f64 v[44:45], v[44:45], v[54:55], v[104:105]
	;; [unrolled: 2-line block ×4, first 2 shown]
	ds_load_b128 v[26:29], v22 offset:1792
	ds_load_b128 v[30:33], v22 offset:2048
	s_waitcnt lgkmcnt(2)
	v_mul_f64 v[56:57], v[64:65], v[84:85]
	v_add_f64 v[12:13], v[12:13], v[86:87]
	v_add_f64 v[14:15], v[14:15], v[88:89]
	;; [unrolled: 1-line block ×8, first 2 shown]
	v_mul_f64 v[86:87], v[62:63], v[84:85]
	s_waitcnt lgkmcnt(1)
	v_mul_f64 v[88:89], v[64:65], v[28:29]
	v_mul_f64 v[90:91], v[62:63], v[28:29]
	;; [unrolled: 1-line block ×6, first 2 shown]
	v_fma_f64 v[104:105], v[58:59], v[66:67], -v[36:37]
	v_fma_f64 v[106:107], v[60:61], v[66:67], v[40:41]
	v_fma_f64 v[58:59], v[58:59], v[70:71], -v[96:97]
	v_fma_f64 v[60:61], v[60:61], v[70:71], v[112:113]
	;; [unrolled: 2-line block ×4, first 2 shown]
	ds_load_b128 v[0:3], v22 offset:2304
	ds_load_b128 v[4:7], v25 offset:64
	v_fma_f64 v[56:57], v[62:63], v[82:83], -v[56:57]
	v_add_f64 v[72:73], v[12:13], v[98:99]
	v_add_f64 v[74:75], v[14:15], v[100:101]
	;; [unrolled: 1-line block ×8, first 2 shown]
	ds_load_b128 v[8:11], v25 offset:2112
	ds_load_b128 v[12:15], v25 offset:80
	;; [unrolled: 1-line block ×4, first 2 shown]
	s_waitcnt lgkmcnt(4)
	v_mul_f64 v[54:55], v[6:7], v[32:33]
	v_mul_f64 v[76:77], v[4:5], v[32:33]
	;; [unrolled: 1-line block ×4, first 2 shown]
	v_fma_f64 v[86:87], v[64:65], v[82:83], v[86:87]
	v_fma_f64 v[62:63], v[62:63], v[26:27], -v[88:89]
	v_fma_f64 v[64:65], v[64:65], v[26:27], v[90:91]
	v_fma_f64 v[88:89], v[78:79], v[82:83], -v[92:93]
	;; [unrolled: 2-line block ×3, first 2 shown]
	v_fma_f64 v[80:81], v[80:81], v[26:27], v[28:29]
	s_waitcnt lgkmcnt(3)
	v_mul_f64 v[102:103], v[10:11], v[32:33]
	v_mul_f64 v[32:33], v[8:9], v[32:33]
	;; [unrolled: 1-line block ×4, first 2 shown]
	s_waitcnt lgkmcnt(0)
	v_mul_f64 v[90:91], v[14:15], v[40:41]
	v_mul_f64 v[92:93], v[12:13], v[40:41]
	v_add_f64 v[72:73], v[72:73], v[104:105]
	v_add_f64 v[74:75], v[74:75], v[106:107]
	;; [unrolled: 1-line block ×8, first 2 shown]
	ds_load_b128 v[26:29], v22 offset:2816
	ds_load_b128 v[42:45], v22 offset:3072
	;; [unrolled: 1-line block ×4, first 2 shown]
	v_mul_f64 v[104:105], v[36:37], v[40:41]
	v_mul_f64 v[40:41], v[34:35], v[40:41]
	v_fma_f64 v[54:55], v[4:5], v[30:31], -v[54:55]
	v_fma_f64 v[76:77], v[6:7], v[30:31], v[76:77]
	v_fma_f64 v[98:99], v[4:5], v[0:1], -v[98:99]
	v_fma_f64 v[100:101], v[6:7], v[0:1], v[100:101]
	s_waitcnt lgkmcnt(3)
	v_mul_f64 v[94:95], v[14:15], v[28:29]
	v_mul_f64 v[96:97], v[12:13], v[28:29]
	v_mul_f64 v[106:107], v[36:37], v[28:29]
	v_mul_f64 v[110:111], v[34:35], v[28:29]
	v_fma_f64 v[102:103], v[8:9], v[30:31], -v[102:103]
	v_fma_f64 v[32:33], v[10:11], v[30:31], v[32:33]
	v_fma_f64 v[108:109], v[8:9], v[0:1], -v[108:109]
	v_fma_f64 v[112:113], v[10:11], v[0:1], v[2:3]
	ds_load_b128 v[0:3], v25 offset:2144
	ds_load_b128 v[4:7], v25 offset:112
	;; [unrolled: 1-line block ×4, first 2 shown]
	v_add_f64 v[56:57], v[72:73], v[56:57]
	v_add_f64 v[72:73], v[74:75], v[86:87]
	;; [unrolled: 1-line block ×8, first 2 shown]
	s_waitcnt lgkmcnt(4)
	v_mul_f64 v[70:71], v[52:53], v[44:45]
	v_mul_f64 v[74:75], v[50:51], v[44:45]
	;; [unrolled: 1-line block ×4, first 2 shown]
	s_waitcnt lgkmcnt(3)
	v_mul_f64 v[82:83], v[2:3], v[44:45]
	v_mul_f64 v[44:45], v[0:1], v[44:45]
	;; [unrolled: 1-line block ×4, first 2 shown]
	v_fma_f64 v[86:87], v[12:13], v[38:39], -v[90:91]
	v_fma_f64 v[88:89], v[14:15], v[38:39], v[92:93]
	v_fma_f64 v[90:91], v[12:13], v[26:27], -v[94:95]
	v_fma_f64 v[92:93], v[14:15], v[26:27], v[96:97]
	;; [unrolled: 2-line block ×4, first 2 shown]
	ds_load_b128 v[12:15], v22 offset:3840
	s_waitcnt lgkmcnt(0)
	s_barrier
	buffer_gl0_inv
	v_add_f64 v[36:37], v[56:57], v[54:55]
	v_add_f64 v[40:41], v[72:73], v[76:77]
	;; [unrolled: 1-line block ×8, first 2 shown]
	v_mul_f64 v[64:65], v[6:7], v[30:31]
	v_mul_f64 v[66:67], v[4:5], v[30:31]
	;; [unrolled: 1-line block ×4, first 2 shown]
	v_fma_f64 v[70:71], v[50:51], v[42:43], -v[70:71]
	v_mul_f64 v[68:69], v[6:7], v[14:15]
	v_mul_f64 v[72:73], v[4:5], v[14:15]
	;; [unrolled: 1-line block ×4, first 2 shown]
	v_fma_f64 v[74:75], v[52:53], v[42:43], v[74:75]
	v_fma_f64 v[50:51], v[50:51], v[46:47], -v[78:79]
	v_fma_f64 v[52:53], v[52:53], v[46:47], v[80:81]
	v_fma_f64 v[78:79], v[0:1], v[42:43], -v[82:83]
	;; [unrolled: 2-line block ×3, first 2 shown]
	v_fma_f64 v[2:3], v[2:3], v[46:47], v[48:49]
	v_add_f64 v[36:37], v[36:37], v[86:87]
	v_add_f64 v[40:41], v[40:41], v[88:89]
	;; [unrolled: 1-line block ×8, first 2 shown]
	v_fma_f64 v[38:39], v[4:5], v[28:29], -v[64:65]
	v_fma_f64 v[54:55], v[6:7], v[28:29], v[66:67]
	v_fma_f64 v[56:57], v[8:9], v[28:29], -v[76:77]
	v_fma_f64 v[28:29], v[10:11], v[28:29], v[30:31]
	;; [unrolled: 2-line block ×4, first 2 shown]
	v_add_f64 v[8:9], v[36:37], v[70:71]
	v_add_f64 v[10:11], v[40:41], v[74:75]
	;; [unrolled: 1-line block ×16, first 2 shown]
	s_cbranch_vccz .LBB1175_2
.LBB1175_3:
	s_load_b128 s[4:7], s[0:1], 0x48
	v_add_nc_u32_e32 v18, s9, v21
	s_load_b32 s9, s[0:1], 0x0
	s_delay_alu instid0(VALU_DEP_1) | instskip(SKIP_1) | instid1(VALU_DEP_1)
	v_ashrrev_i32_e32 v16, 31, v18
	s_waitcnt lgkmcnt(0)
	v_mul_lo_u32 v17, v16, s4
	v_mul_lo_u32 v19, v18, s5
	v_mad_u64_u32 v[21:22], null, v18, s4, 0
	s_mul_i32 s1, s15, s7
	s_mul_hi_u32 s3, s15, s6
	v_add_nc_u32_e32 v16, s8, v20
	s_mul_i32 s2, s15, s6
	s_add_i32 s3, s3, s1
	s_delay_alu instid0(VALU_DEP_2)
	v_add3_u32 v22, v22, v19, v17
	s_lshl_b64 s[2:3], s[2:3], 4
	v_cmp_le_i32_e64 s0, v18, v16
	s_add_u32 s2, s30, s2
	v_cmp_gt_i32_e32 vcc_lo, s9, v16
	v_lshlrev_b64 v[19:20], 4, v[21:22]
	s_addc_u32 s3, s31, s3
	s_and_b32 s0, s0, vcc_lo
	s_delay_alu instid0(VALU_DEP_1) | instskip(NEXT) | instid1(VALU_DEP_1)
	v_add_co_u32 v19, s1, s2, v19
	v_add_co_ci_u32_e64 v20, s1, s3, v20, s1
	s_and_saveexec_b32 s1, s0
	s_cbranch_execz .LBB1175_5
; %bb.4:
	v_ashrrev_i32_e32 v17, 31, v16
	v_xor_b32_e32 v13, 0x80000000, v13
	v_xor_b32_e32 v15, 0x80000000, v15
	s_delay_alu instid0(VALU_DEP_3) | instskip(NEXT) | instid1(VALU_DEP_1)
	v_lshlrev_b64 v[21:22], 4, v[16:17]
	v_add_co_u32 v21, s0, v19, v21
	s_delay_alu instid0(VALU_DEP_1)
	v_add_co_ci_u32_e64 v22, s0, v20, v22, s0
	global_store_b128 v[21:22], v[12:15], off
.LBB1175_5:
	s_or_b32 exec_lo, exec_lo, s1
	v_add_nc_u32_e32 v12, 16, v16
	s_delay_alu instid0(VALU_DEP_1) | instskip(SKIP_1) | instid1(VALU_DEP_1)
	v_cmp_le_i32_e64 s1, v18, v12
	v_cmp_gt_i32_e64 s0, s9, v12
	s_and_b32 s1, s1, s0
	s_delay_alu instid0(SALU_CYCLE_1)
	s_and_saveexec_b32 s6, s1
	s_cbranch_execz .LBB1175_7
; %bb.6:
	v_ashrrev_i32_e32 v13, 31, v12
	v_xor_b32_e32 v9, 0x80000000, v9
	v_xor_b32_e32 v11, 0x80000000, v11
	s_delay_alu instid0(VALU_DEP_3) | instskip(NEXT) | instid1(VALU_DEP_1)
	v_lshlrev_b64 v[13:14], 4, v[12:13]
	v_add_co_u32 v13, s1, v19, v13
	s_delay_alu instid0(VALU_DEP_1)
	v_add_co_ci_u32_e64 v14, s1, v20, v14, s1
	global_store_b128 v[13:14], v[8:11], off
.LBB1175_7:
	s_or_b32 exec_lo, exec_lo, s6
	v_add_nc_u32_e32 v10, 16, v18
	s_delay_alu instid0(VALU_DEP_1) | instskip(SKIP_3) | instid1(VALU_DEP_4)
	v_ashrrev_i32_e32 v11, 31, v10
	v_mul_lo_u32 v13, v10, s5
	v_mad_u64_u32 v[8:9], null, v10, s4, 0
	v_cmp_le_i32_e64 s1, v10, v16
	v_mul_lo_u32 v11, v11, s4
	s_delay_alu instid0(VALU_DEP_1) | instskip(NEXT) | instid1(VALU_DEP_1)
	v_add3_u32 v9, v9, v13, v11
	v_lshlrev_b64 v[8:9], 4, v[8:9]
	s_delay_alu instid0(VALU_DEP_1) | instskip(NEXT) | instid1(VALU_DEP_1)
	v_add_co_u32 v8, s2, s2, v8
	v_add_co_ci_u32_e64 v9, s2, s3, v9, s2
	s_and_b32 s2, s1, vcc_lo
	s_delay_alu instid0(SALU_CYCLE_1)
	s_and_saveexec_b32 s1, s2
	s_cbranch_execz .LBB1175_9
; %bb.8:
	v_ashrrev_i32_e32 v17, 31, v16
	v_xor_b32_e32 v5, 0x80000000, v5
	v_xor_b32_e32 v7, 0x80000000, v7
	s_delay_alu instid0(VALU_DEP_3) | instskip(NEXT) | instid1(VALU_DEP_1)
	v_lshlrev_b64 v[13:14], 4, v[16:17]
	v_add_co_u32 v13, vcc_lo, v8, v13
	s_delay_alu instid0(VALU_DEP_2)
	v_add_co_ci_u32_e32 v14, vcc_lo, v9, v14, vcc_lo
	global_store_b128 v[13:14], v[4:7], off
.LBB1175_9:
	s_or_b32 exec_lo, exec_lo, s1
	v_cmp_le_i32_e32 vcc_lo, v10, v12
	s_and_b32 s0, vcc_lo, s0
	s_delay_alu instid0(SALU_CYCLE_1)
	s_and_saveexec_b32 s1, s0
	s_cbranch_execz .LBB1175_11
; %bb.10:
	v_ashrrev_i32_e32 v13, 31, v12
	v_xor_b32_e32 v1, 0x80000000, v1
	v_xor_b32_e32 v3, 0x80000000, v3
	s_delay_alu instid0(VALU_DEP_3) | instskip(NEXT) | instid1(VALU_DEP_1)
	v_lshlrev_b64 v[4:5], 4, v[12:13]
	v_add_co_u32 v4, vcc_lo, v8, v4
	s_delay_alu instid0(VALU_DEP_2)
	v_add_co_ci_u32_e32 v5, vcc_lo, v9, v5, vcc_lo
	global_store_b128 v[4:5], v[0:3], off
.LBB1175_11:
	s_nop 0
	s_sendmsg sendmsg(MSG_DEALLOC_VGPRS)
	s_endpgm
	.section	.rodata,"a",@progbits
	.p2align	6, 0x0
	.amdhsa_kernel _ZL37rocblas_syrkx_herkx_restricted_kernelIl19rocblas_complex_numIdELi16ELi32ELi8ELin1ELi0ELb0ELc84ELc76EKS1_S1_EviT_PT9_S3_lS5_S3_lPT10_S3_li
		.amdhsa_group_segment_fixed_size 8192
		.amdhsa_private_segment_fixed_size 0
		.amdhsa_kernarg_size 92
		.amdhsa_user_sgpr_count 13
		.amdhsa_user_sgpr_dispatch_ptr 0
		.amdhsa_user_sgpr_queue_ptr 0
		.amdhsa_user_sgpr_kernarg_segment_ptr 1
		.amdhsa_user_sgpr_dispatch_id 0
		.amdhsa_user_sgpr_private_segment_size 0
		.amdhsa_wavefront_size32 1
		.amdhsa_uses_dynamic_stack 0
		.amdhsa_enable_private_segment 0
		.amdhsa_system_sgpr_workgroup_id_x 1
		.amdhsa_system_sgpr_workgroup_id_y 1
		.amdhsa_system_sgpr_workgroup_id_z 1
		.amdhsa_system_sgpr_workgroup_info 0
		.amdhsa_system_vgpr_workitem_id 1
		.amdhsa_next_free_vgpr 118
		.amdhsa_next_free_sgpr 32
		.amdhsa_reserve_vcc 1
		.amdhsa_float_round_mode_32 0
		.amdhsa_float_round_mode_16_64 0
		.amdhsa_float_denorm_mode_32 3
		.amdhsa_float_denorm_mode_16_64 3
		.amdhsa_dx10_clamp 1
		.amdhsa_ieee_mode 1
		.amdhsa_fp16_overflow 0
		.amdhsa_workgroup_processor_mode 1
		.amdhsa_memory_ordered 1
		.amdhsa_forward_progress 0
		.amdhsa_shared_vgpr_count 0
		.amdhsa_exception_fp_ieee_invalid_op 0
		.amdhsa_exception_fp_denorm_src 0
		.amdhsa_exception_fp_ieee_div_zero 0
		.amdhsa_exception_fp_ieee_overflow 0
		.amdhsa_exception_fp_ieee_underflow 0
		.amdhsa_exception_fp_ieee_inexact 0
		.amdhsa_exception_int_div_zero 0
	.end_amdhsa_kernel
	.section	.text._ZL37rocblas_syrkx_herkx_restricted_kernelIl19rocblas_complex_numIdELi16ELi32ELi8ELin1ELi0ELb0ELc84ELc76EKS1_S1_EviT_PT9_S3_lS5_S3_lPT10_S3_li,"axG",@progbits,_ZL37rocblas_syrkx_herkx_restricted_kernelIl19rocblas_complex_numIdELi16ELi32ELi8ELin1ELi0ELb0ELc84ELc76EKS1_S1_EviT_PT9_S3_lS5_S3_lPT10_S3_li,comdat
.Lfunc_end1175:
	.size	_ZL37rocblas_syrkx_herkx_restricted_kernelIl19rocblas_complex_numIdELi16ELi32ELi8ELin1ELi0ELb0ELc84ELc76EKS1_S1_EviT_PT9_S3_lS5_S3_lPT10_S3_li, .Lfunc_end1175-_ZL37rocblas_syrkx_herkx_restricted_kernelIl19rocblas_complex_numIdELi16ELi32ELi8ELin1ELi0ELb0ELc84ELc76EKS1_S1_EviT_PT9_S3_lS5_S3_lPT10_S3_li
                                        ; -- End function
	.section	.AMDGPU.csdata,"",@progbits
; Kernel info:
; codeLenInByte = 3028
; NumSgprs: 34
; NumVgprs: 118
; ScratchSize: 0
; MemoryBound: 0
; FloatMode: 240
; IeeeMode: 1
; LDSByteSize: 8192 bytes/workgroup (compile time only)
; SGPRBlocks: 4
; VGPRBlocks: 14
; NumSGPRsForWavesPerEU: 34
; NumVGPRsForWavesPerEU: 118
; Occupancy: 12
; WaveLimiterHint : 1
; COMPUTE_PGM_RSRC2:SCRATCH_EN: 0
; COMPUTE_PGM_RSRC2:USER_SGPR: 13
; COMPUTE_PGM_RSRC2:TRAP_HANDLER: 0
; COMPUTE_PGM_RSRC2:TGID_X_EN: 1
; COMPUTE_PGM_RSRC2:TGID_Y_EN: 1
; COMPUTE_PGM_RSRC2:TGID_Z_EN: 1
; COMPUTE_PGM_RSRC2:TIDIG_COMP_CNT: 1
	.section	.text._ZL37rocblas_syrkx_herkx_restricted_kernelIl19rocblas_complex_numIdELi16ELi32ELi8ELin1ELi0ELb0ELc67ELc76EKS1_S1_EviT_PT9_S3_lS5_S3_lPT10_S3_li,"axG",@progbits,_ZL37rocblas_syrkx_herkx_restricted_kernelIl19rocblas_complex_numIdELi16ELi32ELi8ELin1ELi0ELb0ELc67ELc76EKS1_S1_EviT_PT9_S3_lS5_S3_lPT10_S3_li,comdat
	.globl	_ZL37rocblas_syrkx_herkx_restricted_kernelIl19rocblas_complex_numIdELi16ELi32ELi8ELin1ELi0ELb0ELc67ELc76EKS1_S1_EviT_PT9_S3_lS5_S3_lPT10_S3_li ; -- Begin function _ZL37rocblas_syrkx_herkx_restricted_kernelIl19rocblas_complex_numIdELi16ELi32ELi8ELin1ELi0ELb0ELc67ELc76EKS1_S1_EviT_PT9_S3_lS5_S3_lPT10_S3_li
	.p2align	8
	.type	_ZL37rocblas_syrkx_herkx_restricted_kernelIl19rocblas_complex_numIdELi16ELi32ELi8ELin1ELi0ELb0ELc67ELc76EKS1_S1_EviT_PT9_S3_lS5_S3_lPT10_S3_li,@function
_ZL37rocblas_syrkx_herkx_restricted_kernelIl19rocblas_complex_numIdELi16ELi32ELi8ELin1ELi0ELb0ELc67ELc76EKS1_S1_EviT_PT9_S3_lS5_S3_lPT10_S3_li: ; @_ZL37rocblas_syrkx_herkx_restricted_kernelIl19rocblas_complex_numIdELi16ELi32ELi8ELin1ELi0ELb0ELc67ELc76EKS1_S1_EviT_PT9_S3_lS5_S3_lPT10_S3_li
; %bb.0:
	s_load_b512 s[16:31], s[0:1], 0x8
	v_mov_b32_e32 v12, 0
	v_dual_mov_b32 v13, 0 :: v_dual_and_b32 v20, 0x3ff, v0
	v_bfe_u32 v21, v0, 10, 10
	s_delay_alu instid0(VALU_DEP_3) | instskip(NEXT) | instid1(VALU_DEP_3)
	v_mov_b32_e32 v8, v12
	v_dual_mov_b32 v10, v12 :: v_dual_mov_b32 v11, v13
	v_dual_mov_b32 v15, v13 :: v_dual_mov_b32 v14, v12
	;; [unrolled: 1-line block ×6, first 2 shown]
	v_mov_b32_e32 v3, v13
	s_lshl_b32 s8, s13, 5
	s_waitcnt lgkmcnt(0)
	v_cmp_lt_i64_e64 s2, s[16:17], 1
	s_lshl_b32 s9, s14, 5
	s_delay_alu instid0(VALU_DEP_1)
	s_and_b32 vcc_lo, exec_lo, s2
	s_cbranch_vccnz .LBB1176_3
; %bb.1:
	v_lshl_add_u32 v2, v21, 4, v20
	v_dual_mov_b32 v1, 0 :: v_dual_and_b32 v0, 7, v20
	v_lshlrev_b32_e32 v22, 4, v20
	s_mul_i32 s3, s23, s15
	s_delay_alu instid0(VALU_DEP_3)
	v_and_b32_e32 v8, 31, v2
	v_lshrrev_b32_e32 v9, 3, v2
	v_lshrrev_b32_e32 v2, 5, v2
	v_mov_b32_e32 v3, v1
	v_lshlrev_b32_e32 v11, 4, v0
	v_add_nc_u32_e32 v6, s8, v8
	v_add_nc_u32_e32 v10, s9, v9
	s_mul_hi_u32 s4, s22, s15
	s_mul_i32 s2, s22, s15
	s_add_i32 s3, s4, s3
	v_ashrrev_i32_e32 v7, 31, v6
	v_ashrrev_i32_e32 v12, 31, v10
	v_mad_u64_u32 v[4:5], null, s20, v6, v[2:3]
	v_mul_lo_u32 v3, s21, v6
	s_delay_alu instid0(VALU_DEP_4)
	v_mul_lo_u32 v13, s20, v7
	v_mul_lo_u32 v14, v10, s27
	v_mad_u64_u32 v[6:7], null, v10, s26, v[0:1]
	v_mul_lo_u32 v0, v12, s26
	v_lshlrev_b32_e32 v1, 4, v8
	s_lshl_b64 s[2:3], s[2:3], 4
	s_mul_hi_u32 s5, s28, s15
	v_add3_u32 v5, v3, v5, v13
	s_add_u32 s4, s18, s2
	v_lshl_or_b32 v23, v2, 9, v1
	s_mul_i32 s2, s29, s15
	v_add3_u32 v7, v0, v7, v14
	v_lshlrev_b64 v[0:1], 4, v[4:5]
	s_addc_u32 s6, s19, s3
	s_add_i32 s3, s5, s2
	s_mul_i32 s2, s28, s15
	v_lshlrev_b64 v[2:3], 4, v[6:7]
	s_lshl_b64 s[2:3], s[2:3], 4
	v_add_co_u32 v0, vcc_lo, s4, v0
	s_add_u32 s2, s24, s2
	v_add_co_ci_u32_e32 v1, vcc_lo, s6, v1, vcc_lo
	s_addc_u32 s3, s25, s3
	v_add_co_u32 v4, vcc_lo, s2, v2
	v_add_co_ci_u32_e32 v5, vcc_lo, s3, v3, vcc_lo
	v_mov_b32_e32 v2, 0
	v_lshl_or_b32 v8, v9, 7, v11
	v_mov_b32_e32 v3, 0
	v_add_co_u32 v16, vcc_lo, v0, 8
	v_add_co_ci_u32_e32 v17, vcc_lo, 0, v1, vcc_lo
	v_add_co_u32 v18, vcc_lo, v4, 8
	v_add_nc_u32_e32 v24, 0x1000, v8
	v_add_co_ci_u32_e32 v19, vcc_lo, 0, v5, vcc_lo
	v_dual_mov_b32 v5, v3 :: v_dual_mov_b32 v0, v2
	v_dual_mov_b32 v11, v3 :: v_dual_mov_b32 v4, v2
	v_mov_b32_e32 v9, v3
	v_dual_mov_b32 v7, v3 :: v_dual_mov_b32 v10, v2
	v_dual_mov_b32 v15, v3 :: v_dual_mov_b32 v8, v2
	v_mov_b32_e32 v13, v3
	v_lshl_add_u32 v25, v21, 7, 0x1000
	v_dual_mov_b32 v1, v3 :: v_dual_mov_b32 v6, v2
	v_mov_b32_e32 v14, v2
	v_mov_b32_e32 v12, v2
	s_mov_b64 s[2:3], 0
.LBB1176_2:                             ; =>This Inner Loop Header: Depth=1
	global_load_b128 v[26:29], v[16:17], off offset:-8
	global_load_b128 v[30:33], v[18:19], off offset:-8
	s_add_u32 s2, s2, 8
	v_add_co_u32 v16, vcc_lo, 0x80, v16
	s_addc_u32 s3, s3, 0
	v_add_co_ci_u32_e32 v17, vcc_lo, 0, v17, vcc_lo
	v_cmp_ge_u64_e64 s4, s[2:3], s[16:17]
	v_add_co_u32 v18, vcc_lo, 0x80, v18
	v_add_co_ci_u32_e32 v19, vcc_lo, 0, v19, vcc_lo
	s_waitcnt vmcnt(1)
	ds_store_b128 v23, v[26:29]
	s_waitcnt vmcnt(0)
	ds_store_b128 v24, v[30:33]
	s_waitcnt lgkmcnt(0)
	s_barrier
	buffer_gl0_inv
	ds_load_b128 v[26:29], v25
	ds_load_b128 v[30:33], v22
	ds_load_b128 v[34:37], v22 offset:256
	ds_load_b128 v[38:41], v25 offset:2048
	;; [unrolled: 1-line block ×13, first 2 shown]
	s_and_b32 vcc_lo, exec_lo, s4
	s_waitcnt lgkmcnt(13)
	v_mul_f64 v[86:87], v[28:29], v[32:33]
	v_mul_f64 v[88:89], v[26:27], v[32:33]
	s_waitcnt lgkmcnt(12)
	v_mul_f64 v[90:91], v[28:29], v[36:37]
	v_mul_f64 v[92:93], v[26:27], v[36:37]
	;; [unrolled: 3-line block ×3, first 2 shown]
	v_mul_f64 v[96:97], v[40:41], v[36:37]
	v_mul_f64 v[36:37], v[38:39], v[36:37]
	s_waitcnt lgkmcnt(8)
	v_mul_f64 v[98:99], v[44:45], v[52:53]
	v_mul_f64 v[100:101], v[42:43], v[52:53]
	s_waitcnt lgkmcnt(7)
	v_mul_f64 v[102:103], v[44:45], v[56:57]
	v_mul_f64 v[104:105], v[42:43], v[56:57]
	;; [unrolled: 1-line block ×6, first 2 shown]
	s_waitcnt lgkmcnt(3)
	v_mul_f64 v[112:113], v[58:59], v[72:73]
	s_waitcnt lgkmcnt(2)
	v_mul_f64 v[114:115], v[76:77], v[68:69]
	v_mul_f64 v[116:117], v[76:77], v[72:73]
	v_fma_f64 v[86:87], v[26:27], v[30:31], -v[86:87]
	v_fma_f64 v[88:89], v[28:29], v[30:31], v[88:89]
	v_fma_f64 v[90:91], v[26:27], v[34:35], -v[90:91]
	v_fma_f64 v[92:93], v[28:29], v[34:35], v[92:93]
	;; [unrolled: 2-line block ×4, first 2 shown]
	v_mul_f64 v[36:37], v[60:61], v[68:69]
	v_mul_f64 v[40:41], v[58:59], v[68:69]
	;; [unrolled: 1-line block ×5, first 2 shown]
	v_fma_f64 v[98:99], v[42:43], v[50:51], -v[98:99]
	v_fma_f64 v[100:101], v[44:45], v[50:51], v[100:101]
	v_fma_f64 v[42:43], v[42:43], v[54:55], -v[102:103]
	v_fma_f64 v[44:45], v[44:45], v[54:55], v[104:105]
	;; [unrolled: 2-line block ×4, first 2 shown]
	ds_load_b128 v[26:29], v22 offset:1792
	ds_load_b128 v[30:33], v22 offset:2048
	s_waitcnt lgkmcnt(2)
	v_mul_f64 v[56:57], v[64:65], v[84:85]
	v_add_f64 v[12:13], v[12:13], v[86:87]
	v_add_f64 v[14:15], v[14:15], v[88:89]
	;; [unrolled: 1-line block ×8, first 2 shown]
	v_mul_f64 v[86:87], v[62:63], v[84:85]
	s_waitcnt lgkmcnt(1)
	v_mul_f64 v[88:89], v[64:65], v[28:29]
	v_mul_f64 v[90:91], v[62:63], v[28:29]
	;; [unrolled: 1-line block ×6, first 2 shown]
	v_fma_f64 v[104:105], v[58:59], v[66:67], -v[36:37]
	v_fma_f64 v[106:107], v[60:61], v[66:67], v[40:41]
	v_fma_f64 v[58:59], v[58:59], v[70:71], -v[96:97]
	v_fma_f64 v[60:61], v[60:61], v[70:71], v[112:113]
	v_fma_f64 v[96:97], v[74:75], v[66:67], -v[114:115]
	v_fma_f64 v[66:67], v[76:77], v[66:67], v[68:69]
	v_fma_f64 v[68:69], v[74:75], v[70:71], -v[116:117]
	v_fma_f64 v[70:71], v[76:77], v[70:71], v[72:73]
	ds_load_b128 v[0:3], v22 offset:2304
	ds_load_b128 v[4:7], v25 offset:64
	v_fma_f64 v[56:57], v[62:63], v[82:83], -v[56:57]
	v_add_f64 v[72:73], v[12:13], v[98:99]
	v_add_f64 v[74:75], v[14:15], v[100:101]
	;; [unrolled: 1-line block ×8, first 2 shown]
	ds_load_b128 v[8:11], v25 offset:2112
	ds_load_b128 v[12:15], v25 offset:80
	;; [unrolled: 1-line block ×4, first 2 shown]
	s_waitcnt lgkmcnt(4)
	v_mul_f64 v[54:55], v[6:7], v[32:33]
	v_mul_f64 v[76:77], v[4:5], v[32:33]
	;; [unrolled: 1-line block ×4, first 2 shown]
	v_fma_f64 v[86:87], v[64:65], v[82:83], v[86:87]
	v_fma_f64 v[62:63], v[62:63], v[26:27], -v[88:89]
	v_fma_f64 v[64:65], v[64:65], v[26:27], v[90:91]
	v_fma_f64 v[88:89], v[78:79], v[82:83], -v[92:93]
	;; [unrolled: 2-line block ×3, first 2 shown]
	v_fma_f64 v[80:81], v[80:81], v[26:27], v[28:29]
	s_waitcnt lgkmcnt(3)
	v_mul_f64 v[102:103], v[10:11], v[32:33]
	v_mul_f64 v[32:33], v[8:9], v[32:33]
	;; [unrolled: 1-line block ×4, first 2 shown]
	s_waitcnt lgkmcnt(0)
	v_mul_f64 v[90:91], v[14:15], v[40:41]
	v_mul_f64 v[92:93], v[12:13], v[40:41]
	v_add_f64 v[72:73], v[72:73], v[104:105]
	v_add_f64 v[74:75], v[74:75], v[106:107]
	;; [unrolled: 1-line block ×8, first 2 shown]
	ds_load_b128 v[26:29], v22 offset:2816
	ds_load_b128 v[42:45], v22 offset:3072
	;; [unrolled: 1-line block ×4, first 2 shown]
	v_mul_f64 v[104:105], v[36:37], v[40:41]
	v_mul_f64 v[40:41], v[34:35], v[40:41]
	v_fma_f64 v[54:55], v[4:5], v[30:31], -v[54:55]
	v_fma_f64 v[76:77], v[6:7], v[30:31], v[76:77]
	v_fma_f64 v[98:99], v[4:5], v[0:1], -v[98:99]
	v_fma_f64 v[100:101], v[6:7], v[0:1], v[100:101]
	s_waitcnt lgkmcnt(3)
	v_mul_f64 v[94:95], v[14:15], v[28:29]
	v_mul_f64 v[96:97], v[12:13], v[28:29]
	;; [unrolled: 1-line block ×4, first 2 shown]
	v_fma_f64 v[102:103], v[8:9], v[30:31], -v[102:103]
	v_fma_f64 v[32:33], v[10:11], v[30:31], v[32:33]
	v_fma_f64 v[108:109], v[8:9], v[0:1], -v[108:109]
	v_fma_f64 v[112:113], v[10:11], v[0:1], v[2:3]
	ds_load_b128 v[0:3], v25 offset:2144
	ds_load_b128 v[4:7], v25 offset:112
	;; [unrolled: 1-line block ×4, first 2 shown]
	v_add_f64 v[56:57], v[72:73], v[56:57]
	v_add_f64 v[72:73], v[74:75], v[86:87]
	;; [unrolled: 1-line block ×8, first 2 shown]
	s_waitcnt lgkmcnt(4)
	v_mul_f64 v[70:71], v[52:53], v[44:45]
	v_mul_f64 v[74:75], v[50:51], v[44:45]
	;; [unrolled: 1-line block ×4, first 2 shown]
	s_waitcnt lgkmcnt(3)
	v_mul_f64 v[82:83], v[2:3], v[44:45]
	v_mul_f64 v[44:45], v[0:1], v[44:45]
	;; [unrolled: 1-line block ×4, first 2 shown]
	v_fma_f64 v[86:87], v[12:13], v[38:39], -v[90:91]
	v_fma_f64 v[88:89], v[14:15], v[38:39], v[92:93]
	v_fma_f64 v[90:91], v[12:13], v[26:27], -v[94:95]
	v_fma_f64 v[92:93], v[14:15], v[26:27], v[96:97]
	;; [unrolled: 2-line block ×4, first 2 shown]
	ds_load_b128 v[12:15], v22 offset:3840
	s_waitcnt lgkmcnt(0)
	s_barrier
	buffer_gl0_inv
	v_add_f64 v[36:37], v[56:57], v[54:55]
	v_add_f64 v[40:41], v[72:73], v[76:77]
	;; [unrolled: 1-line block ×8, first 2 shown]
	v_mul_f64 v[64:65], v[6:7], v[30:31]
	v_mul_f64 v[66:67], v[4:5], v[30:31]
	;; [unrolled: 1-line block ×4, first 2 shown]
	v_fma_f64 v[70:71], v[50:51], v[42:43], -v[70:71]
	v_mul_f64 v[68:69], v[6:7], v[14:15]
	v_mul_f64 v[72:73], v[4:5], v[14:15]
	;; [unrolled: 1-line block ×4, first 2 shown]
	v_fma_f64 v[74:75], v[52:53], v[42:43], v[74:75]
	v_fma_f64 v[50:51], v[50:51], v[46:47], -v[78:79]
	v_fma_f64 v[52:53], v[52:53], v[46:47], v[80:81]
	v_fma_f64 v[78:79], v[0:1], v[42:43], -v[82:83]
	;; [unrolled: 2-line block ×3, first 2 shown]
	v_fma_f64 v[2:3], v[2:3], v[46:47], v[48:49]
	v_add_f64 v[36:37], v[36:37], v[86:87]
	v_add_f64 v[40:41], v[40:41], v[88:89]
	;; [unrolled: 1-line block ×8, first 2 shown]
	v_fma_f64 v[38:39], v[4:5], v[28:29], -v[64:65]
	v_fma_f64 v[54:55], v[6:7], v[28:29], v[66:67]
	v_fma_f64 v[56:57], v[8:9], v[28:29], -v[76:77]
	v_fma_f64 v[28:29], v[10:11], v[28:29], v[30:31]
	;; [unrolled: 2-line block ×4, first 2 shown]
	v_add_f64 v[8:9], v[36:37], v[70:71]
	v_add_f64 v[10:11], v[40:41], v[74:75]
	;; [unrolled: 1-line block ×16, first 2 shown]
	s_cbranch_vccz .LBB1176_2
.LBB1176_3:
	s_load_b128 s[4:7], s[0:1], 0x48
	v_add_nc_u32_e32 v18, s9, v21
	s_load_b32 s9, s[0:1], 0x0
	s_delay_alu instid0(VALU_DEP_1) | instskip(SKIP_1) | instid1(VALU_DEP_1)
	v_ashrrev_i32_e32 v16, 31, v18
	s_waitcnt lgkmcnt(0)
	v_mul_lo_u32 v17, v16, s4
	v_mul_lo_u32 v19, v18, s5
	v_mad_u64_u32 v[21:22], null, v18, s4, 0
	s_mul_i32 s1, s15, s7
	s_mul_hi_u32 s3, s15, s6
	v_add_nc_u32_e32 v16, s8, v20
	s_mul_i32 s2, s15, s6
	s_add_i32 s3, s3, s1
	s_delay_alu instid0(VALU_DEP_2)
	v_add3_u32 v22, v22, v19, v17
	s_lshl_b64 s[2:3], s[2:3], 4
	v_cmp_le_i32_e64 s0, v18, v16
	s_add_u32 s2, s30, s2
	v_cmp_gt_i32_e32 vcc_lo, s9, v16
	v_lshlrev_b64 v[19:20], 4, v[21:22]
	s_addc_u32 s3, s31, s3
	s_and_b32 s0, s0, vcc_lo
	s_delay_alu instid0(VALU_DEP_1) | instskip(NEXT) | instid1(VALU_DEP_1)
	v_add_co_u32 v19, s1, s2, v19
	v_add_co_ci_u32_e64 v20, s1, s3, v20, s1
	s_and_saveexec_b32 s1, s0
	s_cbranch_execz .LBB1176_5
; %bb.4:
	v_ashrrev_i32_e32 v17, 31, v16
	v_xor_b32_e32 v13, 0x80000000, v13
	v_xor_b32_e32 v15, 0x80000000, v15
	s_delay_alu instid0(VALU_DEP_3) | instskip(NEXT) | instid1(VALU_DEP_1)
	v_lshlrev_b64 v[21:22], 4, v[16:17]
	v_add_co_u32 v21, s0, v19, v21
	s_delay_alu instid0(VALU_DEP_1)
	v_add_co_ci_u32_e64 v22, s0, v20, v22, s0
	global_store_b128 v[21:22], v[12:15], off
.LBB1176_5:
	s_or_b32 exec_lo, exec_lo, s1
	v_add_nc_u32_e32 v12, 16, v16
	s_delay_alu instid0(VALU_DEP_1) | instskip(SKIP_1) | instid1(VALU_DEP_1)
	v_cmp_le_i32_e64 s1, v18, v12
	v_cmp_gt_i32_e64 s0, s9, v12
	s_and_b32 s1, s1, s0
	s_delay_alu instid0(SALU_CYCLE_1)
	s_and_saveexec_b32 s6, s1
	s_cbranch_execz .LBB1176_7
; %bb.6:
	v_ashrrev_i32_e32 v13, 31, v12
	v_xor_b32_e32 v9, 0x80000000, v9
	v_xor_b32_e32 v11, 0x80000000, v11
	s_delay_alu instid0(VALU_DEP_3) | instskip(NEXT) | instid1(VALU_DEP_1)
	v_lshlrev_b64 v[13:14], 4, v[12:13]
	v_add_co_u32 v13, s1, v19, v13
	s_delay_alu instid0(VALU_DEP_1)
	v_add_co_ci_u32_e64 v14, s1, v20, v14, s1
	global_store_b128 v[13:14], v[8:11], off
.LBB1176_7:
	s_or_b32 exec_lo, exec_lo, s6
	v_add_nc_u32_e32 v10, 16, v18
	s_delay_alu instid0(VALU_DEP_1) | instskip(SKIP_3) | instid1(VALU_DEP_4)
	v_ashrrev_i32_e32 v11, 31, v10
	v_mul_lo_u32 v13, v10, s5
	v_mad_u64_u32 v[8:9], null, v10, s4, 0
	v_cmp_le_i32_e64 s1, v10, v16
	v_mul_lo_u32 v11, v11, s4
	s_delay_alu instid0(VALU_DEP_1) | instskip(NEXT) | instid1(VALU_DEP_1)
	v_add3_u32 v9, v9, v13, v11
	v_lshlrev_b64 v[8:9], 4, v[8:9]
	s_delay_alu instid0(VALU_DEP_1) | instskip(NEXT) | instid1(VALU_DEP_1)
	v_add_co_u32 v8, s2, s2, v8
	v_add_co_ci_u32_e64 v9, s2, s3, v9, s2
	s_and_b32 s2, s1, vcc_lo
	s_delay_alu instid0(SALU_CYCLE_1)
	s_and_saveexec_b32 s1, s2
	s_cbranch_execz .LBB1176_9
; %bb.8:
	v_ashrrev_i32_e32 v17, 31, v16
	v_xor_b32_e32 v5, 0x80000000, v5
	v_xor_b32_e32 v7, 0x80000000, v7
	s_delay_alu instid0(VALU_DEP_3) | instskip(NEXT) | instid1(VALU_DEP_1)
	v_lshlrev_b64 v[13:14], 4, v[16:17]
	v_add_co_u32 v13, vcc_lo, v8, v13
	s_delay_alu instid0(VALU_DEP_2)
	v_add_co_ci_u32_e32 v14, vcc_lo, v9, v14, vcc_lo
	global_store_b128 v[13:14], v[4:7], off
.LBB1176_9:
	s_or_b32 exec_lo, exec_lo, s1
	v_cmp_le_i32_e32 vcc_lo, v10, v12
	s_and_b32 s0, vcc_lo, s0
	s_delay_alu instid0(SALU_CYCLE_1)
	s_and_saveexec_b32 s1, s0
	s_cbranch_execz .LBB1176_11
; %bb.10:
	v_ashrrev_i32_e32 v13, 31, v12
	v_xor_b32_e32 v1, 0x80000000, v1
	v_xor_b32_e32 v3, 0x80000000, v3
	s_delay_alu instid0(VALU_DEP_3) | instskip(NEXT) | instid1(VALU_DEP_1)
	v_lshlrev_b64 v[4:5], 4, v[12:13]
	v_add_co_u32 v4, vcc_lo, v8, v4
	s_delay_alu instid0(VALU_DEP_2)
	v_add_co_ci_u32_e32 v5, vcc_lo, v9, v5, vcc_lo
	global_store_b128 v[4:5], v[0:3], off
.LBB1176_11:
	s_nop 0
	s_sendmsg sendmsg(MSG_DEALLOC_VGPRS)
	s_endpgm
	.section	.rodata,"a",@progbits
	.p2align	6, 0x0
	.amdhsa_kernel _ZL37rocblas_syrkx_herkx_restricted_kernelIl19rocblas_complex_numIdELi16ELi32ELi8ELin1ELi0ELb0ELc67ELc76EKS1_S1_EviT_PT9_S3_lS5_S3_lPT10_S3_li
		.amdhsa_group_segment_fixed_size 8192
		.amdhsa_private_segment_fixed_size 0
		.amdhsa_kernarg_size 92
		.amdhsa_user_sgpr_count 13
		.amdhsa_user_sgpr_dispatch_ptr 0
		.amdhsa_user_sgpr_queue_ptr 0
		.amdhsa_user_sgpr_kernarg_segment_ptr 1
		.amdhsa_user_sgpr_dispatch_id 0
		.amdhsa_user_sgpr_private_segment_size 0
		.amdhsa_wavefront_size32 1
		.amdhsa_uses_dynamic_stack 0
		.amdhsa_enable_private_segment 0
		.amdhsa_system_sgpr_workgroup_id_x 1
		.amdhsa_system_sgpr_workgroup_id_y 1
		.amdhsa_system_sgpr_workgroup_id_z 1
		.amdhsa_system_sgpr_workgroup_info 0
		.amdhsa_system_vgpr_workitem_id 1
		.amdhsa_next_free_vgpr 118
		.amdhsa_next_free_sgpr 32
		.amdhsa_reserve_vcc 1
		.amdhsa_float_round_mode_32 0
		.amdhsa_float_round_mode_16_64 0
		.amdhsa_float_denorm_mode_32 3
		.amdhsa_float_denorm_mode_16_64 3
		.amdhsa_dx10_clamp 1
		.amdhsa_ieee_mode 1
		.amdhsa_fp16_overflow 0
		.amdhsa_workgroup_processor_mode 1
		.amdhsa_memory_ordered 1
		.amdhsa_forward_progress 0
		.amdhsa_shared_vgpr_count 0
		.amdhsa_exception_fp_ieee_invalid_op 0
		.amdhsa_exception_fp_denorm_src 0
		.amdhsa_exception_fp_ieee_div_zero 0
		.amdhsa_exception_fp_ieee_overflow 0
		.amdhsa_exception_fp_ieee_underflow 0
		.amdhsa_exception_fp_ieee_inexact 0
		.amdhsa_exception_int_div_zero 0
	.end_amdhsa_kernel
	.section	.text._ZL37rocblas_syrkx_herkx_restricted_kernelIl19rocblas_complex_numIdELi16ELi32ELi8ELin1ELi0ELb0ELc67ELc76EKS1_S1_EviT_PT9_S3_lS5_S3_lPT10_S3_li,"axG",@progbits,_ZL37rocblas_syrkx_herkx_restricted_kernelIl19rocblas_complex_numIdELi16ELi32ELi8ELin1ELi0ELb0ELc67ELc76EKS1_S1_EviT_PT9_S3_lS5_S3_lPT10_S3_li,comdat
.Lfunc_end1176:
	.size	_ZL37rocblas_syrkx_herkx_restricted_kernelIl19rocblas_complex_numIdELi16ELi32ELi8ELin1ELi0ELb0ELc67ELc76EKS1_S1_EviT_PT9_S3_lS5_S3_lPT10_S3_li, .Lfunc_end1176-_ZL37rocblas_syrkx_herkx_restricted_kernelIl19rocblas_complex_numIdELi16ELi32ELi8ELin1ELi0ELb0ELc67ELc76EKS1_S1_EviT_PT9_S3_lS5_S3_lPT10_S3_li
                                        ; -- End function
	.section	.AMDGPU.csdata,"",@progbits
; Kernel info:
; codeLenInByte = 3028
; NumSgprs: 34
; NumVgprs: 118
; ScratchSize: 0
; MemoryBound: 0
; FloatMode: 240
; IeeeMode: 1
; LDSByteSize: 8192 bytes/workgroup (compile time only)
; SGPRBlocks: 4
; VGPRBlocks: 14
; NumSGPRsForWavesPerEU: 34
; NumVGPRsForWavesPerEU: 118
; Occupancy: 12
; WaveLimiterHint : 1
; COMPUTE_PGM_RSRC2:SCRATCH_EN: 0
; COMPUTE_PGM_RSRC2:USER_SGPR: 13
; COMPUTE_PGM_RSRC2:TRAP_HANDLER: 0
; COMPUTE_PGM_RSRC2:TGID_X_EN: 1
; COMPUTE_PGM_RSRC2:TGID_Y_EN: 1
; COMPUTE_PGM_RSRC2:TGID_Z_EN: 1
; COMPUTE_PGM_RSRC2:TIDIG_COMP_CNT: 1
	.section	.text._ZL37rocblas_syrkx_herkx_restricted_kernelIl19rocblas_complex_numIdELi16ELi32ELi8ELin1ELi0ELb0ELc78ELc76EKS1_S1_EviT_PT9_S3_lS5_S3_lPT10_S3_li,"axG",@progbits,_ZL37rocblas_syrkx_herkx_restricted_kernelIl19rocblas_complex_numIdELi16ELi32ELi8ELin1ELi0ELb0ELc78ELc76EKS1_S1_EviT_PT9_S3_lS5_S3_lPT10_S3_li,comdat
	.globl	_ZL37rocblas_syrkx_herkx_restricted_kernelIl19rocblas_complex_numIdELi16ELi32ELi8ELin1ELi0ELb0ELc78ELc76EKS1_S1_EviT_PT9_S3_lS5_S3_lPT10_S3_li ; -- Begin function _ZL37rocblas_syrkx_herkx_restricted_kernelIl19rocblas_complex_numIdELi16ELi32ELi8ELin1ELi0ELb0ELc78ELc76EKS1_S1_EviT_PT9_S3_lS5_S3_lPT10_S3_li
	.p2align	8
	.type	_ZL37rocblas_syrkx_herkx_restricted_kernelIl19rocblas_complex_numIdELi16ELi32ELi8ELin1ELi0ELb0ELc78ELc76EKS1_S1_EviT_PT9_S3_lS5_S3_lPT10_S3_li,@function
_ZL37rocblas_syrkx_herkx_restricted_kernelIl19rocblas_complex_numIdELi16ELi32ELi8ELin1ELi0ELb0ELc78ELc76EKS1_S1_EviT_PT9_S3_lS5_S3_lPT10_S3_li: ; @_ZL37rocblas_syrkx_herkx_restricted_kernelIl19rocblas_complex_numIdELi16ELi32ELi8ELin1ELi0ELb0ELc78ELc76EKS1_S1_EviT_PT9_S3_lS5_S3_lPT10_S3_li
; %bb.0:
	s_load_b512 s[16:31], s[0:1], 0x8
	v_mov_b32_e32 v12, 0
	v_dual_mov_b32 v13, 0 :: v_dual_and_b32 v20, 0x3ff, v0
	v_bfe_u32 v21, v0, 10, 10
	s_delay_alu instid0(VALU_DEP_3) | instskip(NEXT) | instid1(VALU_DEP_3)
	v_mov_b32_e32 v8, v12
	v_dual_mov_b32 v10, v12 :: v_dual_mov_b32 v11, v13
	v_dual_mov_b32 v15, v13 :: v_dual_mov_b32 v14, v12
	;; [unrolled: 1-line block ×6, first 2 shown]
	v_mov_b32_e32 v3, v13
	s_lshl_b32 s8, s13, 5
	s_waitcnt lgkmcnt(0)
	v_cmp_lt_i64_e64 s2, s[16:17], 1
	s_lshl_b32 s9, s14, 5
	s_delay_alu instid0(VALU_DEP_1)
	s_and_b32 vcc_lo, exec_lo, s2
	s_cbranch_vccnz .LBB1177_3
; %bb.1:
	v_lshl_add_u32 v1, v21, 4, v20
	v_and_b32_e32 v10, 7, v20
	s_mul_i32 s3, s23, s15
	s_mul_hi_u32 s5, s22, s15
	s_mul_i32 s2, s22, s15
	v_and_b32_e32 v9, 31, v1
	v_lshrrev_b32_e32 v11, 3, v1
	v_lshrrev_b32_e32 v12, 5, v1
	s_add_i32 s3, s5, s3
	s_mul_i32 s6, s29, s15
	v_add_nc_u32_e32 v0, s8, v9
	v_add_nc_u32_e32 v2, s9, v11
	s_lshl_b64 s[2:3], s[2:3], 4
	s_mul_hi_u32 s7, s28, s15
	s_add_u32 s10, s18, s2
	v_ashrrev_i32_e32 v1, 31, v0
	v_ashrrev_i32_e32 v3, 31, v2
	s_mul_i32 s4, s28, s15
	s_addc_u32 s11, s19, s3
	s_add_i32 s5, s7, s6
	v_mad_u64_u32 v[4:5], null, v12, s20, v[0:1]
	v_mad_u64_u32 v[0:1], null, v10, s26, v[2:3]
	v_mov_b32_e32 v2, 0
	v_mov_b32_e32 v3, 0
	s_lshl_b64 s[4:5], s[4:5], 4
	s_lshl_b64 s[2:3], s[20:21], 7
	s_delay_alu instid0(VALU_DEP_4) | instskip(NEXT) | instid1(VALU_DEP_4)
	v_mad_u64_u32 v[6:7], null, v12, s21, v[5:6]
	v_mad_u64_u32 v[7:8], null, v10, s27, v[1:2]
	v_lshlrev_b32_e32 v22, 4, v20
	s_add_u32 s4, s24, s4
	s_addc_u32 s5, s25, s5
	v_lshlrev_b32_e32 v13, 4, v10
	s_delay_alu instid0(VALU_DEP_4) | instskip(NEXT) | instid1(VALU_DEP_4)
	v_dual_mov_b32 v5, v6 :: v_dual_lshlrev_b32 v6, 4, v9
	v_mov_b32_e32 v1, v7
	v_mov_b32_e32 v15, v3
	v_lshl_add_u32 v23, v21, 7, 0x1000
	s_delay_alu instid0(VALU_DEP_4) | instskip(SKIP_3) | instid1(VALU_DEP_3)
	v_lshlrev_b64 v[4:5], 4, v[4:5]
	s_mov_b64 s[6:7], 0
	v_lshlrev_b64 v[0:1], 4, v[0:1]
	v_mov_b32_e32 v14, v2
	v_add_co_u32 v4, vcc_lo, s10, v4
	s_delay_alu instid0(VALU_DEP_4) | instskip(NEXT) | instid1(VALU_DEP_4)
	v_add_co_ci_u32_e32 v5, vcc_lo, s11, v5, vcc_lo
	v_add_co_u32 v0, vcc_lo, s4, v0
	v_add_co_ci_u32_e32 v1, vcc_lo, s5, v1, vcc_lo
	s_delay_alu instid0(VALU_DEP_4) | instskip(NEXT) | instid1(VALU_DEP_4)
	v_add_co_u32 v16, vcc_lo, v4, 8
	v_add_co_ci_u32_e32 v17, vcc_lo, 0, v5, vcc_lo
	s_delay_alu instid0(VALU_DEP_4) | instskip(NEXT) | instid1(VALU_DEP_4)
	v_add_co_u32 v18, vcc_lo, v0, 8
	v_add_co_ci_u32_e32 v19, vcc_lo, 0, v1, vcc_lo
	v_mov_b32_e32 v0, v2
	v_lshl_or_b32 v8, v11, 7, v13
	v_mov_b32_e32 v1, v3
	v_lshl_or_b32 v24, v12, 9, v6
	v_mov_b32_e32 v7, v3
	v_mov_b32_e32 v5, v3
	v_dual_mov_b32 v6, v2 :: v_dual_add_nc_u32 v25, 0x1000, v8
	v_mov_b32_e32 v11, v3
	v_mov_b32_e32 v9, v3
	v_dual_mov_b32 v13, v3 :: v_dual_mov_b32 v4, v2
	v_mov_b32_e32 v10, v2
	v_mov_b32_e32 v8, v2
	;; [unrolled: 1-line block ×3, first 2 shown]
	s_lshl_b64 s[4:5], s[26:27], 7
.LBB1177_2:                             ; =>This Inner Loop Header: Depth=1
	global_load_b128 v[26:29], v[16:17], off offset:-8
	global_load_b128 v[30:33], v[18:19], off offset:-8
	s_add_u32 s6, s6, 8
	v_add_co_u32 v16, vcc_lo, v16, s2
	s_addc_u32 s7, s7, 0
	v_add_co_ci_u32_e32 v17, vcc_lo, s3, v17, vcc_lo
	v_cmp_ge_u64_e64 s10, s[6:7], s[16:17]
	v_add_co_u32 v18, vcc_lo, v18, s4
	v_add_co_ci_u32_e32 v19, vcc_lo, s5, v19, vcc_lo
	s_waitcnt vmcnt(1)
	ds_store_b128 v24, v[26:29]
	s_waitcnt vmcnt(0)
	ds_store_b128 v25, v[30:33]
	s_waitcnt lgkmcnt(0)
	s_barrier
	buffer_gl0_inv
	ds_load_b128 v[26:29], v23
	ds_load_b128 v[30:33], v22
	ds_load_b128 v[34:37], v22 offset:256
	ds_load_b128 v[38:41], v23 offset:2048
	;; [unrolled: 1-line block ×13, first 2 shown]
	s_and_b32 vcc_lo, exec_lo, s10
	s_waitcnt lgkmcnt(13)
	v_mul_f64 v[86:87], v[28:29], v[32:33]
	v_mul_f64 v[88:89], v[26:27], v[32:33]
	s_waitcnt lgkmcnt(12)
	v_mul_f64 v[90:91], v[28:29], v[36:37]
	v_mul_f64 v[92:93], v[26:27], v[36:37]
	;; [unrolled: 3-line block ×3, first 2 shown]
	v_mul_f64 v[96:97], v[40:41], v[36:37]
	v_mul_f64 v[36:37], v[38:39], v[36:37]
	s_waitcnt lgkmcnt(8)
	v_mul_f64 v[98:99], v[44:45], v[52:53]
	v_mul_f64 v[100:101], v[42:43], v[52:53]
	s_waitcnt lgkmcnt(7)
	v_mul_f64 v[102:103], v[44:45], v[56:57]
	v_mul_f64 v[104:105], v[42:43], v[56:57]
	;; [unrolled: 1-line block ×6, first 2 shown]
	s_waitcnt lgkmcnt(3)
	v_mul_f64 v[112:113], v[58:59], v[72:73]
	s_waitcnt lgkmcnt(2)
	v_mul_f64 v[114:115], v[76:77], v[68:69]
	v_mul_f64 v[116:117], v[76:77], v[72:73]
	v_fma_f64 v[86:87], v[26:27], v[30:31], -v[86:87]
	v_fma_f64 v[88:89], v[28:29], v[30:31], v[88:89]
	v_fma_f64 v[90:91], v[26:27], v[34:35], -v[90:91]
	v_fma_f64 v[92:93], v[28:29], v[34:35], v[92:93]
	;; [unrolled: 2-line block ×4, first 2 shown]
	v_mul_f64 v[36:37], v[60:61], v[68:69]
	v_mul_f64 v[40:41], v[58:59], v[68:69]
	v_mul_f64 v[96:97], v[60:61], v[72:73]
	v_mul_f64 v[68:69], v[74:75], v[68:69]
	v_mul_f64 v[72:73], v[74:75], v[72:73]
	v_fma_f64 v[98:99], v[42:43], v[50:51], -v[98:99]
	v_fma_f64 v[100:101], v[44:45], v[50:51], v[100:101]
	v_fma_f64 v[42:43], v[42:43], v[54:55], -v[102:103]
	v_fma_f64 v[44:45], v[44:45], v[54:55], v[104:105]
	;; [unrolled: 2-line block ×4, first 2 shown]
	ds_load_b128 v[26:29], v22 offset:1792
	ds_load_b128 v[30:33], v22 offset:2048
	s_waitcnt lgkmcnt(2)
	v_mul_f64 v[56:57], v[64:65], v[84:85]
	v_add_f64 v[12:13], v[12:13], v[86:87]
	v_add_f64 v[14:15], v[14:15], v[88:89]
	;; [unrolled: 1-line block ×8, first 2 shown]
	v_mul_f64 v[86:87], v[62:63], v[84:85]
	s_waitcnt lgkmcnt(1)
	v_mul_f64 v[88:89], v[64:65], v[28:29]
	v_mul_f64 v[90:91], v[62:63], v[28:29]
	v_mul_f64 v[92:93], v[80:81], v[84:85]
	v_mul_f64 v[84:85], v[78:79], v[84:85]
	v_mul_f64 v[94:95], v[80:81], v[28:29]
	v_mul_f64 v[28:29], v[78:79], v[28:29]
	v_fma_f64 v[104:105], v[58:59], v[66:67], -v[36:37]
	v_fma_f64 v[106:107], v[60:61], v[66:67], v[40:41]
	v_fma_f64 v[58:59], v[58:59], v[70:71], -v[96:97]
	v_fma_f64 v[60:61], v[60:61], v[70:71], v[112:113]
	;; [unrolled: 2-line block ×4, first 2 shown]
	ds_load_b128 v[0:3], v22 offset:2304
	ds_load_b128 v[4:7], v23 offset:64
	v_fma_f64 v[56:57], v[62:63], v[82:83], -v[56:57]
	v_add_f64 v[72:73], v[12:13], v[98:99]
	v_add_f64 v[74:75], v[14:15], v[100:101]
	v_add_f64 v[42:43], v[8:9], v[42:43]
	v_add_f64 v[44:45], v[10:11], v[44:45]
	v_add_f64 v[52:53], v[52:53], v[102:103]
	v_add_f64 v[50:51], v[54:55], v[50:51]
	v_add_f64 v[46:47], v[38:39], v[46:47]
	v_add_f64 v[48:49], v[34:35], v[48:49]
	ds_load_b128 v[8:11], v23 offset:2112
	ds_load_b128 v[12:15], v23 offset:80
	;; [unrolled: 1-line block ×4, first 2 shown]
	s_waitcnt lgkmcnt(4)
	v_mul_f64 v[54:55], v[6:7], v[32:33]
	v_mul_f64 v[76:77], v[4:5], v[32:33]
	;; [unrolled: 1-line block ×4, first 2 shown]
	v_fma_f64 v[86:87], v[64:65], v[82:83], v[86:87]
	v_fma_f64 v[62:63], v[62:63], v[26:27], -v[88:89]
	v_fma_f64 v[64:65], v[64:65], v[26:27], v[90:91]
	v_fma_f64 v[88:89], v[78:79], v[82:83], -v[92:93]
	;; [unrolled: 2-line block ×3, first 2 shown]
	v_fma_f64 v[80:81], v[80:81], v[26:27], v[28:29]
	s_waitcnt lgkmcnt(3)
	v_mul_f64 v[102:103], v[10:11], v[32:33]
	v_mul_f64 v[32:33], v[8:9], v[32:33]
	;; [unrolled: 1-line block ×4, first 2 shown]
	s_waitcnt lgkmcnt(0)
	v_mul_f64 v[90:91], v[14:15], v[40:41]
	v_mul_f64 v[92:93], v[12:13], v[40:41]
	v_add_f64 v[72:73], v[72:73], v[104:105]
	v_add_f64 v[74:75], v[74:75], v[106:107]
	;; [unrolled: 1-line block ×8, first 2 shown]
	ds_load_b128 v[26:29], v22 offset:2816
	ds_load_b128 v[42:45], v22 offset:3072
	;; [unrolled: 1-line block ×4, first 2 shown]
	v_mul_f64 v[104:105], v[36:37], v[40:41]
	v_mul_f64 v[40:41], v[34:35], v[40:41]
	v_fma_f64 v[54:55], v[4:5], v[30:31], -v[54:55]
	v_fma_f64 v[76:77], v[6:7], v[30:31], v[76:77]
	v_fma_f64 v[98:99], v[4:5], v[0:1], -v[98:99]
	v_fma_f64 v[100:101], v[6:7], v[0:1], v[100:101]
	s_waitcnt lgkmcnt(3)
	v_mul_f64 v[94:95], v[14:15], v[28:29]
	v_mul_f64 v[96:97], v[12:13], v[28:29]
	;; [unrolled: 1-line block ×4, first 2 shown]
	v_fma_f64 v[102:103], v[8:9], v[30:31], -v[102:103]
	v_fma_f64 v[32:33], v[10:11], v[30:31], v[32:33]
	v_fma_f64 v[108:109], v[8:9], v[0:1], -v[108:109]
	v_fma_f64 v[112:113], v[10:11], v[0:1], v[2:3]
	ds_load_b128 v[0:3], v23 offset:2144
	ds_load_b128 v[4:7], v23 offset:112
	;; [unrolled: 1-line block ×4, first 2 shown]
	v_add_f64 v[56:57], v[72:73], v[56:57]
	v_add_f64 v[72:73], v[74:75], v[86:87]
	v_add_f64 v[58:59], v[58:59], v[62:63]
	v_add_f64 v[60:61], v[60:61], v[64:65]
	v_add_f64 v[62:63], v[84:85], v[88:89]
	v_add_f64 v[64:65], v[66:67], v[82:83]
	v_add_f64 v[66:67], v[68:69], v[78:79]
	v_add_f64 v[68:69], v[70:71], v[80:81]
	s_waitcnt lgkmcnt(4)
	v_mul_f64 v[70:71], v[52:53], v[44:45]
	v_mul_f64 v[74:75], v[50:51], v[44:45]
	;; [unrolled: 1-line block ×4, first 2 shown]
	s_waitcnt lgkmcnt(3)
	v_mul_f64 v[82:83], v[2:3], v[44:45]
	v_mul_f64 v[44:45], v[0:1], v[44:45]
	;; [unrolled: 1-line block ×4, first 2 shown]
	v_fma_f64 v[86:87], v[12:13], v[38:39], -v[90:91]
	v_fma_f64 v[88:89], v[14:15], v[38:39], v[92:93]
	v_fma_f64 v[90:91], v[12:13], v[26:27], -v[94:95]
	v_fma_f64 v[92:93], v[14:15], v[26:27], v[96:97]
	;; [unrolled: 2-line block ×4, first 2 shown]
	ds_load_b128 v[12:15], v22 offset:3840
	s_waitcnt lgkmcnt(0)
	s_barrier
	buffer_gl0_inv
	v_add_f64 v[36:37], v[56:57], v[54:55]
	v_add_f64 v[40:41], v[72:73], v[76:77]
	;; [unrolled: 1-line block ×8, first 2 shown]
	v_mul_f64 v[64:65], v[6:7], v[30:31]
	v_mul_f64 v[66:67], v[4:5], v[30:31]
	;; [unrolled: 1-line block ×4, first 2 shown]
	v_fma_f64 v[70:71], v[50:51], v[42:43], -v[70:71]
	v_mul_f64 v[68:69], v[6:7], v[14:15]
	v_mul_f64 v[72:73], v[4:5], v[14:15]
	;; [unrolled: 1-line block ×4, first 2 shown]
	v_fma_f64 v[74:75], v[52:53], v[42:43], v[74:75]
	v_fma_f64 v[50:51], v[50:51], v[46:47], -v[78:79]
	v_fma_f64 v[52:53], v[52:53], v[46:47], v[80:81]
	v_fma_f64 v[78:79], v[0:1], v[42:43], -v[82:83]
	;; [unrolled: 2-line block ×3, first 2 shown]
	v_fma_f64 v[2:3], v[2:3], v[46:47], v[48:49]
	v_add_f64 v[36:37], v[36:37], v[86:87]
	v_add_f64 v[40:41], v[40:41], v[88:89]
	;; [unrolled: 1-line block ×8, first 2 shown]
	v_fma_f64 v[38:39], v[4:5], v[28:29], -v[64:65]
	v_fma_f64 v[54:55], v[6:7], v[28:29], v[66:67]
	v_fma_f64 v[56:57], v[8:9], v[28:29], -v[76:77]
	v_fma_f64 v[28:29], v[10:11], v[28:29], v[30:31]
	;; [unrolled: 2-line block ×4, first 2 shown]
	v_add_f64 v[8:9], v[36:37], v[70:71]
	v_add_f64 v[10:11], v[40:41], v[74:75]
	;; [unrolled: 1-line block ×16, first 2 shown]
	s_cbranch_vccz .LBB1177_2
.LBB1177_3:
	s_load_b128 s[4:7], s[0:1], 0x48
	v_add_nc_u32_e32 v18, s9, v21
	s_load_b32 s9, s[0:1], 0x0
	s_delay_alu instid0(VALU_DEP_1) | instskip(SKIP_1) | instid1(VALU_DEP_1)
	v_ashrrev_i32_e32 v16, 31, v18
	s_waitcnt lgkmcnt(0)
	v_mul_lo_u32 v17, v16, s4
	v_mul_lo_u32 v19, v18, s5
	v_mad_u64_u32 v[21:22], null, v18, s4, 0
	s_mul_i32 s1, s15, s7
	s_mul_hi_u32 s3, s15, s6
	v_add_nc_u32_e32 v16, s8, v20
	s_mul_i32 s2, s15, s6
	s_add_i32 s3, s3, s1
	s_delay_alu instid0(VALU_DEP_2)
	v_add3_u32 v22, v22, v19, v17
	s_lshl_b64 s[2:3], s[2:3], 4
	v_cmp_le_i32_e64 s0, v18, v16
	s_add_u32 s2, s30, s2
	v_cmp_gt_i32_e32 vcc_lo, s9, v16
	v_lshlrev_b64 v[19:20], 4, v[21:22]
	s_addc_u32 s3, s31, s3
	s_and_b32 s0, s0, vcc_lo
	s_delay_alu instid0(VALU_DEP_1) | instskip(NEXT) | instid1(VALU_DEP_1)
	v_add_co_u32 v19, s1, s2, v19
	v_add_co_ci_u32_e64 v20, s1, s3, v20, s1
	s_and_saveexec_b32 s1, s0
	s_cbranch_execz .LBB1177_5
; %bb.4:
	v_ashrrev_i32_e32 v17, 31, v16
	v_xor_b32_e32 v13, 0x80000000, v13
	v_xor_b32_e32 v15, 0x80000000, v15
	s_delay_alu instid0(VALU_DEP_3) | instskip(NEXT) | instid1(VALU_DEP_1)
	v_lshlrev_b64 v[21:22], 4, v[16:17]
	v_add_co_u32 v21, s0, v19, v21
	s_delay_alu instid0(VALU_DEP_1)
	v_add_co_ci_u32_e64 v22, s0, v20, v22, s0
	global_store_b128 v[21:22], v[12:15], off
.LBB1177_5:
	s_or_b32 exec_lo, exec_lo, s1
	v_add_nc_u32_e32 v12, 16, v16
	s_delay_alu instid0(VALU_DEP_1) | instskip(SKIP_1) | instid1(VALU_DEP_1)
	v_cmp_le_i32_e64 s1, v18, v12
	v_cmp_gt_i32_e64 s0, s9, v12
	s_and_b32 s1, s1, s0
	s_delay_alu instid0(SALU_CYCLE_1)
	s_and_saveexec_b32 s6, s1
	s_cbranch_execz .LBB1177_7
; %bb.6:
	v_ashrrev_i32_e32 v13, 31, v12
	v_xor_b32_e32 v9, 0x80000000, v9
	v_xor_b32_e32 v11, 0x80000000, v11
	s_delay_alu instid0(VALU_DEP_3) | instskip(NEXT) | instid1(VALU_DEP_1)
	v_lshlrev_b64 v[13:14], 4, v[12:13]
	v_add_co_u32 v13, s1, v19, v13
	s_delay_alu instid0(VALU_DEP_1)
	v_add_co_ci_u32_e64 v14, s1, v20, v14, s1
	global_store_b128 v[13:14], v[8:11], off
.LBB1177_7:
	s_or_b32 exec_lo, exec_lo, s6
	v_add_nc_u32_e32 v10, 16, v18
	s_delay_alu instid0(VALU_DEP_1) | instskip(SKIP_3) | instid1(VALU_DEP_4)
	v_ashrrev_i32_e32 v11, 31, v10
	v_mul_lo_u32 v13, v10, s5
	v_mad_u64_u32 v[8:9], null, v10, s4, 0
	v_cmp_le_i32_e64 s1, v10, v16
	v_mul_lo_u32 v11, v11, s4
	s_delay_alu instid0(VALU_DEP_1) | instskip(NEXT) | instid1(VALU_DEP_1)
	v_add3_u32 v9, v9, v13, v11
	v_lshlrev_b64 v[8:9], 4, v[8:9]
	s_delay_alu instid0(VALU_DEP_1) | instskip(NEXT) | instid1(VALU_DEP_1)
	v_add_co_u32 v8, s2, s2, v8
	v_add_co_ci_u32_e64 v9, s2, s3, v9, s2
	s_and_b32 s2, s1, vcc_lo
	s_delay_alu instid0(SALU_CYCLE_1)
	s_and_saveexec_b32 s1, s2
	s_cbranch_execz .LBB1177_9
; %bb.8:
	v_ashrrev_i32_e32 v17, 31, v16
	v_xor_b32_e32 v5, 0x80000000, v5
	v_xor_b32_e32 v7, 0x80000000, v7
	s_delay_alu instid0(VALU_DEP_3) | instskip(NEXT) | instid1(VALU_DEP_1)
	v_lshlrev_b64 v[13:14], 4, v[16:17]
	v_add_co_u32 v13, vcc_lo, v8, v13
	s_delay_alu instid0(VALU_DEP_2)
	v_add_co_ci_u32_e32 v14, vcc_lo, v9, v14, vcc_lo
	global_store_b128 v[13:14], v[4:7], off
.LBB1177_9:
	s_or_b32 exec_lo, exec_lo, s1
	v_cmp_le_i32_e32 vcc_lo, v10, v12
	s_and_b32 s0, vcc_lo, s0
	s_delay_alu instid0(SALU_CYCLE_1)
	s_and_saveexec_b32 s1, s0
	s_cbranch_execz .LBB1177_11
; %bb.10:
	v_ashrrev_i32_e32 v13, 31, v12
	v_xor_b32_e32 v1, 0x80000000, v1
	v_xor_b32_e32 v3, 0x80000000, v3
	s_delay_alu instid0(VALU_DEP_3) | instskip(NEXT) | instid1(VALU_DEP_1)
	v_lshlrev_b64 v[4:5], 4, v[12:13]
	v_add_co_u32 v4, vcc_lo, v8, v4
	s_delay_alu instid0(VALU_DEP_2)
	v_add_co_ci_u32_e32 v5, vcc_lo, v9, v5, vcc_lo
	global_store_b128 v[4:5], v[0:3], off
.LBB1177_11:
	s_nop 0
	s_sendmsg sendmsg(MSG_DEALLOC_VGPRS)
	s_endpgm
	.section	.rodata,"a",@progbits
	.p2align	6, 0x0
	.amdhsa_kernel _ZL37rocblas_syrkx_herkx_restricted_kernelIl19rocblas_complex_numIdELi16ELi32ELi8ELin1ELi0ELb0ELc78ELc76EKS1_S1_EviT_PT9_S3_lS5_S3_lPT10_S3_li
		.amdhsa_group_segment_fixed_size 8192
		.amdhsa_private_segment_fixed_size 0
		.amdhsa_kernarg_size 92
		.amdhsa_user_sgpr_count 13
		.amdhsa_user_sgpr_dispatch_ptr 0
		.amdhsa_user_sgpr_queue_ptr 0
		.amdhsa_user_sgpr_kernarg_segment_ptr 1
		.amdhsa_user_sgpr_dispatch_id 0
		.amdhsa_user_sgpr_private_segment_size 0
		.amdhsa_wavefront_size32 1
		.amdhsa_uses_dynamic_stack 0
		.amdhsa_enable_private_segment 0
		.amdhsa_system_sgpr_workgroup_id_x 1
		.amdhsa_system_sgpr_workgroup_id_y 1
		.amdhsa_system_sgpr_workgroup_id_z 1
		.amdhsa_system_sgpr_workgroup_info 0
		.amdhsa_system_vgpr_workitem_id 1
		.amdhsa_next_free_vgpr 118
		.amdhsa_next_free_sgpr 32
		.amdhsa_reserve_vcc 1
		.amdhsa_float_round_mode_32 0
		.amdhsa_float_round_mode_16_64 0
		.amdhsa_float_denorm_mode_32 3
		.amdhsa_float_denorm_mode_16_64 3
		.amdhsa_dx10_clamp 1
		.amdhsa_ieee_mode 1
		.amdhsa_fp16_overflow 0
		.amdhsa_workgroup_processor_mode 1
		.amdhsa_memory_ordered 1
		.amdhsa_forward_progress 0
		.amdhsa_shared_vgpr_count 0
		.amdhsa_exception_fp_ieee_invalid_op 0
		.amdhsa_exception_fp_denorm_src 0
		.amdhsa_exception_fp_ieee_div_zero 0
		.amdhsa_exception_fp_ieee_overflow 0
		.amdhsa_exception_fp_ieee_underflow 0
		.amdhsa_exception_fp_ieee_inexact 0
		.amdhsa_exception_int_div_zero 0
	.end_amdhsa_kernel
	.section	.text._ZL37rocblas_syrkx_herkx_restricted_kernelIl19rocblas_complex_numIdELi16ELi32ELi8ELin1ELi0ELb0ELc78ELc76EKS1_S1_EviT_PT9_S3_lS5_S3_lPT10_S3_li,"axG",@progbits,_ZL37rocblas_syrkx_herkx_restricted_kernelIl19rocblas_complex_numIdELi16ELi32ELi8ELin1ELi0ELb0ELc78ELc76EKS1_S1_EviT_PT9_S3_lS5_S3_lPT10_S3_li,comdat
.Lfunc_end1177:
	.size	_ZL37rocblas_syrkx_herkx_restricted_kernelIl19rocblas_complex_numIdELi16ELi32ELi8ELin1ELi0ELb0ELc78ELc76EKS1_S1_EviT_PT9_S3_lS5_S3_lPT10_S3_li, .Lfunc_end1177-_ZL37rocblas_syrkx_herkx_restricted_kernelIl19rocblas_complex_numIdELi16ELi32ELi8ELin1ELi0ELb0ELc78ELc76EKS1_S1_EviT_PT9_S3_lS5_S3_lPT10_S3_li
                                        ; -- End function
	.section	.AMDGPU.csdata,"",@progbits
; Kernel info:
; codeLenInByte = 3012
; NumSgprs: 34
; NumVgprs: 118
; ScratchSize: 0
; MemoryBound: 0
; FloatMode: 240
; IeeeMode: 1
; LDSByteSize: 8192 bytes/workgroup (compile time only)
; SGPRBlocks: 4
; VGPRBlocks: 14
; NumSGPRsForWavesPerEU: 34
; NumVGPRsForWavesPerEU: 118
; Occupancy: 12
; WaveLimiterHint : 1
; COMPUTE_PGM_RSRC2:SCRATCH_EN: 0
; COMPUTE_PGM_RSRC2:USER_SGPR: 13
; COMPUTE_PGM_RSRC2:TRAP_HANDLER: 0
; COMPUTE_PGM_RSRC2:TGID_X_EN: 1
; COMPUTE_PGM_RSRC2:TGID_Y_EN: 1
; COMPUTE_PGM_RSRC2:TGID_Z_EN: 1
; COMPUTE_PGM_RSRC2:TIDIG_COMP_CNT: 1
	.section	.text._ZL37rocblas_syrkx_herkx_restricted_kernelIl19rocblas_complex_numIdELi16ELi32ELi8ELin1ELi0ELb0ELc84ELc85EKS1_S1_EviT_PT9_S3_lS5_S3_lPT10_S3_li,"axG",@progbits,_ZL37rocblas_syrkx_herkx_restricted_kernelIl19rocblas_complex_numIdELi16ELi32ELi8ELin1ELi0ELb0ELc84ELc85EKS1_S1_EviT_PT9_S3_lS5_S3_lPT10_S3_li,comdat
	.globl	_ZL37rocblas_syrkx_herkx_restricted_kernelIl19rocblas_complex_numIdELi16ELi32ELi8ELin1ELi0ELb0ELc84ELc85EKS1_S1_EviT_PT9_S3_lS5_S3_lPT10_S3_li ; -- Begin function _ZL37rocblas_syrkx_herkx_restricted_kernelIl19rocblas_complex_numIdELi16ELi32ELi8ELin1ELi0ELb0ELc84ELc85EKS1_S1_EviT_PT9_S3_lS5_S3_lPT10_S3_li
	.p2align	8
	.type	_ZL37rocblas_syrkx_herkx_restricted_kernelIl19rocblas_complex_numIdELi16ELi32ELi8ELin1ELi0ELb0ELc84ELc85EKS1_S1_EviT_PT9_S3_lS5_S3_lPT10_S3_li,@function
_ZL37rocblas_syrkx_herkx_restricted_kernelIl19rocblas_complex_numIdELi16ELi32ELi8ELin1ELi0ELb0ELc84ELc85EKS1_S1_EviT_PT9_S3_lS5_S3_lPT10_S3_li: ; @_ZL37rocblas_syrkx_herkx_restricted_kernelIl19rocblas_complex_numIdELi16ELi32ELi8ELin1ELi0ELb0ELc84ELc85EKS1_S1_EviT_PT9_S3_lS5_S3_lPT10_S3_li
; %bb.0:
	s_load_b512 s[16:31], s[0:1], 0x8
	v_mov_b32_e32 v12, 0
	v_dual_mov_b32 v13, 0 :: v_dual_and_b32 v20, 0x3ff, v0
	v_bfe_u32 v21, v0, 10, 10
	s_delay_alu instid0(VALU_DEP_3) | instskip(NEXT) | instid1(VALU_DEP_3)
	v_mov_b32_e32 v8, v12
	v_dual_mov_b32 v10, v12 :: v_dual_mov_b32 v11, v13
	v_dual_mov_b32 v15, v13 :: v_dual_mov_b32 v14, v12
	;; [unrolled: 1-line block ×6, first 2 shown]
	v_mov_b32_e32 v3, v13
	s_lshl_b32 s8, s13, 5
	s_waitcnt lgkmcnt(0)
	v_cmp_lt_i64_e64 s2, s[16:17], 1
	s_lshl_b32 s9, s14, 5
	s_delay_alu instid0(VALU_DEP_1)
	s_and_b32 vcc_lo, exec_lo, s2
	s_cbranch_vccnz .LBB1178_3
; %bb.1:
	v_lshl_add_u32 v2, v21, 4, v20
	v_dual_mov_b32 v1, 0 :: v_dual_and_b32 v0, 7, v20
	v_lshlrev_b32_e32 v22, 4, v20
	s_mul_i32 s3, s23, s15
	s_delay_alu instid0(VALU_DEP_3)
	v_and_b32_e32 v8, 31, v2
	v_lshrrev_b32_e32 v9, 3, v2
	v_lshrrev_b32_e32 v2, 5, v2
	v_mov_b32_e32 v3, v1
	v_lshlrev_b32_e32 v11, 4, v0
	v_add_nc_u32_e32 v6, s8, v8
	v_add_nc_u32_e32 v10, s9, v9
	s_mul_hi_u32 s4, s22, s15
	s_mul_i32 s2, s22, s15
	s_add_i32 s3, s4, s3
	v_ashrrev_i32_e32 v7, 31, v6
	v_ashrrev_i32_e32 v12, 31, v10
	v_mad_u64_u32 v[4:5], null, s20, v6, v[2:3]
	v_mul_lo_u32 v3, s21, v6
	s_delay_alu instid0(VALU_DEP_4)
	v_mul_lo_u32 v13, s20, v7
	v_mul_lo_u32 v14, v10, s27
	v_mad_u64_u32 v[6:7], null, v10, s26, v[0:1]
	v_mul_lo_u32 v0, v12, s26
	v_lshlrev_b32_e32 v1, 4, v8
	s_lshl_b64 s[2:3], s[2:3], 4
	s_mul_hi_u32 s5, s28, s15
	v_add3_u32 v5, v3, v5, v13
	s_add_u32 s4, s18, s2
	v_lshl_or_b32 v23, v2, 9, v1
	s_mul_i32 s2, s29, s15
	v_add3_u32 v7, v0, v7, v14
	v_lshlrev_b64 v[0:1], 4, v[4:5]
	s_addc_u32 s6, s19, s3
	s_add_i32 s3, s5, s2
	s_mul_i32 s2, s28, s15
	v_lshlrev_b64 v[2:3], 4, v[6:7]
	s_lshl_b64 s[2:3], s[2:3], 4
	v_add_co_u32 v0, vcc_lo, s4, v0
	s_add_u32 s2, s24, s2
	v_add_co_ci_u32_e32 v1, vcc_lo, s6, v1, vcc_lo
	s_addc_u32 s3, s25, s3
	v_add_co_u32 v4, vcc_lo, s2, v2
	v_add_co_ci_u32_e32 v5, vcc_lo, s3, v3, vcc_lo
	v_mov_b32_e32 v2, 0
	v_lshl_or_b32 v8, v9, 7, v11
	v_mov_b32_e32 v3, 0
	v_add_co_u32 v16, vcc_lo, v0, 8
	v_add_co_ci_u32_e32 v17, vcc_lo, 0, v1, vcc_lo
	v_add_co_u32 v18, vcc_lo, v4, 8
	v_add_nc_u32_e32 v24, 0x1000, v8
	v_add_co_ci_u32_e32 v19, vcc_lo, 0, v5, vcc_lo
	v_dual_mov_b32 v5, v3 :: v_dual_mov_b32 v0, v2
	v_dual_mov_b32 v11, v3 :: v_dual_mov_b32 v4, v2
	v_mov_b32_e32 v9, v3
	v_dual_mov_b32 v7, v3 :: v_dual_mov_b32 v10, v2
	v_dual_mov_b32 v15, v3 :: v_dual_mov_b32 v8, v2
	v_mov_b32_e32 v13, v3
	v_lshl_add_u32 v25, v21, 7, 0x1000
	v_dual_mov_b32 v1, v3 :: v_dual_mov_b32 v6, v2
	v_mov_b32_e32 v14, v2
	v_mov_b32_e32 v12, v2
	s_mov_b64 s[2:3], 0
.LBB1178_2:                             ; =>This Inner Loop Header: Depth=1
	global_load_b128 v[26:29], v[16:17], off offset:-8
	global_load_b128 v[30:33], v[18:19], off offset:-8
	s_add_u32 s2, s2, 8
	v_add_co_u32 v16, vcc_lo, 0x80, v16
	s_addc_u32 s3, s3, 0
	v_add_co_ci_u32_e32 v17, vcc_lo, 0, v17, vcc_lo
	v_cmp_ge_u64_e64 s4, s[2:3], s[16:17]
	v_add_co_u32 v18, vcc_lo, 0x80, v18
	v_add_co_ci_u32_e32 v19, vcc_lo, 0, v19, vcc_lo
	s_waitcnt vmcnt(1)
	ds_store_b128 v23, v[26:29]
	s_waitcnt vmcnt(0)
	ds_store_b128 v24, v[30:33]
	s_waitcnt lgkmcnt(0)
	s_barrier
	buffer_gl0_inv
	ds_load_b128 v[26:29], v25
	ds_load_b128 v[30:33], v22
	ds_load_b128 v[34:37], v22 offset:256
	ds_load_b128 v[38:41], v25 offset:2048
	ds_load_b128 v[42:45], v25 offset:16
	ds_load_b128 v[46:49], v25 offset:2064
	ds_load_b128 v[50:53], v22 offset:512
	ds_load_b128 v[54:57], v22 offset:768
	ds_load_b128 v[58:61], v25 offset:32
	ds_load_b128 v[62:65], v25 offset:48
	ds_load_b128 v[66:69], v22 offset:1024
	ds_load_b128 v[70:73], v22 offset:1280
	ds_load_b128 v[74:77], v25 offset:2080
	ds_load_b128 v[78:81], v25 offset:2096
	ds_load_b128 v[82:85], v22 offset:1536
	s_and_b32 vcc_lo, exec_lo, s4
	s_waitcnt lgkmcnt(13)
	v_mul_f64 v[86:87], v[28:29], v[32:33]
	v_mul_f64 v[88:89], v[26:27], v[32:33]
	s_waitcnt lgkmcnt(12)
	v_mul_f64 v[90:91], v[28:29], v[36:37]
	v_mul_f64 v[92:93], v[26:27], v[36:37]
	;; [unrolled: 3-line block ×3, first 2 shown]
	v_mul_f64 v[96:97], v[40:41], v[36:37]
	v_mul_f64 v[36:37], v[38:39], v[36:37]
	s_waitcnt lgkmcnt(8)
	v_mul_f64 v[98:99], v[44:45], v[52:53]
	v_mul_f64 v[100:101], v[42:43], v[52:53]
	s_waitcnt lgkmcnt(7)
	v_mul_f64 v[102:103], v[44:45], v[56:57]
	v_mul_f64 v[104:105], v[42:43], v[56:57]
	;; [unrolled: 1-line block ×6, first 2 shown]
	s_waitcnt lgkmcnt(3)
	v_mul_f64 v[112:113], v[58:59], v[72:73]
	s_waitcnt lgkmcnt(2)
	v_mul_f64 v[114:115], v[76:77], v[68:69]
	v_mul_f64 v[116:117], v[76:77], v[72:73]
	v_fma_f64 v[86:87], v[26:27], v[30:31], -v[86:87]
	v_fma_f64 v[88:89], v[28:29], v[30:31], v[88:89]
	v_fma_f64 v[90:91], v[26:27], v[34:35], -v[90:91]
	v_fma_f64 v[92:93], v[28:29], v[34:35], v[92:93]
	;; [unrolled: 2-line block ×4, first 2 shown]
	v_mul_f64 v[36:37], v[60:61], v[68:69]
	v_mul_f64 v[40:41], v[58:59], v[68:69]
	;; [unrolled: 1-line block ×5, first 2 shown]
	v_fma_f64 v[98:99], v[42:43], v[50:51], -v[98:99]
	v_fma_f64 v[100:101], v[44:45], v[50:51], v[100:101]
	v_fma_f64 v[42:43], v[42:43], v[54:55], -v[102:103]
	v_fma_f64 v[44:45], v[44:45], v[54:55], v[104:105]
	;; [unrolled: 2-line block ×4, first 2 shown]
	ds_load_b128 v[26:29], v22 offset:1792
	ds_load_b128 v[30:33], v22 offset:2048
	s_waitcnt lgkmcnt(2)
	v_mul_f64 v[56:57], v[64:65], v[84:85]
	v_add_f64 v[12:13], v[12:13], v[86:87]
	v_add_f64 v[14:15], v[14:15], v[88:89]
	;; [unrolled: 1-line block ×8, first 2 shown]
	v_mul_f64 v[86:87], v[62:63], v[84:85]
	s_waitcnt lgkmcnt(1)
	v_mul_f64 v[88:89], v[64:65], v[28:29]
	v_mul_f64 v[90:91], v[62:63], v[28:29]
	;; [unrolled: 1-line block ×6, first 2 shown]
	v_fma_f64 v[104:105], v[58:59], v[66:67], -v[36:37]
	v_fma_f64 v[106:107], v[60:61], v[66:67], v[40:41]
	v_fma_f64 v[58:59], v[58:59], v[70:71], -v[96:97]
	v_fma_f64 v[60:61], v[60:61], v[70:71], v[112:113]
	;; [unrolled: 2-line block ×4, first 2 shown]
	ds_load_b128 v[0:3], v22 offset:2304
	ds_load_b128 v[4:7], v25 offset:64
	v_fma_f64 v[56:57], v[62:63], v[82:83], -v[56:57]
	v_add_f64 v[72:73], v[12:13], v[98:99]
	v_add_f64 v[74:75], v[14:15], v[100:101]
	;; [unrolled: 1-line block ×8, first 2 shown]
	ds_load_b128 v[8:11], v25 offset:2112
	ds_load_b128 v[12:15], v25 offset:80
	;; [unrolled: 1-line block ×4, first 2 shown]
	s_waitcnt lgkmcnt(4)
	v_mul_f64 v[54:55], v[6:7], v[32:33]
	v_mul_f64 v[76:77], v[4:5], v[32:33]
	;; [unrolled: 1-line block ×4, first 2 shown]
	v_fma_f64 v[86:87], v[64:65], v[82:83], v[86:87]
	v_fma_f64 v[62:63], v[62:63], v[26:27], -v[88:89]
	v_fma_f64 v[64:65], v[64:65], v[26:27], v[90:91]
	v_fma_f64 v[88:89], v[78:79], v[82:83], -v[92:93]
	;; [unrolled: 2-line block ×3, first 2 shown]
	v_fma_f64 v[80:81], v[80:81], v[26:27], v[28:29]
	s_waitcnt lgkmcnt(3)
	v_mul_f64 v[102:103], v[10:11], v[32:33]
	v_mul_f64 v[32:33], v[8:9], v[32:33]
	v_mul_f64 v[108:109], v[10:11], v[2:3]
	v_mul_f64 v[2:3], v[8:9], v[2:3]
	s_waitcnt lgkmcnt(0)
	v_mul_f64 v[90:91], v[14:15], v[40:41]
	v_mul_f64 v[92:93], v[12:13], v[40:41]
	v_add_f64 v[72:73], v[72:73], v[104:105]
	v_add_f64 v[74:75], v[74:75], v[106:107]
	;; [unrolled: 1-line block ×8, first 2 shown]
	ds_load_b128 v[26:29], v22 offset:2816
	ds_load_b128 v[42:45], v22 offset:3072
	ds_load_b128 v[46:49], v22 offset:3328
	ds_load_b128 v[50:53], v25 offset:96
	v_mul_f64 v[104:105], v[36:37], v[40:41]
	v_mul_f64 v[40:41], v[34:35], v[40:41]
	v_fma_f64 v[54:55], v[4:5], v[30:31], -v[54:55]
	v_fma_f64 v[76:77], v[6:7], v[30:31], v[76:77]
	v_fma_f64 v[98:99], v[4:5], v[0:1], -v[98:99]
	v_fma_f64 v[100:101], v[6:7], v[0:1], v[100:101]
	s_waitcnt lgkmcnt(3)
	v_mul_f64 v[94:95], v[14:15], v[28:29]
	v_mul_f64 v[96:97], v[12:13], v[28:29]
	;; [unrolled: 1-line block ×4, first 2 shown]
	v_fma_f64 v[102:103], v[8:9], v[30:31], -v[102:103]
	v_fma_f64 v[32:33], v[10:11], v[30:31], v[32:33]
	v_fma_f64 v[108:109], v[8:9], v[0:1], -v[108:109]
	v_fma_f64 v[112:113], v[10:11], v[0:1], v[2:3]
	ds_load_b128 v[0:3], v25 offset:2144
	ds_load_b128 v[4:7], v25 offset:112
	;; [unrolled: 1-line block ×4, first 2 shown]
	v_add_f64 v[56:57], v[72:73], v[56:57]
	v_add_f64 v[72:73], v[74:75], v[86:87]
	;; [unrolled: 1-line block ×8, first 2 shown]
	s_waitcnt lgkmcnt(4)
	v_mul_f64 v[70:71], v[52:53], v[44:45]
	v_mul_f64 v[74:75], v[50:51], v[44:45]
	;; [unrolled: 1-line block ×4, first 2 shown]
	s_waitcnt lgkmcnt(3)
	v_mul_f64 v[82:83], v[2:3], v[44:45]
	v_mul_f64 v[44:45], v[0:1], v[44:45]
	;; [unrolled: 1-line block ×4, first 2 shown]
	v_fma_f64 v[86:87], v[12:13], v[38:39], -v[90:91]
	v_fma_f64 v[88:89], v[14:15], v[38:39], v[92:93]
	v_fma_f64 v[90:91], v[12:13], v[26:27], -v[94:95]
	v_fma_f64 v[92:93], v[14:15], v[26:27], v[96:97]
	;; [unrolled: 2-line block ×4, first 2 shown]
	ds_load_b128 v[12:15], v22 offset:3840
	s_waitcnt lgkmcnt(0)
	s_barrier
	buffer_gl0_inv
	v_add_f64 v[36:37], v[56:57], v[54:55]
	v_add_f64 v[40:41], v[72:73], v[76:77]
	;; [unrolled: 1-line block ×8, first 2 shown]
	v_mul_f64 v[64:65], v[6:7], v[30:31]
	v_mul_f64 v[66:67], v[4:5], v[30:31]
	;; [unrolled: 1-line block ×4, first 2 shown]
	v_fma_f64 v[70:71], v[50:51], v[42:43], -v[70:71]
	v_mul_f64 v[68:69], v[6:7], v[14:15]
	v_mul_f64 v[72:73], v[4:5], v[14:15]
	;; [unrolled: 1-line block ×4, first 2 shown]
	v_fma_f64 v[74:75], v[52:53], v[42:43], v[74:75]
	v_fma_f64 v[50:51], v[50:51], v[46:47], -v[78:79]
	v_fma_f64 v[52:53], v[52:53], v[46:47], v[80:81]
	v_fma_f64 v[78:79], v[0:1], v[42:43], -v[82:83]
	;; [unrolled: 2-line block ×3, first 2 shown]
	v_fma_f64 v[2:3], v[2:3], v[46:47], v[48:49]
	v_add_f64 v[36:37], v[36:37], v[86:87]
	v_add_f64 v[40:41], v[40:41], v[88:89]
	;; [unrolled: 1-line block ×8, first 2 shown]
	v_fma_f64 v[38:39], v[4:5], v[28:29], -v[64:65]
	v_fma_f64 v[54:55], v[6:7], v[28:29], v[66:67]
	v_fma_f64 v[56:57], v[8:9], v[28:29], -v[76:77]
	v_fma_f64 v[28:29], v[10:11], v[28:29], v[30:31]
	;; [unrolled: 2-line block ×4, first 2 shown]
	v_add_f64 v[8:9], v[36:37], v[70:71]
	v_add_f64 v[10:11], v[40:41], v[74:75]
	;; [unrolled: 1-line block ×16, first 2 shown]
	s_cbranch_vccz .LBB1178_2
.LBB1178_3:
	s_clause 0x1
	s_load_b128 s[4:7], s[0:1], 0x48
	s_load_b32 s2, s[0:1], 0x0
	v_add_nc_u32_e32 v18, s9, v21
	s_delay_alu instid0(VALU_DEP_1) | instskip(SKIP_1) | instid1(VALU_DEP_1)
	v_ashrrev_i32_e32 v16, 31, v18
	s_waitcnt lgkmcnt(0)
	v_mul_lo_u32 v17, v16, s4
	v_mul_lo_u32 v19, v18, s5
	v_mad_u64_u32 v[21:22], null, v18, s4, 0
	s_mul_i32 s1, s15, s7
	s_mul_hi_u32 s3, s15, s6
	v_add_nc_u32_e32 v16, s8, v20
	s_mul_i32 s6, s15, s6
	s_add_i32 s7, s3, s1
	v_cmp_gt_i32_e32 vcc_lo, s2, v18
	s_delay_alu instid0(VALU_DEP_3)
	v_add3_u32 v22, v22, v19, v17
	s_lshl_b64 s[6:7], s[6:7], 4
	v_cmp_le_i32_e64 s0, v16, v18
	s_add_u32 s3, s30, s6
	s_addc_u32 s6, s31, s7
	v_lshlrev_b64 v[19:20], 4, v[21:22]
	s_delay_alu instid0(VALU_DEP_2) | instskip(NEXT) | instid1(VALU_DEP_1)
	s_and_b32 s0, vcc_lo, s0
	v_add_co_u32 v19, s1, s3, v19
	s_delay_alu instid0(VALU_DEP_1)
	v_add_co_ci_u32_e64 v20, s1, s6, v20, s1
	s_and_saveexec_b32 s1, s0
	s_cbranch_execz .LBB1178_5
; %bb.4:
	v_ashrrev_i32_e32 v17, 31, v16
	v_xor_b32_e32 v13, 0x80000000, v13
	v_xor_b32_e32 v15, 0x80000000, v15
	s_delay_alu instid0(VALU_DEP_3) | instskip(NEXT) | instid1(VALU_DEP_1)
	v_lshlrev_b64 v[21:22], 4, v[16:17]
	v_add_co_u32 v21, s0, v19, v21
	s_delay_alu instid0(VALU_DEP_1)
	v_add_co_ci_u32_e64 v22, s0, v20, v22, s0
	global_store_b128 v[21:22], v[12:15], off
.LBB1178_5:
	s_or_b32 exec_lo, exec_lo, s1
	v_add_nc_u32_e32 v12, 16, v16
	s_delay_alu instid0(VALU_DEP_1) | instskip(NEXT) | instid1(VALU_DEP_1)
	v_cmp_le_i32_e64 s0, v12, v18
	s_and_b32 s1, vcc_lo, s0
	s_delay_alu instid0(SALU_CYCLE_1)
	s_and_saveexec_b32 s0, s1
	s_cbranch_execz .LBB1178_7
; %bb.6:
	v_ashrrev_i32_e32 v13, 31, v12
	v_xor_b32_e32 v9, 0x80000000, v9
	v_xor_b32_e32 v11, 0x80000000, v11
	s_delay_alu instid0(VALU_DEP_3) | instskip(NEXT) | instid1(VALU_DEP_1)
	v_lshlrev_b64 v[13:14], 4, v[12:13]
	v_add_co_u32 v13, vcc_lo, v19, v13
	s_delay_alu instid0(VALU_DEP_2)
	v_add_co_ci_u32_e32 v14, vcc_lo, v20, v14, vcc_lo
	global_store_b128 v[13:14], v[8:11], off
.LBB1178_7:
	s_or_b32 exec_lo, exec_lo, s0
	v_add_nc_u32_e32 v10, 16, v18
	s_delay_alu instid0(VALU_DEP_1) | instskip(SKIP_3) | instid1(VALU_DEP_4)
	v_ashrrev_i32_e32 v11, 31, v10
	v_mul_lo_u32 v13, v10, s5
	v_mad_u64_u32 v[8:9], null, v10, s4, 0
	v_cmp_gt_i32_e32 vcc_lo, s2, v10
	v_mul_lo_u32 v11, v11, s4
	v_cmp_le_i32_e64 s0, v16, v10
	s_delay_alu instid0(VALU_DEP_1) | instskip(NEXT) | instid1(VALU_DEP_2)
	s_and_b32 s0, vcc_lo, s0
	v_add3_u32 v9, v9, v13, v11
	s_delay_alu instid0(VALU_DEP_1) | instskip(NEXT) | instid1(VALU_DEP_1)
	v_lshlrev_b64 v[8:9], 4, v[8:9]
	v_add_co_u32 v8, s1, s3, v8
	s_delay_alu instid0(VALU_DEP_1)
	v_add_co_ci_u32_e64 v9, s1, s6, v9, s1
	s_and_saveexec_b32 s1, s0
	s_cbranch_execz .LBB1178_9
; %bb.8:
	v_ashrrev_i32_e32 v17, 31, v16
	v_xor_b32_e32 v5, 0x80000000, v5
	v_xor_b32_e32 v7, 0x80000000, v7
	s_delay_alu instid0(VALU_DEP_3) | instskip(NEXT) | instid1(VALU_DEP_1)
	v_lshlrev_b64 v[13:14], 4, v[16:17]
	v_add_co_u32 v13, s0, v8, v13
	s_delay_alu instid0(VALU_DEP_1)
	v_add_co_ci_u32_e64 v14, s0, v9, v14, s0
	global_store_b128 v[13:14], v[4:7], off
.LBB1178_9:
	s_or_b32 exec_lo, exec_lo, s1
	v_cmp_le_i32_e64 s0, v12, v10
	s_delay_alu instid0(VALU_DEP_1) | instskip(NEXT) | instid1(SALU_CYCLE_1)
	s_and_b32 s0, vcc_lo, s0
	s_and_saveexec_b32 s1, s0
	s_cbranch_execz .LBB1178_11
; %bb.10:
	v_ashrrev_i32_e32 v13, 31, v12
	v_xor_b32_e32 v1, 0x80000000, v1
	v_xor_b32_e32 v3, 0x80000000, v3
	s_delay_alu instid0(VALU_DEP_3) | instskip(NEXT) | instid1(VALU_DEP_1)
	v_lshlrev_b64 v[4:5], 4, v[12:13]
	v_add_co_u32 v4, vcc_lo, v8, v4
	s_delay_alu instid0(VALU_DEP_2)
	v_add_co_ci_u32_e32 v5, vcc_lo, v9, v5, vcc_lo
	global_store_b128 v[4:5], v[0:3], off
.LBB1178_11:
	s_nop 0
	s_sendmsg sendmsg(MSG_DEALLOC_VGPRS)
	s_endpgm
	.section	.rodata,"a",@progbits
	.p2align	6, 0x0
	.amdhsa_kernel _ZL37rocblas_syrkx_herkx_restricted_kernelIl19rocblas_complex_numIdELi16ELi32ELi8ELin1ELi0ELb0ELc84ELc85EKS1_S1_EviT_PT9_S3_lS5_S3_lPT10_S3_li
		.amdhsa_group_segment_fixed_size 8192
		.amdhsa_private_segment_fixed_size 0
		.amdhsa_kernarg_size 92
		.amdhsa_user_sgpr_count 13
		.amdhsa_user_sgpr_dispatch_ptr 0
		.amdhsa_user_sgpr_queue_ptr 0
		.amdhsa_user_sgpr_kernarg_segment_ptr 1
		.amdhsa_user_sgpr_dispatch_id 0
		.amdhsa_user_sgpr_private_segment_size 0
		.amdhsa_wavefront_size32 1
		.amdhsa_uses_dynamic_stack 0
		.amdhsa_enable_private_segment 0
		.amdhsa_system_sgpr_workgroup_id_x 1
		.amdhsa_system_sgpr_workgroup_id_y 1
		.amdhsa_system_sgpr_workgroup_id_z 1
		.amdhsa_system_sgpr_workgroup_info 0
		.amdhsa_system_vgpr_workitem_id 1
		.amdhsa_next_free_vgpr 118
		.amdhsa_next_free_sgpr 32
		.amdhsa_reserve_vcc 1
		.amdhsa_float_round_mode_32 0
		.amdhsa_float_round_mode_16_64 0
		.amdhsa_float_denorm_mode_32 3
		.amdhsa_float_denorm_mode_16_64 3
		.amdhsa_dx10_clamp 1
		.amdhsa_ieee_mode 1
		.amdhsa_fp16_overflow 0
		.amdhsa_workgroup_processor_mode 1
		.amdhsa_memory_ordered 1
		.amdhsa_forward_progress 0
		.amdhsa_shared_vgpr_count 0
		.amdhsa_exception_fp_ieee_invalid_op 0
		.amdhsa_exception_fp_denorm_src 0
		.amdhsa_exception_fp_ieee_div_zero 0
		.amdhsa_exception_fp_ieee_overflow 0
		.amdhsa_exception_fp_ieee_underflow 0
		.amdhsa_exception_fp_ieee_inexact 0
		.amdhsa_exception_int_div_zero 0
	.end_amdhsa_kernel
	.section	.text._ZL37rocblas_syrkx_herkx_restricted_kernelIl19rocblas_complex_numIdELi16ELi32ELi8ELin1ELi0ELb0ELc84ELc85EKS1_S1_EviT_PT9_S3_lS5_S3_lPT10_S3_li,"axG",@progbits,_ZL37rocblas_syrkx_herkx_restricted_kernelIl19rocblas_complex_numIdELi16ELi32ELi8ELin1ELi0ELb0ELc84ELc85EKS1_S1_EviT_PT9_S3_lS5_S3_lPT10_S3_li,comdat
.Lfunc_end1178:
	.size	_ZL37rocblas_syrkx_herkx_restricted_kernelIl19rocblas_complex_numIdELi16ELi32ELi8ELin1ELi0ELb0ELc84ELc85EKS1_S1_EviT_PT9_S3_lS5_S3_lPT10_S3_li, .Lfunc_end1178-_ZL37rocblas_syrkx_herkx_restricted_kernelIl19rocblas_complex_numIdELi16ELi32ELi8ELin1ELi0ELb0ELc84ELc85EKS1_S1_EviT_PT9_S3_lS5_S3_lPT10_S3_li
                                        ; -- End function
	.section	.AMDGPU.csdata,"",@progbits
; Kernel info:
; codeLenInByte = 3036
; NumSgprs: 34
; NumVgprs: 118
; ScratchSize: 0
; MemoryBound: 0
; FloatMode: 240
; IeeeMode: 1
; LDSByteSize: 8192 bytes/workgroup (compile time only)
; SGPRBlocks: 4
; VGPRBlocks: 14
; NumSGPRsForWavesPerEU: 34
; NumVGPRsForWavesPerEU: 118
; Occupancy: 12
; WaveLimiterHint : 1
; COMPUTE_PGM_RSRC2:SCRATCH_EN: 0
; COMPUTE_PGM_RSRC2:USER_SGPR: 13
; COMPUTE_PGM_RSRC2:TRAP_HANDLER: 0
; COMPUTE_PGM_RSRC2:TGID_X_EN: 1
; COMPUTE_PGM_RSRC2:TGID_Y_EN: 1
; COMPUTE_PGM_RSRC2:TGID_Z_EN: 1
; COMPUTE_PGM_RSRC2:TIDIG_COMP_CNT: 1
	.section	.text._ZL37rocblas_syrkx_herkx_restricted_kernelIl19rocblas_complex_numIdELi16ELi32ELi8ELin1ELi0ELb0ELc67ELc85EKS1_S1_EviT_PT9_S3_lS5_S3_lPT10_S3_li,"axG",@progbits,_ZL37rocblas_syrkx_herkx_restricted_kernelIl19rocblas_complex_numIdELi16ELi32ELi8ELin1ELi0ELb0ELc67ELc85EKS1_S1_EviT_PT9_S3_lS5_S3_lPT10_S3_li,comdat
	.globl	_ZL37rocblas_syrkx_herkx_restricted_kernelIl19rocblas_complex_numIdELi16ELi32ELi8ELin1ELi0ELb0ELc67ELc85EKS1_S1_EviT_PT9_S3_lS5_S3_lPT10_S3_li ; -- Begin function _ZL37rocblas_syrkx_herkx_restricted_kernelIl19rocblas_complex_numIdELi16ELi32ELi8ELin1ELi0ELb0ELc67ELc85EKS1_S1_EviT_PT9_S3_lS5_S3_lPT10_S3_li
	.p2align	8
	.type	_ZL37rocblas_syrkx_herkx_restricted_kernelIl19rocblas_complex_numIdELi16ELi32ELi8ELin1ELi0ELb0ELc67ELc85EKS1_S1_EviT_PT9_S3_lS5_S3_lPT10_S3_li,@function
_ZL37rocblas_syrkx_herkx_restricted_kernelIl19rocblas_complex_numIdELi16ELi32ELi8ELin1ELi0ELb0ELc67ELc85EKS1_S1_EviT_PT9_S3_lS5_S3_lPT10_S3_li: ; @_ZL37rocblas_syrkx_herkx_restricted_kernelIl19rocblas_complex_numIdELi16ELi32ELi8ELin1ELi0ELb0ELc67ELc85EKS1_S1_EviT_PT9_S3_lS5_S3_lPT10_S3_li
; %bb.0:
	s_load_b512 s[16:31], s[0:1], 0x8
	v_mov_b32_e32 v12, 0
	v_dual_mov_b32 v13, 0 :: v_dual_and_b32 v20, 0x3ff, v0
	v_bfe_u32 v21, v0, 10, 10
	s_delay_alu instid0(VALU_DEP_3) | instskip(NEXT) | instid1(VALU_DEP_3)
	v_mov_b32_e32 v8, v12
	v_dual_mov_b32 v10, v12 :: v_dual_mov_b32 v11, v13
	v_dual_mov_b32 v15, v13 :: v_dual_mov_b32 v14, v12
	;; [unrolled: 1-line block ×6, first 2 shown]
	v_mov_b32_e32 v3, v13
	s_lshl_b32 s8, s13, 5
	s_waitcnt lgkmcnt(0)
	v_cmp_lt_i64_e64 s2, s[16:17], 1
	s_lshl_b32 s9, s14, 5
	s_delay_alu instid0(VALU_DEP_1)
	s_and_b32 vcc_lo, exec_lo, s2
	s_cbranch_vccnz .LBB1179_3
; %bb.1:
	v_lshl_add_u32 v2, v21, 4, v20
	v_dual_mov_b32 v1, 0 :: v_dual_and_b32 v0, 7, v20
	v_lshlrev_b32_e32 v22, 4, v20
	s_mul_i32 s3, s23, s15
	s_delay_alu instid0(VALU_DEP_3)
	v_and_b32_e32 v8, 31, v2
	v_lshrrev_b32_e32 v9, 3, v2
	v_lshrrev_b32_e32 v2, 5, v2
	v_mov_b32_e32 v3, v1
	v_lshlrev_b32_e32 v11, 4, v0
	v_add_nc_u32_e32 v6, s8, v8
	v_add_nc_u32_e32 v10, s9, v9
	s_mul_hi_u32 s4, s22, s15
	s_mul_i32 s2, s22, s15
	s_add_i32 s3, s4, s3
	v_ashrrev_i32_e32 v7, 31, v6
	v_ashrrev_i32_e32 v12, 31, v10
	v_mad_u64_u32 v[4:5], null, s20, v6, v[2:3]
	v_mul_lo_u32 v3, s21, v6
	s_delay_alu instid0(VALU_DEP_4)
	v_mul_lo_u32 v13, s20, v7
	v_mul_lo_u32 v14, v10, s27
	v_mad_u64_u32 v[6:7], null, v10, s26, v[0:1]
	v_mul_lo_u32 v0, v12, s26
	v_lshlrev_b32_e32 v1, 4, v8
	s_lshl_b64 s[2:3], s[2:3], 4
	s_mul_hi_u32 s5, s28, s15
	v_add3_u32 v5, v3, v5, v13
	s_add_u32 s4, s18, s2
	v_lshl_or_b32 v23, v2, 9, v1
	s_mul_i32 s2, s29, s15
	v_add3_u32 v7, v0, v7, v14
	v_lshlrev_b64 v[0:1], 4, v[4:5]
	s_addc_u32 s6, s19, s3
	s_add_i32 s3, s5, s2
	s_mul_i32 s2, s28, s15
	v_lshlrev_b64 v[2:3], 4, v[6:7]
	s_lshl_b64 s[2:3], s[2:3], 4
	v_add_co_u32 v0, vcc_lo, s4, v0
	s_add_u32 s2, s24, s2
	v_add_co_ci_u32_e32 v1, vcc_lo, s6, v1, vcc_lo
	s_addc_u32 s3, s25, s3
	v_add_co_u32 v4, vcc_lo, s2, v2
	v_add_co_ci_u32_e32 v5, vcc_lo, s3, v3, vcc_lo
	v_mov_b32_e32 v2, 0
	v_lshl_or_b32 v8, v9, 7, v11
	v_mov_b32_e32 v3, 0
	v_add_co_u32 v16, vcc_lo, v0, 8
	v_add_co_ci_u32_e32 v17, vcc_lo, 0, v1, vcc_lo
	v_add_co_u32 v18, vcc_lo, v4, 8
	v_add_nc_u32_e32 v24, 0x1000, v8
	v_add_co_ci_u32_e32 v19, vcc_lo, 0, v5, vcc_lo
	v_dual_mov_b32 v5, v3 :: v_dual_mov_b32 v0, v2
	v_dual_mov_b32 v11, v3 :: v_dual_mov_b32 v4, v2
	v_mov_b32_e32 v9, v3
	v_dual_mov_b32 v7, v3 :: v_dual_mov_b32 v10, v2
	v_dual_mov_b32 v15, v3 :: v_dual_mov_b32 v8, v2
	v_mov_b32_e32 v13, v3
	v_lshl_add_u32 v25, v21, 7, 0x1000
	v_dual_mov_b32 v1, v3 :: v_dual_mov_b32 v6, v2
	v_mov_b32_e32 v14, v2
	v_mov_b32_e32 v12, v2
	s_mov_b64 s[2:3], 0
.LBB1179_2:                             ; =>This Inner Loop Header: Depth=1
	global_load_b128 v[26:29], v[16:17], off offset:-8
	global_load_b128 v[30:33], v[18:19], off offset:-8
	s_add_u32 s2, s2, 8
	v_add_co_u32 v16, vcc_lo, 0x80, v16
	s_addc_u32 s3, s3, 0
	v_add_co_ci_u32_e32 v17, vcc_lo, 0, v17, vcc_lo
	v_cmp_ge_u64_e64 s4, s[2:3], s[16:17]
	v_add_co_u32 v18, vcc_lo, 0x80, v18
	v_add_co_ci_u32_e32 v19, vcc_lo, 0, v19, vcc_lo
	s_waitcnt vmcnt(1)
	ds_store_b128 v23, v[26:29]
	s_waitcnt vmcnt(0)
	ds_store_b128 v24, v[30:33]
	s_waitcnt lgkmcnt(0)
	s_barrier
	buffer_gl0_inv
	ds_load_b128 v[26:29], v25
	ds_load_b128 v[30:33], v22
	ds_load_b128 v[34:37], v22 offset:256
	ds_load_b128 v[38:41], v25 offset:2048
	;; [unrolled: 1-line block ×13, first 2 shown]
	s_and_b32 vcc_lo, exec_lo, s4
	s_waitcnt lgkmcnt(13)
	v_mul_f64 v[86:87], v[28:29], v[32:33]
	v_mul_f64 v[88:89], v[26:27], v[32:33]
	s_waitcnt lgkmcnt(12)
	v_mul_f64 v[90:91], v[28:29], v[36:37]
	v_mul_f64 v[92:93], v[26:27], v[36:37]
	s_waitcnt lgkmcnt(11)
	v_mul_f64 v[94:95], v[40:41], v[32:33]
	v_mul_f64 v[32:33], v[38:39], v[32:33]
	v_mul_f64 v[96:97], v[40:41], v[36:37]
	v_mul_f64 v[36:37], v[38:39], v[36:37]
	s_waitcnt lgkmcnt(8)
	v_mul_f64 v[98:99], v[44:45], v[52:53]
	v_mul_f64 v[100:101], v[42:43], v[52:53]
	s_waitcnt lgkmcnt(7)
	v_mul_f64 v[102:103], v[44:45], v[56:57]
	v_mul_f64 v[104:105], v[42:43], v[56:57]
	v_mul_f64 v[106:107], v[48:49], v[52:53]
	v_mul_f64 v[52:53], v[46:47], v[52:53]
	v_mul_f64 v[108:109], v[48:49], v[56:57]
	v_mul_f64 v[56:57], v[46:47], v[56:57]
	s_waitcnt lgkmcnt(3)
	v_mul_f64 v[112:113], v[58:59], v[72:73]
	s_waitcnt lgkmcnt(2)
	v_mul_f64 v[114:115], v[76:77], v[68:69]
	v_mul_f64 v[116:117], v[76:77], v[72:73]
	v_fma_f64 v[86:87], v[26:27], v[30:31], -v[86:87]
	v_fma_f64 v[88:89], v[28:29], v[30:31], v[88:89]
	v_fma_f64 v[90:91], v[26:27], v[34:35], -v[90:91]
	v_fma_f64 v[92:93], v[28:29], v[34:35], v[92:93]
	;; [unrolled: 2-line block ×4, first 2 shown]
	v_mul_f64 v[36:37], v[60:61], v[68:69]
	v_mul_f64 v[40:41], v[58:59], v[68:69]
	;; [unrolled: 1-line block ×5, first 2 shown]
	v_fma_f64 v[98:99], v[42:43], v[50:51], -v[98:99]
	v_fma_f64 v[100:101], v[44:45], v[50:51], v[100:101]
	v_fma_f64 v[42:43], v[42:43], v[54:55], -v[102:103]
	v_fma_f64 v[44:45], v[44:45], v[54:55], v[104:105]
	;; [unrolled: 2-line block ×4, first 2 shown]
	ds_load_b128 v[26:29], v22 offset:1792
	ds_load_b128 v[30:33], v22 offset:2048
	s_waitcnt lgkmcnt(2)
	v_mul_f64 v[56:57], v[64:65], v[84:85]
	v_add_f64 v[12:13], v[12:13], v[86:87]
	v_add_f64 v[14:15], v[14:15], v[88:89]
	;; [unrolled: 1-line block ×8, first 2 shown]
	v_mul_f64 v[86:87], v[62:63], v[84:85]
	s_waitcnt lgkmcnt(1)
	v_mul_f64 v[88:89], v[64:65], v[28:29]
	v_mul_f64 v[90:91], v[62:63], v[28:29]
	;; [unrolled: 1-line block ×6, first 2 shown]
	v_fma_f64 v[104:105], v[58:59], v[66:67], -v[36:37]
	v_fma_f64 v[106:107], v[60:61], v[66:67], v[40:41]
	v_fma_f64 v[58:59], v[58:59], v[70:71], -v[96:97]
	v_fma_f64 v[60:61], v[60:61], v[70:71], v[112:113]
	;; [unrolled: 2-line block ×4, first 2 shown]
	ds_load_b128 v[0:3], v22 offset:2304
	ds_load_b128 v[4:7], v25 offset:64
	v_fma_f64 v[56:57], v[62:63], v[82:83], -v[56:57]
	v_add_f64 v[72:73], v[12:13], v[98:99]
	v_add_f64 v[74:75], v[14:15], v[100:101]
	;; [unrolled: 1-line block ×8, first 2 shown]
	ds_load_b128 v[8:11], v25 offset:2112
	ds_load_b128 v[12:15], v25 offset:80
	;; [unrolled: 1-line block ×4, first 2 shown]
	s_waitcnt lgkmcnt(4)
	v_mul_f64 v[54:55], v[6:7], v[32:33]
	v_mul_f64 v[76:77], v[4:5], v[32:33]
	;; [unrolled: 1-line block ×4, first 2 shown]
	v_fma_f64 v[86:87], v[64:65], v[82:83], v[86:87]
	v_fma_f64 v[62:63], v[62:63], v[26:27], -v[88:89]
	v_fma_f64 v[64:65], v[64:65], v[26:27], v[90:91]
	v_fma_f64 v[88:89], v[78:79], v[82:83], -v[92:93]
	;; [unrolled: 2-line block ×3, first 2 shown]
	v_fma_f64 v[80:81], v[80:81], v[26:27], v[28:29]
	s_waitcnt lgkmcnt(3)
	v_mul_f64 v[102:103], v[10:11], v[32:33]
	v_mul_f64 v[32:33], v[8:9], v[32:33]
	;; [unrolled: 1-line block ×4, first 2 shown]
	s_waitcnt lgkmcnt(0)
	v_mul_f64 v[90:91], v[14:15], v[40:41]
	v_mul_f64 v[92:93], v[12:13], v[40:41]
	v_add_f64 v[72:73], v[72:73], v[104:105]
	v_add_f64 v[74:75], v[74:75], v[106:107]
	;; [unrolled: 1-line block ×8, first 2 shown]
	ds_load_b128 v[26:29], v22 offset:2816
	ds_load_b128 v[42:45], v22 offset:3072
	;; [unrolled: 1-line block ×4, first 2 shown]
	v_mul_f64 v[104:105], v[36:37], v[40:41]
	v_mul_f64 v[40:41], v[34:35], v[40:41]
	v_fma_f64 v[54:55], v[4:5], v[30:31], -v[54:55]
	v_fma_f64 v[76:77], v[6:7], v[30:31], v[76:77]
	v_fma_f64 v[98:99], v[4:5], v[0:1], -v[98:99]
	v_fma_f64 v[100:101], v[6:7], v[0:1], v[100:101]
	s_waitcnt lgkmcnt(3)
	v_mul_f64 v[94:95], v[14:15], v[28:29]
	v_mul_f64 v[96:97], v[12:13], v[28:29]
	;; [unrolled: 1-line block ×4, first 2 shown]
	v_fma_f64 v[102:103], v[8:9], v[30:31], -v[102:103]
	v_fma_f64 v[32:33], v[10:11], v[30:31], v[32:33]
	v_fma_f64 v[108:109], v[8:9], v[0:1], -v[108:109]
	v_fma_f64 v[112:113], v[10:11], v[0:1], v[2:3]
	ds_load_b128 v[0:3], v25 offset:2144
	ds_load_b128 v[4:7], v25 offset:112
	;; [unrolled: 1-line block ×4, first 2 shown]
	v_add_f64 v[56:57], v[72:73], v[56:57]
	v_add_f64 v[72:73], v[74:75], v[86:87]
	;; [unrolled: 1-line block ×8, first 2 shown]
	s_waitcnt lgkmcnt(4)
	v_mul_f64 v[70:71], v[52:53], v[44:45]
	v_mul_f64 v[74:75], v[50:51], v[44:45]
	;; [unrolled: 1-line block ×4, first 2 shown]
	s_waitcnt lgkmcnt(3)
	v_mul_f64 v[82:83], v[2:3], v[44:45]
	v_mul_f64 v[44:45], v[0:1], v[44:45]
	;; [unrolled: 1-line block ×4, first 2 shown]
	v_fma_f64 v[86:87], v[12:13], v[38:39], -v[90:91]
	v_fma_f64 v[88:89], v[14:15], v[38:39], v[92:93]
	v_fma_f64 v[90:91], v[12:13], v[26:27], -v[94:95]
	v_fma_f64 v[92:93], v[14:15], v[26:27], v[96:97]
	;; [unrolled: 2-line block ×4, first 2 shown]
	ds_load_b128 v[12:15], v22 offset:3840
	s_waitcnt lgkmcnt(0)
	s_barrier
	buffer_gl0_inv
	v_add_f64 v[36:37], v[56:57], v[54:55]
	v_add_f64 v[40:41], v[72:73], v[76:77]
	;; [unrolled: 1-line block ×8, first 2 shown]
	v_mul_f64 v[64:65], v[6:7], v[30:31]
	v_mul_f64 v[66:67], v[4:5], v[30:31]
	;; [unrolled: 1-line block ×4, first 2 shown]
	v_fma_f64 v[70:71], v[50:51], v[42:43], -v[70:71]
	v_mul_f64 v[68:69], v[6:7], v[14:15]
	v_mul_f64 v[72:73], v[4:5], v[14:15]
	;; [unrolled: 1-line block ×4, first 2 shown]
	v_fma_f64 v[74:75], v[52:53], v[42:43], v[74:75]
	v_fma_f64 v[50:51], v[50:51], v[46:47], -v[78:79]
	v_fma_f64 v[52:53], v[52:53], v[46:47], v[80:81]
	v_fma_f64 v[78:79], v[0:1], v[42:43], -v[82:83]
	;; [unrolled: 2-line block ×3, first 2 shown]
	v_fma_f64 v[2:3], v[2:3], v[46:47], v[48:49]
	v_add_f64 v[36:37], v[36:37], v[86:87]
	v_add_f64 v[40:41], v[40:41], v[88:89]
	;; [unrolled: 1-line block ×8, first 2 shown]
	v_fma_f64 v[38:39], v[4:5], v[28:29], -v[64:65]
	v_fma_f64 v[54:55], v[6:7], v[28:29], v[66:67]
	v_fma_f64 v[56:57], v[8:9], v[28:29], -v[76:77]
	v_fma_f64 v[28:29], v[10:11], v[28:29], v[30:31]
	;; [unrolled: 2-line block ×4, first 2 shown]
	v_add_f64 v[8:9], v[36:37], v[70:71]
	v_add_f64 v[10:11], v[40:41], v[74:75]
	v_add_f64 v[36:37], v[44:45], v[50:51]
	v_add_f64 v[40:41], v[46:47], v[52:53]
	v_add_f64 v[44:45], v[48:49], v[78:79]
	v_add_f64 v[32:33], v[32:33], v[42:43]
	v_add_f64 v[0:1], v[34:35], v[0:1]
	v_add_f64 v[2:3], v[26:27], v[2:3]
	v_add_f64 v[12:13], v[8:9], v[38:39]
	v_add_f64 v[14:15], v[10:11], v[54:55]
	v_add_f64 v[8:9], v[36:37], v[4:5]
	v_add_f64 v[10:11], v[40:41], v[6:7]
	v_add_f64 v[4:5], v[44:45], v[56:57]
	v_add_f64 v[6:7], v[32:33], v[28:29]
	v_add_f64 v[0:1], v[0:1], v[30:31]
	v_add_f64 v[2:3], v[2:3], v[58:59]
	s_cbranch_vccz .LBB1179_2
.LBB1179_3:
	s_clause 0x1
	s_load_b128 s[4:7], s[0:1], 0x48
	s_load_b32 s2, s[0:1], 0x0
	v_add_nc_u32_e32 v18, s9, v21
	s_delay_alu instid0(VALU_DEP_1) | instskip(SKIP_1) | instid1(VALU_DEP_1)
	v_ashrrev_i32_e32 v16, 31, v18
	s_waitcnt lgkmcnt(0)
	v_mul_lo_u32 v17, v16, s4
	v_mul_lo_u32 v19, v18, s5
	v_mad_u64_u32 v[21:22], null, v18, s4, 0
	s_mul_i32 s1, s15, s7
	s_mul_hi_u32 s3, s15, s6
	v_add_nc_u32_e32 v16, s8, v20
	s_mul_i32 s6, s15, s6
	s_add_i32 s7, s3, s1
	v_cmp_gt_i32_e32 vcc_lo, s2, v18
	s_delay_alu instid0(VALU_DEP_3)
	v_add3_u32 v22, v22, v19, v17
	s_lshl_b64 s[6:7], s[6:7], 4
	v_cmp_le_i32_e64 s0, v16, v18
	s_add_u32 s3, s30, s6
	s_addc_u32 s6, s31, s7
	v_lshlrev_b64 v[19:20], 4, v[21:22]
	s_delay_alu instid0(VALU_DEP_2) | instskip(NEXT) | instid1(VALU_DEP_1)
	s_and_b32 s0, vcc_lo, s0
	v_add_co_u32 v19, s1, s3, v19
	s_delay_alu instid0(VALU_DEP_1)
	v_add_co_ci_u32_e64 v20, s1, s6, v20, s1
	s_and_saveexec_b32 s1, s0
	s_cbranch_execz .LBB1179_5
; %bb.4:
	v_ashrrev_i32_e32 v17, 31, v16
	v_xor_b32_e32 v13, 0x80000000, v13
	v_xor_b32_e32 v15, 0x80000000, v15
	s_delay_alu instid0(VALU_DEP_3) | instskip(NEXT) | instid1(VALU_DEP_1)
	v_lshlrev_b64 v[21:22], 4, v[16:17]
	v_add_co_u32 v21, s0, v19, v21
	s_delay_alu instid0(VALU_DEP_1)
	v_add_co_ci_u32_e64 v22, s0, v20, v22, s0
	global_store_b128 v[21:22], v[12:15], off
.LBB1179_5:
	s_or_b32 exec_lo, exec_lo, s1
	v_add_nc_u32_e32 v12, 16, v16
	s_delay_alu instid0(VALU_DEP_1) | instskip(NEXT) | instid1(VALU_DEP_1)
	v_cmp_le_i32_e64 s0, v12, v18
	s_and_b32 s1, vcc_lo, s0
	s_delay_alu instid0(SALU_CYCLE_1)
	s_and_saveexec_b32 s0, s1
	s_cbranch_execz .LBB1179_7
; %bb.6:
	v_ashrrev_i32_e32 v13, 31, v12
	v_xor_b32_e32 v9, 0x80000000, v9
	v_xor_b32_e32 v11, 0x80000000, v11
	s_delay_alu instid0(VALU_DEP_3) | instskip(NEXT) | instid1(VALU_DEP_1)
	v_lshlrev_b64 v[13:14], 4, v[12:13]
	v_add_co_u32 v13, vcc_lo, v19, v13
	s_delay_alu instid0(VALU_DEP_2)
	v_add_co_ci_u32_e32 v14, vcc_lo, v20, v14, vcc_lo
	global_store_b128 v[13:14], v[8:11], off
.LBB1179_7:
	s_or_b32 exec_lo, exec_lo, s0
	v_add_nc_u32_e32 v10, 16, v18
	s_delay_alu instid0(VALU_DEP_1) | instskip(SKIP_3) | instid1(VALU_DEP_4)
	v_ashrrev_i32_e32 v11, 31, v10
	v_mul_lo_u32 v13, v10, s5
	v_mad_u64_u32 v[8:9], null, v10, s4, 0
	v_cmp_gt_i32_e32 vcc_lo, s2, v10
	v_mul_lo_u32 v11, v11, s4
	v_cmp_le_i32_e64 s0, v16, v10
	s_delay_alu instid0(VALU_DEP_1) | instskip(NEXT) | instid1(VALU_DEP_2)
	s_and_b32 s0, vcc_lo, s0
	v_add3_u32 v9, v9, v13, v11
	s_delay_alu instid0(VALU_DEP_1) | instskip(NEXT) | instid1(VALU_DEP_1)
	v_lshlrev_b64 v[8:9], 4, v[8:9]
	v_add_co_u32 v8, s1, s3, v8
	s_delay_alu instid0(VALU_DEP_1)
	v_add_co_ci_u32_e64 v9, s1, s6, v9, s1
	s_and_saveexec_b32 s1, s0
	s_cbranch_execz .LBB1179_9
; %bb.8:
	v_ashrrev_i32_e32 v17, 31, v16
	v_xor_b32_e32 v5, 0x80000000, v5
	v_xor_b32_e32 v7, 0x80000000, v7
	s_delay_alu instid0(VALU_DEP_3) | instskip(NEXT) | instid1(VALU_DEP_1)
	v_lshlrev_b64 v[13:14], 4, v[16:17]
	v_add_co_u32 v13, s0, v8, v13
	s_delay_alu instid0(VALU_DEP_1)
	v_add_co_ci_u32_e64 v14, s0, v9, v14, s0
	global_store_b128 v[13:14], v[4:7], off
.LBB1179_9:
	s_or_b32 exec_lo, exec_lo, s1
	v_cmp_le_i32_e64 s0, v12, v10
	s_delay_alu instid0(VALU_DEP_1) | instskip(NEXT) | instid1(SALU_CYCLE_1)
	s_and_b32 s0, vcc_lo, s0
	s_and_saveexec_b32 s1, s0
	s_cbranch_execz .LBB1179_11
; %bb.10:
	v_ashrrev_i32_e32 v13, 31, v12
	v_xor_b32_e32 v1, 0x80000000, v1
	v_xor_b32_e32 v3, 0x80000000, v3
	s_delay_alu instid0(VALU_DEP_3) | instskip(NEXT) | instid1(VALU_DEP_1)
	v_lshlrev_b64 v[4:5], 4, v[12:13]
	v_add_co_u32 v4, vcc_lo, v8, v4
	s_delay_alu instid0(VALU_DEP_2)
	v_add_co_ci_u32_e32 v5, vcc_lo, v9, v5, vcc_lo
	global_store_b128 v[4:5], v[0:3], off
.LBB1179_11:
	s_nop 0
	s_sendmsg sendmsg(MSG_DEALLOC_VGPRS)
	s_endpgm
	.section	.rodata,"a",@progbits
	.p2align	6, 0x0
	.amdhsa_kernel _ZL37rocblas_syrkx_herkx_restricted_kernelIl19rocblas_complex_numIdELi16ELi32ELi8ELin1ELi0ELb0ELc67ELc85EKS1_S1_EviT_PT9_S3_lS5_S3_lPT10_S3_li
		.amdhsa_group_segment_fixed_size 8192
		.amdhsa_private_segment_fixed_size 0
		.amdhsa_kernarg_size 92
		.amdhsa_user_sgpr_count 13
		.amdhsa_user_sgpr_dispatch_ptr 0
		.amdhsa_user_sgpr_queue_ptr 0
		.amdhsa_user_sgpr_kernarg_segment_ptr 1
		.amdhsa_user_sgpr_dispatch_id 0
		.amdhsa_user_sgpr_private_segment_size 0
		.amdhsa_wavefront_size32 1
		.amdhsa_uses_dynamic_stack 0
		.amdhsa_enable_private_segment 0
		.amdhsa_system_sgpr_workgroup_id_x 1
		.amdhsa_system_sgpr_workgroup_id_y 1
		.amdhsa_system_sgpr_workgroup_id_z 1
		.amdhsa_system_sgpr_workgroup_info 0
		.amdhsa_system_vgpr_workitem_id 1
		.amdhsa_next_free_vgpr 118
		.amdhsa_next_free_sgpr 32
		.amdhsa_reserve_vcc 1
		.amdhsa_float_round_mode_32 0
		.amdhsa_float_round_mode_16_64 0
		.amdhsa_float_denorm_mode_32 3
		.amdhsa_float_denorm_mode_16_64 3
		.amdhsa_dx10_clamp 1
		.amdhsa_ieee_mode 1
		.amdhsa_fp16_overflow 0
		.amdhsa_workgroup_processor_mode 1
		.amdhsa_memory_ordered 1
		.amdhsa_forward_progress 0
		.amdhsa_shared_vgpr_count 0
		.amdhsa_exception_fp_ieee_invalid_op 0
		.amdhsa_exception_fp_denorm_src 0
		.amdhsa_exception_fp_ieee_div_zero 0
		.amdhsa_exception_fp_ieee_overflow 0
		.amdhsa_exception_fp_ieee_underflow 0
		.amdhsa_exception_fp_ieee_inexact 0
		.amdhsa_exception_int_div_zero 0
	.end_amdhsa_kernel
	.section	.text._ZL37rocblas_syrkx_herkx_restricted_kernelIl19rocblas_complex_numIdELi16ELi32ELi8ELin1ELi0ELb0ELc67ELc85EKS1_S1_EviT_PT9_S3_lS5_S3_lPT10_S3_li,"axG",@progbits,_ZL37rocblas_syrkx_herkx_restricted_kernelIl19rocblas_complex_numIdELi16ELi32ELi8ELin1ELi0ELb0ELc67ELc85EKS1_S1_EviT_PT9_S3_lS5_S3_lPT10_S3_li,comdat
.Lfunc_end1179:
	.size	_ZL37rocblas_syrkx_herkx_restricted_kernelIl19rocblas_complex_numIdELi16ELi32ELi8ELin1ELi0ELb0ELc67ELc85EKS1_S1_EviT_PT9_S3_lS5_S3_lPT10_S3_li, .Lfunc_end1179-_ZL37rocblas_syrkx_herkx_restricted_kernelIl19rocblas_complex_numIdELi16ELi32ELi8ELin1ELi0ELb0ELc67ELc85EKS1_S1_EviT_PT9_S3_lS5_S3_lPT10_S3_li
                                        ; -- End function
	.section	.AMDGPU.csdata,"",@progbits
; Kernel info:
; codeLenInByte = 3036
; NumSgprs: 34
; NumVgprs: 118
; ScratchSize: 0
; MemoryBound: 0
; FloatMode: 240
; IeeeMode: 1
; LDSByteSize: 8192 bytes/workgroup (compile time only)
; SGPRBlocks: 4
; VGPRBlocks: 14
; NumSGPRsForWavesPerEU: 34
; NumVGPRsForWavesPerEU: 118
; Occupancy: 12
; WaveLimiterHint : 1
; COMPUTE_PGM_RSRC2:SCRATCH_EN: 0
; COMPUTE_PGM_RSRC2:USER_SGPR: 13
; COMPUTE_PGM_RSRC2:TRAP_HANDLER: 0
; COMPUTE_PGM_RSRC2:TGID_X_EN: 1
; COMPUTE_PGM_RSRC2:TGID_Y_EN: 1
; COMPUTE_PGM_RSRC2:TGID_Z_EN: 1
; COMPUTE_PGM_RSRC2:TIDIG_COMP_CNT: 1
	.section	.text._ZL37rocblas_syrkx_herkx_restricted_kernelIl19rocblas_complex_numIdELi16ELi32ELi8ELin1ELi0ELb0ELc78ELc85EKS1_S1_EviT_PT9_S3_lS5_S3_lPT10_S3_li,"axG",@progbits,_ZL37rocblas_syrkx_herkx_restricted_kernelIl19rocblas_complex_numIdELi16ELi32ELi8ELin1ELi0ELb0ELc78ELc85EKS1_S1_EviT_PT9_S3_lS5_S3_lPT10_S3_li,comdat
	.globl	_ZL37rocblas_syrkx_herkx_restricted_kernelIl19rocblas_complex_numIdELi16ELi32ELi8ELin1ELi0ELb0ELc78ELc85EKS1_S1_EviT_PT9_S3_lS5_S3_lPT10_S3_li ; -- Begin function _ZL37rocblas_syrkx_herkx_restricted_kernelIl19rocblas_complex_numIdELi16ELi32ELi8ELin1ELi0ELb0ELc78ELc85EKS1_S1_EviT_PT9_S3_lS5_S3_lPT10_S3_li
	.p2align	8
	.type	_ZL37rocblas_syrkx_herkx_restricted_kernelIl19rocblas_complex_numIdELi16ELi32ELi8ELin1ELi0ELb0ELc78ELc85EKS1_S1_EviT_PT9_S3_lS5_S3_lPT10_S3_li,@function
_ZL37rocblas_syrkx_herkx_restricted_kernelIl19rocblas_complex_numIdELi16ELi32ELi8ELin1ELi0ELb0ELc78ELc85EKS1_S1_EviT_PT9_S3_lS5_S3_lPT10_S3_li: ; @_ZL37rocblas_syrkx_herkx_restricted_kernelIl19rocblas_complex_numIdELi16ELi32ELi8ELin1ELi0ELb0ELc78ELc85EKS1_S1_EviT_PT9_S3_lS5_S3_lPT10_S3_li
; %bb.0:
	s_load_b512 s[16:31], s[0:1], 0x8
	v_mov_b32_e32 v12, 0
	v_dual_mov_b32 v13, 0 :: v_dual_and_b32 v20, 0x3ff, v0
	v_bfe_u32 v21, v0, 10, 10
	s_delay_alu instid0(VALU_DEP_3) | instskip(NEXT) | instid1(VALU_DEP_3)
	v_mov_b32_e32 v8, v12
	v_dual_mov_b32 v10, v12 :: v_dual_mov_b32 v11, v13
	v_dual_mov_b32 v15, v13 :: v_dual_mov_b32 v14, v12
	;; [unrolled: 1-line block ×6, first 2 shown]
	v_mov_b32_e32 v3, v13
	s_lshl_b32 s8, s13, 5
	s_waitcnt lgkmcnt(0)
	v_cmp_lt_i64_e64 s2, s[16:17], 1
	s_lshl_b32 s9, s14, 5
	s_delay_alu instid0(VALU_DEP_1)
	s_and_b32 vcc_lo, exec_lo, s2
	s_cbranch_vccnz .LBB1180_3
; %bb.1:
	v_lshl_add_u32 v1, v21, 4, v20
	v_and_b32_e32 v10, 7, v20
	s_mul_i32 s3, s23, s15
	s_mul_hi_u32 s5, s22, s15
	s_mul_i32 s2, s22, s15
	v_and_b32_e32 v9, 31, v1
	v_lshrrev_b32_e32 v11, 3, v1
	v_lshrrev_b32_e32 v12, 5, v1
	s_add_i32 s3, s5, s3
	s_mul_i32 s6, s29, s15
	v_add_nc_u32_e32 v0, s8, v9
	v_add_nc_u32_e32 v2, s9, v11
	s_lshl_b64 s[2:3], s[2:3], 4
	s_mul_hi_u32 s7, s28, s15
	s_add_u32 s10, s18, s2
	v_ashrrev_i32_e32 v1, 31, v0
	v_ashrrev_i32_e32 v3, 31, v2
	s_mul_i32 s4, s28, s15
	s_addc_u32 s11, s19, s3
	s_add_i32 s5, s7, s6
	v_mad_u64_u32 v[4:5], null, v12, s20, v[0:1]
	v_mad_u64_u32 v[0:1], null, v10, s26, v[2:3]
	v_mov_b32_e32 v2, 0
	v_mov_b32_e32 v3, 0
	s_lshl_b64 s[4:5], s[4:5], 4
	s_lshl_b64 s[2:3], s[20:21], 7
	s_delay_alu instid0(VALU_DEP_4) | instskip(NEXT) | instid1(VALU_DEP_4)
	v_mad_u64_u32 v[6:7], null, v12, s21, v[5:6]
	v_mad_u64_u32 v[7:8], null, v10, s27, v[1:2]
	v_lshlrev_b32_e32 v22, 4, v20
	s_add_u32 s4, s24, s4
	s_addc_u32 s5, s25, s5
	v_lshlrev_b32_e32 v13, 4, v10
	s_delay_alu instid0(VALU_DEP_4) | instskip(NEXT) | instid1(VALU_DEP_4)
	v_dual_mov_b32 v5, v6 :: v_dual_lshlrev_b32 v6, 4, v9
	v_mov_b32_e32 v1, v7
	v_mov_b32_e32 v15, v3
	v_lshl_add_u32 v23, v21, 7, 0x1000
	s_delay_alu instid0(VALU_DEP_4) | instskip(SKIP_3) | instid1(VALU_DEP_3)
	v_lshlrev_b64 v[4:5], 4, v[4:5]
	s_mov_b64 s[6:7], 0
	v_lshlrev_b64 v[0:1], 4, v[0:1]
	v_mov_b32_e32 v14, v2
	v_add_co_u32 v4, vcc_lo, s10, v4
	s_delay_alu instid0(VALU_DEP_4) | instskip(NEXT) | instid1(VALU_DEP_4)
	v_add_co_ci_u32_e32 v5, vcc_lo, s11, v5, vcc_lo
	v_add_co_u32 v0, vcc_lo, s4, v0
	v_add_co_ci_u32_e32 v1, vcc_lo, s5, v1, vcc_lo
	s_delay_alu instid0(VALU_DEP_4) | instskip(NEXT) | instid1(VALU_DEP_4)
	v_add_co_u32 v16, vcc_lo, v4, 8
	v_add_co_ci_u32_e32 v17, vcc_lo, 0, v5, vcc_lo
	s_delay_alu instid0(VALU_DEP_4) | instskip(NEXT) | instid1(VALU_DEP_4)
	v_add_co_u32 v18, vcc_lo, v0, 8
	v_add_co_ci_u32_e32 v19, vcc_lo, 0, v1, vcc_lo
	v_mov_b32_e32 v0, v2
	v_lshl_or_b32 v8, v11, 7, v13
	v_mov_b32_e32 v1, v3
	v_lshl_or_b32 v24, v12, 9, v6
	v_mov_b32_e32 v7, v3
	v_mov_b32_e32 v5, v3
	v_dual_mov_b32 v6, v2 :: v_dual_add_nc_u32 v25, 0x1000, v8
	v_mov_b32_e32 v11, v3
	v_mov_b32_e32 v9, v3
	v_dual_mov_b32 v13, v3 :: v_dual_mov_b32 v4, v2
	v_mov_b32_e32 v10, v2
	v_mov_b32_e32 v8, v2
	;; [unrolled: 1-line block ×3, first 2 shown]
	s_lshl_b64 s[4:5], s[26:27], 7
.LBB1180_2:                             ; =>This Inner Loop Header: Depth=1
	global_load_b128 v[26:29], v[16:17], off offset:-8
	global_load_b128 v[30:33], v[18:19], off offset:-8
	s_add_u32 s6, s6, 8
	v_add_co_u32 v16, vcc_lo, v16, s2
	s_addc_u32 s7, s7, 0
	v_add_co_ci_u32_e32 v17, vcc_lo, s3, v17, vcc_lo
	v_cmp_ge_u64_e64 s10, s[6:7], s[16:17]
	v_add_co_u32 v18, vcc_lo, v18, s4
	v_add_co_ci_u32_e32 v19, vcc_lo, s5, v19, vcc_lo
	s_waitcnt vmcnt(1)
	ds_store_b128 v24, v[26:29]
	s_waitcnt vmcnt(0)
	ds_store_b128 v25, v[30:33]
	s_waitcnt lgkmcnt(0)
	s_barrier
	buffer_gl0_inv
	ds_load_b128 v[26:29], v23
	ds_load_b128 v[30:33], v22
	ds_load_b128 v[34:37], v22 offset:256
	ds_load_b128 v[38:41], v23 offset:2048
	;; [unrolled: 1-line block ×13, first 2 shown]
	s_and_b32 vcc_lo, exec_lo, s10
	s_waitcnt lgkmcnt(13)
	v_mul_f64 v[86:87], v[28:29], v[32:33]
	v_mul_f64 v[88:89], v[26:27], v[32:33]
	s_waitcnt lgkmcnt(12)
	v_mul_f64 v[90:91], v[28:29], v[36:37]
	v_mul_f64 v[92:93], v[26:27], v[36:37]
	;; [unrolled: 3-line block ×3, first 2 shown]
	v_mul_f64 v[96:97], v[40:41], v[36:37]
	v_mul_f64 v[36:37], v[38:39], v[36:37]
	s_waitcnt lgkmcnt(8)
	v_mul_f64 v[98:99], v[44:45], v[52:53]
	v_mul_f64 v[100:101], v[42:43], v[52:53]
	s_waitcnt lgkmcnt(7)
	v_mul_f64 v[102:103], v[44:45], v[56:57]
	v_mul_f64 v[104:105], v[42:43], v[56:57]
	;; [unrolled: 1-line block ×6, first 2 shown]
	s_waitcnt lgkmcnt(3)
	v_mul_f64 v[112:113], v[58:59], v[72:73]
	s_waitcnt lgkmcnt(2)
	v_mul_f64 v[114:115], v[76:77], v[68:69]
	v_mul_f64 v[116:117], v[76:77], v[72:73]
	v_fma_f64 v[86:87], v[26:27], v[30:31], -v[86:87]
	v_fma_f64 v[88:89], v[28:29], v[30:31], v[88:89]
	v_fma_f64 v[90:91], v[26:27], v[34:35], -v[90:91]
	v_fma_f64 v[92:93], v[28:29], v[34:35], v[92:93]
	;; [unrolled: 2-line block ×4, first 2 shown]
	v_mul_f64 v[36:37], v[60:61], v[68:69]
	v_mul_f64 v[40:41], v[58:59], v[68:69]
	;; [unrolled: 1-line block ×5, first 2 shown]
	v_fma_f64 v[98:99], v[42:43], v[50:51], -v[98:99]
	v_fma_f64 v[100:101], v[44:45], v[50:51], v[100:101]
	v_fma_f64 v[42:43], v[42:43], v[54:55], -v[102:103]
	v_fma_f64 v[44:45], v[44:45], v[54:55], v[104:105]
	;; [unrolled: 2-line block ×4, first 2 shown]
	ds_load_b128 v[26:29], v22 offset:1792
	ds_load_b128 v[30:33], v22 offset:2048
	s_waitcnt lgkmcnt(2)
	v_mul_f64 v[56:57], v[64:65], v[84:85]
	v_add_f64 v[12:13], v[12:13], v[86:87]
	v_add_f64 v[14:15], v[14:15], v[88:89]
	;; [unrolled: 1-line block ×8, first 2 shown]
	v_mul_f64 v[86:87], v[62:63], v[84:85]
	s_waitcnt lgkmcnt(1)
	v_mul_f64 v[88:89], v[64:65], v[28:29]
	v_mul_f64 v[90:91], v[62:63], v[28:29]
	;; [unrolled: 1-line block ×6, first 2 shown]
	v_fma_f64 v[104:105], v[58:59], v[66:67], -v[36:37]
	v_fma_f64 v[106:107], v[60:61], v[66:67], v[40:41]
	v_fma_f64 v[58:59], v[58:59], v[70:71], -v[96:97]
	v_fma_f64 v[60:61], v[60:61], v[70:71], v[112:113]
	v_fma_f64 v[96:97], v[74:75], v[66:67], -v[114:115]
	v_fma_f64 v[66:67], v[76:77], v[66:67], v[68:69]
	v_fma_f64 v[68:69], v[74:75], v[70:71], -v[116:117]
	v_fma_f64 v[70:71], v[76:77], v[70:71], v[72:73]
	ds_load_b128 v[0:3], v22 offset:2304
	ds_load_b128 v[4:7], v23 offset:64
	v_fma_f64 v[56:57], v[62:63], v[82:83], -v[56:57]
	v_add_f64 v[72:73], v[12:13], v[98:99]
	v_add_f64 v[74:75], v[14:15], v[100:101]
	;; [unrolled: 1-line block ×8, first 2 shown]
	ds_load_b128 v[8:11], v23 offset:2112
	ds_load_b128 v[12:15], v23 offset:80
	;; [unrolled: 1-line block ×4, first 2 shown]
	s_waitcnt lgkmcnt(4)
	v_mul_f64 v[54:55], v[6:7], v[32:33]
	v_mul_f64 v[76:77], v[4:5], v[32:33]
	;; [unrolled: 1-line block ×4, first 2 shown]
	v_fma_f64 v[86:87], v[64:65], v[82:83], v[86:87]
	v_fma_f64 v[62:63], v[62:63], v[26:27], -v[88:89]
	v_fma_f64 v[64:65], v[64:65], v[26:27], v[90:91]
	v_fma_f64 v[88:89], v[78:79], v[82:83], -v[92:93]
	v_fma_f64 v[82:83], v[80:81], v[82:83], v[84:85]
	v_fma_f64 v[78:79], v[78:79], v[26:27], -v[94:95]
	v_fma_f64 v[80:81], v[80:81], v[26:27], v[28:29]
	s_waitcnt lgkmcnt(3)
	v_mul_f64 v[102:103], v[10:11], v[32:33]
	v_mul_f64 v[32:33], v[8:9], v[32:33]
	;; [unrolled: 1-line block ×4, first 2 shown]
	s_waitcnt lgkmcnt(0)
	v_mul_f64 v[90:91], v[14:15], v[40:41]
	v_mul_f64 v[92:93], v[12:13], v[40:41]
	v_add_f64 v[72:73], v[72:73], v[104:105]
	v_add_f64 v[74:75], v[74:75], v[106:107]
	;; [unrolled: 1-line block ×8, first 2 shown]
	ds_load_b128 v[26:29], v22 offset:2816
	ds_load_b128 v[42:45], v22 offset:3072
	;; [unrolled: 1-line block ×4, first 2 shown]
	v_mul_f64 v[104:105], v[36:37], v[40:41]
	v_mul_f64 v[40:41], v[34:35], v[40:41]
	v_fma_f64 v[54:55], v[4:5], v[30:31], -v[54:55]
	v_fma_f64 v[76:77], v[6:7], v[30:31], v[76:77]
	v_fma_f64 v[98:99], v[4:5], v[0:1], -v[98:99]
	v_fma_f64 v[100:101], v[6:7], v[0:1], v[100:101]
	s_waitcnt lgkmcnt(3)
	v_mul_f64 v[94:95], v[14:15], v[28:29]
	v_mul_f64 v[96:97], v[12:13], v[28:29]
	;; [unrolled: 1-line block ×4, first 2 shown]
	v_fma_f64 v[102:103], v[8:9], v[30:31], -v[102:103]
	v_fma_f64 v[32:33], v[10:11], v[30:31], v[32:33]
	v_fma_f64 v[108:109], v[8:9], v[0:1], -v[108:109]
	v_fma_f64 v[112:113], v[10:11], v[0:1], v[2:3]
	ds_load_b128 v[0:3], v23 offset:2144
	ds_load_b128 v[4:7], v23 offset:112
	;; [unrolled: 1-line block ×4, first 2 shown]
	v_add_f64 v[56:57], v[72:73], v[56:57]
	v_add_f64 v[72:73], v[74:75], v[86:87]
	;; [unrolled: 1-line block ×8, first 2 shown]
	s_waitcnt lgkmcnt(4)
	v_mul_f64 v[70:71], v[52:53], v[44:45]
	v_mul_f64 v[74:75], v[50:51], v[44:45]
	;; [unrolled: 1-line block ×4, first 2 shown]
	s_waitcnt lgkmcnt(3)
	v_mul_f64 v[82:83], v[2:3], v[44:45]
	v_mul_f64 v[44:45], v[0:1], v[44:45]
	;; [unrolled: 1-line block ×4, first 2 shown]
	v_fma_f64 v[86:87], v[12:13], v[38:39], -v[90:91]
	v_fma_f64 v[88:89], v[14:15], v[38:39], v[92:93]
	v_fma_f64 v[90:91], v[12:13], v[26:27], -v[94:95]
	v_fma_f64 v[92:93], v[14:15], v[26:27], v[96:97]
	;; [unrolled: 2-line block ×4, first 2 shown]
	ds_load_b128 v[12:15], v22 offset:3840
	s_waitcnt lgkmcnt(0)
	s_barrier
	buffer_gl0_inv
	v_add_f64 v[36:37], v[56:57], v[54:55]
	v_add_f64 v[40:41], v[72:73], v[76:77]
	;; [unrolled: 1-line block ×8, first 2 shown]
	v_mul_f64 v[64:65], v[6:7], v[30:31]
	v_mul_f64 v[66:67], v[4:5], v[30:31]
	;; [unrolled: 1-line block ×4, first 2 shown]
	v_fma_f64 v[70:71], v[50:51], v[42:43], -v[70:71]
	v_mul_f64 v[68:69], v[6:7], v[14:15]
	v_mul_f64 v[72:73], v[4:5], v[14:15]
	;; [unrolled: 1-line block ×4, first 2 shown]
	v_fma_f64 v[74:75], v[52:53], v[42:43], v[74:75]
	v_fma_f64 v[50:51], v[50:51], v[46:47], -v[78:79]
	v_fma_f64 v[52:53], v[52:53], v[46:47], v[80:81]
	v_fma_f64 v[78:79], v[0:1], v[42:43], -v[82:83]
	;; [unrolled: 2-line block ×3, first 2 shown]
	v_fma_f64 v[2:3], v[2:3], v[46:47], v[48:49]
	v_add_f64 v[36:37], v[36:37], v[86:87]
	v_add_f64 v[40:41], v[40:41], v[88:89]
	;; [unrolled: 1-line block ×8, first 2 shown]
	v_fma_f64 v[38:39], v[4:5], v[28:29], -v[64:65]
	v_fma_f64 v[54:55], v[6:7], v[28:29], v[66:67]
	v_fma_f64 v[56:57], v[8:9], v[28:29], -v[76:77]
	v_fma_f64 v[28:29], v[10:11], v[28:29], v[30:31]
	;; [unrolled: 2-line block ×4, first 2 shown]
	v_add_f64 v[8:9], v[36:37], v[70:71]
	v_add_f64 v[10:11], v[40:41], v[74:75]
	;; [unrolled: 1-line block ×16, first 2 shown]
	s_cbranch_vccz .LBB1180_2
.LBB1180_3:
	s_clause 0x1
	s_load_b128 s[4:7], s[0:1], 0x48
	s_load_b32 s2, s[0:1], 0x0
	v_add_nc_u32_e32 v18, s9, v21
	s_delay_alu instid0(VALU_DEP_1) | instskip(SKIP_1) | instid1(VALU_DEP_1)
	v_ashrrev_i32_e32 v16, 31, v18
	s_waitcnt lgkmcnt(0)
	v_mul_lo_u32 v17, v16, s4
	v_mul_lo_u32 v19, v18, s5
	v_mad_u64_u32 v[21:22], null, v18, s4, 0
	s_mul_i32 s1, s15, s7
	s_mul_hi_u32 s3, s15, s6
	v_add_nc_u32_e32 v16, s8, v20
	s_mul_i32 s6, s15, s6
	s_add_i32 s7, s3, s1
	v_cmp_gt_i32_e32 vcc_lo, s2, v18
	s_delay_alu instid0(VALU_DEP_3)
	v_add3_u32 v22, v22, v19, v17
	s_lshl_b64 s[6:7], s[6:7], 4
	v_cmp_le_i32_e64 s0, v16, v18
	s_add_u32 s3, s30, s6
	s_addc_u32 s6, s31, s7
	v_lshlrev_b64 v[19:20], 4, v[21:22]
	s_delay_alu instid0(VALU_DEP_2) | instskip(NEXT) | instid1(VALU_DEP_1)
	s_and_b32 s0, vcc_lo, s0
	v_add_co_u32 v19, s1, s3, v19
	s_delay_alu instid0(VALU_DEP_1)
	v_add_co_ci_u32_e64 v20, s1, s6, v20, s1
	s_and_saveexec_b32 s1, s0
	s_cbranch_execz .LBB1180_5
; %bb.4:
	v_ashrrev_i32_e32 v17, 31, v16
	v_xor_b32_e32 v13, 0x80000000, v13
	v_xor_b32_e32 v15, 0x80000000, v15
	s_delay_alu instid0(VALU_DEP_3) | instskip(NEXT) | instid1(VALU_DEP_1)
	v_lshlrev_b64 v[21:22], 4, v[16:17]
	v_add_co_u32 v21, s0, v19, v21
	s_delay_alu instid0(VALU_DEP_1)
	v_add_co_ci_u32_e64 v22, s0, v20, v22, s0
	global_store_b128 v[21:22], v[12:15], off
.LBB1180_5:
	s_or_b32 exec_lo, exec_lo, s1
	v_add_nc_u32_e32 v12, 16, v16
	s_delay_alu instid0(VALU_DEP_1) | instskip(NEXT) | instid1(VALU_DEP_1)
	v_cmp_le_i32_e64 s0, v12, v18
	s_and_b32 s1, vcc_lo, s0
	s_delay_alu instid0(SALU_CYCLE_1)
	s_and_saveexec_b32 s0, s1
	s_cbranch_execz .LBB1180_7
; %bb.6:
	v_ashrrev_i32_e32 v13, 31, v12
	v_xor_b32_e32 v9, 0x80000000, v9
	v_xor_b32_e32 v11, 0x80000000, v11
	s_delay_alu instid0(VALU_DEP_3) | instskip(NEXT) | instid1(VALU_DEP_1)
	v_lshlrev_b64 v[13:14], 4, v[12:13]
	v_add_co_u32 v13, vcc_lo, v19, v13
	s_delay_alu instid0(VALU_DEP_2)
	v_add_co_ci_u32_e32 v14, vcc_lo, v20, v14, vcc_lo
	global_store_b128 v[13:14], v[8:11], off
.LBB1180_7:
	s_or_b32 exec_lo, exec_lo, s0
	v_add_nc_u32_e32 v10, 16, v18
	s_delay_alu instid0(VALU_DEP_1) | instskip(SKIP_3) | instid1(VALU_DEP_4)
	v_ashrrev_i32_e32 v11, 31, v10
	v_mul_lo_u32 v13, v10, s5
	v_mad_u64_u32 v[8:9], null, v10, s4, 0
	v_cmp_gt_i32_e32 vcc_lo, s2, v10
	v_mul_lo_u32 v11, v11, s4
	v_cmp_le_i32_e64 s0, v16, v10
	s_delay_alu instid0(VALU_DEP_1) | instskip(NEXT) | instid1(VALU_DEP_2)
	s_and_b32 s0, vcc_lo, s0
	v_add3_u32 v9, v9, v13, v11
	s_delay_alu instid0(VALU_DEP_1) | instskip(NEXT) | instid1(VALU_DEP_1)
	v_lshlrev_b64 v[8:9], 4, v[8:9]
	v_add_co_u32 v8, s1, s3, v8
	s_delay_alu instid0(VALU_DEP_1)
	v_add_co_ci_u32_e64 v9, s1, s6, v9, s1
	s_and_saveexec_b32 s1, s0
	s_cbranch_execz .LBB1180_9
; %bb.8:
	v_ashrrev_i32_e32 v17, 31, v16
	v_xor_b32_e32 v5, 0x80000000, v5
	v_xor_b32_e32 v7, 0x80000000, v7
	s_delay_alu instid0(VALU_DEP_3) | instskip(NEXT) | instid1(VALU_DEP_1)
	v_lshlrev_b64 v[13:14], 4, v[16:17]
	v_add_co_u32 v13, s0, v8, v13
	s_delay_alu instid0(VALU_DEP_1)
	v_add_co_ci_u32_e64 v14, s0, v9, v14, s0
	global_store_b128 v[13:14], v[4:7], off
.LBB1180_9:
	s_or_b32 exec_lo, exec_lo, s1
	v_cmp_le_i32_e64 s0, v12, v10
	s_delay_alu instid0(VALU_DEP_1) | instskip(NEXT) | instid1(SALU_CYCLE_1)
	s_and_b32 s0, vcc_lo, s0
	s_and_saveexec_b32 s1, s0
	s_cbranch_execz .LBB1180_11
; %bb.10:
	v_ashrrev_i32_e32 v13, 31, v12
	v_xor_b32_e32 v1, 0x80000000, v1
	v_xor_b32_e32 v3, 0x80000000, v3
	s_delay_alu instid0(VALU_DEP_3) | instskip(NEXT) | instid1(VALU_DEP_1)
	v_lshlrev_b64 v[4:5], 4, v[12:13]
	v_add_co_u32 v4, vcc_lo, v8, v4
	s_delay_alu instid0(VALU_DEP_2)
	v_add_co_ci_u32_e32 v5, vcc_lo, v9, v5, vcc_lo
	global_store_b128 v[4:5], v[0:3], off
.LBB1180_11:
	s_nop 0
	s_sendmsg sendmsg(MSG_DEALLOC_VGPRS)
	s_endpgm
	.section	.rodata,"a",@progbits
	.p2align	6, 0x0
	.amdhsa_kernel _ZL37rocblas_syrkx_herkx_restricted_kernelIl19rocblas_complex_numIdELi16ELi32ELi8ELin1ELi0ELb0ELc78ELc85EKS1_S1_EviT_PT9_S3_lS5_S3_lPT10_S3_li
		.amdhsa_group_segment_fixed_size 8192
		.amdhsa_private_segment_fixed_size 0
		.amdhsa_kernarg_size 92
		.amdhsa_user_sgpr_count 13
		.amdhsa_user_sgpr_dispatch_ptr 0
		.amdhsa_user_sgpr_queue_ptr 0
		.amdhsa_user_sgpr_kernarg_segment_ptr 1
		.amdhsa_user_sgpr_dispatch_id 0
		.amdhsa_user_sgpr_private_segment_size 0
		.amdhsa_wavefront_size32 1
		.amdhsa_uses_dynamic_stack 0
		.amdhsa_enable_private_segment 0
		.amdhsa_system_sgpr_workgroup_id_x 1
		.amdhsa_system_sgpr_workgroup_id_y 1
		.amdhsa_system_sgpr_workgroup_id_z 1
		.amdhsa_system_sgpr_workgroup_info 0
		.amdhsa_system_vgpr_workitem_id 1
		.amdhsa_next_free_vgpr 118
		.amdhsa_next_free_sgpr 32
		.amdhsa_reserve_vcc 1
		.amdhsa_float_round_mode_32 0
		.amdhsa_float_round_mode_16_64 0
		.amdhsa_float_denorm_mode_32 3
		.amdhsa_float_denorm_mode_16_64 3
		.amdhsa_dx10_clamp 1
		.amdhsa_ieee_mode 1
		.amdhsa_fp16_overflow 0
		.amdhsa_workgroup_processor_mode 1
		.amdhsa_memory_ordered 1
		.amdhsa_forward_progress 0
		.amdhsa_shared_vgpr_count 0
		.amdhsa_exception_fp_ieee_invalid_op 0
		.amdhsa_exception_fp_denorm_src 0
		.amdhsa_exception_fp_ieee_div_zero 0
		.amdhsa_exception_fp_ieee_overflow 0
		.amdhsa_exception_fp_ieee_underflow 0
		.amdhsa_exception_fp_ieee_inexact 0
		.amdhsa_exception_int_div_zero 0
	.end_amdhsa_kernel
	.section	.text._ZL37rocblas_syrkx_herkx_restricted_kernelIl19rocblas_complex_numIdELi16ELi32ELi8ELin1ELi0ELb0ELc78ELc85EKS1_S1_EviT_PT9_S3_lS5_S3_lPT10_S3_li,"axG",@progbits,_ZL37rocblas_syrkx_herkx_restricted_kernelIl19rocblas_complex_numIdELi16ELi32ELi8ELin1ELi0ELb0ELc78ELc85EKS1_S1_EviT_PT9_S3_lS5_S3_lPT10_S3_li,comdat
.Lfunc_end1180:
	.size	_ZL37rocblas_syrkx_herkx_restricted_kernelIl19rocblas_complex_numIdELi16ELi32ELi8ELin1ELi0ELb0ELc78ELc85EKS1_S1_EviT_PT9_S3_lS5_S3_lPT10_S3_li, .Lfunc_end1180-_ZL37rocblas_syrkx_herkx_restricted_kernelIl19rocblas_complex_numIdELi16ELi32ELi8ELin1ELi0ELb0ELc78ELc85EKS1_S1_EviT_PT9_S3_lS5_S3_lPT10_S3_li
                                        ; -- End function
	.section	.AMDGPU.csdata,"",@progbits
; Kernel info:
; codeLenInByte = 3020
; NumSgprs: 34
; NumVgprs: 118
; ScratchSize: 0
; MemoryBound: 0
; FloatMode: 240
; IeeeMode: 1
; LDSByteSize: 8192 bytes/workgroup (compile time only)
; SGPRBlocks: 4
; VGPRBlocks: 14
; NumSGPRsForWavesPerEU: 34
; NumVGPRsForWavesPerEU: 118
; Occupancy: 12
; WaveLimiterHint : 1
; COMPUTE_PGM_RSRC2:SCRATCH_EN: 0
; COMPUTE_PGM_RSRC2:USER_SGPR: 13
; COMPUTE_PGM_RSRC2:TRAP_HANDLER: 0
; COMPUTE_PGM_RSRC2:TGID_X_EN: 1
; COMPUTE_PGM_RSRC2:TGID_Y_EN: 1
; COMPUTE_PGM_RSRC2:TGID_Z_EN: 1
; COMPUTE_PGM_RSRC2:TIDIG_COMP_CNT: 1
	.section	.text._ZL37rocblas_syrkx_herkx_restricted_kernelIl19rocblas_complex_numIdELi16ELi32ELi8ELb1ELb0ELc84ELc76EKS1_S1_EviT_T0_PT8_S3_lS6_S3_lS4_PT9_S3_li,"axG",@progbits,_ZL37rocblas_syrkx_herkx_restricted_kernelIl19rocblas_complex_numIdELi16ELi32ELi8ELb1ELb0ELc84ELc76EKS1_S1_EviT_T0_PT8_S3_lS6_S3_lS4_PT9_S3_li,comdat
	.globl	_ZL37rocblas_syrkx_herkx_restricted_kernelIl19rocblas_complex_numIdELi16ELi32ELi8ELb1ELb0ELc84ELc76EKS1_S1_EviT_T0_PT8_S3_lS6_S3_lS4_PT9_S3_li ; -- Begin function _ZL37rocblas_syrkx_herkx_restricted_kernelIl19rocblas_complex_numIdELi16ELi32ELi8ELb1ELb0ELc84ELc76EKS1_S1_EviT_T0_PT8_S3_lS6_S3_lS4_PT9_S3_li
	.p2align	8
	.type	_ZL37rocblas_syrkx_herkx_restricted_kernelIl19rocblas_complex_numIdELi16ELi32ELi8ELb1ELb0ELc84ELc76EKS1_S1_EviT_T0_PT8_S3_lS6_S3_lS4_PT9_S3_li,@function
_ZL37rocblas_syrkx_herkx_restricted_kernelIl19rocblas_complex_numIdELi16ELi32ELi8ELb1ELb0ELc84ELc76EKS1_S1_EviT_T0_PT8_S3_lS6_S3_lS4_PT9_S3_li: ; @_ZL37rocblas_syrkx_herkx_restricted_kernelIl19rocblas_complex_numIdELi16ELi32ELi8ELb1ELb0ELc84ELc76EKS1_S1_EviT_T0_PT8_S3_lS6_S3_lS4_PT9_S3_li
; %bb.0:
	s_load_b512 s[16:31], s[0:1], 0x8
	v_mov_b32_e32 v16, 0
	v_dual_mov_b32 v17, 0 :: v_dual_and_b32 v20, 0x3ff, v0
	v_bfe_u32 v21, v0, 10, 10
	s_delay_alu instid0(VALU_DEP_3) | instskip(NEXT) | instid1(VALU_DEP_3)
	v_mov_b32_e32 v12, v16
	v_dual_mov_b32 v14, v16 :: v_dual_mov_b32 v15, v17
	v_dual_mov_b32 v19, v17 :: v_dual_mov_b32 v18, v16
	;; [unrolled: 1-line block ×6, first 2 shown]
	v_mov_b32_e32 v5, v17
	s_lshl_b32 s8, s13, 5
	s_waitcnt lgkmcnt(0)
	v_cmp_lt_i64_e64 s2, s[16:17], 1
	s_lshl_b32 s9, s14, 5
	s_delay_alu instid0(VALU_DEP_1)
	s_and_b32 vcc_lo, exec_lo, s2
	s_cbranch_vccnz .LBB1181_3
; %bb.1:
	v_lshl_add_u32 v2, v21, 4, v20
	v_dual_mov_b32 v1, 0 :: v_dual_and_b32 v0, 7, v20
	s_load_b64 s[2:3], s[0:1], 0x48
	v_lshlrev_b32_e32 v22, 4, v20
	s_delay_alu instid0(VALU_DEP_3)
	v_and_b32_e32 v8, 31, v2
	v_lshrrev_b32_e32 v9, 3, v2
	v_lshrrev_b32_e32 v2, 5, v2
	v_mov_b32_e32 v3, v1
	v_lshlrev_b32_e32 v11, 4, v0
	v_add_nc_u32_e32 v6, s8, v8
	v_add_nc_u32_e32 v10, s9, v9
	s_mul_i32 s5, s27, s15
	s_mul_hi_u32 s6, s26, s15
	s_mul_i32 s4, s26, s15
	v_ashrrev_i32_e32 v7, 31, v6
	v_ashrrev_i32_e32 v12, 31, v10
	v_mad_u64_u32 v[4:5], null, s24, v6, v[2:3]
	v_mul_lo_u32 v3, s25, v6
	s_delay_alu instid0(VALU_DEP_4)
	v_mul_lo_u32 v13, s24, v7
	v_mul_lo_u32 v14, v10, s31
	v_mad_u64_u32 v[6:7], null, v10, s30, v[0:1]
	v_mul_lo_u32 v0, v12, s30
	v_lshlrev_b32_e32 v1, 4, v8
	s_add_i32 s5, s6, s5
	s_waitcnt lgkmcnt(0)
	s_mul_i32 s3, s3, s15
	v_add3_u32 v5, v3, v5, v13
	s_lshl_b64 s[4:5], s[4:5], 4
	v_lshl_or_b32 v23, v2, 9, v1
	s_mul_hi_u32 s6, s2, s15
	v_add3_u32 v7, v0, v7, v14
	v_lshlrev_b64 v[0:1], 4, v[4:5]
	s_add_u32 s4, s22, s4
	s_addc_u32 s5, s23, s5
	s_add_i32 s3, s6, s3
	s_mul_i32 s2, s2, s15
	v_lshlrev_b64 v[2:3], 4, v[6:7]
	s_lshl_b64 s[2:3], s[2:3], 4
	v_add_co_u32 v0, vcc_lo, s4, v0
	s_add_u32 s2, s28, s2
	v_add_co_ci_u32_e32 v1, vcc_lo, s5, v1, vcc_lo
	v_mov_b32_e32 v4, 0
	v_lshl_or_b32 v8, v9, 7, v11
	s_addc_u32 s3, s29, s3
	v_add_co_u32 v2, vcc_lo, s2, v2
	v_mov_b32_e32 v5, 0
	v_add_co_ci_u32_e32 v3, vcc_lo, s3, v3, vcc_lo
	v_add_co_u32 v0, vcc_lo, v0, 8
	s_delay_alu instid0(VALU_DEP_3)
	v_dual_mov_b32 v9, v5 :: v_dual_add_nc_u32 v24, 0x1000, v8
	v_add_co_ci_u32_e32 v1, vcc_lo, 0, v1, vcc_lo
	v_mov_b32_e32 v11, v5
	v_add_co_u32 v2, vcc_lo, v2, 8
	v_dual_mov_b32 v10, v4 :: v_dual_mov_b32 v15, v5
	v_dual_mov_b32 v8, v4 :: v_dual_mov_b32 v13, v5
	;; [unrolled: 1-line block ×4, first 2 shown]
	v_mov_b32_e32 v17, v5
	v_lshl_add_u32 v25, v21, 7, 0x1000
	v_add_co_ci_u32_e32 v3, vcc_lo, 0, v3, vcc_lo
	v_mov_b32_e32 v6, v4
	v_mov_b32_e32 v18, v4
	;; [unrolled: 1-line block ×3, first 2 shown]
	s_mov_b64 s[2:3], 0
.LBB1181_2:                             ; =>This Inner Loop Header: Depth=1
	global_load_b128 v[26:29], v[0:1], off offset:-8
	global_load_b128 v[30:33], v[2:3], off offset:-8
	s_add_u32 s2, s2, 8
	v_add_co_u32 v0, vcc_lo, 0x80, v0
	s_addc_u32 s3, s3, 0
	v_add_co_ci_u32_e32 v1, vcc_lo, 0, v1, vcc_lo
	v_cmp_ge_u64_e64 s4, s[2:3], s[16:17]
	v_add_co_u32 v2, vcc_lo, 0x80, v2
	v_add_co_ci_u32_e32 v3, vcc_lo, 0, v3, vcc_lo
	s_waitcnt vmcnt(1)
	ds_store_b128 v23, v[26:29]
	s_waitcnt vmcnt(0)
	ds_store_b128 v24, v[30:33]
	s_waitcnt lgkmcnt(0)
	s_barrier
	buffer_gl0_inv
	ds_load_b128 v[26:29], v25
	ds_load_b128 v[30:33], v22
	ds_load_b128 v[34:37], v22 offset:256
	ds_load_b128 v[38:41], v25 offset:2048
	;; [unrolled: 1-line block ×13, first 2 shown]
	s_and_b32 vcc_lo, exec_lo, s4
	s_waitcnt lgkmcnt(13)
	v_mul_f64 v[86:87], v[28:29], v[32:33]
	v_mul_f64 v[88:89], v[26:27], v[32:33]
	s_waitcnt lgkmcnt(12)
	v_mul_f64 v[90:91], v[28:29], v[36:37]
	v_mul_f64 v[92:93], v[26:27], v[36:37]
	;; [unrolled: 3-line block ×3, first 2 shown]
	v_mul_f64 v[96:97], v[40:41], v[36:37]
	v_mul_f64 v[36:37], v[38:39], v[36:37]
	s_waitcnt lgkmcnt(8)
	v_mul_f64 v[98:99], v[44:45], v[52:53]
	v_mul_f64 v[100:101], v[42:43], v[52:53]
	s_waitcnt lgkmcnt(7)
	v_mul_f64 v[102:103], v[44:45], v[56:57]
	v_mul_f64 v[104:105], v[42:43], v[56:57]
	;; [unrolled: 1-line block ×6, first 2 shown]
	s_waitcnt lgkmcnt(3)
	v_mul_f64 v[112:113], v[58:59], v[72:73]
	s_waitcnt lgkmcnt(2)
	v_mul_f64 v[114:115], v[76:77], v[68:69]
	v_mul_f64 v[116:117], v[76:77], v[72:73]
	v_fma_f64 v[86:87], v[26:27], v[30:31], -v[86:87]
	v_fma_f64 v[88:89], v[28:29], v[30:31], v[88:89]
	v_fma_f64 v[90:91], v[26:27], v[34:35], -v[90:91]
	v_fma_f64 v[92:93], v[28:29], v[34:35], v[92:93]
	;; [unrolled: 2-line block ×4, first 2 shown]
	v_mul_f64 v[36:37], v[60:61], v[68:69]
	v_mul_f64 v[40:41], v[58:59], v[68:69]
	;; [unrolled: 1-line block ×5, first 2 shown]
	v_fma_f64 v[98:99], v[42:43], v[50:51], -v[98:99]
	v_fma_f64 v[100:101], v[44:45], v[50:51], v[100:101]
	v_fma_f64 v[42:43], v[42:43], v[54:55], -v[102:103]
	v_fma_f64 v[44:45], v[44:45], v[54:55], v[104:105]
	;; [unrolled: 2-line block ×4, first 2 shown]
	ds_load_b128 v[26:29], v22 offset:1792
	ds_load_b128 v[30:33], v22 offset:2048
	s_waitcnt lgkmcnt(2)
	v_mul_f64 v[56:57], v[64:65], v[84:85]
	v_add_f64 v[16:17], v[16:17], v[86:87]
	v_add_f64 v[18:19], v[18:19], v[88:89]
	;; [unrolled: 1-line block ×8, first 2 shown]
	v_mul_f64 v[86:87], v[62:63], v[84:85]
	s_waitcnt lgkmcnt(1)
	v_mul_f64 v[88:89], v[64:65], v[28:29]
	v_mul_f64 v[90:91], v[62:63], v[28:29]
	;; [unrolled: 1-line block ×6, first 2 shown]
	v_fma_f64 v[104:105], v[58:59], v[66:67], -v[36:37]
	v_fma_f64 v[106:107], v[60:61], v[66:67], v[40:41]
	v_fma_f64 v[58:59], v[58:59], v[70:71], -v[96:97]
	v_fma_f64 v[60:61], v[60:61], v[70:71], v[112:113]
	;; [unrolled: 2-line block ×4, first 2 shown]
	ds_load_b128 v[4:7], v22 offset:2304
	ds_load_b128 v[8:11], v25 offset:64
	v_fma_f64 v[56:57], v[62:63], v[82:83], -v[56:57]
	v_add_f64 v[72:73], v[16:17], v[98:99]
	v_add_f64 v[74:75], v[18:19], v[100:101]
	;; [unrolled: 1-line block ×8, first 2 shown]
	ds_load_b128 v[12:15], v25 offset:2112
	ds_load_b128 v[16:19], v25 offset:80
	;; [unrolled: 1-line block ×4, first 2 shown]
	s_waitcnt lgkmcnt(4)
	v_mul_f64 v[54:55], v[10:11], v[32:33]
	v_mul_f64 v[76:77], v[8:9], v[32:33]
	;; [unrolled: 1-line block ×4, first 2 shown]
	v_fma_f64 v[86:87], v[64:65], v[82:83], v[86:87]
	v_fma_f64 v[62:63], v[62:63], v[26:27], -v[88:89]
	v_fma_f64 v[64:65], v[64:65], v[26:27], v[90:91]
	v_fma_f64 v[88:89], v[78:79], v[82:83], -v[92:93]
	;; [unrolled: 2-line block ×3, first 2 shown]
	v_fma_f64 v[80:81], v[80:81], v[26:27], v[28:29]
	s_waitcnt lgkmcnt(3)
	v_mul_f64 v[102:103], v[14:15], v[32:33]
	v_mul_f64 v[32:33], v[12:13], v[32:33]
	;; [unrolled: 1-line block ×4, first 2 shown]
	s_waitcnt lgkmcnt(0)
	v_mul_f64 v[90:91], v[18:19], v[40:41]
	v_mul_f64 v[92:93], v[16:17], v[40:41]
	v_add_f64 v[72:73], v[72:73], v[104:105]
	v_add_f64 v[74:75], v[74:75], v[106:107]
	;; [unrolled: 1-line block ×8, first 2 shown]
	ds_load_b128 v[26:29], v22 offset:2816
	ds_load_b128 v[42:45], v22 offset:3072
	;; [unrolled: 1-line block ×4, first 2 shown]
	v_mul_f64 v[104:105], v[36:37], v[40:41]
	v_mul_f64 v[40:41], v[34:35], v[40:41]
	v_fma_f64 v[54:55], v[8:9], v[30:31], -v[54:55]
	v_fma_f64 v[76:77], v[10:11], v[30:31], v[76:77]
	v_fma_f64 v[98:99], v[8:9], v[4:5], -v[98:99]
	v_fma_f64 v[100:101], v[10:11], v[4:5], v[100:101]
	s_waitcnt lgkmcnt(3)
	v_mul_f64 v[94:95], v[18:19], v[28:29]
	v_mul_f64 v[96:97], v[16:17], v[28:29]
	;; [unrolled: 1-line block ×4, first 2 shown]
	v_fma_f64 v[102:103], v[12:13], v[30:31], -v[102:103]
	v_fma_f64 v[32:33], v[14:15], v[30:31], v[32:33]
	v_fma_f64 v[108:109], v[12:13], v[4:5], -v[108:109]
	v_fma_f64 v[112:113], v[14:15], v[4:5], v[6:7]
	ds_load_b128 v[4:7], v25 offset:2144
	ds_load_b128 v[8:11], v25 offset:112
	;; [unrolled: 1-line block ×4, first 2 shown]
	v_add_f64 v[56:57], v[72:73], v[56:57]
	v_add_f64 v[72:73], v[74:75], v[86:87]
	;; [unrolled: 1-line block ×8, first 2 shown]
	s_waitcnt lgkmcnt(4)
	v_mul_f64 v[70:71], v[52:53], v[44:45]
	v_mul_f64 v[74:75], v[50:51], v[44:45]
	;; [unrolled: 1-line block ×4, first 2 shown]
	s_waitcnt lgkmcnt(3)
	v_mul_f64 v[82:83], v[6:7], v[44:45]
	v_mul_f64 v[44:45], v[4:5], v[44:45]
	;; [unrolled: 1-line block ×4, first 2 shown]
	v_fma_f64 v[86:87], v[16:17], v[38:39], -v[90:91]
	v_fma_f64 v[88:89], v[18:19], v[38:39], v[92:93]
	v_fma_f64 v[90:91], v[16:17], v[26:27], -v[94:95]
	v_fma_f64 v[92:93], v[18:19], v[26:27], v[96:97]
	;; [unrolled: 2-line block ×4, first 2 shown]
	ds_load_b128 v[16:19], v22 offset:3840
	s_waitcnt lgkmcnt(0)
	s_barrier
	buffer_gl0_inv
	v_add_f64 v[36:37], v[56:57], v[54:55]
	v_add_f64 v[40:41], v[72:73], v[76:77]
	;; [unrolled: 1-line block ×8, first 2 shown]
	v_mul_f64 v[64:65], v[10:11], v[30:31]
	v_mul_f64 v[66:67], v[8:9], v[30:31]
	;; [unrolled: 1-line block ×4, first 2 shown]
	v_fma_f64 v[70:71], v[50:51], v[42:43], -v[70:71]
	v_mul_f64 v[68:69], v[10:11], v[18:19]
	v_mul_f64 v[72:73], v[8:9], v[18:19]
	;; [unrolled: 1-line block ×4, first 2 shown]
	v_fma_f64 v[74:75], v[52:53], v[42:43], v[74:75]
	v_fma_f64 v[50:51], v[50:51], v[46:47], -v[78:79]
	v_fma_f64 v[52:53], v[52:53], v[46:47], v[80:81]
	v_fma_f64 v[78:79], v[4:5], v[42:43], -v[82:83]
	;; [unrolled: 2-line block ×3, first 2 shown]
	v_fma_f64 v[6:7], v[6:7], v[46:47], v[48:49]
	v_add_f64 v[36:37], v[36:37], v[86:87]
	v_add_f64 v[40:41], v[40:41], v[88:89]
	;; [unrolled: 1-line block ×8, first 2 shown]
	v_fma_f64 v[38:39], v[8:9], v[28:29], -v[64:65]
	v_fma_f64 v[54:55], v[10:11], v[28:29], v[66:67]
	v_fma_f64 v[56:57], v[12:13], v[28:29], -v[76:77]
	v_fma_f64 v[28:29], v[14:15], v[28:29], v[30:31]
	;; [unrolled: 2-line block ×4, first 2 shown]
	v_add_f64 v[12:13], v[36:37], v[70:71]
	v_add_f64 v[14:15], v[40:41], v[74:75]
	;; [unrolled: 1-line block ×16, first 2 shown]
	s_cbranch_vccz .LBB1181_2
.LBB1181_3:
	s_load_b128 s[4:7], s[0:1], 0x60
	v_add_nc_u32_e32 v21, s9, v21
	s_clause 0x1
	s_load_b32 s9, s[0:1], 0x0
	s_load_b64 s[2:3], s[0:1], 0x70
	s_delay_alu instid0(VALU_DEP_1) | instskip(SKIP_1) | instid1(VALU_DEP_1)
	v_ashrrev_i32_e32 v0, 31, v21
	s_waitcnt lgkmcnt(0)
	v_mul_lo_u32 v3, v0, s6
	v_mul_lo_u32 v22, v21, s7
	v_mad_u64_u32 v[1:2], null, v21, s6, 0
	s_mul_i32 s1, s15, s3
	s_mul_hi_u32 s3, s15, s2
	s_mul_i32 s2, s15, s2
	s_add_i32 s3, s3, s1
	v_add_nc_u32_e32 v0, s8, v20
	s_lshl_b64 s[2:3], s[2:3], 4
	s_delay_alu instid0(VALU_DEP_2)
	v_add3_u32 v2, v2, v22, v3
	s_add_u32 s2, s4, s2
	s_addc_u32 s3, s5, s3
	v_cmp_le_i32_e64 s0, v21, v0
	v_cmp_gt_i32_e32 vcc_lo, s9, v0
	v_lshlrev_b64 v[1:2], 4, v[1:2]
	s_delay_alu instid0(VALU_DEP_3) | instskip(NEXT) | instid1(VALU_DEP_1)
	s_and_b32 s0, s0, vcc_lo
	v_add_co_u32 v20, s1, s2, v1
	s_delay_alu instid0(VALU_DEP_1)
	v_add_co_ci_u32_e64 v22, s1, s3, v2, s1
	s_and_saveexec_b32 s1, s0
	s_cbranch_execz .LBB1181_5
; %bb.4:
	v_mul_f64 v[1:2], s[20:21], v[18:19]
	v_mul_f64 v[18:19], s[18:19], v[18:19]
	s_delay_alu instid0(VALU_DEP_2) | instskip(NEXT) | instid1(VALU_DEP_2)
	v_fma_f64 v[23:24], s[18:19], v[16:17], -v[1:2]
	v_fma_f64 v[25:26], s[20:21], v[16:17], v[18:19]
	v_ashrrev_i32_e32 v1, 31, v0
	s_delay_alu instid0(VALU_DEP_1) | instskip(NEXT) | instid1(VALU_DEP_1)
	v_lshlrev_b64 v[1:2], 4, v[0:1]
	v_add_co_u32 v1, s0, v20, v1
	s_delay_alu instid0(VALU_DEP_1)
	v_add_co_ci_u32_e64 v2, s0, v22, v2, s0
	global_store_b128 v[1:2], v[23:26], off
.LBB1181_5:
	s_or_b32 exec_lo, exec_lo, s1
	v_add_nc_u32_e32 v2, 16, v0
	s_delay_alu instid0(VALU_DEP_1) | instskip(SKIP_1) | instid1(VALU_DEP_1)
	v_cmp_le_i32_e64 s1, v21, v2
	v_cmp_gt_i32_e64 s0, s9, v2
	s_and_b32 s1, s1, s0
	s_delay_alu instid0(SALU_CYCLE_1)
	s_and_saveexec_b32 s4, s1
	s_cbranch_execz .LBB1181_7
; %bb.6:
	v_mul_f64 v[16:17], s[20:21], v[14:15]
	v_mul_f64 v[18:19], s[18:19], v[14:15]
	v_ashrrev_i32_e32 v3, 31, v2
	s_delay_alu instid0(VALU_DEP_3) | instskip(NEXT) | instid1(VALU_DEP_3)
	v_fma_f64 v[14:15], s[18:19], v[12:13], -v[16:17]
	v_fma_f64 v[16:17], s[20:21], v[12:13], v[18:19]
	s_delay_alu instid0(VALU_DEP_3) | instskip(NEXT) | instid1(VALU_DEP_1)
	v_lshlrev_b64 v[12:13], 4, v[2:3]
	v_add_co_u32 v12, s1, v20, v12
	s_delay_alu instid0(VALU_DEP_1)
	v_add_co_ci_u32_e64 v13, s1, v22, v13, s1
	global_store_b128 v[12:13], v[14:17], off
.LBB1181_7:
	s_or_b32 exec_lo, exec_lo, s4
	v_add_nc_u32_e32 v3, 16, v21
	s_delay_alu instid0(VALU_DEP_1) | instskip(SKIP_3) | instid1(VALU_DEP_4)
	v_ashrrev_i32_e32 v1, 31, v3
	v_mul_lo_u32 v14, v3, s7
	v_mad_u64_u32 v[12:13], null, v3, s6, 0
	v_cmp_le_i32_e64 s1, v3, v0
	v_mul_lo_u32 v1, v1, s6
	s_delay_alu instid0(VALU_DEP_1) | instskip(NEXT) | instid1(VALU_DEP_1)
	v_add3_u32 v13, v13, v14, v1
	v_lshlrev_b64 v[12:13], 4, v[12:13]
	s_delay_alu instid0(VALU_DEP_1) | instskip(NEXT) | instid1(VALU_DEP_1)
	v_add_co_u32 v12, s2, s2, v12
	v_add_co_ci_u32_e64 v13, s2, s3, v13, s2
	s_and_b32 s2, s1, vcc_lo
	s_delay_alu instid0(SALU_CYCLE_1)
	s_and_saveexec_b32 s1, s2
	s_cbranch_execz .LBB1181_9
; %bb.8:
	v_mul_f64 v[14:15], s[20:21], v[10:11]
	v_mul_f64 v[10:11], s[18:19], v[10:11]
	v_ashrrev_i32_e32 v1, 31, v0
	s_delay_alu instid0(VALU_DEP_1) | instskip(NEXT) | instid1(VALU_DEP_1)
	v_lshlrev_b64 v[0:1], 4, v[0:1]
	v_add_co_u32 v0, vcc_lo, v12, v0
	s_delay_alu instid0(VALU_DEP_2)
	v_add_co_ci_u32_e32 v1, vcc_lo, v13, v1, vcc_lo
	v_fma_f64 v[14:15], s[18:19], v[8:9], -v[14:15]
	v_fma_f64 v[16:17], s[20:21], v[8:9], v[10:11]
	global_store_b128 v[0:1], v[14:17], off
.LBB1181_9:
	s_or_b32 exec_lo, exec_lo, s1
	v_cmp_le_i32_e32 vcc_lo, v3, v2
	s_and_b32 s0, vcc_lo, s0
	s_delay_alu instid0(SALU_CYCLE_1)
	s_and_saveexec_b32 s1, s0
	s_cbranch_execz .LBB1181_11
; %bb.10:
	v_mul_f64 v[0:1], s[20:21], v[4:5]
	v_mul_f64 v[8:9], s[18:19], v[4:5]
	v_ashrrev_i32_e32 v3, 31, v2
	s_delay_alu instid0(VALU_DEP_3) | instskip(NEXT) | instid1(VALU_DEP_3)
	v_fma_f64 v[4:5], s[18:19], v[6:7], -v[0:1]
	v_fma_f64 v[6:7], s[20:21], v[6:7], v[8:9]
	s_delay_alu instid0(VALU_DEP_3) | instskip(NEXT) | instid1(VALU_DEP_1)
	v_lshlrev_b64 v[0:1], 4, v[2:3]
	v_add_co_u32 v0, vcc_lo, v12, v0
	s_delay_alu instid0(VALU_DEP_2)
	v_add_co_ci_u32_e32 v1, vcc_lo, v13, v1, vcc_lo
	global_store_b128 v[0:1], v[4:7], off
.LBB1181_11:
	s_nop 0
	s_sendmsg sendmsg(MSG_DEALLOC_VGPRS)
	s_endpgm
	.section	.rodata,"a",@progbits
	.p2align	6, 0x0
	.amdhsa_kernel _ZL37rocblas_syrkx_herkx_restricted_kernelIl19rocblas_complex_numIdELi16ELi32ELi8ELb1ELb0ELc84ELc76EKS1_S1_EviT_T0_PT8_S3_lS6_S3_lS4_PT9_S3_li
		.amdhsa_group_segment_fixed_size 8192
		.amdhsa_private_segment_fixed_size 0
		.amdhsa_kernarg_size 124
		.amdhsa_user_sgpr_count 13
		.amdhsa_user_sgpr_dispatch_ptr 0
		.amdhsa_user_sgpr_queue_ptr 0
		.amdhsa_user_sgpr_kernarg_segment_ptr 1
		.amdhsa_user_sgpr_dispatch_id 0
		.amdhsa_user_sgpr_private_segment_size 0
		.amdhsa_wavefront_size32 1
		.amdhsa_uses_dynamic_stack 0
		.amdhsa_enable_private_segment 0
		.amdhsa_system_sgpr_workgroup_id_x 1
		.amdhsa_system_sgpr_workgroup_id_y 1
		.amdhsa_system_sgpr_workgroup_id_z 1
		.amdhsa_system_sgpr_workgroup_info 0
		.amdhsa_system_vgpr_workitem_id 1
		.amdhsa_next_free_vgpr 118
		.amdhsa_next_free_sgpr 32
		.amdhsa_reserve_vcc 1
		.amdhsa_float_round_mode_32 0
		.amdhsa_float_round_mode_16_64 0
		.amdhsa_float_denorm_mode_32 3
		.amdhsa_float_denorm_mode_16_64 3
		.amdhsa_dx10_clamp 1
		.amdhsa_ieee_mode 1
		.amdhsa_fp16_overflow 0
		.amdhsa_workgroup_processor_mode 1
		.amdhsa_memory_ordered 1
		.amdhsa_forward_progress 0
		.amdhsa_shared_vgpr_count 0
		.amdhsa_exception_fp_ieee_invalid_op 0
		.amdhsa_exception_fp_denorm_src 0
		.amdhsa_exception_fp_ieee_div_zero 0
		.amdhsa_exception_fp_ieee_overflow 0
		.amdhsa_exception_fp_ieee_underflow 0
		.amdhsa_exception_fp_ieee_inexact 0
		.amdhsa_exception_int_div_zero 0
	.end_amdhsa_kernel
	.section	.text._ZL37rocblas_syrkx_herkx_restricted_kernelIl19rocblas_complex_numIdELi16ELi32ELi8ELb1ELb0ELc84ELc76EKS1_S1_EviT_T0_PT8_S3_lS6_S3_lS4_PT9_S3_li,"axG",@progbits,_ZL37rocblas_syrkx_herkx_restricted_kernelIl19rocblas_complex_numIdELi16ELi32ELi8ELb1ELb0ELc84ELc76EKS1_S1_EviT_T0_PT8_S3_lS6_S3_lS4_PT9_S3_li,comdat
.Lfunc_end1181:
	.size	_ZL37rocblas_syrkx_herkx_restricted_kernelIl19rocblas_complex_numIdELi16ELi32ELi8ELb1ELb0ELc84ELc76EKS1_S1_EviT_T0_PT8_S3_lS6_S3_lS4_PT9_S3_li, .Lfunc_end1181-_ZL37rocblas_syrkx_herkx_restricted_kernelIl19rocblas_complex_numIdELi16ELi32ELi8ELb1ELb0ELc84ELc76EKS1_S1_EviT_T0_PT8_S3_lS6_S3_lS4_PT9_S3_li
                                        ; -- End function
	.section	.AMDGPU.csdata,"",@progbits
; Kernel info:
; codeLenInByte = 3136
; NumSgprs: 34
; NumVgprs: 118
; ScratchSize: 0
; MemoryBound: 0
; FloatMode: 240
; IeeeMode: 1
; LDSByteSize: 8192 bytes/workgroup (compile time only)
; SGPRBlocks: 4
; VGPRBlocks: 14
; NumSGPRsForWavesPerEU: 34
; NumVGPRsForWavesPerEU: 118
; Occupancy: 12
; WaveLimiterHint : 1
; COMPUTE_PGM_RSRC2:SCRATCH_EN: 0
; COMPUTE_PGM_RSRC2:USER_SGPR: 13
; COMPUTE_PGM_RSRC2:TRAP_HANDLER: 0
; COMPUTE_PGM_RSRC2:TGID_X_EN: 1
; COMPUTE_PGM_RSRC2:TGID_Y_EN: 1
; COMPUTE_PGM_RSRC2:TGID_Z_EN: 1
; COMPUTE_PGM_RSRC2:TIDIG_COMP_CNT: 1
	.section	.text._ZL37rocblas_syrkx_herkx_restricted_kernelIl19rocblas_complex_numIdELi16ELi32ELi8ELb1ELb0ELc67ELc76EKS1_S1_EviT_T0_PT8_S3_lS6_S3_lS4_PT9_S3_li,"axG",@progbits,_ZL37rocblas_syrkx_herkx_restricted_kernelIl19rocblas_complex_numIdELi16ELi32ELi8ELb1ELb0ELc67ELc76EKS1_S1_EviT_T0_PT8_S3_lS6_S3_lS4_PT9_S3_li,comdat
	.globl	_ZL37rocblas_syrkx_herkx_restricted_kernelIl19rocblas_complex_numIdELi16ELi32ELi8ELb1ELb0ELc67ELc76EKS1_S1_EviT_T0_PT8_S3_lS6_S3_lS4_PT9_S3_li ; -- Begin function _ZL37rocblas_syrkx_herkx_restricted_kernelIl19rocblas_complex_numIdELi16ELi32ELi8ELb1ELb0ELc67ELc76EKS1_S1_EviT_T0_PT8_S3_lS6_S3_lS4_PT9_S3_li
	.p2align	8
	.type	_ZL37rocblas_syrkx_herkx_restricted_kernelIl19rocblas_complex_numIdELi16ELi32ELi8ELb1ELb0ELc67ELc76EKS1_S1_EviT_T0_PT8_S3_lS6_S3_lS4_PT9_S3_li,@function
_ZL37rocblas_syrkx_herkx_restricted_kernelIl19rocblas_complex_numIdELi16ELi32ELi8ELb1ELb0ELc67ELc76EKS1_S1_EviT_T0_PT8_S3_lS6_S3_lS4_PT9_S3_li: ; @_ZL37rocblas_syrkx_herkx_restricted_kernelIl19rocblas_complex_numIdELi16ELi32ELi8ELb1ELb0ELc67ELc76EKS1_S1_EviT_T0_PT8_S3_lS6_S3_lS4_PT9_S3_li
; %bb.0:
	s_load_b512 s[16:31], s[0:1], 0x8
	v_mov_b32_e32 v16, 0
	v_dual_mov_b32 v17, 0 :: v_dual_and_b32 v20, 0x3ff, v0
	v_bfe_u32 v21, v0, 10, 10
	s_delay_alu instid0(VALU_DEP_3) | instskip(NEXT) | instid1(VALU_DEP_3)
	v_mov_b32_e32 v12, v16
	v_dual_mov_b32 v14, v16 :: v_dual_mov_b32 v15, v17
	v_dual_mov_b32 v19, v17 :: v_dual_mov_b32 v18, v16
	;; [unrolled: 1-line block ×6, first 2 shown]
	v_mov_b32_e32 v5, v17
	s_lshl_b32 s8, s13, 5
	s_waitcnt lgkmcnt(0)
	v_cmp_lt_i64_e64 s2, s[16:17], 1
	s_lshl_b32 s9, s14, 5
	s_delay_alu instid0(VALU_DEP_1)
	s_and_b32 vcc_lo, exec_lo, s2
	s_cbranch_vccnz .LBB1182_3
; %bb.1:
	v_lshl_add_u32 v2, v21, 4, v20
	v_dual_mov_b32 v1, 0 :: v_dual_and_b32 v0, 7, v20
	s_load_b64 s[2:3], s[0:1], 0x48
	v_lshlrev_b32_e32 v22, 4, v20
	s_delay_alu instid0(VALU_DEP_3)
	v_and_b32_e32 v8, 31, v2
	v_lshrrev_b32_e32 v9, 3, v2
	v_lshrrev_b32_e32 v2, 5, v2
	v_mov_b32_e32 v3, v1
	v_lshlrev_b32_e32 v11, 4, v0
	v_add_nc_u32_e32 v6, s8, v8
	v_add_nc_u32_e32 v10, s9, v9
	s_mul_i32 s5, s27, s15
	s_mul_hi_u32 s6, s26, s15
	s_mul_i32 s4, s26, s15
	v_ashrrev_i32_e32 v7, 31, v6
	v_ashrrev_i32_e32 v12, 31, v10
	v_mad_u64_u32 v[4:5], null, s24, v6, v[2:3]
	v_mul_lo_u32 v3, s25, v6
	s_delay_alu instid0(VALU_DEP_4)
	v_mul_lo_u32 v13, s24, v7
	v_mul_lo_u32 v14, v10, s31
	v_mad_u64_u32 v[6:7], null, v10, s30, v[0:1]
	v_mul_lo_u32 v0, v12, s30
	v_lshlrev_b32_e32 v1, 4, v8
	s_add_i32 s5, s6, s5
	s_waitcnt lgkmcnt(0)
	s_mul_i32 s3, s3, s15
	v_add3_u32 v5, v3, v5, v13
	s_lshl_b64 s[4:5], s[4:5], 4
	v_lshl_or_b32 v23, v2, 9, v1
	s_mul_hi_u32 s6, s2, s15
	v_add3_u32 v7, v0, v7, v14
	v_lshlrev_b64 v[0:1], 4, v[4:5]
	s_add_u32 s4, s22, s4
	s_addc_u32 s5, s23, s5
	s_add_i32 s3, s6, s3
	s_mul_i32 s2, s2, s15
	v_lshlrev_b64 v[2:3], 4, v[6:7]
	s_lshl_b64 s[2:3], s[2:3], 4
	v_add_co_u32 v0, vcc_lo, s4, v0
	s_add_u32 s2, s28, s2
	v_add_co_ci_u32_e32 v1, vcc_lo, s5, v1, vcc_lo
	v_mov_b32_e32 v4, 0
	v_lshl_or_b32 v8, v9, 7, v11
	s_addc_u32 s3, s29, s3
	v_add_co_u32 v2, vcc_lo, s2, v2
	v_mov_b32_e32 v5, 0
	v_add_co_ci_u32_e32 v3, vcc_lo, s3, v3, vcc_lo
	v_add_co_u32 v0, vcc_lo, v0, 8
	s_delay_alu instid0(VALU_DEP_3)
	v_dual_mov_b32 v9, v5 :: v_dual_add_nc_u32 v24, 0x1000, v8
	v_add_co_ci_u32_e32 v1, vcc_lo, 0, v1, vcc_lo
	v_mov_b32_e32 v11, v5
	v_add_co_u32 v2, vcc_lo, v2, 8
	v_dual_mov_b32 v10, v4 :: v_dual_mov_b32 v15, v5
	v_dual_mov_b32 v8, v4 :: v_dual_mov_b32 v13, v5
	;; [unrolled: 1-line block ×4, first 2 shown]
	v_mov_b32_e32 v17, v5
	v_lshl_add_u32 v25, v21, 7, 0x1000
	v_add_co_ci_u32_e32 v3, vcc_lo, 0, v3, vcc_lo
	v_mov_b32_e32 v6, v4
	v_mov_b32_e32 v18, v4
	;; [unrolled: 1-line block ×3, first 2 shown]
	s_mov_b64 s[2:3], 0
.LBB1182_2:                             ; =>This Inner Loop Header: Depth=1
	global_load_b128 v[26:29], v[0:1], off offset:-8
	global_load_b128 v[30:33], v[2:3], off offset:-8
	s_add_u32 s2, s2, 8
	v_add_co_u32 v0, vcc_lo, 0x80, v0
	s_addc_u32 s3, s3, 0
	v_add_co_ci_u32_e32 v1, vcc_lo, 0, v1, vcc_lo
	v_cmp_ge_u64_e64 s4, s[2:3], s[16:17]
	v_add_co_u32 v2, vcc_lo, 0x80, v2
	v_add_co_ci_u32_e32 v3, vcc_lo, 0, v3, vcc_lo
	s_waitcnt vmcnt(1)
	ds_store_b128 v23, v[26:29]
	s_waitcnt vmcnt(0)
	ds_store_b128 v24, v[30:33]
	s_waitcnt lgkmcnt(0)
	s_barrier
	buffer_gl0_inv
	ds_load_b128 v[26:29], v25
	ds_load_b128 v[30:33], v22
	ds_load_b128 v[34:37], v22 offset:256
	ds_load_b128 v[38:41], v25 offset:2048
	;; [unrolled: 1-line block ×13, first 2 shown]
	s_and_b32 vcc_lo, exec_lo, s4
	s_waitcnt lgkmcnt(13)
	v_mul_f64 v[86:87], v[28:29], v[32:33]
	v_mul_f64 v[88:89], v[26:27], v[32:33]
	s_waitcnt lgkmcnt(12)
	v_mul_f64 v[90:91], v[28:29], v[36:37]
	v_mul_f64 v[92:93], v[26:27], v[36:37]
	s_waitcnt lgkmcnt(11)
	v_mul_f64 v[94:95], v[40:41], v[32:33]
	v_mul_f64 v[32:33], v[38:39], v[32:33]
	v_mul_f64 v[96:97], v[40:41], v[36:37]
	v_mul_f64 v[36:37], v[38:39], v[36:37]
	s_waitcnt lgkmcnt(8)
	v_mul_f64 v[98:99], v[44:45], v[52:53]
	v_mul_f64 v[100:101], v[42:43], v[52:53]
	s_waitcnt lgkmcnt(7)
	v_mul_f64 v[102:103], v[44:45], v[56:57]
	v_mul_f64 v[104:105], v[42:43], v[56:57]
	;; [unrolled: 1-line block ×6, first 2 shown]
	s_waitcnt lgkmcnt(3)
	v_mul_f64 v[112:113], v[58:59], v[72:73]
	s_waitcnt lgkmcnt(2)
	v_mul_f64 v[114:115], v[76:77], v[68:69]
	v_mul_f64 v[116:117], v[76:77], v[72:73]
	v_fma_f64 v[86:87], v[26:27], v[30:31], -v[86:87]
	v_fma_f64 v[88:89], v[28:29], v[30:31], v[88:89]
	v_fma_f64 v[90:91], v[26:27], v[34:35], -v[90:91]
	v_fma_f64 v[92:93], v[28:29], v[34:35], v[92:93]
	v_fma_f64 v[94:95], v[38:39], v[30:31], -v[94:95]
	v_fma_f64 v[110:111], v[40:41], v[30:31], v[32:33]
	v_fma_f64 v[38:39], v[38:39], v[34:35], -v[96:97]
	v_fma_f64 v[34:35], v[40:41], v[34:35], v[36:37]
	v_mul_f64 v[36:37], v[60:61], v[68:69]
	v_mul_f64 v[40:41], v[58:59], v[68:69]
	;; [unrolled: 1-line block ×5, first 2 shown]
	v_fma_f64 v[98:99], v[42:43], v[50:51], -v[98:99]
	v_fma_f64 v[100:101], v[44:45], v[50:51], v[100:101]
	v_fma_f64 v[42:43], v[42:43], v[54:55], -v[102:103]
	v_fma_f64 v[44:45], v[44:45], v[54:55], v[104:105]
	;; [unrolled: 2-line block ×4, first 2 shown]
	ds_load_b128 v[26:29], v22 offset:1792
	ds_load_b128 v[30:33], v22 offset:2048
	s_waitcnt lgkmcnt(2)
	v_mul_f64 v[56:57], v[64:65], v[84:85]
	v_add_f64 v[16:17], v[16:17], v[86:87]
	v_add_f64 v[18:19], v[18:19], v[88:89]
	;; [unrolled: 1-line block ×8, first 2 shown]
	v_mul_f64 v[86:87], v[62:63], v[84:85]
	s_waitcnt lgkmcnt(1)
	v_mul_f64 v[88:89], v[64:65], v[28:29]
	v_mul_f64 v[90:91], v[62:63], v[28:29]
	;; [unrolled: 1-line block ×6, first 2 shown]
	v_fma_f64 v[104:105], v[58:59], v[66:67], -v[36:37]
	v_fma_f64 v[106:107], v[60:61], v[66:67], v[40:41]
	v_fma_f64 v[58:59], v[58:59], v[70:71], -v[96:97]
	v_fma_f64 v[60:61], v[60:61], v[70:71], v[112:113]
	;; [unrolled: 2-line block ×4, first 2 shown]
	ds_load_b128 v[4:7], v22 offset:2304
	ds_load_b128 v[8:11], v25 offset:64
	v_fma_f64 v[56:57], v[62:63], v[82:83], -v[56:57]
	v_add_f64 v[72:73], v[16:17], v[98:99]
	v_add_f64 v[74:75], v[18:19], v[100:101]
	;; [unrolled: 1-line block ×8, first 2 shown]
	ds_load_b128 v[12:15], v25 offset:2112
	ds_load_b128 v[16:19], v25 offset:80
	;; [unrolled: 1-line block ×4, first 2 shown]
	s_waitcnt lgkmcnt(4)
	v_mul_f64 v[54:55], v[10:11], v[32:33]
	v_mul_f64 v[76:77], v[8:9], v[32:33]
	;; [unrolled: 1-line block ×4, first 2 shown]
	v_fma_f64 v[86:87], v[64:65], v[82:83], v[86:87]
	v_fma_f64 v[62:63], v[62:63], v[26:27], -v[88:89]
	v_fma_f64 v[64:65], v[64:65], v[26:27], v[90:91]
	v_fma_f64 v[88:89], v[78:79], v[82:83], -v[92:93]
	;; [unrolled: 2-line block ×3, first 2 shown]
	v_fma_f64 v[80:81], v[80:81], v[26:27], v[28:29]
	s_waitcnt lgkmcnt(3)
	v_mul_f64 v[102:103], v[14:15], v[32:33]
	v_mul_f64 v[32:33], v[12:13], v[32:33]
	;; [unrolled: 1-line block ×4, first 2 shown]
	s_waitcnt lgkmcnt(0)
	v_mul_f64 v[90:91], v[18:19], v[40:41]
	v_mul_f64 v[92:93], v[16:17], v[40:41]
	v_add_f64 v[72:73], v[72:73], v[104:105]
	v_add_f64 v[74:75], v[74:75], v[106:107]
	;; [unrolled: 1-line block ×8, first 2 shown]
	ds_load_b128 v[26:29], v22 offset:2816
	ds_load_b128 v[42:45], v22 offset:3072
	;; [unrolled: 1-line block ×4, first 2 shown]
	v_mul_f64 v[104:105], v[36:37], v[40:41]
	v_mul_f64 v[40:41], v[34:35], v[40:41]
	v_fma_f64 v[54:55], v[8:9], v[30:31], -v[54:55]
	v_fma_f64 v[76:77], v[10:11], v[30:31], v[76:77]
	v_fma_f64 v[98:99], v[8:9], v[4:5], -v[98:99]
	v_fma_f64 v[100:101], v[10:11], v[4:5], v[100:101]
	s_waitcnt lgkmcnt(3)
	v_mul_f64 v[94:95], v[18:19], v[28:29]
	v_mul_f64 v[96:97], v[16:17], v[28:29]
	;; [unrolled: 1-line block ×4, first 2 shown]
	v_fma_f64 v[102:103], v[12:13], v[30:31], -v[102:103]
	v_fma_f64 v[32:33], v[14:15], v[30:31], v[32:33]
	v_fma_f64 v[108:109], v[12:13], v[4:5], -v[108:109]
	v_fma_f64 v[112:113], v[14:15], v[4:5], v[6:7]
	ds_load_b128 v[4:7], v25 offset:2144
	ds_load_b128 v[8:11], v25 offset:112
	;; [unrolled: 1-line block ×4, first 2 shown]
	v_add_f64 v[56:57], v[72:73], v[56:57]
	v_add_f64 v[72:73], v[74:75], v[86:87]
	;; [unrolled: 1-line block ×8, first 2 shown]
	s_waitcnt lgkmcnt(4)
	v_mul_f64 v[70:71], v[52:53], v[44:45]
	v_mul_f64 v[74:75], v[50:51], v[44:45]
	;; [unrolled: 1-line block ×4, first 2 shown]
	s_waitcnt lgkmcnt(3)
	v_mul_f64 v[82:83], v[6:7], v[44:45]
	v_mul_f64 v[44:45], v[4:5], v[44:45]
	;; [unrolled: 1-line block ×4, first 2 shown]
	v_fma_f64 v[86:87], v[16:17], v[38:39], -v[90:91]
	v_fma_f64 v[88:89], v[18:19], v[38:39], v[92:93]
	v_fma_f64 v[90:91], v[16:17], v[26:27], -v[94:95]
	v_fma_f64 v[92:93], v[18:19], v[26:27], v[96:97]
	v_fma_f64 v[94:95], v[34:35], v[38:39], -v[104:105]
	v_fma_f64 v[38:39], v[36:37], v[38:39], v[40:41]
	v_fma_f64 v[34:35], v[34:35], v[26:27], -v[106:107]
	v_fma_f64 v[26:27], v[36:37], v[26:27], v[110:111]
	ds_load_b128 v[16:19], v22 offset:3840
	s_waitcnt lgkmcnt(0)
	s_barrier
	buffer_gl0_inv
	v_add_f64 v[36:37], v[56:57], v[54:55]
	v_add_f64 v[40:41], v[72:73], v[76:77]
	;; [unrolled: 1-line block ×8, first 2 shown]
	v_mul_f64 v[64:65], v[10:11], v[30:31]
	v_mul_f64 v[66:67], v[8:9], v[30:31]
	;; [unrolled: 1-line block ×4, first 2 shown]
	v_fma_f64 v[70:71], v[50:51], v[42:43], -v[70:71]
	v_mul_f64 v[68:69], v[10:11], v[18:19]
	v_mul_f64 v[72:73], v[8:9], v[18:19]
	;; [unrolled: 1-line block ×4, first 2 shown]
	v_fma_f64 v[74:75], v[52:53], v[42:43], v[74:75]
	v_fma_f64 v[50:51], v[50:51], v[46:47], -v[78:79]
	v_fma_f64 v[52:53], v[52:53], v[46:47], v[80:81]
	v_fma_f64 v[78:79], v[4:5], v[42:43], -v[82:83]
	;; [unrolled: 2-line block ×3, first 2 shown]
	v_fma_f64 v[6:7], v[6:7], v[46:47], v[48:49]
	v_add_f64 v[36:37], v[36:37], v[86:87]
	v_add_f64 v[40:41], v[40:41], v[88:89]
	;; [unrolled: 1-line block ×8, first 2 shown]
	v_fma_f64 v[38:39], v[8:9], v[28:29], -v[64:65]
	v_fma_f64 v[54:55], v[10:11], v[28:29], v[66:67]
	v_fma_f64 v[56:57], v[12:13], v[28:29], -v[76:77]
	v_fma_f64 v[28:29], v[14:15], v[28:29], v[30:31]
	;; [unrolled: 2-line block ×4, first 2 shown]
	v_add_f64 v[12:13], v[36:37], v[70:71]
	v_add_f64 v[14:15], v[40:41], v[74:75]
	;; [unrolled: 1-line block ×16, first 2 shown]
	s_cbranch_vccz .LBB1182_2
.LBB1182_3:
	s_load_b128 s[4:7], s[0:1], 0x60
	v_add_nc_u32_e32 v21, s9, v21
	s_clause 0x1
	s_load_b32 s9, s[0:1], 0x0
	s_load_b64 s[2:3], s[0:1], 0x70
	s_delay_alu instid0(VALU_DEP_1) | instskip(SKIP_1) | instid1(VALU_DEP_1)
	v_ashrrev_i32_e32 v0, 31, v21
	s_waitcnt lgkmcnt(0)
	v_mul_lo_u32 v3, v0, s6
	v_mul_lo_u32 v22, v21, s7
	v_mad_u64_u32 v[1:2], null, v21, s6, 0
	s_mul_i32 s1, s15, s3
	s_mul_hi_u32 s3, s15, s2
	s_mul_i32 s2, s15, s2
	s_add_i32 s3, s3, s1
	v_add_nc_u32_e32 v0, s8, v20
	s_lshl_b64 s[2:3], s[2:3], 4
	s_delay_alu instid0(VALU_DEP_2)
	v_add3_u32 v2, v2, v22, v3
	s_add_u32 s2, s4, s2
	s_addc_u32 s3, s5, s3
	v_cmp_le_i32_e64 s0, v21, v0
	v_cmp_gt_i32_e32 vcc_lo, s9, v0
	v_lshlrev_b64 v[1:2], 4, v[1:2]
	s_delay_alu instid0(VALU_DEP_3) | instskip(NEXT) | instid1(VALU_DEP_1)
	s_and_b32 s0, s0, vcc_lo
	v_add_co_u32 v20, s1, s2, v1
	s_delay_alu instid0(VALU_DEP_1)
	v_add_co_ci_u32_e64 v22, s1, s3, v2, s1
	s_and_saveexec_b32 s1, s0
	s_cbranch_execz .LBB1182_5
; %bb.4:
	v_mul_f64 v[1:2], s[20:21], v[18:19]
	v_mul_f64 v[18:19], s[18:19], v[18:19]
	s_delay_alu instid0(VALU_DEP_2) | instskip(NEXT) | instid1(VALU_DEP_2)
	v_fma_f64 v[23:24], s[18:19], v[16:17], -v[1:2]
	v_fma_f64 v[25:26], s[20:21], v[16:17], v[18:19]
	v_ashrrev_i32_e32 v1, 31, v0
	s_delay_alu instid0(VALU_DEP_1) | instskip(NEXT) | instid1(VALU_DEP_1)
	v_lshlrev_b64 v[1:2], 4, v[0:1]
	v_add_co_u32 v1, s0, v20, v1
	s_delay_alu instid0(VALU_DEP_1)
	v_add_co_ci_u32_e64 v2, s0, v22, v2, s0
	global_store_b128 v[1:2], v[23:26], off
.LBB1182_5:
	s_or_b32 exec_lo, exec_lo, s1
	v_add_nc_u32_e32 v2, 16, v0
	s_delay_alu instid0(VALU_DEP_1) | instskip(SKIP_1) | instid1(VALU_DEP_1)
	v_cmp_le_i32_e64 s1, v21, v2
	v_cmp_gt_i32_e64 s0, s9, v2
	s_and_b32 s1, s1, s0
	s_delay_alu instid0(SALU_CYCLE_1)
	s_and_saveexec_b32 s4, s1
	s_cbranch_execz .LBB1182_7
; %bb.6:
	v_mul_f64 v[16:17], s[20:21], v[14:15]
	v_mul_f64 v[18:19], s[18:19], v[14:15]
	v_ashrrev_i32_e32 v3, 31, v2
	s_delay_alu instid0(VALU_DEP_3) | instskip(NEXT) | instid1(VALU_DEP_3)
	v_fma_f64 v[14:15], s[18:19], v[12:13], -v[16:17]
	v_fma_f64 v[16:17], s[20:21], v[12:13], v[18:19]
	s_delay_alu instid0(VALU_DEP_3) | instskip(NEXT) | instid1(VALU_DEP_1)
	v_lshlrev_b64 v[12:13], 4, v[2:3]
	v_add_co_u32 v12, s1, v20, v12
	s_delay_alu instid0(VALU_DEP_1)
	v_add_co_ci_u32_e64 v13, s1, v22, v13, s1
	global_store_b128 v[12:13], v[14:17], off
.LBB1182_7:
	s_or_b32 exec_lo, exec_lo, s4
	v_add_nc_u32_e32 v3, 16, v21
	s_delay_alu instid0(VALU_DEP_1) | instskip(SKIP_3) | instid1(VALU_DEP_4)
	v_ashrrev_i32_e32 v1, 31, v3
	v_mul_lo_u32 v14, v3, s7
	v_mad_u64_u32 v[12:13], null, v3, s6, 0
	v_cmp_le_i32_e64 s1, v3, v0
	v_mul_lo_u32 v1, v1, s6
	s_delay_alu instid0(VALU_DEP_1) | instskip(NEXT) | instid1(VALU_DEP_1)
	v_add3_u32 v13, v13, v14, v1
	v_lshlrev_b64 v[12:13], 4, v[12:13]
	s_delay_alu instid0(VALU_DEP_1) | instskip(NEXT) | instid1(VALU_DEP_1)
	v_add_co_u32 v12, s2, s2, v12
	v_add_co_ci_u32_e64 v13, s2, s3, v13, s2
	s_and_b32 s2, s1, vcc_lo
	s_delay_alu instid0(SALU_CYCLE_1)
	s_and_saveexec_b32 s1, s2
	s_cbranch_execz .LBB1182_9
; %bb.8:
	v_mul_f64 v[14:15], s[20:21], v[10:11]
	v_mul_f64 v[10:11], s[18:19], v[10:11]
	v_ashrrev_i32_e32 v1, 31, v0
	s_delay_alu instid0(VALU_DEP_1) | instskip(NEXT) | instid1(VALU_DEP_1)
	v_lshlrev_b64 v[0:1], 4, v[0:1]
	v_add_co_u32 v0, vcc_lo, v12, v0
	s_delay_alu instid0(VALU_DEP_2)
	v_add_co_ci_u32_e32 v1, vcc_lo, v13, v1, vcc_lo
	v_fma_f64 v[14:15], s[18:19], v[8:9], -v[14:15]
	v_fma_f64 v[16:17], s[20:21], v[8:9], v[10:11]
	global_store_b128 v[0:1], v[14:17], off
.LBB1182_9:
	s_or_b32 exec_lo, exec_lo, s1
	v_cmp_le_i32_e32 vcc_lo, v3, v2
	s_and_b32 s0, vcc_lo, s0
	s_delay_alu instid0(SALU_CYCLE_1)
	s_and_saveexec_b32 s1, s0
	s_cbranch_execz .LBB1182_11
; %bb.10:
	v_mul_f64 v[0:1], s[20:21], v[4:5]
	v_mul_f64 v[8:9], s[18:19], v[4:5]
	v_ashrrev_i32_e32 v3, 31, v2
	s_delay_alu instid0(VALU_DEP_3) | instskip(NEXT) | instid1(VALU_DEP_3)
	v_fma_f64 v[4:5], s[18:19], v[6:7], -v[0:1]
	v_fma_f64 v[6:7], s[20:21], v[6:7], v[8:9]
	s_delay_alu instid0(VALU_DEP_3) | instskip(NEXT) | instid1(VALU_DEP_1)
	v_lshlrev_b64 v[0:1], 4, v[2:3]
	v_add_co_u32 v0, vcc_lo, v12, v0
	s_delay_alu instid0(VALU_DEP_2)
	v_add_co_ci_u32_e32 v1, vcc_lo, v13, v1, vcc_lo
	global_store_b128 v[0:1], v[4:7], off
.LBB1182_11:
	s_nop 0
	s_sendmsg sendmsg(MSG_DEALLOC_VGPRS)
	s_endpgm
	.section	.rodata,"a",@progbits
	.p2align	6, 0x0
	.amdhsa_kernel _ZL37rocblas_syrkx_herkx_restricted_kernelIl19rocblas_complex_numIdELi16ELi32ELi8ELb1ELb0ELc67ELc76EKS1_S1_EviT_T0_PT8_S3_lS6_S3_lS4_PT9_S3_li
		.amdhsa_group_segment_fixed_size 8192
		.amdhsa_private_segment_fixed_size 0
		.amdhsa_kernarg_size 124
		.amdhsa_user_sgpr_count 13
		.amdhsa_user_sgpr_dispatch_ptr 0
		.amdhsa_user_sgpr_queue_ptr 0
		.amdhsa_user_sgpr_kernarg_segment_ptr 1
		.amdhsa_user_sgpr_dispatch_id 0
		.amdhsa_user_sgpr_private_segment_size 0
		.amdhsa_wavefront_size32 1
		.amdhsa_uses_dynamic_stack 0
		.amdhsa_enable_private_segment 0
		.amdhsa_system_sgpr_workgroup_id_x 1
		.amdhsa_system_sgpr_workgroup_id_y 1
		.amdhsa_system_sgpr_workgroup_id_z 1
		.amdhsa_system_sgpr_workgroup_info 0
		.amdhsa_system_vgpr_workitem_id 1
		.amdhsa_next_free_vgpr 118
		.amdhsa_next_free_sgpr 32
		.amdhsa_reserve_vcc 1
		.amdhsa_float_round_mode_32 0
		.amdhsa_float_round_mode_16_64 0
		.amdhsa_float_denorm_mode_32 3
		.amdhsa_float_denorm_mode_16_64 3
		.amdhsa_dx10_clamp 1
		.amdhsa_ieee_mode 1
		.amdhsa_fp16_overflow 0
		.amdhsa_workgroup_processor_mode 1
		.amdhsa_memory_ordered 1
		.amdhsa_forward_progress 0
		.amdhsa_shared_vgpr_count 0
		.amdhsa_exception_fp_ieee_invalid_op 0
		.amdhsa_exception_fp_denorm_src 0
		.amdhsa_exception_fp_ieee_div_zero 0
		.amdhsa_exception_fp_ieee_overflow 0
		.amdhsa_exception_fp_ieee_underflow 0
		.amdhsa_exception_fp_ieee_inexact 0
		.amdhsa_exception_int_div_zero 0
	.end_amdhsa_kernel
	.section	.text._ZL37rocblas_syrkx_herkx_restricted_kernelIl19rocblas_complex_numIdELi16ELi32ELi8ELb1ELb0ELc67ELc76EKS1_S1_EviT_T0_PT8_S3_lS6_S3_lS4_PT9_S3_li,"axG",@progbits,_ZL37rocblas_syrkx_herkx_restricted_kernelIl19rocblas_complex_numIdELi16ELi32ELi8ELb1ELb0ELc67ELc76EKS1_S1_EviT_T0_PT8_S3_lS6_S3_lS4_PT9_S3_li,comdat
.Lfunc_end1182:
	.size	_ZL37rocblas_syrkx_herkx_restricted_kernelIl19rocblas_complex_numIdELi16ELi32ELi8ELb1ELb0ELc67ELc76EKS1_S1_EviT_T0_PT8_S3_lS6_S3_lS4_PT9_S3_li, .Lfunc_end1182-_ZL37rocblas_syrkx_herkx_restricted_kernelIl19rocblas_complex_numIdELi16ELi32ELi8ELb1ELb0ELc67ELc76EKS1_S1_EviT_T0_PT8_S3_lS6_S3_lS4_PT9_S3_li
                                        ; -- End function
	.section	.AMDGPU.csdata,"",@progbits
; Kernel info:
; codeLenInByte = 3136
; NumSgprs: 34
; NumVgprs: 118
; ScratchSize: 0
; MemoryBound: 0
; FloatMode: 240
; IeeeMode: 1
; LDSByteSize: 8192 bytes/workgroup (compile time only)
; SGPRBlocks: 4
; VGPRBlocks: 14
; NumSGPRsForWavesPerEU: 34
; NumVGPRsForWavesPerEU: 118
; Occupancy: 12
; WaveLimiterHint : 1
; COMPUTE_PGM_RSRC2:SCRATCH_EN: 0
; COMPUTE_PGM_RSRC2:USER_SGPR: 13
; COMPUTE_PGM_RSRC2:TRAP_HANDLER: 0
; COMPUTE_PGM_RSRC2:TGID_X_EN: 1
; COMPUTE_PGM_RSRC2:TGID_Y_EN: 1
; COMPUTE_PGM_RSRC2:TGID_Z_EN: 1
; COMPUTE_PGM_RSRC2:TIDIG_COMP_CNT: 1
	.section	.text._ZL37rocblas_syrkx_herkx_restricted_kernelIl19rocblas_complex_numIdELi16ELi32ELi8ELb1ELb0ELc78ELc76EKS1_S1_EviT_T0_PT8_S3_lS6_S3_lS4_PT9_S3_li,"axG",@progbits,_ZL37rocblas_syrkx_herkx_restricted_kernelIl19rocblas_complex_numIdELi16ELi32ELi8ELb1ELb0ELc78ELc76EKS1_S1_EviT_T0_PT8_S3_lS6_S3_lS4_PT9_S3_li,comdat
	.globl	_ZL37rocblas_syrkx_herkx_restricted_kernelIl19rocblas_complex_numIdELi16ELi32ELi8ELb1ELb0ELc78ELc76EKS1_S1_EviT_T0_PT8_S3_lS6_S3_lS4_PT9_S3_li ; -- Begin function _ZL37rocblas_syrkx_herkx_restricted_kernelIl19rocblas_complex_numIdELi16ELi32ELi8ELb1ELb0ELc78ELc76EKS1_S1_EviT_T0_PT8_S3_lS6_S3_lS4_PT9_S3_li
	.p2align	8
	.type	_ZL37rocblas_syrkx_herkx_restricted_kernelIl19rocblas_complex_numIdELi16ELi32ELi8ELb1ELb0ELc78ELc76EKS1_S1_EviT_T0_PT8_S3_lS6_S3_lS4_PT9_S3_li,@function
_ZL37rocblas_syrkx_herkx_restricted_kernelIl19rocblas_complex_numIdELi16ELi32ELi8ELb1ELb0ELc78ELc76EKS1_S1_EviT_T0_PT8_S3_lS6_S3_lS4_PT9_S3_li: ; @_ZL37rocblas_syrkx_herkx_restricted_kernelIl19rocblas_complex_numIdELi16ELi32ELi8ELb1ELb0ELc78ELc76EKS1_S1_EviT_T0_PT8_S3_lS6_S3_lS4_PT9_S3_li
; %bb.0:
	s_load_b512 s[16:31], s[0:1], 0x8
	v_mov_b32_e32 v16, 0
	v_dual_mov_b32 v17, 0 :: v_dual_and_b32 v20, 0x3ff, v0
	v_bfe_u32 v21, v0, 10, 10
	s_delay_alu instid0(VALU_DEP_3) | instskip(NEXT) | instid1(VALU_DEP_3)
	v_mov_b32_e32 v12, v16
	v_dual_mov_b32 v14, v16 :: v_dual_mov_b32 v15, v17
	v_dual_mov_b32 v19, v17 :: v_dual_mov_b32 v18, v16
	;; [unrolled: 1-line block ×6, first 2 shown]
	v_mov_b32_e32 v5, v17
	s_lshl_b32 s8, s13, 5
	s_waitcnt lgkmcnt(0)
	v_cmp_lt_i64_e64 s2, s[16:17], 1
	s_lshl_b32 s9, s14, 5
	s_delay_alu instid0(VALU_DEP_1)
	s_and_b32 vcc_lo, exec_lo, s2
	s_cbranch_vccnz .LBB1183_3
; %bb.1:
	v_lshl_add_u32 v1, v21, 4, v20
	v_and_b32_e32 v10, 7, v20
	s_load_b64 s[4:5], s[0:1], 0x48
	s_mul_i32 s3, s27, s15
	s_mul_hi_u32 s6, s26, s15
	v_dual_mov_b32 v4, 0 :: v_dual_and_b32 v9, 31, v1
	v_mov_b32_e32 v5, 0
	v_lshrrev_b32_e32 v11, 3, v1
	v_lshrrev_b32_e32 v12, 5, v1
	s_delay_alu instid0(VALU_DEP_4)
	v_add_nc_u32_e32 v0, s8, v9
	s_mul_i32 s2, s26, s15
	s_add_i32 s3, s6, s3
	v_add_nc_u32_e32 v2, s9, v11
	s_lshl_b64 s[2:3], s[2:3], 4
	v_ashrrev_i32_e32 v1, 31, v0
	s_add_u32 s6, s22, s2
	s_addc_u32 s7, s23, s3
	v_ashrrev_i32_e32 v3, 31, v2
	s_lshl_b64 s[2:3], s[24:25], 7
	v_mad_u64_u32 v[6:7], null, v12, s24, v[0:1]
	s_waitcnt lgkmcnt(0)
	s_mul_i32 s5, s5, s15
	v_mad_u64_u32 v[0:1], null, v10, s30, v[2:3]
	v_lshlrev_b32_e32 v3, 4, v10
	s_mul_hi_u32 s10, s4, s15
	s_mul_i32 s4, s4, s15
	s_delay_alu instid0(VALU_DEP_3)
	v_mov_b32_e32 v2, v7
	s_add_i32 s5, s10, s5
	v_lshl_add_u32 v23, v21, 7, 0x1000
	s_lshl_b64 s[4:5], s[4:5], 4
	v_mov_b32_e32 v15, v5
	v_mad_u64_u32 v[7:8], null, v12, s25, v[2:3]
	v_lshlrev_b32_e32 v8, 4, v9
	v_lshl_or_b32 v9, v11, 7, v3
	v_mad_u64_u32 v[2:3], null, v10, s31, v[1:2]
	v_lshlrev_b32_e32 v22, 4, v20
	s_add_u32 s4, s28, s4
	s_addc_u32 s5, s29, s5
	v_mov_b32_e32 v11, v5
	v_lshl_or_b32 v24, v12, 9, v8
	v_add_nc_u32_e32 v25, 0x1000, v9
	v_mov_b32_e32 v1, v2
	v_lshlrev_b64 v[2:3], 4, v[6:7]
	v_dual_mov_b32 v10, v4 :: v_dual_mov_b32 v9, v5
	v_dual_mov_b32 v8, v4 :: v_dual_mov_b32 v13, v5
	s_delay_alu instid0(VALU_DEP_4) | instskip(NEXT) | instid1(VALU_DEP_4)
	v_lshlrev_b64 v[0:1], 4, v[0:1]
	v_add_co_u32 v2, vcc_lo, s6, v2
	v_add_co_ci_u32_e32 v3, vcc_lo, s7, v3, vcc_lo
	v_dual_mov_b32 v14, v4 :: v_dual_mov_b32 v19, v5
	s_delay_alu instid0(VALU_DEP_4) | instskip(SKIP_3) | instid1(VALU_DEP_4)
	v_add_co_u32 v6, vcc_lo, s4, v0
	v_add_co_ci_u32_e32 v7, vcc_lo, s5, v1, vcc_lo
	v_add_co_u32 v0, vcc_lo, v2, 8
	v_add_co_ci_u32_e32 v1, vcc_lo, 0, v3, vcc_lo
	v_add_co_u32 v2, vcc_lo, v6, 8
	s_delay_alu instid0(VALU_DEP_4)
	v_add_co_ci_u32_e32 v3, vcc_lo, 0, v7, vcc_lo
	v_dual_mov_b32 v7, v5 :: v_dual_mov_b32 v12, v4
	v_dual_mov_b32 v17, v5 :: v_dual_mov_b32 v6, v4
	v_mov_b32_e32 v18, v4
	v_mov_b32_e32 v16, v4
	s_lshl_b64 s[4:5], s[30:31], 7
	s_mov_b64 s[6:7], 0
.LBB1183_2:                             ; =>This Inner Loop Header: Depth=1
	global_load_b128 v[26:29], v[0:1], off offset:-8
	global_load_b128 v[30:33], v[2:3], off offset:-8
	s_add_u32 s6, s6, 8
	v_add_co_u32 v0, vcc_lo, v0, s2
	s_addc_u32 s7, s7, 0
	v_add_co_ci_u32_e32 v1, vcc_lo, s3, v1, vcc_lo
	v_cmp_ge_u64_e64 s10, s[6:7], s[16:17]
	v_add_co_u32 v2, vcc_lo, v2, s4
	v_add_co_ci_u32_e32 v3, vcc_lo, s5, v3, vcc_lo
	s_waitcnt vmcnt(1)
	ds_store_b128 v24, v[26:29]
	s_waitcnt vmcnt(0)
	ds_store_b128 v25, v[30:33]
	s_waitcnt lgkmcnt(0)
	s_barrier
	buffer_gl0_inv
	ds_load_b128 v[26:29], v23
	ds_load_b128 v[30:33], v22
	ds_load_b128 v[34:37], v22 offset:256
	ds_load_b128 v[38:41], v23 offset:2048
	;; [unrolled: 1-line block ×13, first 2 shown]
	s_and_b32 vcc_lo, exec_lo, s10
	s_waitcnt lgkmcnt(13)
	v_mul_f64 v[86:87], v[28:29], v[32:33]
	v_mul_f64 v[88:89], v[26:27], v[32:33]
	s_waitcnt lgkmcnt(12)
	v_mul_f64 v[90:91], v[28:29], v[36:37]
	v_mul_f64 v[92:93], v[26:27], v[36:37]
	;; [unrolled: 3-line block ×3, first 2 shown]
	v_mul_f64 v[96:97], v[40:41], v[36:37]
	v_mul_f64 v[36:37], v[38:39], v[36:37]
	s_waitcnt lgkmcnt(8)
	v_mul_f64 v[98:99], v[44:45], v[52:53]
	v_mul_f64 v[100:101], v[42:43], v[52:53]
	s_waitcnt lgkmcnt(7)
	v_mul_f64 v[102:103], v[44:45], v[56:57]
	v_mul_f64 v[104:105], v[42:43], v[56:57]
	;; [unrolled: 1-line block ×6, first 2 shown]
	s_waitcnt lgkmcnt(3)
	v_mul_f64 v[112:113], v[58:59], v[72:73]
	s_waitcnt lgkmcnt(2)
	v_mul_f64 v[114:115], v[76:77], v[68:69]
	v_mul_f64 v[116:117], v[76:77], v[72:73]
	v_fma_f64 v[86:87], v[26:27], v[30:31], -v[86:87]
	v_fma_f64 v[88:89], v[28:29], v[30:31], v[88:89]
	v_fma_f64 v[90:91], v[26:27], v[34:35], -v[90:91]
	v_fma_f64 v[92:93], v[28:29], v[34:35], v[92:93]
	;; [unrolled: 2-line block ×4, first 2 shown]
	v_mul_f64 v[36:37], v[60:61], v[68:69]
	v_mul_f64 v[40:41], v[58:59], v[68:69]
	;; [unrolled: 1-line block ×5, first 2 shown]
	v_fma_f64 v[98:99], v[42:43], v[50:51], -v[98:99]
	v_fma_f64 v[100:101], v[44:45], v[50:51], v[100:101]
	v_fma_f64 v[42:43], v[42:43], v[54:55], -v[102:103]
	v_fma_f64 v[44:45], v[44:45], v[54:55], v[104:105]
	;; [unrolled: 2-line block ×4, first 2 shown]
	ds_load_b128 v[26:29], v22 offset:1792
	ds_load_b128 v[30:33], v22 offset:2048
	s_waitcnt lgkmcnt(2)
	v_mul_f64 v[56:57], v[64:65], v[84:85]
	v_add_f64 v[16:17], v[16:17], v[86:87]
	v_add_f64 v[18:19], v[18:19], v[88:89]
	;; [unrolled: 1-line block ×8, first 2 shown]
	v_mul_f64 v[86:87], v[62:63], v[84:85]
	s_waitcnt lgkmcnt(1)
	v_mul_f64 v[88:89], v[64:65], v[28:29]
	v_mul_f64 v[90:91], v[62:63], v[28:29]
	;; [unrolled: 1-line block ×6, first 2 shown]
	v_fma_f64 v[104:105], v[58:59], v[66:67], -v[36:37]
	v_fma_f64 v[106:107], v[60:61], v[66:67], v[40:41]
	v_fma_f64 v[58:59], v[58:59], v[70:71], -v[96:97]
	v_fma_f64 v[60:61], v[60:61], v[70:71], v[112:113]
	;; [unrolled: 2-line block ×4, first 2 shown]
	ds_load_b128 v[4:7], v22 offset:2304
	ds_load_b128 v[8:11], v23 offset:64
	v_fma_f64 v[56:57], v[62:63], v[82:83], -v[56:57]
	v_add_f64 v[72:73], v[16:17], v[98:99]
	v_add_f64 v[74:75], v[18:19], v[100:101]
	;; [unrolled: 1-line block ×8, first 2 shown]
	ds_load_b128 v[12:15], v23 offset:2112
	ds_load_b128 v[16:19], v23 offset:80
	;; [unrolled: 1-line block ×4, first 2 shown]
	s_waitcnt lgkmcnt(4)
	v_mul_f64 v[54:55], v[10:11], v[32:33]
	v_mul_f64 v[76:77], v[8:9], v[32:33]
	;; [unrolled: 1-line block ×4, first 2 shown]
	v_fma_f64 v[86:87], v[64:65], v[82:83], v[86:87]
	v_fma_f64 v[62:63], v[62:63], v[26:27], -v[88:89]
	v_fma_f64 v[64:65], v[64:65], v[26:27], v[90:91]
	v_fma_f64 v[88:89], v[78:79], v[82:83], -v[92:93]
	;; [unrolled: 2-line block ×3, first 2 shown]
	v_fma_f64 v[80:81], v[80:81], v[26:27], v[28:29]
	s_waitcnt lgkmcnt(3)
	v_mul_f64 v[102:103], v[14:15], v[32:33]
	v_mul_f64 v[32:33], v[12:13], v[32:33]
	;; [unrolled: 1-line block ×4, first 2 shown]
	s_waitcnt lgkmcnt(0)
	v_mul_f64 v[90:91], v[18:19], v[40:41]
	v_mul_f64 v[92:93], v[16:17], v[40:41]
	v_add_f64 v[72:73], v[72:73], v[104:105]
	v_add_f64 v[74:75], v[74:75], v[106:107]
	;; [unrolled: 1-line block ×8, first 2 shown]
	ds_load_b128 v[26:29], v22 offset:2816
	ds_load_b128 v[42:45], v22 offset:3072
	;; [unrolled: 1-line block ×4, first 2 shown]
	v_mul_f64 v[104:105], v[36:37], v[40:41]
	v_mul_f64 v[40:41], v[34:35], v[40:41]
	v_fma_f64 v[54:55], v[8:9], v[30:31], -v[54:55]
	v_fma_f64 v[76:77], v[10:11], v[30:31], v[76:77]
	v_fma_f64 v[98:99], v[8:9], v[4:5], -v[98:99]
	v_fma_f64 v[100:101], v[10:11], v[4:5], v[100:101]
	s_waitcnt lgkmcnt(3)
	v_mul_f64 v[94:95], v[18:19], v[28:29]
	v_mul_f64 v[96:97], v[16:17], v[28:29]
	v_mul_f64 v[106:107], v[36:37], v[28:29]
	v_mul_f64 v[110:111], v[34:35], v[28:29]
	v_fma_f64 v[102:103], v[12:13], v[30:31], -v[102:103]
	v_fma_f64 v[32:33], v[14:15], v[30:31], v[32:33]
	v_fma_f64 v[108:109], v[12:13], v[4:5], -v[108:109]
	v_fma_f64 v[112:113], v[14:15], v[4:5], v[6:7]
	ds_load_b128 v[4:7], v23 offset:2144
	ds_load_b128 v[8:11], v23 offset:112
	;; [unrolled: 1-line block ×4, first 2 shown]
	v_add_f64 v[56:57], v[72:73], v[56:57]
	v_add_f64 v[72:73], v[74:75], v[86:87]
	v_add_f64 v[58:59], v[58:59], v[62:63]
	v_add_f64 v[60:61], v[60:61], v[64:65]
	v_add_f64 v[62:63], v[84:85], v[88:89]
	v_add_f64 v[64:65], v[66:67], v[82:83]
	v_add_f64 v[66:67], v[68:69], v[78:79]
	v_add_f64 v[68:69], v[70:71], v[80:81]
	s_waitcnt lgkmcnt(4)
	v_mul_f64 v[70:71], v[52:53], v[44:45]
	v_mul_f64 v[74:75], v[50:51], v[44:45]
	;; [unrolled: 1-line block ×4, first 2 shown]
	s_waitcnt lgkmcnt(3)
	v_mul_f64 v[82:83], v[6:7], v[44:45]
	v_mul_f64 v[44:45], v[4:5], v[44:45]
	;; [unrolled: 1-line block ×4, first 2 shown]
	v_fma_f64 v[86:87], v[16:17], v[38:39], -v[90:91]
	v_fma_f64 v[88:89], v[18:19], v[38:39], v[92:93]
	v_fma_f64 v[90:91], v[16:17], v[26:27], -v[94:95]
	v_fma_f64 v[92:93], v[18:19], v[26:27], v[96:97]
	;; [unrolled: 2-line block ×4, first 2 shown]
	ds_load_b128 v[16:19], v22 offset:3840
	s_waitcnt lgkmcnt(0)
	s_barrier
	buffer_gl0_inv
	v_add_f64 v[36:37], v[56:57], v[54:55]
	v_add_f64 v[40:41], v[72:73], v[76:77]
	;; [unrolled: 1-line block ×8, first 2 shown]
	v_mul_f64 v[64:65], v[10:11], v[30:31]
	v_mul_f64 v[66:67], v[8:9], v[30:31]
	;; [unrolled: 1-line block ×4, first 2 shown]
	v_fma_f64 v[70:71], v[50:51], v[42:43], -v[70:71]
	v_mul_f64 v[68:69], v[10:11], v[18:19]
	v_mul_f64 v[72:73], v[8:9], v[18:19]
	v_mul_f64 v[96:97], v[14:15], v[18:19]
	v_mul_f64 v[18:19], v[12:13], v[18:19]
	v_fma_f64 v[74:75], v[52:53], v[42:43], v[74:75]
	v_fma_f64 v[50:51], v[50:51], v[46:47], -v[78:79]
	v_fma_f64 v[52:53], v[52:53], v[46:47], v[80:81]
	v_fma_f64 v[78:79], v[4:5], v[42:43], -v[82:83]
	;; [unrolled: 2-line block ×3, first 2 shown]
	v_fma_f64 v[6:7], v[6:7], v[46:47], v[48:49]
	v_add_f64 v[36:37], v[36:37], v[86:87]
	v_add_f64 v[40:41], v[40:41], v[88:89]
	;; [unrolled: 1-line block ×8, first 2 shown]
	v_fma_f64 v[38:39], v[8:9], v[28:29], -v[64:65]
	v_fma_f64 v[54:55], v[10:11], v[28:29], v[66:67]
	v_fma_f64 v[56:57], v[12:13], v[28:29], -v[76:77]
	v_fma_f64 v[28:29], v[14:15], v[28:29], v[30:31]
	;; [unrolled: 2-line block ×4, first 2 shown]
	v_add_f64 v[12:13], v[36:37], v[70:71]
	v_add_f64 v[14:15], v[40:41], v[74:75]
	;; [unrolled: 1-line block ×16, first 2 shown]
	s_cbranch_vccz .LBB1183_2
.LBB1183_3:
	s_load_b128 s[4:7], s[0:1], 0x60
	v_add_nc_u32_e32 v21, s9, v21
	s_clause 0x1
	s_load_b32 s9, s[0:1], 0x0
	s_load_b64 s[2:3], s[0:1], 0x70
	s_delay_alu instid0(VALU_DEP_1) | instskip(SKIP_1) | instid1(VALU_DEP_1)
	v_ashrrev_i32_e32 v0, 31, v21
	s_waitcnt lgkmcnt(0)
	v_mul_lo_u32 v3, v0, s6
	v_mul_lo_u32 v22, v21, s7
	v_mad_u64_u32 v[1:2], null, v21, s6, 0
	s_mul_i32 s1, s15, s3
	s_mul_hi_u32 s3, s15, s2
	s_mul_i32 s2, s15, s2
	s_add_i32 s3, s3, s1
	v_add_nc_u32_e32 v0, s8, v20
	s_lshl_b64 s[2:3], s[2:3], 4
	s_delay_alu instid0(VALU_DEP_2)
	v_add3_u32 v2, v2, v22, v3
	s_add_u32 s2, s4, s2
	s_addc_u32 s3, s5, s3
	v_cmp_le_i32_e64 s0, v21, v0
	v_cmp_gt_i32_e32 vcc_lo, s9, v0
	v_lshlrev_b64 v[1:2], 4, v[1:2]
	s_delay_alu instid0(VALU_DEP_3) | instskip(NEXT) | instid1(VALU_DEP_1)
	s_and_b32 s0, s0, vcc_lo
	v_add_co_u32 v20, s1, s2, v1
	s_delay_alu instid0(VALU_DEP_1)
	v_add_co_ci_u32_e64 v22, s1, s3, v2, s1
	s_and_saveexec_b32 s1, s0
	s_cbranch_execz .LBB1183_5
; %bb.4:
	v_mul_f64 v[1:2], s[20:21], v[18:19]
	v_mul_f64 v[18:19], s[18:19], v[18:19]
	s_delay_alu instid0(VALU_DEP_2) | instskip(NEXT) | instid1(VALU_DEP_2)
	v_fma_f64 v[23:24], s[18:19], v[16:17], -v[1:2]
	v_fma_f64 v[25:26], s[20:21], v[16:17], v[18:19]
	v_ashrrev_i32_e32 v1, 31, v0
	s_delay_alu instid0(VALU_DEP_1) | instskip(NEXT) | instid1(VALU_DEP_1)
	v_lshlrev_b64 v[1:2], 4, v[0:1]
	v_add_co_u32 v1, s0, v20, v1
	s_delay_alu instid0(VALU_DEP_1)
	v_add_co_ci_u32_e64 v2, s0, v22, v2, s0
	global_store_b128 v[1:2], v[23:26], off
.LBB1183_5:
	s_or_b32 exec_lo, exec_lo, s1
	v_add_nc_u32_e32 v2, 16, v0
	s_delay_alu instid0(VALU_DEP_1) | instskip(SKIP_1) | instid1(VALU_DEP_1)
	v_cmp_le_i32_e64 s1, v21, v2
	v_cmp_gt_i32_e64 s0, s9, v2
	s_and_b32 s1, s1, s0
	s_delay_alu instid0(SALU_CYCLE_1)
	s_and_saveexec_b32 s4, s1
	s_cbranch_execz .LBB1183_7
; %bb.6:
	v_mul_f64 v[16:17], s[20:21], v[14:15]
	v_mul_f64 v[18:19], s[18:19], v[14:15]
	v_ashrrev_i32_e32 v3, 31, v2
	s_delay_alu instid0(VALU_DEP_3) | instskip(NEXT) | instid1(VALU_DEP_3)
	v_fma_f64 v[14:15], s[18:19], v[12:13], -v[16:17]
	v_fma_f64 v[16:17], s[20:21], v[12:13], v[18:19]
	s_delay_alu instid0(VALU_DEP_3) | instskip(NEXT) | instid1(VALU_DEP_1)
	v_lshlrev_b64 v[12:13], 4, v[2:3]
	v_add_co_u32 v12, s1, v20, v12
	s_delay_alu instid0(VALU_DEP_1)
	v_add_co_ci_u32_e64 v13, s1, v22, v13, s1
	global_store_b128 v[12:13], v[14:17], off
.LBB1183_7:
	s_or_b32 exec_lo, exec_lo, s4
	v_add_nc_u32_e32 v3, 16, v21
	s_delay_alu instid0(VALU_DEP_1) | instskip(SKIP_3) | instid1(VALU_DEP_4)
	v_ashrrev_i32_e32 v1, 31, v3
	v_mul_lo_u32 v14, v3, s7
	v_mad_u64_u32 v[12:13], null, v3, s6, 0
	v_cmp_le_i32_e64 s1, v3, v0
	v_mul_lo_u32 v1, v1, s6
	s_delay_alu instid0(VALU_DEP_1) | instskip(NEXT) | instid1(VALU_DEP_1)
	v_add3_u32 v13, v13, v14, v1
	v_lshlrev_b64 v[12:13], 4, v[12:13]
	s_delay_alu instid0(VALU_DEP_1) | instskip(NEXT) | instid1(VALU_DEP_1)
	v_add_co_u32 v12, s2, s2, v12
	v_add_co_ci_u32_e64 v13, s2, s3, v13, s2
	s_and_b32 s2, s1, vcc_lo
	s_delay_alu instid0(SALU_CYCLE_1)
	s_and_saveexec_b32 s1, s2
	s_cbranch_execz .LBB1183_9
; %bb.8:
	v_mul_f64 v[14:15], s[20:21], v[10:11]
	v_mul_f64 v[10:11], s[18:19], v[10:11]
	v_ashrrev_i32_e32 v1, 31, v0
	s_delay_alu instid0(VALU_DEP_1) | instskip(NEXT) | instid1(VALU_DEP_1)
	v_lshlrev_b64 v[0:1], 4, v[0:1]
	v_add_co_u32 v0, vcc_lo, v12, v0
	s_delay_alu instid0(VALU_DEP_2)
	v_add_co_ci_u32_e32 v1, vcc_lo, v13, v1, vcc_lo
	v_fma_f64 v[14:15], s[18:19], v[8:9], -v[14:15]
	v_fma_f64 v[16:17], s[20:21], v[8:9], v[10:11]
	global_store_b128 v[0:1], v[14:17], off
.LBB1183_9:
	s_or_b32 exec_lo, exec_lo, s1
	v_cmp_le_i32_e32 vcc_lo, v3, v2
	s_and_b32 s0, vcc_lo, s0
	s_delay_alu instid0(SALU_CYCLE_1)
	s_and_saveexec_b32 s1, s0
	s_cbranch_execz .LBB1183_11
; %bb.10:
	v_mul_f64 v[0:1], s[20:21], v[4:5]
	v_mul_f64 v[8:9], s[18:19], v[4:5]
	v_ashrrev_i32_e32 v3, 31, v2
	s_delay_alu instid0(VALU_DEP_3) | instskip(NEXT) | instid1(VALU_DEP_3)
	v_fma_f64 v[4:5], s[18:19], v[6:7], -v[0:1]
	v_fma_f64 v[6:7], s[20:21], v[6:7], v[8:9]
	s_delay_alu instid0(VALU_DEP_3) | instskip(NEXT) | instid1(VALU_DEP_1)
	v_lshlrev_b64 v[0:1], 4, v[2:3]
	v_add_co_u32 v0, vcc_lo, v12, v0
	s_delay_alu instid0(VALU_DEP_2)
	v_add_co_ci_u32_e32 v1, vcc_lo, v13, v1, vcc_lo
	global_store_b128 v[0:1], v[4:7], off
.LBB1183_11:
	s_nop 0
	s_sendmsg sendmsg(MSG_DEALLOC_VGPRS)
	s_endpgm
	.section	.rodata,"a",@progbits
	.p2align	6, 0x0
	.amdhsa_kernel _ZL37rocblas_syrkx_herkx_restricted_kernelIl19rocblas_complex_numIdELi16ELi32ELi8ELb1ELb0ELc78ELc76EKS1_S1_EviT_T0_PT8_S3_lS6_S3_lS4_PT9_S3_li
		.amdhsa_group_segment_fixed_size 8192
		.amdhsa_private_segment_fixed_size 0
		.amdhsa_kernarg_size 124
		.amdhsa_user_sgpr_count 13
		.amdhsa_user_sgpr_dispatch_ptr 0
		.amdhsa_user_sgpr_queue_ptr 0
		.amdhsa_user_sgpr_kernarg_segment_ptr 1
		.amdhsa_user_sgpr_dispatch_id 0
		.amdhsa_user_sgpr_private_segment_size 0
		.amdhsa_wavefront_size32 1
		.amdhsa_uses_dynamic_stack 0
		.amdhsa_enable_private_segment 0
		.amdhsa_system_sgpr_workgroup_id_x 1
		.amdhsa_system_sgpr_workgroup_id_y 1
		.amdhsa_system_sgpr_workgroup_id_z 1
		.amdhsa_system_sgpr_workgroup_info 0
		.amdhsa_system_vgpr_workitem_id 1
		.amdhsa_next_free_vgpr 118
		.amdhsa_next_free_sgpr 32
		.amdhsa_reserve_vcc 1
		.amdhsa_float_round_mode_32 0
		.amdhsa_float_round_mode_16_64 0
		.amdhsa_float_denorm_mode_32 3
		.amdhsa_float_denorm_mode_16_64 3
		.amdhsa_dx10_clamp 1
		.amdhsa_ieee_mode 1
		.amdhsa_fp16_overflow 0
		.amdhsa_workgroup_processor_mode 1
		.amdhsa_memory_ordered 1
		.amdhsa_forward_progress 0
		.amdhsa_shared_vgpr_count 0
		.amdhsa_exception_fp_ieee_invalid_op 0
		.amdhsa_exception_fp_denorm_src 0
		.amdhsa_exception_fp_ieee_div_zero 0
		.amdhsa_exception_fp_ieee_overflow 0
		.amdhsa_exception_fp_ieee_underflow 0
		.amdhsa_exception_fp_ieee_inexact 0
		.amdhsa_exception_int_div_zero 0
	.end_amdhsa_kernel
	.section	.text._ZL37rocblas_syrkx_herkx_restricted_kernelIl19rocblas_complex_numIdELi16ELi32ELi8ELb1ELb0ELc78ELc76EKS1_S1_EviT_T0_PT8_S3_lS6_S3_lS4_PT9_S3_li,"axG",@progbits,_ZL37rocblas_syrkx_herkx_restricted_kernelIl19rocblas_complex_numIdELi16ELi32ELi8ELb1ELb0ELc78ELc76EKS1_S1_EviT_T0_PT8_S3_lS6_S3_lS4_PT9_S3_li,comdat
.Lfunc_end1183:
	.size	_ZL37rocblas_syrkx_herkx_restricted_kernelIl19rocblas_complex_numIdELi16ELi32ELi8ELb1ELb0ELc78ELc76EKS1_S1_EviT_T0_PT8_S3_lS6_S3_lS4_PT9_S3_li, .Lfunc_end1183-_ZL37rocblas_syrkx_herkx_restricted_kernelIl19rocblas_complex_numIdELi16ELi32ELi8ELb1ELb0ELc78ELc76EKS1_S1_EviT_T0_PT8_S3_lS6_S3_lS4_PT9_S3_li
                                        ; -- End function
	.section	.AMDGPU.csdata,"",@progbits
; Kernel info:
; codeLenInByte = 3112
; NumSgprs: 34
; NumVgprs: 118
; ScratchSize: 0
; MemoryBound: 0
; FloatMode: 240
; IeeeMode: 1
; LDSByteSize: 8192 bytes/workgroup (compile time only)
; SGPRBlocks: 4
; VGPRBlocks: 14
; NumSGPRsForWavesPerEU: 34
; NumVGPRsForWavesPerEU: 118
; Occupancy: 12
; WaveLimiterHint : 1
; COMPUTE_PGM_RSRC2:SCRATCH_EN: 0
; COMPUTE_PGM_RSRC2:USER_SGPR: 13
; COMPUTE_PGM_RSRC2:TRAP_HANDLER: 0
; COMPUTE_PGM_RSRC2:TGID_X_EN: 1
; COMPUTE_PGM_RSRC2:TGID_Y_EN: 1
; COMPUTE_PGM_RSRC2:TGID_Z_EN: 1
; COMPUTE_PGM_RSRC2:TIDIG_COMP_CNT: 1
	.section	.text._ZL37rocblas_syrkx_herkx_restricted_kernelIl19rocblas_complex_numIdELi16ELi32ELi8ELb1ELb0ELc84ELc85EKS1_S1_EviT_T0_PT8_S3_lS6_S3_lS4_PT9_S3_li,"axG",@progbits,_ZL37rocblas_syrkx_herkx_restricted_kernelIl19rocblas_complex_numIdELi16ELi32ELi8ELb1ELb0ELc84ELc85EKS1_S1_EviT_T0_PT8_S3_lS6_S3_lS4_PT9_S3_li,comdat
	.globl	_ZL37rocblas_syrkx_herkx_restricted_kernelIl19rocblas_complex_numIdELi16ELi32ELi8ELb1ELb0ELc84ELc85EKS1_S1_EviT_T0_PT8_S3_lS6_S3_lS4_PT9_S3_li ; -- Begin function _ZL37rocblas_syrkx_herkx_restricted_kernelIl19rocblas_complex_numIdELi16ELi32ELi8ELb1ELb0ELc84ELc85EKS1_S1_EviT_T0_PT8_S3_lS6_S3_lS4_PT9_S3_li
	.p2align	8
	.type	_ZL37rocblas_syrkx_herkx_restricted_kernelIl19rocblas_complex_numIdELi16ELi32ELi8ELb1ELb0ELc84ELc85EKS1_S1_EviT_T0_PT8_S3_lS6_S3_lS4_PT9_S3_li,@function
_ZL37rocblas_syrkx_herkx_restricted_kernelIl19rocblas_complex_numIdELi16ELi32ELi8ELb1ELb0ELc84ELc85EKS1_S1_EviT_T0_PT8_S3_lS6_S3_lS4_PT9_S3_li: ; @_ZL37rocblas_syrkx_herkx_restricted_kernelIl19rocblas_complex_numIdELi16ELi32ELi8ELb1ELb0ELc84ELc85EKS1_S1_EviT_T0_PT8_S3_lS6_S3_lS4_PT9_S3_li
; %bb.0:
	s_load_b512 s[16:31], s[0:1], 0x8
	v_mov_b32_e32 v16, 0
	v_dual_mov_b32 v17, 0 :: v_dual_and_b32 v20, 0x3ff, v0
	v_bfe_u32 v21, v0, 10, 10
	s_delay_alu instid0(VALU_DEP_3) | instskip(NEXT) | instid1(VALU_DEP_3)
	v_mov_b32_e32 v12, v16
	v_dual_mov_b32 v14, v16 :: v_dual_mov_b32 v15, v17
	v_dual_mov_b32 v19, v17 :: v_dual_mov_b32 v18, v16
	;; [unrolled: 1-line block ×6, first 2 shown]
	v_mov_b32_e32 v5, v17
	s_lshl_b32 s8, s13, 5
	s_waitcnt lgkmcnt(0)
	v_cmp_lt_i64_e64 s2, s[16:17], 1
	s_lshl_b32 s9, s14, 5
	s_delay_alu instid0(VALU_DEP_1)
	s_and_b32 vcc_lo, exec_lo, s2
	s_cbranch_vccnz .LBB1184_3
; %bb.1:
	v_lshl_add_u32 v2, v21, 4, v20
	v_dual_mov_b32 v1, 0 :: v_dual_and_b32 v0, 7, v20
	s_load_b64 s[2:3], s[0:1], 0x48
	v_lshlrev_b32_e32 v22, 4, v20
	s_delay_alu instid0(VALU_DEP_3)
	v_and_b32_e32 v8, 31, v2
	v_lshrrev_b32_e32 v9, 3, v2
	v_lshrrev_b32_e32 v2, 5, v2
	v_mov_b32_e32 v3, v1
	v_lshlrev_b32_e32 v11, 4, v0
	v_add_nc_u32_e32 v6, s8, v8
	v_add_nc_u32_e32 v10, s9, v9
	s_mul_i32 s5, s27, s15
	s_mul_hi_u32 s6, s26, s15
	s_mul_i32 s4, s26, s15
	v_ashrrev_i32_e32 v7, 31, v6
	v_ashrrev_i32_e32 v12, 31, v10
	v_mad_u64_u32 v[4:5], null, s24, v6, v[2:3]
	v_mul_lo_u32 v3, s25, v6
	s_delay_alu instid0(VALU_DEP_4)
	v_mul_lo_u32 v13, s24, v7
	v_mul_lo_u32 v14, v10, s31
	v_mad_u64_u32 v[6:7], null, v10, s30, v[0:1]
	v_mul_lo_u32 v0, v12, s30
	v_lshlrev_b32_e32 v1, 4, v8
	s_add_i32 s5, s6, s5
	s_waitcnt lgkmcnt(0)
	s_mul_i32 s3, s3, s15
	v_add3_u32 v5, v3, v5, v13
	s_lshl_b64 s[4:5], s[4:5], 4
	v_lshl_or_b32 v23, v2, 9, v1
	s_mul_hi_u32 s6, s2, s15
	v_add3_u32 v7, v0, v7, v14
	v_lshlrev_b64 v[0:1], 4, v[4:5]
	s_add_u32 s4, s22, s4
	s_addc_u32 s5, s23, s5
	s_add_i32 s3, s6, s3
	s_mul_i32 s2, s2, s15
	v_lshlrev_b64 v[2:3], 4, v[6:7]
	s_lshl_b64 s[2:3], s[2:3], 4
	v_add_co_u32 v0, vcc_lo, s4, v0
	s_add_u32 s2, s28, s2
	v_add_co_ci_u32_e32 v1, vcc_lo, s5, v1, vcc_lo
	v_mov_b32_e32 v4, 0
	v_lshl_or_b32 v8, v9, 7, v11
	s_addc_u32 s3, s29, s3
	v_add_co_u32 v2, vcc_lo, s2, v2
	v_mov_b32_e32 v5, 0
	v_add_co_ci_u32_e32 v3, vcc_lo, s3, v3, vcc_lo
	v_add_co_u32 v0, vcc_lo, v0, 8
	s_delay_alu instid0(VALU_DEP_3)
	v_dual_mov_b32 v9, v5 :: v_dual_add_nc_u32 v24, 0x1000, v8
	v_add_co_ci_u32_e32 v1, vcc_lo, 0, v1, vcc_lo
	v_mov_b32_e32 v11, v5
	v_add_co_u32 v2, vcc_lo, v2, 8
	v_dual_mov_b32 v10, v4 :: v_dual_mov_b32 v15, v5
	v_dual_mov_b32 v8, v4 :: v_dual_mov_b32 v13, v5
	v_dual_mov_b32 v7, v5 :: v_dual_mov_b32 v14, v4
	v_dual_mov_b32 v19, v5 :: v_dual_mov_b32 v12, v4
	v_mov_b32_e32 v17, v5
	v_lshl_add_u32 v25, v21, 7, 0x1000
	v_add_co_ci_u32_e32 v3, vcc_lo, 0, v3, vcc_lo
	v_mov_b32_e32 v6, v4
	v_mov_b32_e32 v18, v4
	;; [unrolled: 1-line block ×3, first 2 shown]
	s_mov_b64 s[2:3], 0
.LBB1184_2:                             ; =>This Inner Loop Header: Depth=1
	global_load_b128 v[26:29], v[0:1], off offset:-8
	global_load_b128 v[30:33], v[2:3], off offset:-8
	s_add_u32 s2, s2, 8
	v_add_co_u32 v0, vcc_lo, 0x80, v0
	s_addc_u32 s3, s3, 0
	v_add_co_ci_u32_e32 v1, vcc_lo, 0, v1, vcc_lo
	v_cmp_ge_u64_e64 s4, s[2:3], s[16:17]
	v_add_co_u32 v2, vcc_lo, 0x80, v2
	v_add_co_ci_u32_e32 v3, vcc_lo, 0, v3, vcc_lo
	s_waitcnt vmcnt(1)
	ds_store_b128 v23, v[26:29]
	s_waitcnt vmcnt(0)
	ds_store_b128 v24, v[30:33]
	s_waitcnt lgkmcnt(0)
	s_barrier
	buffer_gl0_inv
	ds_load_b128 v[26:29], v25
	ds_load_b128 v[30:33], v22
	ds_load_b128 v[34:37], v22 offset:256
	ds_load_b128 v[38:41], v25 offset:2048
	;; [unrolled: 1-line block ×13, first 2 shown]
	s_and_b32 vcc_lo, exec_lo, s4
	s_waitcnt lgkmcnt(13)
	v_mul_f64 v[86:87], v[28:29], v[32:33]
	v_mul_f64 v[88:89], v[26:27], v[32:33]
	s_waitcnt lgkmcnt(12)
	v_mul_f64 v[90:91], v[28:29], v[36:37]
	v_mul_f64 v[92:93], v[26:27], v[36:37]
	s_waitcnt lgkmcnt(11)
	v_mul_f64 v[94:95], v[40:41], v[32:33]
	v_mul_f64 v[32:33], v[38:39], v[32:33]
	v_mul_f64 v[96:97], v[40:41], v[36:37]
	v_mul_f64 v[36:37], v[38:39], v[36:37]
	s_waitcnt lgkmcnt(8)
	v_mul_f64 v[98:99], v[44:45], v[52:53]
	v_mul_f64 v[100:101], v[42:43], v[52:53]
	s_waitcnt lgkmcnt(7)
	v_mul_f64 v[102:103], v[44:45], v[56:57]
	v_mul_f64 v[104:105], v[42:43], v[56:57]
	;; [unrolled: 1-line block ×6, first 2 shown]
	s_waitcnt lgkmcnt(3)
	v_mul_f64 v[112:113], v[58:59], v[72:73]
	s_waitcnt lgkmcnt(2)
	v_mul_f64 v[114:115], v[76:77], v[68:69]
	v_mul_f64 v[116:117], v[76:77], v[72:73]
	v_fma_f64 v[86:87], v[26:27], v[30:31], -v[86:87]
	v_fma_f64 v[88:89], v[28:29], v[30:31], v[88:89]
	v_fma_f64 v[90:91], v[26:27], v[34:35], -v[90:91]
	v_fma_f64 v[92:93], v[28:29], v[34:35], v[92:93]
	;; [unrolled: 2-line block ×4, first 2 shown]
	v_mul_f64 v[36:37], v[60:61], v[68:69]
	v_mul_f64 v[40:41], v[58:59], v[68:69]
	v_mul_f64 v[96:97], v[60:61], v[72:73]
	v_mul_f64 v[68:69], v[74:75], v[68:69]
	v_mul_f64 v[72:73], v[74:75], v[72:73]
	v_fma_f64 v[98:99], v[42:43], v[50:51], -v[98:99]
	v_fma_f64 v[100:101], v[44:45], v[50:51], v[100:101]
	v_fma_f64 v[42:43], v[42:43], v[54:55], -v[102:103]
	v_fma_f64 v[44:45], v[44:45], v[54:55], v[104:105]
	;; [unrolled: 2-line block ×4, first 2 shown]
	ds_load_b128 v[26:29], v22 offset:1792
	ds_load_b128 v[30:33], v22 offset:2048
	s_waitcnt lgkmcnt(2)
	v_mul_f64 v[56:57], v[64:65], v[84:85]
	v_add_f64 v[16:17], v[16:17], v[86:87]
	v_add_f64 v[18:19], v[18:19], v[88:89]
	;; [unrolled: 1-line block ×8, first 2 shown]
	v_mul_f64 v[86:87], v[62:63], v[84:85]
	s_waitcnt lgkmcnt(1)
	v_mul_f64 v[88:89], v[64:65], v[28:29]
	v_mul_f64 v[90:91], v[62:63], v[28:29]
	;; [unrolled: 1-line block ×6, first 2 shown]
	v_fma_f64 v[104:105], v[58:59], v[66:67], -v[36:37]
	v_fma_f64 v[106:107], v[60:61], v[66:67], v[40:41]
	v_fma_f64 v[58:59], v[58:59], v[70:71], -v[96:97]
	v_fma_f64 v[60:61], v[60:61], v[70:71], v[112:113]
	;; [unrolled: 2-line block ×4, first 2 shown]
	ds_load_b128 v[4:7], v22 offset:2304
	ds_load_b128 v[8:11], v25 offset:64
	v_fma_f64 v[56:57], v[62:63], v[82:83], -v[56:57]
	v_add_f64 v[72:73], v[16:17], v[98:99]
	v_add_f64 v[74:75], v[18:19], v[100:101]
	;; [unrolled: 1-line block ×8, first 2 shown]
	ds_load_b128 v[12:15], v25 offset:2112
	ds_load_b128 v[16:19], v25 offset:80
	;; [unrolled: 1-line block ×4, first 2 shown]
	s_waitcnt lgkmcnt(4)
	v_mul_f64 v[54:55], v[10:11], v[32:33]
	v_mul_f64 v[76:77], v[8:9], v[32:33]
	;; [unrolled: 1-line block ×4, first 2 shown]
	v_fma_f64 v[86:87], v[64:65], v[82:83], v[86:87]
	v_fma_f64 v[62:63], v[62:63], v[26:27], -v[88:89]
	v_fma_f64 v[64:65], v[64:65], v[26:27], v[90:91]
	v_fma_f64 v[88:89], v[78:79], v[82:83], -v[92:93]
	;; [unrolled: 2-line block ×3, first 2 shown]
	v_fma_f64 v[80:81], v[80:81], v[26:27], v[28:29]
	s_waitcnt lgkmcnt(3)
	v_mul_f64 v[102:103], v[14:15], v[32:33]
	v_mul_f64 v[32:33], v[12:13], v[32:33]
	v_mul_f64 v[108:109], v[14:15], v[6:7]
	v_mul_f64 v[6:7], v[12:13], v[6:7]
	s_waitcnt lgkmcnt(0)
	v_mul_f64 v[90:91], v[18:19], v[40:41]
	v_mul_f64 v[92:93], v[16:17], v[40:41]
	v_add_f64 v[72:73], v[72:73], v[104:105]
	v_add_f64 v[74:75], v[74:75], v[106:107]
	;; [unrolled: 1-line block ×8, first 2 shown]
	ds_load_b128 v[26:29], v22 offset:2816
	ds_load_b128 v[42:45], v22 offset:3072
	;; [unrolled: 1-line block ×4, first 2 shown]
	v_mul_f64 v[104:105], v[36:37], v[40:41]
	v_mul_f64 v[40:41], v[34:35], v[40:41]
	v_fma_f64 v[54:55], v[8:9], v[30:31], -v[54:55]
	v_fma_f64 v[76:77], v[10:11], v[30:31], v[76:77]
	v_fma_f64 v[98:99], v[8:9], v[4:5], -v[98:99]
	v_fma_f64 v[100:101], v[10:11], v[4:5], v[100:101]
	s_waitcnt lgkmcnt(3)
	v_mul_f64 v[94:95], v[18:19], v[28:29]
	v_mul_f64 v[96:97], v[16:17], v[28:29]
	;; [unrolled: 1-line block ×4, first 2 shown]
	v_fma_f64 v[102:103], v[12:13], v[30:31], -v[102:103]
	v_fma_f64 v[32:33], v[14:15], v[30:31], v[32:33]
	v_fma_f64 v[108:109], v[12:13], v[4:5], -v[108:109]
	v_fma_f64 v[112:113], v[14:15], v[4:5], v[6:7]
	ds_load_b128 v[4:7], v25 offset:2144
	ds_load_b128 v[8:11], v25 offset:112
	;; [unrolled: 1-line block ×4, first 2 shown]
	v_add_f64 v[56:57], v[72:73], v[56:57]
	v_add_f64 v[72:73], v[74:75], v[86:87]
	;; [unrolled: 1-line block ×8, first 2 shown]
	s_waitcnt lgkmcnt(4)
	v_mul_f64 v[70:71], v[52:53], v[44:45]
	v_mul_f64 v[74:75], v[50:51], v[44:45]
	;; [unrolled: 1-line block ×4, first 2 shown]
	s_waitcnt lgkmcnt(3)
	v_mul_f64 v[82:83], v[6:7], v[44:45]
	v_mul_f64 v[44:45], v[4:5], v[44:45]
	;; [unrolled: 1-line block ×4, first 2 shown]
	v_fma_f64 v[86:87], v[16:17], v[38:39], -v[90:91]
	v_fma_f64 v[88:89], v[18:19], v[38:39], v[92:93]
	v_fma_f64 v[90:91], v[16:17], v[26:27], -v[94:95]
	v_fma_f64 v[92:93], v[18:19], v[26:27], v[96:97]
	v_fma_f64 v[94:95], v[34:35], v[38:39], -v[104:105]
	v_fma_f64 v[38:39], v[36:37], v[38:39], v[40:41]
	v_fma_f64 v[34:35], v[34:35], v[26:27], -v[106:107]
	v_fma_f64 v[26:27], v[36:37], v[26:27], v[110:111]
	ds_load_b128 v[16:19], v22 offset:3840
	s_waitcnt lgkmcnt(0)
	s_barrier
	buffer_gl0_inv
	v_add_f64 v[36:37], v[56:57], v[54:55]
	v_add_f64 v[40:41], v[72:73], v[76:77]
	;; [unrolled: 1-line block ×8, first 2 shown]
	v_mul_f64 v[64:65], v[10:11], v[30:31]
	v_mul_f64 v[66:67], v[8:9], v[30:31]
	;; [unrolled: 1-line block ×4, first 2 shown]
	v_fma_f64 v[70:71], v[50:51], v[42:43], -v[70:71]
	v_mul_f64 v[68:69], v[10:11], v[18:19]
	v_mul_f64 v[72:73], v[8:9], v[18:19]
	;; [unrolled: 1-line block ×4, first 2 shown]
	v_fma_f64 v[74:75], v[52:53], v[42:43], v[74:75]
	v_fma_f64 v[50:51], v[50:51], v[46:47], -v[78:79]
	v_fma_f64 v[52:53], v[52:53], v[46:47], v[80:81]
	v_fma_f64 v[78:79], v[4:5], v[42:43], -v[82:83]
	;; [unrolled: 2-line block ×3, first 2 shown]
	v_fma_f64 v[6:7], v[6:7], v[46:47], v[48:49]
	v_add_f64 v[36:37], v[36:37], v[86:87]
	v_add_f64 v[40:41], v[40:41], v[88:89]
	v_add_f64 v[44:45], v[54:55], v[90:91]
	v_add_f64 v[46:47], v[56:57], v[92:93]
	v_add_f64 v[48:49], v[58:59], v[94:95]
	v_add_f64 v[32:33], v[32:33], v[38:39]
	v_add_f64 v[34:35], v[60:61], v[34:35]
	v_add_f64 v[26:27], v[62:63], v[26:27]
	v_fma_f64 v[38:39], v[8:9], v[28:29], -v[64:65]
	v_fma_f64 v[54:55], v[10:11], v[28:29], v[66:67]
	v_fma_f64 v[56:57], v[12:13], v[28:29], -v[76:77]
	v_fma_f64 v[28:29], v[14:15], v[28:29], v[30:31]
	;; [unrolled: 2-line block ×4, first 2 shown]
	v_add_f64 v[12:13], v[36:37], v[70:71]
	v_add_f64 v[14:15], v[40:41], v[74:75]
	;; [unrolled: 1-line block ×16, first 2 shown]
	s_cbranch_vccz .LBB1184_2
.LBB1184_3:
	s_clause 0x1
	s_load_b128 s[4:7], s[0:1], 0x60
	s_load_b32 s2, s[0:1], 0x0
	v_add_nc_u32_e32 v21, s9, v21
	s_load_b64 s[10:11], s[0:1], 0x70
	s_delay_alu instid0(VALU_DEP_1) | instskip(SKIP_1) | instid1(VALU_DEP_1)
	v_ashrrev_i32_e32 v0, 31, v21
	s_waitcnt lgkmcnt(0)
	v_mul_lo_u32 v3, v0, s6
	v_mul_lo_u32 v22, v21, s7
	v_mad_u64_u32 v[1:2], null, v21, s6, 0
	s_mul_i32 s1, s15, s11
	s_mul_hi_u32 s3, s15, s10
	v_add_nc_u32_e32 v0, s8, v20
	s_mul_i32 s8, s15, s10
	s_add_i32 s9, s3, s1
	v_cmp_gt_i32_e32 vcc_lo, s2, v21
	s_delay_alu instid0(VALU_DEP_3)
	v_add3_u32 v2, v2, v22, v3
	s_lshl_b64 s[8:9], s[8:9], 4
	v_cmp_le_i32_e64 s0, v0, v21
	s_add_u32 s3, s4, s8
	s_addc_u32 s4, s5, s9
	v_lshlrev_b64 v[1:2], 4, v[1:2]
	s_delay_alu instid0(VALU_DEP_2) | instskip(NEXT) | instid1(VALU_DEP_1)
	s_and_b32 s0, vcc_lo, s0
	v_add_co_u32 v20, s1, s3, v1
	s_delay_alu instid0(VALU_DEP_1)
	v_add_co_ci_u32_e64 v22, s1, s4, v2, s1
	s_and_saveexec_b32 s1, s0
	s_cbranch_execz .LBB1184_5
; %bb.4:
	v_mul_f64 v[1:2], s[20:21], v[18:19]
	v_mul_f64 v[18:19], s[18:19], v[18:19]
	s_delay_alu instid0(VALU_DEP_2) | instskip(NEXT) | instid1(VALU_DEP_2)
	v_fma_f64 v[23:24], s[18:19], v[16:17], -v[1:2]
	v_fma_f64 v[25:26], s[20:21], v[16:17], v[18:19]
	v_ashrrev_i32_e32 v1, 31, v0
	s_delay_alu instid0(VALU_DEP_1) | instskip(NEXT) | instid1(VALU_DEP_1)
	v_lshlrev_b64 v[1:2], 4, v[0:1]
	v_add_co_u32 v1, s0, v20, v1
	s_delay_alu instid0(VALU_DEP_1)
	v_add_co_ci_u32_e64 v2, s0, v22, v2, s0
	global_store_b128 v[1:2], v[23:26], off
.LBB1184_5:
	s_or_b32 exec_lo, exec_lo, s1
	v_add_nc_u32_e32 v2, 16, v0
	s_delay_alu instid0(VALU_DEP_1) | instskip(NEXT) | instid1(VALU_DEP_1)
	v_cmp_le_i32_e64 s0, v2, v21
	s_and_b32 s1, vcc_lo, s0
	s_delay_alu instid0(SALU_CYCLE_1)
	s_and_saveexec_b32 s0, s1
	s_cbranch_execz .LBB1184_7
; %bb.6:
	v_mul_f64 v[16:17], s[20:21], v[14:15]
	v_mul_f64 v[18:19], s[18:19], v[14:15]
	v_ashrrev_i32_e32 v3, 31, v2
	s_delay_alu instid0(VALU_DEP_3) | instskip(NEXT) | instid1(VALU_DEP_3)
	v_fma_f64 v[14:15], s[18:19], v[12:13], -v[16:17]
	v_fma_f64 v[16:17], s[20:21], v[12:13], v[18:19]
	s_delay_alu instid0(VALU_DEP_3) | instskip(NEXT) | instid1(VALU_DEP_1)
	v_lshlrev_b64 v[12:13], 4, v[2:3]
	v_add_co_u32 v12, vcc_lo, v20, v12
	s_delay_alu instid0(VALU_DEP_2)
	v_add_co_ci_u32_e32 v13, vcc_lo, v22, v13, vcc_lo
	global_store_b128 v[12:13], v[14:17], off
.LBB1184_7:
	s_or_b32 exec_lo, exec_lo, s0
	v_add_nc_u32_e32 v3, 16, v21
	s_delay_alu instid0(VALU_DEP_1) | instskip(SKIP_3) | instid1(VALU_DEP_4)
	v_ashrrev_i32_e32 v1, 31, v3
	v_mul_lo_u32 v14, v3, s7
	v_mad_u64_u32 v[12:13], null, v3, s6, 0
	v_cmp_gt_i32_e32 vcc_lo, s2, v3
	v_mul_lo_u32 v1, v1, s6
	v_cmp_le_i32_e64 s0, v0, v3
	s_delay_alu instid0(VALU_DEP_1) | instskip(NEXT) | instid1(VALU_DEP_2)
	s_and_b32 s0, vcc_lo, s0
	v_add3_u32 v13, v13, v14, v1
	s_delay_alu instid0(VALU_DEP_1) | instskip(NEXT) | instid1(VALU_DEP_1)
	v_lshlrev_b64 v[12:13], 4, v[12:13]
	v_add_co_u32 v12, s1, s3, v12
	s_delay_alu instid0(VALU_DEP_1)
	v_add_co_ci_u32_e64 v13, s1, s4, v13, s1
	s_and_saveexec_b32 s1, s0
	s_cbranch_execz .LBB1184_9
; %bb.8:
	v_mul_f64 v[14:15], s[20:21], v[10:11]
	v_mul_f64 v[10:11], s[18:19], v[10:11]
	v_ashrrev_i32_e32 v1, 31, v0
	s_delay_alu instid0(VALU_DEP_1) | instskip(NEXT) | instid1(VALU_DEP_1)
	v_lshlrev_b64 v[0:1], 4, v[0:1]
	v_add_co_u32 v0, s0, v12, v0
	s_delay_alu instid0(VALU_DEP_1)
	v_add_co_ci_u32_e64 v1, s0, v13, v1, s0
	v_fma_f64 v[14:15], s[18:19], v[8:9], -v[14:15]
	v_fma_f64 v[16:17], s[20:21], v[8:9], v[10:11]
	global_store_b128 v[0:1], v[14:17], off
.LBB1184_9:
	s_or_b32 exec_lo, exec_lo, s1
	v_cmp_le_i32_e64 s0, v2, v3
	s_delay_alu instid0(VALU_DEP_1) | instskip(NEXT) | instid1(SALU_CYCLE_1)
	s_and_b32 s0, vcc_lo, s0
	s_and_saveexec_b32 s1, s0
	s_cbranch_execz .LBB1184_11
; %bb.10:
	v_mul_f64 v[0:1], s[20:21], v[4:5]
	v_mul_f64 v[8:9], s[18:19], v[4:5]
	v_ashrrev_i32_e32 v3, 31, v2
	s_delay_alu instid0(VALU_DEP_3) | instskip(NEXT) | instid1(VALU_DEP_3)
	v_fma_f64 v[4:5], s[18:19], v[6:7], -v[0:1]
	v_fma_f64 v[6:7], s[20:21], v[6:7], v[8:9]
	s_delay_alu instid0(VALU_DEP_3) | instskip(NEXT) | instid1(VALU_DEP_1)
	v_lshlrev_b64 v[0:1], 4, v[2:3]
	v_add_co_u32 v0, vcc_lo, v12, v0
	s_delay_alu instid0(VALU_DEP_2)
	v_add_co_ci_u32_e32 v1, vcc_lo, v13, v1, vcc_lo
	global_store_b128 v[0:1], v[4:7], off
.LBB1184_11:
	s_nop 0
	s_sendmsg sendmsg(MSG_DEALLOC_VGPRS)
	s_endpgm
	.section	.rodata,"a",@progbits
	.p2align	6, 0x0
	.amdhsa_kernel _ZL37rocblas_syrkx_herkx_restricted_kernelIl19rocblas_complex_numIdELi16ELi32ELi8ELb1ELb0ELc84ELc85EKS1_S1_EviT_T0_PT8_S3_lS6_S3_lS4_PT9_S3_li
		.amdhsa_group_segment_fixed_size 8192
		.amdhsa_private_segment_fixed_size 0
		.amdhsa_kernarg_size 124
		.amdhsa_user_sgpr_count 13
		.amdhsa_user_sgpr_dispatch_ptr 0
		.amdhsa_user_sgpr_queue_ptr 0
		.amdhsa_user_sgpr_kernarg_segment_ptr 1
		.amdhsa_user_sgpr_dispatch_id 0
		.amdhsa_user_sgpr_private_segment_size 0
		.amdhsa_wavefront_size32 1
		.amdhsa_uses_dynamic_stack 0
		.amdhsa_enable_private_segment 0
		.amdhsa_system_sgpr_workgroup_id_x 1
		.amdhsa_system_sgpr_workgroup_id_y 1
		.amdhsa_system_sgpr_workgroup_id_z 1
		.amdhsa_system_sgpr_workgroup_info 0
		.amdhsa_system_vgpr_workitem_id 1
		.amdhsa_next_free_vgpr 118
		.amdhsa_next_free_sgpr 32
		.amdhsa_reserve_vcc 1
		.amdhsa_float_round_mode_32 0
		.amdhsa_float_round_mode_16_64 0
		.amdhsa_float_denorm_mode_32 3
		.amdhsa_float_denorm_mode_16_64 3
		.amdhsa_dx10_clamp 1
		.amdhsa_ieee_mode 1
		.amdhsa_fp16_overflow 0
		.amdhsa_workgroup_processor_mode 1
		.amdhsa_memory_ordered 1
		.amdhsa_forward_progress 0
		.amdhsa_shared_vgpr_count 0
		.amdhsa_exception_fp_ieee_invalid_op 0
		.amdhsa_exception_fp_denorm_src 0
		.amdhsa_exception_fp_ieee_div_zero 0
		.amdhsa_exception_fp_ieee_overflow 0
		.amdhsa_exception_fp_ieee_underflow 0
		.amdhsa_exception_fp_ieee_inexact 0
		.amdhsa_exception_int_div_zero 0
	.end_amdhsa_kernel
	.section	.text._ZL37rocblas_syrkx_herkx_restricted_kernelIl19rocblas_complex_numIdELi16ELi32ELi8ELb1ELb0ELc84ELc85EKS1_S1_EviT_T0_PT8_S3_lS6_S3_lS4_PT9_S3_li,"axG",@progbits,_ZL37rocblas_syrkx_herkx_restricted_kernelIl19rocblas_complex_numIdELi16ELi32ELi8ELb1ELb0ELc84ELc85EKS1_S1_EviT_T0_PT8_S3_lS6_S3_lS4_PT9_S3_li,comdat
.Lfunc_end1184:
	.size	_ZL37rocblas_syrkx_herkx_restricted_kernelIl19rocblas_complex_numIdELi16ELi32ELi8ELb1ELb0ELc84ELc85EKS1_S1_EviT_T0_PT8_S3_lS6_S3_lS4_PT9_S3_li, .Lfunc_end1184-_ZL37rocblas_syrkx_herkx_restricted_kernelIl19rocblas_complex_numIdELi16ELi32ELi8ELb1ELb0ELc84ELc85EKS1_S1_EviT_T0_PT8_S3_lS6_S3_lS4_PT9_S3_li
                                        ; -- End function
	.section	.AMDGPU.csdata,"",@progbits
; Kernel info:
; codeLenInByte = 3136
; NumSgprs: 34
; NumVgprs: 118
; ScratchSize: 0
; MemoryBound: 0
; FloatMode: 240
; IeeeMode: 1
; LDSByteSize: 8192 bytes/workgroup (compile time only)
; SGPRBlocks: 4
; VGPRBlocks: 14
; NumSGPRsForWavesPerEU: 34
; NumVGPRsForWavesPerEU: 118
; Occupancy: 12
; WaveLimiterHint : 1
; COMPUTE_PGM_RSRC2:SCRATCH_EN: 0
; COMPUTE_PGM_RSRC2:USER_SGPR: 13
; COMPUTE_PGM_RSRC2:TRAP_HANDLER: 0
; COMPUTE_PGM_RSRC2:TGID_X_EN: 1
; COMPUTE_PGM_RSRC2:TGID_Y_EN: 1
; COMPUTE_PGM_RSRC2:TGID_Z_EN: 1
; COMPUTE_PGM_RSRC2:TIDIG_COMP_CNT: 1
	.section	.text._ZL37rocblas_syrkx_herkx_restricted_kernelIl19rocblas_complex_numIdELi16ELi32ELi8ELb1ELb0ELc67ELc85EKS1_S1_EviT_T0_PT8_S3_lS6_S3_lS4_PT9_S3_li,"axG",@progbits,_ZL37rocblas_syrkx_herkx_restricted_kernelIl19rocblas_complex_numIdELi16ELi32ELi8ELb1ELb0ELc67ELc85EKS1_S1_EviT_T0_PT8_S3_lS6_S3_lS4_PT9_S3_li,comdat
	.globl	_ZL37rocblas_syrkx_herkx_restricted_kernelIl19rocblas_complex_numIdELi16ELi32ELi8ELb1ELb0ELc67ELc85EKS1_S1_EviT_T0_PT8_S3_lS6_S3_lS4_PT9_S3_li ; -- Begin function _ZL37rocblas_syrkx_herkx_restricted_kernelIl19rocblas_complex_numIdELi16ELi32ELi8ELb1ELb0ELc67ELc85EKS1_S1_EviT_T0_PT8_S3_lS6_S3_lS4_PT9_S3_li
	.p2align	8
	.type	_ZL37rocblas_syrkx_herkx_restricted_kernelIl19rocblas_complex_numIdELi16ELi32ELi8ELb1ELb0ELc67ELc85EKS1_S1_EviT_T0_PT8_S3_lS6_S3_lS4_PT9_S3_li,@function
_ZL37rocblas_syrkx_herkx_restricted_kernelIl19rocblas_complex_numIdELi16ELi32ELi8ELb1ELb0ELc67ELc85EKS1_S1_EviT_T0_PT8_S3_lS6_S3_lS4_PT9_S3_li: ; @_ZL37rocblas_syrkx_herkx_restricted_kernelIl19rocblas_complex_numIdELi16ELi32ELi8ELb1ELb0ELc67ELc85EKS1_S1_EviT_T0_PT8_S3_lS6_S3_lS4_PT9_S3_li
; %bb.0:
	s_load_b512 s[16:31], s[0:1], 0x8
	v_mov_b32_e32 v16, 0
	v_dual_mov_b32 v17, 0 :: v_dual_and_b32 v20, 0x3ff, v0
	v_bfe_u32 v21, v0, 10, 10
	s_delay_alu instid0(VALU_DEP_3) | instskip(NEXT) | instid1(VALU_DEP_3)
	v_mov_b32_e32 v12, v16
	v_dual_mov_b32 v14, v16 :: v_dual_mov_b32 v15, v17
	v_dual_mov_b32 v19, v17 :: v_dual_mov_b32 v18, v16
	;; [unrolled: 1-line block ×6, first 2 shown]
	v_mov_b32_e32 v5, v17
	s_lshl_b32 s8, s13, 5
	s_waitcnt lgkmcnt(0)
	v_cmp_lt_i64_e64 s2, s[16:17], 1
	s_lshl_b32 s9, s14, 5
	s_delay_alu instid0(VALU_DEP_1)
	s_and_b32 vcc_lo, exec_lo, s2
	s_cbranch_vccnz .LBB1185_3
; %bb.1:
	v_lshl_add_u32 v2, v21, 4, v20
	v_dual_mov_b32 v1, 0 :: v_dual_and_b32 v0, 7, v20
	s_load_b64 s[2:3], s[0:1], 0x48
	v_lshlrev_b32_e32 v22, 4, v20
	s_delay_alu instid0(VALU_DEP_3)
	v_and_b32_e32 v8, 31, v2
	v_lshrrev_b32_e32 v9, 3, v2
	v_lshrrev_b32_e32 v2, 5, v2
	v_mov_b32_e32 v3, v1
	v_lshlrev_b32_e32 v11, 4, v0
	v_add_nc_u32_e32 v6, s8, v8
	v_add_nc_u32_e32 v10, s9, v9
	s_mul_i32 s5, s27, s15
	s_mul_hi_u32 s6, s26, s15
	s_mul_i32 s4, s26, s15
	v_ashrrev_i32_e32 v7, 31, v6
	v_ashrrev_i32_e32 v12, 31, v10
	v_mad_u64_u32 v[4:5], null, s24, v6, v[2:3]
	v_mul_lo_u32 v3, s25, v6
	s_delay_alu instid0(VALU_DEP_4)
	v_mul_lo_u32 v13, s24, v7
	v_mul_lo_u32 v14, v10, s31
	v_mad_u64_u32 v[6:7], null, v10, s30, v[0:1]
	v_mul_lo_u32 v0, v12, s30
	v_lshlrev_b32_e32 v1, 4, v8
	s_add_i32 s5, s6, s5
	s_waitcnt lgkmcnt(0)
	s_mul_i32 s3, s3, s15
	v_add3_u32 v5, v3, v5, v13
	s_lshl_b64 s[4:5], s[4:5], 4
	v_lshl_or_b32 v23, v2, 9, v1
	s_mul_hi_u32 s6, s2, s15
	v_add3_u32 v7, v0, v7, v14
	v_lshlrev_b64 v[0:1], 4, v[4:5]
	s_add_u32 s4, s22, s4
	s_addc_u32 s5, s23, s5
	s_add_i32 s3, s6, s3
	s_mul_i32 s2, s2, s15
	v_lshlrev_b64 v[2:3], 4, v[6:7]
	s_lshl_b64 s[2:3], s[2:3], 4
	v_add_co_u32 v0, vcc_lo, s4, v0
	s_add_u32 s2, s28, s2
	v_add_co_ci_u32_e32 v1, vcc_lo, s5, v1, vcc_lo
	v_mov_b32_e32 v4, 0
	v_lshl_or_b32 v8, v9, 7, v11
	s_addc_u32 s3, s29, s3
	v_add_co_u32 v2, vcc_lo, s2, v2
	v_mov_b32_e32 v5, 0
	v_add_co_ci_u32_e32 v3, vcc_lo, s3, v3, vcc_lo
	v_add_co_u32 v0, vcc_lo, v0, 8
	s_delay_alu instid0(VALU_DEP_3)
	v_dual_mov_b32 v9, v5 :: v_dual_add_nc_u32 v24, 0x1000, v8
	v_add_co_ci_u32_e32 v1, vcc_lo, 0, v1, vcc_lo
	v_mov_b32_e32 v11, v5
	v_add_co_u32 v2, vcc_lo, v2, 8
	v_dual_mov_b32 v10, v4 :: v_dual_mov_b32 v15, v5
	v_dual_mov_b32 v8, v4 :: v_dual_mov_b32 v13, v5
	;; [unrolled: 1-line block ×4, first 2 shown]
	v_mov_b32_e32 v17, v5
	v_lshl_add_u32 v25, v21, 7, 0x1000
	v_add_co_ci_u32_e32 v3, vcc_lo, 0, v3, vcc_lo
	v_mov_b32_e32 v6, v4
	v_mov_b32_e32 v18, v4
	;; [unrolled: 1-line block ×3, first 2 shown]
	s_mov_b64 s[2:3], 0
.LBB1185_2:                             ; =>This Inner Loop Header: Depth=1
	global_load_b128 v[26:29], v[0:1], off offset:-8
	global_load_b128 v[30:33], v[2:3], off offset:-8
	s_add_u32 s2, s2, 8
	v_add_co_u32 v0, vcc_lo, 0x80, v0
	s_addc_u32 s3, s3, 0
	v_add_co_ci_u32_e32 v1, vcc_lo, 0, v1, vcc_lo
	v_cmp_ge_u64_e64 s4, s[2:3], s[16:17]
	v_add_co_u32 v2, vcc_lo, 0x80, v2
	v_add_co_ci_u32_e32 v3, vcc_lo, 0, v3, vcc_lo
	s_waitcnt vmcnt(1)
	ds_store_b128 v23, v[26:29]
	s_waitcnt vmcnt(0)
	ds_store_b128 v24, v[30:33]
	s_waitcnt lgkmcnt(0)
	s_barrier
	buffer_gl0_inv
	ds_load_b128 v[26:29], v25
	ds_load_b128 v[30:33], v22
	ds_load_b128 v[34:37], v22 offset:256
	ds_load_b128 v[38:41], v25 offset:2048
	;; [unrolled: 1-line block ×13, first 2 shown]
	s_and_b32 vcc_lo, exec_lo, s4
	s_waitcnt lgkmcnt(13)
	v_mul_f64 v[86:87], v[28:29], v[32:33]
	v_mul_f64 v[88:89], v[26:27], v[32:33]
	s_waitcnt lgkmcnt(12)
	v_mul_f64 v[90:91], v[28:29], v[36:37]
	v_mul_f64 v[92:93], v[26:27], v[36:37]
	;; [unrolled: 3-line block ×3, first 2 shown]
	v_mul_f64 v[96:97], v[40:41], v[36:37]
	v_mul_f64 v[36:37], v[38:39], v[36:37]
	s_waitcnt lgkmcnt(8)
	v_mul_f64 v[98:99], v[44:45], v[52:53]
	v_mul_f64 v[100:101], v[42:43], v[52:53]
	s_waitcnt lgkmcnt(7)
	v_mul_f64 v[102:103], v[44:45], v[56:57]
	v_mul_f64 v[104:105], v[42:43], v[56:57]
	;; [unrolled: 1-line block ×6, first 2 shown]
	s_waitcnt lgkmcnt(3)
	v_mul_f64 v[112:113], v[58:59], v[72:73]
	s_waitcnt lgkmcnt(2)
	v_mul_f64 v[114:115], v[76:77], v[68:69]
	v_mul_f64 v[116:117], v[76:77], v[72:73]
	v_fma_f64 v[86:87], v[26:27], v[30:31], -v[86:87]
	v_fma_f64 v[88:89], v[28:29], v[30:31], v[88:89]
	v_fma_f64 v[90:91], v[26:27], v[34:35], -v[90:91]
	v_fma_f64 v[92:93], v[28:29], v[34:35], v[92:93]
	;; [unrolled: 2-line block ×4, first 2 shown]
	v_mul_f64 v[36:37], v[60:61], v[68:69]
	v_mul_f64 v[40:41], v[58:59], v[68:69]
	;; [unrolled: 1-line block ×5, first 2 shown]
	v_fma_f64 v[98:99], v[42:43], v[50:51], -v[98:99]
	v_fma_f64 v[100:101], v[44:45], v[50:51], v[100:101]
	v_fma_f64 v[42:43], v[42:43], v[54:55], -v[102:103]
	v_fma_f64 v[44:45], v[44:45], v[54:55], v[104:105]
	;; [unrolled: 2-line block ×4, first 2 shown]
	ds_load_b128 v[26:29], v22 offset:1792
	ds_load_b128 v[30:33], v22 offset:2048
	s_waitcnt lgkmcnt(2)
	v_mul_f64 v[56:57], v[64:65], v[84:85]
	v_add_f64 v[16:17], v[16:17], v[86:87]
	v_add_f64 v[18:19], v[18:19], v[88:89]
	;; [unrolled: 1-line block ×8, first 2 shown]
	v_mul_f64 v[86:87], v[62:63], v[84:85]
	s_waitcnt lgkmcnt(1)
	v_mul_f64 v[88:89], v[64:65], v[28:29]
	v_mul_f64 v[90:91], v[62:63], v[28:29]
	;; [unrolled: 1-line block ×6, first 2 shown]
	v_fma_f64 v[104:105], v[58:59], v[66:67], -v[36:37]
	v_fma_f64 v[106:107], v[60:61], v[66:67], v[40:41]
	v_fma_f64 v[58:59], v[58:59], v[70:71], -v[96:97]
	v_fma_f64 v[60:61], v[60:61], v[70:71], v[112:113]
	v_fma_f64 v[96:97], v[74:75], v[66:67], -v[114:115]
	v_fma_f64 v[66:67], v[76:77], v[66:67], v[68:69]
	v_fma_f64 v[68:69], v[74:75], v[70:71], -v[116:117]
	v_fma_f64 v[70:71], v[76:77], v[70:71], v[72:73]
	ds_load_b128 v[4:7], v22 offset:2304
	ds_load_b128 v[8:11], v25 offset:64
	v_fma_f64 v[56:57], v[62:63], v[82:83], -v[56:57]
	v_add_f64 v[72:73], v[16:17], v[98:99]
	v_add_f64 v[74:75], v[18:19], v[100:101]
	;; [unrolled: 1-line block ×8, first 2 shown]
	ds_load_b128 v[12:15], v25 offset:2112
	ds_load_b128 v[16:19], v25 offset:80
	;; [unrolled: 1-line block ×4, first 2 shown]
	s_waitcnt lgkmcnt(4)
	v_mul_f64 v[54:55], v[10:11], v[32:33]
	v_mul_f64 v[76:77], v[8:9], v[32:33]
	;; [unrolled: 1-line block ×4, first 2 shown]
	v_fma_f64 v[86:87], v[64:65], v[82:83], v[86:87]
	v_fma_f64 v[62:63], v[62:63], v[26:27], -v[88:89]
	v_fma_f64 v[64:65], v[64:65], v[26:27], v[90:91]
	v_fma_f64 v[88:89], v[78:79], v[82:83], -v[92:93]
	;; [unrolled: 2-line block ×3, first 2 shown]
	v_fma_f64 v[80:81], v[80:81], v[26:27], v[28:29]
	s_waitcnt lgkmcnt(3)
	v_mul_f64 v[102:103], v[14:15], v[32:33]
	v_mul_f64 v[32:33], v[12:13], v[32:33]
	;; [unrolled: 1-line block ×4, first 2 shown]
	s_waitcnt lgkmcnt(0)
	v_mul_f64 v[90:91], v[18:19], v[40:41]
	v_mul_f64 v[92:93], v[16:17], v[40:41]
	v_add_f64 v[72:73], v[72:73], v[104:105]
	v_add_f64 v[74:75], v[74:75], v[106:107]
	;; [unrolled: 1-line block ×8, first 2 shown]
	ds_load_b128 v[26:29], v22 offset:2816
	ds_load_b128 v[42:45], v22 offset:3072
	;; [unrolled: 1-line block ×4, first 2 shown]
	v_mul_f64 v[104:105], v[36:37], v[40:41]
	v_mul_f64 v[40:41], v[34:35], v[40:41]
	v_fma_f64 v[54:55], v[8:9], v[30:31], -v[54:55]
	v_fma_f64 v[76:77], v[10:11], v[30:31], v[76:77]
	v_fma_f64 v[98:99], v[8:9], v[4:5], -v[98:99]
	v_fma_f64 v[100:101], v[10:11], v[4:5], v[100:101]
	s_waitcnt lgkmcnt(3)
	v_mul_f64 v[94:95], v[18:19], v[28:29]
	v_mul_f64 v[96:97], v[16:17], v[28:29]
	v_mul_f64 v[106:107], v[36:37], v[28:29]
	v_mul_f64 v[110:111], v[34:35], v[28:29]
	v_fma_f64 v[102:103], v[12:13], v[30:31], -v[102:103]
	v_fma_f64 v[32:33], v[14:15], v[30:31], v[32:33]
	v_fma_f64 v[108:109], v[12:13], v[4:5], -v[108:109]
	v_fma_f64 v[112:113], v[14:15], v[4:5], v[6:7]
	ds_load_b128 v[4:7], v25 offset:2144
	ds_load_b128 v[8:11], v25 offset:112
	;; [unrolled: 1-line block ×4, first 2 shown]
	v_add_f64 v[56:57], v[72:73], v[56:57]
	v_add_f64 v[72:73], v[74:75], v[86:87]
	;; [unrolled: 1-line block ×8, first 2 shown]
	s_waitcnt lgkmcnt(4)
	v_mul_f64 v[70:71], v[52:53], v[44:45]
	v_mul_f64 v[74:75], v[50:51], v[44:45]
	;; [unrolled: 1-line block ×4, first 2 shown]
	s_waitcnt lgkmcnt(3)
	v_mul_f64 v[82:83], v[6:7], v[44:45]
	v_mul_f64 v[44:45], v[4:5], v[44:45]
	;; [unrolled: 1-line block ×4, first 2 shown]
	v_fma_f64 v[86:87], v[16:17], v[38:39], -v[90:91]
	v_fma_f64 v[88:89], v[18:19], v[38:39], v[92:93]
	v_fma_f64 v[90:91], v[16:17], v[26:27], -v[94:95]
	v_fma_f64 v[92:93], v[18:19], v[26:27], v[96:97]
	;; [unrolled: 2-line block ×4, first 2 shown]
	ds_load_b128 v[16:19], v22 offset:3840
	s_waitcnt lgkmcnt(0)
	s_barrier
	buffer_gl0_inv
	v_add_f64 v[36:37], v[56:57], v[54:55]
	v_add_f64 v[40:41], v[72:73], v[76:77]
	;; [unrolled: 1-line block ×8, first 2 shown]
	v_mul_f64 v[64:65], v[10:11], v[30:31]
	v_mul_f64 v[66:67], v[8:9], v[30:31]
	;; [unrolled: 1-line block ×4, first 2 shown]
	v_fma_f64 v[70:71], v[50:51], v[42:43], -v[70:71]
	v_mul_f64 v[68:69], v[10:11], v[18:19]
	v_mul_f64 v[72:73], v[8:9], v[18:19]
	;; [unrolled: 1-line block ×4, first 2 shown]
	v_fma_f64 v[74:75], v[52:53], v[42:43], v[74:75]
	v_fma_f64 v[50:51], v[50:51], v[46:47], -v[78:79]
	v_fma_f64 v[52:53], v[52:53], v[46:47], v[80:81]
	v_fma_f64 v[78:79], v[4:5], v[42:43], -v[82:83]
	;; [unrolled: 2-line block ×3, first 2 shown]
	v_fma_f64 v[6:7], v[6:7], v[46:47], v[48:49]
	v_add_f64 v[36:37], v[36:37], v[86:87]
	v_add_f64 v[40:41], v[40:41], v[88:89]
	;; [unrolled: 1-line block ×8, first 2 shown]
	v_fma_f64 v[38:39], v[8:9], v[28:29], -v[64:65]
	v_fma_f64 v[54:55], v[10:11], v[28:29], v[66:67]
	v_fma_f64 v[56:57], v[12:13], v[28:29], -v[76:77]
	v_fma_f64 v[28:29], v[14:15], v[28:29], v[30:31]
	;; [unrolled: 2-line block ×4, first 2 shown]
	v_add_f64 v[12:13], v[36:37], v[70:71]
	v_add_f64 v[14:15], v[40:41], v[74:75]
	;; [unrolled: 1-line block ×16, first 2 shown]
	s_cbranch_vccz .LBB1185_2
.LBB1185_3:
	s_clause 0x1
	s_load_b128 s[4:7], s[0:1], 0x60
	s_load_b32 s2, s[0:1], 0x0
	v_add_nc_u32_e32 v21, s9, v21
	s_load_b64 s[10:11], s[0:1], 0x70
	s_delay_alu instid0(VALU_DEP_1) | instskip(SKIP_1) | instid1(VALU_DEP_1)
	v_ashrrev_i32_e32 v0, 31, v21
	s_waitcnt lgkmcnt(0)
	v_mul_lo_u32 v3, v0, s6
	v_mul_lo_u32 v22, v21, s7
	v_mad_u64_u32 v[1:2], null, v21, s6, 0
	s_mul_i32 s1, s15, s11
	s_mul_hi_u32 s3, s15, s10
	v_add_nc_u32_e32 v0, s8, v20
	s_mul_i32 s8, s15, s10
	s_add_i32 s9, s3, s1
	v_cmp_gt_i32_e32 vcc_lo, s2, v21
	s_delay_alu instid0(VALU_DEP_3)
	v_add3_u32 v2, v2, v22, v3
	s_lshl_b64 s[8:9], s[8:9], 4
	v_cmp_le_i32_e64 s0, v0, v21
	s_add_u32 s3, s4, s8
	s_addc_u32 s4, s5, s9
	v_lshlrev_b64 v[1:2], 4, v[1:2]
	s_delay_alu instid0(VALU_DEP_2) | instskip(NEXT) | instid1(VALU_DEP_1)
	s_and_b32 s0, vcc_lo, s0
	v_add_co_u32 v20, s1, s3, v1
	s_delay_alu instid0(VALU_DEP_1)
	v_add_co_ci_u32_e64 v22, s1, s4, v2, s1
	s_and_saveexec_b32 s1, s0
	s_cbranch_execz .LBB1185_5
; %bb.4:
	v_mul_f64 v[1:2], s[20:21], v[18:19]
	v_mul_f64 v[18:19], s[18:19], v[18:19]
	s_delay_alu instid0(VALU_DEP_2) | instskip(NEXT) | instid1(VALU_DEP_2)
	v_fma_f64 v[23:24], s[18:19], v[16:17], -v[1:2]
	v_fma_f64 v[25:26], s[20:21], v[16:17], v[18:19]
	v_ashrrev_i32_e32 v1, 31, v0
	s_delay_alu instid0(VALU_DEP_1) | instskip(NEXT) | instid1(VALU_DEP_1)
	v_lshlrev_b64 v[1:2], 4, v[0:1]
	v_add_co_u32 v1, s0, v20, v1
	s_delay_alu instid0(VALU_DEP_1)
	v_add_co_ci_u32_e64 v2, s0, v22, v2, s0
	global_store_b128 v[1:2], v[23:26], off
.LBB1185_5:
	s_or_b32 exec_lo, exec_lo, s1
	v_add_nc_u32_e32 v2, 16, v0
	s_delay_alu instid0(VALU_DEP_1) | instskip(NEXT) | instid1(VALU_DEP_1)
	v_cmp_le_i32_e64 s0, v2, v21
	s_and_b32 s1, vcc_lo, s0
	s_delay_alu instid0(SALU_CYCLE_1)
	s_and_saveexec_b32 s0, s1
	s_cbranch_execz .LBB1185_7
; %bb.6:
	v_mul_f64 v[16:17], s[20:21], v[14:15]
	v_mul_f64 v[18:19], s[18:19], v[14:15]
	v_ashrrev_i32_e32 v3, 31, v2
	s_delay_alu instid0(VALU_DEP_3) | instskip(NEXT) | instid1(VALU_DEP_3)
	v_fma_f64 v[14:15], s[18:19], v[12:13], -v[16:17]
	v_fma_f64 v[16:17], s[20:21], v[12:13], v[18:19]
	s_delay_alu instid0(VALU_DEP_3) | instskip(NEXT) | instid1(VALU_DEP_1)
	v_lshlrev_b64 v[12:13], 4, v[2:3]
	v_add_co_u32 v12, vcc_lo, v20, v12
	s_delay_alu instid0(VALU_DEP_2)
	v_add_co_ci_u32_e32 v13, vcc_lo, v22, v13, vcc_lo
	global_store_b128 v[12:13], v[14:17], off
.LBB1185_7:
	s_or_b32 exec_lo, exec_lo, s0
	v_add_nc_u32_e32 v3, 16, v21
	s_delay_alu instid0(VALU_DEP_1) | instskip(SKIP_3) | instid1(VALU_DEP_4)
	v_ashrrev_i32_e32 v1, 31, v3
	v_mul_lo_u32 v14, v3, s7
	v_mad_u64_u32 v[12:13], null, v3, s6, 0
	v_cmp_gt_i32_e32 vcc_lo, s2, v3
	v_mul_lo_u32 v1, v1, s6
	v_cmp_le_i32_e64 s0, v0, v3
	s_delay_alu instid0(VALU_DEP_1) | instskip(NEXT) | instid1(VALU_DEP_2)
	s_and_b32 s0, vcc_lo, s0
	v_add3_u32 v13, v13, v14, v1
	s_delay_alu instid0(VALU_DEP_1) | instskip(NEXT) | instid1(VALU_DEP_1)
	v_lshlrev_b64 v[12:13], 4, v[12:13]
	v_add_co_u32 v12, s1, s3, v12
	s_delay_alu instid0(VALU_DEP_1)
	v_add_co_ci_u32_e64 v13, s1, s4, v13, s1
	s_and_saveexec_b32 s1, s0
	s_cbranch_execz .LBB1185_9
; %bb.8:
	v_mul_f64 v[14:15], s[20:21], v[10:11]
	v_mul_f64 v[10:11], s[18:19], v[10:11]
	v_ashrrev_i32_e32 v1, 31, v0
	s_delay_alu instid0(VALU_DEP_1) | instskip(NEXT) | instid1(VALU_DEP_1)
	v_lshlrev_b64 v[0:1], 4, v[0:1]
	v_add_co_u32 v0, s0, v12, v0
	s_delay_alu instid0(VALU_DEP_1)
	v_add_co_ci_u32_e64 v1, s0, v13, v1, s0
	v_fma_f64 v[14:15], s[18:19], v[8:9], -v[14:15]
	v_fma_f64 v[16:17], s[20:21], v[8:9], v[10:11]
	global_store_b128 v[0:1], v[14:17], off
.LBB1185_9:
	s_or_b32 exec_lo, exec_lo, s1
	v_cmp_le_i32_e64 s0, v2, v3
	s_delay_alu instid0(VALU_DEP_1) | instskip(NEXT) | instid1(SALU_CYCLE_1)
	s_and_b32 s0, vcc_lo, s0
	s_and_saveexec_b32 s1, s0
	s_cbranch_execz .LBB1185_11
; %bb.10:
	v_mul_f64 v[0:1], s[20:21], v[4:5]
	v_mul_f64 v[8:9], s[18:19], v[4:5]
	v_ashrrev_i32_e32 v3, 31, v2
	s_delay_alu instid0(VALU_DEP_3) | instskip(NEXT) | instid1(VALU_DEP_3)
	v_fma_f64 v[4:5], s[18:19], v[6:7], -v[0:1]
	v_fma_f64 v[6:7], s[20:21], v[6:7], v[8:9]
	s_delay_alu instid0(VALU_DEP_3) | instskip(NEXT) | instid1(VALU_DEP_1)
	v_lshlrev_b64 v[0:1], 4, v[2:3]
	v_add_co_u32 v0, vcc_lo, v12, v0
	s_delay_alu instid0(VALU_DEP_2)
	v_add_co_ci_u32_e32 v1, vcc_lo, v13, v1, vcc_lo
	global_store_b128 v[0:1], v[4:7], off
.LBB1185_11:
	s_nop 0
	s_sendmsg sendmsg(MSG_DEALLOC_VGPRS)
	s_endpgm
	.section	.rodata,"a",@progbits
	.p2align	6, 0x0
	.amdhsa_kernel _ZL37rocblas_syrkx_herkx_restricted_kernelIl19rocblas_complex_numIdELi16ELi32ELi8ELb1ELb0ELc67ELc85EKS1_S1_EviT_T0_PT8_S3_lS6_S3_lS4_PT9_S3_li
		.amdhsa_group_segment_fixed_size 8192
		.amdhsa_private_segment_fixed_size 0
		.amdhsa_kernarg_size 124
		.amdhsa_user_sgpr_count 13
		.amdhsa_user_sgpr_dispatch_ptr 0
		.amdhsa_user_sgpr_queue_ptr 0
		.amdhsa_user_sgpr_kernarg_segment_ptr 1
		.amdhsa_user_sgpr_dispatch_id 0
		.amdhsa_user_sgpr_private_segment_size 0
		.amdhsa_wavefront_size32 1
		.amdhsa_uses_dynamic_stack 0
		.amdhsa_enable_private_segment 0
		.amdhsa_system_sgpr_workgroup_id_x 1
		.amdhsa_system_sgpr_workgroup_id_y 1
		.amdhsa_system_sgpr_workgroup_id_z 1
		.amdhsa_system_sgpr_workgroup_info 0
		.amdhsa_system_vgpr_workitem_id 1
		.amdhsa_next_free_vgpr 118
		.amdhsa_next_free_sgpr 32
		.amdhsa_reserve_vcc 1
		.amdhsa_float_round_mode_32 0
		.amdhsa_float_round_mode_16_64 0
		.amdhsa_float_denorm_mode_32 3
		.amdhsa_float_denorm_mode_16_64 3
		.amdhsa_dx10_clamp 1
		.amdhsa_ieee_mode 1
		.amdhsa_fp16_overflow 0
		.amdhsa_workgroup_processor_mode 1
		.amdhsa_memory_ordered 1
		.amdhsa_forward_progress 0
		.amdhsa_shared_vgpr_count 0
		.amdhsa_exception_fp_ieee_invalid_op 0
		.amdhsa_exception_fp_denorm_src 0
		.amdhsa_exception_fp_ieee_div_zero 0
		.amdhsa_exception_fp_ieee_overflow 0
		.amdhsa_exception_fp_ieee_underflow 0
		.amdhsa_exception_fp_ieee_inexact 0
		.amdhsa_exception_int_div_zero 0
	.end_amdhsa_kernel
	.section	.text._ZL37rocblas_syrkx_herkx_restricted_kernelIl19rocblas_complex_numIdELi16ELi32ELi8ELb1ELb0ELc67ELc85EKS1_S1_EviT_T0_PT8_S3_lS6_S3_lS4_PT9_S3_li,"axG",@progbits,_ZL37rocblas_syrkx_herkx_restricted_kernelIl19rocblas_complex_numIdELi16ELi32ELi8ELb1ELb0ELc67ELc85EKS1_S1_EviT_T0_PT8_S3_lS6_S3_lS4_PT9_S3_li,comdat
.Lfunc_end1185:
	.size	_ZL37rocblas_syrkx_herkx_restricted_kernelIl19rocblas_complex_numIdELi16ELi32ELi8ELb1ELb0ELc67ELc85EKS1_S1_EviT_T0_PT8_S3_lS6_S3_lS4_PT9_S3_li, .Lfunc_end1185-_ZL37rocblas_syrkx_herkx_restricted_kernelIl19rocblas_complex_numIdELi16ELi32ELi8ELb1ELb0ELc67ELc85EKS1_S1_EviT_T0_PT8_S3_lS6_S3_lS4_PT9_S3_li
                                        ; -- End function
	.section	.AMDGPU.csdata,"",@progbits
; Kernel info:
; codeLenInByte = 3136
; NumSgprs: 34
; NumVgprs: 118
; ScratchSize: 0
; MemoryBound: 0
; FloatMode: 240
; IeeeMode: 1
; LDSByteSize: 8192 bytes/workgroup (compile time only)
; SGPRBlocks: 4
; VGPRBlocks: 14
; NumSGPRsForWavesPerEU: 34
; NumVGPRsForWavesPerEU: 118
; Occupancy: 12
; WaveLimiterHint : 1
; COMPUTE_PGM_RSRC2:SCRATCH_EN: 0
; COMPUTE_PGM_RSRC2:USER_SGPR: 13
; COMPUTE_PGM_RSRC2:TRAP_HANDLER: 0
; COMPUTE_PGM_RSRC2:TGID_X_EN: 1
; COMPUTE_PGM_RSRC2:TGID_Y_EN: 1
; COMPUTE_PGM_RSRC2:TGID_Z_EN: 1
; COMPUTE_PGM_RSRC2:TIDIG_COMP_CNT: 1
	.section	.text._ZL37rocblas_syrkx_herkx_restricted_kernelIl19rocblas_complex_numIdELi16ELi32ELi8ELb1ELb0ELc78ELc85EKS1_S1_EviT_T0_PT8_S3_lS6_S3_lS4_PT9_S3_li,"axG",@progbits,_ZL37rocblas_syrkx_herkx_restricted_kernelIl19rocblas_complex_numIdELi16ELi32ELi8ELb1ELb0ELc78ELc85EKS1_S1_EviT_T0_PT8_S3_lS6_S3_lS4_PT9_S3_li,comdat
	.globl	_ZL37rocblas_syrkx_herkx_restricted_kernelIl19rocblas_complex_numIdELi16ELi32ELi8ELb1ELb0ELc78ELc85EKS1_S1_EviT_T0_PT8_S3_lS6_S3_lS4_PT9_S3_li ; -- Begin function _ZL37rocblas_syrkx_herkx_restricted_kernelIl19rocblas_complex_numIdELi16ELi32ELi8ELb1ELb0ELc78ELc85EKS1_S1_EviT_T0_PT8_S3_lS6_S3_lS4_PT9_S3_li
	.p2align	8
	.type	_ZL37rocblas_syrkx_herkx_restricted_kernelIl19rocblas_complex_numIdELi16ELi32ELi8ELb1ELb0ELc78ELc85EKS1_S1_EviT_T0_PT8_S3_lS6_S3_lS4_PT9_S3_li,@function
_ZL37rocblas_syrkx_herkx_restricted_kernelIl19rocblas_complex_numIdELi16ELi32ELi8ELb1ELb0ELc78ELc85EKS1_S1_EviT_T0_PT8_S3_lS6_S3_lS4_PT9_S3_li: ; @_ZL37rocblas_syrkx_herkx_restricted_kernelIl19rocblas_complex_numIdELi16ELi32ELi8ELb1ELb0ELc78ELc85EKS1_S1_EviT_T0_PT8_S3_lS6_S3_lS4_PT9_S3_li
; %bb.0:
	s_load_b512 s[16:31], s[0:1], 0x8
	v_mov_b32_e32 v16, 0
	v_dual_mov_b32 v17, 0 :: v_dual_and_b32 v20, 0x3ff, v0
	v_bfe_u32 v21, v0, 10, 10
	s_delay_alu instid0(VALU_DEP_3) | instskip(NEXT) | instid1(VALU_DEP_3)
	v_mov_b32_e32 v12, v16
	v_dual_mov_b32 v14, v16 :: v_dual_mov_b32 v15, v17
	v_dual_mov_b32 v19, v17 :: v_dual_mov_b32 v18, v16
	;; [unrolled: 1-line block ×6, first 2 shown]
	v_mov_b32_e32 v5, v17
	s_lshl_b32 s8, s13, 5
	s_waitcnt lgkmcnt(0)
	v_cmp_lt_i64_e64 s2, s[16:17], 1
	s_lshl_b32 s9, s14, 5
	s_delay_alu instid0(VALU_DEP_1)
	s_and_b32 vcc_lo, exec_lo, s2
	s_cbranch_vccnz .LBB1186_3
; %bb.1:
	v_lshl_add_u32 v1, v21, 4, v20
	v_and_b32_e32 v10, 7, v20
	s_load_b64 s[4:5], s[0:1], 0x48
	s_mul_i32 s3, s27, s15
	s_mul_hi_u32 s6, s26, s15
	v_dual_mov_b32 v4, 0 :: v_dual_and_b32 v9, 31, v1
	v_mov_b32_e32 v5, 0
	v_lshrrev_b32_e32 v11, 3, v1
	v_lshrrev_b32_e32 v12, 5, v1
	s_delay_alu instid0(VALU_DEP_4)
	v_add_nc_u32_e32 v0, s8, v9
	s_mul_i32 s2, s26, s15
	s_add_i32 s3, s6, s3
	v_add_nc_u32_e32 v2, s9, v11
	s_lshl_b64 s[2:3], s[2:3], 4
	v_ashrrev_i32_e32 v1, 31, v0
	s_add_u32 s6, s22, s2
	s_addc_u32 s7, s23, s3
	v_ashrrev_i32_e32 v3, 31, v2
	s_lshl_b64 s[2:3], s[24:25], 7
	v_mad_u64_u32 v[6:7], null, v12, s24, v[0:1]
	s_waitcnt lgkmcnt(0)
	s_mul_i32 s5, s5, s15
	v_mad_u64_u32 v[0:1], null, v10, s30, v[2:3]
	v_lshlrev_b32_e32 v3, 4, v10
	s_mul_hi_u32 s10, s4, s15
	s_mul_i32 s4, s4, s15
	s_delay_alu instid0(VALU_DEP_3)
	v_mov_b32_e32 v2, v7
	s_add_i32 s5, s10, s5
	v_lshl_add_u32 v23, v21, 7, 0x1000
	s_lshl_b64 s[4:5], s[4:5], 4
	v_mov_b32_e32 v15, v5
	v_mad_u64_u32 v[7:8], null, v12, s25, v[2:3]
	v_lshlrev_b32_e32 v8, 4, v9
	v_lshl_or_b32 v9, v11, 7, v3
	v_mad_u64_u32 v[2:3], null, v10, s31, v[1:2]
	v_lshlrev_b32_e32 v22, 4, v20
	s_add_u32 s4, s28, s4
	s_addc_u32 s5, s29, s5
	v_mov_b32_e32 v11, v5
	v_lshl_or_b32 v24, v12, 9, v8
	v_add_nc_u32_e32 v25, 0x1000, v9
	v_mov_b32_e32 v1, v2
	v_lshlrev_b64 v[2:3], 4, v[6:7]
	v_dual_mov_b32 v10, v4 :: v_dual_mov_b32 v9, v5
	v_dual_mov_b32 v8, v4 :: v_dual_mov_b32 v13, v5
	s_delay_alu instid0(VALU_DEP_4) | instskip(NEXT) | instid1(VALU_DEP_4)
	v_lshlrev_b64 v[0:1], 4, v[0:1]
	v_add_co_u32 v2, vcc_lo, s6, v2
	v_add_co_ci_u32_e32 v3, vcc_lo, s7, v3, vcc_lo
	v_dual_mov_b32 v14, v4 :: v_dual_mov_b32 v19, v5
	s_delay_alu instid0(VALU_DEP_4) | instskip(SKIP_3) | instid1(VALU_DEP_4)
	v_add_co_u32 v6, vcc_lo, s4, v0
	v_add_co_ci_u32_e32 v7, vcc_lo, s5, v1, vcc_lo
	v_add_co_u32 v0, vcc_lo, v2, 8
	v_add_co_ci_u32_e32 v1, vcc_lo, 0, v3, vcc_lo
	v_add_co_u32 v2, vcc_lo, v6, 8
	s_delay_alu instid0(VALU_DEP_4)
	v_add_co_ci_u32_e32 v3, vcc_lo, 0, v7, vcc_lo
	v_dual_mov_b32 v7, v5 :: v_dual_mov_b32 v12, v4
	v_dual_mov_b32 v17, v5 :: v_dual_mov_b32 v6, v4
	v_mov_b32_e32 v18, v4
	v_mov_b32_e32 v16, v4
	s_lshl_b64 s[4:5], s[30:31], 7
	s_mov_b64 s[6:7], 0
.LBB1186_2:                             ; =>This Inner Loop Header: Depth=1
	global_load_b128 v[26:29], v[0:1], off offset:-8
	global_load_b128 v[30:33], v[2:3], off offset:-8
	s_add_u32 s6, s6, 8
	v_add_co_u32 v0, vcc_lo, v0, s2
	s_addc_u32 s7, s7, 0
	v_add_co_ci_u32_e32 v1, vcc_lo, s3, v1, vcc_lo
	v_cmp_ge_u64_e64 s10, s[6:7], s[16:17]
	v_add_co_u32 v2, vcc_lo, v2, s4
	v_add_co_ci_u32_e32 v3, vcc_lo, s5, v3, vcc_lo
	s_waitcnt vmcnt(1)
	ds_store_b128 v24, v[26:29]
	s_waitcnt vmcnt(0)
	ds_store_b128 v25, v[30:33]
	s_waitcnt lgkmcnt(0)
	s_barrier
	buffer_gl0_inv
	ds_load_b128 v[26:29], v23
	ds_load_b128 v[30:33], v22
	ds_load_b128 v[34:37], v22 offset:256
	ds_load_b128 v[38:41], v23 offset:2048
	;; [unrolled: 1-line block ×13, first 2 shown]
	s_and_b32 vcc_lo, exec_lo, s10
	s_waitcnt lgkmcnt(13)
	v_mul_f64 v[86:87], v[28:29], v[32:33]
	v_mul_f64 v[88:89], v[26:27], v[32:33]
	s_waitcnt lgkmcnt(12)
	v_mul_f64 v[90:91], v[28:29], v[36:37]
	v_mul_f64 v[92:93], v[26:27], v[36:37]
	;; [unrolled: 3-line block ×3, first 2 shown]
	v_mul_f64 v[96:97], v[40:41], v[36:37]
	v_mul_f64 v[36:37], v[38:39], v[36:37]
	s_waitcnt lgkmcnt(8)
	v_mul_f64 v[98:99], v[44:45], v[52:53]
	v_mul_f64 v[100:101], v[42:43], v[52:53]
	s_waitcnt lgkmcnt(7)
	v_mul_f64 v[102:103], v[44:45], v[56:57]
	v_mul_f64 v[104:105], v[42:43], v[56:57]
	;; [unrolled: 1-line block ×6, first 2 shown]
	s_waitcnt lgkmcnt(3)
	v_mul_f64 v[112:113], v[58:59], v[72:73]
	s_waitcnt lgkmcnt(2)
	v_mul_f64 v[114:115], v[76:77], v[68:69]
	v_mul_f64 v[116:117], v[76:77], v[72:73]
	v_fma_f64 v[86:87], v[26:27], v[30:31], -v[86:87]
	v_fma_f64 v[88:89], v[28:29], v[30:31], v[88:89]
	v_fma_f64 v[90:91], v[26:27], v[34:35], -v[90:91]
	v_fma_f64 v[92:93], v[28:29], v[34:35], v[92:93]
	;; [unrolled: 2-line block ×4, first 2 shown]
	v_mul_f64 v[36:37], v[60:61], v[68:69]
	v_mul_f64 v[40:41], v[58:59], v[68:69]
	;; [unrolled: 1-line block ×5, first 2 shown]
	v_fma_f64 v[98:99], v[42:43], v[50:51], -v[98:99]
	v_fma_f64 v[100:101], v[44:45], v[50:51], v[100:101]
	v_fma_f64 v[42:43], v[42:43], v[54:55], -v[102:103]
	v_fma_f64 v[44:45], v[44:45], v[54:55], v[104:105]
	;; [unrolled: 2-line block ×4, first 2 shown]
	ds_load_b128 v[26:29], v22 offset:1792
	ds_load_b128 v[30:33], v22 offset:2048
	s_waitcnt lgkmcnt(2)
	v_mul_f64 v[56:57], v[64:65], v[84:85]
	v_add_f64 v[16:17], v[16:17], v[86:87]
	v_add_f64 v[18:19], v[18:19], v[88:89]
	;; [unrolled: 1-line block ×8, first 2 shown]
	v_mul_f64 v[86:87], v[62:63], v[84:85]
	s_waitcnt lgkmcnt(1)
	v_mul_f64 v[88:89], v[64:65], v[28:29]
	v_mul_f64 v[90:91], v[62:63], v[28:29]
	;; [unrolled: 1-line block ×6, first 2 shown]
	v_fma_f64 v[104:105], v[58:59], v[66:67], -v[36:37]
	v_fma_f64 v[106:107], v[60:61], v[66:67], v[40:41]
	v_fma_f64 v[58:59], v[58:59], v[70:71], -v[96:97]
	v_fma_f64 v[60:61], v[60:61], v[70:71], v[112:113]
	;; [unrolled: 2-line block ×4, first 2 shown]
	ds_load_b128 v[4:7], v22 offset:2304
	ds_load_b128 v[8:11], v23 offset:64
	v_fma_f64 v[56:57], v[62:63], v[82:83], -v[56:57]
	v_add_f64 v[72:73], v[16:17], v[98:99]
	v_add_f64 v[74:75], v[18:19], v[100:101]
	;; [unrolled: 1-line block ×8, first 2 shown]
	ds_load_b128 v[12:15], v23 offset:2112
	ds_load_b128 v[16:19], v23 offset:80
	;; [unrolled: 1-line block ×4, first 2 shown]
	s_waitcnt lgkmcnt(4)
	v_mul_f64 v[54:55], v[10:11], v[32:33]
	v_mul_f64 v[76:77], v[8:9], v[32:33]
	;; [unrolled: 1-line block ×4, first 2 shown]
	v_fma_f64 v[86:87], v[64:65], v[82:83], v[86:87]
	v_fma_f64 v[62:63], v[62:63], v[26:27], -v[88:89]
	v_fma_f64 v[64:65], v[64:65], v[26:27], v[90:91]
	v_fma_f64 v[88:89], v[78:79], v[82:83], -v[92:93]
	;; [unrolled: 2-line block ×3, first 2 shown]
	v_fma_f64 v[80:81], v[80:81], v[26:27], v[28:29]
	s_waitcnt lgkmcnt(3)
	v_mul_f64 v[102:103], v[14:15], v[32:33]
	v_mul_f64 v[32:33], v[12:13], v[32:33]
	;; [unrolled: 1-line block ×4, first 2 shown]
	s_waitcnt lgkmcnt(0)
	v_mul_f64 v[90:91], v[18:19], v[40:41]
	v_mul_f64 v[92:93], v[16:17], v[40:41]
	v_add_f64 v[72:73], v[72:73], v[104:105]
	v_add_f64 v[74:75], v[74:75], v[106:107]
	;; [unrolled: 1-line block ×8, first 2 shown]
	ds_load_b128 v[26:29], v22 offset:2816
	ds_load_b128 v[42:45], v22 offset:3072
	;; [unrolled: 1-line block ×4, first 2 shown]
	v_mul_f64 v[104:105], v[36:37], v[40:41]
	v_mul_f64 v[40:41], v[34:35], v[40:41]
	v_fma_f64 v[54:55], v[8:9], v[30:31], -v[54:55]
	v_fma_f64 v[76:77], v[10:11], v[30:31], v[76:77]
	v_fma_f64 v[98:99], v[8:9], v[4:5], -v[98:99]
	v_fma_f64 v[100:101], v[10:11], v[4:5], v[100:101]
	s_waitcnt lgkmcnt(3)
	v_mul_f64 v[94:95], v[18:19], v[28:29]
	v_mul_f64 v[96:97], v[16:17], v[28:29]
	;; [unrolled: 1-line block ×4, first 2 shown]
	v_fma_f64 v[102:103], v[12:13], v[30:31], -v[102:103]
	v_fma_f64 v[32:33], v[14:15], v[30:31], v[32:33]
	v_fma_f64 v[108:109], v[12:13], v[4:5], -v[108:109]
	v_fma_f64 v[112:113], v[14:15], v[4:5], v[6:7]
	ds_load_b128 v[4:7], v23 offset:2144
	ds_load_b128 v[8:11], v23 offset:112
	;; [unrolled: 1-line block ×4, first 2 shown]
	v_add_f64 v[56:57], v[72:73], v[56:57]
	v_add_f64 v[72:73], v[74:75], v[86:87]
	;; [unrolled: 1-line block ×8, first 2 shown]
	s_waitcnt lgkmcnt(4)
	v_mul_f64 v[70:71], v[52:53], v[44:45]
	v_mul_f64 v[74:75], v[50:51], v[44:45]
	;; [unrolled: 1-line block ×4, first 2 shown]
	s_waitcnt lgkmcnt(3)
	v_mul_f64 v[82:83], v[6:7], v[44:45]
	v_mul_f64 v[44:45], v[4:5], v[44:45]
	;; [unrolled: 1-line block ×4, first 2 shown]
	v_fma_f64 v[86:87], v[16:17], v[38:39], -v[90:91]
	v_fma_f64 v[88:89], v[18:19], v[38:39], v[92:93]
	v_fma_f64 v[90:91], v[16:17], v[26:27], -v[94:95]
	v_fma_f64 v[92:93], v[18:19], v[26:27], v[96:97]
	v_fma_f64 v[94:95], v[34:35], v[38:39], -v[104:105]
	v_fma_f64 v[38:39], v[36:37], v[38:39], v[40:41]
	v_fma_f64 v[34:35], v[34:35], v[26:27], -v[106:107]
	v_fma_f64 v[26:27], v[36:37], v[26:27], v[110:111]
	ds_load_b128 v[16:19], v22 offset:3840
	s_waitcnt lgkmcnt(0)
	s_barrier
	buffer_gl0_inv
	v_add_f64 v[36:37], v[56:57], v[54:55]
	v_add_f64 v[40:41], v[72:73], v[76:77]
	;; [unrolled: 1-line block ×8, first 2 shown]
	v_mul_f64 v[64:65], v[10:11], v[30:31]
	v_mul_f64 v[66:67], v[8:9], v[30:31]
	;; [unrolled: 1-line block ×4, first 2 shown]
	v_fma_f64 v[70:71], v[50:51], v[42:43], -v[70:71]
	v_mul_f64 v[68:69], v[10:11], v[18:19]
	v_mul_f64 v[72:73], v[8:9], v[18:19]
	;; [unrolled: 1-line block ×4, first 2 shown]
	v_fma_f64 v[74:75], v[52:53], v[42:43], v[74:75]
	v_fma_f64 v[50:51], v[50:51], v[46:47], -v[78:79]
	v_fma_f64 v[52:53], v[52:53], v[46:47], v[80:81]
	v_fma_f64 v[78:79], v[4:5], v[42:43], -v[82:83]
	;; [unrolled: 2-line block ×3, first 2 shown]
	v_fma_f64 v[6:7], v[6:7], v[46:47], v[48:49]
	v_add_f64 v[36:37], v[36:37], v[86:87]
	v_add_f64 v[40:41], v[40:41], v[88:89]
	;; [unrolled: 1-line block ×8, first 2 shown]
	v_fma_f64 v[38:39], v[8:9], v[28:29], -v[64:65]
	v_fma_f64 v[54:55], v[10:11], v[28:29], v[66:67]
	v_fma_f64 v[56:57], v[12:13], v[28:29], -v[76:77]
	v_fma_f64 v[28:29], v[14:15], v[28:29], v[30:31]
	v_fma_f64 v[8:9], v[8:9], v[16:17], -v[68:69]
	v_fma_f64 v[10:11], v[10:11], v[16:17], v[72:73]
	v_fma_f64 v[30:31], v[12:13], v[16:17], -v[96:97]
	v_fma_f64 v[58:59], v[14:15], v[16:17], v[18:19]
	v_add_f64 v[12:13], v[36:37], v[70:71]
	v_add_f64 v[14:15], v[40:41], v[74:75]
	;; [unrolled: 1-line block ×16, first 2 shown]
	s_cbranch_vccz .LBB1186_2
.LBB1186_3:
	s_clause 0x1
	s_load_b128 s[4:7], s[0:1], 0x60
	s_load_b32 s2, s[0:1], 0x0
	v_add_nc_u32_e32 v21, s9, v21
	s_load_b64 s[10:11], s[0:1], 0x70
	s_delay_alu instid0(VALU_DEP_1) | instskip(SKIP_1) | instid1(VALU_DEP_1)
	v_ashrrev_i32_e32 v0, 31, v21
	s_waitcnt lgkmcnt(0)
	v_mul_lo_u32 v3, v0, s6
	v_mul_lo_u32 v22, v21, s7
	v_mad_u64_u32 v[1:2], null, v21, s6, 0
	s_mul_i32 s1, s15, s11
	s_mul_hi_u32 s3, s15, s10
	v_add_nc_u32_e32 v0, s8, v20
	s_mul_i32 s8, s15, s10
	s_add_i32 s9, s3, s1
	v_cmp_gt_i32_e32 vcc_lo, s2, v21
	s_delay_alu instid0(VALU_DEP_3)
	v_add3_u32 v2, v2, v22, v3
	s_lshl_b64 s[8:9], s[8:9], 4
	v_cmp_le_i32_e64 s0, v0, v21
	s_add_u32 s3, s4, s8
	s_addc_u32 s4, s5, s9
	v_lshlrev_b64 v[1:2], 4, v[1:2]
	s_delay_alu instid0(VALU_DEP_2) | instskip(NEXT) | instid1(VALU_DEP_1)
	s_and_b32 s0, vcc_lo, s0
	v_add_co_u32 v20, s1, s3, v1
	s_delay_alu instid0(VALU_DEP_1)
	v_add_co_ci_u32_e64 v22, s1, s4, v2, s1
	s_and_saveexec_b32 s1, s0
	s_cbranch_execz .LBB1186_5
; %bb.4:
	v_mul_f64 v[1:2], s[20:21], v[18:19]
	v_mul_f64 v[18:19], s[18:19], v[18:19]
	s_delay_alu instid0(VALU_DEP_2) | instskip(NEXT) | instid1(VALU_DEP_2)
	v_fma_f64 v[23:24], s[18:19], v[16:17], -v[1:2]
	v_fma_f64 v[25:26], s[20:21], v[16:17], v[18:19]
	v_ashrrev_i32_e32 v1, 31, v0
	s_delay_alu instid0(VALU_DEP_1) | instskip(NEXT) | instid1(VALU_DEP_1)
	v_lshlrev_b64 v[1:2], 4, v[0:1]
	v_add_co_u32 v1, s0, v20, v1
	s_delay_alu instid0(VALU_DEP_1)
	v_add_co_ci_u32_e64 v2, s0, v22, v2, s0
	global_store_b128 v[1:2], v[23:26], off
.LBB1186_5:
	s_or_b32 exec_lo, exec_lo, s1
	v_add_nc_u32_e32 v2, 16, v0
	s_delay_alu instid0(VALU_DEP_1) | instskip(NEXT) | instid1(VALU_DEP_1)
	v_cmp_le_i32_e64 s0, v2, v21
	s_and_b32 s1, vcc_lo, s0
	s_delay_alu instid0(SALU_CYCLE_1)
	s_and_saveexec_b32 s0, s1
	s_cbranch_execz .LBB1186_7
; %bb.6:
	v_mul_f64 v[16:17], s[20:21], v[14:15]
	v_mul_f64 v[18:19], s[18:19], v[14:15]
	v_ashrrev_i32_e32 v3, 31, v2
	s_delay_alu instid0(VALU_DEP_3) | instskip(NEXT) | instid1(VALU_DEP_3)
	v_fma_f64 v[14:15], s[18:19], v[12:13], -v[16:17]
	v_fma_f64 v[16:17], s[20:21], v[12:13], v[18:19]
	s_delay_alu instid0(VALU_DEP_3) | instskip(NEXT) | instid1(VALU_DEP_1)
	v_lshlrev_b64 v[12:13], 4, v[2:3]
	v_add_co_u32 v12, vcc_lo, v20, v12
	s_delay_alu instid0(VALU_DEP_2)
	v_add_co_ci_u32_e32 v13, vcc_lo, v22, v13, vcc_lo
	global_store_b128 v[12:13], v[14:17], off
.LBB1186_7:
	s_or_b32 exec_lo, exec_lo, s0
	v_add_nc_u32_e32 v3, 16, v21
	s_delay_alu instid0(VALU_DEP_1) | instskip(SKIP_3) | instid1(VALU_DEP_4)
	v_ashrrev_i32_e32 v1, 31, v3
	v_mul_lo_u32 v14, v3, s7
	v_mad_u64_u32 v[12:13], null, v3, s6, 0
	v_cmp_gt_i32_e32 vcc_lo, s2, v3
	v_mul_lo_u32 v1, v1, s6
	v_cmp_le_i32_e64 s0, v0, v3
	s_delay_alu instid0(VALU_DEP_1) | instskip(NEXT) | instid1(VALU_DEP_2)
	s_and_b32 s0, vcc_lo, s0
	v_add3_u32 v13, v13, v14, v1
	s_delay_alu instid0(VALU_DEP_1) | instskip(NEXT) | instid1(VALU_DEP_1)
	v_lshlrev_b64 v[12:13], 4, v[12:13]
	v_add_co_u32 v12, s1, s3, v12
	s_delay_alu instid0(VALU_DEP_1)
	v_add_co_ci_u32_e64 v13, s1, s4, v13, s1
	s_and_saveexec_b32 s1, s0
	s_cbranch_execz .LBB1186_9
; %bb.8:
	v_mul_f64 v[14:15], s[20:21], v[10:11]
	v_mul_f64 v[10:11], s[18:19], v[10:11]
	v_ashrrev_i32_e32 v1, 31, v0
	s_delay_alu instid0(VALU_DEP_1) | instskip(NEXT) | instid1(VALU_DEP_1)
	v_lshlrev_b64 v[0:1], 4, v[0:1]
	v_add_co_u32 v0, s0, v12, v0
	s_delay_alu instid0(VALU_DEP_1)
	v_add_co_ci_u32_e64 v1, s0, v13, v1, s0
	v_fma_f64 v[14:15], s[18:19], v[8:9], -v[14:15]
	v_fma_f64 v[16:17], s[20:21], v[8:9], v[10:11]
	global_store_b128 v[0:1], v[14:17], off
.LBB1186_9:
	s_or_b32 exec_lo, exec_lo, s1
	v_cmp_le_i32_e64 s0, v2, v3
	s_delay_alu instid0(VALU_DEP_1) | instskip(NEXT) | instid1(SALU_CYCLE_1)
	s_and_b32 s0, vcc_lo, s0
	s_and_saveexec_b32 s1, s0
	s_cbranch_execz .LBB1186_11
; %bb.10:
	v_mul_f64 v[0:1], s[20:21], v[4:5]
	v_mul_f64 v[8:9], s[18:19], v[4:5]
	v_ashrrev_i32_e32 v3, 31, v2
	s_delay_alu instid0(VALU_DEP_3) | instskip(NEXT) | instid1(VALU_DEP_3)
	v_fma_f64 v[4:5], s[18:19], v[6:7], -v[0:1]
	v_fma_f64 v[6:7], s[20:21], v[6:7], v[8:9]
	s_delay_alu instid0(VALU_DEP_3) | instskip(NEXT) | instid1(VALU_DEP_1)
	v_lshlrev_b64 v[0:1], 4, v[2:3]
	v_add_co_u32 v0, vcc_lo, v12, v0
	s_delay_alu instid0(VALU_DEP_2)
	v_add_co_ci_u32_e32 v1, vcc_lo, v13, v1, vcc_lo
	global_store_b128 v[0:1], v[4:7], off
.LBB1186_11:
	s_nop 0
	s_sendmsg sendmsg(MSG_DEALLOC_VGPRS)
	s_endpgm
	.section	.rodata,"a",@progbits
	.p2align	6, 0x0
	.amdhsa_kernel _ZL37rocblas_syrkx_herkx_restricted_kernelIl19rocblas_complex_numIdELi16ELi32ELi8ELb1ELb0ELc78ELc85EKS1_S1_EviT_T0_PT8_S3_lS6_S3_lS4_PT9_S3_li
		.amdhsa_group_segment_fixed_size 8192
		.amdhsa_private_segment_fixed_size 0
		.amdhsa_kernarg_size 124
		.amdhsa_user_sgpr_count 13
		.amdhsa_user_sgpr_dispatch_ptr 0
		.amdhsa_user_sgpr_queue_ptr 0
		.amdhsa_user_sgpr_kernarg_segment_ptr 1
		.amdhsa_user_sgpr_dispatch_id 0
		.amdhsa_user_sgpr_private_segment_size 0
		.amdhsa_wavefront_size32 1
		.amdhsa_uses_dynamic_stack 0
		.amdhsa_enable_private_segment 0
		.amdhsa_system_sgpr_workgroup_id_x 1
		.amdhsa_system_sgpr_workgroup_id_y 1
		.amdhsa_system_sgpr_workgroup_id_z 1
		.amdhsa_system_sgpr_workgroup_info 0
		.amdhsa_system_vgpr_workitem_id 1
		.amdhsa_next_free_vgpr 118
		.amdhsa_next_free_sgpr 32
		.amdhsa_reserve_vcc 1
		.amdhsa_float_round_mode_32 0
		.amdhsa_float_round_mode_16_64 0
		.amdhsa_float_denorm_mode_32 3
		.amdhsa_float_denorm_mode_16_64 3
		.amdhsa_dx10_clamp 1
		.amdhsa_ieee_mode 1
		.amdhsa_fp16_overflow 0
		.amdhsa_workgroup_processor_mode 1
		.amdhsa_memory_ordered 1
		.amdhsa_forward_progress 0
		.amdhsa_shared_vgpr_count 0
		.amdhsa_exception_fp_ieee_invalid_op 0
		.amdhsa_exception_fp_denorm_src 0
		.amdhsa_exception_fp_ieee_div_zero 0
		.amdhsa_exception_fp_ieee_overflow 0
		.amdhsa_exception_fp_ieee_underflow 0
		.amdhsa_exception_fp_ieee_inexact 0
		.amdhsa_exception_int_div_zero 0
	.end_amdhsa_kernel
	.section	.text._ZL37rocblas_syrkx_herkx_restricted_kernelIl19rocblas_complex_numIdELi16ELi32ELi8ELb1ELb0ELc78ELc85EKS1_S1_EviT_T0_PT8_S3_lS6_S3_lS4_PT9_S3_li,"axG",@progbits,_ZL37rocblas_syrkx_herkx_restricted_kernelIl19rocblas_complex_numIdELi16ELi32ELi8ELb1ELb0ELc78ELc85EKS1_S1_EviT_T0_PT8_S3_lS6_S3_lS4_PT9_S3_li,comdat
.Lfunc_end1186:
	.size	_ZL37rocblas_syrkx_herkx_restricted_kernelIl19rocblas_complex_numIdELi16ELi32ELi8ELb1ELb0ELc78ELc85EKS1_S1_EviT_T0_PT8_S3_lS6_S3_lS4_PT9_S3_li, .Lfunc_end1186-_ZL37rocblas_syrkx_herkx_restricted_kernelIl19rocblas_complex_numIdELi16ELi32ELi8ELb1ELb0ELc78ELc85EKS1_S1_EviT_T0_PT8_S3_lS6_S3_lS4_PT9_S3_li
                                        ; -- End function
	.section	.AMDGPU.csdata,"",@progbits
; Kernel info:
; codeLenInByte = 3112
; NumSgprs: 34
; NumVgprs: 118
; ScratchSize: 0
; MemoryBound: 0
; FloatMode: 240
; IeeeMode: 1
; LDSByteSize: 8192 bytes/workgroup (compile time only)
; SGPRBlocks: 4
; VGPRBlocks: 14
; NumSGPRsForWavesPerEU: 34
; NumVGPRsForWavesPerEU: 118
; Occupancy: 12
; WaveLimiterHint : 1
; COMPUTE_PGM_RSRC2:SCRATCH_EN: 0
; COMPUTE_PGM_RSRC2:USER_SGPR: 13
; COMPUTE_PGM_RSRC2:TRAP_HANDLER: 0
; COMPUTE_PGM_RSRC2:TGID_X_EN: 1
; COMPUTE_PGM_RSRC2:TGID_Y_EN: 1
; COMPUTE_PGM_RSRC2:TGID_Z_EN: 1
; COMPUTE_PGM_RSRC2:TIDIG_COMP_CNT: 1
	.section	.text._ZL37rocblas_syrkx_herkx_restricted_kernelIl19rocblas_complex_numIdELi16ELi32ELi8ELb0ELb0ELc84ELc76EKS1_S1_EviT_T0_PT8_S3_lS6_S3_lS4_PT9_S3_li,"axG",@progbits,_ZL37rocblas_syrkx_herkx_restricted_kernelIl19rocblas_complex_numIdELi16ELi32ELi8ELb0ELb0ELc84ELc76EKS1_S1_EviT_T0_PT8_S3_lS6_S3_lS4_PT9_S3_li,comdat
	.globl	_ZL37rocblas_syrkx_herkx_restricted_kernelIl19rocblas_complex_numIdELi16ELi32ELi8ELb0ELb0ELc84ELc76EKS1_S1_EviT_T0_PT8_S3_lS6_S3_lS4_PT9_S3_li ; -- Begin function _ZL37rocblas_syrkx_herkx_restricted_kernelIl19rocblas_complex_numIdELi16ELi32ELi8ELb0ELb0ELc84ELc76EKS1_S1_EviT_T0_PT8_S3_lS6_S3_lS4_PT9_S3_li
	.p2align	8
	.type	_ZL37rocblas_syrkx_herkx_restricted_kernelIl19rocblas_complex_numIdELi16ELi32ELi8ELb0ELb0ELc84ELc76EKS1_S1_EviT_T0_PT8_S3_lS6_S3_lS4_PT9_S3_li,@function
_ZL37rocblas_syrkx_herkx_restricted_kernelIl19rocblas_complex_numIdELi16ELi32ELi8ELb0ELb0ELc84ELc76EKS1_S1_EviT_T0_PT8_S3_lS6_S3_lS4_PT9_S3_li: ; @_ZL37rocblas_syrkx_herkx_restricted_kernelIl19rocblas_complex_numIdELi16ELi32ELi8ELb0ELb0ELc84ELc76EKS1_S1_EviT_T0_PT8_S3_lS6_S3_lS4_PT9_S3_li
; %bb.0:
	s_clause 0x2
	s_load_b512 s[16:31], s[0:1], 0x8
	s_load_b128 s[36:39], s[0:1], 0x68
	s_load_b256 s[4:11], s[0:1], 0x48
	v_mov_b32_e32 v16, 0
	v_dual_mov_b32 v17, 0 :: v_dual_and_b32 v20, 0x3ff, v0
	v_bfe_u32 v21, v0, 10, 10
	s_delay_alu instid0(VALU_DEP_3) | instskip(NEXT) | instid1(VALU_DEP_3)
	v_mov_b32_e32 v4, v16
	v_dual_mov_b32 v10, v16 :: v_dual_mov_b32 v11, v17
	v_dual_mov_b32 v19, v17 :: v_dual_mov_b32 v18, v16
	;; [unrolled: 1-line block ×6, first 2 shown]
	v_mov_b32_e32 v9, v17
	s_waitcnt lgkmcnt(0)
	v_cmp_lt_i64_e64 s2, s[16:17], 1
	s_lshl_b32 s12, s13, 5
	s_lshl_b32 s13, s14, 5
	s_delay_alu instid0(VALU_DEP_1)
	s_and_b32 vcc_lo, exec_lo, s2
	s_cbranch_vccnz .LBB1187_3
; %bb.1:
	v_lshl_add_u32 v2, v21, 4, v20
	v_dual_mov_b32 v1, 0 :: v_dual_and_b32 v0, 7, v20
	v_lshlrev_b32_e32 v22, 4, v20
	s_mul_i32 s3, s27, s15
	s_delay_alu instid0(VALU_DEP_3)
	v_and_b32_e32 v8, 31, v2
	v_lshrrev_b32_e32 v9, 3, v2
	v_mov_b32_e32 v3, v1
	v_lshrrev_b32_e32 v2, 5, v2
	v_lshlrev_b32_e32 v11, 4, v0
	v_add_nc_u32_e32 v6, s12, v8
	v_add_nc_u32_e32 v10, s13, v9
	s_mul_hi_u32 s14, s26, s15
	s_mul_i32 s2, s26, s15
	s_add_i32 s3, s14, s3
	v_ashrrev_i32_e32 v7, 31, v6
	v_ashrrev_i32_e32 v12, 31, v10
	v_mad_u64_u32 v[4:5], null, s24, v6, v[2:3]
	v_mul_lo_u32 v3, s25, v6
	s_delay_alu instid0(VALU_DEP_4)
	v_mul_lo_u32 v13, s24, v7
	v_mul_lo_u32 v14, v10, s31
	v_mad_u64_u32 v[6:7], null, v10, s30, v[0:1]
	v_mul_lo_u32 v0, v12, s30
	v_lshlrev_b32_e32 v1, 4, v8
	s_lshl_b64 s[2:3], s[2:3], 4
	v_lshl_or_b32 v8, v9, 7, v11
	v_add3_u32 v5, v3, v5, v13
	s_add_u32 s14, s22, s2
	v_lshl_or_b32 v23, v2, 9, v1
	s_mul_i32 s2, s5, s15
	v_add3_u32 v7, v0, v7, v14
	v_lshlrev_b64 v[0:1], 4, v[4:5]
	s_mul_hi_u32 s5, s4, s15
	s_addc_u32 s22, s23, s3
	s_add_i32 s3, s5, s2
	s_mul_i32 s2, s4, s15
	v_lshlrev_b64 v[2:3], 4, v[6:7]
	s_lshl_b64 s[2:3], s[2:3], 4
	v_add_co_u32 v0, vcc_lo, s14, v0
	s_add_u32 s2, s28, s2
	v_add_nc_u32_e32 v24, 0x1000, v8
	v_add_co_ci_u32_e32 v1, vcc_lo, s22, v1, vcc_lo
	v_mov_b32_e32 v8, 0
	s_addc_u32 s3, s29, s3
	v_add_co_u32 v2, vcc_lo, s2, v2
	v_mov_b32_e32 v9, 0
	v_add_co_ci_u32_e32 v3, vcc_lo, s3, v3, vcc_lo
	v_add_co_u32 v0, vcc_lo, v0, 8
	s_delay_alu instid0(VALU_DEP_3)
	v_mov_b32_e32 v15, v9
	v_add_co_ci_u32_e32 v1, vcc_lo, 0, v1, vcc_lo
	v_add_co_u32 v2, vcc_lo, v2, 8
	v_dual_mov_b32 v14, v8 :: v_dual_mov_b32 v13, v9
	v_dual_mov_b32 v4, v8 :: v_dual_mov_b32 v19, v9
	v_mov_b32_e32 v6, v8
	v_dual_mov_b32 v12, v8 :: v_dual_mov_b32 v11, v9
	v_dual_mov_b32 v18, v8 :: v_dual_mov_b32 v17, v9
	v_lshl_add_u32 v25, v21, 7, 0x1000
	v_add_co_ci_u32_e32 v3, vcc_lo, 0, v3, vcc_lo
	v_dual_mov_b32 v7, v9 :: v_dual_mov_b32 v10, v8
	v_dual_mov_b32 v5, v9 :: v_dual_mov_b32 v16, v8
	s_mov_b64 s[2:3], 0
.LBB1187_2:                             ; =>This Inner Loop Header: Depth=1
	global_load_b128 v[26:29], v[0:1], off offset:-8
	s_add_u32 s2, s2, 8
	s_addc_u32 s3, s3, 0
	v_add_co_u32 v0, vcc_lo, 0x80, v0
	v_add_co_ci_u32_e32 v1, vcc_lo, 0, v1, vcc_lo
	v_cmp_ge_u64_e64 s4, s[2:3], s[16:17]
	s_waitcnt vmcnt(0)
	ds_store_b128 v23, v[26:29]
	global_load_b128 v[26:29], v[2:3], off offset:-8
	v_add_co_u32 v2, vcc_lo, 0x80, v2
	v_add_co_ci_u32_e32 v3, vcc_lo, 0, v3, vcc_lo
	s_and_b32 vcc_lo, exec_lo, s4
	s_waitcnt vmcnt(0)
	ds_store_b128 v24, v[26:29]
	s_waitcnt lgkmcnt(0)
	s_barrier
	buffer_gl0_inv
	ds_load_b128 v[26:29], v25
	ds_load_b128 v[30:33], v25 offset:16
	ds_load_b128 v[34:37], v25 offset:32
	;; [unrolled: 1-line block ×3, first 2 shown]
	ds_load_b128 v[42:45], v22
	s_waitcnt lgkmcnt(0)
	v_mul_f64 v[46:47], v[28:29], v[44:45]
	v_mul_f64 v[48:49], v[26:27], v[44:45]
	s_delay_alu instid0(VALU_DEP_2) | instskip(NEXT) | instid1(VALU_DEP_2)
	v_fma_f64 v[46:47], v[26:27], v[42:43], -v[46:47]
	v_fma_f64 v[48:49], v[28:29], v[42:43], v[48:49]
	s_delay_alu instid0(VALU_DEP_2) | instskip(NEXT) | instid1(VALU_DEP_2)
	v_add_f64 v[46:47], v[16:17], v[46:47]
	v_add_f64 v[48:49], v[18:19], v[48:49]
	ds_load_b128 v[16:19], v22 offset:256
	s_waitcnt lgkmcnt(0)
	v_mul_f64 v[50:51], v[28:29], v[18:19]
	s_delay_alu instid0(VALU_DEP_1) | instskip(SKIP_1) | instid1(VALU_DEP_2)
	v_fma_f64 v[50:51], v[26:27], v[16:17], -v[50:51]
	v_mul_f64 v[26:27], v[26:27], v[18:19]
	v_add_f64 v[50:51], v[4:5], v[50:51]
	s_delay_alu instid0(VALU_DEP_2) | instskip(NEXT) | instid1(VALU_DEP_1)
	v_fma_f64 v[26:27], v[28:29], v[16:17], v[26:27]
	v_add_f64 v[52:53], v[10:11], v[26:27]
	ds_load_b128 v[26:29], v25 offset:2048
	s_waitcnt lgkmcnt(0)
	v_mul_f64 v[4:5], v[28:29], v[44:45]
	v_mul_f64 v[10:11], v[26:27], v[44:45]
	s_delay_alu instid0(VALU_DEP_2) | instskip(NEXT) | instid1(VALU_DEP_2)
	v_fma_f64 v[4:5], v[26:27], v[42:43], -v[4:5]
	v_fma_f64 v[10:11], v[28:29], v[42:43], v[10:11]
	s_delay_alu instid0(VALU_DEP_2) | instskip(SKIP_1) | instid1(VALU_DEP_3)
	v_add_f64 v[42:43], v[12:13], v[4:5]
	v_mul_f64 v[4:5], v[28:29], v[18:19]
	v_add_f64 v[44:45], v[14:15], v[10:11]
	v_mul_f64 v[10:11], v[26:27], v[18:19]
	s_delay_alu instid0(VALU_DEP_3) | instskip(NEXT) | instid1(VALU_DEP_2)
	v_fma_f64 v[4:5], v[26:27], v[16:17], -v[4:5]
	v_fma_f64 v[10:11], v[28:29], v[16:17], v[10:11]
	s_delay_alu instid0(VALU_DEP_2)
	v_add_f64 v[16:17], v[6:7], v[4:5]
	ds_load_b128 v[4:7], v22 offset:512
	v_add_f64 v[18:19], v[8:9], v[10:11]
	s_waitcnt lgkmcnt(0)
	v_mul_f64 v[8:9], v[32:33], v[6:7]
	v_mul_f64 v[10:11], v[30:31], v[6:7]
	s_delay_alu instid0(VALU_DEP_2) | instskip(NEXT) | instid1(VALU_DEP_2)
	v_fma_f64 v[8:9], v[30:31], v[4:5], -v[8:9]
	v_fma_f64 v[10:11], v[32:33], v[4:5], v[10:11]
	s_delay_alu instid0(VALU_DEP_2) | instskip(NEXT) | instid1(VALU_DEP_2)
	v_add_f64 v[26:27], v[46:47], v[8:9]
	v_add_f64 v[28:29], v[48:49], v[10:11]
	ds_load_b128 v[8:11], v22 offset:768
	s_waitcnt lgkmcnt(0)
	v_mul_f64 v[12:13], v[32:33], v[10:11]
	v_mul_f64 v[14:15], v[30:31], v[10:11]
	s_delay_alu instid0(VALU_DEP_2) | instskip(NEXT) | instid1(VALU_DEP_2)
	v_fma_f64 v[12:13], v[30:31], v[8:9], -v[12:13]
	v_fma_f64 v[14:15], v[32:33], v[8:9], v[14:15]
	s_delay_alu instid0(VALU_DEP_2) | instskip(NEXT) | instid1(VALU_DEP_2)
	v_add_f64 v[30:31], v[50:51], v[12:13]
	v_add_f64 v[32:33], v[52:53], v[14:15]
	ds_load_b128 v[12:15], v25 offset:2064
	s_waitcnt lgkmcnt(0)
	v_mul_f64 v[46:47], v[14:15], v[6:7]
	v_mul_f64 v[6:7], v[12:13], v[6:7]
	s_delay_alu instid0(VALU_DEP_2) | instskip(NEXT) | instid1(VALU_DEP_2)
	v_fma_f64 v[46:47], v[12:13], v[4:5], -v[46:47]
	v_fma_f64 v[4:5], v[14:15], v[4:5], v[6:7]
	v_mul_f64 v[6:7], v[12:13], v[10:11]
	s_delay_alu instid0(VALU_DEP_3) | instskip(NEXT) | instid1(VALU_DEP_3)
	v_add_f64 v[42:43], v[42:43], v[46:47]
	v_add_f64 v[44:45], v[44:45], v[4:5]
	v_mul_f64 v[4:5], v[14:15], v[10:11]
	s_delay_alu instid0(VALU_DEP_4) | instskip(NEXT) | instid1(VALU_DEP_2)
	v_fma_f64 v[6:7], v[14:15], v[8:9], v[6:7]
	v_fma_f64 v[4:5], v[12:13], v[8:9], -v[4:5]
	s_delay_alu instid0(VALU_DEP_2) | instskip(NEXT) | instid1(VALU_DEP_2)
	v_add_f64 v[18:19], v[18:19], v[6:7]
	v_add_f64 v[16:17], v[16:17], v[4:5]
	ds_load_b128 v[4:7], v22 offset:1024
	s_waitcnt lgkmcnt(0)
	v_mul_f64 v[8:9], v[36:37], v[6:7]
	v_mul_f64 v[10:11], v[34:35], v[6:7]
	s_delay_alu instid0(VALU_DEP_2) | instskip(NEXT) | instid1(VALU_DEP_2)
	v_fma_f64 v[8:9], v[34:35], v[4:5], -v[8:9]
	v_fma_f64 v[10:11], v[36:37], v[4:5], v[10:11]
	s_delay_alu instid0(VALU_DEP_2) | instskip(NEXT) | instid1(VALU_DEP_2)
	v_add_f64 v[26:27], v[26:27], v[8:9]
	v_add_f64 v[28:29], v[28:29], v[10:11]
	ds_load_b128 v[8:11], v22 offset:1280
	s_waitcnt lgkmcnt(0)
	v_mul_f64 v[12:13], v[36:37], v[10:11]
	v_mul_f64 v[14:15], v[34:35], v[10:11]
	s_delay_alu instid0(VALU_DEP_2) | instskip(NEXT) | instid1(VALU_DEP_2)
	v_fma_f64 v[12:13], v[34:35], v[8:9], -v[12:13]
	v_fma_f64 v[14:15], v[36:37], v[8:9], v[14:15]
	s_delay_alu instid0(VALU_DEP_2) | instskip(NEXT) | instid1(VALU_DEP_2)
	v_add_f64 v[30:31], v[30:31], v[12:13]
	v_add_f64 v[32:33], v[32:33], v[14:15]
	ds_load_b128 v[12:15], v25 offset:2080
	s_waitcnt lgkmcnt(0)
	v_mul_f64 v[34:35], v[14:15], v[6:7]
	v_mul_f64 v[6:7], v[12:13], v[6:7]
	s_delay_alu instid0(VALU_DEP_2) | instskip(NEXT) | instid1(VALU_DEP_2)
	v_fma_f64 v[34:35], v[12:13], v[4:5], -v[34:35]
	v_fma_f64 v[4:5], v[14:15], v[4:5], v[6:7]
	v_mul_f64 v[6:7], v[12:13], v[10:11]
	s_delay_alu instid0(VALU_DEP_3) | instskip(NEXT) | instid1(VALU_DEP_3)
	v_add_f64 v[34:35], v[42:43], v[34:35]
	v_add_f64 v[36:37], v[44:45], v[4:5]
	v_mul_f64 v[4:5], v[14:15], v[10:11]
	s_delay_alu instid0(VALU_DEP_4) | instskip(NEXT) | instid1(VALU_DEP_2)
	v_fma_f64 v[6:7], v[14:15], v[8:9], v[6:7]
	v_fma_f64 v[4:5], v[12:13], v[8:9], -v[4:5]
	s_delay_alu instid0(VALU_DEP_2) | instskip(NEXT) | instid1(VALU_DEP_2)
	v_add_f64 v[18:19], v[18:19], v[6:7]
	v_add_f64 v[16:17], v[16:17], v[4:5]
	ds_load_b128 v[4:7], v22 offset:1536
	;; [unrolled: 38-line block ×3, first 2 shown]
	ds_load_b128 v[8:11], v22 offset:2048
	s_waitcnt lgkmcnt(0)
	v_mul_f64 v[12:13], v[6:7], v[10:11]
	v_mul_f64 v[14:15], v[4:5], v[10:11]
	s_delay_alu instid0(VALU_DEP_2) | instskip(NEXT) | instid1(VALU_DEP_2)
	v_fma_f64 v[12:13], v[4:5], v[8:9], -v[12:13]
	v_fma_f64 v[14:15], v[6:7], v[8:9], v[14:15]
	s_delay_alu instid0(VALU_DEP_2) | instskip(NEXT) | instid1(VALU_DEP_2)
	v_add_f64 v[26:27], v[26:27], v[12:13]
	v_add_f64 v[28:29], v[28:29], v[14:15]
	ds_load_b128 v[12:15], v22 offset:2304
	s_waitcnt lgkmcnt(0)
	v_mul_f64 v[38:39], v[6:7], v[14:15]
	s_delay_alu instid0(VALU_DEP_1) | instskip(SKIP_1) | instid1(VALU_DEP_2)
	v_fma_f64 v[38:39], v[4:5], v[12:13], -v[38:39]
	v_mul_f64 v[4:5], v[4:5], v[14:15]
	v_add_f64 v[30:31], v[30:31], v[38:39]
	s_delay_alu instid0(VALU_DEP_2) | instskip(NEXT) | instid1(VALU_DEP_1)
	v_fma_f64 v[4:5], v[6:7], v[12:13], v[4:5]
	v_add_f64 v[32:33], v[32:33], v[4:5]
	ds_load_b128 v[4:7], v25 offset:2112
	s_waitcnt lgkmcnt(0)
	v_mul_f64 v[38:39], v[6:7], v[10:11]
	v_mul_f64 v[10:11], v[4:5], v[10:11]
	s_delay_alu instid0(VALU_DEP_2) | instskip(NEXT) | instid1(VALU_DEP_2)
	v_fma_f64 v[38:39], v[4:5], v[8:9], -v[38:39]
	v_fma_f64 v[8:9], v[6:7], v[8:9], v[10:11]
	s_delay_alu instid0(VALU_DEP_2) | instskip(NEXT) | instid1(VALU_DEP_2)
	v_add_f64 v[34:35], v[34:35], v[38:39]
	v_add_f64 v[36:37], v[36:37], v[8:9]
	v_mul_f64 v[8:9], v[6:7], v[14:15]
	s_delay_alu instid0(VALU_DEP_1) | instskip(SKIP_1) | instid1(VALU_DEP_2)
	v_fma_f64 v[8:9], v[4:5], v[12:13], -v[8:9]
	v_mul_f64 v[4:5], v[4:5], v[14:15]
	v_add_f64 v[16:17], v[16:17], v[8:9]
	s_delay_alu instid0(VALU_DEP_2) | instskip(NEXT) | instid1(VALU_DEP_1)
	v_fma_f64 v[4:5], v[6:7], v[12:13], v[4:5]
	v_add_f64 v[18:19], v[18:19], v[4:5]
	ds_load_b128 v[4:7], v25 offset:80
	ds_load_b128 v[8:11], v22 offset:2560
	s_waitcnt lgkmcnt(0)
	v_mul_f64 v[12:13], v[6:7], v[10:11]
	v_mul_f64 v[14:15], v[4:5], v[10:11]
	s_delay_alu instid0(VALU_DEP_2) | instskip(NEXT) | instid1(VALU_DEP_2)
	v_fma_f64 v[12:13], v[4:5], v[8:9], -v[12:13]
	v_fma_f64 v[14:15], v[6:7], v[8:9], v[14:15]
	s_delay_alu instid0(VALU_DEP_2) | instskip(NEXT) | instid1(VALU_DEP_2)
	v_add_f64 v[26:27], v[26:27], v[12:13]
	v_add_f64 v[28:29], v[28:29], v[14:15]
	ds_load_b128 v[12:15], v22 offset:2816
	s_waitcnt lgkmcnt(0)
	v_mul_f64 v[38:39], v[6:7], v[14:15]
	s_delay_alu instid0(VALU_DEP_1) | instskip(SKIP_1) | instid1(VALU_DEP_2)
	v_fma_f64 v[38:39], v[4:5], v[12:13], -v[38:39]
	v_mul_f64 v[4:5], v[4:5], v[14:15]
	v_add_f64 v[30:31], v[30:31], v[38:39]
	s_delay_alu instid0(VALU_DEP_2) | instskip(NEXT) | instid1(VALU_DEP_1)
	v_fma_f64 v[4:5], v[6:7], v[12:13], v[4:5]
	v_add_f64 v[32:33], v[32:33], v[4:5]
	ds_load_b128 v[4:7], v25 offset:2128
	s_waitcnt lgkmcnt(0)
	v_mul_f64 v[38:39], v[6:7], v[10:11]
	v_mul_f64 v[10:11], v[4:5], v[10:11]
	s_delay_alu instid0(VALU_DEP_2) | instskip(NEXT) | instid1(VALU_DEP_2)
	v_fma_f64 v[38:39], v[4:5], v[8:9], -v[38:39]
	v_fma_f64 v[8:9], v[6:7], v[8:9], v[10:11]
	s_delay_alu instid0(VALU_DEP_2) | instskip(NEXT) | instid1(VALU_DEP_2)
	v_add_f64 v[34:35], v[34:35], v[38:39]
	v_add_f64 v[36:37], v[36:37], v[8:9]
	v_mul_f64 v[8:9], v[6:7], v[14:15]
	s_delay_alu instid0(VALU_DEP_1) | instskip(SKIP_1) | instid1(VALU_DEP_2)
	v_fma_f64 v[8:9], v[4:5], v[12:13], -v[8:9]
	v_mul_f64 v[4:5], v[4:5], v[14:15]
	v_add_f64 v[16:17], v[16:17], v[8:9]
	s_delay_alu instid0(VALU_DEP_2) | instskip(NEXT) | instid1(VALU_DEP_1)
	v_fma_f64 v[4:5], v[6:7], v[12:13], v[4:5]
	v_add_f64 v[18:19], v[18:19], v[4:5]
	ds_load_b128 v[4:7], v25 offset:96
	;; [unrolled: 39-line block ×3, first 2 shown]
	ds_load_b128 v[12:15], v22 offset:3584
	s_waitcnt lgkmcnt(0)
	v_mul_f64 v[8:9], v[6:7], v[14:15]
	v_mul_f64 v[10:11], v[4:5], v[14:15]
	s_delay_alu instid0(VALU_DEP_2) | instskip(NEXT) | instid1(VALU_DEP_2)
	v_fma_f64 v[8:9], v[4:5], v[12:13], -v[8:9]
	v_fma_f64 v[10:11], v[6:7], v[12:13], v[10:11]
	s_delay_alu instid0(VALU_DEP_2) | instskip(NEXT) | instid1(VALU_DEP_2)
	v_add_f64 v[16:17], v[26:27], v[8:9]
	v_add_f64 v[18:19], v[28:29], v[10:11]
	ds_load_b128 v[26:29], v22 offset:3840
	s_waitcnt lgkmcnt(0)
	v_mul_f64 v[8:9], v[6:7], v[28:29]
	s_delay_alu instid0(VALU_DEP_1) | instskip(SKIP_1) | instid1(VALU_DEP_1)
	v_fma_f64 v[8:9], v[4:5], v[26:27], -v[8:9]
	v_mul_f64 v[4:5], v[4:5], v[28:29]
	v_fma_f64 v[6:7], v[6:7], v[26:27], v[4:5]
	s_delay_alu instid0(VALU_DEP_3) | instskip(NEXT) | instid1(VALU_DEP_2)
	v_add_f64 v[4:5], v[30:31], v[8:9]
	v_add_f64 v[10:11], v[32:33], v[6:7]
	ds_load_b128 v[6:9], v25 offset:2160
	s_waitcnt lgkmcnt(0)
	s_barrier
	buffer_gl0_inv
	v_mul_f64 v[30:31], v[8:9], v[14:15]
	v_mul_f64 v[14:15], v[6:7], v[14:15]
	s_delay_alu instid0(VALU_DEP_2) | instskip(NEXT) | instid1(VALU_DEP_2)
	v_fma_f64 v[30:31], v[6:7], v[12:13], -v[30:31]
	v_fma_f64 v[14:15], v[8:9], v[12:13], v[14:15]
	s_delay_alu instid0(VALU_DEP_2) | instskip(SKIP_1) | instid1(VALU_DEP_3)
	v_add_f64 v[12:13], v[34:35], v[30:31]
	v_mul_f64 v[30:31], v[8:9], v[28:29]
	v_add_f64 v[14:15], v[36:37], v[14:15]
	s_delay_alu instid0(VALU_DEP_2) | instskip(SKIP_1) | instid1(VALU_DEP_1)
	v_fma_f64 v[30:31], v[6:7], v[26:27], -v[30:31]
	v_mul_f64 v[6:7], v[6:7], v[28:29]
	v_fma_f64 v[8:9], v[8:9], v[26:27], v[6:7]
	s_delay_alu instid0(VALU_DEP_3) | instskip(NEXT) | instid1(VALU_DEP_2)
	v_add_f64 v[6:7], v[38:39], v[30:31]
	v_add_f64 v[8:9], v[40:41], v[8:9]
	s_cbranch_vccz .LBB1187_2
.LBB1187_3:
	v_add_nc_u32_e32 v21, s13, v21
	s_load_b32 s4, s[0:1], 0x0
	s_mul_i32 s1, s15, s39
	s_mul_hi_u32 s2, s15, s38
	s_mul_i32 s0, s15, s38
	v_ashrrev_i32_e32 v0, 31, v21
	v_mul_lo_u32 v3, v21, s37
	v_mad_u64_u32 v[1:2], null, v21, s36, 0
	s_add_i32 s1, s2, s1
	s_delay_alu instid0(VALU_DEP_3) | instskip(SKIP_1) | instid1(SALU_CYCLE_1)
	v_mul_lo_u32 v0, v0, s36
	s_lshl_b64 s[2:3], s[0:1], 4
	s_add_u32 s2, s10, s2
	s_addc_u32 s3, s11, s3
	s_delay_alu instid0(VALU_DEP_1) | instskip(SKIP_1) | instid1(VALU_DEP_2)
	v_add3_u32 v2, v2, v3, v0
	v_add_nc_u32_e32 v0, s12, v20
	v_lshlrev_b64 v[1:2], 4, v[1:2]
	s_delay_alu instid0(VALU_DEP_2) | instskip(SKIP_2) | instid1(VALU_DEP_3)
	v_cmp_le_i32_e64 s0, v21, v0
	s_waitcnt lgkmcnt(0)
	v_cmp_gt_i32_e32 vcc_lo, s4, v0
	v_add_co_u32 v20, s1, s2, v1
	s_delay_alu instid0(VALU_DEP_1) | instskip(SKIP_1) | instid1(SALU_CYCLE_1)
	v_add_co_ci_u32_e64 v22, s1, s3, v2, s1
	s_and_b32 s0, s0, vcc_lo
	s_and_saveexec_b32 s1, s0
	s_cbranch_execz .LBB1187_5
; %bb.4:
	v_ashrrev_i32_e32 v1, 31, v0
	v_mul_f64 v[27:28], s[20:21], v[18:19]
	v_mul_f64 v[18:19], s[18:19], v[18:19]
	s_delay_alu instid0(VALU_DEP_3) | instskip(NEXT) | instid1(VALU_DEP_1)
	v_lshlrev_b64 v[1:2], 4, v[0:1]
	v_add_co_u32 v1, s0, v20, v1
	s_delay_alu instid0(VALU_DEP_1)
	v_add_co_ci_u32_e64 v2, s0, v22, v2, s0
	global_load_b128 v[23:26], v[1:2], off
	v_fma_f64 v[27:28], s[18:19], v[16:17], -v[27:28]
	v_fma_f64 v[18:19], s[20:21], v[16:17], v[18:19]
	s_waitcnt vmcnt(0)
	v_mul_f64 v[29:30], s[8:9], v[25:26]
	v_mul_f64 v[25:26], s[6:7], v[25:26]
	s_delay_alu instid0(VALU_DEP_2) | instskip(NEXT) | instid1(VALU_DEP_2)
	v_fma_f64 v[16:17], s[6:7], v[23:24], -v[29:30]
	v_fma_f64 v[23:24], s[8:9], v[23:24], v[25:26]
	s_delay_alu instid0(VALU_DEP_2) | instskip(NEXT) | instid1(VALU_DEP_2)
	v_add_f64 v[16:17], v[27:28], v[16:17]
	v_add_f64 v[18:19], v[18:19], v[23:24]
	global_store_b128 v[1:2], v[16:19], off
.LBB1187_5:
	s_or_b32 exec_lo, exec_lo, s1
	v_add_nc_u32_e32 v2, 16, v0
	s_delay_alu instid0(VALU_DEP_1) | instskip(SKIP_1) | instid1(VALU_DEP_1)
	v_cmp_le_i32_e64 s1, v21, v2
	v_cmp_gt_i32_e64 s0, s4, v2
	s_and_b32 s1, s1, s0
	s_delay_alu instid0(SALU_CYCLE_1)
	s_and_saveexec_b32 s4, s1
	s_cbranch_execz .LBB1187_7
; %bb.6:
	v_ashrrev_i32_e32 v3, 31, v2
	v_mul_f64 v[25:26], s[20:21], v[10:11]
	v_mul_f64 v[10:11], s[18:19], v[10:11]
	s_delay_alu instid0(VALU_DEP_3) | instskip(NEXT) | instid1(VALU_DEP_1)
	v_lshlrev_b64 v[16:17], 4, v[2:3]
	v_add_co_u32 v23, s1, v20, v16
	s_delay_alu instid0(VALU_DEP_1)
	v_add_co_ci_u32_e64 v24, s1, v22, v17, s1
	global_load_b128 v[16:19], v[23:24], off
	v_fma_f64 v[25:26], s[18:19], v[4:5], -v[25:26]
	v_fma_f64 v[3:4], s[20:21], v[4:5], v[10:11]
	s_waitcnt vmcnt(0)
	v_mul_f64 v[27:28], s[8:9], v[18:19]
	v_mul_f64 v[18:19], s[6:7], v[18:19]
	s_delay_alu instid0(VALU_DEP_2) | instskip(NEXT) | instid1(VALU_DEP_2)
	v_fma_f64 v[10:11], s[6:7], v[16:17], -v[27:28]
	v_fma_f64 v[18:19], s[8:9], v[16:17], v[18:19]
	s_delay_alu instid0(VALU_DEP_2) | instskip(NEXT) | instid1(VALU_DEP_2)
	v_add_f64 v[16:17], v[25:26], v[10:11]
	v_add_f64 v[18:19], v[3:4], v[18:19]
	global_store_b128 v[23:24], v[16:19], off
.LBB1187_7:
	s_or_b32 exec_lo, exec_lo, s4
	v_add_nc_u32_e32 v3, 16, v21
	s_delay_alu instid0(VALU_DEP_1) | instskip(SKIP_3) | instid1(VALU_DEP_4)
	v_ashrrev_i32_e32 v1, 31, v3
	v_mul_lo_u32 v10, v3, s37
	v_mad_u64_u32 v[4:5], null, v3, s36, 0
	v_cmp_le_i32_e64 s1, v3, v0
	v_mul_lo_u32 v1, v1, s36
	s_delay_alu instid0(VALU_DEP_1) | instskip(NEXT) | instid1(VALU_DEP_1)
	v_add3_u32 v5, v5, v10, v1
	v_lshlrev_b64 v[4:5], 4, v[4:5]
	s_delay_alu instid0(VALU_DEP_1) | instskip(NEXT) | instid1(VALU_DEP_1)
	v_add_co_u32 v4, s2, s2, v4
	v_add_co_ci_u32_e64 v5, s2, s3, v5, s2
	s_and_b32 s2, s1, vcc_lo
	s_delay_alu instid0(SALU_CYCLE_1)
	s_and_saveexec_b32 s1, s2
	s_cbranch_execz .LBB1187_9
; %bb.8:
	v_ashrrev_i32_e32 v1, 31, v0
	v_mul_f64 v[10:11], s[20:21], v[14:15]
	v_mul_f64 v[14:15], s[18:19], v[14:15]
	s_delay_alu instid0(VALU_DEP_3) | instskip(NEXT) | instid1(VALU_DEP_1)
	v_lshlrev_b64 v[0:1], 4, v[0:1]
	v_add_co_u32 v0, vcc_lo, v4, v0
	s_delay_alu instid0(VALU_DEP_2)
	v_add_co_ci_u32_e32 v1, vcc_lo, v5, v1, vcc_lo
	global_load_b128 v[16:19], v[0:1], off
	v_fma_f64 v[10:11], s[18:19], v[12:13], -v[10:11]
	v_fma_f64 v[12:13], s[20:21], v[12:13], v[14:15]
	s_waitcnt vmcnt(0)
	v_mul_f64 v[20:21], s[8:9], v[18:19]
	v_mul_f64 v[18:19], s[6:7], v[18:19]
	s_delay_alu instid0(VALU_DEP_2) | instskip(NEXT) | instid1(VALU_DEP_2)
	v_fma_f64 v[14:15], s[6:7], v[16:17], -v[20:21]
	v_fma_f64 v[16:17], s[8:9], v[16:17], v[18:19]
	s_delay_alu instid0(VALU_DEP_2) | instskip(NEXT) | instid1(VALU_DEP_2)
	v_add_f64 v[10:11], v[10:11], v[14:15]
	v_add_f64 v[12:13], v[12:13], v[16:17]
	global_store_b128 v[0:1], v[10:13], off
.LBB1187_9:
	s_or_b32 exec_lo, exec_lo, s1
	v_cmp_le_i32_e32 vcc_lo, v3, v2
	s_and_b32 s0, vcc_lo, s0
	s_delay_alu instid0(SALU_CYCLE_1)
	s_and_saveexec_b32 s1, s0
	s_cbranch_execz .LBB1187_11
; %bb.10:
	v_ashrrev_i32_e32 v3, 31, v2
	v_mul_f64 v[10:11], s[20:21], v[8:9]
	v_mul_f64 v[8:9], s[18:19], v[8:9]
	s_delay_alu instid0(VALU_DEP_3) | instskip(NEXT) | instid1(VALU_DEP_1)
	v_lshlrev_b64 v[0:1], 4, v[2:3]
	v_add_co_u32 v4, vcc_lo, v4, v0
	s_delay_alu instid0(VALU_DEP_2)
	v_add_co_ci_u32_e32 v5, vcc_lo, v5, v1, vcc_lo
	global_load_b128 v[0:3], v[4:5], off
	v_fma_f64 v[10:11], s[18:19], v[6:7], -v[10:11]
	v_fma_f64 v[6:7], s[20:21], v[6:7], v[8:9]
	s_waitcnt vmcnt(0)
	v_mul_f64 v[12:13], s[8:9], v[2:3]
	v_mul_f64 v[2:3], s[6:7], v[2:3]
	s_delay_alu instid0(VALU_DEP_2) | instskip(NEXT) | instid1(VALU_DEP_2)
	v_fma_f64 v[8:9], s[6:7], v[0:1], -v[12:13]
	v_fma_f64 v[2:3], s[8:9], v[0:1], v[2:3]
	s_delay_alu instid0(VALU_DEP_2) | instskip(NEXT) | instid1(VALU_DEP_2)
	v_add_f64 v[0:1], v[10:11], v[8:9]
	v_add_f64 v[2:3], v[6:7], v[2:3]
	global_store_b128 v[4:5], v[0:3], off
.LBB1187_11:
	s_nop 0
	s_sendmsg sendmsg(MSG_DEALLOC_VGPRS)
	s_endpgm
	.section	.rodata,"a",@progbits
	.p2align	6, 0x0
	.amdhsa_kernel _ZL37rocblas_syrkx_herkx_restricted_kernelIl19rocblas_complex_numIdELi16ELi32ELi8ELb0ELb0ELc84ELc76EKS1_S1_EviT_T0_PT8_S3_lS6_S3_lS4_PT9_S3_li
		.amdhsa_group_segment_fixed_size 8192
		.amdhsa_private_segment_fixed_size 0
		.amdhsa_kernarg_size 124
		.amdhsa_user_sgpr_count 13
		.amdhsa_user_sgpr_dispatch_ptr 0
		.amdhsa_user_sgpr_queue_ptr 0
		.amdhsa_user_sgpr_kernarg_segment_ptr 1
		.amdhsa_user_sgpr_dispatch_id 0
		.amdhsa_user_sgpr_private_segment_size 0
		.amdhsa_wavefront_size32 1
		.amdhsa_uses_dynamic_stack 0
		.amdhsa_enable_private_segment 0
		.amdhsa_system_sgpr_workgroup_id_x 1
		.amdhsa_system_sgpr_workgroup_id_y 1
		.amdhsa_system_sgpr_workgroup_id_z 1
		.amdhsa_system_sgpr_workgroup_info 0
		.amdhsa_system_vgpr_workitem_id 1
		.amdhsa_next_free_vgpr 54
		.amdhsa_next_free_sgpr 40
		.amdhsa_reserve_vcc 1
		.amdhsa_float_round_mode_32 0
		.amdhsa_float_round_mode_16_64 0
		.amdhsa_float_denorm_mode_32 3
		.amdhsa_float_denorm_mode_16_64 3
		.amdhsa_dx10_clamp 1
		.amdhsa_ieee_mode 1
		.amdhsa_fp16_overflow 0
		.amdhsa_workgroup_processor_mode 1
		.amdhsa_memory_ordered 1
		.amdhsa_forward_progress 0
		.amdhsa_shared_vgpr_count 0
		.amdhsa_exception_fp_ieee_invalid_op 0
		.amdhsa_exception_fp_denorm_src 0
		.amdhsa_exception_fp_ieee_div_zero 0
		.amdhsa_exception_fp_ieee_overflow 0
		.amdhsa_exception_fp_ieee_underflow 0
		.amdhsa_exception_fp_ieee_inexact 0
		.amdhsa_exception_int_div_zero 0
	.end_amdhsa_kernel
	.section	.text._ZL37rocblas_syrkx_herkx_restricted_kernelIl19rocblas_complex_numIdELi16ELi32ELi8ELb0ELb0ELc84ELc76EKS1_S1_EviT_T0_PT8_S3_lS6_S3_lS4_PT9_S3_li,"axG",@progbits,_ZL37rocblas_syrkx_herkx_restricted_kernelIl19rocblas_complex_numIdELi16ELi32ELi8ELb0ELb0ELc84ELc76EKS1_S1_EviT_T0_PT8_S3_lS6_S3_lS4_PT9_S3_li,comdat
.Lfunc_end1187:
	.size	_ZL37rocblas_syrkx_herkx_restricted_kernelIl19rocblas_complex_numIdELi16ELi32ELi8ELb0ELb0ELc84ELc76EKS1_S1_EviT_T0_PT8_S3_lS6_S3_lS4_PT9_S3_li, .Lfunc_end1187-_ZL37rocblas_syrkx_herkx_restricted_kernelIl19rocblas_complex_numIdELi16ELi32ELi8ELb0ELb0ELc84ELc76EKS1_S1_EviT_T0_PT8_S3_lS6_S3_lS4_PT9_S3_li
                                        ; -- End function
	.section	.AMDGPU.csdata,"",@progbits
; Kernel info:
; codeLenInByte = 3672
; NumSgprs: 42
; NumVgprs: 54
; ScratchSize: 0
; MemoryBound: 0
; FloatMode: 240
; IeeeMode: 1
; LDSByteSize: 8192 bytes/workgroup (compile time only)
; SGPRBlocks: 5
; VGPRBlocks: 6
; NumSGPRsForWavesPerEU: 42
; NumVGPRsForWavesPerEU: 54
; Occupancy: 16
; WaveLimiterHint : 0
; COMPUTE_PGM_RSRC2:SCRATCH_EN: 0
; COMPUTE_PGM_RSRC2:USER_SGPR: 13
; COMPUTE_PGM_RSRC2:TRAP_HANDLER: 0
; COMPUTE_PGM_RSRC2:TGID_X_EN: 1
; COMPUTE_PGM_RSRC2:TGID_Y_EN: 1
; COMPUTE_PGM_RSRC2:TGID_Z_EN: 1
; COMPUTE_PGM_RSRC2:TIDIG_COMP_CNT: 1
	.section	.text._ZL37rocblas_syrkx_herkx_restricted_kernelIl19rocblas_complex_numIdELi16ELi32ELi8ELb0ELb0ELc67ELc76EKS1_S1_EviT_T0_PT8_S3_lS6_S3_lS4_PT9_S3_li,"axG",@progbits,_ZL37rocblas_syrkx_herkx_restricted_kernelIl19rocblas_complex_numIdELi16ELi32ELi8ELb0ELb0ELc67ELc76EKS1_S1_EviT_T0_PT8_S3_lS6_S3_lS4_PT9_S3_li,comdat
	.globl	_ZL37rocblas_syrkx_herkx_restricted_kernelIl19rocblas_complex_numIdELi16ELi32ELi8ELb0ELb0ELc67ELc76EKS1_S1_EviT_T0_PT8_S3_lS6_S3_lS4_PT9_S3_li ; -- Begin function _ZL37rocblas_syrkx_herkx_restricted_kernelIl19rocblas_complex_numIdELi16ELi32ELi8ELb0ELb0ELc67ELc76EKS1_S1_EviT_T0_PT8_S3_lS6_S3_lS4_PT9_S3_li
	.p2align	8
	.type	_ZL37rocblas_syrkx_herkx_restricted_kernelIl19rocblas_complex_numIdELi16ELi32ELi8ELb0ELb0ELc67ELc76EKS1_S1_EviT_T0_PT8_S3_lS6_S3_lS4_PT9_S3_li,@function
_ZL37rocblas_syrkx_herkx_restricted_kernelIl19rocblas_complex_numIdELi16ELi32ELi8ELb0ELb0ELc67ELc76EKS1_S1_EviT_T0_PT8_S3_lS6_S3_lS4_PT9_S3_li: ; @_ZL37rocblas_syrkx_herkx_restricted_kernelIl19rocblas_complex_numIdELi16ELi32ELi8ELb0ELb0ELc67ELc76EKS1_S1_EviT_T0_PT8_S3_lS6_S3_lS4_PT9_S3_li
; %bb.0:
	s_clause 0x2
	s_load_b512 s[16:31], s[0:1], 0x8
	s_load_b128 s[36:39], s[0:1], 0x68
	s_load_b256 s[4:11], s[0:1], 0x48
	v_mov_b32_e32 v16, 0
	v_dual_mov_b32 v17, 0 :: v_dual_and_b32 v20, 0x3ff, v0
	v_bfe_u32 v21, v0, 10, 10
	s_delay_alu instid0(VALU_DEP_3) | instskip(NEXT) | instid1(VALU_DEP_3)
	v_mov_b32_e32 v4, v16
	v_dual_mov_b32 v10, v16 :: v_dual_mov_b32 v11, v17
	v_dual_mov_b32 v19, v17 :: v_dual_mov_b32 v18, v16
	;; [unrolled: 1-line block ×6, first 2 shown]
	v_mov_b32_e32 v9, v17
	s_waitcnt lgkmcnt(0)
	v_cmp_lt_i64_e64 s2, s[16:17], 1
	s_lshl_b32 s12, s13, 5
	s_lshl_b32 s13, s14, 5
	s_delay_alu instid0(VALU_DEP_1)
	s_and_b32 vcc_lo, exec_lo, s2
	s_cbranch_vccnz .LBB1188_3
; %bb.1:
	v_lshl_add_u32 v2, v21, 4, v20
	v_dual_mov_b32 v1, 0 :: v_dual_and_b32 v0, 7, v20
	v_lshlrev_b32_e32 v22, 4, v20
	s_mul_i32 s3, s27, s15
	s_delay_alu instid0(VALU_DEP_3)
	v_and_b32_e32 v8, 31, v2
	v_lshrrev_b32_e32 v9, 3, v2
	v_mov_b32_e32 v3, v1
	v_lshrrev_b32_e32 v2, 5, v2
	v_lshlrev_b32_e32 v11, 4, v0
	v_add_nc_u32_e32 v6, s12, v8
	v_add_nc_u32_e32 v10, s13, v9
	s_mul_hi_u32 s14, s26, s15
	s_mul_i32 s2, s26, s15
	s_add_i32 s3, s14, s3
	v_ashrrev_i32_e32 v7, 31, v6
	v_ashrrev_i32_e32 v12, 31, v10
	v_mad_u64_u32 v[4:5], null, s24, v6, v[2:3]
	v_mul_lo_u32 v3, s25, v6
	s_delay_alu instid0(VALU_DEP_4)
	v_mul_lo_u32 v13, s24, v7
	v_mul_lo_u32 v14, v10, s31
	v_mad_u64_u32 v[6:7], null, v10, s30, v[0:1]
	v_mul_lo_u32 v0, v12, s30
	v_lshlrev_b32_e32 v1, 4, v8
	s_lshl_b64 s[2:3], s[2:3], 4
	v_lshl_or_b32 v8, v9, 7, v11
	v_add3_u32 v5, v3, v5, v13
	s_add_u32 s14, s22, s2
	v_lshl_or_b32 v23, v2, 9, v1
	s_mul_i32 s2, s5, s15
	v_add3_u32 v7, v0, v7, v14
	v_lshlrev_b64 v[0:1], 4, v[4:5]
	s_mul_hi_u32 s5, s4, s15
	s_addc_u32 s22, s23, s3
	s_add_i32 s3, s5, s2
	s_mul_i32 s2, s4, s15
	v_lshlrev_b64 v[2:3], 4, v[6:7]
	s_lshl_b64 s[2:3], s[2:3], 4
	v_add_co_u32 v0, vcc_lo, s14, v0
	s_add_u32 s2, s28, s2
	v_add_nc_u32_e32 v24, 0x1000, v8
	v_add_co_ci_u32_e32 v1, vcc_lo, s22, v1, vcc_lo
	v_mov_b32_e32 v8, 0
	s_addc_u32 s3, s29, s3
	v_add_co_u32 v2, vcc_lo, s2, v2
	v_mov_b32_e32 v9, 0
	v_add_co_ci_u32_e32 v3, vcc_lo, s3, v3, vcc_lo
	v_add_co_u32 v0, vcc_lo, v0, 8
	s_delay_alu instid0(VALU_DEP_3)
	v_mov_b32_e32 v15, v9
	v_add_co_ci_u32_e32 v1, vcc_lo, 0, v1, vcc_lo
	v_add_co_u32 v2, vcc_lo, v2, 8
	v_dual_mov_b32 v14, v8 :: v_dual_mov_b32 v13, v9
	v_dual_mov_b32 v4, v8 :: v_dual_mov_b32 v19, v9
	v_mov_b32_e32 v6, v8
	v_dual_mov_b32 v12, v8 :: v_dual_mov_b32 v11, v9
	v_dual_mov_b32 v18, v8 :: v_dual_mov_b32 v17, v9
	v_lshl_add_u32 v25, v21, 7, 0x1000
	v_add_co_ci_u32_e32 v3, vcc_lo, 0, v3, vcc_lo
	v_dual_mov_b32 v7, v9 :: v_dual_mov_b32 v10, v8
	v_dual_mov_b32 v5, v9 :: v_dual_mov_b32 v16, v8
	s_mov_b64 s[2:3], 0
.LBB1188_2:                             ; =>This Inner Loop Header: Depth=1
	global_load_b128 v[26:29], v[0:1], off offset:-8
	s_add_u32 s2, s2, 8
	s_addc_u32 s3, s3, 0
	v_add_co_u32 v0, vcc_lo, 0x80, v0
	v_add_co_ci_u32_e32 v1, vcc_lo, 0, v1, vcc_lo
	v_cmp_ge_u64_e64 s4, s[2:3], s[16:17]
	s_waitcnt vmcnt(0)
	ds_store_b128 v23, v[26:29]
	global_load_b128 v[26:29], v[2:3], off offset:-8
	v_add_co_u32 v2, vcc_lo, 0x80, v2
	v_add_co_ci_u32_e32 v3, vcc_lo, 0, v3, vcc_lo
	s_and_b32 vcc_lo, exec_lo, s4
	s_waitcnt vmcnt(0)
	ds_store_b128 v24, v[26:29]
	s_waitcnt lgkmcnt(0)
	s_barrier
	buffer_gl0_inv
	ds_load_b128 v[26:29], v25
	ds_load_b128 v[30:33], v25 offset:16
	ds_load_b128 v[34:37], v25 offset:32
	;; [unrolled: 1-line block ×3, first 2 shown]
	ds_load_b128 v[42:45], v22
	s_waitcnt lgkmcnt(0)
	v_mul_f64 v[46:47], v[28:29], v[44:45]
	v_mul_f64 v[48:49], v[26:27], v[44:45]
	s_delay_alu instid0(VALU_DEP_2) | instskip(NEXT) | instid1(VALU_DEP_2)
	v_fma_f64 v[46:47], v[26:27], v[42:43], -v[46:47]
	v_fma_f64 v[48:49], v[28:29], v[42:43], v[48:49]
	s_delay_alu instid0(VALU_DEP_2) | instskip(NEXT) | instid1(VALU_DEP_2)
	v_add_f64 v[46:47], v[16:17], v[46:47]
	v_add_f64 v[48:49], v[18:19], v[48:49]
	ds_load_b128 v[16:19], v22 offset:256
	s_waitcnt lgkmcnt(0)
	v_mul_f64 v[50:51], v[28:29], v[18:19]
	s_delay_alu instid0(VALU_DEP_1) | instskip(SKIP_1) | instid1(VALU_DEP_2)
	v_fma_f64 v[50:51], v[26:27], v[16:17], -v[50:51]
	v_mul_f64 v[26:27], v[26:27], v[18:19]
	v_add_f64 v[50:51], v[4:5], v[50:51]
	s_delay_alu instid0(VALU_DEP_2) | instskip(NEXT) | instid1(VALU_DEP_1)
	v_fma_f64 v[26:27], v[28:29], v[16:17], v[26:27]
	v_add_f64 v[52:53], v[10:11], v[26:27]
	ds_load_b128 v[26:29], v25 offset:2048
	s_waitcnt lgkmcnt(0)
	v_mul_f64 v[4:5], v[28:29], v[44:45]
	v_mul_f64 v[10:11], v[26:27], v[44:45]
	s_delay_alu instid0(VALU_DEP_2) | instskip(NEXT) | instid1(VALU_DEP_2)
	v_fma_f64 v[4:5], v[26:27], v[42:43], -v[4:5]
	v_fma_f64 v[10:11], v[28:29], v[42:43], v[10:11]
	s_delay_alu instid0(VALU_DEP_2) | instskip(SKIP_1) | instid1(VALU_DEP_3)
	v_add_f64 v[42:43], v[12:13], v[4:5]
	v_mul_f64 v[4:5], v[28:29], v[18:19]
	v_add_f64 v[44:45], v[14:15], v[10:11]
	v_mul_f64 v[10:11], v[26:27], v[18:19]
	s_delay_alu instid0(VALU_DEP_3) | instskip(NEXT) | instid1(VALU_DEP_2)
	v_fma_f64 v[4:5], v[26:27], v[16:17], -v[4:5]
	v_fma_f64 v[10:11], v[28:29], v[16:17], v[10:11]
	s_delay_alu instid0(VALU_DEP_2)
	v_add_f64 v[16:17], v[6:7], v[4:5]
	ds_load_b128 v[4:7], v22 offset:512
	v_add_f64 v[18:19], v[8:9], v[10:11]
	s_waitcnt lgkmcnt(0)
	v_mul_f64 v[8:9], v[32:33], v[6:7]
	v_mul_f64 v[10:11], v[30:31], v[6:7]
	s_delay_alu instid0(VALU_DEP_2) | instskip(NEXT) | instid1(VALU_DEP_2)
	v_fma_f64 v[8:9], v[30:31], v[4:5], -v[8:9]
	v_fma_f64 v[10:11], v[32:33], v[4:5], v[10:11]
	s_delay_alu instid0(VALU_DEP_2) | instskip(NEXT) | instid1(VALU_DEP_2)
	v_add_f64 v[26:27], v[46:47], v[8:9]
	v_add_f64 v[28:29], v[48:49], v[10:11]
	ds_load_b128 v[8:11], v22 offset:768
	s_waitcnt lgkmcnt(0)
	v_mul_f64 v[12:13], v[32:33], v[10:11]
	v_mul_f64 v[14:15], v[30:31], v[10:11]
	s_delay_alu instid0(VALU_DEP_2) | instskip(NEXT) | instid1(VALU_DEP_2)
	v_fma_f64 v[12:13], v[30:31], v[8:9], -v[12:13]
	v_fma_f64 v[14:15], v[32:33], v[8:9], v[14:15]
	s_delay_alu instid0(VALU_DEP_2) | instskip(NEXT) | instid1(VALU_DEP_2)
	v_add_f64 v[30:31], v[50:51], v[12:13]
	v_add_f64 v[32:33], v[52:53], v[14:15]
	ds_load_b128 v[12:15], v25 offset:2064
	s_waitcnt lgkmcnt(0)
	v_mul_f64 v[46:47], v[14:15], v[6:7]
	v_mul_f64 v[6:7], v[12:13], v[6:7]
	s_delay_alu instid0(VALU_DEP_2) | instskip(NEXT) | instid1(VALU_DEP_2)
	v_fma_f64 v[46:47], v[12:13], v[4:5], -v[46:47]
	v_fma_f64 v[4:5], v[14:15], v[4:5], v[6:7]
	v_mul_f64 v[6:7], v[12:13], v[10:11]
	s_delay_alu instid0(VALU_DEP_3) | instskip(NEXT) | instid1(VALU_DEP_3)
	v_add_f64 v[42:43], v[42:43], v[46:47]
	v_add_f64 v[44:45], v[44:45], v[4:5]
	v_mul_f64 v[4:5], v[14:15], v[10:11]
	s_delay_alu instid0(VALU_DEP_4) | instskip(NEXT) | instid1(VALU_DEP_2)
	v_fma_f64 v[6:7], v[14:15], v[8:9], v[6:7]
	v_fma_f64 v[4:5], v[12:13], v[8:9], -v[4:5]
	s_delay_alu instid0(VALU_DEP_2) | instskip(NEXT) | instid1(VALU_DEP_2)
	v_add_f64 v[18:19], v[18:19], v[6:7]
	v_add_f64 v[16:17], v[16:17], v[4:5]
	ds_load_b128 v[4:7], v22 offset:1024
	s_waitcnt lgkmcnt(0)
	v_mul_f64 v[8:9], v[36:37], v[6:7]
	v_mul_f64 v[10:11], v[34:35], v[6:7]
	s_delay_alu instid0(VALU_DEP_2) | instskip(NEXT) | instid1(VALU_DEP_2)
	v_fma_f64 v[8:9], v[34:35], v[4:5], -v[8:9]
	v_fma_f64 v[10:11], v[36:37], v[4:5], v[10:11]
	s_delay_alu instid0(VALU_DEP_2) | instskip(NEXT) | instid1(VALU_DEP_2)
	v_add_f64 v[26:27], v[26:27], v[8:9]
	v_add_f64 v[28:29], v[28:29], v[10:11]
	ds_load_b128 v[8:11], v22 offset:1280
	s_waitcnt lgkmcnt(0)
	v_mul_f64 v[12:13], v[36:37], v[10:11]
	v_mul_f64 v[14:15], v[34:35], v[10:11]
	s_delay_alu instid0(VALU_DEP_2) | instskip(NEXT) | instid1(VALU_DEP_2)
	v_fma_f64 v[12:13], v[34:35], v[8:9], -v[12:13]
	v_fma_f64 v[14:15], v[36:37], v[8:9], v[14:15]
	s_delay_alu instid0(VALU_DEP_2) | instskip(NEXT) | instid1(VALU_DEP_2)
	v_add_f64 v[30:31], v[30:31], v[12:13]
	v_add_f64 v[32:33], v[32:33], v[14:15]
	ds_load_b128 v[12:15], v25 offset:2080
	s_waitcnt lgkmcnt(0)
	v_mul_f64 v[34:35], v[14:15], v[6:7]
	v_mul_f64 v[6:7], v[12:13], v[6:7]
	s_delay_alu instid0(VALU_DEP_2) | instskip(NEXT) | instid1(VALU_DEP_2)
	v_fma_f64 v[34:35], v[12:13], v[4:5], -v[34:35]
	v_fma_f64 v[4:5], v[14:15], v[4:5], v[6:7]
	v_mul_f64 v[6:7], v[12:13], v[10:11]
	s_delay_alu instid0(VALU_DEP_3) | instskip(NEXT) | instid1(VALU_DEP_3)
	v_add_f64 v[34:35], v[42:43], v[34:35]
	v_add_f64 v[36:37], v[44:45], v[4:5]
	v_mul_f64 v[4:5], v[14:15], v[10:11]
	s_delay_alu instid0(VALU_DEP_4) | instskip(NEXT) | instid1(VALU_DEP_2)
	v_fma_f64 v[6:7], v[14:15], v[8:9], v[6:7]
	v_fma_f64 v[4:5], v[12:13], v[8:9], -v[4:5]
	s_delay_alu instid0(VALU_DEP_2) | instskip(NEXT) | instid1(VALU_DEP_2)
	v_add_f64 v[18:19], v[18:19], v[6:7]
	v_add_f64 v[16:17], v[16:17], v[4:5]
	ds_load_b128 v[4:7], v22 offset:1536
	;; [unrolled: 38-line block ×3, first 2 shown]
	ds_load_b128 v[8:11], v22 offset:2048
	s_waitcnt lgkmcnt(0)
	v_mul_f64 v[12:13], v[6:7], v[10:11]
	v_mul_f64 v[14:15], v[4:5], v[10:11]
	s_delay_alu instid0(VALU_DEP_2) | instskip(NEXT) | instid1(VALU_DEP_2)
	v_fma_f64 v[12:13], v[4:5], v[8:9], -v[12:13]
	v_fma_f64 v[14:15], v[6:7], v[8:9], v[14:15]
	s_delay_alu instid0(VALU_DEP_2) | instskip(NEXT) | instid1(VALU_DEP_2)
	v_add_f64 v[26:27], v[26:27], v[12:13]
	v_add_f64 v[28:29], v[28:29], v[14:15]
	ds_load_b128 v[12:15], v22 offset:2304
	s_waitcnt lgkmcnt(0)
	v_mul_f64 v[38:39], v[6:7], v[14:15]
	s_delay_alu instid0(VALU_DEP_1) | instskip(SKIP_1) | instid1(VALU_DEP_2)
	v_fma_f64 v[38:39], v[4:5], v[12:13], -v[38:39]
	v_mul_f64 v[4:5], v[4:5], v[14:15]
	v_add_f64 v[30:31], v[30:31], v[38:39]
	s_delay_alu instid0(VALU_DEP_2) | instskip(NEXT) | instid1(VALU_DEP_1)
	v_fma_f64 v[4:5], v[6:7], v[12:13], v[4:5]
	v_add_f64 v[32:33], v[32:33], v[4:5]
	ds_load_b128 v[4:7], v25 offset:2112
	s_waitcnt lgkmcnt(0)
	v_mul_f64 v[38:39], v[6:7], v[10:11]
	v_mul_f64 v[10:11], v[4:5], v[10:11]
	s_delay_alu instid0(VALU_DEP_2) | instskip(NEXT) | instid1(VALU_DEP_2)
	v_fma_f64 v[38:39], v[4:5], v[8:9], -v[38:39]
	v_fma_f64 v[8:9], v[6:7], v[8:9], v[10:11]
	s_delay_alu instid0(VALU_DEP_2) | instskip(NEXT) | instid1(VALU_DEP_2)
	v_add_f64 v[34:35], v[34:35], v[38:39]
	v_add_f64 v[36:37], v[36:37], v[8:9]
	v_mul_f64 v[8:9], v[6:7], v[14:15]
	s_delay_alu instid0(VALU_DEP_1) | instskip(SKIP_1) | instid1(VALU_DEP_2)
	v_fma_f64 v[8:9], v[4:5], v[12:13], -v[8:9]
	v_mul_f64 v[4:5], v[4:5], v[14:15]
	v_add_f64 v[16:17], v[16:17], v[8:9]
	s_delay_alu instid0(VALU_DEP_2) | instskip(NEXT) | instid1(VALU_DEP_1)
	v_fma_f64 v[4:5], v[6:7], v[12:13], v[4:5]
	v_add_f64 v[18:19], v[18:19], v[4:5]
	ds_load_b128 v[4:7], v25 offset:80
	ds_load_b128 v[8:11], v22 offset:2560
	s_waitcnt lgkmcnt(0)
	v_mul_f64 v[12:13], v[6:7], v[10:11]
	v_mul_f64 v[14:15], v[4:5], v[10:11]
	s_delay_alu instid0(VALU_DEP_2) | instskip(NEXT) | instid1(VALU_DEP_2)
	v_fma_f64 v[12:13], v[4:5], v[8:9], -v[12:13]
	v_fma_f64 v[14:15], v[6:7], v[8:9], v[14:15]
	s_delay_alu instid0(VALU_DEP_2) | instskip(NEXT) | instid1(VALU_DEP_2)
	v_add_f64 v[26:27], v[26:27], v[12:13]
	v_add_f64 v[28:29], v[28:29], v[14:15]
	ds_load_b128 v[12:15], v22 offset:2816
	s_waitcnt lgkmcnt(0)
	v_mul_f64 v[38:39], v[6:7], v[14:15]
	s_delay_alu instid0(VALU_DEP_1) | instskip(SKIP_1) | instid1(VALU_DEP_2)
	v_fma_f64 v[38:39], v[4:5], v[12:13], -v[38:39]
	v_mul_f64 v[4:5], v[4:5], v[14:15]
	v_add_f64 v[30:31], v[30:31], v[38:39]
	s_delay_alu instid0(VALU_DEP_2) | instskip(NEXT) | instid1(VALU_DEP_1)
	v_fma_f64 v[4:5], v[6:7], v[12:13], v[4:5]
	v_add_f64 v[32:33], v[32:33], v[4:5]
	ds_load_b128 v[4:7], v25 offset:2128
	s_waitcnt lgkmcnt(0)
	v_mul_f64 v[38:39], v[6:7], v[10:11]
	v_mul_f64 v[10:11], v[4:5], v[10:11]
	s_delay_alu instid0(VALU_DEP_2) | instskip(NEXT) | instid1(VALU_DEP_2)
	v_fma_f64 v[38:39], v[4:5], v[8:9], -v[38:39]
	v_fma_f64 v[8:9], v[6:7], v[8:9], v[10:11]
	s_delay_alu instid0(VALU_DEP_2) | instskip(NEXT) | instid1(VALU_DEP_2)
	v_add_f64 v[34:35], v[34:35], v[38:39]
	v_add_f64 v[36:37], v[36:37], v[8:9]
	v_mul_f64 v[8:9], v[6:7], v[14:15]
	s_delay_alu instid0(VALU_DEP_1) | instskip(SKIP_1) | instid1(VALU_DEP_2)
	v_fma_f64 v[8:9], v[4:5], v[12:13], -v[8:9]
	v_mul_f64 v[4:5], v[4:5], v[14:15]
	v_add_f64 v[16:17], v[16:17], v[8:9]
	s_delay_alu instid0(VALU_DEP_2) | instskip(NEXT) | instid1(VALU_DEP_1)
	v_fma_f64 v[4:5], v[6:7], v[12:13], v[4:5]
	v_add_f64 v[18:19], v[18:19], v[4:5]
	ds_load_b128 v[4:7], v25 offset:96
	;; [unrolled: 39-line block ×3, first 2 shown]
	ds_load_b128 v[12:15], v22 offset:3584
	s_waitcnt lgkmcnt(0)
	v_mul_f64 v[8:9], v[6:7], v[14:15]
	v_mul_f64 v[10:11], v[4:5], v[14:15]
	s_delay_alu instid0(VALU_DEP_2) | instskip(NEXT) | instid1(VALU_DEP_2)
	v_fma_f64 v[8:9], v[4:5], v[12:13], -v[8:9]
	v_fma_f64 v[10:11], v[6:7], v[12:13], v[10:11]
	s_delay_alu instid0(VALU_DEP_2) | instskip(NEXT) | instid1(VALU_DEP_2)
	v_add_f64 v[16:17], v[26:27], v[8:9]
	v_add_f64 v[18:19], v[28:29], v[10:11]
	ds_load_b128 v[26:29], v22 offset:3840
	s_waitcnt lgkmcnt(0)
	v_mul_f64 v[8:9], v[6:7], v[28:29]
	s_delay_alu instid0(VALU_DEP_1) | instskip(SKIP_1) | instid1(VALU_DEP_1)
	v_fma_f64 v[8:9], v[4:5], v[26:27], -v[8:9]
	v_mul_f64 v[4:5], v[4:5], v[28:29]
	v_fma_f64 v[6:7], v[6:7], v[26:27], v[4:5]
	s_delay_alu instid0(VALU_DEP_3) | instskip(NEXT) | instid1(VALU_DEP_2)
	v_add_f64 v[4:5], v[30:31], v[8:9]
	v_add_f64 v[10:11], v[32:33], v[6:7]
	ds_load_b128 v[6:9], v25 offset:2160
	s_waitcnt lgkmcnt(0)
	s_barrier
	buffer_gl0_inv
	v_mul_f64 v[30:31], v[8:9], v[14:15]
	v_mul_f64 v[14:15], v[6:7], v[14:15]
	s_delay_alu instid0(VALU_DEP_2) | instskip(NEXT) | instid1(VALU_DEP_2)
	v_fma_f64 v[30:31], v[6:7], v[12:13], -v[30:31]
	v_fma_f64 v[14:15], v[8:9], v[12:13], v[14:15]
	s_delay_alu instid0(VALU_DEP_2) | instskip(SKIP_1) | instid1(VALU_DEP_3)
	v_add_f64 v[12:13], v[34:35], v[30:31]
	v_mul_f64 v[30:31], v[8:9], v[28:29]
	v_add_f64 v[14:15], v[36:37], v[14:15]
	s_delay_alu instid0(VALU_DEP_2) | instskip(SKIP_1) | instid1(VALU_DEP_1)
	v_fma_f64 v[30:31], v[6:7], v[26:27], -v[30:31]
	v_mul_f64 v[6:7], v[6:7], v[28:29]
	v_fma_f64 v[8:9], v[8:9], v[26:27], v[6:7]
	s_delay_alu instid0(VALU_DEP_3) | instskip(NEXT) | instid1(VALU_DEP_2)
	v_add_f64 v[6:7], v[38:39], v[30:31]
	v_add_f64 v[8:9], v[40:41], v[8:9]
	s_cbranch_vccz .LBB1188_2
.LBB1188_3:
	v_add_nc_u32_e32 v21, s13, v21
	s_load_b32 s4, s[0:1], 0x0
	s_mul_i32 s1, s15, s39
	s_mul_hi_u32 s2, s15, s38
	s_mul_i32 s0, s15, s38
	v_ashrrev_i32_e32 v0, 31, v21
	v_mul_lo_u32 v3, v21, s37
	v_mad_u64_u32 v[1:2], null, v21, s36, 0
	s_add_i32 s1, s2, s1
	s_delay_alu instid0(VALU_DEP_3) | instskip(SKIP_1) | instid1(SALU_CYCLE_1)
	v_mul_lo_u32 v0, v0, s36
	s_lshl_b64 s[2:3], s[0:1], 4
	s_add_u32 s2, s10, s2
	s_addc_u32 s3, s11, s3
	s_delay_alu instid0(VALU_DEP_1) | instskip(SKIP_1) | instid1(VALU_DEP_2)
	v_add3_u32 v2, v2, v3, v0
	v_add_nc_u32_e32 v0, s12, v20
	v_lshlrev_b64 v[1:2], 4, v[1:2]
	s_delay_alu instid0(VALU_DEP_2) | instskip(SKIP_2) | instid1(VALU_DEP_3)
	v_cmp_le_i32_e64 s0, v21, v0
	s_waitcnt lgkmcnt(0)
	v_cmp_gt_i32_e32 vcc_lo, s4, v0
	v_add_co_u32 v20, s1, s2, v1
	s_delay_alu instid0(VALU_DEP_1) | instskip(SKIP_1) | instid1(SALU_CYCLE_1)
	v_add_co_ci_u32_e64 v22, s1, s3, v2, s1
	s_and_b32 s0, s0, vcc_lo
	s_and_saveexec_b32 s1, s0
	s_cbranch_execz .LBB1188_5
; %bb.4:
	v_ashrrev_i32_e32 v1, 31, v0
	v_mul_f64 v[27:28], s[20:21], v[18:19]
	v_mul_f64 v[18:19], s[18:19], v[18:19]
	s_delay_alu instid0(VALU_DEP_3) | instskip(NEXT) | instid1(VALU_DEP_1)
	v_lshlrev_b64 v[1:2], 4, v[0:1]
	v_add_co_u32 v1, s0, v20, v1
	s_delay_alu instid0(VALU_DEP_1)
	v_add_co_ci_u32_e64 v2, s0, v22, v2, s0
	global_load_b128 v[23:26], v[1:2], off
	v_fma_f64 v[27:28], s[18:19], v[16:17], -v[27:28]
	v_fma_f64 v[18:19], s[20:21], v[16:17], v[18:19]
	s_waitcnt vmcnt(0)
	v_mul_f64 v[29:30], s[8:9], v[25:26]
	v_mul_f64 v[25:26], s[6:7], v[25:26]
	s_delay_alu instid0(VALU_DEP_2) | instskip(NEXT) | instid1(VALU_DEP_2)
	v_fma_f64 v[16:17], s[6:7], v[23:24], -v[29:30]
	v_fma_f64 v[23:24], s[8:9], v[23:24], v[25:26]
	s_delay_alu instid0(VALU_DEP_2) | instskip(NEXT) | instid1(VALU_DEP_2)
	v_add_f64 v[16:17], v[27:28], v[16:17]
	v_add_f64 v[18:19], v[18:19], v[23:24]
	global_store_b128 v[1:2], v[16:19], off
.LBB1188_5:
	s_or_b32 exec_lo, exec_lo, s1
	v_add_nc_u32_e32 v2, 16, v0
	s_delay_alu instid0(VALU_DEP_1) | instskip(SKIP_1) | instid1(VALU_DEP_1)
	v_cmp_le_i32_e64 s1, v21, v2
	v_cmp_gt_i32_e64 s0, s4, v2
	s_and_b32 s1, s1, s0
	s_delay_alu instid0(SALU_CYCLE_1)
	s_and_saveexec_b32 s4, s1
	s_cbranch_execz .LBB1188_7
; %bb.6:
	v_ashrrev_i32_e32 v3, 31, v2
	v_mul_f64 v[25:26], s[20:21], v[10:11]
	v_mul_f64 v[10:11], s[18:19], v[10:11]
	s_delay_alu instid0(VALU_DEP_3) | instskip(NEXT) | instid1(VALU_DEP_1)
	v_lshlrev_b64 v[16:17], 4, v[2:3]
	v_add_co_u32 v23, s1, v20, v16
	s_delay_alu instid0(VALU_DEP_1)
	v_add_co_ci_u32_e64 v24, s1, v22, v17, s1
	global_load_b128 v[16:19], v[23:24], off
	v_fma_f64 v[25:26], s[18:19], v[4:5], -v[25:26]
	v_fma_f64 v[3:4], s[20:21], v[4:5], v[10:11]
	s_waitcnt vmcnt(0)
	v_mul_f64 v[27:28], s[8:9], v[18:19]
	v_mul_f64 v[18:19], s[6:7], v[18:19]
	s_delay_alu instid0(VALU_DEP_2) | instskip(NEXT) | instid1(VALU_DEP_2)
	v_fma_f64 v[10:11], s[6:7], v[16:17], -v[27:28]
	v_fma_f64 v[18:19], s[8:9], v[16:17], v[18:19]
	s_delay_alu instid0(VALU_DEP_2) | instskip(NEXT) | instid1(VALU_DEP_2)
	v_add_f64 v[16:17], v[25:26], v[10:11]
	v_add_f64 v[18:19], v[3:4], v[18:19]
	global_store_b128 v[23:24], v[16:19], off
.LBB1188_7:
	s_or_b32 exec_lo, exec_lo, s4
	v_add_nc_u32_e32 v3, 16, v21
	s_delay_alu instid0(VALU_DEP_1) | instskip(SKIP_3) | instid1(VALU_DEP_4)
	v_ashrrev_i32_e32 v1, 31, v3
	v_mul_lo_u32 v10, v3, s37
	v_mad_u64_u32 v[4:5], null, v3, s36, 0
	v_cmp_le_i32_e64 s1, v3, v0
	v_mul_lo_u32 v1, v1, s36
	s_delay_alu instid0(VALU_DEP_1) | instskip(NEXT) | instid1(VALU_DEP_1)
	v_add3_u32 v5, v5, v10, v1
	v_lshlrev_b64 v[4:5], 4, v[4:5]
	s_delay_alu instid0(VALU_DEP_1) | instskip(NEXT) | instid1(VALU_DEP_1)
	v_add_co_u32 v4, s2, s2, v4
	v_add_co_ci_u32_e64 v5, s2, s3, v5, s2
	s_and_b32 s2, s1, vcc_lo
	s_delay_alu instid0(SALU_CYCLE_1)
	s_and_saveexec_b32 s1, s2
	s_cbranch_execz .LBB1188_9
; %bb.8:
	v_ashrrev_i32_e32 v1, 31, v0
	v_mul_f64 v[10:11], s[20:21], v[14:15]
	v_mul_f64 v[14:15], s[18:19], v[14:15]
	s_delay_alu instid0(VALU_DEP_3) | instskip(NEXT) | instid1(VALU_DEP_1)
	v_lshlrev_b64 v[0:1], 4, v[0:1]
	v_add_co_u32 v0, vcc_lo, v4, v0
	s_delay_alu instid0(VALU_DEP_2)
	v_add_co_ci_u32_e32 v1, vcc_lo, v5, v1, vcc_lo
	global_load_b128 v[16:19], v[0:1], off
	v_fma_f64 v[10:11], s[18:19], v[12:13], -v[10:11]
	v_fma_f64 v[12:13], s[20:21], v[12:13], v[14:15]
	s_waitcnt vmcnt(0)
	v_mul_f64 v[20:21], s[8:9], v[18:19]
	v_mul_f64 v[18:19], s[6:7], v[18:19]
	s_delay_alu instid0(VALU_DEP_2) | instskip(NEXT) | instid1(VALU_DEP_2)
	v_fma_f64 v[14:15], s[6:7], v[16:17], -v[20:21]
	v_fma_f64 v[16:17], s[8:9], v[16:17], v[18:19]
	s_delay_alu instid0(VALU_DEP_2) | instskip(NEXT) | instid1(VALU_DEP_2)
	v_add_f64 v[10:11], v[10:11], v[14:15]
	v_add_f64 v[12:13], v[12:13], v[16:17]
	global_store_b128 v[0:1], v[10:13], off
.LBB1188_9:
	s_or_b32 exec_lo, exec_lo, s1
	v_cmp_le_i32_e32 vcc_lo, v3, v2
	s_and_b32 s0, vcc_lo, s0
	s_delay_alu instid0(SALU_CYCLE_1)
	s_and_saveexec_b32 s1, s0
	s_cbranch_execz .LBB1188_11
; %bb.10:
	v_ashrrev_i32_e32 v3, 31, v2
	v_mul_f64 v[10:11], s[20:21], v[8:9]
	v_mul_f64 v[8:9], s[18:19], v[8:9]
	s_delay_alu instid0(VALU_DEP_3) | instskip(NEXT) | instid1(VALU_DEP_1)
	v_lshlrev_b64 v[0:1], 4, v[2:3]
	v_add_co_u32 v4, vcc_lo, v4, v0
	s_delay_alu instid0(VALU_DEP_2)
	v_add_co_ci_u32_e32 v5, vcc_lo, v5, v1, vcc_lo
	global_load_b128 v[0:3], v[4:5], off
	v_fma_f64 v[10:11], s[18:19], v[6:7], -v[10:11]
	v_fma_f64 v[6:7], s[20:21], v[6:7], v[8:9]
	s_waitcnt vmcnt(0)
	v_mul_f64 v[12:13], s[8:9], v[2:3]
	v_mul_f64 v[2:3], s[6:7], v[2:3]
	s_delay_alu instid0(VALU_DEP_2) | instskip(NEXT) | instid1(VALU_DEP_2)
	v_fma_f64 v[8:9], s[6:7], v[0:1], -v[12:13]
	v_fma_f64 v[2:3], s[8:9], v[0:1], v[2:3]
	s_delay_alu instid0(VALU_DEP_2) | instskip(NEXT) | instid1(VALU_DEP_2)
	v_add_f64 v[0:1], v[10:11], v[8:9]
	v_add_f64 v[2:3], v[6:7], v[2:3]
	global_store_b128 v[4:5], v[0:3], off
.LBB1188_11:
	s_nop 0
	s_sendmsg sendmsg(MSG_DEALLOC_VGPRS)
	s_endpgm
	.section	.rodata,"a",@progbits
	.p2align	6, 0x0
	.amdhsa_kernel _ZL37rocblas_syrkx_herkx_restricted_kernelIl19rocblas_complex_numIdELi16ELi32ELi8ELb0ELb0ELc67ELc76EKS1_S1_EviT_T0_PT8_S3_lS6_S3_lS4_PT9_S3_li
		.amdhsa_group_segment_fixed_size 8192
		.amdhsa_private_segment_fixed_size 0
		.amdhsa_kernarg_size 124
		.amdhsa_user_sgpr_count 13
		.amdhsa_user_sgpr_dispatch_ptr 0
		.amdhsa_user_sgpr_queue_ptr 0
		.amdhsa_user_sgpr_kernarg_segment_ptr 1
		.amdhsa_user_sgpr_dispatch_id 0
		.amdhsa_user_sgpr_private_segment_size 0
		.amdhsa_wavefront_size32 1
		.amdhsa_uses_dynamic_stack 0
		.amdhsa_enable_private_segment 0
		.amdhsa_system_sgpr_workgroup_id_x 1
		.amdhsa_system_sgpr_workgroup_id_y 1
		.amdhsa_system_sgpr_workgroup_id_z 1
		.amdhsa_system_sgpr_workgroup_info 0
		.amdhsa_system_vgpr_workitem_id 1
		.amdhsa_next_free_vgpr 54
		.amdhsa_next_free_sgpr 40
		.amdhsa_reserve_vcc 1
		.amdhsa_float_round_mode_32 0
		.amdhsa_float_round_mode_16_64 0
		.amdhsa_float_denorm_mode_32 3
		.amdhsa_float_denorm_mode_16_64 3
		.amdhsa_dx10_clamp 1
		.amdhsa_ieee_mode 1
		.amdhsa_fp16_overflow 0
		.amdhsa_workgroup_processor_mode 1
		.amdhsa_memory_ordered 1
		.amdhsa_forward_progress 0
		.amdhsa_shared_vgpr_count 0
		.amdhsa_exception_fp_ieee_invalid_op 0
		.amdhsa_exception_fp_denorm_src 0
		.amdhsa_exception_fp_ieee_div_zero 0
		.amdhsa_exception_fp_ieee_overflow 0
		.amdhsa_exception_fp_ieee_underflow 0
		.amdhsa_exception_fp_ieee_inexact 0
		.amdhsa_exception_int_div_zero 0
	.end_amdhsa_kernel
	.section	.text._ZL37rocblas_syrkx_herkx_restricted_kernelIl19rocblas_complex_numIdELi16ELi32ELi8ELb0ELb0ELc67ELc76EKS1_S1_EviT_T0_PT8_S3_lS6_S3_lS4_PT9_S3_li,"axG",@progbits,_ZL37rocblas_syrkx_herkx_restricted_kernelIl19rocblas_complex_numIdELi16ELi32ELi8ELb0ELb0ELc67ELc76EKS1_S1_EviT_T0_PT8_S3_lS6_S3_lS4_PT9_S3_li,comdat
.Lfunc_end1188:
	.size	_ZL37rocblas_syrkx_herkx_restricted_kernelIl19rocblas_complex_numIdELi16ELi32ELi8ELb0ELb0ELc67ELc76EKS1_S1_EviT_T0_PT8_S3_lS6_S3_lS4_PT9_S3_li, .Lfunc_end1188-_ZL37rocblas_syrkx_herkx_restricted_kernelIl19rocblas_complex_numIdELi16ELi32ELi8ELb0ELb0ELc67ELc76EKS1_S1_EviT_T0_PT8_S3_lS6_S3_lS4_PT9_S3_li
                                        ; -- End function
	.section	.AMDGPU.csdata,"",@progbits
; Kernel info:
; codeLenInByte = 3672
; NumSgprs: 42
; NumVgprs: 54
; ScratchSize: 0
; MemoryBound: 0
; FloatMode: 240
; IeeeMode: 1
; LDSByteSize: 8192 bytes/workgroup (compile time only)
; SGPRBlocks: 5
; VGPRBlocks: 6
; NumSGPRsForWavesPerEU: 42
; NumVGPRsForWavesPerEU: 54
; Occupancy: 16
; WaveLimiterHint : 0
; COMPUTE_PGM_RSRC2:SCRATCH_EN: 0
; COMPUTE_PGM_RSRC2:USER_SGPR: 13
; COMPUTE_PGM_RSRC2:TRAP_HANDLER: 0
; COMPUTE_PGM_RSRC2:TGID_X_EN: 1
; COMPUTE_PGM_RSRC2:TGID_Y_EN: 1
; COMPUTE_PGM_RSRC2:TGID_Z_EN: 1
; COMPUTE_PGM_RSRC2:TIDIG_COMP_CNT: 1
	.section	.text._ZL37rocblas_syrkx_herkx_restricted_kernelIl19rocblas_complex_numIdELi16ELi32ELi8ELb0ELb0ELc78ELc76EKS1_S1_EviT_T0_PT8_S3_lS6_S3_lS4_PT9_S3_li,"axG",@progbits,_ZL37rocblas_syrkx_herkx_restricted_kernelIl19rocblas_complex_numIdELi16ELi32ELi8ELb0ELb0ELc78ELc76EKS1_S1_EviT_T0_PT8_S3_lS6_S3_lS4_PT9_S3_li,comdat
	.globl	_ZL37rocblas_syrkx_herkx_restricted_kernelIl19rocblas_complex_numIdELi16ELi32ELi8ELb0ELb0ELc78ELc76EKS1_S1_EviT_T0_PT8_S3_lS6_S3_lS4_PT9_S3_li ; -- Begin function _ZL37rocblas_syrkx_herkx_restricted_kernelIl19rocblas_complex_numIdELi16ELi32ELi8ELb0ELb0ELc78ELc76EKS1_S1_EviT_T0_PT8_S3_lS6_S3_lS4_PT9_S3_li
	.p2align	8
	.type	_ZL37rocblas_syrkx_herkx_restricted_kernelIl19rocblas_complex_numIdELi16ELi32ELi8ELb0ELb0ELc78ELc76EKS1_S1_EviT_T0_PT8_S3_lS6_S3_lS4_PT9_S3_li,@function
_ZL37rocblas_syrkx_herkx_restricted_kernelIl19rocblas_complex_numIdELi16ELi32ELi8ELb0ELb0ELc78ELc76EKS1_S1_EviT_T0_PT8_S3_lS6_S3_lS4_PT9_S3_li: ; @_ZL37rocblas_syrkx_herkx_restricted_kernelIl19rocblas_complex_numIdELi16ELi32ELi8ELb0ELb0ELc78ELc76EKS1_S1_EviT_T0_PT8_S3_lS6_S3_lS4_PT9_S3_li
; %bb.0:
	s_clause 0x2
	s_load_b512 s[16:31], s[0:1], 0x8
	s_load_b128 s[36:39], s[0:1], 0x68
	s_load_b256 s[4:11], s[0:1], 0x48
	v_mov_b32_e32 v16, 0
	v_dual_mov_b32 v17, 0 :: v_dual_and_b32 v20, 0x3ff, v0
	v_bfe_u32 v21, v0, 10, 10
	s_delay_alu instid0(VALU_DEP_3) | instskip(NEXT) | instid1(VALU_DEP_3)
	v_mov_b32_e32 v6, v16
	v_dual_mov_b32 v10, v16 :: v_dual_mov_b32 v11, v17
	v_dual_mov_b32 v19, v17 :: v_dual_mov_b32 v18, v16
	;; [unrolled: 1-line block ×6, first 2 shown]
	v_mov_b32_e32 v5, v17
	s_waitcnt lgkmcnt(0)
	v_cmp_lt_i64_e64 s2, s[16:17], 1
	s_lshl_b32 s33, s13, 5
	s_lshl_b32 s14, s14, 5
	s_delay_alu instid0(VALU_DEP_1)
	s_and_b32 vcc_lo, exec_lo, s2
	s_cbranch_vccnz .LBB1189_3
; %bb.1:
	v_lshl_add_u32 v1, v21, 4, v20
	v_and_b32_e32 v10, 7, v20
	s_mul_i32 s3, s27, s15
	s_mul_hi_u32 s12, s26, s15
	s_mul_i32 s2, s26, s15
	v_dual_mov_b32 v4, 0 :: v_dual_and_b32 v9, 31, v1
	v_lshrrev_b32_e32 v11, 3, v1
	v_mov_b32_e32 v5, 0
	v_lshrrev_b32_e32 v12, 5, v1
	s_delay_alu instid0(VALU_DEP_4) | instskip(SKIP_1) | instid1(VALU_DEP_3)
	v_add_nc_u32_e32 v0, s33, v9
	s_add_i32 s3, s12, s3
	v_dual_mov_b32 v15, v5 :: v_dual_add_nc_u32 v2, s14, v11
	s_lshl_b64 s[2:3], s[2:3], 4
	s_delay_alu instid0(VALU_DEP_2) | instskip(SKIP_1) | instid1(VALU_DEP_2)
	v_ashrrev_i32_e32 v1, 31, v0
	s_mul_i32 s5, s5, s15
	v_ashrrev_i32_e32 v3, 31, v2
	s_mul_hi_u32 s13, s4, s15
	s_add_u32 s12, s22, s2
	v_mad_u64_u32 v[6:7], null, v12, s24, v[0:1]
	s_delay_alu instid0(VALU_DEP_2) | instskip(SKIP_4) | instid1(VALU_DEP_2)
	v_mad_u64_u32 v[0:1], null, v10, s30, v[2:3]
	s_mul_i32 s4, s4, s15
	s_addc_u32 s22, s23, s3
	s_add_i32 s5, s13, s5
	s_lshl_b64 s[2:3], s[24:25], 7
	v_dual_mov_b32 v2, v7 :: v_dual_lshlrev_b32 v13, 4, v10
	s_lshl_b64 s[4:5], s[4:5], 4
	v_mov_b32_e32 v14, v4
	s_add_u32 s4, s28, s4
	s_delay_alu instid0(VALU_DEP_2)
	v_mad_u64_u32 v[7:8], null, v12, s25, v[2:3]
	v_mad_u64_u32 v[2:3], null, v10, s31, v[1:2]
	v_lshlrev_b32_e32 v22, 4, v20
	s_addc_u32 s5, s29, s5
	v_lshlrev_b32_e32 v8, 4, v9
	v_lshl_or_b32 v9, v11, 7, v13
	v_dual_mov_b32 v11, v5 :: v_dual_mov_b32 v10, v4
	v_mov_b32_e32 v19, v5
	v_mov_b32_e32 v1, v2
	v_lshlrev_b64 v[2:3], 4, v[6:7]
	v_lshl_or_b32 v24, v12, 9, v8
	v_dual_mov_b32 v13, v5 :: v_dual_mov_b32 v12, v4
	s_delay_alu instid0(VALU_DEP_4) | instskip(SKIP_3) | instid1(VALU_DEP_4)
	v_lshlrev_b64 v[0:1], 4, v[0:1]
	v_add_nc_u32_e32 v25, 0x1000, v9
	v_add_co_u32 v2, vcc_lo, s12, v2
	v_add_co_ci_u32_e32 v3, vcc_lo, s22, v3, vcc_lo
	v_add_co_u32 v6, vcc_lo, s4, v0
	v_add_co_ci_u32_e32 v7, vcc_lo, s5, v1, vcc_lo
	s_delay_alu instid0(VALU_DEP_4) | instskip(NEXT) | instid1(VALU_DEP_4)
	v_add_co_u32 v0, vcc_lo, v2, 8
	v_add_co_ci_u32_e32 v1, vcc_lo, 0, v3, vcc_lo
	s_delay_alu instid0(VALU_DEP_4) | instskip(NEXT) | instid1(VALU_DEP_4)
	v_add_co_u32 v2, vcc_lo, v6, 8
	v_add_co_ci_u32_e32 v3, vcc_lo, 0, v7, vcc_lo
	v_mov_b32_e32 v7, v5
	v_dual_mov_b32 v9, v5 :: v_dual_mov_b32 v8, v4
	v_dual_mov_b32 v6, v4 :: v_dual_mov_b32 v17, v5
	v_lshl_add_u32 v23, v21, 7, 0x1000
	v_mov_b32_e32 v18, v4
	v_mov_b32_e32 v16, v4
	s_lshl_b64 s[4:5], s[30:31], 7
	s_mov_b64 s[12:13], 0
.LBB1189_2:                             ; =>This Inner Loop Header: Depth=1
	global_load_b128 v[26:29], v[0:1], off offset:-8
	s_add_u32 s12, s12, 8
	s_addc_u32 s13, s13, 0
	v_add_co_u32 v0, vcc_lo, v0, s2
	v_add_co_ci_u32_e32 v1, vcc_lo, s3, v1, vcc_lo
	v_cmp_ge_u64_e64 s22, s[12:13], s[16:17]
	s_waitcnt vmcnt(0)
	ds_store_b128 v24, v[26:29]
	global_load_b128 v[26:29], v[2:3], off offset:-8
	v_add_co_u32 v2, vcc_lo, v2, s4
	v_add_co_ci_u32_e32 v3, vcc_lo, s5, v3, vcc_lo
	s_and_b32 vcc_lo, exec_lo, s22
	s_waitcnt vmcnt(0)
	ds_store_b128 v25, v[26:29]
	s_waitcnt lgkmcnt(0)
	s_barrier
	buffer_gl0_inv
	ds_load_b128 v[26:29], v23
	ds_load_b128 v[30:33], v23 offset:16
	ds_load_b128 v[34:37], v23 offset:32
	;; [unrolled: 1-line block ×3, first 2 shown]
	ds_load_b128 v[42:45], v22
	s_waitcnt lgkmcnt(0)
	v_mul_f64 v[46:47], v[28:29], v[44:45]
	v_mul_f64 v[48:49], v[26:27], v[44:45]
	s_delay_alu instid0(VALU_DEP_2) | instskip(NEXT) | instid1(VALU_DEP_2)
	v_fma_f64 v[46:47], v[26:27], v[42:43], -v[46:47]
	v_fma_f64 v[48:49], v[28:29], v[42:43], v[48:49]
	s_delay_alu instid0(VALU_DEP_2) | instskip(NEXT) | instid1(VALU_DEP_2)
	v_add_f64 v[46:47], v[16:17], v[46:47]
	v_add_f64 v[48:49], v[18:19], v[48:49]
	ds_load_b128 v[16:19], v22 offset:256
	s_waitcnt lgkmcnt(0)
	v_mul_f64 v[50:51], v[28:29], v[18:19]
	s_delay_alu instid0(VALU_DEP_1) | instskip(SKIP_1) | instid1(VALU_DEP_2)
	v_fma_f64 v[50:51], v[26:27], v[16:17], -v[50:51]
	v_mul_f64 v[26:27], v[26:27], v[18:19]
	v_add_f64 v[50:51], v[6:7], v[50:51]
	s_delay_alu instid0(VALU_DEP_2) | instskip(NEXT) | instid1(VALU_DEP_1)
	v_fma_f64 v[26:27], v[28:29], v[16:17], v[26:27]
	v_add_f64 v[52:53], v[10:11], v[26:27]
	ds_load_b128 v[26:29], v23 offset:2048
	s_waitcnt lgkmcnt(0)
	v_mul_f64 v[6:7], v[28:29], v[44:45]
	v_mul_f64 v[10:11], v[26:27], v[44:45]
	s_delay_alu instid0(VALU_DEP_2) | instskip(NEXT) | instid1(VALU_DEP_2)
	v_fma_f64 v[6:7], v[26:27], v[42:43], -v[6:7]
	v_fma_f64 v[10:11], v[28:29], v[42:43], v[10:11]
	s_delay_alu instid0(VALU_DEP_2) | instskip(NEXT) | instid1(VALU_DEP_2)
	v_add_f64 v[42:43], v[12:13], v[6:7]
	v_add_f64 v[44:45], v[14:15], v[10:11]
	v_mul_f64 v[6:7], v[28:29], v[18:19]
	v_mul_f64 v[10:11], v[26:27], v[18:19]
	s_delay_alu instid0(VALU_DEP_2) | instskip(NEXT) | instid1(VALU_DEP_2)
	v_fma_f64 v[6:7], v[26:27], v[16:17], -v[6:7]
	v_fma_f64 v[10:11], v[28:29], v[16:17], v[10:11]
	s_delay_alu instid0(VALU_DEP_2) | instskip(NEXT) | instid1(VALU_DEP_2)
	v_add_f64 v[16:17], v[8:9], v[6:7]
	v_add_f64 v[18:19], v[4:5], v[10:11]
	ds_load_b128 v[4:7], v22 offset:512
	s_waitcnt lgkmcnt(0)
	v_mul_f64 v[8:9], v[32:33], v[6:7]
	v_mul_f64 v[10:11], v[30:31], v[6:7]
	s_delay_alu instid0(VALU_DEP_2) | instskip(NEXT) | instid1(VALU_DEP_2)
	v_fma_f64 v[8:9], v[30:31], v[4:5], -v[8:9]
	v_fma_f64 v[10:11], v[32:33], v[4:5], v[10:11]
	s_delay_alu instid0(VALU_DEP_2) | instskip(NEXT) | instid1(VALU_DEP_2)
	v_add_f64 v[26:27], v[46:47], v[8:9]
	v_add_f64 v[28:29], v[48:49], v[10:11]
	ds_load_b128 v[8:11], v22 offset:768
	s_waitcnt lgkmcnt(0)
	;; [unrolled: 10-line block ×3, first 2 shown]
	v_mul_f64 v[46:47], v[14:15], v[6:7]
	v_mul_f64 v[6:7], v[12:13], v[6:7]
	s_delay_alu instid0(VALU_DEP_2) | instskip(NEXT) | instid1(VALU_DEP_2)
	v_fma_f64 v[46:47], v[12:13], v[4:5], -v[46:47]
	v_fma_f64 v[4:5], v[14:15], v[4:5], v[6:7]
	v_mul_f64 v[6:7], v[12:13], v[10:11]
	s_delay_alu instid0(VALU_DEP_3) | instskip(NEXT) | instid1(VALU_DEP_3)
	v_add_f64 v[42:43], v[42:43], v[46:47]
	v_add_f64 v[44:45], v[44:45], v[4:5]
	v_mul_f64 v[4:5], v[14:15], v[10:11]
	s_delay_alu instid0(VALU_DEP_4) | instskip(NEXT) | instid1(VALU_DEP_2)
	v_fma_f64 v[6:7], v[14:15], v[8:9], v[6:7]
	v_fma_f64 v[4:5], v[12:13], v[8:9], -v[4:5]
	s_delay_alu instid0(VALU_DEP_2) | instskip(NEXT) | instid1(VALU_DEP_2)
	v_add_f64 v[18:19], v[18:19], v[6:7]
	v_add_f64 v[16:17], v[16:17], v[4:5]
	ds_load_b128 v[4:7], v22 offset:1024
	s_waitcnt lgkmcnt(0)
	v_mul_f64 v[8:9], v[36:37], v[6:7]
	v_mul_f64 v[10:11], v[34:35], v[6:7]
	s_delay_alu instid0(VALU_DEP_2) | instskip(NEXT) | instid1(VALU_DEP_2)
	v_fma_f64 v[8:9], v[34:35], v[4:5], -v[8:9]
	v_fma_f64 v[10:11], v[36:37], v[4:5], v[10:11]
	s_delay_alu instid0(VALU_DEP_2) | instskip(NEXT) | instid1(VALU_DEP_2)
	v_add_f64 v[26:27], v[26:27], v[8:9]
	v_add_f64 v[28:29], v[28:29], v[10:11]
	ds_load_b128 v[8:11], v22 offset:1280
	s_waitcnt lgkmcnt(0)
	v_mul_f64 v[12:13], v[36:37], v[10:11]
	v_mul_f64 v[14:15], v[34:35], v[10:11]
	s_delay_alu instid0(VALU_DEP_2) | instskip(NEXT) | instid1(VALU_DEP_2)
	v_fma_f64 v[12:13], v[34:35], v[8:9], -v[12:13]
	v_fma_f64 v[14:15], v[36:37], v[8:9], v[14:15]
	;; [unrolled: 10-line block ×3, first 2 shown]
	v_mul_f64 v[6:7], v[12:13], v[10:11]
	s_delay_alu instid0(VALU_DEP_3) | instskip(NEXT) | instid1(VALU_DEP_3)
	v_add_f64 v[34:35], v[42:43], v[34:35]
	v_add_f64 v[36:37], v[44:45], v[4:5]
	v_mul_f64 v[4:5], v[14:15], v[10:11]
	s_delay_alu instid0(VALU_DEP_4) | instskip(NEXT) | instid1(VALU_DEP_2)
	v_fma_f64 v[6:7], v[14:15], v[8:9], v[6:7]
	v_fma_f64 v[4:5], v[12:13], v[8:9], -v[4:5]
	s_delay_alu instid0(VALU_DEP_2) | instskip(NEXT) | instid1(VALU_DEP_2)
	v_add_f64 v[18:19], v[18:19], v[6:7]
	v_add_f64 v[16:17], v[16:17], v[4:5]
	ds_load_b128 v[4:7], v22 offset:1536
	s_waitcnt lgkmcnt(0)
	v_mul_f64 v[8:9], v[40:41], v[6:7]
	v_mul_f64 v[10:11], v[38:39], v[6:7]
	s_delay_alu instid0(VALU_DEP_2) | instskip(NEXT) | instid1(VALU_DEP_2)
	v_fma_f64 v[8:9], v[38:39], v[4:5], -v[8:9]
	v_fma_f64 v[10:11], v[40:41], v[4:5], v[10:11]
	s_delay_alu instid0(VALU_DEP_2) | instskip(NEXT) | instid1(VALU_DEP_2)
	v_add_f64 v[26:27], v[26:27], v[8:9]
	v_add_f64 v[28:29], v[28:29], v[10:11]
	ds_load_b128 v[8:11], v22 offset:1792
	s_waitcnt lgkmcnt(0)
	v_mul_f64 v[12:13], v[40:41], v[10:11]
	v_mul_f64 v[14:15], v[38:39], v[10:11]
	s_delay_alu instid0(VALU_DEP_2) | instskip(NEXT) | instid1(VALU_DEP_2)
	v_fma_f64 v[12:13], v[38:39], v[8:9], -v[12:13]
	v_fma_f64 v[14:15], v[40:41], v[8:9], v[14:15]
	;; [unrolled: 10-line block ×3, first 2 shown]
	v_mul_f64 v[6:7], v[12:13], v[10:11]
	s_delay_alu instid0(VALU_DEP_3) | instskip(NEXT) | instid1(VALU_DEP_3)
	v_add_f64 v[34:35], v[34:35], v[38:39]
	v_add_f64 v[36:37], v[36:37], v[4:5]
	v_mul_f64 v[4:5], v[14:15], v[10:11]
	s_delay_alu instid0(VALU_DEP_4) | instskip(NEXT) | instid1(VALU_DEP_2)
	v_fma_f64 v[6:7], v[14:15], v[8:9], v[6:7]
	v_fma_f64 v[4:5], v[12:13], v[8:9], -v[4:5]
	s_delay_alu instid0(VALU_DEP_2) | instskip(NEXT) | instid1(VALU_DEP_2)
	v_add_f64 v[18:19], v[18:19], v[6:7]
	v_add_f64 v[16:17], v[16:17], v[4:5]
	ds_load_b128 v[4:7], v23 offset:64
	ds_load_b128 v[8:11], v22 offset:2048
	s_waitcnt lgkmcnt(0)
	v_mul_f64 v[12:13], v[6:7], v[10:11]
	v_mul_f64 v[14:15], v[4:5], v[10:11]
	s_delay_alu instid0(VALU_DEP_2) | instskip(NEXT) | instid1(VALU_DEP_2)
	v_fma_f64 v[12:13], v[4:5], v[8:9], -v[12:13]
	v_fma_f64 v[14:15], v[6:7], v[8:9], v[14:15]
	s_delay_alu instid0(VALU_DEP_2) | instskip(NEXT) | instid1(VALU_DEP_2)
	v_add_f64 v[26:27], v[26:27], v[12:13]
	v_add_f64 v[28:29], v[28:29], v[14:15]
	ds_load_b128 v[12:15], v22 offset:2304
	s_waitcnt lgkmcnt(0)
	v_mul_f64 v[38:39], v[6:7], v[14:15]
	s_delay_alu instid0(VALU_DEP_1) | instskip(SKIP_1) | instid1(VALU_DEP_2)
	v_fma_f64 v[38:39], v[4:5], v[12:13], -v[38:39]
	v_mul_f64 v[4:5], v[4:5], v[14:15]
	v_add_f64 v[30:31], v[30:31], v[38:39]
	s_delay_alu instid0(VALU_DEP_2) | instskip(NEXT) | instid1(VALU_DEP_1)
	v_fma_f64 v[4:5], v[6:7], v[12:13], v[4:5]
	v_add_f64 v[32:33], v[32:33], v[4:5]
	ds_load_b128 v[4:7], v23 offset:2112
	s_waitcnt lgkmcnt(0)
	v_mul_f64 v[38:39], v[6:7], v[10:11]
	v_mul_f64 v[10:11], v[4:5], v[10:11]
	s_delay_alu instid0(VALU_DEP_2) | instskip(NEXT) | instid1(VALU_DEP_2)
	v_fma_f64 v[38:39], v[4:5], v[8:9], -v[38:39]
	v_fma_f64 v[8:9], v[6:7], v[8:9], v[10:11]
	s_delay_alu instid0(VALU_DEP_2) | instskip(NEXT) | instid1(VALU_DEP_2)
	v_add_f64 v[34:35], v[34:35], v[38:39]
	v_add_f64 v[36:37], v[36:37], v[8:9]
	v_mul_f64 v[8:9], v[6:7], v[14:15]
	s_delay_alu instid0(VALU_DEP_1) | instskip(SKIP_1) | instid1(VALU_DEP_2)
	v_fma_f64 v[8:9], v[4:5], v[12:13], -v[8:9]
	v_mul_f64 v[4:5], v[4:5], v[14:15]
	v_add_f64 v[16:17], v[16:17], v[8:9]
	s_delay_alu instid0(VALU_DEP_2) | instskip(NEXT) | instid1(VALU_DEP_1)
	v_fma_f64 v[4:5], v[6:7], v[12:13], v[4:5]
	v_add_f64 v[18:19], v[18:19], v[4:5]
	ds_load_b128 v[4:7], v23 offset:80
	ds_load_b128 v[8:11], v22 offset:2560
	s_waitcnt lgkmcnt(0)
	v_mul_f64 v[12:13], v[6:7], v[10:11]
	v_mul_f64 v[14:15], v[4:5], v[10:11]
	s_delay_alu instid0(VALU_DEP_2) | instskip(NEXT) | instid1(VALU_DEP_2)
	v_fma_f64 v[12:13], v[4:5], v[8:9], -v[12:13]
	v_fma_f64 v[14:15], v[6:7], v[8:9], v[14:15]
	s_delay_alu instid0(VALU_DEP_2) | instskip(NEXT) | instid1(VALU_DEP_2)
	v_add_f64 v[26:27], v[26:27], v[12:13]
	v_add_f64 v[28:29], v[28:29], v[14:15]
	ds_load_b128 v[12:15], v22 offset:2816
	s_waitcnt lgkmcnt(0)
	v_mul_f64 v[38:39], v[6:7], v[14:15]
	s_delay_alu instid0(VALU_DEP_1) | instskip(SKIP_1) | instid1(VALU_DEP_2)
	v_fma_f64 v[38:39], v[4:5], v[12:13], -v[38:39]
	v_mul_f64 v[4:5], v[4:5], v[14:15]
	v_add_f64 v[30:31], v[30:31], v[38:39]
	s_delay_alu instid0(VALU_DEP_2) | instskip(NEXT) | instid1(VALU_DEP_1)
	v_fma_f64 v[4:5], v[6:7], v[12:13], v[4:5]
	v_add_f64 v[32:33], v[32:33], v[4:5]
	ds_load_b128 v[4:7], v23 offset:2128
	s_waitcnt lgkmcnt(0)
	v_mul_f64 v[38:39], v[6:7], v[10:11]
	v_mul_f64 v[10:11], v[4:5], v[10:11]
	s_delay_alu instid0(VALU_DEP_2) | instskip(NEXT) | instid1(VALU_DEP_2)
	v_fma_f64 v[38:39], v[4:5], v[8:9], -v[38:39]
	v_fma_f64 v[8:9], v[6:7], v[8:9], v[10:11]
	s_delay_alu instid0(VALU_DEP_2) | instskip(NEXT) | instid1(VALU_DEP_2)
	v_add_f64 v[34:35], v[34:35], v[38:39]
	v_add_f64 v[36:37], v[36:37], v[8:9]
	v_mul_f64 v[8:9], v[6:7], v[14:15]
	s_delay_alu instid0(VALU_DEP_1) | instskip(SKIP_1) | instid1(VALU_DEP_2)
	v_fma_f64 v[8:9], v[4:5], v[12:13], -v[8:9]
	v_mul_f64 v[4:5], v[4:5], v[14:15]
	v_add_f64 v[16:17], v[16:17], v[8:9]
	s_delay_alu instid0(VALU_DEP_2) | instskip(NEXT) | instid1(VALU_DEP_1)
	v_fma_f64 v[4:5], v[6:7], v[12:13], v[4:5]
	v_add_f64 v[18:19], v[18:19], v[4:5]
	ds_load_b128 v[4:7], v23 offset:96
	ds_load_b128 v[8:11], v22 offset:3072
	s_waitcnt lgkmcnt(0)
	v_mul_f64 v[12:13], v[6:7], v[10:11]
	v_mul_f64 v[14:15], v[4:5], v[10:11]
	s_delay_alu instid0(VALU_DEP_2) | instskip(NEXT) | instid1(VALU_DEP_2)
	v_fma_f64 v[12:13], v[4:5], v[8:9], -v[12:13]
	v_fma_f64 v[14:15], v[6:7], v[8:9], v[14:15]
	s_delay_alu instid0(VALU_DEP_2) | instskip(NEXT) | instid1(VALU_DEP_2)
	v_add_f64 v[26:27], v[26:27], v[12:13]
	v_add_f64 v[28:29], v[28:29], v[14:15]
	ds_load_b128 v[12:15], v22 offset:3328
	s_waitcnt lgkmcnt(0)
	v_mul_f64 v[38:39], v[6:7], v[14:15]
	s_delay_alu instid0(VALU_DEP_1) | instskip(SKIP_1) | instid1(VALU_DEP_2)
	v_fma_f64 v[38:39], v[4:5], v[12:13], -v[38:39]
	v_mul_f64 v[4:5], v[4:5], v[14:15]
	v_add_f64 v[30:31], v[30:31], v[38:39]
	s_delay_alu instid0(VALU_DEP_2) | instskip(NEXT) | instid1(VALU_DEP_1)
	v_fma_f64 v[4:5], v[6:7], v[12:13], v[4:5]
	v_add_f64 v[32:33], v[32:33], v[4:5]
	ds_load_b128 v[4:7], v23 offset:2144
	s_waitcnt lgkmcnt(0)
	v_mul_f64 v[38:39], v[6:7], v[10:11]
	v_mul_f64 v[10:11], v[4:5], v[10:11]
	s_delay_alu instid0(VALU_DEP_2) | instskip(NEXT) | instid1(VALU_DEP_2)
	v_fma_f64 v[38:39], v[4:5], v[8:9], -v[38:39]
	v_fma_f64 v[8:9], v[6:7], v[8:9], v[10:11]
	v_mul_f64 v[10:11], v[6:7], v[14:15]
	s_delay_alu instid0(VALU_DEP_3) | instskip(NEXT) | instid1(VALU_DEP_3)
	v_add_f64 v[34:35], v[34:35], v[38:39]
	v_add_f64 v[8:9], v[36:37], v[8:9]
	s_delay_alu instid0(VALU_DEP_3) | instskip(SKIP_1) | instid1(VALU_DEP_2)
	v_fma_f64 v[10:11], v[4:5], v[12:13], -v[10:11]
	v_mul_f64 v[4:5], v[4:5], v[14:15]
	v_add_f64 v[36:37], v[16:17], v[10:11]
	s_delay_alu instid0(VALU_DEP_2) | instskip(NEXT) | instid1(VALU_DEP_1)
	v_fma_f64 v[4:5], v[6:7], v[12:13], v[4:5]
	v_add_f64 v[38:39], v[18:19], v[4:5]
	ds_load_b128 v[4:7], v23 offset:112
	ds_load_b128 v[12:15], v22 offset:3584
	s_waitcnt lgkmcnt(0)
	v_mul_f64 v[10:11], v[6:7], v[14:15]
	v_mul_f64 v[16:17], v[4:5], v[14:15]
	s_delay_alu instid0(VALU_DEP_2) | instskip(NEXT) | instid1(VALU_DEP_2)
	v_fma_f64 v[10:11], v[4:5], v[12:13], -v[10:11]
	v_fma_f64 v[18:19], v[6:7], v[12:13], v[16:17]
	s_delay_alu instid0(VALU_DEP_2) | instskip(NEXT) | instid1(VALU_DEP_2)
	v_add_f64 v[16:17], v[26:27], v[10:11]
	v_add_f64 v[18:19], v[28:29], v[18:19]
	ds_load_b128 v[26:29], v22 offset:3840
	s_waitcnt lgkmcnt(0)
	v_mul_f64 v[10:11], v[6:7], v[28:29]
	s_delay_alu instid0(VALU_DEP_1) | instskip(SKIP_1) | instid1(VALU_DEP_1)
	v_fma_f64 v[10:11], v[4:5], v[26:27], -v[10:11]
	v_mul_f64 v[4:5], v[4:5], v[28:29]
	v_fma_f64 v[4:5], v[6:7], v[26:27], v[4:5]
	s_delay_alu instid0(VALU_DEP_3) | instskip(NEXT) | instid1(VALU_DEP_2)
	v_add_f64 v[6:7], v[30:31], v[10:11]
	v_add_f64 v[10:11], v[32:33], v[4:5]
	ds_load_b128 v[30:33], v23 offset:2160
	s_waitcnt lgkmcnt(0)
	s_barrier
	buffer_gl0_inv
	v_mul_f64 v[4:5], v[32:33], v[14:15]
	v_mul_f64 v[14:15], v[30:31], v[14:15]
	s_delay_alu instid0(VALU_DEP_2) | instskip(NEXT) | instid1(VALU_DEP_2)
	v_fma_f64 v[4:5], v[30:31], v[12:13], -v[4:5]
	v_fma_f64 v[14:15], v[32:33], v[12:13], v[14:15]
	s_delay_alu instid0(VALU_DEP_2) | instskip(NEXT) | instid1(VALU_DEP_2)
	v_add_f64 v[12:13], v[34:35], v[4:5]
	v_add_f64 v[14:15], v[8:9], v[14:15]
	v_mul_f64 v[4:5], v[32:33], v[28:29]
	v_mul_f64 v[8:9], v[30:31], v[28:29]
	s_delay_alu instid0(VALU_DEP_2) | instskip(NEXT) | instid1(VALU_DEP_2)
	v_fma_f64 v[4:5], v[30:31], v[26:27], -v[4:5]
	v_fma_f64 v[26:27], v[32:33], v[26:27], v[8:9]
	s_delay_alu instid0(VALU_DEP_2) | instskip(NEXT) | instid1(VALU_DEP_2)
	v_add_f64 v[8:9], v[36:37], v[4:5]
	v_add_f64 v[4:5], v[38:39], v[26:27]
	s_cbranch_vccz .LBB1189_2
.LBB1189_3:
	v_add_nc_u32_e32 v21, s14, v21
	s_load_b32 s4, s[0:1], 0x0
	s_mul_i32 s1, s15, s39
	s_mul_hi_u32 s2, s15, s38
	s_mul_i32 s0, s15, s38
	v_ashrrev_i32_e32 v0, 31, v21
	v_mul_lo_u32 v3, v21, s37
	v_mad_u64_u32 v[1:2], null, v21, s36, 0
	s_add_i32 s1, s2, s1
	s_delay_alu instid0(VALU_DEP_3) | instskip(SKIP_1) | instid1(SALU_CYCLE_1)
	v_mul_lo_u32 v0, v0, s36
	s_lshl_b64 s[2:3], s[0:1], 4
	s_add_u32 s2, s10, s2
	s_addc_u32 s3, s11, s3
	s_delay_alu instid0(VALU_DEP_1) | instskip(SKIP_1) | instid1(VALU_DEP_2)
	v_add3_u32 v2, v2, v3, v0
	v_add_nc_u32_e32 v0, s33, v20
	v_lshlrev_b64 v[1:2], 4, v[1:2]
	s_delay_alu instid0(VALU_DEP_2) | instskip(SKIP_2) | instid1(VALU_DEP_3)
	v_cmp_le_i32_e64 s0, v21, v0
	s_waitcnt lgkmcnt(0)
	v_cmp_gt_i32_e32 vcc_lo, s4, v0
	v_add_co_u32 v20, s1, s2, v1
	s_delay_alu instid0(VALU_DEP_1) | instskip(SKIP_1) | instid1(SALU_CYCLE_1)
	v_add_co_ci_u32_e64 v22, s1, s3, v2, s1
	s_and_b32 s0, s0, vcc_lo
	s_and_saveexec_b32 s1, s0
	s_cbranch_execz .LBB1189_5
; %bb.4:
	v_ashrrev_i32_e32 v1, 31, v0
	v_mul_f64 v[27:28], s[20:21], v[18:19]
	v_mul_f64 v[18:19], s[18:19], v[18:19]
	s_delay_alu instid0(VALU_DEP_3) | instskip(NEXT) | instid1(VALU_DEP_1)
	v_lshlrev_b64 v[1:2], 4, v[0:1]
	v_add_co_u32 v1, s0, v20, v1
	s_delay_alu instid0(VALU_DEP_1)
	v_add_co_ci_u32_e64 v2, s0, v22, v2, s0
	global_load_b128 v[23:26], v[1:2], off
	v_fma_f64 v[27:28], s[18:19], v[16:17], -v[27:28]
	v_fma_f64 v[18:19], s[20:21], v[16:17], v[18:19]
	s_waitcnt vmcnt(0)
	v_mul_f64 v[29:30], s[8:9], v[25:26]
	v_mul_f64 v[25:26], s[6:7], v[25:26]
	s_delay_alu instid0(VALU_DEP_2) | instskip(NEXT) | instid1(VALU_DEP_2)
	v_fma_f64 v[16:17], s[6:7], v[23:24], -v[29:30]
	v_fma_f64 v[23:24], s[8:9], v[23:24], v[25:26]
	s_delay_alu instid0(VALU_DEP_2) | instskip(NEXT) | instid1(VALU_DEP_2)
	v_add_f64 v[16:17], v[27:28], v[16:17]
	v_add_f64 v[18:19], v[18:19], v[23:24]
	global_store_b128 v[1:2], v[16:19], off
.LBB1189_5:
	s_or_b32 exec_lo, exec_lo, s1
	v_add_nc_u32_e32 v2, 16, v0
	s_delay_alu instid0(VALU_DEP_1) | instskip(SKIP_1) | instid1(VALU_DEP_1)
	v_cmp_le_i32_e64 s1, v21, v2
	v_cmp_gt_i32_e64 s0, s4, v2
	s_and_b32 s1, s1, s0
	s_delay_alu instid0(SALU_CYCLE_1)
	s_and_saveexec_b32 s4, s1
	s_cbranch_execz .LBB1189_7
; %bb.6:
	v_ashrrev_i32_e32 v3, 31, v2
	v_mul_f64 v[25:26], s[20:21], v[10:11]
	v_mul_f64 v[10:11], s[18:19], v[10:11]
	s_delay_alu instid0(VALU_DEP_3) | instskip(NEXT) | instid1(VALU_DEP_1)
	v_lshlrev_b64 v[16:17], 4, v[2:3]
	v_add_co_u32 v23, s1, v20, v16
	s_delay_alu instid0(VALU_DEP_1)
	v_add_co_ci_u32_e64 v24, s1, v22, v17, s1
	global_load_b128 v[16:19], v[23:24], off
	v_fma_f64 v[25:26], s[18:19], v[6:7], -v[25:26]
	v_fma_f64 v[6:7], s[20:21], v[6:7], v[10:11]
	s_waitcnt vmcnt(0)
	v_mul_f64 v[27:28], s[8:9], v[18:19]
	v_mul_f64 v[18:19], s[6:7], v[18:19]
	s_delay_alu instid0(VALU_DEP_2) | instskip(NEXT) | instid1(VALU_DEP_2)
	v_fma_f64 v[10:11], s[6:7], v[16:17], -v[27:28]
	v_fma_f64 v[18:19], s[8:9], v[16:17], v[18:19]
	s_delay_alu instid0(VALU_DEP_2) | instskip(NEXT) | instid1(VALU_DEP_2)
	v_add_f64 v[16:17], v[25:26], v[10:11]
	v_add_f64 v[18:19], v[6:7], v[18:19]
	global_store_b128 v[23:24], v[16:19], off
.LBB1189_7:
	s_or_b32 exec_lo, exec_lo, s4
	v_add_nc_u32_e32 v3, 16, v21
	s_delay_alu instid0(VALU_DEP_1) | instskip(SKIP_3) | instid1(VALU_DEP_4)
	v_ashrrev_i32_e32 v1, 31, v3
	v_mul_lo_u32 v10, v3, s37
	v_mad_u64_u32 v[6:7], null, v3, s36, 0
	v_cmp_le_i32_e64 s1, v3, v0
	v_mul_lo_u32 v1, v1, s36
	s_delay_alu instid0(VALU_DEP_1) | instskip(NEXT) | instid1(VALU_DEP_1)
	v_add3_u32 v7, v7, v10, v1
	v_lshlrev_b64 v[6:7], 4, v[6:7]
	s_delay_alu instid0(VALU_DEP_1) | instskip(NEXT) | instid1(VALU_DEP_1)
	v_add_co_u32 v6, s2, s2, v6
	v_add_co_ci_u32_e64 v7, s2, s3, v7, s2
	s_and_b32 s2, s1, vcc_lo
	s_delay_alu instid0(SALU_CYCLE_1)
	s_and_saveexec_b32 s1, s2
	s_cbranch_execz .LBB1189_9
; %bb.8:
	v_ashrrev_i32_e32 v1, 31, v0
	v_mul_f64 v[10:11], s[20:21], v[14:15]
	v_mul_f64 v[14:15], s[18:19], v[14:15]
	s_delay_alu instid0(VALU_DEP_3) | instskip(NEXT) | instid1(VALU_DEP_1)
	v_lshlrev_b64 v[0:1], 4, v[0:1]
	v_add_co_u32 v0, vcc_lo, v6, v0
	s_delay_alu instid0(VALU_DEP_2)
	v_add_co_ci_u32_e32 v1, vcc_lo, v7, v1, vcc_lo
	global_load_b128 v[16:19], v[0:1], off
	v_fma_f64 v[10:11], s[18:19], v[12:13], -v[10:11]
	v_fma_f64 v[12:13], s[20:21], v[12:13], v[14:15]
	s_waitcnt vmcnt(0)
	v_mul_f64 v[20:21], s[8:9], v[18:19]
	v_mul_f64 v[18:19], s[6:7], v[18:19]
	s_delay_alu instid0(VALU_DEP_2) | instskip(NEXT) | instid1(VALU_DEP_2)
	v_fma_f64 v[14:15], s[6:7], v[16:17], -v[20:21]
	v_fma_f64 v[16:17], s[8:9], v[16:17], v[18:19]
	s_delay_alu instid0(VALU_DEP_2) | instskip(NEXT) | instid1(VALU_DEP_2)
	v_add_f64 v[10:11], v[10:11], v[14:15]
	v_add_f64 v[12:13], v[12:13], v[16:17]
	global_store_b128 v[0:1], v[10:13], off
.LBB1189_9:
	s_or_b32 exec_lo, exec_lo, s1
	v_cmp_le_i32_e32 vcc_lo, v3, v2
	s_and_b32 s0, vcc_lo, s0
	s_delay_alu instid0(SALU_CYCLE_1)
	s_and_saveexec_b32 s1, s0
	s_cbranch_execz .LBB1189_11
; %bb.10:
	v_ashrrev_i32_e32 v3, 31, v2
	v_mul_f64 v[10:11], s[20:21], v[4:5]
	v_mul_f64 v[4:5], s[18:19], v[4:5]
	s_delay_alu instid0(VALU_DEP_3) | instskip(NEXT) | instid1(VALU_DEP_1)
	v_lshlrev_b64 v[0:1], 4, v[2:3]
	v_add_co_u32 v6, vcc_lo, v6, v0
	s_delay_alu instid0(VALU_DEP_2)
	v_add_co_ci_u32_e32 v7, vcc_lo, v7, v1, vcc_lo
	global_load_b128 v[0:3], v[6:7], off
	v_fma_f64 v[10:11], s[18:19], v[8:9], -v[10:11]
	v_fma_f64 v[4:5], s[20:21], v[8:9], v[4:5]
	s_waitcnt vmcnt(0)
	v_mul_f64 v[12:13], s[8:9], v[2:3]
	v_mul_f64 v[2:3], s[6:7], v[2:3]
	s_delay_alu instid0(VALU_DEP_2) | instskip(NEXT) | instid1(VALU_DEP_2)
	v_fma_f64 v[8:9], s[6:7], v[0:1], -v[12:13]
	v_fma_f64 v[2:3], s[8:9], v[0:1], v[2:3]
	s_delay_alu instid0(VALU_DEP_2) | instskip(NEXT) | instid1(VALU_DEP_2)
	v_add_f64 v[0:1], v[10:11], v[8:9]
	v_add_f64 v[2:3], v[4:5], v[2:3]
	global_store_b128 v[6:7], v[0:3], off
.LBB1189_11:
	s_nop 0
	s_sendmsg sendmsg(MSG_DEALLOC_VGPRS)
	s_endpgm
	.section	.rodata,"a",@progbits
	.p2align	6, 0x0
	.amdhsa_kernel _ZL37rocblas_syrkx_herkx_restricted_kernelIl19rocblas_complex_numIdELi16ELi32ELi8ELb0ELb0ELc78ELc76EKS1_S1_EviT_T0_PT8_S3_lS6_S3_lS4_PT9_S3_li
		.amdhsa_group_segment_fixed_size 8192
		.amdhsa_private_segment_fixed_size 0
		.amdhsa_kernarg_size 124
		.amdhsa_user_sgpr_count 13
		.amdhsa_user_sgpr_dispatch_ptr 0
		.amdhsa_user_sgpr_queue_ptr 0
		.amdhsa_user_sgpr_kernarg_segment_ptr 1
		.amdhsa_user_sgpr_dispatch_id 0
		.amdhsa_user_sgpr_private_segment_size 0
		.amdhsa_wavefront_size32 1
		.amdhsa_uses_dynamic_stack 0
		.amdhsa_enable_private_segment 0
		.amdhsa_system_sgpr_workgroup_id_x 1
		.amdhsa_system_sgpr_workgroup_id_y 1
		.amdhsa_system_sgpr_workgroup_id_z 1
		.amdhsa_system_sgpr_workgroup_info 0
		.amdhsa_system_vgpr_workitem_id 1
		.amdhsa_next_free_vgpr 54
		.amdhsa_next_free_sgpr 40
		.amdhsa_reserve_vcc 1
		.amdhsa_float_round_mode_32 0
		.amdhsa_float_round_mode_16_64 0
		.amdhsa_float_denorm_mode_32 3
		.amdhsa_float_denorm_mode_16_64 3
		.amdhsa_dx10_clamp 1
		.amdhsa_ieee_mode 1
		.amdhsa_fp16_overflow 0
		.amdhsa_workgroup_processor_mode 1
		.amdhsa_memory_ordered 1
		.amdhsa_forward_progress 0
		.amdhsa_shared_vgpr_count 0
		.amdhsa_exception_fp_ieee_invalid_op 0
		.amdhsa_exception_fp_denorm_src 0
		.amdhsa_exception_fp_ieee_div_zero 0
		.amdhsa_exception_fp_ieee_overflow 0
		.amdhsa_exception_fp_ieee_underflow 0
		.amdhsa_exception_fp_ieee_inexact 0
		.amdhsa_exception_int_div_zero 0
	.end_amdhsa_kernel
	.section	.text._ZL37rocblas_syrkx_herkx_restricted_kernelIl19rocblas_complex_numIdELi16ELi32ELi8ELb0ELb0ELc78ELc76EKS1_S1_EviT_T0_PT8_S3_lS6_S3_lS4_PT9_S3_li,"axG",@progbits,_ZL37rocblas_syrkx_herkx_restricted_kernelIl19rocblas_complex_numIdELi16ELi32ELi8ELb0ELb0ELc78ELc76EKS1_S1_EviT_T0_PT8_S3_lS6_S3_lS4_PT9_S3_li,comdat
.Lfunc_end1189:
	.size	_ZL37rocblas_syrkx_herkx_restricted_kernelIl19rocblas_complex_numIdELi16ELi32ELi8ELb0ELb0ELc78ELc76EKS1_S1_EviT_T0_PT8_S3_lS6_S3_lS4_PT9_S3_li, .Lfunc_end1189-_ZL37rocblas_syrkx_herkx_restricted_kernelIl19rocblas_complex_numIdELi16ELi32ELi8ELb0ELb0ELc78ELc76EKS1_S1_EviT_T0_PT8_S3_lS6_S3_lS4_PT9_S3_li
                                        ; -- End function
	.section	.AMDGPU.csdata,"",@progbits
; Kernel info:
; codeLenInByte = 3656
; NumSgprs: 42
; NumVgprs: 54
; ScratchSize: 0
; MemoryBound: 0
; FloatMode: 240
; IeeeMode: 1
; LDSByteSize: 8192 bytes/workgroup (compile time only)
; SGPRBlocks: 5
; VGPRBlocks: 6
; NumSGPRsForWavesPerEU: 42
; NumVGPRsForWavesPerEU: 54
; Occupancy: 16
; WaveLimiterHint : 0
; COMPUTE_PGM_RSRC2:SCRATCH_EN: 0
; COMPUTE_PGM_RSRC2:USER_SGPR: 13
; COMPUTE_PGM_RSRC2:TRAP_HANDLER: 0
; COMPUTE_PGM_RSRC2:TGID_X_EN: 1
; COMPUTE_PGM_RSRC2:TGID_Y_EN: 1
; COMPUTE_PGM_RSRC2:TGID_Z_EN: 1
; COMPUTE_PGM_RSRC2:TIDIG_COMP_CNT: 1
	.section	.text._ZL37rocblas_syrkx_herkx_restricted_kernelIl19rocblas_complex_numIdELi16ELi32ELi8ELb0ELb0ELc84ELc85EKS1_S1_EviT_T0_PT8_S3_lS6_S3_lS4_PT9_S3_li,"axG",@progbits,_ZL37rocblas_syrkx_herkx_restricted_kernelIl19rocblas_complex_numIdELi16ELi32ELi8ELb0ELb0ELc84ELc85EKS1_S1_EviT_T0_PT8_S3_lS6_S3_lS4_PT9_S3_li,comdat
	.globl	_ZL37rocblas_syrkx_herkx_restricted_kernelIl19rocblas_complex_numIdELi16ELi32ELi8ELb0ELb0ELc84ELc85EKS1_S1_EviT_T0_PT8_S3_lS6_S3_lS4_PT9_S3_li ; -- Begin function _ZL37rocblas_syrkx_herkx_restricted_kernelIl19rocblas_complex_numIdELi16ELi32ELi8ELb0ELb0ELc84ELc85EKS1_S1_EviT_T0_PT8_S3_lS6_S3_lS4_PT9_S3_li
	.p2align	8
	.type	_ZL37rocblas_syrkx_herkx_restricted_kernelIl19rocblas_complex_numIdELi16ELi32ELi8ELb0ELb0ELc84ELc85EKS1_S1_EviT_T0_PT8_S3_lS6_S3_lS4_PT9_S3_li,@function
_ZL37rocblas_syrkx_herkx_restricted_kernelIl19rocblas_complex_numIdELi16ELi32ELi8ELb0ELb0ELc84ELc85EKS1_S1_EviT_T0_PT8_S3_lS6_S3_lS4_PT9_S3_li: ; @_ZL37rocblas_syrkx_herkx_restricted_kernelIl19rocblas_complex_numIdELi16ELi32ELi8ELb0ELb0ELc84ELc85EKS1_S1_EviT_T0_PT8_S3_lS6_S3_lS4_PT9_S3_li
; %bb.0:
	s_clause 0x2
	s_load_b512 s[16:31], s[0:1], 0x8
	s_load_b128 s[36:39], s[0:1], 0x68
	s_load_b256 s[4:11], s[0:1], 0x48
	v_mov_b32_e32 v16, 0
	v_dual_mov_b32 v17, 0 :: v_dual_and_b32 v20, 0x3ff, v0
	v_bfe_u32 v21, v0, 10, 10
	s_delay_alu instid0(VALU_DEP_3) | instskip(NEXT) | instid1(VALU_DEP_3)
	v_mov_b32_e32 v4, v16
	v_dual_mov_b32 v10, v16 :: v_dual_mov_b32 v11, v17
	v_dual_mov_b32 v19, v17 :: v_dual_mov_b32 v18, v16
	;; [unrolled: 1-line block ×6, first 2 shown]
	v_mov_b32_e32 v9, v17
	s_waitcnt lgkmcnt(0)
	v_cmp_lt_i64_e64 s2, s[16:17], 1
	s_lshl_b32 s12, s13, 5
	s_lshl_b32 s13, s14, 5
	s_delay_alu instid0(VALU_DEP_1)
	s_and_b32 vcc_lo, exec_lo, s2
	s_cbranch_vccnz .LBB1190_3
; %bb.1:
	v_lshl_add_u32 v2, v21, 4, v20
	v_dual_mov_b32 v1, 0 :: v_dual_and_b32 v0, 7, v20
	v_lshlrev_b32_e32 v22, 4, v20
	s_mul_i32 s3, s27, s15
	s_delay_alu instid0(VALU_DEP_3)
	v_and_b32_e32 v8, 31, v2
	v_lshrrev_b32_e32 v9, 3, v2
	v_mov_b32_e32 v3, v1
	v_lshrrev_b32_e32 v2, 5, v2
	v_lshlrev_b32_e32 v11, 4, v0
	v_add_nc_u32_e32 v6, s12, v8
	v_add_nc_u32_e32 v10, s13, v9
	s_mul_hi_u32 s14, s26, s15
	s_mul_i32 s2, s26, s15
	s_add_i32 s3, s14, s3
	v_ashrrev_i32_e32 v7, 31, v6
	v_ashrrev_i32_e32 v12, 31, v10
	v_mad_u64_u32 v[4:5], null, s24, v6, v[2:3]
	v_mul_lo_u32 v3, s25, v6
	s_delay_alu instid0(VALU_DEP_4)
	v_mul_lo_u32 v13, s24, v7
	v_mul_lo_u32 v14, v10, s31
	v_mad_u64_u32 v[6:7], null, v10, s30, v[0:1]
	v_mul_lo_u32 v0, v12, s30
	v_lshlrev_b32_e32 v1, 4, v8
	s_lshl_b64 s[2:3], s[2:3], 4
	v_lshl_or_b32 v8, v9, 7, v11
	v_add3_u32 v5, v3, v5, v13
	s_add_u32 s14, s22, s2
	v_lshl_or_b32 v23, v2, 9, v1
	s_mul_i32 s2, s5, s15
	v_add3_u32 v7, v0, v7, v14
	v_lshlrev_b64 v[0:1], 4, v[4:5]
	s_mul_hi_u32 s5, s4, s15
	s_addc_u32 s22, s23, s3
	s_add_i32 s3, s5, s2
	s_mul_i32 s2, s4, s15
	v_lshlrev_b64 v[2:3], 4, v[6:7]
	s_lshl_b64 s[2:3], s[2:3], 4
	v_add_co_u32 v0, vcc_lo, s14, v0
	s_add_u32 s2, s28, s2
	v_add_nc_u32_e32 v24, 0x1000, v8
	v_add_co_ci_u32_e32 v1, vcc_lo, s22, v1, vcc_lo
	v_mov_b32_e32 v8, 0
	s_addc_u32 s3, s29, s3
	v_add_co_u32 v2, vcc_lo, s2, v2
	v_mov_b32_e32 v9, 0
	v_add_co_ci_u32_e32 v3, vcc_lo, s3, v3, vcc_lo
	v_add_co_u32 v0, vcc_lo, v0, 8
	s_delay_alu instid0(VALU_DEP_3)
	v_mov_b32_e32 v15, v9
	v_add_co_ci_u32_e32 v1, vcc_lo, 0, v1, vcc_lo
	v_add_co_u32 v2, vcc_lo, v2, 8
	v_dual_mov_b32 v14, v8 :: v_dual_mov_b32 v13, v9
	v_dual_mov_b32 v4, v8 :: v_dual_mov_b32 v19, v9
	v_mov_b32_e32 v6, v8
	v_dual_mov_b32 v12, v8 :: v_dual_mov_b32 v11, v9
	v_dual_mov_b32 v18, v8 :: v_dual_mov_b32 v17, v9
	v_lshl_add_u32 v25, v21, 7, 0x1000
	v_add_co_ci_u32_e32 v3, vcc_lo, 0, v3, vcc_lo
	v_dual_mov_b32 v7, v9 :: v_dual_mov_b32 v10, v8
	v_dual_mov_b32 v5, v9 :: v_dual_mov_b32 v16, v8
	s_mov_b64 s[2:3], 0
.LBB1190_2:                             ; =>This Inner Loop Header: Depth=1
	global_load_b128 v[26:29], v[0:1], off offset:-8
	s_add_u32 s2, s2, 8
	s_addc_u32 s3, s3, 0
	v_add_co_u32 v0, vcc_lo, 0x80, v0
	v_add_co_ci_u32_e32 v1, vcc_lo, 0, v1, vcc_lo
	v_cmp_ge_u64_e64 s4, s[2:3], s[16:17]
	s_waitcnt vmcnt(0)
	ds_store_b128 v23, v[26:29]
	global_load_b128 v[26:29], v[2:3], off offset:-8
	v_add_co_u32 v2, vcc_lo, 0x80, v2
	v_add_co_ci_u32_e32 v3, vcc_lo, 0, v3, vcc_lo
	s_and_b32 vcc_lo, exec_lo, s4
	s_waitcnt vmcnt(0)
	ds_store_b128 v24, v[26:29]
	s_waitcnt lgkmcnt(0)
	s_barrier
	buffer_gl0_inv
	ds_load_b128 v[26:29], v25
	ds_load_b128 v[30:33], v25 offset:16
	ds_load_b128 v[34:37], v25 offset:32
	;; [unrolled: 1-line block ×3, first 2 shown]
	ds_load_b128 v[42:45], v22
	s_waitcnt lgkmcnt(0)
	v_mul_f64 v[46:47], v[28:29], v[44:45]
	v_mul_f64 v[48:49], v[26:27], v[44:45]
	s_delay_alu instid0(VALU_DEP_2) | instskip(NEXT) | instid1(VALU_DEP_2)
	v_fma_f64 v[46:47], v[26:27], v[42:43], -v[46:47]
	v_fma_f64 v[48:49], v[28:29], v[42:43], v[48:49]
	s_delay_alu instid0(VALU_DEP_2) | instskip(NEXT) | instid1(VALU_DEP_2)
	v_add_f64 v[46:47], v[16:17], v[46:47]
	v_add_f64 v[48:49], v[18:19], v[48:49]
	ds_load_b128 v[16:19], v22 offset:256
	s_waitcnt lgkmcnt(0)
	v_mul_f64 v[50:51], v[28:29], v[18:19]
	s_delay_alu instid0(VALU_DEP_1) | instskip(SKIP_1) | instid1(VALU_DEP_2)
	v_fma_f64 v[50:51], v[26:27], v[16:17], -v[50:51]
	v_mul_f64 v[26:27], v[26:27], v[18:19]
	v_add_f64 v[50:51], v[4:5], v[50:51]
	s_delay_alu instid0(VALU_DEP_2) | instskip(NEXT) | instid1(VALU_DEP_1)
	v_fma_f64 v[26:27], v[28:29], v[16:17], v[26:27]
	v_add_f64 v[52:53], v[10:11], v[26:27]
	ds_load_b128 v[26:29], v25 offset:2048
	s_waitcnt lgkmcnt(0)
	v_mul_f64 v[4:5], v[28:29], v[44:45]
	v_mul_f64 v[10:11], v[26:27], v[44:45]
	s_delay_alu instid0(VALU_DEP_2) | instskip(NEXT) | instid1(VALU_DEP_2)
	v_fma_f64 v[4:5], v[26:27], v[42:43], -v[4:5]
	v_fma_f64 v[10:11], v[28:29], v[42:43], v[10:11]
	s_delay_alu instid0(VALU_DEP_2) | instskip(SKIP_1) | instid1(VALU_DEP_3)
	v_add_f64 v[42:43], v[12:13], v[4:5]
	v_mul_f64 v[4:5], v[28:29], v[18:19]
	v_add_f64 v[44:45], v[14:15], v[10:11]
	v_mul_f64 v[10:11], v[26:27], v[18:19]
	s_delay_alu instid0(VALU_DEP_3) | instskip(NEXT) | instid1(VALU_DEP_2)
	v_fma_f64 v[4:5], v[26:27], v[16:17], -v[4:5]
	v_fma_f64 v[10:11], v[28:29], v[16:17], v[10:11]
	s_delay_alu instid0(VALU_DEP_2)
	v_add_f64 v[16:17], v[6:7], v[4:5]
	ds_load_b128 v[4:7], v22 offset:512
	v_add_f64 v[18:19], v[8:9], v[10:11]
	s_waitcnt lgkmcnt(0)
	v_mul_f64 v[8:9], v[32:33], v[6:7]
	v_mul_f64 v[10:11], v[30:31], v[6:7]
	s_delay_alu instid0(VALU_DEP_2) | instskip(NEXT) | instid1(VALU_DEP_2)
	v_fma_f64 v[8:9], v[30:31], v[4:5], -v[8:9]
	v_fma_f64 v[10:11], v[32:33], v[4:5], v[10:11]
	s_delay_alu instid0(VALU_DEP_2) | instskip(NEXT) | instid1(VALU_DEP_2)
	v_add_f64 v[26:27], v[46:47], v[8:9]
	v_add_f64 v[28:29], v[48:49], v[10:11]
	ds_load_b128 v[8:11], v22 offset:768
	s_waitcnt lgkmcnt(0)
	v_mul_f64 v[12:13], v[32:33], v[10:11]
	v_mul_f64 v[14:15], v[30:31], v[10:11]
	s_delay_alu instid0(VALU_DEP_2) | instskip(NEXT) | instid1(VALU_DEP_2)
	v_fma_f64 v[12:13], v[30:31], v[8:9], -v[12:13]
	v_fma_f64 v[14:15], v[32:33], v[8:9], v[14:15]
	s_delay_alu instid0(VALU_DEP_2) | instskip(NEXT) | instid1(VALU_DEP_2)
	v_add_f64 v[30:31], v[50:51], v[12:13]
	v_add_f64 v[32:33], v[52:53], v[14:15]
	ds_load_b128 v[12:15], v25 offset:2064
	s_waitcnt lgkmcnt(0)
	v_mul_f64 v[46:47], v[14:15], v[6:7]
	v_mul_f64 v[6:7], v[12:13], v[6:7]
	s_delay_alu instid0(VALU_DEP_2) | instskip(NEXT) | instid1(VALU_DEP_2)
	v_fma_f64 v[46:47], v[12:13], v[4:5], -v[46:47]
	v_fma_f64 v[4:5], v[14:15], v[4:5], v[6:7]
	v_mul_f64 v[6:7], v[12:13], v[10:11]
	s_delay_alu instid0(VALU_DEP_3) | instskip(NEXT) | instid1(VALU_DEP_3)
	v_add_f64 v[42:43], v[42:43], v[46:47]
	v_add_f64 v[44:45], v[44:45], v[4:5]
	v_mul_f64 v[4:5], v[14:15], v[10:11]
	s_delay_alu instid0(VALU_DEP_4) | instskip(NEXT) | instid1(VALU_DEP_2)
	v_fma_f64 v[6:7], v[14:15], v[8:9], v[6:7]
	v_fma_f64 v[4:5], v[12:13], v[8:9], -v[4:5]
	s_delay_alu instid0(VALU_DEP_2) | instskip(NEXT) | instid1(VALU_DEP_2)
	v_add_f64 v[18:19], v[18:19], v[6:7]
	v_add_f64 v[16:17], v[16:17], v[4:5]
	ds_load_b128 v[4:7], v22 offset:1024
	s_waitcnt lgkmcnt(0)
	v_mul_f64 v[8:9], v[36:37], v[6:7]
	v_mul_f64 v[10:11], v[34:35], v[6:7]
	s_delay_alu instid0(VALU_DEP_2) | instskip(NEXT) | instid1(VALU_DEP_2)
	v_fma_f64 v[8:9], v[34:35], v[4:5], -v[8:9]
	v_fma_f64 v[10:11], v[36:37], v[4:5], v[10:11]
	s_delay_alu instid0(VALU_DEP_2) | instskip(NEXT) | instid1(VALU_DEP_2)
	v_add_f64 v[26:27], v[26:27], v[8:9]
	v_add_f64 v[28:29], v[28:29], v[10:11]
	ds_load_b128 v[8:11], v22 offset:1280
	s_waitcnt lgkmcnt(0)
	v_mul_f64 v[12:13], v[36:37], v[10:11]
	v_mul_f64 v[14:15], v[34:35], v[10:11]
	s_delay_alu instid0(VALU_DEP_2) | instskip(NEXT) | instid1(VALU_DEP_2)
	v_fma_f64 v[12:13], v[34:35], v[8:9], -v[12:13]
	v_fma_f64 v[14:15], v[36:37], v[8:9], v[14:15]
	s_delay_alu instid0(VALU_DEP_2) | instskip(NEXT) | instid1(VALU_DEP_2)
	v_add_f64 v[30:31], v[30:31], v[12:13]
	v_add_f64 v[32:33], v[32:33], v[14:15]
	ds_load_b128 v[12:15], v25 offset:2080
	s_waitcnt lgkmcnt(0)
	v_mul_f64 v[34:35], v[14:15], v[6:7]
	v_mul_f64 v[6:7], v[12:13], v[6:7]
	s_delay_alu instid0(VALU_DEP_2) | instskip(NEXT) | instid1(VALU_DEP_2)
	v_fma_f64 v[34:35], v[12:13], v[4:5], -v[34:35]
	v_fma_f64 v[4:5], v[14:15], v[4:5], v[6:7]
	v_mul_f64 v[6:7], v[12:13], v[10:11]
	s_delay_alu instid0(VALU_DEP_3) | instskip(NEXT) | instid1(VALU_DEP_3)
	v_add_f64 v[34:35], v[42:43], v[34:35]
	v_add_f64 v[36:37], v[44:45], v[4:5]
	v_mul_f64 v[4:5], v[14:15], v[10:11]
	s_delay_alu instid0(VALU_DEP_4) | instskip(NEXT) | instid1(VALU_DEP_2)
	v_fma_f64 v[6:7], v[14:15], v[8:9], v[6:7]
	v_fma_f64 v[4:5], v[12:13], v[8:9], -v[4:5]
	s_delay_alu instid0(VALU_DEP_2) | instskip(NEXT) | instid1(VALU_DEP_2)
	v_add_f64 v[18:19], v[18:19], v[6:7]
	v_add_f64 v[16:17], v[16:17], v[4:5]
	ds_load_b128 v[4:7], v22 offset:1536
	;; [unrolled: 38-line block ×3, first 2 shown]
	ds_load_b128 v[8:11], v22 offset:2048
	s_waitcnt lgkmcnt(0)
	v_mul_f64 v[12:13], v[6:7], v[10:11]
	v_mul_f64 v[14:15], v[4:5], v[10:11]
	s_delay_alu instid0(VALU_DEP_2) | instskip(NEXT) | instid1(VALU_DEP_2)
	v_fma_f64 v[12:13], v[4:5], v[8:9], -v[12:13]
	v_fma_f64 v[14:15], v[6:7], v[8:9], v[14:15]
	s_delay_alu instid0(VALU_DEP_2) | instskip(NEXT) | instid1(VALU_DEP_2)
	v_add_f64 v[26:27], v[26:27], v[12:13]
	v_add_f64 v[28:29], v[28:29], v[14:15]
	ds_load_b128 v[12:15], v22 offset:2304
	s_waitcnt lgkmcnt(0)
	v_mul_f64 v[38:39], v[6:7], v[14:15]
	s_delay_alu instid0(VALU_DEP_1) | instskip(SKIP_1) | instid1(VALU_DEP_2)
	v_fma_f64 v[38:39], v[4:5], v[12:13], -v[38:39]
	v_mul_f64 v[4:5], v[4:5], v[14:15]
	v_add_f64 v[30:31], v[30:31], v[38:39]
	s_delay_alu instid0(VALU_DEP_2) | instskip(NEXT) | instid1(VALU_DEP_1)
	v_fma_f64 v[4:5], v[6:7], v[12:13], v[4:5]
	v_add_f64 v[32:33], v[32:33], v[4:5]
	ds_load_b128 v[4:7], v25 offset:2112
	s_waitcnt lgkmcnt(0)
	v_mul_f64 v[38:39], v[6:7], v[10:11]
	v_mul_f64 v[10:11], v[4:5], v[10:11]
	s_delay_alu instid0(VALU_DEP_2) | instskip(NEXT) | instid1(VALU_DEP_2)
	v_fma_f64 v[38:39], v[4:5], v[8:9], -v[38:39]
	v_fma_f64 v[8:9], v[6:7], v[8:9], v[10:11]
	s_delay_alu instid0(VALU_DEP_2) | instskip(NEXT) | instid1(VALU_DEP_2)
	v_add_f64 v[34:35], v[34:35], v[38:39]
	v_add_f64 v[36:37], v[36:37], v[8:9]
	v_mul_f64 v[8:9], v[6:7], v[14:15]
	s_delay_alu instid0(VALU_DEP_1) | instskip(SKIP_1) | instid1(VALU_DEP_2)
	v_fma_f64 v[8:9], v[4:5], v[12:13], -v[8:9]
	v_mul_f64 v[4:5], v[4:5], v[14:15]
	v_add_f64 v[16:17], v[16:17], v[8:9]
	s_delay_alu instid0(VALU_DEP_2) | instskip(NEXT) | instid1(VALU_DEP_1)
	v_fma_f64 v[4:5], v[6:7], v[12:13], v[4:5]
	v_add_f64 v[18:19], v[18:19], v[4:5]
	ds_load_b128 v[4:7], v25 offset:80
	ds_load_b128 v[8:11], v22 offset:2560
	s_waitcnt lgkmcnt(0)
	v_mul_f64 v[12:13], v[6:7], v[10:11]
	v_mul_f64 v[14:15], v[4:5], v[10:11]
	s_delay_alu instid0(VALU_DEP_2) | instskip(NEXT) | instid1(VALU_DEP_2)
	v_fma_f64 v[12:13], v[4:5], v[8:9], -v[12:13]
	v_fma_f64 v[14:15], v[6:7], v[8:9], v[14:15]
	s_delay_alu instid0(VALU_DEP_2) | instskip(NEXT) | instid1(VALU_DEP_2)
	v_add_f64 v[26:27], v[26:27], v[12:13]
	v_add_f64 v[28:29], v[28:29], v[14:15]
	ds_load_b128 v[12:15], v22 offset:2816
	s_waitcnt lgkmcnt(0)
	v_mul_f64 v[38:39], v[6:7], v[14:15]
	s_delay_alu instid0(VALU_DEP_1) | instskip(SKIP_1) | instid1(VALU_DEP_2)
	v_fma_f64 v[38:39], v[4:5], v[12:13], -v[38:39]
	v_mul_f64 v[4:5], v[4:5], v[14:15]
	v_add_f64 v[30:31], v[30:31], v[38:39]
	s_delay_alu instid0(VALU_DEP_2) | instskip(NEXT) | instid1(VALU_DEP_1)
	v_fma_f64 v[4:5], v[6:7], v[12:13], v[4:5]
	v_add_f64 v[32:33], v[32:33], v[4:5]
	ds_load_b128 v[4:7], v25 offset:2128
	s_waitcnt lgkmcnt(0)
	v_mul_f64 v[38:39], v[6:7], v[10:11]
	v_mul_f64 v[10:11], v[4:5], v[10:11]
	s_delay_alu instid0(VALU_DEP_2) | instskip(NEXT) | instid1(VALU_DEP_2)
	v_fma_f64 v[38:39], v[4:5], v[8:9], -v[38:39]
	v_fma_f64 v[8:9], v[6:7], v[8:9], v[10:11]
	s_delay_alu instid0(VALU_DEP_2) | instskip(NEXT) | instid1(VALU_DEP_2)
	v_add_f64 v[34:35], v[34:35], v[38:39]
	v_add_f64 v[36:37], v[36:37], v[8:9]
	v_mul_f64 v[8:9], v[6:7], v[14:15]
	s_delay_alu instid0(VALU_DEP_1) | instskip(SKIP_1) | instid1(VALU_DEP_2)
	v_fma_f64 v[8:9], v[4:5], v[12:13], -v[8:9]
	v_mul_f64 v[4:5], v[4:5], v[14:15]
	v_add_f64 v[16:17], v[16:17], v[8:9]
	s_delay_alu instid0(VALU_DEP_2) | instskip(NEXT) | instid1(VALU_DEP_1)
	v_fma_f64 v[4:5], v[6:7], v[12:13], v[4:5]
	v_add_f64 v[18:19], v[18:19], v[4:5]
	ds_load_b128 v[4:7], v25 offset:96
	;; [unrolled: 39-line block ×3, first 2 shown]
	ds_load_b128 v[12:15], v22 offset:3584
	s_waitcnt lgkmcnt(0)
	v_mul_f64 v[8:9], v[6:7], v[14:15]
	v_mul_f64 v[10:11], v[4:5], v[14:15]
	s_delay_alu instid0(VALU_DEP_2) | instskip(NEXT) | instid1(VALU_DEP_2)
	v_fma_f64 v[8:9], v[4:5], v[12:13], -v[8:9]
	v_fma_f64 v[10:11], v[6:7], v[12:13], v[10:11]
	s_delay_alu instid0(VALU_DEP_2) | instskip(NEXT) | instid1(VALU_DEP_2)
	v_add_f64 v[16:17], v[26:27], v[8:9]
	v_add_f64 v[18:19], v[28:29], v[10:11]
	ds_load_b128 v[26:29], v22 offset:3840
	s_waitcnt lgkmcnt(0)
	v_mul_f64 v[8:9], v[6:7], v[28:29]
	s_delay_alu instid0(VALU_DEP_1) | instskip(SKIP_1) | instid1(VALU_DEP_1)
	v_fma_f64 v[8:9], v[4:5], v[26:27], -v[8:9]
	v_mul_f64 v[4:5], v[4:5], v[28:29]
	v_fma_f64 v[6:7], v[6:7], v[26:27], v[4:5]
	s_delay_alu instid0(VALU_DEP_3) | instskip(NEXT) | instid1(VALU_DEP_2)
	v_add_f64 v[4:5], v[30:31], v[8:9]
	v_add_f64 v[10:11], v[32:33], v[6:7]
	ds_load_b128 v[6:9], v25 offset:2160
	s_waitcnt lgkmcnt(0)
	s_barrier
	buffer_gl0_inv
	v_mul_f64 v[30:31], v[8:9], v[14:15]
	v_mul_f64 v[14:15], v[6:7], v[14:15]
	s_delay_alu instid0(VALU_DEP_2) | instskip(NEXT) | instid1(VALU_DEP_2)
	v_fma_f64 v[30:31], v[6:7], v[12:13], -v[30:31]
	v_fma_f64 v[14:15], v[8:9], v[12:13], v[14:15]
	s_delay_alu instid0(VALU_DEP_2) | instskip(SKIP_1) | instid1(VALU_DEP_3)
	v_add_f64 v[12:13], v[34:35], v[30:31]
	v_mul_f64 v[30:31], v[8:9], v[28:29]
	v_add_f64 v[14:15], v[36:37], v[14:15]
	s_delay_alu instid0(VALU_DEP_2) | instskip(SKIP_1) | instid1(VALU_DEP_1)
	v_fma_f64 v[30:31], v[6:7], v[26:27], -v[30:31]
	v_mul_f64 v[6:7], v[6:7], v[28:29]
	v_fma_f64 v[8:9], v[8:9], v[26:27], v[6:7]
	s_delay_alu instid0(VALU_DEP_3) | instskip(NEXT) | instid1(VALU_DEP_2)
	v_add_f64 v[6:7], v[38:39], v[30:31]
	v_add_f64 v[8:9], v[40:41], v[8:9]
	s_cbranch_vccz .LBB1190_2
.LBB1190_3:
	v_add_nc_u32_e32 v21, s13, v21
	s_load_b32 s2, s[0:1], 0x0
	s_mul_i32 s1, s15, s39
	s_mul_hi_u32 s3, s15, s38
	s_mul_i32 s0, s15, s38
	v_ashrrev_i32_e32 v0, 31, v21
	v_mul_lo_u32 v3, v21, s37
	v_mad_u64_u32 v[1:2], null, v21, s36, 0
	s_add_i32 s1, s3, s1
	s_delay_alu instid0(VALU_DEP_3) | instskip(SKIP_1) | instid1(SALU_CYCLE_1)
	v_mul_lo_u32 v0, v0, s36
	s_lshl_b64 s[4:5], s[0:1], 4
	s_add_u32 s3, s10, s4
	s_addc_u32 s4, s11, s5
	s_delay_alu instid0(VALU_DEP_1) | instskip(SKIP_3) | instid1(VALU_DEP_3)
	v_add3_u32 v2, v2, v3, v0
	v_add_nc_u32_e32 v0, s12, v20
	s_waitcnt lgkmcnt(0)
	v_cmp_gt_i32_e32 vcc_lo, s2, v21
	v_lshlrev_b64 v[1:2], 4, v[1:2]
	s_delay_alu instid0(VALU_DEP_3) | instskip(NEXT) | instid1(VALU_DEP_1)
	v_cmp_le_i32_e64 s0, v0, v21
	s_and_b32 s0, vcc_lo, s0
	s_delay_alu instid0(VALU_DEP_2) | instskip(NEXT) | instid1(VALU_DEP_1)
	v_add_co_u32 v20, s1, s3, v1
	v_add_co_ci_u32_e64 v22, s1, s4, v2, s1
	s_and_saveexec_b32 s1, s0
	s_cbranch_execz .LBB1190_5
; %bb.4:
	v_ashrrev_i32_e32 v1, 31, v0
	v_mul_f64 v[27:28], s[20:21], v[18:19]
	v_mul_f64 v[18:19], s[18:19], v[18:19]
	s_delay_alu instid0(VALU_DEP_3) | instskip(NEXT) | instid1(VALU_DEP_1)
	v_lshlrev_b64 v[1:2], 4, v[0:1]
	v_add_co_u32 v1, s0, v20, v1
	s_delay_alu instid0(VALU_DEP_1)
	v_add_co_ci_u32_e64 v2, s0, v22, v2, s0
	global_load_b128 v[23:26], v[1:2], off
	v_fma_f64 v[27:28], s[18:19], v[16:17], -v[27:28]
	v_fma_f64 v[18:19], s[20:21], v[16:17], v[18:19]
	s_waitcnt vmcnt(0)
	v_mul_f64 v[29:30], s[8:9], v[25:26]
	v_mul_f64 v[25:26], s[6:7], v[25:26]
	s_delay_alu instid0(VALU_DEP_2) | instskip(NEXT) | instid1(VALU_DEP_2)
	v_fma_f64 v[16:17], s[6:7], v[23:24], -v[29:30]
	v_fma_f64 v[23:24], s[8:9], v[23:24], v[25:26]
	s_delay_alu instid0(VALU_DEP_2) | instskip(NEXT) | instid1(VALU_DEP_2)
	v_add_f64 v[16:17], v[27:28], v[16:17]
	v_add_f64 v[18:19], v[18:19], v[23:24]
	global_store_b128 v[1:2], v[16:19], off
.LBB1190_5:
	s_or_b32 exec_lo, exec_lo, s1
	v_add_nc_u32_e32 v2, 16, v0
	s_delay_alu instid0(VALU_DEP_1) | instskip(NEXT) | instid1(VALU_DEP_1)
	v_cmp_le_i32_e64 s0, v2, v21
	s_and_b32 s1, vcc_lo, s0
	s_delay_alu instid0(SALU_CYCLE_1)
	s_and_saveexec_b32 s0, s1
	s_cbranch_execz .LBB1190_7
; %bb.6:
	v_ashrrev_i32_e32 v3, 31, v2
	v_mul_f64 v[25:26], s[20:21], v[10:11]
	v_mul_f64 v[10:11], s[18:19], v[10:11]
	s_delay_alu instid0(VALU_DEP_3) | instskip(NEXT) | instid1(VALU_DEP_1)
	v_lshlrev_b64 v[16:17], 4, v[2:3]
	v_add_co_u32 v23, vcc_lo, v20, v16
	s_delay_alu instid0(VALU_DEP_2)
	v_add_co_ci_u32_e32 v24, vcc_lo, v22, v17, vcc_lo
	global_load_b128 v[16:19], v[23:24], off
	v_fma_f64 v[25:26], s[18:19], v[4:5], -v[25:26]
	v_fma_f64 v[3:4], s[20:21], v[4:5], v[10:11]
	s_waitcnt vmcnt(0)
	v_mul_f64 v[27:28], s[8:9], v[18:19]
	v_mul_f64 v[18:19], s[6:7], v[18:19]
	s_delay_alu instid0(VALU_DEP_2) | instskip(NEXT) | instid1(VALU_DEP_2)
	v_fma_f64 v[10:11], s[6:7], v[16:17], -v[27:28]
	v_fma_f64 v[18:19], s[8:9], v[16:17], v[18:19]
	s_delay_alu instid0(VALU_DEP_2) | instskip(NEXT) | instid1(VALU_DEP_2)
	v_add_f64 v[16:17], v[25:26], v[10:11]
	v_add_f64 v[18:19], v[3:4], v[18:19]
	global_store_b128 v[23:24], v[16:19], off
.LBB1190_7:
	s_or_b32 exec_lo, exec_lo, s0
	v_add_nc_u32_e32 v3, 16, v21
	s_delay_alu instid0(VALU_DEP_1) | instskip(SKIP_3) | instid1(VALU_DEP_4)
	v_ashrrev_i32_e32 v1, 31, v3
	v_mul_lo_u32 v10, v3, s37
	v_mad_u64_u32 v[4:5], null, v3, s36, 0
	v_cmp_gt_i32_e32 vcc_lo, s2, v3
	v_mul_lo_u32 v1, v1, s36
	v_cmp_le_i32_e64 s0, v0, v3
	s_delay_alu instid0(VALU_DEP_1) | instskip(NEXT) | instid1(VALU_DEP_2)
	s_and_b32 s0, vcc_lo, s0
	v_add3_u32 v5, v5, v10, v1
	s_delay_alu instid0(VALU_DEP_1) | instskip(NEXT) | instid1(VALU_DEP_1)
	v_lshlrev_b64 v[4:5], 4, v[4:5]
	v_add_co_u32 v4, s1, s3, v4
	s_delay_alu instid0(VALU_DEP_1)
	v_add_co_ci_u32_e64 v5, s1, s4, v5, s1
	s_and_saveexec_b32 s1, s0
	s_cbranch_execz .LBB1190_9
; %bb.8:
	v_ashrrev_i32_e32 v1, 31, v0
	v_mul_f64 v[10:11], s[20:21], v[14:15]
	v_mul_f64 v[14:15], s[18:19], v[14:15]
	s_delay_alu instid0(VALU_DEP_3) | instskip(NEXT) | instid1(VALU_DEP_1)
	v_lshlrev_b64 v[0:1], 4, v[0:1]
	v_add_co_u32 v0, s0, v4, v0
	s_delay_alu instid0(VALU_DEP_1)
	v_add_co_ci_u32_e64 v1, s0, v5, v1, s0
	global_load_b128 v[16:19], v[0:1], off
	v_fma_f64 v[10:11], s[18:19], v[12:13], -v[10:11]
	v_fma_f64 v[12:13], s[20:21], v[12:13], v[14:15]
	s_waitcnt vmcnt(0)
	v_mul_f64 v[20:21], s[8:9], v[18:19]
	v_mul_f64 v[18:19], s[6:7], v[18:19]
	s_delay_alu instid0(VALU_DEP_2) | instskip(NEXT) | instid1(VALU_DEP_2)
	v_fma_f64 v[14:15], s[6:7], v[16:17], -v[20:21]
	v_fma_f64 v[16:17], s[8:9], v[16:17], v[18:19]
	s_delay_alu instid0(VALU_DEP_2) | instskip(NEXT) | instid1(VALU_DEP_2)
	v_add_f64 v[10:11], v[10:11], v[14:15]
	v_add_f64 v[12:13], v[12:13], v[16:17]
	global_store_b128 v[0:1], v[10:13], off
.LBB1190_9:
	s_or_b32 exec_lo, exec_lo, s1
	v_cmp_le_i32_e64 s0, v2, v3
	s_delay_alu instid0(VALU_DEP_1) | instskip(NEXT) | instid1(SALU_CYCLE_1)
	s_and_b32 s0, vcc_lo, s0
	s_and_saveexec_b32 s1, s0
	s_cbranch_execz .LBB1190_11
; %bb.10:
	v_ashrrev_i32_e32 v3, 31, v2
	v_mul_f64 v[10:11], s[20:21], v[8:9]
	v_mul_f64 v[8:9], s[18:19], v[8:9]
	s_delay_alu instid0(VALU_DEP_3) | instskip(NEXT) | instid1(VALU_DEP_1)
	v_lshlrev_b64 v[0:1], 4, v[2:3]
	v_add_co_u32 v4, vcc_lo, v4, v0
	s_delay_alu instid0(VALU_DEP_2)
	v_add_co_ci_u32_e32 v5, vcc_lo, v5, v1, vcc_lo
	global_load_b128 v[0:3], v[4:5], off
	v_fma_f64 v[10:11], s[18:19], v[6:7], -v[10:11]
	v_fma_f64 v[6:7], s[20:21], v[6:7], v[8:9]
	s_waitcnt vmcnt(0)
	v_mul_f64 v[12:13], s[8:9], v[2:3]
	v_mul_f64 v[2:3], s[6:7], v[2:3]
	s_delay_alu instid0(VALU_DEP_2) | instskip(NEXT) | instid1(VALU_DEP_2)
	v_fma_f64 v[8:9], s[6:7], v[0:1], -v[12:13]
	v_fma_f64 v[2:3], s[8:9], v[0:1], v[2:3]
	s_delay_alu instid0(VALU_DEP_2) | instskip(NEXT) | instid1(VALU_DEP_2)
	v_add_f64 v[0:1], v[10:11], v[8:9]
	v_add_f64 v[2:3], v[6:7], v[2:3]
	global_store_b128 v[4:5], v[0:3], off
.LBB1190_11:
	s_nop 0
	s_sendmsg sendmsg(MSG_DEALLOC_VGPRS)
	s_endpgm
	.section	.rodata,"a",@progbits
	.p2align	6, 0x0
	.amdhsa_kernel _ZL37rocblas_syrkx_herkx_restricted_kernelIl19rocblas_complex_numIdELi16ELi32ELi8ELb0ELb0ELc84ELc85EKS1_S1_EviT_T0_PT8_S3_lS6_S3_lS4_PT9_S3_li
		.amdhsa_group_segment_fixed_size 8192
		.amdhsa_private_segment_fixed_size 0
		.amdhsa_kernarg_size 124
		.amdhsa_user_sgpr_count 13
		.amdhsa_user_sgpr_dispatch_ptr 0
		.amdhsa_user_sgpr_queue_ptr 0
		.amdhsa_user_sgpr_kernarg_segment_ptr 1
		.amdhsa_user_sgpr_dispatch_id 0
		.amdhsa_user_sgpr_private_segment_size 0
		.amdhsa_wavefront_size32 1
		.amdhsa_uses_dynamic_stack 0
		.amdhsa_enable_private_segment 0
		.amdhsa_system_sgpr_workgroup_id_x 1
		.amdhsa_system_sgpr_workgroup_id_y 1
		.amdhsa_system_sgpr_workgroup_id_z 1
		.amdhsa_system_sgpr_workgroup_info 0
		.amdhsa_system_vgpr_workitem_id 1
		.amdhsa_next_free_vgpr 54
		.amdhsa_next_free_sgpr 40
		.amdhsa_reserve_vcc 1
		.amdhsa_float_round_mode_32 0
		.amdhsa_float_round_mode_16_64 0
		.amdhsa_float_denorm_mode_32 3
		.amdhsa_float_denorm_mode_16_64 3
		.amdhsa_dx10_clamp 1
		.amdhsa_ieee_mode 1
		.amdhsa_fp16_overflow 0
		.amdhsa_workgroup_processor_mode 1
		.amdhsa_memory_ordered 1
		.amdhsa_forward_progress 0
		.amdhsa_shared_vgpr_count 0
		.amdhsa_exception_fp_ieee_invalid_op 0
		.amdhsa_exception_fp_denorm_src 0
		.amdhsa_exception_fp_ieee_div_zero 0
		.amdhsa_exception_fp_ieee_overflow 0
		.amdhsa_exception_fp_ieee_underflow 0
		.amdhsa_exception_fp_ieee_inexact 0
		.amdhsa_exception_int_div_zero 0
	.end_amdhsa_kernel
	.section	.text._ZL37rocblas_syrkx_herkx_restricted_kernelIl19rocblas_complex_numIdELi16ELi32ELi8ELb0ELb0ELc84ELc85EKS1_S1_EviT_T0_PT8_S3_lS6_S3_lS4_PT9_S3_li,"axG",@progbits,_ZL37rocblas_syrkx_herkx_restricted_kernelIl19rocblas_complex_numIdELi16ELi32ELi8ELb0ELb0ELc84ELc85EKS1_S1_EviT_T0_PT8_S3_lS6_S3_lS4_PT9_S3_li,comdat
.Lfunc_end1190:
	.size	_ZL37rocblas_syrkx_herkx_restricted_kernelIl19rocblas_complex_numIdELi16ELi32ELi8ELb0ELb0ELc84ELc85EKS1_S1_EviT_T0_PT8_S3_lS6_S3_lS4_PT9_S3_li, .Lfunc_end1190-_ZL37rocblas_syrkx_herkx_restricted_kernelIl19rocblas_complex_numIdELi16ELi32ELi8ELb0ELb0ELc84ELc85EKS1_S1_EviT_T0_PT8_S3_lS6_S3_lS4_PT9_S3_li
                                        ; -- End function
	.section	.AMDGPU.csdata,"",@progbits
; Kernel info:
; codeLenInByte = 3672
; NumSgprs: 42
; NumVgprs: 54
; ScratchSize: 0
; MemoryBound: 0
; FloatMode: 240
; IeeeMode: 1
; LDSByteSize: 8192 bytes/workgroup (compile time only)
; SGPRBlocks: 5
; VGPRBlocks: 6
; NumSGPRsForWavesPerEU: 42
; NumVGPRsForWavesPerEU: 54
; Occupancy: 16
; WaveLimiterHint : 0
; COMPUTE_PGM_RSRC2:SCRATCH_EN: 0
; COMPUTE_PGM_RSRC2:USER_SGPR: 13
; COMPUTE_PGM_RSRC2:TRAP_HANDLER: 0
; COMPUTE_PGM_RSRC2:TGID_X_EN: 1
; COMPUTE_PGM_RSRC2:TGID_Y_EN: 1
; COMPUTE_PGM_RSRC2:TGID_Z_EN: 1
; COMPUTE_PGM_RSRC2:TIDIG_COMP_CNT: 1
	.section	.text._ZL37rocblas_syrkx_herkx_restricted_kernelIl19rocblas_complex_numIdELi16ELi32ELi8ELb0ELb0ELc67ELc85EKS1_S1_EviT_T0_PT8_S3_lS6_S3_lS4_PT9_S3_li,"axG",@progbits,_ZL37rocblas_syrkx_herkx_restricted_kernelIl19rocblas_complex_numIdELi16ELi32ELi8ELb0ELb0ELc67ELc85EKS1_S1_EviT_T0_PT8_S3_lS6_S3_lS4_PT9_S3_li,comdat
	.globl	_ZL37rocblas_syrkx_herkx_restricted_kernelIl19rocblas_complex_numIdELi16ELi32ELi8ELb0ELb0ELc67ELc85EKS1_S1_EviT_T0_PT8_S3_lS6_S3_lS4_PT9_S3_li ; -- Begin function _ZL37rocblas_syrkx_herkx_restricted_kernelIl19rocblas_complex_numIdELi16ELi32ELi8ELb0ELb0ELc67ELc85EKS1_S1_EviT_T0_PT8_S3_lS6_S3_lS4_PT9_S3_li
	.p2align	8
	.type	_ZL37rocblas_syrkx_herkx_restricted_kernelIl19rocblas_complex_numIdELi16ELi32ELi8ELb0ELb0ELc67ELc85EKS1_S1_EviT_T0_PT8_S3_lS6_S3_lS4_PT9_S3_li,@function
_ZL37rocblas_syrkx_herkx_restricted_kernelIl19rocblas_complex_numIdELi16ELi32ELi8ELb0ELb0ELc67ELc85EKS1_S1_EviT_T0_PT8_S3_lS6_S3_lS4_PT9_S3_li: ; @_ZL37rocblas_syrkx_herkx_restricted_kernelIl19rocblas_complex_numIdELi16ELi32ELi8ELb0ELb0ELc67ELc85EKS1_S1_EviT_T0_PT8_S3_lS6_S3_lS4_PT9_S3_li
; %bb.0:
	s_clause 0x2
	s_load_b512 s[16:31], s[0:1], 0x8
	s_load_b128 s[36:39], s[0:1], 0x68
	s_load_b256 s[4:11], s[0:1], 0x48
	v_mov_b32_e32 v16, 0
	v_dual_mov_b32 v17, 0 :: v_dual_and_b32 v20, 0x3ff, v0
	v_bfe_u32 v21, v0, 10, 10
	s_delay_alu instid0(VALU_DEP_3) | instskip(NEXT) | instid1(VALU_DEP_3)
	v_mov_b32_e32 v4, v16
	v_dual_mov_b32 v10, v16 :: v_dual_mov_b32 v11, v17
	v_dual_mov_b32 v19, v17 :: v_dual_mov_b32 v18, v16
	;; [unrolled: 1-line block ×6, first 2 shown]
	v_mov_b32_e32 v9, v17
	s_waitcnt lgkmcnt(0)
	v_cmp_lt_i64_e64 s2, s[16:17], 1
	s_lshl_b32 s12, s13, 5
	s_lshl_b32 s13, s14, 5
	s_delay_alu instid0(VALU_DEP_1)
	s_and_b32 vcc_lo, exec_lo, s2
	s_cbranch_vccnz .LBB1191_3
; %bb.1:
	v_lshl_add_u32 v2, v21, 4, v20
	v_dual_mov_b32 v1, 0 :: v_dual_and_b32 v0, 7, v20
	v_lshlrev_b32_e32 v22, 4, v20
	s_mul_i32 s3, s27, s15
	s_delay_alu instid0(VALU_DEP_3)
	v_and_b32_e32 v8, 31, v2
	v_lshrrev_b32_e32 v9, 3, v2
	v_mov_b32_e32 v3, v1
	v_lshrrev_b32_e32 v2, 5, v2
	v_lshlrev_b32_e32 v11, 4, v0
	v_add_nc_u32_e32 v6, s12, v8
	v_add_nc_u32_e32 v10, s13, v9
	s_mul_hi_u32 s14, s26, s15
	s_mul_i32 s2, s26, s15
	s_add_i32 s3, s14, s3
	v_ashrrev_i32_e32 v7, 31, v6
	v_ashrrev_i32_e32 v12, 31, v10
	v_mad_u64_u32 v[4:5], null, s24, v6, v[2:3]
	v_mul_lo_u32 v3, s25, v6
	s_delay_alu instid0(VALU_DEP_4)
	v_mul_lo_u32 v13, s24, v7
	v_mul_lo_u32 v14, v10, s31
	v_mad_u64_u32 v[6:7], null, v10, s30, v[0:1]
	v_mul_lo_u32 v0, v12, s30
	v_lshlrev_b32_e32 v1, 4, v8
	s_lshl_b64 s[2:3], s[2:3], 4
	v_lshl_or_b32 v8, v9, 7, v11
	v_add3_u32 v5, v3, v5, v13
	s_add_u32 s14, s22, s2
	v_lshl_or_b32 v23, v2, 9, v1
	s_mul_i32 s2, s5, s15
	v_add3_u32 v7, v0, v7, v14
	v_lshlrev_b64 v[0:1], 4, v[4:5]
	s_mul_hi_u32 s5, s4, s15
	s_addc_u32 s22, s23, s3
	s_add_i32 s3, s5, s2
	s_mul_i32 s2, s4, s15
	v_lshlrev_b64 v[2:3], 4, v[6:7]
	s_lshl_b64 s[2:3], s[2:3], 4
	v_add_co_u32 v0, vcc_lo, s14, v0
	s_add_u32 s2, s28, s2
	v_add_nc_u32_e32 v24, 0x1000, v8
	v_add_co_ci_u32_e32 v1, vcc_lo, s22, v1, vcc_lo
	v_mov_b32_e32 v8, 0
	s_addc_u32 s3, s29, s3
	v_add_co_u32 v2, vcc_lo, s2, v2
	v_mov_b32_e32 v9, 0
	v_add_co_ci_u32_e32 v3, vcc_lo, s3, v3, vcc_lo
	v_add_co_u32 v0, vcc_lo, v0, 8
	s_delay_alu instid0(VALU_DEP_3)
	v_mov_b32_e32 v15, v9
	v_add_co_ci_u32_e32 v1, vcc_lo, 0, v1, vcc_lo
	v_add_co_u32 v2, vcc_lo, v2, 8
	v_dual_mov_b32 v14, v8 :: v_dual_mov_b32 v13, v9
	v_dual_mov_b32 v4, v8 :: v_dual_mov_b32 v19, v9
	v_mov_b32_e32 v6, v8
	v_dual_mov_b32 v12, v8 :: v_dual_mov_b32 v11, v9
	v_dual_mov_b32 v18, v8 :: v_dual_mov_b32 v17, v9
	v_lshl_add_u32 v25, v21, 7, 0x1000
	v_add_co_ci_u32_e32 v3, vcc_lo, 0, v3, vcc_lo
	v_dual_mov_b32 v7, v9 :: v_dual_mov_b32 v10, v8
	v_dual_mov_b32 v5, v9 :: v_dual_mov_b32 v16, v8
	s_mov_b64 s[2:3], 0
.LBB1191_2:                             ; =>This Inner Loop Header: Depth=1
	global_load_b128 v[26:29], v[0:1], off offset:-8
	s_add_u32 s2, s2, 8
	s_addc_u32 s3, s3, 0
	v_add_co_u32 v0, vcc_lo, 0x80, v0
	v_add_co_ci_u32_e32 v1, vcc_lo, 0, v1, vcc_lo
	v_cmp_ge_u64_e64 s4, s[2:3], s[16:17]
	s_waitcnt vmcnt(0)
	ds_store_b128 v23, v[26:29]
	global_load_b128 v[26:29], v[2:3], off offset:-8
	v_add_co_u32 v2, vcc_lo, 0x80, v2
	v_add_co_ci_u32_e32 v3, vcc_lo, 0, v3, vcc_lo
	s_and_b32 vcc_lo, exec_lo, s4
	s_waitcnt vmcnt(0)
	ds_store_b128 v24, v[26:29]
	s_waitcnt lgkmcnt(0)
	s_barrier
	buffer_gl0_inv
	ds_load_b128 v[26:29], v25
	ds_load_b128 v[30:33], v25 offset:16
	ds_load_b128 v[34:37], v25 offset:32
	;; [unrolled: 1-line block ×3, first 2 shown]
	ds_load_b128 v[42:45], v22
	s_waitcnt lgkmcnt(0)
	v_mul_f64 v[46:47], v[28:29], v[44:45]
	v_mul_f64 v[48:49], v[26:27], v[44:45]
	s_delay_alu instid0(VALU_DEP_2) | instskip(NEXT) | instid1(VALU_DEP_2)
	v_fma_f64 v[46:47], v[26:27], v[42:43], -v[46:47]
	v_fma_f64 v[48:49], v[28:29], v[42:43], v[48:49]
	s_delay_alu instid0(VALU_DEP_2) | instskip(NEXT) | instid1(VALU_DEP_2)
	v_add_f64 v[46:47], v[16:17], v[46:47]
	v_add_f64 v[48:49], v[18:19], v[48:49]
	ds_load_b128 v[16:19], v22 offset:256
	s_waitcnt lgkmcnt(0)
	v_mul_f64 v[50:51], v[28:29], v[18:19]
	s_delay_alu instid0(VALU_DEP_1) | instskip(SKIP_1) | instid1(VALU_DEP_2)
	v_fma_f64 v[50:51], v[26:27], v[16:17], -v[50:51]
	v_mul_f64 v[26:27], v[26:27], v[18:19]
	v_add_f64 v[50:51], v[4:5], v[50:51]
	s_delay_alu instid0(VALU_DEP_2) | instskip(NEXT) | instid1(VALU_DEP_1)
	v_fma_f64 v[26:27], v[28:29], v[16:17], v[26:27]
	v_add_f64 v[52:53], v[10:11], v[26:27]
	ds_load_b128 v[26:29], v25 offset:2048
	s_waitcnt lgkmcnt(0)
	v_mul_f64 v[4:5], v[28:29], v[44:45]
	v_mul_f64 v[10:11], v[26:27], v[44:45]
	s_delay_alu instid0(VALU_DEP_2) | instskip(NEXT) | instid1(VALU_DEP_2)
	v_fma_f64 v[4:5], v[26:27], v[42:43], -v[4:5]
	v_fma_f64 v[10:11], v[28:29], v[42:43], v[10:11]
	s_delay_alu instid0(VALU_DEP_2) | instskip(SKIP_1) | instid1(VALU_DEP_3)
	v_add_f64 v[42:43], v[12:13], v[4:5]
	v_mul_f64 v[4:5], v[28:29], v[18:19]
	v_add_f64 v[44:45], v[14:15], v[10:11]
	v_mul_f64 v[10:11], v[26:27], v[18:19]
	s_delay_alu instid0(VALU_DEP_3) | instskip(NEXT) | instid1(VALU_DEP_2)
	v_fma_f64 v[4:5], v[26:27], v[16:17], -v[4:5]
	v_fma_f64 v[10:11], v[28:29], v[16:17], v[10:11]
	s_delay_alu instid0(VALU_DEP_2)
	v_add_f64 v[16:17], v[6:7], v[4:5]
	ds_load_b128 v[4:7], v22 offset:512
	v_add_f64 v[18:19], v[8:9], v[10:11]
	s_waitcnt lgkmcnt(0)
	v_mul_f64 v[8:9], v[32:33], v[6:7]
	v_mul_f64 v[10:11], v[30:31], v[6:7]
	s_delay_alu instid0(VALU_DEP_2) | instskip(NEXT) | instid1(VALU_DEP_2)
	v_fma_f64 v[8:9], v[30:31], v[4:5], -v[8:9]
	v_fma_f64 v[10:11], v[32:33], v[4:5], v[10:11]
	s_delay_alu instid0(VALU_DEP_2) | instskip(NEXT) | instid1(VALU_DEP_2)
	v_add_f64 v[26:27], v[46:47], v[8:9]
	v_add_f64 v[28:29], v[48:49], v[10:11]
	ds_load_b128 v[8:11], v22 offset:768
	s_waitcnt lgkmcnt(0)
	v_mul_f64 v[12:13], v[32:33], v[10:11]
	v_mul_f64 v[14:15], v[30:31], v[10:11]
	s_delay_alu instid0(VALU_DEP_2) | instskip(NEXT) | instid1(VALU_DEP_2)
	v_fma_f64 v[12:13], v[30:31], v[8:9], -v[12:13]
	v_fma_f64 v[14:15], v[32:33], v[8:9], v[14:15]
	s_delay_alu instid0(VALU_DEP_2) | instskip(NEXT) | instid1(VALU_DEP_2)
	v_add_f64 v[30:31], v[50:51], v[12:13]
	v_add_f64 v[32:33], v[52:53], v[14:15]
	ds_load_b128 v[12:15], v25 offset:2064
	s_waitcnt lgkmcnt(0)
	v_mul_f64 v[46:47], v[14:15], v[6:7]
	v_mul_f64 v[6:7], v[12:13], v[6:7]
	s_delay_alu instid0(VALU_DEP_2) | instskip(NEXT) | instid1(VALU_DEP_2)
	v_fma_f64 v[46:47], v[12:13], v[4:5], -v[46:47]
	v_fma_f64 v[4:5], v[14:15], v[4:5], v[6:7]
	v_mul_f64 v[6:7], v[12:13], v[10:11]
	s_delay_alu instid0(VALU_DEP_3) | instskip(NEXT) | instid1(VALU_DEP_3)
	v_add_f64 v[42:43], v[42:43], v[46:47]
	v_add_f64 v[44:45], v[44:45], v[4:5]
	v_mul_f64 v[4:5], v[14:15], v[10:11]
	s_delay_alu instid0(VALU_DEP_4) | instskip(NEXT) | instid1(VALU_DEP_2)
	v_fma_f64 v[6:7], v[14:15], v[8:9], v[6:7]
	v_fma_f64 v[4:5], v[12:13], v[8:9], -v[4:5]
	s_delay_alu instid0(VALU_DEP_2) | instskip(NEXT) | instid1(VALU_DEP_2)
	v_add_f64 v[18:19], v[18:19], v[6:7]
	v_add_f64 v[16:17], v[16:17], v[4:5]
	ds_load_b128 v[4:7], v22 offset:1024
	s_waitcnt lgkmcnt(0)
	v_mul_f64 v[8:9], v[36:37], v[6:7]
	v_mul_f64 v[10:11], v[34:35], v[6:7]
	s_delay_alu instid0(VALU_DEP_2) | instskip(NEXT) | instid1(VALU_DEP_2)
	v_fma_f64 v[8:9], v[34:35], v[4:5], -v[8:9]
	v_fma_f64 v[10:11], v[36:37], v[4:5], v[10:11]
	s_delay_alu instid0(VALU_DEP_2) | instskip(NEXT) | instid1(VALU_DEP_2)
	v_add_f64 v[26:27], v[26:27], v[8:9]
	v_add_f64 v[28:29], v[28:29], v[10:11]
	ds_load_b128 v[8:11], v22 offset:1280
	s_waitcnt lgkmcnt(0)
	v_mul_f64 v[12:13], v[36:37], v[10:11]
	v_mul_f64 v[14:15], v[34:35], v[10:11]
	s_delay_alu instid0(VALU_DEP_2) | instskip(NEXT) | instid1(VALU_DEP_2)
	v_fma_f64 v[12:13], v[34:35], v[8:9], -v[12:13]
	v_fma_f64 v[14:15], v[36:37], v[8:9], v[14:15]
	s_delay_alu instid0(VALU_DEP_2) | instskip(NEXT) | instid1(VALU_DEP_2)
	v_add_f64 v[30:31], v[30:31], v[12:13]
	v_add_f64 v[32:33], v[32:33], v[14:15]
	ds_load_b128 v[12:15], v25 offset:2080
	s_waitcnt lgkmcnt(0)
	v_mul_f64 v[34:35], v[14:15], v[6:7]
	v_mul_f64 v[6:7], v[12:13], v[6:7]
	s_delay_alu instid0(VALU_DEP_2) | instskip(NEXT) | instid1(VALU_DEP_2)
	v_fma_f64 v[34:35], v[12:13], v[4:5], -v[34:35]
	v_fma_f64 v[4:5], v[14:15], v[4:5], v[6:7]
	v_mul_f64 v[6:7], v[12:13], v[10:11]
	s_delay_alu instid0(VALU_DEP_3) | instskip(NEXT) | instid1(VALU_DEP_3)
	v_add_f64 v[34:35], v[42:43], v[34:35]
	v_add_f64 v[36:37], v[44:45], v[4:5]
	v_mul_f64 v[4:5], v[14:15], v[10:11]
	s_delay_alu instid0(VALU_DEP_4) | instskip(NEXT) | instid1(VALU_DEP_2)
	v_fma_f64 v[6:7], v[14:15], v[8:9], v[6:7]
	v_fma_f64 v[4:5], v[12:13], v[8:9], -v[4:5]
	s_delay_alu instid0(VALU_DEP_2) | instskip(NEXT) | instid1(VALU_DEP_2)
	v_add_f64 v[18:19], v[18:19], v[6:7]
	v_add_f64 v[16:17], v[16:17], v[4:5]
	ds_load_b128 v[4:7], v22 offset:1536
	;; [unrolled: 38-line block ×3, first 2 shown]
	ds_load_b128 v[8:11], v22 offset:2048
	s_waitcnt lgkmcnt(0)
	v_mul_f64 v[12:13], v[6:7], v[10:11]
	v_mul_f64 v[14:15], v[4:5], v[10:11]
	s_delay_alu instid0(VALU_DEP_2) | instskip(NEXT) | instid1(VALU_DEP_2)
	v_fma_f64 v[12:13], v[4:5], v[8:9], -v[12:13]
	v_fma_f64 v[14:15], v[6:7], v[8:9], v[14:15]
	s_delay_alu instid0(VALU_DEP_2) | instskip(NEXT) | instid1(VALU_DEP_2)
	v_add_f64 v[26:27], v[26:27], v[12:13]
	v_add_f64 v[28:29], v[28:29], v[14:15]
	ds_load_b128 v[12:15], v22 offset:2304
	s_waitcnt lgkmcnt(0)
	v_mul_f64 v[38:39], v[6:7], v[14:15]
	s_delay_alu instid0(VALU_DEP_1) | instskip(SKIP_1) | instid1(VALU_DEP_2)
	v_fma_f64 v[38:39], v[4:5], v[12:13], -v[38:39]
	v_mul_f64 v[4:5], v[4:5], v[14:15]
	v_add_f64 v[30:31], v[30:31], v[38:39]
	s_delay_alu instid0(VALU_DEP_2) | instskip(NEXT) | instid1(VALU_DEP_1)
	v_fma_f64 v[4:5], v[6:7], v[12:13], v[4:5]
	v_add_f64 v[32:33], v[32:33], v[4:5]
	ds_load_b128 v[4:7], v25 offset:2112
	s_waitcnt lgkmcnt(0)
	v_mul_f64 v[38:39], v[6:7], v[10:11]
	v_mul_f64 v[10:11], v[4:5], v[10:11]
	s_delay_alu instid0(VALU_DEP_2) | instskip(NEXT) | instid1(VALU_DEP_2)
	v_fma_f64 v[38:39], v[4:5], v[8:9], -v[38:39]
	v_fma_f64 v[8:9], v[6:7], v[8:9], v[10:11]
	s_delay_alu instid0(VALU_DEP_2) | instskip(NEXT) | instid1(VALU_DEP_2)
	v_add_f64 v[34:35], v[34:35], v[38:39]
	v_add_f64 v[36:37], v[36:37], v[8:9]
	v_mul_f64 v[8:9], v[6:7], v[14:15]
	s_delay_alu instid0(VALU_DEP_1) | instskip(SKIP_1) | instid1(VALU_DEP_2)
	v_fma_f64 v[8:9], v[4:5], v[12:13], -v[8:9]
	v_mul_f64 v[4:5], v[4:5], v[14:15]
	v_add_f64 v[16:17], v[16:17], v[8:9]
	s_delay_alu instid0(VALU_DEP_2) | instskip(NEXT) | instid1(VALU_DEP_1)
	v_fma_f64 v[4:5], v[6:7], v[12:13], v[4:5]
	v_add_f64 v[18:19], v[18:19], v[4:5]
	ds_load_b128 v[4:7], v25 offset:80
	ds_load_b128 v[8:11], v22 offset:2560
	s_waitcnt lgkmcnt(0)
	v_mul_f64 v[12:13], v[6:7], v[10:11]
	v_mul_f64 v[14:15], v[4:5], v[10:11]
	s_delay_alu instid0(VALU_DEP_2) | instskip(NEXT) | instid1(VALU_DEP_2)
	v_fma_f64 v[12:13], v[4:5], v[8:9], -v[12:13]
	v_fma_f64 v[14:15], v[6:7], v[8:9], v[14:15]
	s_delay_alu instid0(VALU_DEP_2) | instskip(NEXT) | instid1(VALU_DEP_2)
	v_add_f64 v[26:27], v[26:27], v[12:13]
	v_add_f64 v[28:29], v[28:29], v[14:15]
	ds_load_b128 v[12:15], v22 offset:2816
	s_waitcnt lgkmcnt(0)
	v_mul_f64 v[38:39], v[6:7], v[14:15]
	s_delay_alu instid0(VALU_DEP_1) | instskip(SKIP_1) | instid1(VALU_DEP_2)
	v_fma_f64 v[38:39], v[4:5], v[12:13], -v[38:39]
	v_mul_f64 v[4:5], v[4:5], v[14:15]
	v_add_f64 v[30:31], v[30:31], v[38:39]
	s_delay_alu instid0(VALU_DEP_2) | instskip(NEXT) | instid1(VALU_DEP_1)
	v_fma_f64 v[4:5], v[6:7], v[12:13], v[4:5]
	v_add_f64 v[32:33], v[32:33], v[4:5]
	ds_load_b128 v[4:7], v25 offset:2128
	s_waitcnt lgkmcnt(0)
	v_mul_f64 v[38:39], v[6:7], v[10:11]
	v_mul_f64 v[10:11], v[4:5], v[10:11]
	s_delay_alu instid0(VALU_DEP_2) | instskip(NEXT) | instid1(VALU_DEP_2)
	v_fma_f64 v[38:39], v[4:5], v[8:9], -v[38:39]
	v_fma_f64 v[8:9], v[6:7], v[8:9], v[10:11]
	s_delay_alu instid0(VALU_DEP_2) | instskip(NEXT) | instid1(VALU_DEP_2)
	v_add_f64 v[34:35], v[34:35], v[38:39]
	v_add_f64 v[36:37], v[36:37], v[8:9]
	v_mul_f64 v[8:9], v[6:7], v[14:15]
	s_delay_alu instid0(VALU_DEP_1) | instskip(SKIP_1) | instid1(VALU_DEP_2)
	v_fma_f64 v[8:9], v[4:5], v[12:13], -v[8:9]
	v_mul_f64 v[4:5], v[4:5], v[14:15]
	v_add_f64 v[16:17], v[16:17], v[8:9]
	s_delay_alu instid0(VALU_DEP_2) | instskip(NEXT) | instid1(VALU_DEP_1)
	v_fma_f64 v[4:5], v[6:7], v[12:13], v[4:5]
	v_add_f64 v[18:19], v[18:19], v[4:5]
	ds_load_b128 v[4:7], v25 offset:96
	;; [unrolled: 39-line block ×3, first 2 shown]
	ds_load_b128 v[12:15], v22 offset:3584
	s_waitcnt lgkmcnt(0)
	v_mul_f64 v[8:9], v[6:7], v[14:15]
	v_mul_f64 v[10:11], v[4:5], v[14:15]
	s_delay_alu instid0(VALU_DEP_2) | instskip(NEXT) | instid1(VALU_DEP_2)
	v_fma_f64 v[8:9], v[4:5], v[12:13], -v[8:9]
	v_fma_f64 v[10:11], v[6:7], v[12:13], v[10:11]
	s_delay_alu instid0(VALU_DEP_2) | instskip(NEXT) | instid1(VALU_DEP_2)
	v_add_f64 v[16:17], v[26:27], v[8:9]
	v_add_f64 v[18:19], v[28:29], v[10:11]
	ds_load_b128 v[26:29], v22 offset:3840
	s_waitcnt lgkmcnt(0)
	v_mul_f64 v[8:9], v[6:7], v[28:29]
	s_delay_alu instid0(VALU_DEP_1) | instskip(SKIP_1) | instid1(VALU_DEP_1)
	v_fma_f64 v[8:9], v[4:5], v[26:27], -v[8:9]
	v_mul_f64 v[4:5], v[4:5], v[28:29]
	v_fma_f64 v[6:7], v[6:7], v[26:27], v[4:5]
	s_delay_alu instid0(VALU_DEP_3) | instskip(NEXT) | instid1(VALU_DEP_2)
	v_add_f64 v[4:5], v[30:31], v[8:9]
	v_add_f64 v[10:11], v[32:33], v[6:7]
	ds_load_b128 v[6:9], v25 offset:2160
	s_waitcnt lgkmcnt(0)
	s_barrier
	buffer_gl0_inv
	v_mul_f64 v[30:31], v[8:9], v[14:15]
	v_mul_f64 v[14:15], v[6:7], v[14:15]
	s_delay_alu instid0(VALU_DEP_2) | instskip(NEXT) | instid1(VALU_DEP_2)
	v_fma_f64 v[30:31], v[6:7], v[12:13], -v[30:31]
	v_fma_f64 v[14:15], v[8:9], v[12:13], v[14:15]
	s_delay_alu instid0(VALU_DEP_2) | instskip(SKIP_1) | instid1(VALU_DEP_3)
	v_add_f64 v[12:13], v[34:35], v[30:31]
	v_mul_f64 v[30:31], v[8:9], v[28:29]
	v_add_f64 v[14:15], v[36:37], v[14:15]
	s_delay_alu instid0(VALU_DEP_2) | instskip(SKIP_1) | instid1(VALU_DEP_1)
	v_fma_f64 v[30:31], v[6:7], v[26:27], -v[30:31]
	v_mul_f64 v[6:7], v[6:7], v[28:29]
	v_fma_f64 v[8:9], v[8:9], v[26:27], v[6:7]
	s_delay_alu instid0(VALU_DEP_3) | instskip(NEXT) | instid1(VALU_DEP_2)
	v_add_f64 v[6:7], v[38:39], v[30:31]
	v_add_f64 v[8:9], v[40:41], v[8:9]
	s_cbranch_vccz .LBB1191_2
.LBB1191_3:
	v_add_nc_u32_e32 v21, s13, v21
	s_load_b32 s2, s[0:1], 0x0
	s_mul_i32 s1, s15, s39
	s_mul_hi_u32 s3, s15, s38
	s_mul_i32 s0, s15, s38
	v_ashrrev_i32_e32 v0, 31, v21
	v_mul_lo_u32 v3, v21, s37
	v_mad_u64_u32 v[1:2], null, v21, s36, 0
	s_add_i32 s1, s3, s1
	s_delay_alu instid0(VALU_DEP_3) | instskip(SKIP_1) | instid1(SALU_CYCLE_1)
	v_mul_lo_u32 v0, v0, s36
	s_lshl_b64 s[4:5], s[0:1], 4
	s_add_u32 s3, s10, s4
	s_addc_u32 s4, s11, s5
	s_delay_alu instid0(VALU_DEP_1) | instskip(SKIP_3) | instid1(VALU_DEP_3)
	v_add3_u32 v2, v2, v3, v0
	v_add_nc_u32_e32 v0, s12, v20
	s_waitcnt lgkmcnt(0)
	v_cmp_gt_i32_e32 vcc_lo, s2, v21
	v_lshlrev_b64 v[1:2], 4, v[1:2]
	s_delay_alu instid0(VALU_DEP_3) | instskip(NEXT) | instid1(VALU_DEP_1)
	v_cmp_le_i32_e64 s0, v0, v21
	s_and_b32 s0, vcc_lo, s0
	s_delay_alu instid0(VALU_DEP_2) | instskip(NEXT) | instid1(VALU_DEP_1)
	v_add_co_u32 v20, s1, s3, v1
	v_add_co_ci_u32_e64 v22, s1, s4, v2, s1
	s_and_saveexec_b32 s1, s0
	s_cbranch_execz .LBB1191_5
; %bb.4:
	v_ashrrev_i32_e32 v1, 31, v0
	v_mul_f64 v[27:28], s[20:21], v[18:19]
	v_mul_f64 v[18:19], s[18:19], v[18:19]
	s_delay_alu instid0(VALU_DEP_3) | instskip(NEXT) | instid1(VALU_DEP_1)
	v_lshlrev_b64 v[1:2], 4, v[0:1]
	v_add_co_u32 v1, s0, v20, v1
	s_delay_alu instid0(VALU_DEP_1)
	v_add_co_ci_u32_e64 v2, s0, v22, v2, s0
	global_load_b128 v[23:26], v[1:2], off
	v_fma_f64 v[27:28], s[18:19], v[16:17], -v[27:28]
	v_fma_f64 v[18:19], s[20:21], v[16:17], v[18:19]
	s_waitcnt vmcnt(0)
	v_mul_f64 v[29:30], s[8:9], v[25:26]
	v_mul_f64 v[25:26], s[6:7], v[25:26]
	s_delay_alu instid0(VALU_DEP_2) | instskip(NEXT) | instid1(VALU_DEP_2)
	v_fma_f64 v[16:17], s[6:7], v[23:24], -v[29:30]
	v_fma_f64 v[23:24], s[8:9], v[23:24], v[25:26]
	s_delay_alu instid0(VALU_DEP_2) | instskip(NEXT) | instid1(VALU_DEP_2)
	v_add_f64 v[16:17], v[27:28], v[16:17]
	v_add_f64 v[18:19], v[18:19], v[23:24]
	global_store_b128 v[1:2], v[16:19], off
.LBB1191_5:
	s_or_b32 exec_lo, exec_lo, s1
	v_add_nc_u32_e32 v2, 16, v0
	s_delay_alu instid0(VALU_DEP_1) | instskip(NEXT) | instid1(VALU_DEP_1)
	v_cmp_le_i32_e64 s0, v2, v21
	s_and_b32 s1, vcc_lo, s0
	s_delay_alu instid0(SALU_CYCLE_1)
	s_and_saveexec_b32 s0, s1
	s_cbranch_execz .LBB1191_7
; %bb.6:
	v_ashrrev_i32_e32 v3, 31, v2
	v_mul_f64 v[25:26], s[20:21], v[10:11]
	v_mul_f64 v[10:11], s[18:19], v[10:11]
	s_delay_alu instid0(VALU_DEP_3) | instskip(NEXT) | instid1(VALU_DEP_1)
	v_lshlrev_b64 v[16:17], 4, v[2:3]
	v_add_co_u32 v23, vcc_lo, v20, v16
	s_delay_alu instid0(VALU_DEP_2)
	v_add_co_ci_u32_e32 v24, vcc_lo, v22, v17, vcc_lo
	global_load_b128 v[16:19], v[23:24], off
	v_fma_f64 v[25:26], s[18:19], v[4:5], -v[25:26]
	v_fma_f64 v[3:4], s[20:21], v[4:5], v[10:11]
	s_waitcnt vmcnt(0)
	v_mul_f64 v[27:28], s[8:9], v[18:19]
	v_mul_f64 v[18:19], s[6:7], v[18:19]
	s_delay_alu instid0(VALU_DEP_2) | instskip(NEXT) | instid1(VALU_DEP_2)
	v_fma_f64 v[10:11], s[6:7], v[16:17], -v[27:28]
	v_fma_f64 v[18:19], s[8:9], v[16:17], v[18:19]
	s_delay_alu instid0(VALU_DEP_2) | instskip(NEXT) | instid1(VALU_DEP_2)
	v_add_f64 v[16:17], v[25:26], v[10:11]
	v_add_f64 v[18:19], v[3:4], v[18:19]
	global_store_b128 v[23:24], v[16:19], off
.LBB1191_7:
	s_or_b32 exec_lo, exec_lo, s0
	v_add_nc_u32_e32 v3, 16, v21
	s_delay_alu instid0(VALU_DEP_1) | instskip(SKIP_3) | instid1(VALU_DEP_4)
	v_ashrrev_i32_e32 v1, 31, v3
	v_mul_lo_u32 v10, v3, s37
	v_mad_u64_u32 v[4:5], null, v3, s36, 0
	v_cmp_gt_i32_e32 vcc_lo, s2, v3
	v_mul_lo_u32 v1, v1, s36
	v_cmp_le_i32_e64 s0, v0, v3
	s_delay_alu instid0(VALU_DEP_1) | instskip(NEXT) | instid1(VALU_DEP_2)
	s_and_b32 s0, vcc_lo, s0
	v_add3_u32 v5, v5, v10, v1
	s_delay_alu instid0(VALU_DEP_1) | instskip(NEXT) | instid1(VALU_DEP_1)
	v_lshlrev_b64 v[4:5], 4, v[4:5]
	v_add_co_u32 v4, s1, s3, v4
	s_delay_alu instid0(VALU_DEP_1)
	v_add_co_ci_u32_e64 v5, s1, s4, v5, s1
	s_and_saveexec_b32 s1, s0
	s_cbranch_execz .LBB1191_9
; %bb.8:
	v_ashrrev_i32_e32 v1, 31, v0
	v_mul_f64 v[10:11], s[20:21], v[14:15]
	v_mul_f64 v[14:15], s[18:19], v[14:15]
	s_delay_alu instid0(VALU_DEP_3) | instskip(NEXT) | instid1(VALU_DEP_1)
	v_lshlrev_b64 v[0:1], 4, v[0:1]
	v_add_co_u32 v0, s0, v4, v0
	s_delay_alu instid0(VALU_DEP_1)
	v_add_co_ci_u32_e64 v1, s0, v5, v1, s0
	global_load_b128 v[16:19], v[0:1], off
	v_fma_f64 v[10:11], s[18:19], v[12:13], -v[10:11]
	v_fma_f64 v[12:13], s[20:21], v[12:13], v[14:15]
	s_waitcnt vmcnt(0)
	v_mul_f64 v[20:21], s[8:9], v[18:19]
	v_mul_f64 v[18:19], s[6:7], v[18:19]
	s_delay_alu instid0(VALU_DEP_2) | instskip(NEXT) | instid1(VALU_DEP_2)
	v_fma_f64 v[14:15], s[6:7], v[16:17], -v[20:21]
	v_fma_f64 v[16:17], s[8:9], v[16:17], v[18:19]
	s_delay_alu instid0(VALU_DEP_2) | instskip(NEXT) | instid1(VALU_DEP_2)
	v_add_f64 v[10:11], v[10:11], v[14:15]
	v_add_f64 v[12:13], v[12:13], v[16:17]
	global_store_b128 v[0:1], v[10:13], off
.LBB1191_9:
	s_or_b32 exec_lo, exec_lo, s1
	v_cmp_le_i32_e64 s0, v2, v3
	s_delay_alu instid0(VALU_DEP_1) | instskip(NEXT) | instid1(SALU_CYCLE_1)
	s_and_b32 s0, vcc_lo, s0
	s_and_saveexec_b32 s1, s0
	s_cbranch_execz .LBB1191_11
; %bb.10:
	v_ashrrev_i32_e32 v3, 31, v2
	v_mul_f64 v[10:11], s[20:21], v[8:9]
	v_mul_f64 v[8:9], s[18:19], v[8:9]
	s_delay_alu instid0(VALU_DEP_3) | instskip(NEXT) | instid1(VALU_DEP_1)
	v_lshlrev_b64 v[0:1], 4, v[2:3]
	v_add_co_u32 v4, vcc_lo, v4, v0
	s_delay_alu instid0(VALU_DEP_2)
	v_add_co_ci_u32_e32 v5, vcc_lo, v5, v1, vcc_lo
	global_load_b128 v[0:3], v[4:5], off
	v_fma_f64 v[10:11], s[18:19], v[6:7], -v[10:11]
	v_fma_f64 v[6:7], s[20:21], v[6:7], v[8:9]
	s_waitcnt vmcnt(0)
	v_mul_f64 v[12:13], s[8:9], v[2:3]
	v_mul_f64 v[2:3], s[6:7], v[2:3]
	s_delay_alu instid0(VALU_DEP_2) | instskip(NEXT) | instid1(VALU_DEP_2)
	v_fma_f64 v[8:9], s[6:7], v[0:1], -v[12:13]
	v_fma_f64 v[2:3], s[8:9], v[0:1], v[2:3]
	s_delay_alu instid0(VALU_DEP_2) | instskip(NEXT) | instid1(VALU_DEP_2)
	v_add_f64 v[0:1], v[10:11], v[8:9]
	v_add_f64 v[2:3], v[6:7], v[2:3]
	global_store_b128 v[4:5], v[0:3], off
.LBB1191_11:
	s_nop 0
	s_sendmsg sendmsg(MSG_DEALLOC_VGPRS)
	s_endpgm
	.section	.rodata,"a",@progbits
	.p2align	6, 0x0
	.amdhsa_kernel _ZL37rocblas_syrkx_herkx_restricted_kernelIl19rocblas_complex_numIdELi16ELi32ELi8ELb0ELb0ELc67ELc85EKS1_S1_EviT_T0_PT8_S3_lS6_S3_lS4_PT9_S3_li
		.amdhsa_group_segment_fixed_size 8192
		.amdhsa_private_segment_fixed_size 0
		.amdhsa_kernarg_size 124
		.amdhsa_user_sgpr_count 13
		.amdhsa_user_sgpr_dispatch_ptr 0
		.amdhsa_user_sgpr_queue_ptr 0
		.amdhsa_user_sgpr_kernarg_segment_ptr 1
		.amdhsa_user_sgpr_dispatch_id 0
		.amdhsa_user_sgpr_private_segment_size 0
		.amdhsa_wavefront_size32 1
		.amdhsa_uses_dynamic_stack 0
		.amdhsa_enable_private_segment 0
		.amdhsa_system_sgpr_workgroup_id_x 1
		.amdhsa_system_sgpr_workgroup_id_y 1
		.amdhsa_system_sgpr_workgroup_id_z 1
		.amdhsa_system_sgpr_workgroup_info 0
		.amdhsa_system_vgpr_workitem_id 1
		.amdhsa_next_free_vgpr 54
		.amdhsa_next_free_sgpr 40
		.amdhsa_reserve_vcc 1
		.amdhsa_float_round_mode_32 0
		.amdhsa_float_round_mode_16_64 0
		.amdhsa_float_denorm_mode_32 3
		.amdhsa_float_denorm_mode_16_64 3
		.amdhsa_dx10_clamp 1
		.amdhsa_ieee_mode 1
		.amdhsa_fp16_overflow 0
		.amdhsa_workgroup_processor_mode 1
		.amdhsa_memory_ordered 1
		.amdhsa_forward_progress 0
		.amdhsa_shared_vgpr_count 0
		.amdhsa_exception_fp_ieee_invalid_op 0
		.amdhsa_exception_fp_denorm_src 0
		.amdhsa_exception_fp_ieee_div_zero 0
		.amdhsa_exception_fp_ieee_overflow 0
		.amdhsa_exception_fp_ieee_underflow 0
		.amdhsa_exception_fp_ieee_inexact 0
		.amdhsa_exception_int_div_zero 0
	.end_amdhsa_kernel
	.section	.text._ZL37rocblas_syrkx_herkx_restricted_kernelIl19rocblas_complex_numIdELi16ELi32ELi8ELb0ELb0ELc67ELc85EKS1_S1_EviT_T0_PT8_S3_lS6_S3_lS4_PT9_S3_li,"axG",@progbits,_ZL37rocblas_syrkx_herkx_restricted_kernelIl19rocblas_complex_numIdELi16ELi32ELi8ELb0ELb0ELc67ELc85EKS1_S1_EviT_T0_PT8_S3_lS6_S3_lS4_PT9_S3_li,comdat
.Lfunc_end1191:
	.size	_ZL37rocblas_syrkx_herkx_restricted_kernelIl19rocblas_complex_numIdELi16ELi32ELi8ELb0ELb0ELc67ELc85EKS1_S1_EviT_T0_PT8_S3_lS6_S3_lS4_PT9_S3_li, .Lfunc_end1191-_ZL37rocblas_syrkx_herkx_restricted_kernelIl19rocblas_complex_numIdELi16ELi32ELi8ELb0ELb0ELc67ELc85EKS1_S1_EviT_T0_PT8_S3_lS6_S3_lS4_PT9_S3_li
                                        ; -- End function
	.section	.AMDGPU.csdata,"",@progbits
; Kernel info:
; codeLenInByte = 3672
; NumSgprs: 42
; NumVgprs: 54
; ScratchSize: 0
; MemoryBound: 0
; FloatMode: 240
; IeeeMode: 1
; LDSByteSize: 8192 bytes/workgroup (compile time only)
; SGPRBlocks: 5
; VGPRBlocks: 6
; NumSGPRsForWavesPerEU: 42
; NumVGPRsForWavesPerEU: 54
; Occupancy: 16
; WaveLimiterHint : 0
; COMPUTE_PGM_RSRC2:SCRATCH_EN: 0
; COMPUTE_PGM_RSRC2:USER_SGPR: 13
; COMPUTE_PGM_RSRC2:TRAP_HANDLER: 0
; COMPUTE_PGM_RSRC2:TGID_X_EN: 1
; COMPUTE_PGM_RSRC2:TGID_Y_EN: 1
; COMPUTE_PGM_RSRC2:TGID_Z_EN: 1
; COMPUTE_PGM_RSRC2:TIDIG_COMP_CNT: 1
	.section	.text._ZL37rocblas_syrkx_herkx_restricted_kernelIl19rocblas_complex_numIdELi16ELi32ELi8ELb0ELb0ELc78ELc85EKS1_S1_EviT_T0_PT8_S3_lS6_S3_lS4_PT9_S3_li,"axG",@progbits,_ZL37rocblas_syrkx_herkx_restricted_kernelIl19rocblas_complex_numIdELi16ELi32ELi8ELb0ELb0ELc78ELc85EKS1_S1_EviT_T0_PT8_S3_lS6_S3_lS4_PT9_S3_li,comdat
	.globl	_ZL37rocblas_syrkx_herkx_restricted_kernelIl19rocblas_complex_numIdELi16ELi32ELi8ELb0ELb0ELc78ELc85EKS1_S1_EviT_T0_PT8_S3_lS6_S3_lS4_PT9_S3_li ; -- Begin function _ZL37rocblas_syrkx_herkx_restricted_kernelIl19rocblas_complex_numIdELi16ELi32ELi8ELb0ELb0ELc78ELc85EKS1_S1_EviT_T0_PT8_S3_lS6_S3_lS4_PT9_S3_li
	.p2align	8
	.type	_ZL37rocblas_syrkx_herkx_restricted_kernelIl19rocblas_complex_numIdELi16ELi32ELi8ELb0ELb0ELc78ELc85EKS1_S1_EviT_T0_PT8_S3_lS6_S3_lS4_PT9_S3_li,@function
_ZL37rocblas_syrkx_herkx_restricted_kernelIl19rocblas_complex_numIdELi16ELi32ELi8ELb0ELb0ELc78ELc85EKS1_S1_EviT_T0_PT8_S3_lS6_S3_lS4_PT9_S3_li: ; @_ZL37rocblas_syrkx_herkx_restricted_kernelIl19rocblas_complex_numIdELi16ELi32ELi8ELb0ELb0ELc78ELc85EKS1_S1_EviT_T0_PT8_S3_lS6_S3_lS4_PT9_S3_li
; %bb.0:
	s_clause 0x2
	s_load_b512 s[16:31], s[0:1], 0x8
	s_load_b128 s[36:39], s[0:1], 0x68
	s_load_b256 s[4:11], s[0:1], 0x48
	v_mov_b32_e32 v16, 0
	v_dual_mov_b32 v17, 0 :: v_dual_and_b32 v20, 0x3ff, v0
	v_bfe_u32 v21, v0, 10, 10
	s_delay_alu instid0(VALU_DEP_3) | instskip(NEXT) | instid1(VALU_DEP_3)
	v_mov_b32_e32 v6, v16
	v_dual_mov_b32 v10, v16 :: v_dual_mov_b32 v11, v17
	v_dual_mov_b32 v19, v17 :: v_dual_mov_b32 v18, v16
	;; [unrolled: 1-line block ×6, first 2 shown]
	v_mov_b32_e32 v5, v17
	s_waitcnt lgkmcnt(0)
	v_cmp_lt_i64_e64 s2, s[16:17], 1
	s_lshl_b32 s33, s13, 5
	s_lshl_b32 s14, s14, 5
	s_delay_alu instid0(VALU_DEP_1)
	s_and_b32 vcc_lo, exec_lo, s2
	s_cbranch_vccnz .LBB1192_3
; %bb.1:
	v_lshl_add_u32 v1, v21, 4, v20
	v_and_b32_e32 v10, 7, v20
	s_mul_i32 s3, s27, s15
	s_mul_hi_u32 s12, s26, s15
	s_mul_i32 s2, s26, s15
	v_dual_mov_b32 v4, 0 :: v_dual_and_b32 v9, 31, v1
	v_lshrrev_b32_e32 v11, 3, v1
	v_mov_b32_e32 v5, 0
	v_lshrrev_b32_e32 v12, 5, v1
	s_delay_alu instid0(VALU_DEP_4) | instskip(SKIP_1) | instid1(VALU_DEP_3)
	v_add_nc_u32_e32 v0, s33, v9
	s_add_i32 s3, s12, s3
	v_dual_mov_b32 v15, v5 :: v_dual_add_nc_u32 v2, s14, v11
	s_lshl_b64 s[2:3], s[2:3], 4
	s_delay_alu instid0(VALU_DEP_2) | instskip(SKIP_1) | instid1(VALU_DEP_2)
	v_ashrrev_i32_e32 v1, 31, v0
	s_mul_i32 s5, s5, s15
	v_ashrrev_i32_e32 v3, 31, v2
	s_mul_hi_u32 s13, s4, s15
	s_add_u32 s12, s22, s2
	v_mad_u64_u32 v[6:7], null, v12, s24, v[0:1]
	s_delay_alu instid0(VALU_DEP_2) | instskip(SKIP_4) | instid1(VALU_DEP_2)
	v_mad_u64_u32 v[0:1], null, v10, s30, v[2:3]
	s_mul_i32 s4, s4, s15
	s_addc_u32 s22, s23, s3
	s_add_i32 s5, s13, s5
	s_lshl_b64 s[2:3], s[24:25], 7
	v_dual_mov_b32 v2, v7 :: v_dual_lshlrev_b32 v13, 4, v10
	s_lshl_b64 s[4:5], s[4:5], 4
	v_mov_b32_e32 v14, v4
	s_add_u32 s4, s28, s4
	s_delay_alu instid0(VALU_DEP_2)
	v_mad_u64_u32 v[7:8], null, v12, s25, v[2:3]
	v_mad_u64_u32 v[2:3], null, v10, s31, v[1:2]
	v_lshlrev_b32_e32 v22, 4, v20
	s_addc_u32 s5, s29, s5
	v_lshlrev_b32_e32 v8, 4, v9
	v_lshl_or_b32 v9, v11, 7, v13
	v_dual_mov_b32 v11, v5 :: v_dual_mov_b32 v10, v4
	v_mov_b32_e32 v19, v5
	v_mov_b32_e32 v1, v2
	v_lshlrev_b64 v[2:3], 4, v[6:7]
	v_lshl_or_b32 v24, v12, 9, v8
	v_dual_mov_b32 v13, v5 :: v_dual_mov_b32 v12, v4
	s_delay_alu instid0(VALU_DEP_4) | instskip(SKIP_3) | instid1(VALU_DEP_4)
	v_lshlrev_b64 v[0:1], 4, v[0:1]
	v_add_nc_u32_e32 v25, 0x1000, v9
	v_add_co_u32 v2, vcc_lo, s12, v2
	v_add_co_ci_u32_e32 v3, vcc_lo, s22, v3, vcc_lo
	v_add_co_u32 v6, vcc_lo, s4, v0
	v_add_co_ci_u32_e32 v7, vcc_lo, s5, v1, vcc_lo
	s_delay_alu instid0(VALU_DEP_4) | instskip(NEXT) | instid1(VALU_DEP_4)
	v_add_co_u32 v0, vcc_lo, v2, 8
	v_add_co_ci_u32_e32 v1, vcc_lo, 0, v3, vcc_lo
	s_delay_alu instid0(VALU_DEP_4) | instskip(NEXT) | instid1(VALU_DEP_4)
	v_add_co_u32 v2, vcc_lo, v6, 8
	v_add_co_ci_u32_e32 v3, vcc_lo, 0, v7, vcc_lo
	v_mov_b32_e32 v7, v5
	v_dual_mov_b32 v9, v5 :: v_dual_mov_b32 v8, v4
	v_dual_mov_b32 v6, v4 :: v_dual_mov_b32 v17, v5
	v_lshl_add_u32 v23, v21, 7, 0x1000
	v_mov_b32_e32 v18, v4
	v_mov_b32_e32 v16, v4
	s_lshl_b64 s[4:5], s[30:31], 7
	s_mov_b64 s[12:13], 0
.LBB1192_2:                             ; =>This Inner Loop Header: Depth=1
	global_load_b128 v[26:29], v[0:1], off offset:-8
	s_add_u32 s12, s12, 8
	s_addc_u32 s13, s13, 0
	v_add_co_u32 v0, vcc_lo, v0, s2
	v_add_co_ci_u32_e32 v1, vcc_lo, s3, v1, vcc_lo
	v_cmp_ge_u64_e64 s22, s[12:13], s[16:17]
	s_waitcnt vmcnt(0)
	ds_store_b128 v24, v[26:29]
	global_load_b128 v[26:29], v[2:3], off offset:-8
	v_add_co_u32 v2, vcc_lo, v2, s4
	v_add_co_ci_u32_e32 v3, vcc_lo, s5, v3, vcc_lo
	s_and_b32 vcc_lo, exec_lo, s22
	s_waitcnt vmcnt(0)
	ds_store_b128 v25, v[26:29]
	s_waitcnt lgkmcnt(0)
	s_barrier
	buffer_gl0_inv
	ds_load_b128 v[26:29], v23
	ds_load_b128 v[30:33], v23 offset:16
	ds_load_b128 v[34:37], v23 offset:32
	ds_load_b128 v[38:41], v23 offset:48
	ds_load_b128 v[42:45], v22
	s_waitcnt lgkmcnt(0)
	v_mul_f64 v[46:47], v[28:29], v[44:45]
	v_mul_f64 v[48:49], v[26:27], v[44:45]
	s_delay_alu instid0(VALU_DEP_2) | instskip(NEXT) | instid1(VALU_DEP_2)
	v_fma_f64 v[46:47], v[26:27], v[42:43], -v[46:47]
	v_fma_f64 v[48:49], v[28:29], v[42:43], v[48:49]
	s_delay_alu instid0(VALU_DEP_2) | instskip(NEXT) | instid1(VALU_DEP_2)
	v_add_f64 v[46:47], v[16:17], v[46:47]
	v_add_f64 v[48:49], v[18:19], v[48:49]
	ds_load_b128 v[16:19], v22 offset:256
	s_waitcnt lgkmcnt(0)
	v_mul_f64 v[50:51], v[28:29], v[18:19]
	s_delay_alu instid0(VALU_DEP_1) | instskip(SKIP_1) | instid1(VALU_DEP_2)
	v_fma_f64 v[50:51], v[26:27], v[16:17], -v[50:51]
	v_mul_f64 v[26:27], v[26:27], v[18:19]
	v_add_f64 v[50:51], v[6:7], v[50:51]
	s_delay_alu instid0(VALU_DEP_2) | instskip(NEXT) | instid1(VALU_DEP_1)
	v_fma_f64 v[26:27], v[28:29], v[16:17], v[26:27]
	v_add_f64 v[52:53], v[10:11], v[26:27]
	ds_load_b128 v[26:29], v23 offset:2048
	s_waitcnt lgkmcnt(0)
	v_mul_f64 v[6:7], v[28:29], v[44:45]
	v_mul_f64 v[10:11], v[26:27], v[44:45]
	s_delay_alu instid0(VALU_DEP_2) | instskip(NEXT) | instid1(VALU_DEP_2)
	v_fma_f64 v[6:7], v[26:27], v[42:43], -v[6:7]
	v_fma_f64 v[10:11], v[28:29], v[42:43], v[10:11]
	s_delay_alu instid0(VALU_DEP_2) | instskip(NEXT) | instid1(VALU_DEP_2)
	v_add_f64 v[42:43], v[12:13], v[6:7]
	v_add_f64 v[44:45], v[14:15], v[10:11]
	v_mul_f64 v[6:7], v[28:29], v[18:19]
	v_mul_f64 v[10:11], v[26:27], v[18:19]
	s_delay_alu instid0(VALU_DEP_2) | instskip(NEXT) | instid1(VALU_DEP_2)
	v_fma_f64 v[6:7], v[26:27], v[16:17], -v[6:7]
	v_fma_f64 v[10:11], v[28:29], v[16:17], v[10:11]
	s_delay_alu instid0(VALU_DEP_2) | instskip(NEXT) | instid1(VALU_DEP_2)
	v_add_f64 v[16:17], v[8:9], v[6:7]
	v_add_f64 v[18:19], v[4:5], v[10:11]
	ds_load_b128 v[4:7], v22 offset:512
	s_waitcnt lgkmcnt(0)
	v_mul_f64 v[8:9], v[32:33], v[6:7]
	v_mul_f64 v[10:11], v[30:31], v[6:7]
	s_delay_alu instid0(VALU_DEP_2) | instskip(NEXT) | instid1(VALU_DEP_2)
	v_fma_f64 v[8:9], v[30:31], v[4:5], -v[8:9]
	v_fma_f64 v[10:11], v[32:33], v[4:5], v[10:11]
	s_delay_alu instid0(VALU_DEP_2) | instskip(NEXT) | instid1(VALU_DEP_2)
	v_add_f64 v[26:27], v[46:47], v[8:9]
	v_add_f64 v[28:29], v[48:49], v[10:11]
	ds_load_b128 v[8:11], v22 offset:768
	s_waitcnt lgkmcnt(0)
	;; [unrolled: 10-line block ×3, first 2 shown]
	v_mul_f64 v[46:47], v[14:15], v[6:7]
	v_mul_f64 v[6:7], v[12:13], v[6:7]
	s_delay_alu instid0(VALU_DEP_2) | instskip(NEXT) | instid1(VALU_DEP_2)
	v_fma_f64 v[46:47], v[12:13], v[4:5], -v[46:47]
	v_fma_f64 v[4:5], v[14:15], v[4:5], v[6:7]
	v_mul_f64 v[6:7], v[12:13], v[10:11]
	s_delay_alu instid0(VALU_DEP_3) | instskip(NEXT) | instid1(VALU_DEP_3)
	v_add_f64 v[42:43], v[42:43], v[46:47]
	v_add_f64 v[44:45], v[44:45], v[4:5]
	v_mul_f64 v[4:5], v[14:15], v[10:11]
	s_delay_alu instid0(VALU_DEP_4) | instskip(NEXT) | instid1(VALU_DEP_2)
	v_fma_f64 v[6:7], v[14:15], v[8:9], v[6:7]
	v_fma_f64 v[4:5], v[12:13], v[8:9], -v[4:5]
	s_delay_alu instid0(VALU_DEP_2) | instskip(NEXT) | instid1(VALU_DEP_2)
	v_add_f64 v[18:19], v[18:19], v[6:7]
	v_add_f64 v[16:17], v[16:17], v[4:5]
	ds_load_b128 v[4:7], v22 offset:1024
	s_waitcnt lgkmcnt(0)
	v_mul_f64 v[8:9], v[36:37], v[6:7]
	v_mul_f64 v[10:11], v[34:35], v[6:7]
	s_delay_alu instid0(VALU_DEP_2) | instskip(NEXT) | instid1(VALU_DEP_2)
	v_fma_f64 v[8:9], v[34:35], v[4:5], -v[8:9]
	v_fma_f64 v[10:11], v[36:37], v[4:5], v[10:11]
	s_delay_alu instid0(VALU_DEP_2) | instskip(NEXT) | instid1(VALU_DEP_2)
	v_add_f64 v[26:27], v[26:27], v[8:9]
	v_add_f64 v[28:29], v[28:29], v[10:11]
	ds_load_b128 v[8:11], v22 offset:1280
	s_waitcnt lgkmcnt(0)
	v_mul_f64 v[12:13], v[36:37], v[10:11]
	v_mul_f64 v[14:15], v[34:35], v[10:11]
	s_delay_alu instid0(VALU_DEP_2) | instskip(NEXT) | instid1(VALU_DEP_2)
	v_fma_f64 v[12:13], v[34:35], v[8:9], -v[12:13]
	v_fma_f64 v[14:15], v[36:37], v[8:9], v[14:15]
	;; [unrolled: 10-line block ×3, first 2 shown]
	v_mul_f64 v[6:7], v[12:13], v[10:11]
	s_delay_alu instid0(VALU_DEP_3) | instskip(NEXT) | instid1(VALU_DEP_3)
	v_add_f64 v[34:35], v[42:43], v[34:35]
	v_add_f64 v[36:37], v[44:45], v[4:5]
	v_mul_f64 v[4:5], v[14:15], v[10:11]
	s_delay_alu instid0(VALU_DEP_4) | instskip(NEXT) | instid1(VALU_DEP_2)
	v_fma_f64 v[6:7], v[14:15], v[8:9], v[6:7]
	v_fma_f64 v[4:5], v[12:13], v[8:9], -v[4:5]
	s_delay_alu instid0(VALU_DEP_2) | instskip(NEXT) | instid1(VALU_DEP_2)
	v_add_f64 v[18:19], v[18:19], v[6:7]
	v_add_f64 v[16:17], v[16:17], v[4:5]
	ds_load_b128 v[4:7], v22 offset:1536
	s_waitcnt lgkmcnt(0)
	v_mul_f64 v[8:9], v[40:41], v[6:7]
	v_mul_f64 v[10:11], v[38:39], v[6:7]
	s_delay_alu instid0(VALU_DEP_2) | instskip(NEXT) | instid1(VALU_DEP_2)
	v_fma_f64 v[8:9], v[38:39], v[4:5], -v[8:9]
	v_fma_f64 v[10:11], v[40:41], v[4:5], v[10:11]
	s_delay_alu instid0(VALU_DEP_2) | instskip(NEXT) | instid1(VALU_DEP_2)
	v_add_f64 v[26:27], v[26:27], v[8:9]
	v_add_f64 v[28:29], v[28:29], v[10:11]
	ds_load_b128 v[8:11], v22 offset:1792
	s_waitcnt lgkmcnt(0)
	v_mul_f64 v[12:13], v[40:41], v[10:11]
	v_mul_f64 v[14:15], v[38:39], v[10:11]
	s_delay_alu instid0(VALU_DEP_2) | instskip(NEXT) | instid1(VALU_DEP_2)
	v_fma_f64 v[12:13], v[38:39], v[8:9], -v[12:13]
	v_fma_f64 v[14:15], v[40:41], v[8:9], v[14:15]
	;; [unrolled: 10-line block ×3, first 2 shown]
	v_mul_f64 v[6:7], v[12:13], v[10:11]
	s_delay_alu instid0(VALU_DEP_3) | instskip(NEXT) | instid1(VALU_DEP_3)
	v_add_f64 v[34:35], v[34:35], v[38:39]
	v_add_f64 v[36:37], v[36:37], v[4:5]
	v_mul_f64 v[4:5], v[14:15], v[10:11]
	s_delay_alu instid0(VALU_DEP_4) | instskip(NEXT) | instid1(VALU_DEP_2)
	v_fma_f64 v[6:7], v[14:15], v[8:9], v[6:7]
	v_fma_f64 v[4:5], v[12:13], v[8:9], -v[4:5]
	s_delay_alu instid0(VALU_DEP_2) | instskip(NEXT) | instid1(VALU_DEP_2)
	v_add_f64 v[18:19], v[18:19], v[6:7]
	v_add_f64 v[16:17], v[16:17], v[4:5]
	ds_load_b128 v[4:7], v23 offset:64
	ds_load_b128 v[8:11], v22 offset:2048
	s_waitcnt lgkmcnt(0)
	v_mul_f64 v[12:13], v[6:7], v[10:11]
	v_mul_f64 v[14:15], v[4:5], v[10:11]
	s_delay_alu instid0(VALU_DEP_2) | instskip(NEXT) | instid1(VALU_DEP_2)
	v_fma_f64 v[12:13], v[4:5], v[8:9], -v[12:13]
	v_fma_f64 v[14:15], v[6:7], v[8:9], v[14:15]
	s_delay_alu instid0(VALU_DEP_2) | instskip(NEXT) | instid1(VALU_DEP_2)
	v_add_f64 v[26:27], v[26:27], v[12:13]
	v_add_f64 v[28:29], v[28:29], v[14:15]
	ds_load_b128 v[12:15], v22 offset:2304
	s_waitcnt lgkmcnt(0)
	v_mul_f64 v[38:39], v[6:7], v[14:15]
	s_delay_alu instid0(VALU_DEP_1) | instskip(SKIP_1) | instid1(VALU_DEP_2)
	v_fma_f64 v[38:39], v[4:5], v[12:13], -v[38:39]
	v_mul_f64 v[4:5], v[4:5], v[14:15]
	v_add_f64 v[30:31], v[30:31], v[38:39]
	s_delay_alu instid0(VALU_DEP_2) | instskip(NEXT) | instid1(VALU_DEP_1)
	v_fma_f64 v[4:5], v[6:7], v[12:13], v[4:5]
	v_add_f64 v[32:33], v[32:33], v[4:5]
	ds_load_b128 v[4:7], v23 offset:2112
	s_waitcnt lgkmcnt(0)
	v_mul_f64 v[38:39], v[6:7], v[10:11]
	v_mul_f64 v[10:11], v[4:5], v[10:11]
	s_delay_alu instid0(VALU_DEP_2) | instskip(NEXT) | instid1(VALU_DEP_2)
	v_fma_f64 v[38:39], v[4:5], v[8:9], -v[38:39]
	v_fma_f64 v[8:9], v[6:7], v[8:9], v[10:11]
	s_delay_alu instid0(VALU_DEP_2) | instskip(NEXT) | instid1(VALU_DEP_2)
	v_add_f64 v[34:35], v[34:35], v[38:39]
	v_add_f64 v[36:37], v[36:37], v[8:9]
	v_mul_f64 v[8:9], v[6:7], v[14:15]
	s_delay_alu instid0(VALU_DEP_1) | instskip(SKIP_1) | instid1(VALU_DEP_2)
	v_fma_f64 v[8:9], v[4:5], v[12:13], -v[8:9]
	v_mul_f64 v[4:5], v[4:5], v[14:15]
	v_add_f64 v[16:17], v[16:17], v[8:9]
	s_delay_alu instid0(VALU_DEP_2) | instskip(NEXT) | instid1(VALU_DEP_1)
	v_fma_f64 v[4:5], v[6:7], v[12:13], v[4:5]
	v_add_f64 v[18:19], v[18:19], v[4:5]
	ds_load_b128 v[4:7], v23 offset:80
	ds_load_b128 v[8:11], v22 offset:2560
	s_waitcnt lgkmcnt(0)
	v_mul_f64 v[12:13], v[6:7], v[10:11]
	v_mul_f64 v[14:15], v[4:5], v[10:11]
	s_delay_alu instid0(VALU_DEP_2) | instskip(NEXT) | instid1(VALU_DEP_2)
	v_fma_f64 v[12:13], v[4:5], v[8:9], -v[12:13]
	v_fma_f64 v[14:15], v[6:7], v[8:9], v[14:15]
	s_delay_alu instid0(VALU_DEP_2) | instskip(NEXT) | instid1(VALU_DEP_2)
	v_add_f64 v[26:27], v[26:27], v[12:13]
	v_add_f64 v[28:29], v[28:29], v[14:15]
	ds_load_b128 v[12:15], v22 offset:2816
	s_waitcnt lgkmcnt(0)
	v_mul_f64 v[38:39], v[6:7], v[14:15]
	s_delay_alu instid0(VALU_DEP_1) | instskip(SKIP_1) | instid1(VALU_DEP_2)
	v_fma_f64 v[38:39], v[4:5], v[12:13], -v[38:39]
	v_mul_f64 v[4:5], v[4:5], v[14:15]
	v_add_f64 v[30:31], v[30:31], v[38:39]
	s_delay_alu instid0(VALU_DEP_2) | instskip(NEXT) | instid1(VALU_DEP_1)
	v_fma_f64 v[4:5], v[6:7], v[12:13], v[4:5]
	v_add_f64 v[32:33], v[32:33], v[4:5]
	ds_load_b128 v[4:7], v23 offset:2128
	s_waitcnt lgkmcnt(0)
	v_mul_f64 v[38:39], v[6:7], v[10:11]
	v_mul_f64 v[10:11], v[4:5], v[10:11]
	s_delay_alu instid0(VALU_DEP_2) | instskip(NEXT) | instid1(VALU_DEP_2)
	v_fma_f64 v[38:39], v[4:5], v[8:9], -v[38:39]
	v_fma_f64 v[8:9], v[6:7], v[8:9], v[10:11]
	s_delay_alu instid0(VALU_DEP_2) | instskip(NEXT) | instid1(VALU_DEP_2)
	v_add_f64 v[34:35], v[34:35], v[38:39]
	v_add_f64 v[36:37], v[36:37], v[8:9]
	v_mul_f64 v[8:9], v[6:7], v[14:15]
	s_delay_alu instid0(VALU_DEP_1) | instskip(SKIP_1) | instid1(VALU_DEP_2)
	v_fma_f64 v[8:9], v[4:5], v[12:13], -v[8:9]
	v_mul_f64 v[4:5], v[4:5], v[14:15]
	v_add_f64 v[16:17], v[16:17], v[8:9]
	s_delay_alu instid0(VALU_DEP_2) | instskip(NEXT) | instid1(VALU_DEP_1)
	v_fma_f64 v[4:5], v[6:7], v[12:13], v[4:5]
	v_add_f64 v[18:19], v[18:19], v[4:5]
	ds_load_b128 v[4:7], v23 offset:96
	ds_load_b128 v[8:11], v22 offset:3072
	s_waitcnt lgkmcnt(0)
	v_mul_f64 v[12:13], v[6:7], v[10:11]
	v_mul_f64 v[14:15], v[4:5], v[10:11]
	s_delay_alu instid0(VALU_DEP_2) | instskip(NEXT) | instid1(VALU_DEP_2)
	v_fma_f64 v[12:13], v[4:5], v[8:9], -v[12:13]
	v_fma_f64 v[14:15], v[6:7], v[8:9], v[14:15]
	s_delay_alu instid0(VALU_DEP_2) | instskip(NEXT) | instid1(VALU_DEP_2)
	v_add_f64 v[26:27], v[26:27], v[12:13]
	v_add_f64 v[28:29], v[28:29], v[14:15]
	ds_load_b128 v[12:15], v22 offset:3328
	s_waitcnt lgkmcnt(0)
	v_mul_f64 v[38:39], v[6:7], v[14:15]
	s_delay_alu instid0(VALU_DEP_1) | instskip(SKIP_1) | instid1(VALU_DEP_2)
	v_fma_f64 v[38:39], v[4:5], v[12:13], -v[38:39]
	v_mul_f64 v[4:5], v[4:5], v[14:15]
	v_add_f64 v[30:31], v[30:31], v[38:39]
	s_delay_alu instid0(VALU_DEP_2) | instskip(NEXT) | instid1(VALU_DEP_1)
	v_fma_f64 v[4:5], v[6:7], v[12:13], v[4:5]
	v_add_f64 v[32:33], v[32:33], v[4:5]
	ds_load_b128 v[4:7], v23 offset:2144
	s_waitcnt lgkmcnt(0)
	v_mul_f64 v[38:39], v[6:7], v[10:11]
	v_mul_f64 v[10:11], v[4:5], v[10:11]
	s_delay_alu instid0(VALU_DEP_2) | instskip(NEXT) | instid1(VALU_DEP_2)
	v_fma_f64 v[38:39], v[4:5], v[8:9], -v[38:39]
	v_fma_f64 v[8:9], v[6:7], v[8:9], v[10:11]
	v_mul_f64 v[10:11], v[6:7], v[14:15]
	s_delay_alu instid0(VALU_DEP_3) | instskip(NEXT) | instid1(VALU_DEP_3)
	v_add_f64 v[34:35], v[34:35], v[38:39]
	v_add_f64 v[8:9], v[36:37], v[8:9]
	s_delay_alu instid0(VALU_DEP_3) | instskip(SKIP_1) | instid1(VALU_DEP_2)
	v_fma_f64 v[10:11], v[4:5], v[12:13], -v[10:11]
	v_mul_f64 v[4:5], v[4:5], v[14:15]
	v_add_f64 v[36:37], v[16:17], v[10:11]
	s_delay_alu instid0(VALU_DEP_2) | instskip(NEXT) | instid1(VALU_DEP_1)
	v_fma_f64 v[4:5], v[6:7], v[12:13], v[4:5]
	v_add_f64 v[38:39], v[18:19], v[4:5]
	ds_load_b128 v[4:7], v23 offset:112
	ds_load_b128 v[12:15], v22 offset:3584
	s_waitcnt lgkmcnt(0)
	v_mul_f64 v[10:11], v[6:7], v[14:15]
	v_mul_f64 v[16:17], v[4:5], v[14:15]
	s_delay_alu instid0(VALU_DEP_2) | instskip(NEXT) | instid1(VALU_DEP_2)
	v_fma_f64 v[10:11], v[4:5], v[12:13], -v[10:11]
	v_fma_f64 v[18:19], v[6:7], v[12:13], v[16:17]
	s_delay_alu instid0(VALU_DEP_2) | instskip(NEXT) | instid1(VALU_DEP_2)
	v_add_f64 v[16:17], v[26:27], v[10:11]
	v_add_f64 v[18:19], v[28:29], v[18:19]
	ds_load_b128 v[26:29], v22 offset:3840
	s_waitcnt lgkmcnt(0)
	v_mul_f64 v[10:11], v[6:7], v[28:29]
	s_delay_alu instid0(VALU_DEP_1) | instskip(SKIP_1) | instid1(VALU_DEP_1)
	v_fma_f64 v[10:11], v[4:5], v[26:27], -v[10:11]
	v_mul_f64 v[4:5], v[4:5], v[28:29]
	v_fma_f64 v[4:5], v[6:7], v[26:27], v[4:5]
	s_delay_alu instid0(VALU_DEP_3) | instskip(NEXT) | instid1(VALU_DEP_2)
	v_add_f64 v[6:7], v[30:31], v[10:11]
	v_add_f64 v[10:11], v[32:33], v[4:5]
	ds_load_b128 v[30:33], v23 offset:2160
	s_waitcnt lgkmcnt(0)
	s_barrier
	buffer_gl0_inv
	v_mul_f64 v[4:5], v[32:33], v[14:15]
	v_mul_f64 v[14:15], v[30:31], v[14:15]
	s_delay_alu instid0(VALU_DEP_2) | instskip(NEXT) | instid1(VALU_DEP_2)
	v_fma_f64 v[4:5], v[30:31], v[12:13], -v[4:5]
	v_fma_f64 v[14:15], v[32:33], v[12:13], v[14:15]
	s_delay_alu instid0(VALU_DEP_2) | instskip(NEXT) | instid1(VALU_DEP_2)
	v_add_f64 v[12:13], v[34:35], v[4:5]
	v_add_f64 v[14:15], v[8:9], v[14:15]
	v_mul_f64 v[4:5], v[32:33], v[28:29]
	v_mul_f64 v[8:9], v[30:31], v[28:29]
	s_delay_alu instid0(VALU_DEP_2) | instskip(NEXT) | instid1(VALU_DEP_2)
	v_fma_f64 v[4:5], v[30:31], v[26:27], -v[4:5]
	v_fma_f64 v[26:27], v[32:33], v[26:27], v[8:9]
	s_delay_alu instid0(VALU_DEP_2) | instskip(NEXT) | instid1(VALU_DEP_2)
	v_add_f64 v[8:9], v[36:37], v[4:5]
	v_add_f64 v[4:5], v[38:39], v[26:27]
	s_cbranch_vccz .LBB1192_2
.LBB1192_3:
	v_add_nc_u32_e32 v21, s14, v21
	s_load_b32 s2, s[0:1], 0x0
	s_mul_i32 s1, s15, s39
	s_mul_hi_u32 s3, s15, s38
	s_mul_i32 s0, s15, s38
	v_ashrrev_i32_e32 v0, 31, v21
	v_mul_lo_u32 v3, v21, s37
	v_mad_u64_u32 v[1:2], null, v21, s36, 0
	s_add_i32 s1, s3, s1
	s_delay_alu instid0(VALU_DEP_3) | instskip(SKIP_1) | instid1(SALU_CYCLE_1)
	v_mul_lo_u32 v0, v0, s36
	s_lshl_b64 s[4:5], s[0:1], 4
	s_add_u32 s3, s10, s4
	s_addc_u32 s4, s11, s5
	s_delay_alu instid0(VALU_DEP_1) | instskip(SKIP_3) | instid1(VALU_DEP_3)
	v_add3_u32 v2, v2, v3, v0
	v_add_nc_u32_e32 v0, s33, v20
	s_waitcnt lgkmcnt(0)
	v_cmp_gt_i32_e32 vcc_lo, s2, v21
	v_lshlrev_b64 v[1:2], 4, v[1:2]
	s_delay_alu instid0(VALU_DEP_3) | instskip(NEXT) | instid1(VALU_DEP_1)
	v_cmp_le_i32_e64 s0, v0, v21
	s_and_b32 s0, vcc_lo, s0
	s_delay_alu instid0(VALU_DEP_2) | instskip(NEXT) | instid1(VALU_DEP_1)
	v_add_co_u32 v20, s1, s3, v1
	v_add_co_ci_u32_e64 v22, s1, s4, v2, s1
	s_and_saveexec_b32 s1, s0
	s_cbranch_execz .LBB1192_5
; %bb.4:
	v_ashrrev_i32_e32 v1, 31, v0
	v_mul_f64 v[27:28], s[20:21], v[18:19]
	v_mul_f64 v[18:19], s[18:19], v[18:19]
	s_delay_alu instid0(VALU_DEP_3) | instskip(NEXT) | instid1(VALU_DEP_1)
	v_lshlrev_b64 v[1:2], 4, v[0:1]
	v_add_co_u32 v1, s0, v20, v1
	s_delay_alu instid0(VALU_DEP_1)
	v_add_co_ci_u32_e64 v2, s0, v22, v2, s0
	global_load_b128 v[23:26], v[1:2], off
	v_fma_f64 v[27:28], s[18:19], v[16:17], -v[27:28]
	v_fma_f64 v[18:19], s[20:21], v[16:17], v[18:19]
	s_waitcnt vmcnt(0)
	v_mul_f64 v[29:30], s[8:9], v[25:26]
	v_mul_f64 v[25:26], s[6:7], v[25:26]
	s_delay_alu instid0(VALU_DEP_2) | instskip(NEXT) | instid1(VALU_DEP_2)
	v_fma_f64 v[16:17], s[6:7], v[23:24], -v[29:30]
	v_fma_f64 v[23:24], s[8:9], v[23:24], v[25:26]
	s_delay_alu instid0(VALU_DEP_2) | instskip(NEXT) | instid1(VALU_DEP_2)
	v_add_f64 v[16:17], v[27:28], v[16:17]
	v_add_f64 v[18:19], v[18:19], v[23:24]
	global_store_b128 v[1:2], v[16:19], off
.LBB1192_5:
	s_or_b32 exec_lo, exec_lo, s1
	v_add_nc_u32_e32 v2, 16, v0
	s_delay_alu instid0(VALU_DEP_1) | instskip(NEXT) | instid1(VALU_DEP_1)
	v_cmp_le_i32_e64 s0, v2, v21
	s_and_b32 s1, vcc_lo, s0
	s_delay_alu instid0(SALU_CYCLE_1)
	s_and_saveexec_b32 s0, s1
	s_cbranch_execz .LBB1192_7
; %bb.6:
	v_ashrrev_i32_e32 v3, 31, v2
	v_mul_f64 v[25:26], s[20:21], v[10:11]
	v_mul_f64 v[10:11], s[18:19], v[10:11]
	s_delay_alu instid0(VALU_DEP_3) | instskip(NEXT) | instid1(VALU_DEP_1)
	v_lshlrev_b64 v[16:17], 4, v[2:3]
	v_add_co_u32 v23, vcc_lo, v20, v16
	s_delay_alu instid0(VALU_DEP_2)
	v_add_co_ci_u32_e32 v24, vcc_lo, v22, v17, vcc_lo
	global_load_b128 v[16:19], v[23:24], off
	v_fma_f64 v[25:26], s[18:19], v[6:7], -v[25:26]
	v_fma_f64 v[6:7], s[20:21], v[6:7], v[10:11]
	s_waitcnt vmcnt(0)
	v_mul_f64 v[27:28], s[8:9], v[18:19]
	v_mul_f64 v[18:19], s[6:7], v[18:19]
	s_delay_alu instid0(VALU_DEP_2) | instskip(NEXT) | instid1(VALU_DEP_2)
	v_fma_f64 v[10:11], s[6:7], v[16:17], -v[27:28]
	v_fma_f64 v[18:19], s[8:9], v[16:17], v[18:19]
	s_delay_alu instid0(VALU_DEP_2) | instskip(NEXT) | instid1(VALU_DEP_2)
	v_add_f64 v[16:17], v[25:26], v[10:11]
	v_add_f64 v[18:19], v[6:7], v[18:19]
	global_store_b128 v[23:24], v[16:19], off
.LBB1192_7:
	s_or_b32 exec_lo, exec_lo, s0
	v_add_nc_u32_e32 v3, 16, v21
	s_delay_alu instid0(VALU_DEP_1) | instskip(SKIP_3) | instid1(VALU_DEP_4)
	v_ashrrev_i32_e32 v1, 31, v3
	v_mul_lo_u32 v10, v3, s37
	v_mad_u64_u32 v[6:7], null, v3, s36, 0
	v_cmp_gt_i32_e32 vcc_lo, s2, v3
	v_mul_lo_u32 v1, v1, s36
	v_cmp_le_i32_e64 s0, v0, v3
	s_delay_alu instid0(VALU_DEP_1) | instskip(NEXT) | instid1(VALU_DEP_2)
	s_and_b32 s0, vcc_lo, s0
	v_add3_u32 v7, v7, v10, v1
	s_delay_alu instid0(VALU_DEP_1) | instskip(NEXT) | instid1(VALU_DEP_1)
	v_lshlrev_b64 v[6:7], 4, v[6:7]
	v_add_co_u32 v6, s1, s3, v6
	s_delay_alu instid0(VALU_DEP_1)
	v_add_co_ci_u32_e64 v7, s1, s4, v7, s1
	s_and_saveexec_b32 s1, s0
	s_cbranch_execz .LBB1192_9
; %bb.8:
	v_ashrrev_i32_e32 v1, 31, v0
	v_mul_f64 v[10:11], s[20:21], v[14:15]
	v_mul_f64 v[14:15], s[18:19], v[14:15]
	s_delay_alu instid0(VALU_DEP_3) | instskip(NEXT) | instid1(VALU_DEP_1)
	v_lshlrev_b64 v[0:1], 4, v[0:1]
	v_add_co_u32 v0, s0, v6, v0
	s_delay_alu instid0(VALU_DEP_1)
	v_add_co_ci_u32_e64 v1, s0, v7, v1, s0
	global_load_b128 v[16:19], v[0:1], off
	v_fma_f64 v[10:11], s[18:19], v[12:13], -v[10:11]
	v_fma_f64 v[12:13], s[20:21], v[12:13], v[14:15]
	s_waitcnt vmcnt(0)
	v_mul_f64 v[20:21], s[8:9], v[18:19]
	v_mul_f64 v[18:19], s[6:7], v[18:19]
	s_delay_alu instid0(VALU_DEP_2) | instskip(NEXT) | instid1(VALU_DEP_2)
	v_fma_f64 v[14:15], s[6:7], v[16:17], -v[20:21]
	v_fma_f64 v[16:17], s[8:9], v[16:17], v[18:19]
	s_delay_alu instid0(VALU_DEP_2) | instskip(NEXT) | instid1(VALU_DEP_2)
	v_add_f64 v[10:11], v[10:11], v[14:15]
	v_add_f64 v[12:13], v[12:13], v[16:17]
	global_store_b128 v[0:1], v[10:13], off
.LBB1192_9:
	s_or_b32 exec_lo, exec_lo, s1
	v_cmp_le_i32_e64 s0, v2, v3
	s_delay_alu instid0(VALU_DEP_1) | instskip(NEXT) | instid1(SALU_CYCLE_1)
	s_and_b32 s0, vcc_lo, s0
	s_and_saveexec_b32 s1, s0
	s_cbranch_execz .LBB1192_11
; %bb.10:
	v_ashrrev_i32_e32 v3, 31, v2
	v_mul_f64 v[10:11], s[20:21], v[4:5]
	v_mul_f64 v[4:5], s[18:19], v[4:5]
	s_delay_alu instid0(VALU_DEP_3) | instskip(NEXT) | instid1(VALU_DEP_1)
	v_lshlrev_b64 v[0:1], 4, v[2:3]
	v_add_co_u32 v6, vcc_lo, v6, v0
	s_delay_alu instid0(VALU_DEP_2)
	v_add_co_ci_u32_e32 v7, vcc_lo, v7, v1, vcc_lo
	global_load_b128 v[0:3], v[6:7], off
	v_fma_f64 v[10:11], s[18:19], v[8:9], -v[10:11]
	v_fma_f64 v[4:5], s[20:21], v[8:9], v[4:5]
	s_waitcnt vmcnt(0)
	v_mul_f64 v[12:13], s[8:9], v[2:3]
	v_mul_f64 v[2:3], s[6:7], v[2:3]
	s_delay_alu instid0(VALU_DEP_2) | instskip(NEXT) | instid1(VALU_DEP_2)
	v_fma_f64 v[8:9], s[6:7], v[0:1], -v[12:13]
	v_fma_f64 v[2:3], s[8:9], v[0:1], v[2:3]
	s_delay_alu instid0(VALU_DEP_2) | instskip(NEXT) | instid1(VALU_DEP_2)
	v_add_f64 v[0:1], v[10:11], v[8:9]
	v_add_f64 v[2:3], v[4:5], v[2:3]
	global_store_b128 v[6:7], v[0:3], off
.LBB1192_11:
	s_nop 0
	s_sendmsg sendmsg(MSG_DEALLOC_VGPRS)
	s_endpgm
	.section	.rodata,"a",@progbits
	.p2align	6, 0x0
	.amdhsa_kernel _ZL37rocblas_syrkx_herkx_restricted_kernelIl19rocblas_complex_numIdELi16ELi32ELi8ELb0ELb0ELc78ELc85EKS1_S1_EviT_T0_PT8_S3_lS6_S3_lS4_PT9_S3_li
		.amdhsa_group_segment_fixed_size 8192
		.amdhsa_private_segment_fixed_size 0
		.amdhsa_kernarg_size 124
		.amdhsa_user_sgpr_count 13
		.amdhsa_user_sgpr_dispatch_ptr 0
		.amdhsa_user_sgpr_queue_ptr 0
		.amdhsa_user_sgpr_kernarg_segment_ptr 1
		.amdhsa_user_sgpr_dispatch_id 0
		.amdhsa_user_sgpr_private_segment_size 0
		.amdhsa_wavefront_size32 1
		.amdhsa_uses_dynamic_stack 0
		.amdhsa_enable_private_segment 0
		.amdhsa_system_sgpr_workgroup_id_x 1
		.amdhsa_system_sgpr_workgroup_id_y 1
		.amdhsa_system_sgpr_workgroup_id_z 1
		.amdhsa_system_sgpr_workgroup_info 0
		.amdhsa_system_vgpr_workitem_id 1
		.amdhsa_next_free_vgpr 54
		.amdhsa_next_free_sgpr 40
		.amdhsa_reserve_vcc 1
		.amdhsa_float_round_mode_32 0
		.amdhsa_float_round_mode_16_64 0
		.amdhsa_float_denorm_mode_32 3
		.amdhsa_float_denorm_mode_16_64 3
		.amdhsa_dx10_clamp 1
		.amdhsa_ieee_mode 1
		.amdhsa_fp16_overflow 0
		.amdhsa_workgroup_processor_mode 1
		.amdhsa_memory_ordered 1
		.amdhsa_forward_progress 0
		.amdhsa_shared_vgpr_count 0
		.amdhsa_exception_fp_ieee_invalid_op 0
		.amdhsa_exception_fp_denorm_src 0
		.amdhsa_exception_fp_ieee_div_zero 0
		.amdhsa_exception_fp_ieee_overflow 0
		.amdhsa_exception_fp_ieee_underflow 0
		.amdhsa_exception_fp_ieee_inexact 0
		.amdhsa_exception_int_div_zero 0
	.end_amdhsa_kernel
	.section	.text._ZL37rocblas_syrkx_herkx_restricted_kernelIl19rocblas_complex_numIdELi16ELi32ELi8ELb0ELb0ELc78ELc85EKS1_S1_EviT_T0_PT8_S3_lS6_S3_lS4_PT9_S3_li,"axG",@progbits,_ZL37rocblas_syrkx_herkx_restricted_kernelIl19rocblas_complex_numIdELi16ELi32ELi8ELb0ELb0ELc78ELc85EKS1_S1_EviT_T0_PT8_S3_lS6_S3_lS4_PT9_S3_li,comdat
.Lfunc_end1192:
	.size	_ZL37rocblas_syrkx_herkx_restricted_kernelIl19rocblas_complex_numIdELi16ELi32ELi8ELb0ELb0ELc78ELc85EKS1_S1_EviT_T0_PT8_S3_lS6_S3_lS4_PT9_S3_li, .Lfunc_end1192-_ZL37rocblas_syrkx_herkx_restricted_kernelIl19rocblas_complex_numIdELi16ELi32ELi8ELb0ELb0ELc78ELc85EKS1_S1_EviT_T0_PT8_S3_lS6_S3_lS4_PT9_S3_li
                                        ; -- End function
	.section	.AMDGPU.csdata,"",@progbits
; Kernel info:
; codeLenInByte = 3656
; NumSgprs: 42
; NumVgprs: 54
; ScratchSize: 0
; MemoryBound: 0
; FloatMode: 240
; IeeeMode: 1
; LDSByteSize: 8192 bytes/workgroup (compile time only)
; SGPRBlocks: 5
; VGPRBlocks: 6
; NumSGPRsForWavesPerEU: 42
; NumVGPRsForWavesPerEU: 54
; Occupancy: 16
; WaveLimiterHint : 0
; COMPUTE_PGM_RSRC2:SCRATCH_EN: 0
; COMPUTE_PGM_RSRC2:USER_SGPR: 13
; COMPUTE_PGM_RSRC2:TRAP_HANDLER: 0
; COMPUTE_PGM_RSRC2:TGID_X_EN: 1
; COMPUTE_PGM_RSRC2:TGID_Y_EN: 1
; COMPUTE_PGM_RSRC2:TGID_Z_EN: 1
; COMPUTE_PGM_RSRC2:TIDIG_COMP_CNT: 1
	.section	.text._ZL41rocblas_syrkx_herkx_small_restrict_kernelIl19rocblas_complex_numIdELi16ELb1ELb0ELc84ELc76EKS1_S1_EviT_T0_PT6_S3_lS6_S3_lS4_PT7_S3_li,"axG",@progbits,_ZL41rocblas_syrkx_herkx_small_restrict_kernelIl19rocblas_complex_numIdELi16ELb1ELb0ELc84ELc76EKS1_S1_EviT_T0_PT6_S3_lS6_S3_lS4_PT7_S3_li,comdat
	.globl	_ZL41rocblas_syrkx_herkx_small_restrict_kernelIl19rocblas_complex_numIdELi16ELb1ELb0ELc84ELc76EKS1_S1_EviT_T0_PT6_S3_lS6_S3_lS4_PT7_S3_li ; -- Begin function _ZL41rocblas_syrkx_herkx_small_restrict_kernelIl19rocblas_complex_numIdELi16ELb1ELb0ELc84ELc76EKS1_S1_EviT_T0_PT6_S3_lS6_S3_lS4_PT7_S3_li
	.p2align	8
	.type	_ZL41rocblas_syrkx_herkx_small_restrict_kernelIl19rocblas_complex_numIdELi16ELb1ELb0ELc84ELc76EKS1_S1_EviT_T0_PT6_S3_lS6_S3_lS4_PT7_S3_li,@function
_ZL41rocblas_syrkx_herkx_small_restrict_kernelIl19rocblas_complex_numIdELi16ELb1ELb0ELc84ELc76EKS1_S1_EviT_T0_PT6_S3_lS6_S3_lS4_PT7_S3_li: ; @_ZL41rocblas_syrkx_herkx_small_restrict_kernelIl19rocblas_complex_numIdELi16ELb1ELb0ELc84ELc76EKS1_S1_EviT_T0_PT6_S3_lS6_S3_lS4_PT7_S3_li
; %bb.0:
	s_load_b512 s[16:31], s[0:1], 0x8
	v_dual_mov_b32 v6, 0 :: v_dual_and_b32 v3, 0x3ff, v0
	v_bfe_u32 v2, v0, 10, 10
	v_mov_b32_e32 v7, 0
	s_delay_alu instid0(VALU_DEP_3) | instskip(NEXT) | instid1(VALU_DEP_3)
	v_lshl_add_u32 v0, s13, 4, v3
	v_lshl_add_u32 v10, s14, 4, v2
	s_delay_alu instid0(VALU_DEP_3) | instskip(NEXT) | instid1(VALU_DEP_3)
	v_dual_mov_b32 v9, v7 :: v_dual_mov_b32 v8, v6
	v_ashrrev_i32_e32 v1, 31, v0
	s_delay_alu instid0(VALU_DEP_3) | instskip(SKIP_2) | instid1(VALU_DEP_1)
	v_ashrrev_i32_e32 v11, 31, v10
	s_waitcnt lgkmcnt(0)
	v_cmp_lt_i64_e64 s2, s[16:17], 1
	s_and_b32 vcc_lo, exec_lo, s2
	s_cbranch_vccnz .LBB1193_3
; %bb.1:
	s_load_b64 s[2:3], s[0:1], 0x48
	v_mul_lo_u32 v9, s31, v10
	v_mul_lo_u32 v14, s30, v11
	v_mad_u64_u32 v[4:5], null, s30, v10, 0
	v_mul_lo_u32 v15, s25, v0
	v_mul_lo_u32 v16, s24, v1
	v_mad_u64_u32 v[6:7], null, s24, v0, 0
	v_lshlrev_b32_e32 v12, 4, v3
	s_mul_i32 s4, s27, s15
	v_add3_u32 v5, v5, v14, v9
	s_mul_hi_u32 s5, s26, s15
	v_lshlrev_b32_e32 v8, 8, v2
	s_add_i32 s5, s5, s4
	s_delay_alu instid0(VALU_DEP_4)
	v_add3_u32 v7, v7, v16, v15
	v_lshlrev_b64 v[3:4], 4, v[4:5]
	s_mul_i32 s4, s26, s15
	v_lshlrev_b32_e32 v2, 4, v2
	v_add_nc_u32_e32 v13, 0x1000, v8
	s_waitcnt lgkmcnt(0)
	s_mul_i32 s3, s3, s15
	s_mul_hi_u32 s6, s2, s15
	s_mul_i32 s2, s2, s15
	s_add_i32 s3, s6, s3
	v_lshlrev_b64 v[5:6], 4, v[6:7]
	s_lshl_b64 s[2:3], s[2:3], 4
	v_add_nc_u32_e32 v14, v12, v8
	v_add_co_u32 v3, vcc_lo, v3, s2
	v_add_co_ci_u32_e32 v4, vcc_lo, s3, v4, vcc_lo
	s_lshl_b64 s[2:3], s[4:5], 4
	s_delay_alu instid0(SALU_CYCLE_1) | instskip(SKIP_3) | instid1(VALU_DEP_4)
	v_add_co_u32 v5, vcc_lo, v5, s2
	v_add_co_ci_u32_e32 v6, vcc_lo, s3, v6, vcc_lo
	v_add_co_u32 v3, vcc_lo, v3, v12
	v_add_co_ci_u32_e32 v4, vcc_lo, 0, v4, vcc_lo
	v_add_co_u32 v5, vcc_lo, v5, v2
	s_delay_alu instid0(VALU_DEP_4)
	v_add_co_ci_u32_e32 v8, vcc_lo, 0, v6, vcc_lo
	v_mov_b32_e32 v6, 0
	v_mov_b32_e32 v7, 0
	v_add_co_u32 v2, vcc_lo, s28, v3
	v_add_co_ci_u32_e32 v3, vcc_lo, s29, v4, vcc_lo
	v_add_co_u32 v4, vcc_lo, s22, v5
	v_add_co_ci_u32_e32 v5, vcc_lo, s23, v8, vcc_lo
	v_mov_b32_e32 v9, v7
	v_dual_mov_b32 v8, v6 :: v_dual_add_nc_u32 v15, v13, v12
	s_mov_b64 s[2:3], 0
.LBB1193_2:                             ; =>This Inner Loop Header: Depth=1
	global_load_b128 v[16:19], v[4:5], off
	global_load_b128 v[20:23], v[2:3], off
	s_add_u32 s2, s2, 16
	v_add_co_u32 v2, vcc_lo, 0x100, v2
	s_addc_u32 s3, s3, 0
	v_add_co_ci_u32_e32 v3, vcc_lo, 0, v3, vcc_lo
	v_cmp_lt_i64_e64 s4, s[2:3], s[16:17]
	v_add_co_u32 v4, vcc_lo, 0x100, v4
	v_add_co_ci_u32_e32 v5, vcc_lo, 0, v5, vcc_lo
	s_waitcnt vmcnt(1)
	ds_store_2addr_b64 v14, v[16:17], v[18:19] offset1:1
	s_waitcnt vmcnt(0)
	ds_store_2addr_b64 v15, v[20:21], v[22:23] offset1:1
	s_waitcnt lgkmcnt(0)
	s_barrier
	buffer_gl0_inv
	ds_load_b128 v[16:19], v12
	ds_load_b128 v[20:23], v13
	ds_load_b128 v[24:27], v13 offset:16
	ds_load_b128 v[28:31], v12 offset:256
	s_and_b32 vcc_lo, exec_lo, s4
	s_waitcnt lgkmcnt(2)
	v_mul_f64 v[32:33], v[22:23], v[18:19]
	v_mul_f64 v[18:19], v[20:21], v[18:19]
	s_waitcnt lgkmcnt(0)
	v_mul_f64 v[38:39], v[26:27], v[30:31]
	v_mul_f64 v[40:41], v[24:25], v[30:31]
	s_delay_alu instid0(VALU_DEP_4) | instskip(NEXT) | instid1(VALU_DEP_4)
	v_fma_f64 v[42:43], v[20:21], v[16:17], -v[32:33]
	v_fma_f64 v[44:45], v[22:23], v[16:17], v[18:19]
	ds_load_b128 v[16:19], v12 offset:512
	ds_load_b128 v[20:23], v13 offset:32
	;; [unrolled: 1-line block ×4, first 2 shown]
	v_fma_f64 v[24:25], v[24:25], v[28:29], -v[38:39]
	v_fma_f64 v[26:27], v[26:27], v[28:29], v[40:41]
	s_waitcnt lgkmcnt(2)
	v_mul_f64 v[46:47], v[22:23], v[18:19]
	v_mul_f64 v[18:19], v[20:21], v[18:19]
	s_waitcnt lgkmcnt(0)
	v_mul_f64 v[28:29], v[32:33], v[36:37]
	v_mul_f64 v[36:37], v[30:31], v[36:37]
	v_add_f64 v[8:9], v[8:9], v[42:43]
	v_add_f64 v[6:7], v[6:7], v[44:45]
	v_fma_f64 v[38:39], v[20:21], v[16:17], -v[46:47]
	v_fma_f64 v[40:41], v[22:23], v[16:17], v[18:19]
	v_fma_f64 v[28:29], v[30:31], v[34:35], -v[28:29]
	v_fma_f64 v[30:31], v[32:33], v[34:35], v[36:37]
	v_add_f64 v[42:43], v[8:9], v[24:25]
	v_add_f64 v[44:45], v[6:7], v[26:27]
	ds_load_b128 v[6:9], v12 offset:1024
	ds_load_b128 v[16:19], v13 offset:64
	;; [unrolled: 1-line block ×4, first 2 shown]
	s_waitcnt lgkmcnt(2)
	v_mul_f64 v[46:47], v[18:19], v[8:9]
	v_mul_f64 v[8:9], v[16:17], v[8:9]
	s_waitcnt lgkmcnt(0)
	v_mul_f64 v[36:37], v[22:23], v[26:27]
	v_add_f64 v[32:33], v[42:43], v[38:39]
	v_add_f64 v[34:35], v[44:45], v[40:41]
	v_mul_f64 v[38:39], v[20:21], v[26:27]
	v_fma_f64 v[40:41], v[16:17], v[6:7], -v[46:47]
	v_fma_f64 v[42:43], v[18:19], v[6:7], v[8:9]
	v_fma_f64 v[20:21], v[20:21], v[24:25], -v[36:37]
	v_add_f64 v[44:45], v[32:33], v[28:29]
	v_add_f64 v[34:35], v[34:35], v[30:31]
	ds_load_b128 v[6:9], v12 offset:1536
	ds_load_b128 v[16:19], v13 offset:96
	ds_load_b128 v[26:29], v13 offset:112
	ds_load_b128 v[30:33], v12 offset:1792
	v_fma_f64 v[22:23], v[22:23], v[24:25], v[38:39]
	s_waitcnt lgkmcnt(2)
	v_mul_f64 v[46:47], v[18:19], v[8:9]
	v_mul_f64 v[8:9], v[16:17], v[8:9]
	s_waitcnt lgkmcnt(0)
	v_mul_f64 v[36:37], v[28:29], v[32:33]
	v_mul_f64 v[38:39], v[26:27], v[32:33]
	v_add_f64 v[24:25], v[44:45], v[40:41]
	v_add_f64 v[34:35], v[34:35], v[42:43]
	v_fma_f64 v[40:41], v[16:17], v[6:7], -v[46:47]
	v_fma_f64 v[42:43], v[18:19], v[6:7], v[8:9]
	v_fma_f64 v[26:27], v[26:27], v[30:31], -v[36:37]
	v_fma_f64 v[28:29], v[28:29], v[30:31], v[38:39]
	v_add_f64 v[24:25], v[24:25], v[20:21]
	v_add_f64 v[44:45], v[34:35], v[22:23]
	ds_load_b128 v[6:9], v12 offset:2048
	ds_load_b128 v[16:19], v13 offset:128
	;; [unrolled: 1-line block ×4, first 2 shown]
	s_waitcnt lgkmcnt(2)
	v_mul_f64 v[46:47], v[18:19], v[8:9]
	v_mul_f64 v[8:9], v[16:17], v[8:9]
	s_waitcnt lgkmcnt(0)
	v_mul_f64 v[36:37], v[22:23], v[34:35]
	v_mul_f64 v[34:35], v[20:21], v[34:35]
	v_add_f64 v[24:25], v[24:25], v[40:41]
	v_add_f64 v[30:31], v[44:45], v[42:43]
	v_fma_f64 v[38:39], v[16:17], v[6:7], -v[46:47]
	v_fma_f64 v[40:41], v[18:19], v[6:7], v[8:9]
	v_fma_f64 v[20:21], v[20:21], v[32:33], -v[36:37]
	v_fma_f64 v[22:23], v[22:23], v[32:33], v[34:35]
	v_add_f64 v[42:43], v[24:25], v[26:27]
	v_add_f64 v[44:45], v[30:31], v[28:29]
	ds_load_b128 v[6:9], v12 offset:2560
	ds_load_b128 v[16:19], v13 offset:160
	ds_load_b128 v[24:27], v13 offset:176
	ds_load_b128 v[28:31], v12 offset:2816
	s_waitcnt lgkmcnt(2)
	v_mul_f64 v[46:47], v[18:19], v[8:9]
	v_mul_f64 v[8:9], v[16:17], v[8:9]
	s_waitcnt lgkmcnt(0)
	v_mul_f64 v[36:37], v[26:27], v[30:31]
	v_add_f64 v[32:33], v[42:43], v[38:39]
	v_add_f64 v[34:35], v[44:45], v[40:41]
	v_mul_f64 v[38:39], v[24:25], v[30:31]
	v_fma_f64 v[40:41], v[16:17], v[6:7], -v[46:47]
	v_fma_f64 v[42:43], v[18:19], v[6:7], v[8:9]
	v_fma_f64 v[24:25], v[24:25], v[28:29], -v[36:37]
	v_add_f64 v[44:45], v[32:33], v[20:21]
	v_add_f64 v[34:35], v[34:35], v[22:23]
	ds_load_b128 v[6:9], v12 offset:3072
	ds_load_b128 v[16:19], v13 offset:192
	;; [unrolled: 1-line block ×4, first 2 shown]
	v_fma_f64 v[26:27], v[26:27], v[28:29], v[38:39]
	s_waitcnt lgkmcnt(2)
	v_mul_f64 v[46:47], v[18:19], v[8:9]
	v_mul_f64 v[8:9], v[16:17], v[8:9]
	s_waitcnt lgkmcnt(0)
	v_mul_f64 v[36:37], v[22:23], v[32:33]
	v_mul_f64 v[38:39], v[20:21], v[32:33]
	v_add_f64 v[28:29], v[44:45], v[40:41]
	v_add_f64 v[34:35], v[34:35], v[42:43]
	v_fma_f64 v[40:41], v[16:17], v[6:7], -v[46:47]
	v_fma_f64 v[42:43], v[18:19], v[6:7], v[8:9]
	v_fma_f64 v[20:21], v[20:21], v[30:31], -v[36:37]
	v_fma_f64 v[22:23], v[22:23], v[30:31], v[38:39]
	v_add_f64 v[28:29], v[28:29], v[24:25]
	v_add_f64 v[44:45], v[34:35], v[26:27]
	ds_load_b128 v[6:9], v12 offset:3584
	ds_load_b128 v[16:19], v13 offset:224
	;; [unrolled: 1-line block ×4, first 2 shown]
	s_waitcnt lgkmcnt(0)
	s_barrier
	buffer_gl0_inv
	v_mul_f64 v[46:47], v[18:19], v[8:9]
	v_mul_f64 v[8:9], v[16:17], v[8:9]
	;; [unrolled: 1-line block ×4, first 2 shown]
	v_add_f64 v[28:29], v[28:29], v[40:41]
	v_add_f64 v[30:31], v[44:45], v[42:43]
	v_fma_f64 v[16:17], v[16:17], v[6:7], -v[46:47]
	v_fma_f64 v[6:7], v[18:19], v[6:7], v[8:9]
	s_delay_alu instid0(VALU_DEP_4) | instskip(NEXT) | instid1(VALU_DEP_4)
	v_add_f64 v[8:9], v[28:29], v[20:21]
	v_add_f64 v[18:19], v[30:31], v[22:23]
	v_fma_f64 v[20:21], v[24:25], v[32:33], -v[36:37]
	v_fma_f64 v[22:23], v[26:27], v[32:33], v[34:35]
	s_delay_alu instid0(VALU_DEP_4) | instskip(NEXT) | instid1(VALU_DEP_4)
	v_add_f64 v[8:9], v[8:9], v[16:17]
	v_add_f64 v[6:7], v[18:19], v[6:7]
	s_delay_alu instid0(VALU_DEP_2) | instskip(NEXT) | instid1(VALU_DEP_2)
	v_add_f64 v[8:9], v[8:9], v[20:21]
	v_add_f64 v[6:7], v[6:7], v[22:23]
	s_cbranch_vccnz .LBB1193_2
.LBB1193_3:
	s_mov_b32 s2, exec_lo
	v_cmpx_le_i32_e64 v10, v0
	s_cbranch_execz .LBB1193_5
; %bb.4:
	s_delay_alu instid0(VALU_DEP_2)
	v_mul_f64 v[2:3], s[20:21], v[6:7]
	v_mul_f64 v[4:5], s[18:19], v[6:7]
	s_clause 0x1
	s_load_b128 s[4:7], s[0:1], 0x60
	s_load_b64 s[0:1], s[0:1], 0x70
	v_lshlrev_b64 v[0:1], 4, v[0:1]
	s_waitcnt lgkmcnt(0)
	v_mad_u64_u32 v[6:7], null, v10, s6, 0
	s_mul_i32 s1, s15, s1
	s_mul_hi_u32 s2, s15, s0
	s_mul_i32 s0, s15, s0
	s_add_i32 s1, s2, s1
	s_delay_alu instid0(SALU_CYCLE_1) | instskip(NEXT) | instid1(SALU_CYCLE_1)
	s_lshl_b64 s[0:1], s[0:1], 4
	s_add_u32 s0, s4, s0
	s_addc_u32 s1, s5, s1
	s_delay_alu instid0(VALU_DEP_4) | instskip(NEXT) | instid1(VALU_DEP_4)
	v_fma_f64 v[2:3], s[18:19], v[8:9], -v[2:3]
	v_fma_f64 v[4:5], s[20:21], v[8:9], v[4:5]
	v_mul_lo_u32 v8, v10, s7
	v_mul_lo_u32 v9, v11, s6
	s_delay_alu instid0(VALU_DEP_1) | instskip(NEXT) | instid1(VALU_DEP_1)
	v_add3_u32 v7, v7, v8, v9
	v_lshlrev_b64 v[6:7], 4, v[6:7]
	s_delay_alu instid0(VALU_DEP_1) | instskip(NEXT) | instid1(VALU_DEP_2)
	v_add_co_u32 v6, vcc_lo, s0, v6
	v_add_co_ci_u32_e32 v7, vcc_lo, s1, v7, vcc_lo
	s_delay_alu instid0(VALU_DEP_2) | instskip(NEXT) | instid1(VALU_DEP_2)
	v_add_co_u32 v0, vcc_lo, v6, v0
	v_add_co_ci_u32_e32 v1, vcc_lo, v7, v1, vcc_lo
	global_store_b128 v[0:1], v[2:5], off
.LBB1193_5:
	s_nop 0
	s_sendmsg sendmsg(MSG_DEALLOC_VGPRS)
	s_endpgm
	.section	.rodata,"a",@progbits
	.p2align	6, 0x0
	.amdhsa_kernel _ZL41rocblas_syrkx_herkx_small_restrict_kernelIl19rocblas_complex_numIdELi16ELb1ELb0ELc84ELc76EKS1_S1_EviT_T0_PT6_S3_lS6_S3_lS4_PT7_S3_li
		.amdhsa_group_segment_fixed_size 8192
		.amdhsa_private_segment_fixed_size 0
		.amdhsa_kernarg_size 124
		.amdhsa_user_sgpr_count 13
		.amdhsa_user_sgpr_dispatch_ptr 0
		.amdhsa_user_sgpr_queue_ptr 0
		.amdhsa_user_sgpr_kernarg_segment_ptr 1
		.amdhsa_user_sgpr_dispatch_id 0
		.amdhsa_user_sgpr_private_segment_size 0
		.amdhsa_wavefront_size32 1
		.amdhsa_uses_dynamic_stack 0
		.amdhsa_enable_private_segment 0
		.amdhsa_system_sgpr_workgroup_id_x 1
		.amdhsa_system_sgpr_workgroup_id_y 1
		.amdhsa_system_sgpr_workgroup_id_z 1
		.amdhsa_system_sgpr_workgroup_info 0
		.amdhsa_system_vgpr_workitem_id 1
		.amdhsa_next_free_vgpr 48
		.amdhsa_next_free_sgpr 32
		.amdhsa_reserve_vcc 1
		.amdhsa_float_round_mode_32 0
		.amdhsa_float_round_mode_16_64 0
		.amdhsa_float_denorm_mode_32 3
		.amdhsa_float_denorm_mode_16_64 3
		.amdhsa_dx10_clamp 1
		.amdhsa_ieee_mode 1
		.amdhsa_fp16_overflow 0
		.amdhsa_workgroup_processor_mode 1
		.amdhsa_memory_ordered 1
		.amdhsa_forward_progress 0
		.amdhsa_shared_vgpr_count 0
		.amdhsa_exception_fp_ieee_invalid_op 0
		.amdhsa_exception_fp_denorm_src 0
		.amdhsa_exception_fp_ieee_div_zero 0
		.amdhsa_exception_fp_ieee_overflow 0
		.amdhsa_exception_fp_ieee_underflow 0
		.amdhsa_exception_fp_ieee_inexact 0
		.amdhsa_exception_int_div_zero 0
	.end_amdhsa_kernel
	.section	.text._ZL41rocblas_syrkx_herkx_small_restrict_kernelIl19rocblas_complex_numIdELi16ELb1ELb0ELc84ELc76EKS1_S1_EviT_T0_PT6_S3_lS6_S3_lS4_PT7_S3_li,"axG",@progbits,_ZL41rocblas_syrkx_herkx_small_restrict_kernelIl19rocblas_complex_numIdELi16ELb1ELb0ELc84ELc76EKS1_S1_EviT_T0_PT6_S3_lS6_S3_lS4_PT7_S3_li,comdat
.Lfunc_end1193:
	.size	_ZL41rocblas_syrkx_herkx_small_restrict_kernelIl19rocblas_complex_numIdELi16ELb1ELb0ELc84ELc76EKS1_S1_EviT_T0_PT6_S3_lS6_S3_lS4_PT7_S3_li, .Lfunc_end1193-_ZL41rocblas_syrkx_herkx_small_restrict_kernelIl19rocblas_complex_numIdELi16ELb1ELb0ELc84ELc76EKS1_S1_EviT_T0_PT6_S3_lS6_S3_lS4_PT7_S3_li
                                        ; -- End function
	.section	.AMDGPU.csdata,"",@progbits
; Kernel info:
; codeLenInByte = 1800
; NumSgprs: 34
; NumVgprs: 48
; ScratchSize: 0
; MemoryBound: 0
; FloatMode: 240
; IeeeMode: 1
; LDSByteSize: 8192 bytes/workgroup (compile time only)
; SGPRBlocks: 4
; VGPRBlocks: 5
; NumSGPRsForWavesPerEU: 34
; NumVGPRsForWavesPerEU: 48
; Occupancy: 16
; WaveLimiterHint : 0
; COMPUTE_PGM_RSRC2:SCRATCH_EN: 0
; COMPUTE_PGM_RSRC2:USER_SGPR: 13
; COMPUTE_PGM_RSRC2:TRAP_HANDLER: 0
; COMPUTE_PGM_RSRC2:TGID_X_EN: 1
; COMPUTE_PGM_RSRC2:TGID_Y_EN: 1
; COMPUTE_PGM_RSRC2:TGID_Z_EN: 1
; COMPUTE_PGM_RSRC2:TIDIG_COMP_CNT: 1
	.section	.text._ZL41rocblas_syrkx_herkx_small_restrict_kernelIl19rocblas_complex_numIdELi16ELb1ELb0ELc67ELc76EKS1_S1_EviT_T0_PT6_S3_lS6_S3_lS4_PT7_S3_li,"axG",@progbits,_ZL41rocblas_syrkx_herkx_small_restrict_kernelIl19rocblas_complex_numIdELi16ELb1ELb0ELc67ELc76EKS1_S1_EviT_T0_PT6_S3_lS6_S3_lS4_PT7_S3_li,comdat
	.globl	_ZL41rocblas_syrkx_herkx_small_restrict_kernelIl19rocblas_complex_numIdELi16ELb1ELb0ELc67ELc76EKS1_S1_EviT_T0_PT6_S3_lS6_S3_lS4_PT7_S3_li ; -- Begin function _ZL41rocblas_syrkx_herkx_small_restrict_kernelIl19rocblas_complex_numIdELi16ELb1ELb0ELc67ELc76EKS1_S1_EviT_T0_PT6_S3_lS6_S3_lS4_PT7_S3_li
	.p2align	8
	.type	_ZL41rocblas_syrkx_herkx_small_restrict_kernelIl19rocblas_complex_numIdELi16ELb1ELb0ELc67ELc76EKS1_S1_EviT_T0_PT6_S3_lS6_S3_lS4_PT7_S3_li,@function
_ZL41rocblas_syrkx_herkx_small_restrict_kernelIl19rocblas_complex_numIdELi16ELb1ELb0ELc67ELc76EKS1_S1_EviT_T0_PT6_S3_lS6_S3_lS4_PT7_S3_li: ; @_ZL41rocblas_syrkx_herkx_small_restrict_kernelIl19rocblas_complex_numIdELi16ELb1ELb0ELc67ELc76EKS1_S1_EviT_T0_PT6_S3_lS6_S3_lS4_PT7_S3_li
; %bb.0:
	s_load_b512 s[16:31], s[0:1], 0x8
	v_dual_mov_b32 v6, 0 :: v_dual_and_b32 v3, 0x3ff, v0
	v_bfe_u32 v2, v0, 10, 10
	v_mov_b32_e32 v7, 0
	s_delay_alu instid0(VALU_DEP_3) | instskip(NEXT) | instid1(VALU_DEP_3)
	v_lshl_add_u32 v0, s13, 4, v3
	v_lshl_add_u32 v10, s14, 4, v2
	s_delay_alu instid0(VALU_DEP_3) | instskip(NEXT) | instid1(VALU_DEP_3)
	v_dual_mov_b32 v9, v7 :: v_dual_mov_b32 v8, v6
	v_ashrrev_i32_e32 v1, 31, v0
	s_delay_alu instid0(VALU_DEP_3) | instskip(SKIP_2) | instid1(VALU_DEP_1)
	v_ashrrev_i32_e32 v11, 31, v10
	s_waitcnt lgkmcnt(0)
	v_cmp_lt_i64_e64 s2, s[16:17], 1
	s_and_b32 vcc_lo, exec_lo, s2
	s_cbranch_vccnz .LBB1194_3
; %bb.1:
	s_load_b64 s[2:3], s[0:1], 0x48
	v_mul_lo_u32 v9, s31, v10
	v_mul_lo_u32 v14, s30, v11
	v_mad_u64_u32 v[4:5], null, s30, v10, 0
	v_mul_lo_u32 v15, s25, v0
	v_mul_lo_u32 v16, s24, v1
	v_mad_u64_u32 v[6:7], null, s24, v0, 0
	v_lshlrev_b32_e32 v12, 4, v3
	s_mul_i32 s4, s27, s15
	v_add3_u32 v5, v5, v14, v9
	s_mul_hi_u32 s5, s26, s15
	v_lshlrev_b32_e32 v8, 8, v2
	s_add_i32 s5, s5, s4
	s_delay_alu instid0(VALU_DEP_4)
	v_add3_u32 v7, v7, v16, v15
	v_lshlrev_b64 v[3:4], 4, v[4:5]
	s_mul_i32 s4, s26, s15
	v_lshlrev_b32_e32 v2, 4, v2
	s_lshl_b64 s[4:5], s[4:5], 4
	v_lshlrev_b64 v[5:6], 4, v[6:7]
	s_waitcnt lgkmcnt(0)
	s_mul_i32 s3, s3, s15
	s_mul_hi_u32 s6, s2, s15
	s_mul_i32 s2, s2, s15
	s_add_i32 s3, s6, s3
	v_add_co_u32 v5, vcc_lo, v5, s4
	s_lshl_b64 s[2:3], s[2:3], 4
	v_add_co_ci_u32_e32 v6, vcc_lo, s5, v6, vcc_lo
	v_add_co_u32 v3, vcc_lo, v3, s2
	v_add_co_ci_u32_e32 v4, vcc_lo, s3, v4, vcc_lo
	v_add_co_u32 v2, vcc_lo, v5, v2
	s_delay_alu instid0(VALU_DEP_4) | instskip(NEXT) | instid1(VALU_DEP_4)
	v_add_co_ci_u32_e32 v5, vcc_lo, 0, v6, vcc_lo
	v_add_co_u32 v3, vcc_lo, v3, v12
	s_delay_alu instid0(VALU_DEP_4)
	v_add_co_ci_u32_e32 v4, vcc_lo, 0, v4, vcc_lo
	v_mov_b32_e32 v6, 0
	v_mov_b32_e32 v7, 0
	v_add_nc_u32_e32 v13, 0x1000, v8
	v_add_nc_u32_e32 v14, v12, v8
	v_add_co_u32 v8, vcc_lo, v2, s22
	v_add_co_ci_u32_e32 v5, vcc_lo, s23, v5, vcc_lo
	v_add_co_u32 v2, vcc_lo, s28, v3
	v_add_co_ci_u32_e32 v3, vcc_lo, s29, v4, vcc_lo
	s_delay_alu instid0(VALU_DEP_4)
	v_add_co_u32 v4, vcc_lo, v8, 8
	v_dual_mov_b32 v9, v7 :: v_dual_mov_b32 v8, v6
	v_add_nc_u32_e32 v15, v13, v12
	v_add_co_ci_u32_e32 v5, vcc_lo, 0, v5, vcc_lo
	s_mov_b64 s[2:3], 0
.LBB1194_2:                             ; =>This Inner Loop Header: Depth=1
	global_load_b128 v[16:19], v[4:5], off offset:-8
	global_load_b128 v[20:23], v[2:3], off
	s_add_u32 s2, s2, 16
	v_add_co_u32 v2, vcc_lo, 0x100, v2
	s_addc_u32 s3, s3, 0
	v_add_co_ci_u32_e32 v3, vcc_lo, 0, v3, vcc_lo
	v_cmp_lt_i64_e64 s4, s[2:3], s[16:17]
	v_add_co_u32 v4, vcc_lo, 0x100, v4
	v_add_co_ci_u32_e32 v5, vcc_lo, 0, v5, vcc_lo
	s_waitcnt vmcnt(1)
	ds_store_b128 v14, v[16:19]
	s_waitcnt vmcnt(0)
	ds_store_2addr_b64 v15, v[20:21], v[22:23] offset1:1
	s_waitcnt lgkmcnt(0)
	s_barrier
	buffer_gl0_inv
	ds_load_b128 v[16:19], v12
	ds_load_b128 v[20:23], v13
	ds_load_b128 v[24:27], v13 offset:16
	ds_load_b128 v[28:31], v12 offset:256
	s_and_b32 vcc_lo, exec_lo, s4
	s_waitcnt lgkmcnt(2)
	v_mul_f64 v[32:33], v[22:23], v[18:19]
	v_mul_f64 v[18:19], v[20:21], v[18:19]
	s_waitcnt lgkmcnt(0)
	v_mul_f64 v[38:39], v[26:27], v[30:31]
	v_mul_f64 v[40:41], v[24:25], v[30:31]
	s_delay_alu instid0(VALU_DEP_4) | instskip(NEXT) | instid1(VALU_DEP_4)
	v_fma_f64 v[42:43], v[20:21], v[16:17], -v[32:33]
	v_fma_f64 v[44:45], v[22:23], v[16:17], v[18:19]
	ds_load_b128 v[16:19], v12 offset:512
	ds_load_b128 v[20:23], v13 offset:32
	;; [unrolled: 1-line block ×4, first 2 shown]
	v_fma_f64 v[24:25], v[24:25], v[28:29], -v[38:39]
	v_fma_f64 v[26:27], v[26:27], v[28:29], v[40:41]
	s_waitcnt lgkmcnt(2)
	v_mul_f64 v[46:47], v[22:23], v[18:19]
	v_mul_f64 v[18:19], v[20:21], v[18:19]
	s_waitcnt lgkmcnt(0)
	v_mul_f64 v[28:29], v[32:33], v[36:37]
	v_mul_f64 v[36:37], v[30:31], v[36:37]
	v_add_f64 v[8:9], v[8:9], v[42:43]
	v_add_f64 v[6:7], v[6:7], v[44:45]
	v_fma_f64 v[38:39], v[20:21], v[16:17], -v[46:47]
	v_fma_f64 v[40:41], v[22:23], v[16:17], v[18:19]
	v_fma_f64 v[28:29], v[30:31], v[34:35], -v[28:29]
	v_fma_f64 v[30:31], v[32:33], v[34:35], v[36:37]
	v_add_f64 v[42:43], v[8:9], v[24:25]
	v_add_f64 v[44:45], v[6:7], v[26:27]
	ds_load_b128 v[6:9], v12 offset:1024
	ds_load_b128 v[16:19], v13 offset:64
	;; [unrolled: 1-line block ×4, first 2 shown]
	s_waitcnt lgkmcnt(2)
	v_mul_f64 v[46:47], v[18:19], v[8:9]
	v_mul_f64 v[8:9], v[16:17], v[8:9]
	s_waitcnt lgkmcnt(0)
	v_mul_f64 v[36:37], v[22:23], v[26:27]
	v_add_f64 v[32:33], v[42:43], v[38:39]
	v_add_f64 v[34:35], v[44:45], v[40:41]
	v_mul_f64 v[38:39], v[20:21], v[26:27]
	v_fma_f64 v[40:41], v[16:17], v[6:7], -v[46:47]
	v_fma_f64 v[42:43], v[18:19], v[6:7], v[8:9]
	v_fma_f64 v[20:21], v[20:21], v[24:25], -v[36:37]
	v_add_f64 v[44:45], v[32:33], v[28:29]
	v_add_f64 v[34:35], v[34:35], v[30:31]
	ds_load_b128 v[6:9], v12 offset:1536
	ds_load_b128 v[16:19], v13 offset:96
	;; [unrolled: 1-line block ×4, first 2 shown]
	v_fma_f64 v[22:23], v[22:23], v[24:25], v[38:39]
	s_waitcnt lgkmcnt(2)
	v_mul_f64 v[46:47], v[18:19], v[8:9]
	v_mul_f64 v[8:9], v[16:17], v[8:9]
	s_waitcnt lgkmcnt(0)
	v_mul_f64 v[36:37], v[28:29], v[32:33]
	v_mul_f64 v[38:39], v[26:27], v[32:33]
	v_add_f64 v[24:25], v[44:45], v[40:41]
	v_add_f64 v[34:35], v[34:35], v[42:43]
	v_fma_f64 v[40:41], v[16:17], v[6:7], -v[46:47]
	v_fma_f64 v[42:43], v[18:19], v[6:7], v[8:9]
	v_fma_f64 v[26:27], v[26:27], v[30:31], -v[36:37]
	v_fma_f64 v[28:29], v[28:29], v[30:31], v[38:39]
	v_add_f64 v[24:25], v[24:25], v[20:21]
	v_add_f64 v[44:45], v[34:35], v[22:23]
	ds_load_b128 v[6:9], v12 offset:2048
	ds_load_b128 v[16:19], v13 offset:128
	;; [unrolled: 1-line block ×4, first 2 shown]
	s_waitcnt lgkmcnt(2)
	v_mul_f64 v[46:47], v[18:19], v[8:9]
	v_mul_f64 v[8:9], v[16:17], v[8:9]
	s_waitcnt lgkmcnt(0)
	v_mul_f64 v[36:37], v[22:23], v[34:35]
	v_mul_f64 v[34:35], v[20:21], v[34:35]
	v_add_f64 v[24:25], v[24:25], v[40:41]
	v_add_f64 v[30:31], v[44:45], v[42:43]
	v_fma_f64 v[38:39], v[16:17], v[6:7], -v[46:47]
	v_fma_f64 v[40:41], v[18:19], v[6:7], v[8:9]
	v_fma_f64 v[20:21], v[20:21], v[32:33], -v[36:37]
	v_fma_f64 v[22:23], v[22:23], v[32:33], v[34:35]
	v_add_f64 v[42:43], v[24:25], v[26:27]
	v_add_f64 v[44:45], v[30:31], v[28:29]
	ds_load_b128 v[6:9], v12 offset:2560
	ds_load_b128 v[16:19], v13 offset:160
	;; [unrolled: 1-line block ×4, first 2 shown]
	s_waitcnt lgkmcnt(2)
	v_mul_f64 v[46:47], v[18:19], v[8:9]
	v_mul_f64 v[8:9], v[16:17], v[8:9]
	s_waitcnt lgkmcnt(0)
	v_mul_f64 v[36:37], v[26:27], v[30:31]
	v_add_f64 v[32:33], v[42:43], v[38:39]
	v_add_f64 v[34:35], v[44:45], v[40:41]
	v_mul_f64 v[38:39], v[24:25], v[30:31]
	v_fma_f64 v[40:41], v[16:17], v[6:7], -v[46:47]
	v_fma_f64 v[42:43], v[18:19], v[6:7], v[8:9]
	v_fma_f64 v[24:25], v[24:25], v[28:29], -v[36:37]
	v_add_f64 v[44:45], v[32:33], v[20:21]
	v_add_f64 v[34:35], v[34:35], v[22:23]
	ds_load_b128 v[6:9], v12 offset:3072
	ds_load_b128 v[16:19], v13 offset:192
	;; [unrolled: 1-line block ×4, first 2 shown]
	v_fma_f64 v[26:27], v[26:27], v[28:29], v[38:39]
	s_waitcnt lgkmcnt(2)
	v_mul_f64 v[46:47], v[18:19], v[8:9]
	v_mul_f64 v[8:9], v[16:17], v[8:9]
	s_waitcnt lgkmcnt(0)
	v_mul_f64 v[36:37], v[22:23], v[32:33]
	v_mul_f64 v[38:39], v[20:21], v[32:33]
	v_add_f64 v[28:29], v[44:45], v[40:41]
	v_add_f64 v[34:35], v[34:35], v[42:43]
	v_fma_f64 v[40:41], v[16:17], v[6:7], -v[46:47]
	v_fma_f64 v[42:43], v[18:19], v[6:7], v[8:9]
	v_fma_f64 v[20:21], v[20:21], v[30:31], -v[36:37]
	v_fma_f64 v[22:23], v[22:23], v[30:31], v[38:39]
	v_add_f64 v[28:29], v[28:29], v[24:25]
	v_add_f64 v[44:45], v[34:35], v[26:27]
	ds_load_b128 v[6:9], v12 offset:3584
	ds_load_b128 v[16:19], v13 offset:224
	;; [unrolled: 1-line block ×4, first 2 shown]
	s_waitcnt lgkmcnt(0)
	s_barrier
	buffer_gl0_inv
	v_mul_f64 v[46:47], v[18:19], v[8:9]
	v_mul_f64 v[8:9], v[16:17], v[8:9]
	;; [unrolled: 1-line block ×4, first 2 shown]
	v_add_f64 v[28:29], v[28:29], v[40:41]
	v_add_f64 v[30:31], v[44:45], v[42:43]
	v_fma_f64 v[16:17], v[16:17], v[6:7], -v[46:47]
	v_fma_f64 v[6:7], v[18:19], v[6:7], v[8:9]
	s_delay_alu instid0(VALU_DEP_4) | instskip(NEXT) | instid1(VALU_DEP_4)
	v_add_f64 v[8:9], v[28:29], v[20:21]
	v_add_f64 v[18:19], v[30:31], v[22:23]
	v_fma_f64 v[20:21], v[24:25], v[32:33], -v[36:37]
	v_fma_f64 v[22:23], v[26:27], v[32:33], v[34:35]
	s_delay_alu instid0(VALU_DEP_4) | instskip(NEXT) | instid1(VALU_DEP_4)
	v_add_f64 v[8:9], v[8:9], v[16:17]
	v_add_f64 v[6:7], v[18:19], v[6:7]
	s_delay_alu instid0(VALU_DEP_2) | instskip(NEXT) | instid1(VALU_DEP_2)
	v_add_f64 v[8:9], v[8:9], v[20:21]
	v_add_f64 v[6:7], v[6:7], v[22:23]
	s_cbranch_vccnz .LBB1194_2
.LBB1194_3:
	s_mov_b32 s2, exec_lo
	v_cmpx_le_i32_e64 v10, v0
	s_cbranch_execz .LBB1194_5
; %bb.4:
	s_delay_alu instid0(VALU_DEP_2)
	v_mul_f64 v[2:3], s[20:21], v[6:7]
	v_mul_f64 v[4:5], s[18:19], v[6:7]
	s_clause 0x1
	s_load_b128 s[4:7], s[0:1], 0x60
	s_load_b64 s[0:1], s[0:1], 0x70
	v_lshlrev_b64 v[0:1], 4, v[0:1]
	s_waitcnt lgkmcnt(0)
	v_mad_u64_u32 v[6:7], null, v10, s6, 0
	s_mul_i32 s1, s15, s1
	s_mul_hi_u32 s2, s15, s0
	s_mul_i32 s0, s15, s0
	s_add_i32 s1, s2, s1
	s_delay_alu instid0(SALU_CYCLE_1) | instskip(NEXT) | instid1(SALU_CYCLE_1)
	s_lshl_b64 s[0:1], s[0:1], 4
	s_add_u32 s0, s4, s0
	s_addc_u32 s1, s5, s1
	s_delay_alu instid0(VALU_DEP_4) | instskip(NEXT) | instid1(VALU_DEP_4)
	v_fma_f64 v[2:3], s[18:19], v[8:9], -v[2:3]
	v_fma_f64 v[4:5], s[20:21], v[8:9], v[4:5]
	v_mul_lo_u32 v8, v10, s7
	v_mul_lo_u32 v9, v11, s6
	s_delay_alu instid0(VALU_DEP_1) | instskip(NEXT) | instid1(VALU_DEP_1)
	v_add3_u32 v7, v7, v8, v9
	v_lshlrev_b64 v[6:7], 4, v[6:7]
	s_delay_alu instid0(VALU_DEP_1) | instskip(NEXT) | instid1(VALU_DEP_2)
	v_add_co_u32 v6, vcc_lo, s0, v6
	v_add_co_ci_u32_e32 v7, vcc_lo, s1, v7, vcc_lo
	s_delay_alu instid0(VALU_DEP_2) | instskip(NEXT) | instid1(VALU_DEP_2)
	v_add_co_u32 v0, vcc_lo, v6, v0
	v_add_co_ci_u32_e32 v1, vcc_lo, v7, v1, vcc_lo
	global_store_b128 v[0:1], v[2:5], off
.LBB1194_5:
	s_nop 0
	s_sendmsg sendmsg(MSG_DEALLOC_VGPRS)
	s_endpgm
	.section	.rodata,"a",@progbits
	.p2align	6, 0x0
	.amdhsa_kernel _ZL41rocblas_syrkx_herkx_small_restrict_kernelIl19rocblas_complex_numIdELi16ELb1ELb0ELc67ELc76EKS1_S1_EviT_T0_PT6_S3_lS6_S3_lS4_PT7_S3_li
		.amdhsa_group_segment_fixed_size 8192
		.amdhsa_private_segment_fixed_size 0
		.amdhsa_kernarg_size 124
		.amdhsa_user_sgpr_count 13
		.amdhsa_user_sgpr_dispatch_ptr 0
		.amdhsa_user_sgpr_queue_ptr 0
		.amdhsa_user_sgpr_kernarg_segment_ptr 1
		.amdhsa_user_sgpr_dispatch_id 0
		.amdhsa_user_sgpr_private_segment_size 0
		.amdhsa_wavefront_size32 1
		.amdhsa_uses_dynamic_stack 0
		.amdhsa_enable_private_segment 0
		.amdhsa_system_sgpr_workgroup_id_x 1
		.amdhsa_system_sgpr_workgroup_id_y 1
		.amdhsa_system_sgpr_workgroup_id_z 1
		.amdhsa_system_sgpr_workgroup_info 0
		.amdhsa_system_vgpr_workitem_id 1
		.amdhsa_next_free_vgpr 48
		.amdhsa_next_free_sgpr 32
		.amdhsa_reserve_vcc 1
		.amdhsa_float_round_mode_32 0
		.amdhsa_float_round_mode_16_64 0
		.amdhsa_float_denorm_mode_32 3
		.amdhsa_float_denorm_mode_16_64 3
		.amdhsa_dx10_clamp 1
		.amdhsa_ieee_mode 1
		.amdhsa_fp16_overflow 0
		.amdhsa_workgroup_processor_mode 1
		.amdhsa_memory_ordered 1
		.amdhsa_forward_progress 0
		.amdhsa_shared_vgpr_count 0
		.amdhsa_exception_fp_ieee_invalid_op 0
		.amdhsa_exception_fp_denorm_src 0
		.amdhsa_exception_fp_ieee_div_zero 0
		.amdhsa_exception_fp_ieee_overflow 0
		.amdhsa_exception_fp_ieee_underflow 0
		.amdhsa_exception_fp_ieee_inexact 0
		.amdhsa_exception_int_div_zero 0
	.end_amdhsa_kernel
	.section	.text._ZL41rocblas_syrkx_herkx_small_restrict_kernelIl19rocblas_complex_numIdELi16ELb1ELb0ELc67ELc76EKS1_S1_EviT_T0_PT6_S3_lS6_S3_lS4_PT7_S3_li,"axG",@progbits,_ZL41rocblas_syrkx_herkx_small_restrict_kernelIl19rocblas_complex_numIdELi16ELb1ELb0ELc67ELc76EKS1_S1_EviT_T0_PT6_S3_lS6_S3_lS4_PT7_S3_li,comdat
.Lfunc_end1194:
	.size	_ZL41rocblas_syrkx_herkx_small_restrict_kernelIl19rocblas_complex_numIdELi16ELb1ELb0ELc67ELc76EKS1_S1_EviT_T0_PT6_S3_lS6_S3_lS4_PT7_S3_li, .Lfunc_end1194-_ZL41rocblas_syrkx_herkx_small_restrict_kernelIl19rocblas_complex_numIdELi16ELb1ELb0ELc67ELc76EKS1_S1_EviT_T0_PT6_S3_lS6_S3_lS4_PT7_S3_li
                                        ; -- End function
	.section	.AMDGPU.csdata,"",@progbits
; Kernel info:
; codeLenInByte = 1816
; NumSgprs: 34
; NumVgprs: 48
; ScratchSize: 0
; MemoryBound: 0
; FloatMode: 240
; IeeeMode: 1
; LDSByteSize: 8192 bytes/workgroup (compile time only)
; SGPRBlocks: 4
; VGPRBlocks: 5
; NumSGPRsForWavesPerEU: 34
; NumVGPRsForWavesPerEU: 48
; Occupancy: 16
; WaveLimiterHint : 0
; COMPUTE_PGM_RSRC2:SCRATCH_EN: 0
; COMPUTE_PGM_RSRC2:USER_SGPR: 13
; COMPUTE_PGM_RSRC2:TRAP_HANDLER: 0
; COMPUTE_PGM_RSRC2:TGID_X_EN: 1
; COMPUTE_PGM_RSRC2:TGID_Y_EN: 1
; COMPUTE_PGM_RSRC2:TGID_Z_EN: 1
; COMPUTE_PGM_RSRC2:TIDIG_COMP_CNT: 1
	.section	.text._ZL41rocblas_syrkx_herkx_small_restrict_kernelIl19rocblas_complex_numIdELi16ELb1ELb0ELc78ELc76EKS1_S1_EviT_T0_PT6_S3_lS6_S3_lS4_PT7_S3_li,"axG",@progbits,_ZL41rocblas_syrkx_herkx_small_restrict_kernelIl19rocblas_complex_numIdELi16ELb1ELb0ELc78ELc76EKS1_S1_EviT_T0_PT6_S3_lS6_S3_lS4_PT7_S3_li,comdat
	.globl	_ZL41rocblas_syrkx_herkx_small_restrict_kernelIl19rocblas_complex_numIdELi16ELb1ELb0ELc78ELc76EKS1_S1_EviT_T0_PT6_S3_lS6_S3_lS4_PT7_S3_li ; -- Begin function _ZL41rocblas_syrkx_herkx_small_restrict_kernelIl19rocblas_complex_numIdELi16ELb1ELb0ELc78ELc76EKS1_S1_EviT_T0_PT6_S3_lS6_S3_lS4_PT7_S3_li
	.p2align	8
	.type	_ZL41rocblas_syrkx_herkx_small_restrict_kernelIl19rocblas_complex_numIdELi16ELb1ELb0ELc78ELc76EKS1_S1_EviT_T0_PT6_S3_lS6_S3_lS4_PT7_S3_li,@function
_ZL41rocblas_syrkx_herkx_small_restrict_kernelIl19rocblas_complex_numIdELi16ELb1ELb0ELc78ELc76EKS1_S1_EviT_T0_PT6_S3_lS6_S3_lS4_PT7_S3_li: ; @_ZL41rocblas_syrkx_herkx_small_restrict_kernelIl19rocblas_complex_numIdELi16ELb1ELb0ELc78ELc76EKS1_S1_EviT_T0_PT6_S3_lS6_S3_lS4_PT7_S3_li
; %bb.0:
	s_load_b512 s[16:31], s[0:1], 0x8
	v_dual_mov_b32 v8, 0 :: v_dual_and_b32 v5, 0x3ff, v0
	v_bfe_u32 v4, v0, 10, 10
	v_mov_b32_e32 v9, 0
	s_delay_alu instid0(VALU_DEP_3) | instskip(NEXT) | instid1(VALU_DEP_3)
	v_lshl_add_u32 v0, s13, 4, v5
	v_lshl_add_u32 v2, s14, 4, v4
	s_delay_alu instid0(VALU_DEP_3) | instskip(NEXT) | instid1(VALU_DEP_3)
	v_dual_mov_b32 v11, v9 :: v_dual_mov_b32 v10, v8
	v_ashrrev_i32_e32 v1, 31, v0
	s_delay_alu instid0(VALU_DEP_3) | instskip(SKIP_2) | instid1(VALU_DEP_1)
	v_ashrrev_i32_e32 v3, 31, v2
	s_waitcnt lgkmcnt(0)
	v_cmp_lt_i64_e64 s2, s[16:17], 1
	s_and_b32 vcc_lo, exec_lo, s2
	s_cbranch_vccnz .LBB1195_3
; %bb.1:
	v_mad_u64_u32 v[6:7], null, s30, v5, 0
	v_mad_u64_u32 v[8:9], null, s24, v4, 0
	s_load_b64 s[2:3], s[0:1], 0x48
	v_lshlrev_b32_e32 v18, 8, v4
	s_mul_i32 s5, s27, s15
	s_mul_hi_u32 s6, s26, s15
	v_lshlrev_b64 v[10:11], 4, v[2:3]
	s_add_i32 s5, s6, s5
	s_delay_alu instid0(VALU_DEP_3) | instskip(SKIP_3) | instid1(VALU_DEP_2)
	v_mad_u64_u32 v[14:15], null, s31, v5, v[7:8]
	v_dual_mov_b32 v5, v9 :: v_dual_lshlrev_b32 v12, 4, v5
	s_mul_i32 s4, s26, s15
	v_add_nc_u32_e32 v13, 0x1000, v18
	v_mad_u64_u32 v[16:17], null, s25, v4, v[5:6]
	s_delay_alu instid0(VALU_DEP_3) | instskip(SKIP_3) | instid1(VALU_DEP_1)
	v_dual_mov_b32 v7, v14 :: v_dual_add_nc_u32 v14, v12, v18
	s_waitcnt lgkmcnt(0)
	s_mul_i32 s3, s3, s15
	s_mul_hi_u32 s6, s2, s15
	v_lshlrev_b64 v[4:5], 4, v[6:7]
	s_mul_i32 s2, s2, s15
	s_add_i32 s3, s6, s3
	v_mov_b32_e32 v9, v16
	s_lshl_b64 s[2:3], s[2:3], 4
	s_mov_b64 s[6:7], 0
	v_add_co_u32 v6, vcc_lo, s2, v4
	v_add_co_ci_u32_e32 v7, vcc_lo, s3, v5, vcc_lo
	v_lshlrev_b64 v[4:5], 4, v[8:9]
	s_delay_alu instid0(VALU_DEP_3) | instskip(SKIP_1) | instid1(VALU_DEP_3)
	v_add_co_u32 v6, vcc_lo, v6, v10
	s_lshl_b64 s[2:3], s[4:5], 4
	v_add_co_ci_u32_e32 v7, vcc_lo, v7, v11, vcc_lo
	s_delay_alu instid0(VALU_DEP_3) | instskip(NEXT) | instid1(VALU_DEP_4)
	v_add_co_u32 v8, vcc_lo, s2, v4
	v_add_co_ci_u32_e32 v9, vcc_lo, s3, v5, vcc_lo
	v_lshlrev_b64 v[4:5], 4, v[0:1]
	v_add_co_u32 v6, vcc_lo, v6, s28
	v_add_co_ci_u32_e32 v7, vcc_lo, s29, v7, vcc_lo
	s_lshl_b64 s[2:3], s[30:31], 8
	s_delay_alu instid0(VALU_DEP_3) | instskip(NEXT) | instid1(VALU_DEP_4)
	v_add_co_u32 v10, vcc_lo, v8, v4
	v_add_co_ci_u32_e32 v11, vcc_lo, v9, v5, vcc_lo
	v_mov_b32_e32 v8, 0
	v_mov_b32_e32 v9, 0
	v_add_co_u32 v4, vcc_lo, v6, 8
	v_add_co_ci_u32_e32 v5, vcc_lo, 0, v7, vcc_lo
	v_add_co_u32 v6, vcc_lo, s22, v10
	v_add_co_ci_u32_e32 v7, vcc_lo, s23, v11, vcc_lo
	v_mov_b32_e32 v11, v9
	v_dual_mov_b32 v10, v8 :: v_dual_add_nc_u32 v15, v13, v12
	s_lshl_b64 s[4:5], s[24:25], 8
.LBB1195_2:                             ; =>This Inner Loop Header: Depth=1
	global_load_b128 v[16:19], v[6:7], off
	global_load_b128 v[20:23], v[4:5], off offset:-8
	s_add_u32 s6, s6, 16
	v_add_co_u32 v4, vcc_lo, v4, s2
	s_addc_u32 s7, s7, 0
	v_add_co_ci_u32_e32 v5, vcc_lo, s3, v5, vcc_lo
	v_cmp_lt_i64_e64 s8, s[6:7], s[16:17]
	v_add_co_u32 v6, vcc_lo, v6, s4
	v_add_co_ci_u32_e32 v7, vcc_lo, s5, v7, vcc_lo
	s_waitcnt vmcnt(1)
	ds_store_2addr_b64 v14, v[16:17], v[18:19] offset1:1
	s_waitcnt vmcnt(0)
	ds_store_b128 v15, v[20:23]
	s_waitcnt lgkmcnt(0)
	s_barrier
	buffer_gl0_inv
	ds_load_b128 v[16:19], v12
	ds_load_b128 v[20:23], v13
	ds_load_b128 v[24:27], v13 offset:16
	ds_load_b128 v[28:31], v12 offset:256
	s_and_b32 vcc_lo, exec_lo, s8
	s_waitcnt lgkmcnt(2)
	v_mul_f64 v[32:33], v[22:23], v[18:19]
	v_mul_f64 v[18:19], v[20:21], v[18:19]
	s_waitcnt lgkmcnt(0)
	v_mul_f64 v[38:39], v[26:27], v[30:31]
	v_mul_f64 v[40:41], v[24:25], v[30:31]
	s_delay_alu instid0(VALU_DEP_4) | instskip(NEXT) | instid1(VALU_DEP_4)
	v_fma_f64 v[42:43], v[20:21], v[16:17], -v[32:33]
	v_fma_f64 v[44:45], v[22:23], v[16:17], v[18:19]
	ds_load_b128 v[16:19], v12 offset:512
	ds_load_b128 v[20:23], v13 offset:32
	ds_load_b128 v[30:33], v13 offset:48
	ds_load_b128 v[34:37], v12 offset:768
	v_fma_f64 v[24:25], v[24:25], v[28:29], -v[38:39]
	v_fma_f64 v[26:27], v[26:27], v[28:29], v[40:41]
	s_waitcnt lgkmcnt(2)
	v_mul_f64 v[46:47], v[22:23], v[18:19]
	v_mul_f64 v[18:19], v[20:21], v[18:19]
	s_waitcnt lgkmcnt(0)
	v_mul_f64 v[28:29], v[32:33], v[36:37]
	v_mul_f64 v[36:37], v[30:31], v[36:37]
	v_add_f64 v[10:11], v[10:11], v[42:43]
	v_add_f64 v[8:9], v[8:9], v[44:45]
	v_fma_f64 v[38:39], v[20:21], v[16:17], -v[46:47]
	v_fma_f64 v[40:41], v[22:23], v[16:17], v[18:19]
	v_fma_f64 v[28:29], v[30:31], v[34:35], -v[28:29]
	v_fma_f64 v[30:31], v[32:33], v[34:35], v[36:37]
	v_add_f64 v[42:43], v[10:11], v[24:25]
	v_add_f64 v[44:45], v[8:9], v[26:27]
	ds_load_b128 v[8:11], v12 offset:1024
	ds_load_b128 v[16:19], v13 offset:64
	;; [unrolled: 1-line block ×4, first 2 shown]
	s_waitcnt lgkmcnt(2)
	v_mul_f64 v[46:47], v[18:19], v[10:11]
	v_mul_f64 v[10:11], v[16:17], v[10:11]
	s_waitcnt lgkmcnt(0)
	v_mul_f64 v[36:37], v[22:23], v[26:27]
	v_add_f64 v[32:33], v[42:43], v[38:39]
	v_add_f64 v[34:35], v[44:45], v[40:41]
	v_mul_f64 v[38:39], v[20:21], v[26:27]
	v_fma_f64 v[40:41], v[16:17], v[8:9], -v[46:47]
	v_fma_f64 v[42:43], v[18:19], v[8:9], v[10:11]
	v_fma_f64 v[20:21], v[20:21], v[24:25], -v[36:37]
	v_add_f64 v[44:45], v[32:33], v[28:29]
	v_add_f64 v[34:35], v[34:35], v[30:31]
	ds_load_b128 v[8:11], v12 offset:1536
	ds_load_b128 v[16:19], v13 offset:96
	;; [unrolled: 1-line block ×4, first 2 shown]
	v_fma_f64 v[22:23], v[22:23], v[24:25], v[38:39]
	s_waitcnt lgkmcnt(2)
	v_mul_f64 v[46:47], v[18:19], v[10:11]
	v_mul_f64 v[10:11], v[16:17], v[10:11]
	s_waitcnt lgkmcnt(0)
	v_mul_f64 v[36:37], v[28:29], v[32:33]
	v_mul_f64 v[38:39], v[26:27], v[32:33]
	v_add_f64 v[24:25], v[44:45], v[40:41]
	v_add_f64 v[34:35], v[34:35], v[42:43]
	v_fma_f64 v[40:41], v[16:17], v[8:9], -v[46:47]
	v_fma_f64 v[42:43], v[18:19], v[8:9], v[10:11]
	v_fma_f64 v[26:27], v[26:27], v[30:31], -v[36:37]
	v_fma_f64 v[28:29], v[28:29], v[30:31], v[38:39]
	v_add_f64 v[24:25], v[24:25], v[20:21]
	v_add_f64 v[44:45], v[34:35], v[22:23]
	ds_load_b128 v[8:11], v12 offset:2048
	ds_load_b128 v[16:19], v13 offset:128
	;; [unrolled: 1-line block ×4, first 2 shown]
	s_waitcnt lgkmcnt(2)
	v_mul_f64 v[46:47], v[18:19], v[10:11]
	v_mul_f64 v[10:11], v[16:17], v[10:11]
	s_waitcnt lgkmcnt(0)
	v_mul_f64 v[36:37], v[22:23], v[34:35]
	v_mul_f64 v[34:35], v[20:21], v[34:35]
	v_add_f64 v[24:25], v[24:25], v[40:41]
	v_add_f64 v[30:31], v[44:45], v[42:43]
	v_fma_f64 v[38:39], v[16:17], v[8:9], -v[46:47]
	v_fma_f64 v[40:41], v[18:19], v[8:9], v[10:11]
	v_fma_f64 v[20:21], v[20:21], v[32:33], -v[36:37]
	v_fma_f64 v[22:23], v[22:23], v[32:33], v[34:35]
	v_add_f64 v[42:43], v[24:25], v[26:27]
	v_add_f64 v[44:45], v[30:31], v[28:29]
	ds_load_b128 v[8:11], v12 offset:2560
	ds_load_b128 v[16:19], v13 offset:160
	;; [unrolled: 1-line block ×4, first 2 shown]
	s_waitcnt lgkmcnt(2)
	v_mul_f64 v[46:47], v[18:19], v[10:11]
	v_mul_f64 v[10:11], v[16:17], v[10:11]
	s_waitcnt lgkmcnt(0)
	v_mul_f64 v[36:37], v[26:27], v[30:31]
	v_add_f64 v[32:33], v[42:43], v[38:39]
	v_add_f64 v[34:35], v[44:45], v[40:41]
	v_mul_f64 v[38:39], v[24:25], v[30:31]
	v_fma_f64 v[40:41], v[16:17], v[8:9], -v[46:47]
	v_fma_f64 v[42:43], v[18:19], v[8:9], v[10:11]
	v_fma_f64 v[24:25], v[24:25], v[28:29], -v[36:37]
	v_add_f64 v[44:45], v[32:33], v[20:21]
	v_add_f64 v[34:35], v[34:35], v[22:23]
	ds_load_b128 v[8:11], v12 offset:3072
	ds_load_b128 v[16:19], v13 offset:192
	;; [unrolled: 1-line block ×4, first 2 shown]
	v_fma_f64 v[26:27], v[26:27], v[28:29], v[38:39]
	s_waitcnt lgkmcnt(2)
	v_mul_f64 v[46:47], v[18:19], v[10:11]
	v_mul_f64 v[10:11], v[16:17], v[10:11]
	s_waitcnt lgkmcnt(0)
	v_mul_f64 v[36:37], v[22:23], v[32:33]
	v_mul_f64 v[38:39], v[20:21], v[32:33]
	v_add_f64 v[28:29], v[44:45], v[40:41]
	v_add_f64 v[34:35], v[34:35], v[42:43]
	v_fma_f64 v[40:41], v[16:17], v[8:9], -v[46:47]
	v_fma_f64 v[42:43], v[18:19], v[8:9], v[10:11]
	v_fma_f64 v[20:21], v[20:21], v[30:31], -v[36:37]
	v_fma_f64 v[22:23], v[22:23], v[30:31], v[38:39]
	v_add_f64 v[28:29], v[28:29], v[24:25]
	v_add_f64 v[44:45], v[34:35], v[26:27]
	ds_load_b128 v[8:11], v12 offset:3584
	ds_load_b128 v[16:19], v13 offset:224
	;; [unrolled: 1-line block ×4, first 2 shown]
	s_waitcnt lgkmcnt(0)
	s_barrier
	buffer_gl0_inv
	v_mul_f64 v[46:47], v[18:19], v[10:11]
	v_mul_f64 v[10:11], v[16:17], v[10:11]
	;; [unrolled: 1-line block ×4, first 2 shown]
	v_add_f64 v[28:29], v[28:29], v[40:41]
	v_add_f64 v[30:31], v[44:45], v[42:43]
	v_fma_f64 v[16:17], v[16:17], v[8:9], -v[46:47]
	v_fma_f64 v[8:9], v[18:19], v[8:9], v[10:11]
	s_delay_alu instid0(VALU_DEP_4) | instskip(NEXT) | instid1(VALU_DEP_4)
	v_add_f64 v[10:11], v[28:29], v[20:21]
	v_add_f64 v[18:19], v[30:31], v[22:23]
	v_fma_f64 v[20:21], v[24:25], v[32:33], -v[36:37]
	v_fma_f64 v[22:23], v[26:27], v[32:33], v[34:35]
	s_delay_alu instid0(VALU_DEP_4) | instskip(NEXT) | instid1(VALU_DEP_4)
	v_add_f64 v[10:11], v[10:11], v[16:17]
	v_add_f64 v[8:9], v[18:19], v[8:9]
	s_delay_alu instid0(VALU_DEP_2) | instskip(NEXT) | instid1(VALU_DEP_2)
	v_add_f64 v[10:11], v[10:11], v[20:21]
	v_add_f64 v[8:9], v[8:9], v[22:23]
	s_cbranch_vccnz .LBB1195_2
.LBB1195_3:
	s_mov_b32 s2, exec_lo
	v_cmpx_le_i32_e64 v2, v0
	s_cbranch_execz .LBB1195_5
; %bb.4:
	s_delay_alu instid0(VALU_DEP_2)
	v_mul_f64 v[4:5], s[20:21], v[8:9]
	v_mul_f64 v[6:7], s[18:19], v[8:9]
	s_clause 0x1
	s_load_b128 s[4:7], s[0:1], 0x60
	s_load_b64 s[0:1], s[0:1], 0x70
	v_lshlrev_b64 v[0:1], 4, v[0:1]
	s_waitcnt lgkmcnt(0)
	v_mul_lo_u32 v3, v3, s6
	v_mad_u64_u32 v[8:9], null, v2, s6, 0
	s_mul_i32 s1, s15, s1
	s_mul_hi_u32 s2, s15, s0
	s_mul_i32 s0, s15, s0
	s_add_i32 s1, s2, s1
	s_delay_alu instid0(SALU_CYCLE_1) | instskip(NEXT) | instid1(SALU_CYCLE_1)
	s_lshl_b64 s[0:1], s[0:1], 4
	s_add_u32 s0, s4, s0
	s_addc_u32 s1, s5, s1
	v_fma_f64 v[4:5], s[18:19], v[10:11], -v[4:5]
	v_fma_f64 v[6:7], s[20:21], v[10:11], v[6:7]
	v_mul_lo_u32 v10, v2, s7
	s_delay_alu instid0(VALU_DEP_1) | instskip(NEXT) | instid1(VALU_DEP_1)
	v_add3_u32 v9, v9, v10, v3
	v_lshlrev_b64 v[2:3], 4, v[8:9]
	s_delay_alu instid0(VALU_DEP_1) | instskip(NEXT) | instid1(VALU_DEP_2)
	v_add_co_u32 v2, vcc_lo, s0, v2
	v_add_co_ci_u32_e32 v3, vcc_lo, s1, v3, vcc_lo
	s_delay_alu instid0(VALU_DEP_2) | instskip(NEXT) | instid1(VALU_DEP_2)
	v_add_co_u32 v0, vcc_lo, v2, v0
	v_add_co_ci_u32_e32 v1, vcc_lo, v3, v1, vcc_lo
	global_store_b128 v[0:1], v[4:7], off
.LBB1195_5:
	s_nop 0
	s_sendmsg sendmsg(MSG_DEALLOC_VGPRS)
	s_endpgm
	.section	.rodata,"a",@progbits
	.p2align	6, 0x0
	.amdhsa_kernel _ZL41rocblas_syrkx_herkx_small_restrict_kernelIl19rocblas_complex_numIdELi16ELb1ELb0ELc78ELc76EKS1_S1_EviT_T0_PT6_S3_lS6_S3_lS4_PT7_S3_li
		.amdhsa_group_segment_fixed_size 8192
		.amdhsa_private_segment_fixed_size 0
		.amdhsa_kernarg_size 124
		.amdhsa_user_sgpr_count 13
		.amdhsa_user_sgpr_dispatch_ptr 0
		.amdhsa_user_sgpr_queue_ptr 0
		.amdhsa_user_sgpr_kernarg_segment_ptr 1
		.amdhsa_user_sgpr_dispatch_id 0
		.amdhsa_user_sgpr_private_segment_size 0
		.amdhsa_wavefront_size32 1
		.amdhsa_uses_dynamic_stack 0
		.amdhsa_enable_private_segment 0
		.amdhsa_system_sgpr_workgroup_id_x 1
		.amdhsa_system_sgpr_workgroup_id_y 1
		.amdhsa_system_sgpr_workgroup_id_z 1
		.amdhsa_system_sgpr_workgroup_info 0
		.amdhsa_system_vgpr_workitem_id 1
		.amdhsa_next_free_vgpr 48
		.amdhsa_next_free_sgpr 32
		.amdhsa_reserve_vcc 1
		.amdhsa_float_round_mode_32 0
		.amdhsa_float_round_mode_16_64 0
		.amdhsa_float_denorm_mode_32 3
		.amdhsa_float_denorm_mode_16_64 3
		.amdhsa_dx10_clamp 1
		.amdhsa_ieee_mode 1
		.amdhsa_fp16_overflow 0
		.amdhsa_workgroup_processor_mode 1
		.amdhsa_memory_ordered 1
		.amdhsa_forward_progress 0
		.amdhsa_shared_vgpr_count 0
		.amdhsa_exception_fp_ieee_invalid_op 0
		.amdhsa_exception_fp_denorm_src 0
		.amdhsa_exception_fp_ieee_div_zero 0
		.amdhsa_exception_fp_ieee_overflow 0
		.amdhsa_exception_fp_ieee_underflow 0
		.amdhsa_exception_fp_ieee_inexact 0
		.amdhsa_exception_int_div_zero 0
	.end_amdhsa_kernel
	.section	.text._ZL41rocblas_syrkx_herkx_small_restrict_kernelIl19rocblas_complex_numIdELi16ELb1ELb0ELc78ELc76EKS1_S1_EviT_T0_PT6_S3_lS6_S3_lS4_PT7_S3_li,"axG",@progbits,_ZL41rocblas_syrkx_herkx_small_restrict_kernelIl19rocblas_complex_numIdELi16ELb1ELb0ELc78ELc76EKS1_S1_EviT_T0_PT6_S3_lS6_S3_lS4_PT7_S3_li,comdat
.Lfunc_end1195:
	.size	_ZL41rocblas_syrkx_herkx_small_restrict_kernelIl19rocblas_complex_numIdELi16ELb1ELb0ELc78ELc76EKS1_S1_EviT_T0_PT6_S3_lS6_S3_lS4_PT7_S3_li, .Lfunc_end1195-_ZL41rocblas_syrkx_herkx_small_restrict_kernelIl19rocblas_complex_numIdELi16ELb1ELb0ELc78ELc76EKS1_S1_EviT_T0_PT6_S3_lS6_S3_lS4_PT7_S3_li
                                        ; -- End function
	.section	.AMDGPU.csdata,"",@progbits
; Kernel info:
; codeLenInByte = 1808
; NumSgprs: 34
; NumVgprs: 48
; ScratchSize: 0
; MemoryBound: 0
; FloatMode: 240
; IeeeMode: 1
; LDSByteSize: 8192 bytes/workgroup (compile time only)
; SGPRBlocks: 4
; VGPRBlocks: 5
; NumSGPRsForWavesPerEU: 34
; NumVGPRsForWavesPerEU: 48
; Occupancy: 16
; WaveLimiterHint : 0
; COMPUTE_PGM_RSRC2:SCRATCH_EN: 0
; COMPUTE_PGM_RSRC2:USER_SGPR: 13
; COMPUTE_PGM_RSRC2:TRAP_HANDLER: 0
; COMPUTE_PGM_RSRC2:TGID_X_EN: 1
; COMPUTE_PGM_RSRC2:TGID_Y_EN: 1
; COMPUTE_PGM_RSRC2:TGID_Z_EN: 1
; COMPUTE_PGM_RSRC2:TIDIG_COMP_CNT: 1
	.section	.text._ZL41rocblas_syrkx_herkx_small_restrict_kernelIl19rocblas_complex_numIdELi16ELb1ELb0ELc84ELc85EKS1_S1_EviT_T0_PT6_S3_lS6_S3_lS4_PT7_S3_li,"axG",@progbits,_ZL41rocblas_syrkx_herkx_small_restrict_kernelIl19rocblas_complex_numIdELi16ELb1ELb0ELc84ELc85EKS1_S1_EviT_T0_PT6_S3_lS6_S3_lS4_PT7_S3_li,comdat
	.globl	_ZL41rocblas_syrkx_herkx_small_restrict_kernelIl19rocblas_complex_numIdELi16ELb1ELb0ELc84ELc85EKS1_S1_EviT_T0_PT6_S3_lS6_S3_lS4_PT7_S3_li ; -- Begin function _ZL41rocblas_syrkx_herkx_small_restrict_kernelIl19rocblas_complex_numIdELi16ELb1ELb0ELc84ELc85EKS1_S1_EviT_T0_PT6_S3_lS6_S3_lS4_PT7_S3_li
	.p2align	8
	.type	_ZL41rocblas_syrkx_herkx_small_restrict_kernelIl19rocblas_complex_numIdELi16ELb1ELb0ELc84ELc85EKS1_S1_EviT_T0_PT6_S3_lS6_S3_lS4_PT7_S3_li,@function
_ZL41rocblas_syrkx_herkx_small_restrict_kernelIl19rocblas_complex_numIdELi16ELb1ELb0ELc84ELc85EKS1_S1_EviT_T0_PT6_S3_lS6_S3_lS4_PT7_S3_li: ; @_ZL41rocblas_syrkx_herkx_small_restrict_kernelIl19rocblas_complex_numIdELi16ELb1ELb0ELc84ELc85EKS1_S1_EviT_T0_PT6_S3_lS6_S3_lS4_PT7_S3_li
; %bb.0:
	s_load_b512 s[16:31], s[0:1], 0x8
	v_dual_mov_b32 v6, 0 :: v_dual_and_b32 v3, 0x3ff, v0
	v_bfe_u32 v2, v0, 10, 10
	v_mov_b32_e32 v7, 0
	s_delay_alu instid0(VALU_DEP_3) | instskip(NEXT) | instid1(VALU_DEP_3)
	v_lshl_add_u32 v0, s13, 4, v3
	v_lshl_add_u32 v10, s14, 4, v2
	s_delay_alu instid0(VALU_DEP_3) | instskip(NEXT) | instid1(VALU_DEP_3)
	v_dual_mov_b32 v9, v7 :: v_dual_mov_b32 v8, v6
	v_ashrrev_i32_e32 v1, 31, v0
	s_delay_alu instid0(VALU_DEP_3) | instskip(SKIP_2) | instid1(VALU_DEP_1)
	v_ashrrev_i32_e32 v11, 31, v10
	s_waitcnt lgkmcnt(0)
	v_cmp_lt_i64_e64 s2, s[16:17], 1
	s_and_b32 vcc_lo, exec_lo, s2
	s_cbranch_vccnz .LBB1196_3
; %bb.1:
	s_load_b64 s[2:3], s[0:1], 0x48
	v_mul_lo_u32 v9, s31, v10
	v_mul_lo_u32 v14, s30, v11
	v_mad_u64_u32 v[4:5], null, s30, v10, 0
	v_mul_lo_u32 v15, s25, v0
	v_mul_lo_u32 v16, s24, v1
	v_mad_u64_u32 v[6:7], null, s24, v0, 0
	v_lshlrev_b32_e32 v12, 4, v3
	s_mul_i32 s4, s27, s15
	v_add3_u32 v5, v5, v14, v9
	s_mul_hi_u32 s5, s26, s15
	v_lshlrev_b32_e32 v8, 8, v2
	s_add_i32 s5, s5, s4
	s_delay_alu instid0(VALU_DEP_4)
	v_add3_u32 v7, v7, v16, v15
	v_lshlrev_b64 v[3:4], 4, v[4:5]
	s_mul_i32 s4, s26, s15
	v_lshlrev_b32_e32 v2, 4, v2
	v_add_nc_u32_e32 v13, 0x1000, v8
	s_waitcnt lgkmcnt(0)
	s_mul_i32 s3, s3, s15
	s_mul_hi_u32 s6, s2, s15
	s_mul_i32 s2, s2, s15
	s_add_i32 s3, s6, s3
	v_lshlrev_b64 v[5:6], 4, v[6:7]
	s_lshl_b64 s[2:3], s[2:3], 4
	v_add_nc_u32_e32 v14, v12, v8
	v_add_co_u32 v3, vcc_lo, v3, s2
	v_add_co_ci_u32_e32 v4, vcc_lo, s3, v4, vcc_lo
	s_lshl_b64 s[2:3], s[4:5], 4
	s_delay_alu instid0(SALU_CYCLE_1) | instskip(SKIP_3) | instid1(VALU_DEP_4)
	v_add_co_u32 v5, vcc_lo, v5, s2
	v_add_co_ci_u32_e32 v6, vcc_lo, s3, v6, vcc_lo
	v_add_co_u32 v3, vcc_lo, v3, v12
	v_add_co_ci_u32_e32 v4, vcc_lo, 0, v4, vcc_lo
	v_add_co_u32 v5, vcc_lo, v5, v2
	s_delay_alu instid0(VALU_DEP_4)
	v_add_co_ci_u32_e32 v8, vcc_lo, 0, v6, vcc_lo
	v_mov_b32_e32 v6, 0
	v_mov_b32_e32 v7, 0
	v_add_co_u32 v2, vcc_lo, s28, v3
	v_add_co_ci_u32_e32 v3, vcc_lo, s29, v4, vcc_lo
	v_add_co_u32 v4, vcc_lo, s22, v5
	v_add_co_ci_u32_e32 v5, vcc_lo, s23, v8, vcc_lo
	v_mov_b32_e32 v9, v7
	v_dual_mov_b32 v8, v6 :: v_dual_add_nc_u32 v15, v13, v12
	s_mov_b64 s[2:3], 0
.LBB1196_2:                             ; =>This Inner Loop Header: Depth=1
	global_load_b128 v[16:19], v[4:5], off
	global_load_b128 v[20:23], v[2:3], off
	s_add_u32 s2, s2, 16
	v_add_co_u32 v2, vcc_lo, 0x100, v2
	s_addc_u32 s3, s3, 0
	v_add_co_ci_u32_e32 v3, vcc_lo, 0, v3, vcc_lo
	v_cmp_lt_i64_e64 s4, s[2:3], s[16:17]
	v_add_co_u32 v4, vcc_lo, 0x100, v4
	v_add_co_ci_u32_e32 v5, vcc_lo, 0, v5, vcc_lo
	s_waitcnt vmcnt(1)
	ds_store_2addr_b64 v14, v[16:17], v[18:19] offset1:1
	s_waitcnt vmcnt(0)
	ds_store_2addr_b64 v15, v[20:21], v[22:23] offset1:1
	s_waitcnt lgkmcnt(0)
	s_barrier
	buffer_gl0_inv
	ds_load_b128 v[16:19], v12
	ds_load_b128 v[20:23], v13
	ds_load_b128 v[24:27], v13 offset:16
	ds_load_b128 v[28:31], v12 offset:256
	s_and_b32 vcc_lo, exec_lo, s4
	s_waitcnt lgkmcnt(2)
	v_mul_f64 v[32:33], v[22:23], v[18:19]
	v_mul_f64 v[18:19], v[20:21], v[18:19]
	s_waitcnt lgkmcnt(0)
	v_mul_f64 v[38:39], v[26:27], v[30:31]
	v_mul_f64 v[40:41], v[24:25], v[30:31]
	s_delay_alu instid0(VALU_DEP_4) | instskip(NEXT) | instid1(VALU_DEP_4)
	v_fma_f64 v[42:43], v[20:21], v[16:17], -v[32:33]
	v_fma_f64 v[44:45], v[22:23], v[16:17], v[18:19]
	ds_load_b128 v[16:19], v12 offset:512
	ds_load_b128 v[20:23], v13 offset:32
	;; [unrolled: 1-line block ×4, first 2 shown]
	v_fma_f64 v[24:25], v[24:25], v[28:29], -v[38:39]
	v_fma_f64 v[26:27], v[26:27], v[28:29], v[40:41]
	s_waitcnt lgkmcnt(2)
	v_mul_f64 v[46:47], v[22:23], v[18:19]
	v_mul_f64 v[18:19], v[20:21], v[18:19]
	s_waitcnt lgkmcnt(0)
	v_mul_f64 v[28:29], v[32:33], v[36:37]
	v_mul_f64 v[36:37], v[30:31], v[36:37]
	v_add_f64 v[8:9], v[8:9], v[42:43]
	v_add_f64 v[6:7], v[6:7], v[44:45]
	v_fma_f64 v[38:39], v[20:21], v[16:17], -v[46:47]
	v_fma_f64 v[40:41], v[22:23], v[16:17], v[18:19]
	v_fma_f64 v[28:29], v[30:31], v[34:35], -v[28:29]
	v_fma_f64 v[30:31], v[32:33], v[34:35], v[36:37]
	v_add_f64 v[42:43], v[8:9], v[24:25]
	v_add_f64 v[44:45], v[6:7], v[26:27]
	ds_load_b128 v[6:9], v12 offset:1024
	ds_load_b128 v[16:19], v13 offset:64
	;; [unrolled: 1-line block ×4, first 2 shown]
	s_waitcnt lgkmcnt(2)
	v_mul_f64 v[46:47], v[18:19], v[8:9]
	v_mul_f64 v[8:9], v[16:17], v[8:9]
	s_waitcnt lgkmcnt(0)
	v_mul_f64 v[36:37], v[22:23], v[26:27]
	v_add_f64 v[32:33], v[42:43], v[38:39]
	v_add_f64 v[34:35], v[44:45], v[40:41]
	v_mul_f64 v[38:39], v[20:21], v[26:27]
	v_fma_f64 v[40:41], v[16:17], v[6:7], -v[46:47]
	v_fma_f64 v[42:43], v[18:19], v[6:7], v[8:9]
	v_fma_f64 v[20:21], v[20:21], v[24:25], -v[36:37]
	v_add_f64 v[44:45], v[32:33], v[28:29]
	v_add_f64 v[34:35], v[34:35], v[30:31]
	ds_load_b128 v[6:9], v12 offset:1536
	ds_load_b128 v[16:19], v13 offset:96
	;; [unrolled: 1-line block ×4, first 2 shown]
	v_fma_f64 v[22:23], v[22:23], v[24:25], v[38:39]
	s_waitcnt lgkmcnt(2)
	v_mul_f64 v[46:47], v[18:19], v[8:9]
	v_mul_f64 v[8:9], v[16:17], v[8:9]
	s_waitcnt lgkmcnt(0)
	v_mul_f64 v[36:37], v[28:29], v[32:33]
	v_mul_f64 v[38:39], v[26:27], v[32:33]
	v_add_f64 v[24:25], v[44:45], v[40:41]
	v_add_f64 v[34:35], v[34:35], v[42:43]
	v_fma_f64 v[40:41], v[16:17], v[6:7], -v[46:47]
	v_fma_f64 v[42:43], v[18:19], v[6:7], v[8:9]
	v_fma_f64 v[26:27], v[26:27], v[30:31], -v[36:37]
	v_fma_f64 v[28:29], v[28:29], v[30:31], v[38:39]
	v_add_f64 v[24:25], v[24:25], v[20:21]
	v_add_f64 v[44:45], v[34:35], v[22:23]
	ds_load_b128 v[6:9], v12 offset:2048
	ds_load_b128 v[16:19], v13 offset:128
	;; [unrolled: 1-line block ×4, first 2 shown]
	s_waitcnt lgkmcnt(2)
	v_mul_f64 v[46:47], v[18:19], v[8:9]
	v_mul_f64 v[8:9], v[16:17], v[8:9]
	s_waitcnt lgkmcnt(0)
	v_mul_f64 v[36:37], v[22:23], v[34:35]
	v_mul_f64 v[34:35], v[20:21], v[34:35]
	v_add_f64 v[24:25], v[24:25], v[40:41]
	v_add_f64 v[30:31], v[44:45], v[42:43]
	v_fma_f64 v[38:39], v[16:17], v[6:7], -v[46:47]
	v_fma_f64 v[40:41], v[18:19], v[6:7], v[8:9]
	v_fma_f64 v[20:21], v[20:21], v[32:33], -v[36:37]
	v_fma_f64 v[22:23], v[22:23], v[32:33], v[34:35]
	v_add_f64 v[42:43], v[24:25], v[26:27]
	v_add_f64 v[44:45], v[30:31], v[28:29]
	ds_load_b128 v[6:9], v12 offset:2560
	ds_load_b128 v[16:19], v13 offset:160
	;; [unrolled: 1-line block ×4, first 2 shown]
	s_waitcnt lgkmcnt(2)
	v_mul_f64 v[46:47], v[18:19], v[8:9]
	v_mul_f64 v[8:9], v[16:17], v[8:9]
	s_waitcnt lgkmcnt(0)
	v_mul_f64 v[36:37], v[26:27], v[30:31]
	v_add_f64 v[32:33], v[42:43], v[38:39]
	v_add_f64 v[34:35], v[44:45], v[40:41]
	v_mul_f64 v[38:39], v[24:25], v[30:31]
	v_fma_f64 v[40:41], v[16:17], v[6:7], -v[46:47]
	v_fma_f64 v[42:43], v[18:19], v[6:7], v[8:9]
	v_fma_f64 v[24:25], v[24:25], v[28:29], -v[36:37]
	v_add_f64 v[44:45], v[32:33], v[20:21]
	v_add_f64 v[34:35], v[34:35], v[22:23]
	ds_load_b128 v[6:9], v12 offset:3072
	ds_load_b128 v[16:19], v13 offset:192
	;; [unrolled: 1-line block ×4, first 2 shown]
	v_fma_f64 v[26:27], v[26:27], v[28:29], v[38:39]
	s_waitcnt lgkmcnt(2)
	v_mul_f64 v[46:47], v[18:19], v[8:9]
	v_mul_f64 v[8:9], v[16:17], v[8:9]
	s_waitcnt lgkmcnt(0)
	v_mul_f64 v[36:37], v[22:23], v[32:33]
	v_mul_f64 v[38:39], v[20:21], v[32:33]
	v_add_f64 v[28:29], v[44:45], v[40:41]
	v_add_f64 v[34:35], v[34:35], v[42:43]
	v_fma_f64 v[40:41], v[16:17], v[6:7], -v[46:47]
	v_fma_f64 v[42:43], v[18:19], v[6:7], v[8:9]
	v_fma_f64 v[20:21], v[20:21], v[30:31], -v[36:37]
	v_fma_f64 v[22:23], v[22:23], v[30:31], v[38:39]
	v_add_f64 v[28:29], v[28:29], v[24:25]
	v_add_f64 v[44:45], v[34:35], v[26:27]
	ds_load_b128 v[6:9], v12 offset:3584
	ds_load_b128 v[16:19], v13 offset:224
	;; [unrolled: 1-line block ×4, first 2 shown]
	s_waitcnt lgkmcnt(0)
	s_barrier
	buffer_gl0_inv
	v_mul_f64 v[46:47], v[18:19], v[8:9]
	v_mul_f64 v[8:9], v[16:17], v[8:9]
	;; [unrolled: 1-line block ×4, first 2 shown]
	v_add_f64 v[28:29], v[28:29], v[40:41]
	v_add_f64 v[30:31], v[44:45], v[42:43]
	v_fma_f64 v[16:17], v[16:17], v[6:7], -v[46:47]
	v_fma_f64 v[6:7], v[18:19], v[6:7], v[8:9]
	s_delay_alu instid0(VALU_DEP_4) | instskip(NEXT) | instid1(VALU_DEP_4)
	v_add_f64 v[8:9], v[28:29], v[20:21]
	v_add_f64 v[18:19], v[30:31], v[22:23]
	v_fma_f64 v[20:21], v[24:25], v[32:33], -v[36:37]
	v_fma_f64 v[22:23], v[26:27], v[32:33], v[34:35]
	s_delay_alu instid0(VALU_DEP_4) | instskip(NEXT) | instid1(VALU_DEP_4)
	v_add_f64 v[8:9], v[8:9], v[16:17]
	v_add_f64 v[6:7], v[18:19], v[6:7]
	s_delay_alu instid0(VALU_DEP_2) | instskip(NEXT) | instid1(VALU_DEP_2)
	v_add_f64 v[8:9], v[8:9], v[20:21]
	v_add_f64 v[6:7], v[6:7], v[22:23]
	s_cbranch_vccnz .LBB1196_2
.LBB1196_3:
	s_mov_b32 s2, exec_lo
	v_cmpx_le_i32_e64 v0, v10
	s_cbranch_execz .LBB1196_5
; %bb.4:
	s_delay_alu instid0(VALU_DEP_2)
	v_mul_f64 v[2:3], s[20:21], v[6:7]
	v_mul_f64 v[4:5], s[18:19], v[6:7]
	s_clause 0x1
	s_load_b128 s[4:7], s[0:1], 0x60
	s_load_b64 s[0:1], s[0:1], 0x70
	v_lshlrev_b64 v[0:1], 4, v[0:1]
	s_waitcnt lgkmcnt(0)
	v_mad_u64_u32 v[6:7], null, v10, s6, 0
	s_mul_i32 s1, s15, s1
	s_mul_hi_u32 s2, s15, s0
	s_mul_i32 s0, s15, s0
	s_add_i32 s1, s2, s1
	s_delay_alu instid0(SALU_CYCLE_1) | instskip(NEXT) | instid1(SALU_CYCLE_1)
	s_lshl_b64 s[0:1], s[0:1], 4
	s_add_u32 s0, s4, s0
	s_addc_u32 s1, s5, s1
	s_delay_alu instid0(VALU_DEP_4) | instskip(NEXT) | instid1(VALU_DEP_4)
	v_fma_f64 v[2:3], s[18:19], v[8:9], -v[2:3]
	v_fma_f64 v[4:5], s[20:21], v[8:9], v[4:5]
	v_mul_lo_u32 v8, v10, s7
	v_mul_lo_u32 v9, v11, s6
	s_delay_alu instid0(VALU_DEP_1) | instskip(NEXT) | instid1(VALU_DEP_1)
	v_add3_u32 v7, v7, v8, v9
	v_lshlrev_b64 v[6:7], 4, v[6:7]
	s_delay_alu instid0(VALU_DEP_1) | instskip(NEXT) | instid1(VALU_DEP_2)
	v_add_co_u32 v6, vcc_lo, s0, v6
	v_add_co_ci_u32_e32 v7, vcc_lo, s1, v7, vcc_lo
	s_delay_alu instid0(VALU_DEP_2) | instskip(NEXT) | instid1(VALU_DEP_2)
	v_add_co_u32 v0, vcc_lo, v6, v0
	v_add_co_ci_u32_e32 v1, vcc_lo, v7, v1, vcc_lo
	global_store_b128 v[0:1], v[2:5], off
.LBB1196_5:
	s_nop 0
	s_sendmsg sendmsg(MSG_DEALLOC_VGPRS)
	s_endpgm
	.section	.rodata,"a",@progbits
	.p2align	6, 0x0
	.amdhsa_kernel _ZL41rocblas_syrkx_herkx_small_restrict_kernelIl19rocblas_complex_numIdELi16ELb1ELb0ELc84ELc85EKS1_S1_EviT_T0_PT6_S3_lS6_S3_lS4_PT7_S3_li
		.amdhsa_group_segment_fixed_size 8192
		.amdhsa_private_segment_fixed_size 0
		.amdhsa_kernarg_size 124
		.amdhsa_user_sgpr_count 13
		.amdhsa_user_sgpr_dispatch_ptr 0
		.amdhsa_user_sgpr_queue_ptr 0
		.amdhsa_user_sgpr_kernarg_segment_ptr 1
		.amdhsa_user_sgpr_dispatch_id 0
		.amdhsa_user_sgpr_private_segment_size 0
		.amdhsa_wavefront_size32 1
		.amdhsa_uses_dynamic_stack 0
		.amdhsa_enable_private_segment 0
		.amdhsa_system_sgpr_workgroup_id_x 1
		.amdhsa_system_sgpr_workgroup_id_y 1
		.amdhsa_system_sgpr_workgroup_id_z 1
		.amdhsa_system_sgpr_workgroup_info 0
		.amdhsa_system_vgpr_workitem_id 1
		.amdhsa_next_free_vgpr 48
		.amdhsa_next_free_sgpr 32
		.amdhsa_reserve_vcc 1
		.amdhsa_float_round_mode_32 0
		.amdhsa_float_round_mode_16_64 0
		.amdhsa_float_denorm_mode_32 3
		.amdhsa_float_denorm_mode_16_64 3
		.amdhsa_dx10_clamp 1
		.amdhsa_ieee_mode 1
		.amdhsa_fp16_overflow 0
		.amdhsa_workgroup_processor_mode 1
		.amdhsa_memory_ordered 1
		.amdhsa_forward_progress 0
		.amdhsa_shared_vgpr_count 0
		.amdhsa_exception_fp_ieee_invalid_op 0
		.amdhsa_exception_fp_denorm_src 0
		.amdhsa_exception_fp_ieee_div_zero 0
		.amdhsa_exception_fp_ieee_overflow 0
		.amdhsa_exception_fp_ieee_underflow 0
		.amdhsa_exception_fp_ieee_inexact 0
		.amdhsa_exception_int_div_zero 0
	.end_amdhsa_kernel
	.section	.text._ZL41rocblas_syrkx_herkx_small_restrict_kernelIl19rocblas_complex_numIdELi16ELb1ELb0ELc84ELc85EKS1_S1_EviT_T0_PT6_S3_lS6_S3_lS4_PT7_S3_li,"axG",@progbits,_ZL41rocblas_syrkx_herkx_small_restrict_kernelIl19rocblas_complex_numIdELi16ELb1ELb0ELc84ELc85EKS1_S1_EviT_T0_PT6_S3_lS6_S3_lS4_PT7_S3_li,comdat
.Lfunc_end1196:
	.size	_ZL41rocblas_syrkx_herkx_small_restrict_kernelIl19rocblas_complex_numIdELi16ELb1ELb0ELc84ELc85EKS1_S1_EviT_T0_PT6_S3_lS6_S3_lS4_PT7_S3_li, .Lfunc_end1196-_ZL41rocblas_syrkx_herkx_small_restrict_kernelIl19rocblas_complex_numIdELi16ELb1ELb0ELc84ELc85EKS1_S1_EviT_T0_PT6_S3_lS6_S3_lS4_PT7_S3_li
                                        ; -- End function
	.section	.AMDGPU.csdata,"",@progbits
; Kernel info:
; codeLenInByte = 1800
; NumSgprs: 34
; NumVgprs: 48
; ScratchSize: 0
; MemoryBound: 0
; FloatMode: 240
; IeeeMode: 1
; LDSByteSize: 8192 bytes/workgroup (compile time only)
; SGPRBlocks: 4
; VGPRBlocks: 5
; NumSGPRsForWavesPerEU: 34
; NumVGPRsForWavesPerEU: 48
; Occupancy: 16
; WaveLimiterHint : 0
; COMPUTE_PGM_RSRC2:SCRATCH_EN: 0
; COMPUTE_PGM_RSRC2:USER_SGPR: 13
; COMPUTE_PGM_RSRC2:TRAP_HANDLER: 0
; COMPUTE_PGM_RSRC2:TGID_X_EN: 1
; COMPUTE_PGM_RSRC2:TGID_Y_EN: 1
; COMPUTE_PGM_RSRC2:TGID_Z_EN: 1
; COMPUTE_PGM_RSRC2:TIDIG_COMP_CNT: 1
	.section	.text._ZL41rocblas_syrkx_herkx_small_restrict_kernelIl19rocblas_complex_numIdELi16ELb1ELb0ELc67ELc85EKS1_S1_EviT_T0_PT6_S3_lS6_S3_lS4_PT7_S3_li,"axG",@progbits,_ZL41rocblas_syrkx_herkx_small_restrict_kernelIl19rocblas_complex_numIdELi16ELb1ELb0ELc67ELc85EKS1_S1_EviT_T0_PT6_S3_lS6_S3_lS4_PT7_S3_li,comdat
	.globl	_ZL41rocblas_syrkx_herkx_small_restrict_kernelIl19rocblas_complex_numIdELi16ELb1ELb0ELc67ELc85EKS1_S1_EviT_T0_PT6_S3_lS6_S3_lS4_PT7_S3_li ; -- Begin function _ZL41rocblas_syrkx_herkx_small_restrict_kernelIl19rocblas_complex_numIdELi16ELb1ELb0ELc67ELc85EKS1_S1_EviT_T0_PT6_S3_lS6_S3_lS4_PT7_S3_li
	.p2align	8
	.type	_ZL41rocblas_syrkx_herkx_small_restrict_kernelIl19rocblas_complex_numIdELi16ELb1ELb0ELc67ELc85EKS1_S1_EviT_T0_PT6_S3_lS6_S3_lS4_PT7_S3_li,@function
_ZL41rocblas_syrkx_herkx_small_restrict_kernelIl19rocblas_complex_numIdELi16ELb1ELb0ELc67ELc85EKS1_S1_EviT_T0_PT6_S3_lS6_S3_lS4_PT7_S3_li: ; @_ZL41rocblas_syrkx_herkx_small_restrict_kernelIl19rocblas_complex_numIdELi16ELb1ELb0ELc67ELc85EKS1_S1_EviT_T0_PT6_S3_lS6_S3_lS4_PT7_S3_li
; %bb.0:
	s_load_b512 s[16:31], s[0:1], 0x8
	v_dual_mov_b32 v6, 0 :: v_dual_and_b32 v3, 0x3ff, v0
	v_bfe_u32 v2, v0, 10, 10
	v_mov_b32_e32 v7, 0
	s_delay_alu instid0(VALU_DEP_3) | instskip(NEXT) | instid1(VALU_DEP_3)
	v_lshl_add_u32 v0, s13, 4, v3
	v_lshl_add_u32 v10, s14, 4, v2
	s_delay_alu instid0(VALU_DEP_3) | instskip(NEXT) | instid1(VALU_DEP_3)
	v_dual_mov_b32 v9, v7 :: v_dual_mov_b32 v8, v6
	v_ashrrev_i32_e32 v1, 31, v0
	s_delay_alu instid0(VALU_DEP_3) | instskip(SKIP_2) | instid1(VALU_DEP_1)
	v_ashrrev_i32_e32 v11, 31, v10
	s_waitcnt lgkmcnt(0)
	v_cmp_lt_i64_e64 s2, s[16:17], 1
	s_and_b32 vcc_lo, exec_lo, s2
	s_cbranch_vccnz .LBB1197_3
; %bb.1:
	s_load_b64 s[2:3], s[0:1], 0x48
	v_mul_lo_u32 v9, s31, v10
	v_mul_lo_u32 v14, s30, v11
	v_mad_u64_u32 v[4:5], null, s30, v10, 0
	v_mul_lo_u32 v15, s25, v0
	v_mul_lo_u32 v16, s24, v1
	v_mad_u64_u32 v[6:7], null, s24, v0, 0
	v_lshlrev_b32_e32 v12, 4, v3
	s_mul_i32 s4, s27, s15
	v_add3_u32 v5, v5, v14, v9
	s_mul_hi_u32 s5, s26, s15
	v_lshlrev_b32_e32 v8, 8, v2
	s_add_i32 s5, s5, s4
	s_delay_alu instid0(VALU_DEP_4)
	v_add3_u32 v7, v7, v16, v15
	v_lshlrev_b64 v[3:4], 4, v[4:5]
	s_mul_i32 s4, s26, s15
	v_lshlrev_b32_e32 v2, 4, v2
	s_lshl_b64 s[4:5], s[4:5], 4
	v_lshlrev_b64 v[5:6], 4, v[6:7]
	s_waitcnt lgkmcnt(0)
	s_mul_i32 s3, s3, s15
	s_mul_hi_u32 s6, s2, s15
	s_mul_i32 s2, s2, s15
	s_add_i32 s3, s6, s3
	v_add_co_u32 v5, vcc_lo, v5, s4
	s_lshl_b64 s[2:3], s[2:3], 4
	v_add_co_ci_u32_e32 v6, vcc_lo, s5, v6, vcc_lo
	v_add_co_u32 v3, vcc_lo, v3, s2
	v_add_co_ci_u32_e32 v4, vcc_lo, s3, v4, vcc_lo
	v_add_co_u32 v2, vcc_lo, v5, v2
	s_delay_alu instid0(VALU_DEP_4) | instskip(NEXT) | instid1(VALU_DEP_4)
	v_add_co_ci_u32_e32 v5, vcc_lo, 0, v6, vcc_lo
	v_add_co_u32 v3, vcc_lo, v3, v12
	s_delay_alu instid0(VALU_DEP_4)
	v_add_co_ci_u32_e32 v4, vcc_lo, 0, v4, vcc_lo
	v_mov_b32_e32 v6, 0
	v_mov_b32_e32 v7, 0
	v_add_nc_u32_e32 v13, 0x1000, v8
	v_add_nc_u32_e32 v14, v12, v8
	v_add_co_u32 v8, vcc_lo, v2, s22
	v_add_co_ci_u32_e32 v5, vcc_lo, s23, v5, vcc_lo
	v_add_co_u32 v2, vcc_lo, s28, v3
	v_add_co_ci_u32_e32 v3, vcc_lo, s29, v4, vcc_lo
	s_delay_alu instid0(VALU_DEP_4)
	v_add_co_u32 v4, vcc_lo, v8, 8
	v_dual_mov_b32 v9, v7 :: v_dual_mov_b32 v8, v6
	v_add_nc_u32_e32 v15, v13, v12
	v_add_co_ci_u32_e32 v5, vcc_lo, 0, v5, vcc_lo
	s_mov_b64 s[2:3], 0
.LBB1197_2:                             ; =>This Inner Loop Header: Depth=1
	global_load_b128 v[16:19], v[4:5], off offset:-8
	global_load_b128 v[20:23], v[2:3], off
	s_add_u32 s2, s2, 16
	v_add_co_u32 v2, vcc_lo, 0x100, v2
	s_addc_u32 s3, s3, 0
	v_add_co_ci_u32_e32 v3, vcc_lo, 0, v3, vcc_lo
	v_cmp_lt_i64_e64 s4, s[2:3], s[16:17]
	v_add_co_u32 v4, vcc_lo, 0x100, v4
	v_add_co_ci_u32_e32 v5, vcc_lo, 0, v5, vcc_lo
	s_waitcnt vmcnt(1)
	ds_store_b128 v14, v[16:19]
	s_waitcnt vmcnt(0)
	ds_store_2addr_b64 v15, v[20:21], v[22:23] offset1:1
	s_waitcnt lgkmcnt(0)
	s_barrier
	buffer_gl0_inv
	ds_load_b128 v[16:19], v12
	ds_load_b128 v[20:23], v13
	ds_load_b128 v[24:27], v13 offset:16
	ds_load_b128 v[28:31], v12 offset:256
	s_and_b32 vcc_lo, exec_lo, s4
	s_waitcnt lgkmcnt(2)
	v_mul_f64 v[32:33], v[22:23], v[18:19]
	v_mul_f64 v[18:19], v[20:21], v[18:19]
	s_waitcnt lgkmcnt(0)
	v_mul_f64 v[38:39], v[26:27], v[30:31]
	v_mul_f64 v[40:41], v[24:25], v[30:31]
	s_delay_alu instid0(VALU_DEP_4) | instskip(NEXT) | instid1(VALU_DEP_4)
	v_fma_f64 v[42:43], v[20:21], v[16:17], -v[32:33]
	v_fma_f64 v[44:45], v[22:23], v[16:17], v[18:19]
	ds_load_b128 v[16:19], v12 offset:512
	ds_load_b128 v[20:23], v13 offset:32
	;; [unrolled: 1-line block ×4, first 2 shown]
	v_fma_f64 v[24:25], v[24:25], v[28:29], -v[38:39]
	v_fma_f64 v[26:27], v[26:27], v[28:29], v[40:41]
	s_waitcnt lgkmcnt(2)
	v_mul_f64 v[46:47], v[22:23], v[18:19]
	v_mul_f64 v[18:19], v[20:21], v[18:19]
	s_waitcnt lgkmcnt(0)
	v_mul_f64 v[28:29], v[32:33], v[36:37]
	v_mul_f64 v[36:37], v[30:31], v[36:37]
	v_add_f64 v[8:9], v[8:9], v[42:43]
	v_add_f64 v[6:7], v[6:7], v[44:45]
	v_fma_f64 v[38:39], v[20:21], v[16:17], -v[46:47]
	v_fma_f64 v[40:41], v[22:23], v[16:17], v[18:19]
	v_fma_f64 v[28:29], v[30:31], v[34:35], -v[28:29]
	v_fma_f64 v[30:31], v[32:33], v[34:35], v[36:37]
	v_add_f64 v[42:43], v[8:9], v[24:25]
	v_add_f64 v[44:45], v[6:7], v[26:27]
	ds_load_b128 v[6:9], v12 offset:1024
	ds_load_b128 v[16:19], v13 offset:64
	;; [unrolled: 1-line block ×4, first 2 shown]
	s_waitcnt lgkmcnt(2)
	v_mul_f64 v[46:47], v[18:19], v[8:9]
	v_mul_f64 v[8:9], v[16:17], v[8:9]
	s_waitcnt lgkmcnt(0)
	v_mul_f64 v[36:37], v[22:23], v[26:27]
	v_add_f64 v[32:33], v[42:43], v[38:39]
	v_add_f64 v[34:35], v[44:45], v[40:41]
	v_mul_f64 v[38:39], v[20:21], v[26:27]
	v_fma_f64 v[40:41], v[16:17], v[6:7], -v[46:47]
	v_fma_f64 v[42:43], v[18:19], v[6:7], v[8:9]
	v_fma_f64 v[20:21], v[20:21], v[24:25], -v[36:37]
	v_add_f64 v[44:45], v[32:33], v[28:29]
	v_add_f64 v[34:35], v[34:35], v[30:31]
	ds_load_b128 v[6:9], v12 offset:1536
	ds_load_b128 v[16:19], v13 offset:96
	;; [unrolled: 1-line block ×4, first 2 shown]
	v_fma_f64 v[22:23], v[22:23], v[24:25], v[38:39]
	s_waitcnt lgkmcnt(2)
	v_mul_f64 v[46:47], v[18:19], v[8:9]
	v_mul_f64 v[8:9], v[16:17], v[8:9]
	s_waitcnt lgkmcnt(0)
	v_mul_f64 v[36:37], v[28:29], v[32:33]
	v_mul_f64 v[38:39], v[26:27], v[32:33]
	v_add_f64 v[24:25], v[44:45], v[40:41]
	v_add_f64 v[34:35], v[34:35], v[42:43]
	v_fma_f64 v[40:41], v[16:17], v[6:7], -v[46:47]
	v_fma_f64 v[42:43], v[18:19], v[6:7], v[8:9]
	v_fma_f64 v[26:27], v[26:27], v[30:31], -v[36:37]
	v_fma_f64 v[28:29], v[28:29], v[30:31], v[38:39]
	v_add_f64 v[24:25], v[24:25], v[20:21]
	v_add_f64 v[44:45], v[34:35], v[22:23]
	ds_load_b128 v[6:9], v12 offset:2048
	ds_load_b128 v[16:19], v13 offset:128
	;; [unrolled: 1-line block ×4, first 2 shown]
	s_waitcnt lgkmcnt(2)
	v_mul_f64 v[46:47], v[18:19], v[8:9]
	v_mul_f64 v[8:9], v[16:17], v[8:9]
	s_waitcnt lgkmcnt(0)
	v_mul_f64 v[36:37], v[22:23], v[34:35]
	v_mul_f64 v[34:35], v[20:21], v[34:35]
	v_add_f64 v[24:25], v[24:25], v[40:41]
	v_add_f64 v[30:31], v[44:45], v[42:43]
	v_fma_f64 v[38:39], v[16:17], v[6:7], -v[46:47]
	v_fma_f64 v[40:41], v[18:19], v[6:7], v[8:9]
	v_fma_f64 v[20:21], v[20:21], v[32:33], -v[36:37]
	v_fma_f64 v[22:23], v[22:23], v[32:33], v[34:35]
	v_add_f64 v[42:43], v[24:25], v[26:27]
	v_add_f64 v[44:45], v[30:31], v[28:29]
	ds_load_b128 v[6:9], v12 offset:2560
	ds_load_b128 v[16:19], v13 offset:160
	;; [unrolled: 1-line block ×4, first 2 shown]
	s_waitcnt lgkmcnt(2)
	v_mul_f64 v[46:47], v[18:19], v[8:9]
	v_mul_f64 v[8:9], v[16:17], v[8:9]
	s_waitcnt lgkmcnt(0)
	v_mul_f64 v[36:37], v[26:27], v[30:31]
	v_add_f64 v[32:33], v[42:43], v[38:39]
	v_add_f64 v[34:35], v[44:45], v[40:41]
	v_mul_f64 v[38:39], v[24:25], v[30:31]
	v_fma_f64 v[40:41], v[16:17], v[6:7], -v[46:47]
	v_fma_f64 v[42:43], v[18:19], v[6:7], v[8:9]
	v_fma_f64 v[24:25], v[24:25], v[28:29], -v[36:37]
	v_add_f64 v[44:45], v[32:33], v[20:21]
	v_add_f64 v[34:35], v[34:35], v[22:23]
	ds_load_b128 v[6:9], v12 offset:3072
	ds_load_b128 v[16:19], v13 offset:192
	ds_load_b128 v[20:23], v13 offset:208
	ds_load_b128 v[30:33], v12 offset:3328
	v_fma_f64 v[26:27], v[26:27], v[28:29], v[38:39]
	s_waitcnt lgkmcnt(2)
	v_mul_f64 v[46:47], v[18:19], v[8:9]
	v_mul_f64 v[8:9], v[16:17], v[8:9]
	s_waitcnt lgkmcnt(0)
	v_mul_f64 v[36:37], v[22:23], v[32:33]
	v_mul_f64 v[38:39], v[20:21], v[32:33]
	v_add_f64 v[28:29], v[44:45], v[40:41]
	v_add_f64 v[34:35], v[34:35], v[42:43]
	v_fma_f64 v[40:41], v[16:17], v[6:7], -v[46:47]
	v_fma_f64 v[42:43], v[18:19], v[6:7], v[8:9]
	v_fma_f64 v[20:21], v[20:21], v[30:31], -v[36:37]
	v_fma_f64 v[22:23], v[22:23], v[30:31], v[38:39]
	v_add_f64 v[28:29], v[28:29], v[24:25]
	v_add_f64 v[44:45], v[34:35], v[26:27]
	ds_load_b128 v[6:9], v12 offset:3584
	ds_load_b128 v[16:19], v13 offset:224
	;; [unrolled: 1-line block ×4, first 2 shown]
	s_waitcnt lgkmcnt(0)
	s_barrier
	buffer_gl0_inv
	v_mul_f64 v[46:47], v[18:19], v[8:9]
	v_mul_f64 v[8:9], v[16:17], v[8:9]
	v_mul_f64 v[36:37], v[26:27], v[34:35]
	v_mul_f64 v[34:35], v[24:25], v[34:35]
	v_add_f64 v[28:29], v[28:29], v[40:41]
	v_add_f64 v[30:31], v[44:45], v[42:43]
	v_fma_f64 v[16:17], v[16:17], v[6:7], -v[46:47]
	v_fma_f64 v[6:7], v[18:19], v[6:7], v[8:9]
	s_delay_alu instid0(VALU_DEP_4) | instskip(NEXT) | instid1(VALU_DEP_4)
	v_add_f64 v[8:9], v[28:29], v[20:21]
	v_add_f64 v[18:19], v[30:31], v[22:23]
	v_fma_f64 v[20:21], v[24:25], v[32:33], -v[36:37]
	v_fma_f64 v[22:23], v[26:27], v[32:33], v[34:35]
	s_delay_alu instid0(VALU_DEP_4) | instskip(NEXT) | instid1(VALU_DEP_4)
	v_add_f64 v[8:9], v[8:9], v[16:17]
	v_add_f64 v[6:7], v[18:19], v[6:7]
	s_delay_alu instid0(VALU_DEP_2) | instskip(NEXT) | instid1(VALU_DEP_2)
	v_add_f64 v[8:9], v[8:9], v[20:21]
	v_add_f64 v[6:7], v[6:7], v[22:23]
	s_cbranch_vccnz .LBB1197_2
.LBB1197_3:
	s_mov_b32 s2, exec_lo
	v_cmpx_le_i32_e64 v0, v10
	s_cbranch_execz .LBB1197_5
; %bb.4:
	s_delay_alu instid0(VALU_DEP_2)
	v_mul_f64 v[2:3], s[20:21], v[6:7]
	v_mul_f64 v[4:5], s[18:19], v[6:7]
	s_clause 0x1
	s_load_b128 s[4:7], s[0:1], 0x60
	s_load_b64 s[0:1], s[0:1], 0x70
	v_lshlrev_b64 v[0:1], 4, v[0:1]
	s_waitcnt lgkmcnt(0)
	v_mad_u64_u32 v[6:7], null, v10, s6, 0
	s_mul_i32 s1, s15, s1
	s_mul_hi_u32 s2, s15, s0
	s_mul_i32 s0, s15, s0
	s_add_i32 s1, s2, s1
	s_delay_alu instid0(SALU_CYCLE_1) | instskip(NEXT) | instid1(SALU_CYCLE_1)
	s_lshl_b64 s[0:1], s[0:1], 4
	s_add_u32 s0, s4, s0
	s_addc_u32 s1, s5, s1
	s_delay_alu instid0(VALU_DEP_4) | instskip(NEXT) | instid1(VALU_DEP_4)
	v_fma_f64 v[2:3], s[18:19], v[8:9], -v[2:3]
	v_fma_f64 v[4:5], s[20:21], v[8:9], v[4:5]
	v_mul_lo_u32 v8, v10, s7
	v_mul_lo_u32 v9, v11, s6
	s_delay_alu instid0(VALU_DEP_1) | instskip(NEXT) | instid1(VALU_DEP_1)
	v_add3_u32 v7, v7, v8, v9
	v_lshlrev_b64 v[6:7], 4, v[6:7]
	s_delay_alu instid0(VALU_DEP_1) | instskip(NEXT) | instid1(VALU_DEP_2)
	v_add_co_u32 v6, vcc_lo, s0, v6
	v_add_co_ci_u32_e32 v7, vcc_lo, s1, v7, vcc_lo
	s_delay_alu instid0(VALU_DEP_2) | instskip(NEXT) | instid1(VALU_DEP_2)
	v_add_co_u32 v0, vcc_lo, v6, v0
	v_add_co_ci_u32_e32 v1, vcc_lo, v7, v1, vcc_lo
	global_store_b128 v[0:1], v[2:5], off
.LBB1197_5:
	s_nop 0
	s_sendmsg sendmsg(MSG_DEALLOC_VGPRS)
	s_endpgm
	.section	.rodata,"a",@progbits
	.p2align	6, 0x0
	.amdhsa_kernel _ZL41rocblas_syrkx_herkx_small_restrict_kernelIl19rocblas_complex_numIdELi16ELb1ELb0ELc67ELc85EKS1_S1_EviT_T0_PT6_S3_lS6_S3_lS4_PT7_S3_li
		.amdhsa_group_segment_fixed_size 8192
		.amdhsa_private_segment_fixed_size 0
		.amdhsa_kernarg_size 124
		.amdhsa_user_sgpr_count 13
		.amdhsa_user_sgpr_dispatch_ptr 0
		.amdhsa_user_sgpr_queue_ptr 0
		.amdhsa_user_sgpr_kernarg_segment_ptr 1
		.amdhsa_user_sgpr_dispatch_id 0
		.amdhsa_user_sgpr_private_segment_size 0
		.amdhsa_wavefront_size32 1
		.amdhsa_uses_dynamic_stack 0
		.amdhsa_enable_private_segment 0
		.amdhsa_system_sgpr_workgroup_id_x 1
		.amdhsa_system_sgpr_workgroup_id_y 1
		.amdhsa_system_sgpr_workgroup_id_z 1
		.amdhsa_system_sgpr_workgroup_info 0
		.amdhsa_system_vgpr_workitem_id 1
		.amdhsa_next_free_vgpr 48
		.amdhsa_next_free_sgpr 32
		.amdhsa_reserve_vcc 1
		.amdhsa_float_round_mode_32 0
		.amdhsa_float_round_mode_16_64 0
		.amdhsa_float_denorm_mode_32 3
		.amdhsa_float_denorm_mode_16_64 3
		.amdhsa_dx10_clamp 1
		.amdhsa_ieee_mode 1
		.amdhsa_fp16_overflow 0
		.amdhsa_workgroup_processor_mode 1
		.amdhsa_memory_ordered 1
		.amdhsa_forward_progress 0
		.amdhsa_shared_vgpr_count 0
		.amdhsa_exception_fp_ieee_invalid_op 0
		.amdhsa_exception_fp_denorm_src 0
		.amdhsa_exception_fp_ieee_div_zero 0
		.amdhsa_exception_fp_ieee_overflow 0
		.amdhsa_exception_fp_ieee_underflow 0
		.amdhsa_exception_fp_ieee_inexact 0
		.amdhsa_exception_int_div_zero 0
	.end_amdhsa_kernel
	.section	.text._ZL41rocblas_syrkx_herkx_small_restrict_kernelIl19rocblas_complex_numIdELi16ELb1ELb0ELc67ELc85EKS1_S1_EviT_T0_PT6_S3_lS6_S3_lS4_PT7_S3_li,"axG",@progbits,_ZL41rocblas_syrkx_herkx_small_restrict_kernelIl19rocblas_complex_numIdELi16ELb1ELb0ELc67ELc85EKS1_S1_EviT_T0_PT6_S3_lS6_S3_lS4_PT7_S3_li,comdat
.Lfunc_end1197:
	.size	_ZL41rocblas_syrkx_herkx_small_restrict_kernelIl19rocblas_complex_numIdELi16ELb1ELb0ELc67ELc85EKS1_S1_EviT_T0_PT6_S3_lS6_S3_lS4_PT7_S3_li, .Lfunc_end1197-_ZL41rocblas_syrkx_herkx_small_restrict_kernelIl19rocblas_complex_numIdELi16ELb1ELb0ELc67ELc85EKS1_S1_EviT_T0_PT6_S3_lS6_S3_lS4_PT7_S3_li
                                        ; -- End function
	.section	.AMDGPU.csdata,"",@progbits
; Kernel info:
; codeLenInByte = 1816
; NumSgprs: 34
; NumVgprs: 48
; ScratchSize: 0
; MemoryBound: 0
; FloatMode: 240
; IeeeMode: 1
; LDSByteSize: 8192 bytes/workgroup (compile time only)
; SGPRBlocks: 4
; VGPRBlocks: 5
; NumSGPRsForWavesPerEU: 34
; NumVGPRsForWavesPerEU: 48
; Occupancy: 16
; WaveLimiterHint : 0
; COMPUTE_PGM_RSRC2:SCRATCH_EN: 0
; COMPUTE_PGM_RSRC2:USER_SGPR: 13
; COMPUTE_PGM_RSRC2:TRAP_HANDLER: 0
; COMPUTE_PGM_RSRC2:TGID_X_EN: 1
; COMPUTE_PGM_RSRC2:TGID_Y_EN: 1
; COMPUTE_PGM_RSRC2:TGID_Z_EN: 1
; COMPUTE_PGM_RSRC2:TIDIG_COMP_CNT: 1
	.section	.text._ZL41rocblas_syrkx_herkx_small_restrict_kernelIl19rocblas_complex_numIdELi16ELb1ELb0ELc78ELc85EKS1_S1_EviT_T0_PT6_S3_lS6_S3_lS4_PT7_S3_li,"axG",@progbits,_ZL41rocblas_syrkx_herkx_small_restrict_kernelIl19rocblas_complex_numIdELi16ELb1ELb0ELc78ELc85EKS1_S1_EviT_T0_PT6_S3_lS6_S3_lS4_PT7_S3_li,comdat
	.globl	_ZL41rocblas_syrkx_herkx_small_restrict_kernelIl19rocblas_complex_numIdELi16ELb1ELb0ELc78ELc85EKS1_S1_EviT_T0_PT6_S3_lS6_S3_lS4_PT7_S3_li ; -- Begin function _ZL41rocblas_syrkx_herkx_small_restrict_kernelIl19rocblas_complex_numIdELi16ELb1ELb0ELc78ELc85EKS1_S1_EviT_T0_PT6_S3_lS6_S3_lS4_PT7_S3_li
	.p2align	8
	.type	_ZL41rocblas_syrkx_herkx_small_restrict_kernelIl19rocblas_complex_numIdELi16ELb1ELb0ELc78ELc85EKS1_S1_EviT_T0_PT6_S3_lS6_S3_lS4_PT7_S3_li,@function
_ZL41rocblas_syrkx_herkx_small_restrict_kernelIl19rocblas_complex_numIdELi16ELb1ELb0ELc78ELc85EKS1_S1_EviT_T0_PT6_S3_lS6_S3_lS4_PT7_S3_li: ; @_ZL41rocblas_syrkx_herkx_small_restrict_kernelIl19rocblas_complex_numIdELi16ELb1ELb0ELc78ELc85EKS1_S1_EviT_T0_PT6_S3_lS6_S3_lS4_PT7_S3_li
; %bb.0:
	s_load_b512 s[16:31], s[0:1], 0x8
	v_dual_mov_b32 v8, 0 :: v_dual_and_b32 v5, 0x3ff, v0
	v_bfe_u32 v4, v0, 10, 10
	v_mov_b32_e32 v9, 0
	s_delay_alu instid0(VALU_DEP_3) | instskip(NEXT) | instid1(VALU_DEP_3)
	v_lshl_add_u32 v0, s13, 4, v5
	v_lshl_add_u32 v2, s14, 4, v4
	s_delay_alu instid0(VALU_DEP_3) | instskip(NEXT) | instid1(VALU_DEP_3)
	v_dual_mov_b32 v11, v9 :: v_dual_mov_b32 v10, v8
	v_ashrrev_i32_e32 v1, 31, v0
	s_delay_alu instid0(VALU_DEP_3) | instskip(SKIP_2) | instid1(VALU_DEP_1)
	v_ashrrev_i32_e32 v3, 31, v2
	s_waitcnt lgkmcnt(0)
	v_cmp_lt_i64_e64 s2, s[16:17], 1
	s_and_b32 vcc_lo, exec_lo, s2
	s_cbranch_vccnz .LBB1198_3
; %bb.1:
	v_mad_u64_u32 v[6:7], null, s30, v5, 0
	v_mad_u64_u32 v[8:9], null, s24, v4, 0
	s_load_b64 s[2:3], s[0:1], 0x48
	v_lshlrev_b32_e32 v18, 8, v4
	s_mul_i32 s5, s27, s15
	s_mul_hi_u32 s6, s26, s15
	v_lshlrev_b64 v[10:11], 4, v[2:3]
	s_add_i32 s5, s6, s5
	s_delay_alu instid0(VALU_DEP_3) | instskip(SKIP_3) | instid1(VALU_DEP_2)
	v_mad_u64_u32 v[14:15], null, s31, v5, v[7:8]
	v_dual_mov_b32 v5, v9 :: v_dual_lshlrev_b32 v12, 4, v5
	s_mul_i32 s4, s26, s15
	v_add_nc_u32_e32 v13, 0x1000, v18
	v_mad_u64_u32 v[16:17], null, s25, v4, v[5:6]
	s_delay_alu instid0(VALU_DEP_3) | instskip(SKIP_3) | instid1(VALU_DEP_1)
	v_dual_mov_b32 v7, v14 :: v_dual_add_nc_u32 v14, v12, v18
	s_waitcnt lgkmcnt(0)
	s_mul_i32 s3, s3, s15
	s_mul_hi_u32 s6, s2, s15
	v_lshlrev_b64 v[4:5], 4, v[6:7]
	s_mul_i32 s2, s2, s15
	s_add_i32 s3, s6, s3
	v_mov_b32_e32 v9, v16
	s_lshl_b64 s[2:3], s[2:3], 4
	s_mov_b64 s[6:7], 0
	v_add_co_u32 v6, vcc_lo, s2, v4
	v_add_co_ci_u32_e32 v7, vcc_lo, s3, v5, vcc_lo
	v_lshlrev_b64 v[4:5], 4, v[8:9]
	s_delay_alu instid0(VALU_DEP_3) | instskip(SKIP_1) | instid1(VALU_DEP_3)
	v_add_co_u32 v6, vcc_lo, v6, v10
	s_lshl_b64 s[2:3], s[4:5], 4
	v_add_co_ci_u32_e32 v7, vcc_lo, v7, v11, vcc_lo
	s_delay_alu instid0(VALU_DEP_3) | instskip(NEXT) | instid1(VALU_DEP_4)
	v_add_co_u32 v8, vcc_lo, s2, v4
	v_add_co_ci_u32_e32 v9, vcc_lo, s3, v5, vcc_lo
	v_lshlrev_b64 v[4:5], 4, v[0:1]
	v_add_co_u32 v6, vcc_lo, v6, s28
	v_add_co_ci_u32_e32 v7, vcc_lo, s29, v7, vcc_lo
	s_lshl_b64 s[2:3], s[30:31], 8
	s_delay_alu instid0(VALU_DEP_3) | instskip(NEXT) | instid1(VALU_DEP_4)
	v_add_co_u32 v10, vcc_lo, v8, v4
	v_add_co_ci_u32_e32 v11, vcc_lo, v9, v5, vcc_lo
	v_mov_b32_e32 v8, 0
	v_mov_b32_e32 v9, 0
	v_add_co_u32 v4, vcc_lo, v6, 8
	v_add_co_ci_u32_e32 v5, vcc_lo, 0, v7, vcc_lo
	v_add_co_u32 v6, vcc_lo, s22, v10
	v_add_co_ci_u32_e32 v7, vcc_lo, s23, v11, vcc_lo
	v_mov_b32_e32 v11, v9
	v_dual_mov_b32 v10, v8 :: v_dual_add_nc_u32 v15, v13, v12
	s_lshl_b64 s[4:5], s[24:25], 8
.LBB1198_2:                             ; =>This Inner Loop Header: Depth=1
	global_load_b128 v[16:19], v[6:7], off
	global_load_b128 v[20:23], v[4:5], off offset:-8
	s_add_u32 s6, s6, 16
	v_add_co_u32 v4, vcc_lo, v4, s2
	s_addc_u32 s7, s7, 0
	v_add_co_ci_u32_e32 v5, vcc_lo, s3, v5, vcc_lo
	v_cmp_lt_i64_e64 s8, s[6:7], s[16:17]
	v_add_co_u32 v6, vcc_lo, v6, s4
	v_add_co_ci_u32_e32 v7, vcc_lo, s5, v7, vcc_lo
	s_waitcnt vmcnt(1)
	ds_store_2addr_b64 v14, v[16:17], v[18:19] offset1:1
	s_waitcnt vmcnt(0)
	ds_store_b128 v15, v[20:23]
	s_waitcnt lgkmcnt(0)
	s_barrier
	buffer_gl0_inv
	ds_load_b128 v[16:19], v12
	ds_load_b128 v[20:23], v13
	ds_load_b128 v[24:27], v13 offset:16
	ds_load_b128 v[28:31], v12 offset:256
	s_and_b32 vcc_lo, exec_lo, s8
	s_waitcnt lgkmcnt(2)
	v_mul_f64 v[32:33], v[22:23], v[18:19]
	v_mul_f64 v[18:19], v[20:21], v[18:19]
	s_waitcnt lgkmcnt(0)
	v_mul_f64 v[38:39], v[26:27], v[30:31]
	v_mul_f64 v[40:41], v[24:25], v[30:31]
	s_delay_alu instid0(VALU_DEP_4) | instskip(NEXT) | instid1(VALU_DEP_4)
	v_fma_f64 v[42:43], v[20:21], v[16:17], -v[32:33]
	v_fma_f64 v[44:45], v[22:23], v[16:17], v[18:19]
	ds_load_b128 v[16:19], v12 offset:512
	ds_load_b128 v[20:23], v13 offset:32
	;; [unrolled: 1-line block ×4, first 2 shown]
	v_fma_f64 v[24:25], v[24:25], v[28:29], -v[38:39]
	v_fma_f64 v[26:27], v[26:27], v[28:29], v[40:41]
	s_waitcnt lgkmcnt(2)
	v_mul_f64 v[46:47], v[22:23], v[18:19]
	v_mul_f64 v[18:19], v[20:21], v[18:19]
	s_waitcnt lgkmcnt(0)
	v_mul_f64 v[28:29], v[32:33], v[36:37]
	v_mul_f64 v[36:37], v[30:31], v[36:37]
	v_add_f64 v[10:11], v[10:11], v[42:43]
	v_add_f64 v[8:9], v[8:9], v[44:45]
	v_fma_f64 v[38:39], v[20:21], v[16:17], -v[46:47]
	v_fma_f64 v[40:41], v[22:23], v[16:17], v[18:19]
	v_fma_f64 v[28:29], v[30:31], v[34:35], -v[28:29]
	v_fma_f64 v[30:31], v[32:33], v[34:35], v[36:37]
	v_add_f64 v[42:43], v[10:11], v[24:25]
	v_add_f64 v[44:45], v[8:9], v[26:27]
	ds_load_b128 v[8:11], v12 offset:1024
	ds_load_b128 v[16:19], v13 offset:64
	ds_load_b128 v[20:23], v13 offset:80
	ds_load_b128 v[24:27], v12 offset:1280
	s_waitcnt lgkmcnt(2)
	v_mul_f64 v[46:47], v[18:19], v[10:11]
	v_mul_f64 v[10:11], v[16:17], v[10:11]
	s_waitcnt lgkmcnt(0)
	v_mul_f64 v[36:37], v[22:23], v[26:27]
	v_add_f64 v[32:33], v[42:43], v[38:39]
	v_add_f64 v[34:35], v[44:45], v[40:41]
	v_mul_f64 v[38:39], v[20:21], v[26:27]
	v_fma_f64 v[40:41], v[16:17], v[8:9], -v[46:47]
	v_fma_f64 v[42:43], v[18:19], v[8:9], v[10:11]
	v_fma_f64 v[20:21], v[20:21], v[24:25], -v[36:37]
	v_add_f64 v[44:45], v[32:33], v[28:29]
	v_add_f64 v[34:35], v[34:35], v[30:31]
	ds_load_b128 v[8:11], v12 offset:1536
	ds_load_b128 v[16:19], v13 offset:96
	;; [unrolled: 1-line block ×4, first 2 shown]
	v_fma_f64 v[22:23], v[22:23], v[24:25], v[38:39]
	s_waitcnt lgkmcnt(2)
	v_mul_f64 v[46:47], v[18:19], v[10:11]
	v_mul_f64 v[10:11], v[16:17], v[10:11]
	s_waitcnt lgkmcnt(0)
	v_mul_f64 v[36:37], v[28:29], v[32:33]
	v_mul_f64 v[38:39], v[26:27], v[32:33]
	v_add_f64 v[24:25], v[44:45], v[40:41]
	v_add_f64 v[34:35], v[34:35], v[42:43]
	v_fma_f64 v[40:41], v[16:17], v[8:9], -v[46:47]
	v_fma_f64 v[42:43], v[18:19], v[8:9], v[10:11]
	v_fma_f64 v[26:27], v[26:27], v[30:31], -v[36:37]
	v_fma_f64 v[28:29], v[28:29], v[30:31], v[38:39]
	v_add_f64 v[24:25], v[24:25], v[20:21]
	v_add_f64 v[44:45], v[34:35], v[22:23]
	ds_load_b128 v[8:11], v12 offset:2048
	ds_load_b128 v[16:19], v13 offset:128
	;; [unrolled: 1-line block ×4, first 2 shown]
	s_waitcnt lgkmcnt(2)
	v_mul_f64 v[46:47], v[18:19], v[10:11]
	v_mul_f64 v[10:11], v[16:17], v[10:11]
	s_waitcnt lgkmcnt(0)
	v_mul_f64 v[36:37], v[22:23], v[34:35]
	v_mul_f64 v[34:35], v[20:21], v[34:35]
	v_add_f64 v[24:25], v[24:25], v[40:41]
	v_add_f64 v[30:31], v[44:45], v[42:43]
	v_fma_f64 v[38:39], v[16:17], v[8:9], -v[46:47]
	v_fma_f64 v[40:41], v[18:19], v[8:9], v[10:11]
	v_fma_f64 v[20:21], v[20:21], v[32:33], -v[36:37]
	v_fma_f64 v[22:23], v[22:23], v[32:33], v[34:35]
	v_add_f64 v[42:43], v[24:25], v[26:27]
	v_add_f64 v[44:45], v[30:31], v[28:29]
	ds_load_b128 v[8:11], v12 offset:2560
	ds_load_b128 v[16:19], v13 offset:160
	;; [unrolled: 1-line block ×4, first 2 shown]
	s_waitcnt lgkmcnt(2)
	v_mul_f64 v[46:47], v[18:19], v[10:11]
	v_mul_f64 v[10:11], v[16:17], v[10:11]
	s_waitcnt lgkmcnt(0)
	v_mul_f64 v[36:37], v[26:27], v[30:31]
	v_add_f64 v[32:33], v[42:43], v[38:39]
	v_add_f64 v[34:35], v[44:45], v[40:41]
	v_mul_f64 v[38:39], v[24:25], v[30:31]
	v_fma_f64 v[40:41], v[16:17], v[8:9], -v[46:47]
	v_fma_f64 v[42:43], v[18:19], v[8:9], v[10:11]
	v_fma_f64 v[24:25], v[24:25], v[28:29], -v[36:37]
	v_add_f64 v[44:45], v[32:33], v[20:21]
	v_add_f64 v[34:35], v[34:35], v[22:23]
	ds_load_b128 v[8:11], v12 offset:3072
	ds_load_b128 v[16:19], v13 offset:192
	;; [unrolled: 1-line block ×4, first 2 shown]
	v_fma_f64 v[26:27], v[26:27], v[28:29], v[38:39]
	s_waitcnt lgkmcnt(2)
	v_mul_f64 v[46:47], v[18:19], v[10:11]
	v_mul_f64 v[10:11], v[16:17], v[10:11]
	s_waitcnt lgkmcnt(0)
	v_mul_f64 v[36:37], v[22:23], v[32:33]
	v_mul_f64 v[38:39], v[20:21], v[32:33]
	v_add_f64 v[28:29], v[44:45], v[40:41]
	v_add_f64 v[34:35], v[34:35], v[42:43]
	v_fma_f64 v[40:41], v[16:17], v[8:9], -v[46:47]
	v_fma_f64 v[42:43], v[18:19], v[8:9], v[10:11]
	v_fma_f64 v[20:21], v[20:21], v[30:31], -v[36:37]
	v_fma_f64 v[22:23], v[22:23], v[30:31], v[38:39]
	v_add_f64 v[28:29], v[28:29], v[24:25]
	v_add_f64 v[44:45], v[34:35], v[26:27]
	ds_load_b128 v[8:11], v12 offset:3584
	ds_load_b128 v[16:19], v13 offset:224
	;; [unrolled: 1-line block ×4, first 2 shown]
	s_waitcnt lgkmcnt(0)
	s_barrier
	buffer_gl0_inv
	v_mul_f64 v[46:47], v[18:19], v[10:11]
	v_mul_f64 v[10:11], v[16:17], v[10:11]
	;; [unrolled: 1-line block ×4, first 2 shown]
	v_add_f64 v[28:29], v[28:29], v[40:41]
	v_add_f64 v[30:31], v[44:45], v[42:43]
	v_fma_f64 v[16:17], v[16:17], v[8:9], -v[46:47]
	v_fma_f64 v[8:9], v[18:19], v[8:9], v[10:11]
	s_delay_alu instid0(VALU_DEP_4) | instskip(NEXT) | instid1(VALU_DEP_4)
	v_add_f64 v[10:11], v[28:29], v[20:21]
	v_add_f64 v[18:19], v[30:31], v[22:23]
	v_fma_f64 v[20:21], v[24:25], v[32:33], -v[36:37]
	v_fma_f64 v[22:23], v[26:27], v[32:33], v[34:35]
	s_delay_alu instid0(VALU_DEP_4) | instskip(NEXT) | instid1(VALU_DEP_4)
	v_add_f64 v[10:11], v[10:11], v[16:17]
	v_add_f64 v[8:9], v[18:19], v[8:9]
	s_delay_alu instid0(VALU_DEP_2) | instskip(NEXT) | instid1(VALU_DEP_2)
	v_add_f64 v[10:11], v[10:11], v[20:21]
	v_add_f64 v[8:9], v[8:9], v[22:23]
	s_cbranch_vccnz .LBB1198_2
.LBB1198_3:
	s_mov_b32 s2, exec_lo
	v_cmpx_le_i32_e64 v0, v2
	s_cbranch_execz .LBB1198_5
; %bb.4:
	s_delay_alu instid0(VALU_DEP_2)
	v_mul_f64 v[4:5], s[20:21], v[8:9]
	v_mul_f64 v[6:7], s[18:19], v[8:9]
	s_clause 0x1
	s_load_b128 s[4:7], s[0:1], 0x60
	s_load_b64 s[0:1], s[0:1], 0x70
	v_lshlrev_b64 v[0:1], 4, v[0:1]
	s_waitcnt lgkmcnt(0)
	v_mul_lo_u32 v3, v3, s6
	v_mad_u64_u32 v[8:9], null, v2, s6, 0
	s_mul_i32 s1, s15, s1
	s_mul_hi_u32 s2, s15, s0
	s_mul_i32 s0, s15, s0
	s_add_i32 s1, s2, s1
	s_delay_alu instid0(SALU_CYCLE_1) | instskip(NEXT) | instid1(SALU_CYCLE_1)
	s_lshl_b64 s[0:1], s[0:1], 4
	s_add_u32 s0, s4, s0
	s_addc_u32 s1, s5, s1
	v_fma_f64 v[4:5], s[18:19], v[10:11], -v[4:5]
	v_fma_f64 v[6:7], s[20:21], v[10:11], v[6:7]
	v_mul_lo_u32 v10, v2, s7
	s_delay_alu instid0(VALU_DEP_1) | instskip(NEXT) | instid1(VALU_DEP_1)
	v_add3_u32 v9, v9, v10, v3
	v_lshlrev_b64 v[2:3], 4, v[8:9]
	s_delay_alu instid0(VALU_DEP_1) | instskip(NEXT) | instid1(VALU_DEP_2)
	v_add_co_u32 v2, vcc_lo, s0, v2
	v_add_co_ci_u32_e32 v3, vcc_lo, s1, v3, vcc_lo
	s_delay_alu instid0(VALU_DEP_2) | instskip(NEXT) | instid1(VALU_DEP_2)
	v_add_co_u32 v0, vcc_lo, v2, v0
	v_add_co_ci_u32_e32 v1, vcc_lo, v3, v1, vcc_lo
	global_store_b128 v[0:1], v[4:7], off
.LBB1198_5:
	s_nop 0
	s_sendmsg sendmsg(MSG_DEALLOC_VGPRS)
	s_endpgm
	.section	.rodata,"a",@progbits
	.p2align	6, 0x0
	.amdhsa_kernel _ZL41rocblas_syrkx_herkx_small_restrict_kernelIl19rocblas_complex_numIdELi16ELb1ELb0ELc78ELc85EKS1_S1_EviT_T0_PT6_S3_lS6_S3_lS4_PT7_S3_li
		.amdhsa_group_segment_fixed_size 8192
		.amdhsa_private_segment_fixed_size 0
		.amdhsa_kernarg_size 124
		.amdhsa_user_sgpr_count 13
		.amdhsa_user_sgpr_dispatch_ptr 0
		.amdhsa_user_sgpr_queue_ptr 0
		.amdhsa_user_sgpr_kernarg_segment_ptr 1
		.amdhsa_user_sgpr_dispatch_id 0
		.amdhsa_user_sgpr_private_segment_size 0
		.amdhsa_wavefront_size32 1
		.amdhsa_uses_dynamic_stack 0
		.amdhsa_enable_private_segment 0
		.amdhsa_system_sgpr_workgroup_id_x 1
		.amdhsa_system_sgpr_workgroup_id_y 1
		.amdhsa_system_sgpr_workgroup_id_z 1
		.amdhsa_system_sgpr_workgroup_info 0
		.amdhsa_system_vgpr_workitem_id 1
		.amdhsa_next_free_vgpr 48
		.amdhsa_next_free_sgpr 32
		.amdhsa_reserve_vcc 1
		.amdhsa_float_round_mode_32 0
		.amdhsa_float_round_mode_16_64 0
		.amdhsa_float_denorm_mode_32 3
		.amdhsa_float_denorm_mode_16_64 3
		.amdhsa_dx10_clamp 1
		.amdhsa_ieee_mode 1
		.amdhsa_fp16_overflow 0
		.amdhsa_workgroup_processor_mode 1
		.amdhsa_memory_ordered 1
		.amdhsa_forward_progress 0
		.amdhsa_shared_vgpr_count 0
		.amdhsa_exception_fp_ieee_invalid_op 0
		.amdhsa_exception_fp_denorm_src 0
		.amdhsa_exception_fp_ieee_div_zero 0
		.amdhsa_exception_fp_ieee_overflow 0
		.amdhsa_exception_fp_ieee_underflow 0
		.amdhsa_exception_fp_ieee_inexact 0
		.amdhsa_exception_int_div_zero 0
	.end_amdhsa_kernel
	.section	.text._ZL41rocblas_syrkx_herkx_small_restrict_kernelIl19rocblas_complex_numIdELi16ELb1ELb0ELc78ELc85EKS1_S1_EviT_T0_PT6_S3_lS6_S3_lS4_PT7_S3_li,"axG",@progbits,_ZL41rocblas_syrkx_herkx_small_restrict_kernelIl19rocblas_complex_numIdELi16ELb1ELb0ELc78ELc85EKS1_S1_EviT_T0_PT6_S3_lS6_S3_lS4_PT7_S3_li,comdat
.Lfunc_end1198:
	.size	_ZL41rocblas_syrkx_herkx_small_restrict_kernelIl19rocblas_complex_numIdELi16ELb1ELb0ELc78ELc85EKS1_S1_EviT_T0_PT6_S3_lS6_S3_lS4_PT7_S3_li, .Lfunc_end1198-_ZL41rocblas_syrkx_herkx_small_restrict_kernelIl19rocblas_complex_numIdELi16ELb1ELb0ELc78ELc85EKS1_S1_EviT_T0_PT6_S3_lS6_S3_lS4_PT7_S3_li
                                        ; -- End function
	.section	.AMDGPU.csdata,"",@progbits
; Kernel info:
; codeLenInByte = 1808
; NumSgprs: 34
; NumVgprs: 48
; ScratchSize: 0
; MemoryBound: 0
; FloatMode: 240
; IeeeMode: 1
; LDSByteSize: 8192 bytes/workgroup (compile time only)
; SGPRBlocks: 4
; VGPRBlocks: 5
; NumSGPRsForWavesPerEU: 34
; NumVGPRsForWavesPerEU: 48
; Occupancy: 16
; WaveLimiterHint : 0
; COMPUTE_PGM_RSRC2:SCRATCH_EN: 0
; COMPUTE_PGM_RSRC2:USER_SGPR: 13
; COMPUTE_PGM_RSRC2:TRAP_HANDLER: 0
; COMPUTE_PGM_RSRC2:TGID_X_EN: 1
; COMPUTE_PGM_RSRC2:TGID_Y_EN: 1
; COMPUTE_PGM_RSRC2:TGID_Z_EN: 1
; COMPUTE_PGM_RSRC2:TIDIG_COMP_CNT: 1
	.section	.text._ZL41rocblas_syrkx_herkx_small_restrict_kernelIl19rocblas_complex_numIdELi16ELb0ELb0ELc84ELc76EKS1_S1_EviT_T0_PT6_S3_lS6_S3_lS4_PT7_S3_li,"axG",@progbits,_ZL41rocblas_syrkx_herkx_small_restrict_kernelIl19rocblas_complex_numIdELi16ELb0ELb0ELc84ELc76EKS1_S1_EviT_T0_PT6_S3_lS6_S3_lS4_PT7_S3_li,comdat
	.globl	_ZL41rocblas_syrkx_herkx_small_restrict_kernelIl19rocblas_complex_numIdELi16ELb0ELb0ELc84ELc76EKS1_S1_EviT_T0_PT6_S3_lS6_S3_lS4_PT7_S3_li ; -- Begin function _ZL41rocblas_syrkx_herkx_small_restrict_kernelIl19rocblas_complex_numIdELi16ELb0ELb0ELc84ELc76EKS1_S1_EviT_T0_PT6_S3_lS6_S3_lS4_PT7_S3_li
	.p2align	8
	.type	_ZL41rocblas_syrkx_herkx_small_restrict_kernelIl19rocblas_complex_numIdELi16ELb0ELb0ELc84ELc76EKS1_S1_EviT_T0_PT6_S3_lS6_S3_lS4_PT7_S3_li,@function
_ZL41rocblas_syrkx_herkx_small_restrict_kernelIl19rocblas_complex_numIdELi16ELb0ELb0ELc84ELc76EKS1_S1_EviT_T0_PT6_S3_lS6_S3_lS4_PT7_S3_li: ; @_ZL41rocblas_syrkx_herkx_small_restrict_kernelIl19rocblas_complex_numIdELi16ELb0ELb0ELc84ELc76EKS1_S1_EviT_T0_PT6_S3_lS6_S3_lS4_PT7_S3_li
; %bb.0:
	s_clause 0x2
	s_load_b512 s[16:31], s[0:1], 0x8
	s_load_b128 s[8:11], s[0:1], 0x68
	s_load_b256 s[0:7], s[0:1], 0x48
	v_dual_mov_b32 v6, 0 :: v_dual_and_b32 v3, 0x3ff, v0
	v_bfe_u32 v2, v0, 10, 10
	v_mov_b32_e32 v7, 0
	s_delay_alu instid0(VALU_DEP_3) | instskip(NEXT) | instid1(VALU_DEP_3)
	v_lshl_add_u32 v0, s13, 4, v3
	v_lshl_add_u32 v10, s14, 4, v2
	s_delay_alu instid0(VALU_DEP_3) | instskip(NEXT) | instid1(VALU_DEP_3)
	v_dual_mov_b32 v9, v7 :: v_dual_mov_b32 v8, v6
	v_ashrrev_i32_e32 v1, 31, v0
	s_delay_alu instid0(VALU_DEP_3) | instskip(SKIP_2) | instid1(VALU_DEP_1)
	v_ashrrev_i32_e32 v11, 31, v10
	s_waitcnt lgkmcnt(0)
	v_cmp_lt_i64_e64 s12, s[16:17], 1
	s_and_b32 vcc_lo, exec_lo, s12
	s_cbranch_vccnz .LBB1199_3
; %bb.1:
	v_mul_lo_u32 v9, s31, v10
	v_mul_lo_u32 v15, s30, v11
	v_mad_u64_u32 v[4:5], null, s30, v10, 0
	v_lshlrev_b32_e32 v12, 4, v3
	v_mul_lo_u32 v3, s25, v0
	v_mul_lo_u32 v16, s24, v1
	v_mad_u64_u32 v[6:7], null, s24, v0, 0
	s_mul_i32 s1, s1, s15
	v_add3_u32 v5, v5, v15, v9
	s_mul_hi_u32 s12, s0, s15
	s_mul_i32 s0, s0, s15
	s_add_i32 s1, s12, s1
	s_mul_i32 s12, s27, s15
	s_delay_alu instid0(VALU_DEP_2)
	v_add3_u32 v7, v7, v16, v3
	v_lshlrev_b64 v[3:4], 4, v[4:5]
	s_lshl_b64 s[0:1], s[0:1], 4
	s_mul_hi_u32 s13, s26, s15
	v_lshlrev_b32_e32 v8, 8, v2
	v_lshlrev_b64 v[5:6], 4, v[6:7]
	s_add_i32 s13, s13, s12
	s_mul_i32 s12, s26, s15
	v_add_co_u32 v3, vcc_lo, v3, s0
	v_add_co_ci_u32_e32 v4, vcc_lo, s1, v4, vcc_lo
	s_lshl_b64 s[0:1], s[12:13], 4
	v_lshlrev_b32_e32 v2, 4, v2
	v_add_co_u32 v5, vcc_lo, v5, s0
	v_add_co_ci_u32_e32 v6, vcc_lo, s1, v6, vcc_lo
	v_add_co_u32 v3, vcc_lo, v3, v12
	v_add_co_ci_u32_e32 v4, vcc_lo, 0, v4, vcc_lo
	s_delay_alu instid0(VALU_DEP_4)
	v_add_co_u32 v5, vcc_lo, v5, v2
	v_add_nc_u32_e32 v13, 0x1000, v8
	v_add_nc_u32_e32 v14, v12, v8
	v_add_co_ci_u32_e32 v8, vcc_lo, 0, v6, vcc_lo
	v_mov_b32_e32 v6, 0
	v_mov_b32_e32 v7, 0
	v_add_co_u32 v2, vcc_lo, s28, v3
	v_add_co_ci_u32_e32 v3, vcc_lo, s29, v4, vcc_lo
	v_add_co_u32 v4, vcc_lo, s22, v5
	v_add_co_ci_u32_e32 v5, vcc_lo, s23, v8, vcc_lo
	v_mov_b32_e32 v9, v7
	v_dual_mov_b32 v8, v6 :: v_dual_add_nc_u32 v15, v13, v12
	s_mov_b64 s[0:1], 0
.LBB1199_2:                             ; =>This Inner Loop Header: Depth=1
	global_load_b128 v[16:19], v[4:5], off
	global_load_b128 v[20:23], v[2:3], off
	s_add_u32 s0, s0, 16
	v_add_co_u32 v2, vcc_lo, 0x100, v2
	s_addc_u32 s1, s1, 0
	v_add_co_ci_u32_e32 v3, vcc_lo, 0, v3, vcc_lo
	v_cmp_lt_i64_e64 s12, s[0:1], s[16:17]
	v_add_co_u32 v4, vcc_lo, 0x100, v4
	v_add_co_ci_u32_e32 v5, vcc_lo, 0, v5, vcc_lo
	s_waitcnt vmcnt(1)
	ds_store_2addr_b64 v14, v[16:17], v[18:19] offset1:1
	s_waitcnt vmcnt(0)
	ds_store_2addr_b64 v15, v[20:21], v[22:23] offset1:1
	s_waitcnt lgkmcnt(0)
	s_barrier
	buffer_gl0_inv
	ds_load_b128 v[16:19], v12
	ds_load_b128 v[20:23], v13
	ds_load_b128 v[24:27], v13 offset:16
	ds_load_b128 v[28:31], v12 offset:256
	s_and_b32 vcc_lo, exec_lo, s12
	s_waitcnt lgkmcnt(2)
	v_mul_f64 v[32:33], v[22:23], v[18:19]
	v_mul_f64 v[18:19], v[20:21], v[18:19]
	s_waitcnt lgkmcnt(0)
	v_mul_f64 v[38:39], v[26:27], v[30:31]
	v_mul_f64 v[40:41], v[24:25], v[30:31]
	s_delay_alu instid0(VALU_DEP_4) | instskip(NEXT) | instid1(VALU_DEP_4)
	v_fma_f64 v[42:43], v[20:21], v[16:17], -v[32:33]
	v_fma_f64 v[44:45], v[22:23], v[16:17], v[18:19]
	ds_load_b128 v[16:19], v12 offset:512
	ds_load_b128 v[20:23], v13 offset:32
	;; [unrolled: 1-line block ×4, first 2 shown]
	v_fma_f64 v[24:25], v[24:25], v[28:29], -v[38:39]
	v_fma_f64 v[26:27], v[26:27], v[28:29], v[40:41]
	s_waitcnt lgkmcnt(2)
	v_mul_f64 v[46:47], v[22:23], v[18:19]
	v_mul_f64 v[18:19], v[20:21], v[18:19]
	s_waitcnt lgkmcnt(0)
	v_mul_f64 v[28:29], v[32:33], v[36:37]
	v_mul_f64 v[36:37], v[30:31], v[36:37]
	v_add_f64 v[8:9], v[8:9], v[42:43]
	v_add_f64 v[6:7], v[6:7], v[44:45]
	v_fma_f64 v[38:39], v[20:21], v[16:17], -v[46:47]
	v_fma_f64 v[40:41], v[22:23], v[16:17], v[18:19]
	v_fma_f64 v[28:29], v[30:31], v[34:35], -v[28:29]
	v_fma_f64 v[30:31], v[32:33], v[34:35], v[36:37]
	v_add_f64 v[42:43], v[8:9], v[24:25]
	v_add_f64 v[44:45], v[6:7], v[26:27]
	ds_load_b128 v[6:9], v12 offset:1024
	ds_load_b128 v[16:19], v13 offset:64
	;; [unrolled: 1-line block ×4, first 2 shown]
	s_waitcnt lgkmcnt(2)
	v_mul_f64 v[46:47], v[18:19], v[8:9]
	v_mul_f64 v[8:9], v[16:17], v[8:9]
	s_waitcnt lgkmcnt(0)
	v_mul_f64 v[36:37], v[22:23], v[26:27]
	v_add_f64 v[32:33], v[42:43], v[38:39]
	v_add_f64 v[34:35], v[44:45], v[40:41]
	v_mul_f64 v[38:39], v[20:21], v[26:27]
	v_fma_f64 v[40:41], v[16:17], v[6:7], -v[46:47]
	v_fma_f64 v[42:43], v[18:19], v[6:7], v[8:9]
	v_fma_f64 v[20:21], v[20:21], v[24:25], -v[36:37]
	v_add_f64 v[44:45], v[32:33], v[28:29]
	v_add_f64 v[34:35], v[34:35], v[30:31]
	ds_load_b128 v[6:9], v12 offset:1536
	ds_load_b128 v[16:19], v13 offset:96
	;; [unrolled: 1-line block ×4, first 2 shown]
	v_fma_f64 v[22:23], v[22:23], v[24:25], v[38:39]
	s_waitcnt lgkmcnt(2)
	v_mul_f64 v[46:47], v[18:19], v[8:9]
	v_mul_f64 v[8:9], v[16:17], v[8:9]
	s_waitcnt lgkmcnt(0)
	v_mul_f64 v[36:37], v[28:29], v[32:33]
	v_mul_f64 v[38:39], v[26:27], v[32:33]
	v_add_f64 v[24:25], v[44:45], v[40:41]
	v_add_f64 v[34:35], v[34:35], v[42:43]
	v_fma_f64 v[40:41], v[16:17], v[6:7], -v[46:47]
	v_fma_f64 v[42:43], v[18:19], v[6:7], v[8:9]
	v_fma_f64 v[26:27], v[26:27], v[30:31], -v[36:37]
	v_fma_f64 v[28:29], v[28:29], v[30:31], v[38:39]
	v_add_f64 v[24:25], v[24:25], v[20:21]
	v_add_f64 v[44:45], v[34:35], v[22:23]
	ds_load_b128 v[6:9], v12 offset:2048
	ds_load_b128 v[16:19], v13 offset:128
	;; [unrolled: 1-line block ×4, first 2 shown]
	s_waitcnt lgkmcnt(2)
	v_mul_f64 v[46:47], v[18:19], v[8:9]
	v_mul_f64 v[8:9], v[16:17], v[8:9]
	s_waitcnt lgkmcnt(0)
	v_mul_f64 v[36:37], v[22:23], v[34:35]
	v_mul_f64 v[34:35], v[20:21], v[34:35]
	v_add_f64 v[24:25], v[24:25], v[40:41]
	v_add_f64 v[30:31], v[44:45], v[42:43]
	v_fma_f64 v[38:39], v[16:17], v[6:7], -v[46:47]
	v_fma_f64 v[40:41], v[18:19], v[6:7], v[8:9]
	v_fma_f64 v[20:21], v[20:21], v[32:33], -v[36:37]
	v_fma_f64 v[22:23], v[22:23], v[32:33], v[34:35]
	v_add_f64 v[42:43], v[24:25], v[26:27]
	v_add_f64 v[44:45], v[30:31], v[28:29]
	ds_load_b128 v[6:9], v12 offset:2560
	ds_load_b128 v[16:19], v13 offset:160
	;; [unrolled: 1-line block ×4, first 2 shown]
	s_waitcnt lgkmcnt(2)
	v_mul_f64 v[46:47], v[18:19], v[8:9]
	v_mul_f64 v[8:9], v[16:17], v[8:9]
	s_waitcnt lgkmcnt(0)
	v_mul_f64 v[36:37], v[26:27], v[30:31]
	v_add_f64 v[32:33], v[42:43], v[38:39]
	v_add_f64 v[34:35], v[44:45], v[40:41]
	v_mul_f64 v[38:39], v[24:25], v[30:31]
	v_fma_f64 v[40:41], v[16:17], v[6:7], -v[46:47]
	v_fma_f64 v[42:43], v[18:19], v[6:7], v[8:9]
	v_fma_f64 v[24:25], v[24:25], v[28:29], -v[36:37]
	v_add_f64 v[44:45], v[32:33], v[20:21]
	v_add_f64 v[34:35], v[34:35], v[22:23]
	ds_load_b128 v[6:9], v12 offset:3072
	ds_load_b128 v[16:19], v13 offset:192
	;; [unrolled: 1-line block ×4, first 2 shown]
	v_fma_f64 v[26:27], v[26:27], v[28:29], v[38:39]
	s_waitcnt lgkmcnt(2)
	v_mul_f64 v[46:47], v[18:19], v[8:9]
	v_mul_f64 v[8:9], v[16:17], v[8:9]
	s_waitcnt lgkmcnt(0)
	v_mul_f64 v[36:37], v[22:23], v[32:33]
	v_mul_f64 v[38:39], v[20:21], v[32:33]
	v_add_f64 v[28:29], v[44:45], v[40:41]
	v_add_f64 v[34:35], v[34:35], v[42:43]
	v_fma_f64 v[40:41], v[16:17], v[6:7], -v[46:47]
	v_fma_f64 v[42:43], v[18:19], v[6:7], v[8:9]
	v_fma_f64 v[20:21], v[20:21], v[30:31], -v[36:37]
	v_fma_f64 v[22:23], v[22:23], v[30:31], v[38:39]
	v_add_f64 v[28:29], v[28:29], v[24:25]
	v_add_f64 v[44:45], v[34:35], v[26:27]
	ds_load_b128 v[6:9], v12 offset:3584
	ds_load_b128 v[16:19], v13 offset:224
	;; [unrolled: 1-line block ×4, first 2 shown]
	s_waitcnt lgkmcnt(0)
	s_barrier
	buffer_gl0_inv
	v_mul_f64 v[46:47], v[18:19], v[8:9]
	v_mul_f64 v[8:9], v[16:17], v[8:9]
	;; [unrolled: 1-line block ×4, first 2 shown]
	v_add_f64 v[28:29], v[28:29], v[40:41]
	v_add_f64 v[30:31], v[44:45], v[42:43]
	v_fma_f64 v[16:17], v[16:17], v[6:7], -v[46:47]
	v_fma_f64 v[6:7], v[18:19], v[6:7], v[8:9]
	s_delay_alu instid0(VALU_DEP_4) | instskip(NEXT) | instid1(VALU_DEP_4)
	v_add_f64 v[8:9], v[28:29], v[20:21]
	v_add_f64 v[18:19], v[30:31], v[22:23]
	v_fma_f64 v[20:21], v[24:25], v[32:33], -v[36:37]
	v_fma_f64 v[22:23], v[26:27], v[32:33], v[34:35]
	s_delay_alu instid0(VALU_DEP_4) | instskip(NEXT) | instid1(VALU_DEP_4)
	v_add_f64 v[8:9], v[8:9], v[16:17]
	v_add_f64 v[6:7], v[18:19], v[6:7]
	s_delay_alu instid0(VALU_DEP_2) | instskip(NEXT) | instid1(VALU_DEP_2)
	v_add_f64 v[8:9], v[8:9], v[20:21]
	v_add_f64 v[6:7], v[6:7], v[22:23]
	s_cbranch_vccnz .LBB1199_2
.LBB1199_3:
	s_mov_b32 s0, exec_lo
	v_cmpx_le_i32_e64 v10, v0
	s_cbranch_execz .LBB1199_5
; %bb.4:
	v_mul_lo_u32 v4, v10, s9
	v_mul_lo_u32 v5, v11, s8
	v_mad_u64_u32 v[2:3], null, v10, s8, 0
	s_mul_i32 s1, s15, s11
	s_mul_hi_u32 s8, s15, s10
	s_mul_i32 s0, s15, s10
	s_add_i32 s1, s8, s1
	v_lshlrev_b64 v[0:1], 4, v[0:1]
	s_lshl_b64 s[0:1], s[0:1], 4
	s_delay_alu instid0(VALU_DEP_2)
	v_add3_u32 v3, v3, v4, v5
	s_add_u32 s0, s6, s0
	s_addc_u32 s1, s7, s1
	v_mul_f64 v[10:11], s[20:21], v[6:7]
	v_mul_f64 v[6:7], s[18:19], v[6:7]
	v_lshlrev_b64 v[2:3], 4, v[2:3]
	s_delay_alu instid0(VALU_DEP_1) | instskip(NEXT) | instid1(VALU_DEP_2)
	v_add_co_u32 v2, vcc_lo, s0, v2
	v_add_co_ci_u32_e32 v3, vcc_lo, s1, v3, vcc_lo
	s_delay_alu instid0(VALU_DEP_2) | instskip(NEXT) | instid1(VALU_DEP_2)
	v_add_co_u32 v4, vcc_lo, v2, v0
	v_add_co_ci_u32_e32 v5, vcc_lo, v3, v1, vcc_lo
	global_load_b128 v[0:3], v[4:5], off
	v_fma_f64 v[10:11], s[18:19], v[8:9], -v[10:11]
	v_fma_f64 v[6:7], s[20:21], v[8:9], v[6:7]
	s_waitcnt vmcnt(0)
	v_mul_f64 v[12:13], s[4:5], v[2:3]
	v_mul_f64 v[2:3], s[2:3], v[2:3]
	s_delay_alu instid0(VALU_DEP_2) | instskip(NEXT) | instid1(VALU_DEP_2)
	v_fma_f64 v[8:9], s[2:3], v[0:1], -v[12:13]
	v_fma_f64 v[2:3], s[4:5], v[0:1], v[2:3]
	s_delay_alu instid0(VALU_DEP_2) | instskip(NEXT) | instid1(VALU_DEP_2)
	v_add_f64 v[0:1], v[10:11], v[8:9]
	v_add_f64 v[2:3], v[6:7], v[2:3]
	global_store_b128 v[4:5], v[0:3], off
.LBB1199_5:
	s_nop 0
	s_sendmsg sendmsg(MSG_DEALLOC_VGPRS)
	s_endpgm
	.section	.rodata,"a",@progbits
	.p2align	6, 0x0
	.amdhsa_kernel _ZL41rocblas_syrkx_herkx_small_restrict_kernelIl19rocblas_complex_numIdELi16ELb0ELb0ELc84ELc76EKS1_S1_EviT_T0_PT6_S3_lS6_S3_lS4_PT7_S3_li
		.amdhsa_group_segment_fixed_size 8192
		.amdhsa_private_segment_fixed_size 0
		.amdhsa_kernarg_size 124
		.amdhsa_user_sgpr_count 13
		.amdhsa_user_sgpr_dispatch_ptr 0
		.amdhsa_user_sgpr_queue_ptr 0
		.amdhsa_user_sgpr_kernarg_segment_ptr 1
		.amdhsa_user_sgpr_dispatch_id 0
		.amdhsa_user_sgpr_private_segment_size 0
		.amdhsa_wavefront_size32 1
		.amdhsa_uses_dynamic_stack 0
		.amdhsa_enable_private_segment 0
		.amdhsa_system_sgpr_workgroup_id_x 1
		.amdhsa_system_sgpr_workgroup_id_y 1
		.amdhsa_system_sgpr_workgroup_id_z 1
		.amdhsa_system_sgpr_workgroup_info 0
		.amdhsa_system_vgpr_workitem_id 1
		.amdhsa_next_free_vgpr 48
		.amdhsa_next_free_sgpr 32
		.amdhsa_reserve_vcc 1
		.amdhsa_float_round_mode_32 0
		.amdhsa_float_round_mode_16_64 0
		.amdhsa_float_denorm_mode_32 3
		.amdhsa_float_denorm_mode_16_64 3
		.amdhsa_dx10_clamp 1
		.amdhsa_ieee_mode 1
		.amdhsa_fp16_overflow 0
		.amdhsa_workgroup_processor_mode 1
		.amdhsa_memory_ordered 1
		.amdhsa_forward_progress 0
		.amdhsa_shared_vgpr_count 0
		.amdhsa_exception_fp_ieee_invalid_op 0
		.amdhsa_exception_fp_denorm_src 0
		.amdhsa_exception_fp_ieee_div_zero 0
		.amdhsa_exception_fp_ieee_overflow 0
		.amdhsa_exception_fp_ieee_underflow 0
		.amdhsa_exception_fp_ieee_inexact 0
		.amdhsa_exception_int_div_zero 0
	.end_amdhsa_kernel
	.section	.text._ZL41rocblas_syrkx_herkx_small_restrict_kernelIl19rocblas_complex_numIdELi16ELb0ELb0ELc84ELc76EKS1_S1_EviT_T0_PT6_S3_lS6_S3_lS4_PT7_S3_li,"axG",@progbits,_ZL41rocblas_syrkx_herkx_small_restrict_kernelIl19rocblas_complex_numIdELi16ELb0ELb0ELc84ELc76EKS1_S1_EviT_T0_PT6_S3_lS6_S3_lS4_PT7_S3_li,comdat
.Lfunc_end1199:
	.size	_ZL41rocblas_syrkx_herkx_small_restrict_kernelIl19rocblas_complex_numIdELi16ELb0ELb0ELc84ELc76EKS1_S1_EviT_T0_PT6_S3_lS6_S3_lS4_PT7_S3_li, .Lfunc_end1199-_ZL41rocblas_syrkx_herkx_small_restrict_kernelIl19rocblas_complex_numIdELi16ELb0ELb0ELc84ELc76EKS1_S1_EviT_T0_PT6_S3_lS6_S3_lS4_PT7_S3_li
                                        ; -- End function
	.section	.AMDGPU.csdata,"",@progbits
; Kernel info:
; codeLenInByte = 1836
; NumSgprs: 34
; NumVgprs: 48
; ScratchSize: 0
; MemoryBound: 0
; FloatMode: 240
; IeeeMode: 1
; LDSByteSize: 8192 bytes/workgroup (compile time only)
; SGPRBlocks: 4
; VGPRBlocks: 5
; NumSGPRsForWavesPerEU: 34
; NumVGPRsForWavesPerEU: 48
; Occupancy: 16
; WaveLimiterHint : 0
; COMPUTE_PGM_RSRC2:SCRATCH_EN: 0
; COMPUTE_PGM_RSRC2:USER_SGPR: 13
; COMPUTE_PGM_RSRC2:TRAP_HANDLER: 0
; COMPUTE_PGM_RSRC2:TGID_X_EN: 1
; COMPUTE_PGM_RSRC2:TGID_Y_EN: 1
; COMPUTE_PGM_RSRC2:TGID_Z_EN: 1
; COMPUTE_PGM_RSRC2:TIDIG_COMP_CNT: 1
	.section	.text._ZL41rocblas_syrkx_herkx_small_restrict_kernelIl19rocblas_complex_numIdELi16ELb0ELb0ELc67ELc76EKS1_S1_EviT_T0_PT6_S3_lS6_S3_lS4_PT7_S3_li,"axG",@progbits,_ZL41rocblas_syrkx_herkx_small_restrict_kernelIl19rocblas_complex_numIdELi16ELb0ELb0ELc67ELc76EKS1_S1_EviT_T0_PT6_S3_lS6_S3_lS4_PT7_S3_li,comdat
	.globl	_ZL41rocblas_syrkx_herkx_small_restrict_kernelIl19rocblas_complex_numIdELi16ELb0ELb0ELc67ELc76EKS1_S1_EviT_T0_PT6_S3_lS6_S3_lS4_PT7_S3_li ; -- Begin function _ZL41rocblas_syrkx_herkx_small_restrict_kernelIl19rocblas_complex_numIdELi16ELb0ELb0ELc67ELc76EKS1_S1_EviT_T0_PT6_S3_lS6_S3_lS4_PT7_S3_li
	.p2align	8
	.type	_ZL41rocblas_syrkx_herkx_small_restrict_kernelIl19rocblas_complex_numIdELi16ELb0ELb0ELc67ELc76EKS1_S1_EviT_T0_PT6_S3_lS6_S3_lS4_PT7_S3_li,@function
_ZL41rocblas_syrkx_herkx_small_restrict_kernelIl19rocblas_complex_numIdELi16ELb0ELb0ELc67ELc76EKS1_S1_EviT_T0_PT6_S3_lS6_S3_lS4_PT7_S3_li: ; @_ZL41rocblas_syrkx_herkx_small_restrict_kernelIl19rocblas_complex_numIdELi16ELb0ELb0ELc67ELc76EKS1_S1_EviT_T0_PT6_S3_lS6_S3_lS4_PT7_S3_li
; %bb.0:
	s_clause 0x2
	s_load_b512 s[16:31], s[0:1], 0x8
	s_load_b128 s[8:11], s[0:1], 0x68
	s_load_b256 s[0:7], s[0:1], 0x48
	v_dual_mov_b32 v6, 0 :: v_dual_and_b32 v3, 0x3ff, v0
	v_bfe_u32 v2, v0, 10, 10
	v_mov_b32_e32 v7, 0
	s_delay_alu instid0(VALU_DEP_3) | instskip(NEXT) | instid1(VALU_DEP_3)
	v_lshl_add_u32 v0, s13, 4, v3
	v_lshl_add_u32 v10, s14, 4, v2
	s_delay_alu instid0(VALU_DEP_3) | instskip(NEXT) | instid1(VALU_DEP_3)
	v_dual_mov_b32 v9, v7 :: v_dual_mov_b32 v8, v6
	v_ashrrev_i32_e32 v1, 31, v0
	s_delay_alu instid0(VALU_DEP_3) | instskip(SKIP_2) | instid1(VALU_DEP_1)
	v_ashrrev_i32_e32 v11, 31, v10
	s_waitcnt lgkmcnt(0)
	v_cmp_lt_i64_e64 s12, s[16:17], 1
	s_and_b32 vcc_lo, exec_lo, s12
	s_cbranch_vccnz .LBB1200_3
; %bb.1:
	v_mul_lo_u32 v6, s31, v10
	v_mul_lo_u32 v7, s30, v11
	v_mad_u64_u32 v[4:5], null, s30, v10, 0
	v_mul_lo_u32 v9, s25, v0
	v_mul_lo_u32 v16, s24, v1
	s_mul_i32 s1, s1, s15
	s_mul_hi_u32 s12, s0, s15
	v_lshlrev_b32_e32 v12, 4, v3
	s_add_i32 s1, s12, s1
	s_delay_alu instid0(VALU_DEP_4) | instskip(SKIP_3) | instid1(VALU_DEP_2)
	v_add3_u32 v5, v5, v7, v6
	v_mad_u64_u32 v[6:7], null, s24, v0, 0
	s_mul_i32 s12, s27, s15
	s_mul_hi_u32 s13, s26, s15
	v_lshlrev_b64 v[3:4], 4, v[4:5]
	s_add_i32 s13, s13, s12
	s_mul_i32 s12, s26, s15
	s_mul_i32 s0, s0, s15
	s_delay_alu instid0(VALU_DEP_2)
	v_add3_u32 v7, v7, v16, v9
	s_lshl_b64 s[12:13], s[12:13], 4
	v_lshlrev_b32_e32 v8, 8, v2
	s_lshl_b64 s[0:1], s[0:1], 4
	v_lshlrev_b32_e32 v2, 4, v2
	v_lshlrev_b64 v[5:6], 4, v[6:7]
	s_delay_alu instid0(VALU_DEP_1) | instskip(NEXT) | instid1(VALU_DEP_2)
	v_add_co_u32 v5, vcc_lo, v5, s12
	v_add_co_ci_u32_e32 v6, vcc_lo, s13, v6, vcc_lo
	v_add_co_u32 v3, vcc_lo, v3, s0
	v_add_co_ci_u32_e32 v4, vcc_lo, s1, v4, vcc_lo
	s_delay_alu instid0(VALU_DEP_4) | instskip(NEXT) | instid1(VALU_DEP_4)
	v_add_co_u32 v2, vcc_lo, v5, v2
	v_add_co_ci_u32_e32 v5, vcc_lo, 0, v6, vcc_lo
	s_delay_alu instid0(VALU_DEP_4) | instskip(NEXT) | instid1(VALU_DEP_4)
	v_add_co_u32 v3, vcc_lo, v3, v12
	v_add_co_ci_u32_e32 v4, vcc_lo, 0, v4, vcc_lo
	v_mov_b32_e32 v6, 0
	v_mov_b32_e32 v7, 0
	v_add_nc_u32_e32 v13, 0x1000, v8
	v_add_nc_u32_e32 v14, v12, v8
	v_add_co_u32 v8, vcc_lo, v2, s22
	v_add_co_ci_u32_e32 v5, vcc_lo, s23, v5, vcc_lo
	v_add_co_u32 v2, vcc_lo, s28, v3
	v_add_co_ci_u32_e32 v3, vcc_lo, s29, v4, vcc_lo
	s_delay_alu instid0(VALU_DEP_4)
	v_add_co_u32 v4, vcc_lo, v8, 8
	v_dual_mov_b32 v9, v7 :: v_dual_mov_b32 v8, v6
	v_add_nc_u32_e32 v15, v13, v12
	v_add_co_ci_u32_e32 v5, vcc_lo, 0, v5, vcc_lo
	s_mov_b64 s[0:1], 0
.LBB1200_2:                             ; =>This Inner Loop Header: Depth=1
	global_load_b128 v[16:19], v[4:5], off offset:-8
	global_load_b128 v[20:23], v[2:3], off
	s_add_u32 s0, s0, 16
	v_add_co_u32 v2, vcc_lo, 0x100, v2
	s_addc_u32 s1, s1, 0
	v_add_co_ci_u32_e32 v3, vcc_lo, 0, v3, vcc_lo
	v_cmp_lt_i64_e64 s12, s[0:1], s[16:17]
	v_add_co_u32 v4, vcc_lo, 0x100, v4
	v_add_co_ci_u32_e32 v5, vcc_lo, 0, v5, vcc_lo
	s_waitcnt vmcnt(1)
	ds_store_b128 v14, v[16:19]
	s_waitcnt vmcnt(0)
	ds_store_2addr_b64 v15, v[20:21], v[22:23] offset1:1
	s_waitcnt lgkmcnt(0)
	s_barrier
	buffer_gl0_inv
	ds_load_b128 v[16:19], v12
	ds_load_b128 v[20:23], v13
	ds_load_b128 v[24:27], v13 offset:16
	ds_load_b128 v[28:31], v12 offset:256
	s_and_b32 vcc_lo, exec_lo, s12
	s_waitcnt lgkmcnt(2)
	v_mul_f64 v[32:33], v[22:23], v[18:19]
	v_mul_f64 v[18:19], v[20:21], v[18:19]
	s_waitcnt lgkmcnt(0)
	v_mul_f64 v[38:39], v[26:27], v[30:31]
	v_mul_f64 v[40:41], v[24:25], v[30:31]
	s_delay_alu instid0(VALU_DEP_4) | instskip(NEXT) | instid1(VALU_DEP_4)
	v_fma_f64 v[42:43], v[20:21], v[16:17], -v[32:33]
	v_fma_f64 v[44:45], v[22:23], v[16:17], v[18:19]
	ds_load_b128 v[16:19], v12 offset:512
	ds_load_b128 v[20:23], v13 offset:32
	;; [unrolled: 1-line block ×4, first 2 shown]
	v_fma_f64 v[24:25], v[24:25], v[28:29], -v[38:39]
	v_fma_f64 v[26:27], v[26:27], v[28:29], v[40:41]
	s_waitcnt lgkmcnt(2)
	v_mul_f64 v[46:47], v[22:23], v[18:19]
	v_mul_f64 v[18:19], v[20:21], v[18:19]
	s_waitcnt lgkmcnt(0)
	v_mul_f64 v[28:29], v[32:33], v[36:37]
	v_mul_f64 v[36:37], v[30:31], v[36:37]
	v_add_f64 v[8:9], v[8:9], v[42:43]
	v_add_f64 v[6:7], v[6:7], v[44:45]
	v_fma_f64 v[38:39], v[20:21], v[16:17], -v[46:47]
	v_fma_f64 v[40:41], v[22:23], v[16:17], v[18:19]
	v_fma_f64 v[28:29], v[30:31], v[34:35], -v[28:29]
	v_fma_f64 v[30:31], v[32:33], v[34:35], v[36:37]
	v_add_f64 v[42:43], v[8:9], v[24:25]
	v_add_f64 v[44:45], v[6:7], v[26:27]
	ds_load_b128 v[6:9], v12 offset:1024
	ds_load_b128 v[16:19], v13 offset:64
	;; [unrolled: 1-line block ×4, first 2 shown]
	s_waitcnt lgkmcnt(2)
	v_mul_f64 v[46:47], v[18:19], v[8:9]
	v_mul_f64 v[8:9], v[16:17], v[8:9]
	s_waitcnt lgkmcnt(0)
	v_mul_f64 v[36:37], v[22:23], v[26:27]
	v_add_f64 v[32:33], v[42:43], v[38:39]
	v_add_f64 v[34:35], v[44:45], v[40:41]
	v_mul_f64 v[38:39], v[20:21], v[26:27]
	v_fma_f64 v[40:41], v[16:17], v[6:7], -v[46:47]
	v_fma_f64 v[42:43], v[18:19], v[6:7], v[8:9]
	v_fma_f64 v[20:21], v[20:21], v[24:25], -v[36:37]
	v_add_f64 v[44:45], v[32:33], v[28:29]
	v_add_f64 v[34:35], v[34:35], v[30:31]
	ds_load_b128 v[6:9], v12 offset:1536
	ds_load_b128 v[16:19], v13 offset:96
	;; [unrolled: 1-line block ×4, first 2 shown]
	v_fma_f64 v[22:23], v[22:23], v[24:25], v[38:39]
	s_waitcnt lgkmcnt(2)
	v_mul_f64 v[46:47], v[18:19], v[8:9]
	v_mul_f64 v[8:9], v[16:17], v[8:9]
	s_waitcnt lgkmcnt(0)
	v_mul_f64 v[36:37], v[28:29], v[32:33]
	v_mul_f64 v[38:39], v[26:27], v[32:33]
	v_add_f64 v[24:25], v[44:45], v[40:41]
	v_add_f64 v[34:35], v[34:35], v[42:43]
	v_fma_f64 v[40:41], v[16:17], v[6:7], -v[46:47]
	v_fma_f64 v[42:43], v[18:19], v[6:7], v[8:9]
	v_fma_f64 v[26:27], v[26:27], v[30:31], -v[36:37]
	v_fma_f64 v[28:29], v[28:29], v[30:31], v[38:39]
	v_add_f64 v[24:25], v[24:25], v[20:21]
	v_add_f64 v[44:45], v[34:35], v[22:23]
	ds_load_b128 v[6:9], v12 offset:2048
	ds_load_b128 v[16:19], v13 offset:128
	;; [unrolled: 1-line block ×4, first 2 shown]
	s_waitcnt lgkmcnt(2)
	v_mul_f64 v[46:47], v[18:19], v[8:9]
	v_mul_f64 v[8:9], v[16:17], v[8:9]
	s_waitcnt lgkmcnt(0)
	v_mul_f64 v[36:37], v[22:23], v[34:35]
	v_mul_f64 v[34:35], v[20:21], v[34:35]
	v_add_f64 v[24:25], v[24:25], v[40:41]
	v_add_f64 v[30:31], v[44:45], v[42:43]
	v_fma_f64 v[38:39], v[16:17], v[6:7], -v[46:47]
	v_fma_f64 v[40:41], v[18:19], v[6:7], v[8:9]
	v_fma_f64 v[20:21], v[20:21], v[32:33], -v[36:37]
	v_fma_f64 v[22:23], v[22:23], v[32:33], v[34:35]
	v_add_f64 v[42:43], v[24:25], v[26:27]
	v_add_f64 v[44:45], v[30:31], v[28:29]
	ds_load_b128 v[6:9], v12 offset:2560
	ds_load_b128 v[16:19], v13 offset:160
	ds_load_b128 v[24:27], v13 offset:176
	ds_load_b128 v[28:31], v12 offset:2816
	s_waitcnt lgkmcnt(2)
	v_mul_f64 v[46:47], v[18:19], v[8:9]
	v_mul_f64 v[8:9], v[16:17], v[8:9]
	s_waitcnt lgkmcnt(0)
	v_mul_f64 v[36:37], v[26:27], v[30:31]
	v_add_f64 v[32:33], v[42:43], v[38:39]
	v_add_f64 v[34:35], v[44:45], v[40:41]
	v_mul_f64 v[38:39], v[24:25], v[30:31]
	v_fma_f64 v[40:41], v[16:17], v[6:7], -v[46:47]
	v_fma_f64 v[42:43], v[18:19], v[6:7], v[8:9]
	v_fma_f64 v[24:25], v[24:25], v[28:29], -v[36:37]
	v_add_f64 v[44:45], v[32:33], v[20:21]
	v_add_f64 v[34:35], v[34:35], v[22:23]
	ds_load_b128 v[6:9], v12 offset:3072
	ds_load_b128 v[16:19], v13 offset:192
	ds_load_b128 v[20:23], v13 offset:208
	ds_load_b128 v[30:33], v12 offset:3328
	v_fma_f64 v[26:27], v[26:27], v[28:29], v[38:39]
	s_waitcnt lgkmcnt(2)
	v_mul_f64 v[46:47], v[18:19], v[8:9]
	v_mul_f64 v[8:9], v[16:17], v[8:9]
	s_waitcnt lgkmcnt(0)
	v_mul_f64 v[36:37], v[22:23], v[32:33]
	v_mul_f64 v[38:39], v[20:21], v[32:33]
	v_add_f64 v[28:29], v[44:45], v[40:41]
	v_add_f64 v[34:35], v[34:35], v[42:43]
	v_fma_f64 v[40:41], v[16:17], v[6:7], -v[46:47]
	v_fma_f64 v[42:43], v[18:19], v[6:7], v[8:9]
	v_fma_f64 v[20:21], v[20:21], v[30:31], -v[36:37]
	v_fma_f64 v[22:23], v[22:23], v[30:31], v[38:39]
	v_add_f64 v[28:29], v[28:29], v[24:25]
	v_add_f64 v[44:45], v[34:35], v[26:27]
	ds_load_b128 v[6:9], v12 offset:3584
	ds_load_b128 v[16:19], v13 offset:224
	;; [unrolled: 1-line block ×4, first 2 shown]
	s_waitcnt lgkmcnt(0)
	s_barrier
	buffer_gl0_inv
	v_mul_f64 v[46:47], v[18:19], v[8:9]
	v_mul_f64 v[8:9], v[16:17], v[8:9]
	v_mul_f64 v[36:37], v[26:27], v[34:35]
	v_mul_f64 v[34:35], v[24:25], v[34:35]
	v_add_f64 v[28:29], v[28:29], v[40:41]
	v_add_f64 v[30:31], v[44:45], v[42:43]
	v_fma_f64 v[16:17], v[16:17], v[6:7], -v[46:47]
	v_fma_f64 v[6:7], v[18:19], v[6:7], v[8:9]
	s_delay_alu instid0(VALU_DEP_4) | instskip(NEXT) | instid1(VALU_DEP_4)
	v_add_f64 v[8:9], v[28:29], v[20:21]
	v_add_f64 v[18:19], v[30:31], v[22:23]
	v_fma_f64 v[20:21], v[24:25], v[32:33], -v[36:37]
	v_fma_f64 v[22:23], v[26:27], v[32:33], v[34:35]
	s_delay_alu instid0(VALU_DEP_4) | instskip(NEXT) | instid1(VALU_DEP_4)
	v_add_f64 v[8:9], v[8:9], v[16:17]
	v_add_f64 v[6:7], v[18:19], v[6:7]
	s_delay_alu instid0(VALU_DEP_2) | instskip(NEXT) | instid1(VALU_DEP_2)
	v_add_f64 v[8:9], v[8:9], v[20:21]
	v_add_f64 v[6:7], v[6:7], v[22:23]
	s_cbranch_vccnz .LBB1200_2
.LBB1200_3:
	s_mov_b32 s0, exec_lo
	v_cmpx_le_i32_e64 v10, v0
	s_cbranch_execz .LBB1200_5
; %bb.4:
	v_mul_lo_u32 v4, v10, s9
	v_mul_lo_u32 v5, v11, s8
	v_mad_u64_u32 v[2:3], null, v10, s8, 0
	s_mul_i32 s1, s15, s11
	s_mul_hi_u32 s8, s15, s10
	s_mul_i32 s0, s15, s10
	s_add_i32 s1, s8, s1
	v_lshlrev_b64 v[0:1], 4, v[0:1]
	s_lshl_b64 s[0:1], s[0:1], 4
	s_delay_alu instid0(VALU_DEP_2)
	v_add3_u32 v3, v3, v4, v5
	s_add_u32 s0, s6, s0
	s_addc_u32 s1, s7, s1
	v_mul_f64 v[10:11], s[20:21], v[6:7]
	v_mul_f64 v[6:7], s[18:19], v[6:7]
	v_lshlrev_b64 v[2:3], 4, v[2:3]
	s_delay_alu instid0(VALU_DEP_1) | instskip(NEXT) | instid1(VALU_DEP_2)
	v_add_co_u32 v2, vcc_lo, s0, v2
	v_add_co_ci_u32_e32 v3, vcc_lo, s1, v3, vcc_lo
	s_delay_alu instid0(VALU_DEP_2) | instskip(NEXT) | instid1(VALU_DEP_2)
	v_add_co_u32 v4, vcc_lo, v2, v0
	v_add_co_ci_u32_e32 v5, vcc_lo, v3, v1, vcc_lo
	global_load_b128 v[0:3], v[4:5], off
	v_fma_f64 v[10:11], s[18:19], v[8:9], -v[10:11]
	v_fma_f64 v[6:7], s[20:21], v[8:9], v[6:7]
	s_waitcnt vmcnt(0)
	v_mul_f64 v[12:13], s[4:5], v[2:3]
	v_mul_f64 v[2:3], s[2:3], v[2:3]
	s_delay_alu instid0(VALU_DEP_2) | instskip(NEXT) | instid1(VALU_DEP_2)
	v_fma_f64 v[8:9], s[2:3], v[0:1], -v[12:13]
	v_fma_f64 v[2:3], s[4:5], v[0:1], v[2:3]
	s_delay_alu instid0(VALU_DEP_2) | instskip(NEXT) | instid1(VALU_DEP_2)
	v_add_f64 v[0:1], v[10:11], v[8:9]
	v_add_f64 v[2:3], v[6:7], v[2:3]
	global_store_b128 v[4:5], v[0:3], off
.LBB1200_5:
	s_nop 0
	s_sendmsg sendmsg(MSG_DEALLOC_VGPRS)
	s_endpgm
	.section	.rodata,"a",@progbits
	.p2align	6, 0x0
	.amdhsa_kernel _ZL41rocblas_syrkx_herkx_small_restrict_kernelIl19rocblas_complex_numIdELi16ELb0ELb0ELc67ELc76EKS1_S1_EviT_T0_PT6_S3_lS6_S3_lS4_PT7_S3_li
		.amdhsa_group_segment_fixed_size 8192
		.amdhsa_private_segment_fixed_size 0
		.amdhsa_kernarg_size 124
		.amdhsa_user_sgpr_count 13
		.amdhsa_user_sgpr_dispatch_ptr 0
		.amdhsa_user_sgpr_queue_ptr 0
		.amdhsa_user_sgpr_kernarg_segment_ptr 1
		.amdhsa_user_sgpr_dispatch_id 0
		.amdhsa_user_sgpr_private_segment_size 0
		.amdhsa_wavefront_size32 1
		.amdhsa_uses_dynamic_stack 0
		.amdhsa_enable_private_segment 0
		.amdhsa_system_sgpr_workgroup_id_x 1
		.amdhsa_system_sgpr_workgroup_id_y 1
		.amdhsa_system_sgpr_workgroup_id_z 1
		.amdhsa_system_sgpr_workgroup_info 0
		.amdhsa_system_vgpr_workitem_id 1
		.amdhsa_next_free_vgpr 48
		.amdhsa_next_free_sgpr 32
		.amdhsa_reserve_vcc 1
		.amdhsa_float_round_mode_32 0
		.amdhsa_float_round_mode_16_64 0
		.amdhsa_float_denorm_mode_32 3
		.amdhsa_float_denorm_mode_16_64 3
		.amdhsa_dx10_clamp 1
		.amdhsa_ieee_mode 1
		.amdhsa_fp16_overflow 0
		.amdhsa_workgroup_processor_mode 1
		.amdhsa_memory_ordered 1
		.amdhsa_forward_progress 0
		.amdhsa_shared_vgpr_count 0
		.amdhsa_exception_fp_ieee_invalid_op 0
		.amdhsa_exception_fp_denorm_src 0
		.amdhsa_exception_fp_ieee_div_zero 0
		.amdhsa_exception_fp_ieee_overflow 0
		.amdhsa_exception_fp_ieee_underflow 0
		.amdhsa_exception_fp_ieee_inexact 0
		.amdhsa_exception_int_div_zero 0
	.end_amdhsa_kernel
	.section	.text._ZL41rocblas_syrkx_herkx_small_restrict_kernelIl19rocblas_complex_numIdELi16ELb0ELb0ELc67ELc76EKS1_S1_EviT_T0_PT6_S3_lS6_S3_lS4_PT7_S3_li,"axG",@progbits,_ZL41rocblas_syrkx_herkx_small_restrict_kernelIl19rocblas_complex_numIdELi16ELb0ELb0ELc67ELc76EKS1_S1_EviT_T0_PT6_S3_lS6_S3_lS4_PT7_S3_li,comdat
.Lfunc_end1200:
	.size	_ZL41rocblas_syrkx_herkx_small_restrict_kernelIl19rocblas_complex_numIdELi16ELb0ELb0ELc67ELc76EKS1_S1_EviT_T0_PT6_S3_lS6_S3_lS4_PT7_S3_li, .Lfunc_end1200-_ZL41rocblas_syrkx_herkx_small_restrict_kernelIl19rocblas_complex_numIdELi16ELb0ELb0ELc67ELc76EKS1_S1_EviT_T0_PT6_S3_lS6_S3_lS4_PT7_S3_li
                                        ; -- End function
	.section	.AMDGPU.csdata,"",@progbits
; Kernel info:
; codeLenInByte = 1864
; NumSgprs: 34
; NumVgprs: 48
; ScratchSize: 0
; MemoryBound: 0
; FloatMode: 240
; IeeeMode: 1
; LDSByteSize: 8192 bytes/workgroup (compile time only)
; SGPRBlocks: 4
; VGPRBlocks: 5
; NumSGPRsForWavesPerEU: 34
; NumVGPRsForWavesPerEU: 48
; Occupancy: 16
; WaveLimiterHint : 0
; COMPUTE_PGM_RSRC2:SCRATCH_EN: 0
; COMPUTE_PGM_RSRC2:USER_SGPR: 13
; COMPUTE_PGM_RSRC2:TRAP_HANDLER: 0
; COMPUTE_PGM_RSRC2:TGID_X_EN: 1
; COMPUTE_PGM_RSRC2:TGID_Y_EN: 1
; COMPUTE_PGM_RSRC2:TGID_Z_EN: 1
; COMPUTE_PGM_RSRC2:TIDIG_COMP_CNT: 1
	.section	.text._ZL41rocblas_syrkx_herkx_small_restrict_kernelIl19rocblas_complex_numIdELi16ELb0ELb0ELc78ELc76EKS1_S1_EviT_T0_PT6_S3_lS6_S3_lS4_PT7_S3_li,"axG",@progbits,_ZL41rocblas_syrkx_herkx_small_restrict_kernelIl19rocblas_complex_numIdELi16ELb0ELb0ELc78ELc76EKS1_S1_EviT_T0_PT6_S3_lS6_S3_lS4_PT7_S3_li,comdat
	.globl	_ZL41rocblas_syrkx_herkx_small_restrict_kernelIl19rocblas_complex_numIdELi16ELb0ELb0ELc78ELc76EKS1_S1_EviT_T0_PT6_S3_lS6_S3_lS4_PT7_S3_li ; -- Begin function _ZL41rocblas_syrkx_herkx_small_restrict_kernelIl19rocblas_complex_numIdELi16ELb0ELb0ELc78ELc76EKS1_S1_EviT_T0_PT6_S3_lS6_S3_lS4_PT7_S3_li
	.p2align	8
	.type	_ZL41rocblas_syrkx_herkx_small_restrict_kernelIl19rocblas_complex_numIdELi16ELb0ELb0ELc78ELc76EKS1_S1_EviT_T0_PT6_S3_lS6_S3_lS4_PT7_S3_li,@function
_ZL41rocblas_syrkx_herkx_small_restrict_kernelIl19rocblas_complex_numIdELi16ELb0ELb0ELc78ELc76EKS1_S1_EviT_T0_PT6_S3_lS6_S3_lS4_PT7_S3_li: ; @_ZL41rocblas_syrkx_herkx_small_restrict_kernelIl19rocblas_complex_numIdELi16ELb0ELb0ELc78ELc76EKS1_S1_EviT_T0_PT6_S3_lS6_S3_lS4_PT7_S3_li
; %bb.0:
	s_clause 0x2
	s_load_b512 s[16:31], s[0:1], 0x8
	s_load_b128 s[8:11], s[0:1], 0x68
	s_load_b256 s[0:7], s[0:1], 0x48
	v_dual_mov_b32 v8, 0 :: v_dual_and_b32 v5, 0x3ff, v0
	v_bfe_u32 v4, v0, 10, 10
	v_mov_b32_e32 v9, 0
	s_delay_alu instid0(VALU_DEP_3) | instskip(NEXT) | instid1(VALU_DEP_3)
	v_lshl_add_u32 v0, s13, 4, v5
	v_lshl_add_u32 v2, s14, 4, v4
	s_delay_alu instid0(VALU_DEP_3) | instskip(NEXT) | instid1(VALU_DEP_3)
	v_dual_mov_b32 v11, v9 :: v_dual_mov_b32 v10, v8
	v_ashrrev_i32_e32 v1, 31, v0
	s_delay_alu instid0(VALU_DEP_3) | instskip(SKIP_2) | instid1(VALU_DEP_1)
	v_ashrrev_i32_e32 v3, 31, v2
	s_waitcnt lgkmcnt(0)
	v_cmp_lt_i64_e64 s12, s[16:17], 1
	s_and_b32 vcc_lo, exec_lo, s12
	s_cbranch_vccnz .LBB1201_3
; %bb.1:
	v_mad_u64_u32 v[6:7], null, s30, v5, 0
	v_mad_u64_u32 v[8:9], null, s24, v4, 0
	v_lshlrev_b32_e32 v14, 8, v4
	s_mul_i32 s1, s1, s15
	s_mul_hi_u32 s13, s0, s15
	s_mul_i32 s0, s0, s15
	s_add_i32 s1, s13, s1
	v_lshlrev_b64 v[16:17], 4, v[2:3]
	s_delay_alu instid0(VALU_DEP_3)
	v_mad_u64_u32 v[10:11], null, s31, v5, v[7:8]
	v_dual_mov_b32 v5, v9 :: v_dual_lshlrev_b32 v12, 4, v5
	s_lshl_b64 s[0:1], s[0:1], 4
	s_mul_i32 s14, s27, s15
	s_mul_hi_u32 s27, s26, s15
	s_mul_i32 s12, s26, s15
	s_delay_alu instid0(VALU_DEP_2) | instskip(SKIP_3) | instid1(VALU_DEP_3)
	v_mov_b32_e32 v7, v10
	v_mad_u64_u32 v[9:10], null, s25, v4, v[5:6]
	s_add_i32 s13, s27, s14
	v_add_nc_u32_e32 v13, 0x1000, v14
	v_lshlrev_b64 v[4:5], 4, v[6:7]
	s_lshl_b64 s[12:13], s[12:13], 4
	v_add_nc_u32_e32 v14, v12, v14
	s_delay_alu instid0(VALU_DEP_2) | instskip(NEXT) | instid1(VALU_DEP_3)
	v_add_co_u32 v6, vcc_lo, s0, v4
	v_add_co_ci_u32_e32 v7, vcc_lo, s1, v5, vcc_lo
	v_lshlrev_b64 v[4:5], 4, v[8:9]
	s_delay_alu instid0(VALU_DEP_3) | instskip(NEXT) | instid1(VALU_DEP_3)
	v_add_co_u32 v6, vcc_lo, v6, v16
	v_add_co_ci_u32_e32 v7, vcc_lo, v7, v17, vcc_lo
	s_lshl_b64 s[0:1], s[30:31], 8
	s_delay_alu instid0(VALU_DEP_3) | instskip(NEXT) | instid1(VALU_DEP_4)
	v_add_co_u32 v8, vcc_lo, s12, v4
	v_add_co_ci_u32_e32 v9, vcc_lo, s13, v5, vcc_lo
	v_lshlrev_b64 v[4:5], 4, v[0:1]
	v_add_co_u32 v6, vcc_lo, v6, s28
	v_add_co_ci_u32_e32 v7, vcc_lo, s29, v7, vcc_lo
	s_lshl_b64 s[12:13], s[24:25], 8
	s_delay_alu instid0(VALU_DEP_3) | instskip(NEXT) | instid1(VALU_DEP_4)
	v_add_co_u32 v10, vcc_lo, v8, v4
	v_add_co_ci_u32_e32 v11, vcc_lo, v9, v5, vcc_lo
	v_mov_b32_e32 v8, 0
	v_mov_b32_e32 v9, 0
	v_add_co_u32 v4, vcc_lo, v6, 8
	v_add_co_ci_u32_e32 v5, vcc_lo, 0, v7, vcc_lo
	v_add_co_u32 v6, vcc_lo, s22, v10
	v_add_co_ci_u32_e32 v7, vcc_lo, s23, v11, vcc_lo
	v_mov_b32_e32 v11, v9
	v_dual_mov_b32 v10, v8 :: v_dual_add_nc_u32 v15, v13, v12
	s_mov_b64 s[22:23], 0
.LBB1201_2:                             ; =>This Inner Loop Header: Depth=1
	global_load_b128 v[16:19], v[6:7], off
	global_load_b128 v[20:23], v[4:5], off offset:-8
	s_add_u32 s22, s22, 16
	v_add_co_u32 v4, vcc_lo, v4, s0
	s_addc_u32 s23, s23, 0
	v_add_co_ci_u32_e32 v5, vcc_lo, s1, v5, vcc_lo
	v_cmp_lt_i64_e64 s14, s[22:23], s[16:17]
	v_add_co_u32 v6, vcc_lo, v6, s12
	v_add_co_ci_u32_e32 v7, vcc_lo, s13, v7, vcc_lo
	s_waitcnt vmcnt(1)
	ds_store_2addr_b64 v14, v[16:17], v[18:19] offset1:1
	s_waitcnt vmcnt(0)
	ds_store_b128 v15, v[20:23]
	s_waitcnt lgkmcnt(0)
	s_barrier
	buffer_gl0_inv
	ds_load_b128 v[16:19], v12
	ds_load_b128 v[20:23], v13
	ds_load_b128 v[24:27], v13 offset:16
	ds_load_b128 v[28:31], v12 offset:256
	s_and_b32 vcc_lo, exec_lo, s14
	s_waitcnt lgkmcnt(2)
	v_mul_f64 v[32:33], v[22:23], v[18:19]
	v_mul_f64 v[18:19], v[20:21], v[18:19]
	s_waitcnt lgkmcnt(0)
	v_mul_f64 v[38:39], v[26:27], v[30:31]
	v_mul_f64 v[40:41], v[24:25], v[30:31]
	s_delay_alu instid0(VALU_DEP_4) | instskip(NEXT) | instid1(VALU_DEP_4)
	v_fma_f64 v[42:43], v[20:21], v[16:17], -v[32:33]
	v_fma_f64 v[44:45], v[22:23], v[16:17], v[18:19]
	ds_load_b128 v[16:19], v12 offset:512
	ds_load_b128 v[20:23], v13 offset:32
	;; [unrolled: 1-line block ×4, first 2 shown]
	v_fma_f64 v[24:25], v[24:25], v[28:29], -v[38:39]
	v_fma_f64 v[26:27], v[26:27], v[28:29], v[40:41]
	s_waitcnt lgkmcnt(2)
	v_mul_f64 v[46:47], v[22:23], v[18:19]
	v_mul_f64 v[18:19], v[20:21], v[18:19]
	s_waitcnt lgkmcnt(0)
	v_mul_f64 v[28:29], v[32:33], v[36:37]
	v_mul_f64 v[36:37], v[30:31], v[36:37]
	v_add_f64 v[10:11], v[10:11], v[42:43]
	v_add_f64 v[8:9], v[8:9], v[44:45]
	v_fma_f64 v[38:39], v[20:21], v[16:17], -v[46:47]
	v_fma_f64 v[40:41], v[22:23], v[16:17], v[18:19]
	v_fma_f64 v[28:29], v[30:31], v[34:35], -v[28:29]
	v_fma_f64 v[30:31], v[32:33], v[34:35], v[36:37]
	v_add_f64 v[42:43], v[10:11], v[24:25]
	v_add_f64 v[44:45], v[8:9], v[26:27]
	ds_load_b128 v[8:11], v12 offset:1024
	ds_load_b128 v[16:19], v13 offset:64
	;; [unrolled: 1-line block ×4, first 2 shown]
	s_waitcnt lgkmcnt(2)
	v_mul_f64 v[46:47], v[18:19], v[10:11]
	v_mul_f64 v[10:11], v[16:17], v[10:11]
	s_waitcnt lgkmcnt(0)
	v_mul_f64 v[36:37], v[22:23], v[26:27]
	v_add_f64 v[32:33], v[42:43], v[38:39]
	v_add_f64 v[34:35], v[44:45], v[40:41]
	v_mul_f64 v[38:39], v[20:21], v[26:27]
	v_fma_f64 v[40:41], v[16:17], v[8:9], -v[46:47]
	v_fma_f64 v[42:43], v[18:19], v[8:9], v[10:11]
	v_fma_f64 v[20:21], v[20:21], v[24:25], -v[36:37]
	v_add_f64 v[44:45], v[32:33], v[28:29]
	v_add_f64 v[34:35], v[34:35], v[30:31]
	ds_load_b128 v[8:11], v12 offset:1536
	ds_load_b128 v[16:19], v13 offset:96
	;; [unrolled: 1-line block ×4, first 2 shown]
	v_fma_f64 v[22:23], v[22:23], v[24:25], v[38:39]
	s_waitcnt lgkmcnt(2)
	v_mul_f64 v[46:47], v[18:19], v[10:11]
	v_mul_f64 v[10:11], v[16:17], v[10:11]
	s_waitcnt lgkmcnt(0)
	v_mul_f64 v[36:37], v[28:29], v[32:33]
	v_mul_f64 v[38:39], v[26:27], v[32:33]
	v_add_f64 v[24:25], v[44:45], v[40:41]
	v_add_f64 v[34:35], v[34:35], v[42:43]
	v_fma_f64 v[40:41], v[16:17], v[8:9], -v[46:47]
	v_fma_f64 v[42:43], v[18:19], v[8:9], v[10:11]
	v_fma_f64 v[26:27], v[26:27], v[30:31], -v[36:37]
	v_fma_f64 v[28:29], v[28:29], v[30:31], v[38:39]
	v_add_f64 v[24:25], v[24:25], v[20:21]
	v_add_f64 v[44:45], v[34:35], v[22:23]
	ds_load_b128 v[8:11], v12 offset:2048
	ds_load_b128 v[16:19], v13 offset:128
	;; [unrolled: 1-line block ×4, first 2 shown]
	s_waitcnt lgkmcnt(2)
	v_mul_f64 v[46:47], v[18:19], v[10:11]
	v_mul_f64 v[10:11], v[16:17], v[10:11]
	s_waitcnt lgkmcnt(0)
	v_mul_f64 v[36:37], v[22:23], v[34:35]
	v_mul_f64 v[34:35], v[20:21], v[34:35]
	v_add_f64 v[24:25], v[24:25], v[40:41]
	v_add_f64 v[30:31], v[44:45], v[42:43]
	v_fma_f64 v[38:39], v[16:17], v[8:9], -v[46:47]
	v_fma_f64 v[40:41], v[18:19], v[8:9], v[10:11]
	v_fma_f64 v[20:21], v[20:21], v[32:33], -v[36:37]
	v_fma_f64 v[22:23], v[22:23], v[32:33], v[34:35]
	v_add_f64 v[42:43], v[24:25], v[26:27]
	v_add_f64 v[44:45], v[30:31], v[28:29]
	ds_load_b128 v[8:11], v12 offset:2560
	ds_load_b128 v[16:19], v13 offset:160
	;; [unrolled: 1-line block ×4, first 2 shown]
	s_waitcnt lgkmcnt(2)
	v_mul_f64 v[46:47], v[18:19], v[10:11]
	v_mul_f64 v[10:11], v[16:17], v[10:11]
	s_waitcnt lgkmcnt(0)
	v_mul_f64 v[36:37], v[26:27], v[30:31]
	v_add_f64 v[32:33], v[42:43], v[38:39]
	v_add_f64 v[34:35], v[44:45], v[40:41]
	v_mul_f64 v[38:39], v[24:25], v[30:31]
	v_fma_f64 v[40:41], v[16:17], v[8:9], -v[46:47]
	v_fma_f64 v[42:43], v[18:19], v[8:9], v[10:11]
	v_fma_f64 v[24:25], v[24:25], v[28:29], -v[36:37]
	v_add_f64 v[44:45], v[32:33], v[20:21]
	v_add_f64 v[34:35], v[34:35], v[22:23]
	ds_load_b128 v[8:11], v12 offset:3072
	ds_load_b128 v[16:19], v13 offset:192
	ds_load_b128 v[20:23], v13 offset:208
	ds_load_b128 v[30:33], v12 offset:3328
	v_fma_f64 v[26:27], v[26:27], v[28:29], v[38:39]
	s_waitcnt lgkmcnt(2)
	v_mul_f64 v[46:47], v[18:19], v[10:11]
	v_mul_f64 v[10:11], v[16:17], v[10:11]
	s_waitcnt lgkmcnt(0)
	v_mul_f64 v[36:37], v[22:23], v[32:33]
	v_mul_f64 v[38:39], v[20:21], v[32:33]
	v_add_f64 v[28:29], v[44:45], v[40:41]
	v_add_f64 v[34:35], v[34:35], v[42:43]
	v_fma_f64 v[40:41], v[16:17], v[8:9], -v[46:47]
	v_fma_f64 v[42:43], v[18:19], v[8:9], v[10:11]
	v_fma_f64 v[20:21], v[20:21], v[30:31], -v[36:37]
	v_fma_f64 v[22:23], v[22:23], v[30:31], v[38:39]
	v_add_f64 v[28:29], v[28:29], v[24:25]
	v_add_f64 v[44:45], v[34:35], v[26:27]
	ds_load_b128 v[8:11], v12 offset:3584
	ds_load_b128 v[16:19], v13 offset:224
	;; [unrolled: 1-line block ×4, first 2 shown]
	s_waitcnt lgkmcnt(0)
	s_barrier
	buffer_gl0_inv
	v_mul_f64 v[46:47], v[18:19], v[10:11]
	v_mul_f64 v[10:11], v[16:17], v[10:11]
	;; [unrolled: 1-line block ×4, first 2 shown]
	v_add_f64 v[28:29], v[28:29], v[40:41]
	v_add_f64 v[30:31], v[44:45], v[42:43]
	v_fma_f64 v[16:17], v[16:17], v[8:9], -v[46:47]
	v_fma_f64 v[8:9], v[18:19], v[8:9], v[10:11]
	s_delay_alu instid0(VALU_DEP_4) | instskip(NEXT) | instid1(VALU_DEP_4)
	v_add_f64 v[10:11], v[28:29], v[20:21]
	v_add_f64 v[18:19], v[30:31], v[22:23]
	v_fma_f64 v[20:21], v[24:25], v[32:33], -v[36:37]
	v_fma_f64 v[22:23], v[26:27], v[32:33], v[34:35]
	s_delay_alu instid0(VALU_DEP_4) | instskip(NEXT) | instid1(VALU_DEP_4)
	v_add_f64 v[10:11], v[10:11], v[16:17]
	v_add_f64 v[8:9], v[18:19], v[8:9]
	s_delay_alu instid0(VALU_DEP_2) | instskip(NEXT) | instid1(VALU_DEP_2)
	v_add_f64 v[10:11], v[10:11], v[20:21]
	v_add_f64 v[8:9], v[8:9], v[22:23]
	s_cbranch_vccnz .LBB1201_2
.LBB1201_3:
	s_mov_b32 s0, exec_lo
	v_cmpx_le_i32_e64 v2, v0
	s_cbranch_execz .LBB1201_5
; %bb.4:
	v_mul_lo_u32 v5, v2, s9
	v_mul_lo_u32 v6, v3, s8
	v_mad_u64_u32 v[3:4], null, v2, s8, 0
	s_mul_i32 s1, s15, s11
	s_mul_hi_u32 s8, s15, s10
	s_mul_i32 s0, s15, s10
	s_add_i32 s1, s8, s1
	v_lshlrev_b64 v[0:1], 4, v[0:1]
	s_lshl_b64 s[0:1], s[0:1], 4
	s_delay_alu instid0(VALU_DEP_2)
	v_add3_u32 v4, v4, v5, v6
	s_add_u32 s0, s6, s0
	s_addc_u32 s1, s7, s1
	v_mul_f64 v[6:7], s[20:21], v[8:9]
	v_mul_f64 v[8:9], s[18:19], v[8:9]
	v_lshlrev_b64 v[2:3], 4, v[3:4]
	s_delay_alu instid0(VALU_DEP_1) | instskip(NEXT) | instid1(VALU_DEP_2)
	v_add_co_u32 v2, vcc_lo, s0, v2
	v_add_co_ci_u32_e32 v3, vcc_lo, s1, v3, vcc_lo
	s_delay_alu instid0(VALU_DEP_2) | instskip(NEXT) | instid1(VALU_DEP_2)
	v_add_co_u32 v4, vcc_lo, v2, v0
	v_add_co_ci_u32_e32 v5, vcc_lo, v3, v1, vcc_lo
	global_load_b128 v[0:3], v[4:5], off
	v_fma_f64 v[6:7], s[18:19], v[10:11], -v[6:7]
	v_fma_f64 v[8:9], s[20:21], v[10:11], v[8:9]
	s_waitcnt vmcnt(0)
	v_mul_f64 v[12:13], s[4:5], v[2:3]
	v_mul_f64 v[2:3], s[2:3], v[2:3]
	s_delay_alu instid0(VALU_DEP_2) | instskip(NEXT) | instid1(VALU_DEP_2)
	v_fma_f64 v[10:11], s[2:3], v[0:1], -v[12:13]
	v_fma_f64 v[2:3], s[4:5], v[0:1], v[2:3]
	s_delay_alu instid0(VALU_DEP_2) | instskip(NEXT) | instid1(VALU_DEP_2)
	v_add_f64 v[0:1], v[6:7], v[10:11]
	v_add_f64 v[2:3], v[8:9], v[2:3]
	global_store_b128 v[4:5], v[0:3], off
.LBB1201_5:
	s_nop 0
	s_sendmsg sendmsg(MSG_DEALLOC_VGPRS)
	s_endpgm
	.section	.rodata,"a",@progbits
	.p2align	6, 0x0
	.amdhsa_kernel _ZL41rocblas_syrkx_herkx_small_restrict_kernelIl19rocblas_complex_numIdELi16ELb0ELb0ELc78ELc76EKS1_S1_EviT_T0_PT6_S3_lS6_S3_lS4_PT7_S3_li
		.amdhsa_group_segment_fixed_size 8192
		.amdhsa_private_segment_fixed_size 0
		.amdhsa_kernarg_size 124
		.amdhsa_user_sgpr_count 13
		.amdhsa_user_sgpr_dispatch_ptr 0
		.amdhsa_user_sgpr_queue_ptr 0
		.amdhsa_user_sgpr_kernarg_segment_ptr 1
		.amdhsa_user_sgpr_dispatch_id 0
		.amdhsa_user_sgpr_private_segment_size 0
		.amdhsa_wavefront_size32 1
		.amdhsa_uses_dynamic_stack 0
		.amdhsa_enable_private_segment 0
		.amdhsa_system_sgpr_workgroup_id_x 1
		.amdhsa_system_sgpr_workgroup_id_y 1
		.amdhsa_system_sgpr_workgroup_id_z 1
		.amdhsa_system_sgpr_workgroup_info 0
		.amdhsa_system_vgpr_workitem_id 1
		.amdhsa_next_free_vgpr 48
		.amdhsa_next_free_sgpr 32
		.amdhsa_reserve_vcc 1
		.amdhsa_float_round_mode_32 0
		.amdhsa_float_round_mode_16_64 0
		.amdhsa_float_denorm_mode_32 3
		.amdhsa_float_denorm_mode_16_64 3
		.amdhsa_dx10_clamp 1
		.amdhsa_ieee_mode 1
		.amdhsa_fp16_overflow 0
		.amdhsa_workgroup_processor_mode 1
		.amdhsa_memory_ordered 1
		.amdhsa_forward_progress 0
		.amdhsa_shared_vgpr_count 0
		.amdhsa_exception_fp_ieee_invalid_op 0
		.amdhsa_exception_fp_denorm_src 0
		.amdhsa_exception_fp_ieee_div_zero 0
		.amdhsa_exception_fp_ieee_overflow 0
		.amdhsa_exception_fp_ieee_underflow 0
		.amdhsa_exception_fp_ieee_inexact 0
		.amdhsa_exception_int_div_zero 0
	.end_amdhsa_kernel
	.section	.text._ZL41rocblas_syrkx_herkx_small_restrict_kernelIl19rocblas_complex_numIdELi16ELb0ELb0ELc78ELc76EKS1_S1_EviT_T0_PT6_S3_lS6_S3_lS4_PT7_S3_li,"axG",@progbits,_ZL41rocblas_syrkx_herkx_small_restrict_kernelIl19rocblas_complex_numIdELi16ELb0ELb0ELc78ELc76EKS1_S1_EviT_T0_PT6_S3_lS6_S3_lS4_PT7_S3_li,comdat
.Lfunc_end1201:
	.size	_ZL41rocblas_syrkx_herkx_small_restrict_kernelIl19rocblas_complex_numIdELi16ELb0ELb0ELc78ELc76EKS1_S1_EviT_T0_PT6_S3_lS6_S3_lS4_PT7_S3_li, .Lfunc_end1201-_ZL41rocblas_syrkx_herkx_small_restrict_kernelIl19rocblas_complex_numIdELi16ELb0ELb0ELc78ELc76EKS1_S1_EviT_T0_PT6_S3_lS6_S3_lS4_PT7_S3_li
                                        ; -- End function
	.section	.AMDGPU.csdata,"",@progbits
; Kernel info:
; codeLenInByte = 1852
; NumSgprs: 34
; NumVgprs: 48
; ScratchSize: 0
; MemoryBound: 0
; FloatMode: 240
; IeeeMode: 1
; LDSByteSize: 8192 bytes/workgroup (compile time only)
; SGPRBlocks: 4
; VGPRBlocks: 5
; NumSGPRsForWavesPerEU: 34
; NumVGPRsForWavesPerEU: 48
; Occupancy: 16
; WaveLimiterHint : 0
; COMPUTE_PGM_RSRC2:SCRATCH_EN: 0
; COMPUTE_PGM_RSRC2:USER_SGPR: 13
; COMPUTE_PGM_RSRC2:TRAP_HANDLER: 0
; COMPUTE_PGM_RSRC2:TGID_X_EN: 1
; COMPUTE_PGM_RSRC2:TGID_Y_EN: 1
; COMPUTE_PGM_RSRC2:TGID_Z_EN: 1
; COMPUTE_PGM_RSRC2:TIDIG_COMP_CNT: 1
	.section	.text._ZL41rocblas_syrkx_herkx_small_restrict_kernelIl19rocblas_complex_numIdELi16ELb0ELb0ELc84ELc85EKS1_S1_EviT_T0_PT6_S3_lS6_S3_lS4_PT7_S3_li,"axG",@progbits,_ZL41rocblas_syrkx_herkx_small_restrict_kernelIl19rocblas_complex_numIdELi16ELb0ELb0ELc84ELc85EKS1_S1_EviT_T0_PT6_S3_lS6_S3_lS4_PT7_S3_li,comdat
	.globl	_ZL41rocblas_syrkx_herkx_small_restrict_kernelIl19rocblas_complex_numIdELi16ELb0ELb0ELc84ELc85EKS1_S1_EviT_T0_PT6_S3_lS6_S3_lS4_PT7_S3_li ; -- Begin function _ZL41rocblas_syrkx_herkx_small_restrict_kernelIl19rocblas_complex_numIdELi16ELb0ELb0ELc84ELc85EKS1_S1_EviT_T0_PT6_S3_lS6_S3_lS4_PT7_S3_li
	.p2align	8
	.type	_ZL41rocblas_syrkx_herkx_small_restrict_kernelIl19rocblas_complex_numIdELi16ELb0ELb0ELc84ELc85EKS1_S1_EviT_T0_PT6_S3_lS6_S3_lS4_PT7_S3_li,@function
_ZL41rocblas_syrkx_herkx_small_restrict_kernelIl19rocblas_complex_numIdELi16ELb0ELb0ELc84ELc85EKS1_S1_EviT_T0_PT6_S3_lS6_S3_lS4_PT7_S3_li: ; @_ZL41rocblas_syrkx_herkx_small_restrict_kernelIl19rocblas_complex_numIdELi16ELb0ELb0ELc84ELc85EKS1_S1_EviT_T0_PT6_S3_lS6_S3_lS4_PT7_S3_li
; %bb.0:
	s_clause 0x2
	s_load_b512 s[16:31], s[0:1], 0x8
	s_load_b128 s[8:11], s[0:1], 0x68
	s_load_b256 s[0:7], s[0:1], 0x48
	v_dual_mov_b32 v6, 0 :: v_dual_and_b32 v3, 0x3ff, v0
	v_bfe_u32 v2, v0, 10, 10
	v_mov_b32_e32 v7, 0
	s_delay_alu instid0(VALU_DEP_3) | instskip(NEXT) | instid1(VALU_DEP_3)
	v_lshl_add_u32 v0, s13, 4, v3
	v_lshl_add_u32 v10, s14, 4, v2
	s_delay_alu instid0(VALU_DEP_3) | instskip(NEXT) | instid1(VALU_DEP_3)
	v_dual_mov_b32 v9, v7 :: v_dual_mov_b32 v8, v6
	v_ashrrev_i32_e32 v1, 31, v0
	s_delay_alu instid0(VALU_DEP_3) | instskip(SKIP_2) | instid1(VALU_DEP_1)
	v_ashrrev_i32_e32 v11, 31, v10
	s_waitcnt lgkmcnt(0)
	v_cmp_lt_i64_e64 s12, s[16:17], 1
	s_and_b32 vcc_lo, exec_lo, s12
	s_cbranch_vccnz .LBB1202_3
; %bb.1:
	v_mul_lo_u32 v9, s31, v10
	v_mul_lo_u32 v15, s30, v11
	v_mad_u64_u32 v[4:5], null, s30, v10, 0
	v_lshlrev_b32_e32 v12, 4, v3
	v_mul_lo_u32 v3, s25, v0
	v_mul_lo_u32 v16, s24, v1
	v_mad_u64_u32 v[6:7], null, s24, v0, 0
	s_mul_i32 s1, s1, s15
	v_add3_u32 v5, v5, v15, v9
	s_mul_hi_u32 s12, s0, s15
	s_mul_i32 s0, s0, s15
	s_add_i32 s1, s12, s1
	s_mul_i32 s12, s27, s15
	s_delay_alu instid0(VALU_DEP_2)
	v_add3_u32 v7, v7, v16, v3
	v_lshlrev_b64 v[3:4], 4, v[4:5]
	s_lshl_b64 s[0:1], s[0:1], 4
	s_mul_hi_u32 s13, s26, s15
	v_lshlrev_b32_e32 v8, 8, v2
	v_lshlrev_b64 v[5:6], 4, v[6:7]
	s_add_i32 s13, s13, s12
	s_mul_i32 s12, s26, s15
	v_add_co_u32 v3, vcc_lo, v3, s0
	v_add_co_ci_u32_e32 v4, vcc_lo, s1, v4, vcc_lo
	s_lshl_b64 s[0:1], s[12:13], 4
	v_lshlrev_b32_e32 v2, 4, v2
	v_add_co_u32 v5, vcc_lo, v5, s0
	v_add_co_ci_u32_e32 v6, vcc_lo, s1, v6, vcc_lo
	v_add_co_u32 v3, vcc_lo, v3, v12
	v_add_co_ci_u32_e32 v4, vcc_lo, 0, v4, vcc_lo
	s_delay_alu instid0(VALU_DEP_4)
	v_add_co_u32 v5, vcc_lo, v5, v2
	v_add_nc_u32_e32 v13, 0x1000, v8
	v_add_nc_u32_e32 v14, v12, v8
	v_add_co_ci_u32_e32 v8, vcc_lo, 0, v6, vcc_lo
	v_mov_b32_e32 v6, 0
	v_mov_b32_e32 v7, 0
	v_add_co_u32 v2, vcc_lo, s28, v3
	v_add_co_ci_u32_e32 v3, vcc_lo, s29, v4, vcc_lo
	v_add_co_u32 v4, vcc_lo, s22, v5
	v_add_co_ci_u32_e32 v5, vcc_lo, s23, v8, vcc_lo
	v_mov_b32_e32 v9, v7
	v_dual_mov_b32 v8, v6 :: v_dual_add_nc_u32 v15, v13, v12
	s_mov_b64 s[0:1], 0
.LBB1202_2:                             ; =>This Inner Loop Header: Depth=1
	global_load_b128 v[16:19], v[4:5], off
	global_load_b128 v[20:23], v[2:3], off
	s_add_u32 s0, s0, 16
	v_add_co_u32 v2, vcc_lo, 0x100, v2
	s_addc_u32 s1, s1, 0
	v_add_co_ci_u32_e32 v3, vcc_lo, 0, v3, vcc_lo
	v_cmp_lt_i64_e64 s12, s[0:1], s[16:17]
	v_add_co_u32 v4, vcc_lo, 0x100, v4
	v_add_co_ci_u32_e32 v5, vcc_lo, 0, v5, vcc_lo
	s_waitcnt vmcnt(1)
	ds_store_2addr_b64 v14, v[16:17], v[18:19] offset1:1
	s_waitcnt vmcnt(0)
	ds_store_2addr_b64 v15, v[20:21], v[22:23] offset1:1
	s_waitcnt lgkmcnt(0)
	s_barrier
	buffer_gl0_inv
	ds_load_b128 v[16:19], v12
	ds_load_b128 v[20:23], v13
	ds_load_b128 v[24:27], v13 offset:16
	ds_load_b128 v[28:31], v12 offset:256
	s_and_b32 vcc_lo, exec_lo, s12
	s_waitcnt lgkmcnt(2)
	v_mul_f64 v[32:33], v[22:23], v[18:19]
	v_mul_f64 v[18:19], v[20:21], v[18:19]
	s_waitcnt lgkmcnt(0)
	v_mul_f64 v[38:39], v[26:27], v[30:31]
	v_mul_f64 v[40:41], v[24:25], v[30:31]
	s_delay_alu instid0(VALU_DEP_4) | instskip(NEXT) | instid1(VALU_DEP_4)
	v_fma_f64 v[42:43], v[20:21], v[16:17], -v[32:33]
	v_fma_f64 v[44:45], v[22:23], v[16:17], v[18:19]
	ds_load_b128 v[16:19], v12 offset:512
	ds_load_b128 v[20:23], v13 offset:32
	;; [unrolled: 1-line block ×4, first 2 shown]
	v_fma_f64 v[24:25], v[24:25], v[28:29], -v[38:39]
	v_fma_f64 v[26:27], v[26:27], v[28:29], v[40:41]
	s_waitcnt lgkmcnt(2)
	v_mul_f64 v[46:47], v[22:23], v[18:19]
	v_mul_f64 v[18:19], v[20:21], v[18:19]
	s_waitcnt lgkmcnt(0)
	v_mul_f64 v[28:29], v[32:33], v[36:37]
	v_mul_f64 v[36:37], v[30:31], v[36:37]
	v_add_f64 v[8:9], v[8:9], v[42:43]
	v_add_f64 v[6:7], v[6:7], v[44:45]
	v_fma_f64 v[38:39], v[20:21], v[16:17], -v[46:47]
	v_fma_f64 v[40:41], v[22:23], v[16:17], v[18:19]
	v_fma_f64 v[28:29], v[30:31], v[34:35], -v[28:29]
	v_fma_f64 v[30:31], v[32:33], v[34:35], v[36:37]
	v_add_f64 v[42:43], v[8:9], v[24:25]
	v_add_f64 v[44:45], v[6:7], v[26:27]
	ds_load_b128 v[6:9], v12 offset:1024
	ds_load_b128 v[16:19], v13 offset:64
	;; [unrolled: 1-line block ×4, first 2 shown]
	s_waitcnt lgkmcnt(2)
	v_mul_f64 v[46:47], v[18:19], v[8:9]
	v_mul_f64 v[8:9], v[16:17], v[8:9]
	s_waitcnt lgkmcnt(0)
	v_mul_f64 v[36:37], v[22:23], v[26:27]
	v_add_f64 v[32:33], v[42:43], v[38:39]
	v_add_f64 v[34:35], v[44:45], v[40:41]
	v_mul_f64 v[38:39], v[20:21], v[26:27]
	v_fma_f64 v[40:41], v[16:17], v[6:7], -v[46:47]
	v_fma_f64 v[42:43], v[18:19], v[6:7], v[8:9]
	v_fma_f64 v[20:21], v[20:21], v[24:25], -v[36:37]
	v_add_f64 v[44:45], v[32:33], v[28:29]
	v_add_f64 v[34:35], v[34:35], v[30:31]
	ds_load_b128 v[6:9], v12 offset:1536
	ds_load_b128 v[16:19], v13 offset:96
	;; [unrolled: 1-line block ×4, first 2 shown]
	v_fma_f64 v[22:23], v[22:23], v[24:25], v[38:39]
	s_waitcnt lgkmcnt(2)
	v_mul_f64 v[46:47], v[18:19], v[8:9]
	v_mul_f64 v[8:9], v[16:17], v[8:9]
	s_waitcnt lgkmcnt(0)
	v_mul_f64 v[36:37], v[28:29], v[32:33]
	v_mul_f64 v[38:39], v[26:27], v[32:33]
	v_add_f64 v[24:25], v[44:45], v[40:41]
	v_add_f64 v[34:35], v[34:35], v[42:43]
	v_fma_f64 v[40:41], v[16:17], v[6:7], -v[46:47]
	v_fma_f64 v[42:43], v[18:19], v[6:7], v[8:9]
	v_fma_f64 v[26:27], v[26:27], v[30:31], -v[36:37]
	v_fma_f64 v[28:29], v[28:29], v[30:31], v[38:39]
	v_add_f64 v[24:25], v[24:25], v[20:21]
	v_add_f64 v[44:45], v[34:35], v[22:23]
	ds_load_b128 v[6:9], v12 offset:2048
	ds_load_b128 v[16:19], v13 offset:128
	;; [unrolled: 1-line block ×4, first 2 shown]
	s_waitcnt lgkmcnt(2)
	v_mul_f64 v[46:47], v[18:19], v[8:9]
	v_mul_f64 v[8:9], v[16:17], v[8:9]
	s_waitcnt lgkmcnt(0)
	v_mul_f64 v[36:37], v[22:23], v[34:35]
	v_mul_f64 v[34:35], v[20:21], v[34:35]
	v_add_f64 v[24:25], v[24:25], v[40:41]
	v_add_f64 v[30:31], v[44:45], v[42:43]
	v_fma_f64 v[38:39], v[16:17], v[6:7], -v[46:47]
	v_fma_f64 v[40:41], v[18:19], v[6:7], v[8:9]
	v_fma_f64 v[20:21], v[20:21], v[32:33], -v[36:37]
	v_fma_f64 v[22:23], v[22:23], v[32:33], v[34:35]
	v_add_f64 v[42:43], v[24:25], v[26:27]
	v_add_f64 v[44:45], v[30:31], v[28:29]
	ds_load_b128 v[6:9], v12 offset:2560
	ds_load_b128 v[16:19], v13 offset:160
	;; [unrolled: 1-line block ×4, first 2 shown]
	s_waitcnt lgkmcnt(2)
	v_mul_f64 v[46:47], v[18:19], v[8:9]
	v_mul_f64 v[8:9], v[16:17], v[8:9]
	s_waitcnt lgkmcnt(0)
	v_mul_f64 v[36:37], v[26:27], v[30:31]
	v_add_f64 v[32:33], v[42:43], v[38:39]
	v_add_f64 v[34:35], v[44:45], v[40:41]
	v_mul_f64 v[38:39], v[24:25], v[30:31]
	v_fma_f64 v[40:41], v[16:17], v[6:7], -v[46:47]
	v_fma_f64 v[42:43], v[18:19], v[6:7], v[8:9]
	v_fma_f64 v[24:25], v[24:25], v[28:29], -v[36:37]
	v_add_f64 v[44:45], v[32:33], v[20:21]
	v_add_f64 v[34:35], v[34:35], v[22:23]
	ds_load_b128 v[6:9], v12 offset:3072
	ds_load_b128 v[16:19], v13 offset:192
	;; [unrolled: 1-line block ×4, first 2 shown]
	v_fma_f64 v[26:27], v[26:27], v[28:29], v[38:39]
	s_waitcnt lgkmcnt(2)
	v_mul_f64 v[46:47], v[18:19], v[8:9]
	v_mul_f64 v[8:9], v[16:17], v[8:9]
	s_waitcnt lgkmcnt(0)
	v_mul_f64 v[36:37], v[22:23], v[32:33]
	v_mul_f64 v[38:39], v[20:21], v[32:33]
	v_add_f64 v[28:29], v[44:45], v[40:41]
	v_add_f64 v[34:35], v[34:35], v[42:43]
	v_fma_f64 v[40:41], v[16:17], v[6:7], -v[46:47]
	v_fma_f64 v[42:43], v[18:19], v[6:7], v[8:9]
	v_fma_f64 v[20:21], v[20:21], v[30:31], -v[36:37]
	v_fma_f64 v[22:23], v[22:23], v[30:31], v[38:39]
	v_add_f64 v[28:29], v[28:29], v[24:25]
	v_add_f64 v[44:45], v[34:35], v[26:27]
	ds_load_b128 v[6:9], v12 offset:3584
	ds_load_b128 v[16:19], v13 offset:224
	;; [unrolled: 1-line block ×4, first 2 shown]
	s_waitcnt lgkmcnt(0)
	s_barrier
	buffer_gl0_inv
	v_mul_f64 v[46:47], v[18:19], v[8:9]
	v_mul_f64 v[8:9], v[16:17], v[8:9]
	;; [unrolled: 1-line block ×4, first 2 shown]
	v_add_f64 v[28:29], v[28:29], v[40:41]
	v_add_f64 v[30:31], v[44:45], v[42:43]
	v_fma_f64 v[16:17], v[16:17], v[6:7], -v[46:47]
	v_fma_f64 v[6:7], v[18:19], v[6:7], v[8:9]
	s_delay_alu instid0(VALU_DEP_4) | instskip(NEXT) | instid1(VALU_DEP_4)
	v_add_f64 v[8:9], v[28:29], v[20:21]
	v_add_f64 v[18:19], v[30:31], v[22:23]
	v_fma_f64 v[20:21], v[24:25], v[32:33], -v[36:37]
	v_fma_f64 v[22:23], v[26:27], v[32:33], v[34:35]
	s_delay_alu instid0(VALU_DEP_4) | instskip(NEXT) | instid1(VALU_DEP_4)
	v_add_f64 v[8:9], v[8:9], v[16:17]
	v_add_f64 v[6:7], v[18:19], v[6:7]
	s_delay_alu instid0(VALU_DEP_2) | instskip(NEXT) | instid1(VALU_DEP_2)
	v_add_f64 v[8:9], v[8:9], v[20:21]
	v_add_f64 v[6:7], v[6:7], v[22:23]
	s_cbranch_vccnz .LBB1202_2
.LBB1202_3:
	s_mov_b32 s0, exec_lo
	v_cmpx_le_i32_e64 v0, v10
	s_cbranch_execz .LBB1202_5
; %bb.4:
	v_mul_lo_u32 v4, v10, s9
	v_mul_lo_u32 v5, v11, s8
	v_mad_u64_u32 v[2:3], null, v10, s8, 0
	s_mul_i32 s1, s15, s11
	s_mul_hi_u32 s8, s15, s10
	s_mul_i32 s0, s15, s10
	s_add_i32 s1, s8, s1
	v_lshlrev_b64 v[0:1], 4, v[0:1]
	s_lshl_b64 s[0:1], s[0:1], 4
	s_delay_alu instid0(VALU_DEP_2)
	v_add3_u32 v3, v3, v4, v5
	s_add_u32 s0, s6, s0
	s_addc_u32 s1, s7, s1
	v_mul_f64 v[10:11], s[20:21], v[6:7]
	v_mul_f64 v[6:7], s[18:19], v[6:7]
	v_lshlrev_b64 v[2:3], 4, v[2:3]
	s_delay_alu instid0(VALU_DEP_1) | instskip(NEXT) | instid1(VALU_DEP_2)
	v_add_co_u32 v2, vcc_lo, s0, v2
	v_add_co_ci_u32_e32 v3, vcc_lo, s1, v3, vcc_lo
	s_delay_alu instid0(VALU_DEP_2) | instskip(NEXT) | instid1(VALU_DEP_2)
	v_add_co_u32 v4, vcc_lo, v2, v0
	v_add_co_ci_u32_e32 v5, vcc_lo, v3, v1, vcc_lo
	global_load_b128 v[0:3], v[4:5], off
	v_fma_f64 v[10:11], s[18:19], v[8:9], -v[10:11]
	v_fma_f64 v[6:7], s[20:21], v[8:9], v[6:7]
	s_waitcnt vmcnt(0)
	v_mul_f64 v[12:13], s[4:5], v[2:3]
	v_mul_f64 v[2:3], s[2:3], v[2:3]
	s_delay_alu instid0(VALU_DEP_2) | instskip(NEXT) | instid1(VALU_DEP_2)
	v_fma_f64 v[8:9], s[2:3], v[0:1], -v[12:13]
	v_fma_f64 v[2:3], s[4:5], v[0:1], v[2:3]
	s_delay_alu instid0(VALU_DEP_2) | instskip(NEXT) | instid1(VALU_DEP_2)
	v_add_f64 v[0:1], v[10:11], v[8:9]
	v_add_f64 v[2:3], v[6:7], v[2:3]
	global_store_b128 v[4:5], v[0:3], off
.LBB1202_5:
	s_nop 0
	s_sendmsg sendmsg(MSG_DEALLOC_VGPRS)
	s_endpgm
	.section	.rodata,"a",@progbits
	.p2align	6, 0x0
	.amdhsa_kernel _ZL41rocblas_syrkx_herkx_small_restrict_kernelIl19rocblas_complex_numIdELi16ELb0ELb0ELc84ELc85EKS1_S1_EviT_T0_PT6_S3_lS6_S3_lS4_PT7_S3_li
		.amdhsa_group_segment_fixed_size 8192
		.amdhsa_private_segment_fixed_size 0
		.amdhsa_kernarg_size 124
		.amdhsa_user_sgpr_count 13
		.amdhsa_user_sgpr_dispatch_ptr 0
		.amdhsa_user_sgpr_queue_ptr 0
		.amdhsa_user_sgpr_kernarg_segment_ptr 1
		.amdhsa_user_sgpr_dispatch_id 0
		.amdhsa_user_sgpr_private_segment_size 0
		.amdhsa_wavefront_size32 1
		.amdhsa_uses_dynamic_stack 0
		.amdhsa_enable_private_segment 0
		.amdhsa_system_sgpr_workgroup_id_x 1
		.amdhsa_system_sgpr_workgroup_id_y 1
		.amdhsa_system_sgpr_workgroup_id_z 1
		.amdhsa_system_sgpr_workgroup_info 0
		.amdhsa_system_vgpr_workitem_id 1
		.amdhsa_next_free_vgpr 48
		.amdhsa_next_free_sgpr 32
		.amdhsa_reserve_vcc 1
		.amdhsa_float_round_mode_32 0
		.amdhsa_float_round_mode_16_64 0
		.amdhsa_float_denorm_mode_32 3
		.amdhsa_float_denorm_mode_16_64 3
		.amdhsa_dx10_clamp 1
		.amdhsa_ieee_mode 1
		.amdhsa_fp16_overflow 0
		.amdhsa_workgroup_processor_mode 1
		.amdhsa_memory_ordered 1
		.amdhsa_forward_progress 0
		.amdhsa_shared_vgpr_count 0
		.amdhsa_exception_fp_ieee_invalid_op 0
		.amdhsa_exception_fp_denorm_src 0
		.amdhsa_exception_fp_ieee_div_zero 0
		.amdhsa_exception_fp_ieee_overflow 0
		.amdhsa_exception_fp_ieee_underflow 0
		.amdhsa_exception_fp_ieee_inexact 0
		.amdhsa_exception_int_div_zero 0
	.end_amdhsa_kernel
	.section	.text._ZL41rocblas_syrkx_herkx_small_restrict_kernelIl19rocblas_complex_numIdELi16ELb0ELb0ELc84ELc85EKS1_S1_EviT_T0_PT6_S3_lS6_S3_lS4_PT7_S3_li,"axG",@progbits,_ZL41rocblas_syrkx_herkx_small_restrict_kernelIl19rocblas_complex_numIdELi16ELb0ELb0ELc84ELc85EKS1_S1_EviT_T0_PT6_S3_lS6_S3_lS4_PT7_S3_li,comdat
.Lfunc_end1202:
	.size	_ZL41rocblas_syrkx_herkx_small_restrict_kernelIl19rocblas_complex_numIdELi16ELb0ELb0ELc84ELc85EKS1_S1_EviT_T0_PT6_S3_lS6_S3_lS4_PT7_S3_li, .Lfunc_end1202-_ZL41rocblas_syrkx_herkx_small_restrict_kernelIl19rocblas_complex_numIdELi16ELb0ELb0ELc84ELc85EKS1_S1_EviT_T0_PT6_S3_lS6_S3_lS4_PT7_S3_li
                                        ; -- End function
	.section	.AMDGPU.csdata,"",@progbits
; Kernel info:
; codeLenInByte = 1836
; NumSgprs: 34
; NumVgprs: 48
; ScratchSize: 0
; MemoryBound: 0
; FloatMode: 240
; IeeeMode: 1
; LDSByteSize: 8192 bytes/workgroup (compile time only)
; SGPRBlocks: 4
; VGPRBlocks: 5
; NumSGPRsForWavesPerEU: 34
; NumVGPRsForWavesPerEU: 48
; Occupancy: 16
; WaveLimiterHint : 0
; COMPUTE_PGM_RSRC2:SCRATCH_EN: 0
; COMPUTE_PGM_RSRC2:USER_SGPR: 13
; COMPUTE_PGM_RSRC2:TRAP_HANDLER: 0
; COMPUTE_PGM_RSRC2:TGID_X_EN: 1
; COMPUTE_PGM_RSRC2:TGID_Y_EN: 1
; COMPUTE_PGM_RSRC2:TGID_Z_EN: 1
; COMPUTE_PGM_RSRC2:TIDIG_COMP_CNT: 1
	.section	.text._ZL41rocblas_syrkx_herkx_small_restrict_kernelIl19rocblas_complex_numIdELi16ELb0ELb0ELc67ELc85EKS1_S1_EviT_T0_PT6_S3_lS6_S3_lS4_PT7_S3_li,"axG",@progbits,_ZL41rocblas_syrkx_herkx_small_restrict_kernelIl19rocblas_complex_numIdELi16ELb0ELb0ELc67ELc85EKS1_S1_EviT_T0_PT6_S3_lS6_S3_lS4_PT7_S3_li,comdat
	.globl	_ZL41rocblas_syrkx_herkx_small_restrict_kernelIl19rocblas_complex_numIdELi16ELb0ELb0ELc67ELc85EKS1_S1_EviT_T0_PT6_S3_lS6_S3_lS4_PT7_S3_li ; -- Begin function _ZL41rocblas_syrkx_herkx_small_restrict_kernelIl19rocblas_complex_numIdELi16ELb0ELb0ELc67ELc85EKS1_S1_EviT_T0_PT6_S3_lS6_S3_lS4_PT7_S3_li
	.p2align	8
	.type	_ZL41rocblas_syrkx_herkx_small_restrict_kernelIl19rocblas_complex_numIdELi16ELb0ELb0ELc67ELc85EKS1_S1_EviT_T0_PT6_S3_lS6_S3_lS4_PT7_S3_li,@function
_ZL41rocblas_syrkx_herkx_small_restrict_kernelIl19rocblas_complex_numIdELi16ELb0ELb0ELc67ELc85EKS1_S1_EviT_T0_PT6_S3_lS6_S3_lS4_PT7_S3_li: ; @_ZL41rocblas_syrkx_herkx_small_restrict_kernelIl19rocblas_complex_numIdELi16ELb0ELb0ELc67ELc85EKS1_S1_EviT_T0_PT6_S3_lS6_S3_lS4_PT7_S3_li
; %bb.0:
	s_clause 0x2
	s_load_b512 s[16:31], s[0:1], 0x8
	s_load_b128 s[8:11], s[0:1], 0x68
	s_load_b256 s[0:7], s[0:1], 0x48
	v_dual_mov_b32 v6, 0 :: v_dual_and_b32 v3, 0x3ff, v0
	v_bfe_u32 v2, v0, 10, 10
	v_mov_b32_e32 v7, 0
	s_delay_alu instid0(VALU_DEP_3) | instskip(NEXT) | instid1(VALU_DEP_3)
	v_lshl_add_u32 v0, s13, 4, v3
	v_lshl_add_u32 v10, s14, 4, v2
	s_delay_alu instid0(VALU_DEP_3) | instskip(NEXT) | instid1(VALU_DEP_3)
	v_dual_mov_b32 v9, v7 :: v_dual_mov_b32 v8, v6
	v_ashrrev_i32_e32 v1, 31, v0
	s_delay_alu instid0(VALU_DEP_3) | instskip(SKIP_2) | instid1(VALU_DEP_1)
	v_ashrrev_i32_e32 v11, 31, v10
	s_waitcnt lgkmcnt(0)
	v_cmp_lt_i64_e64 s12, s[16:17], 1
	s_and_b32 vcc_lo, exec_lo, s12
	s_cbranch_vccnz .LBB1203_3
; %bb.1:
	v_mul_lo_u32 v6, s31, v10
	v_mul_lo_u32 v7, s30, v11
	v_mad_u64_u32 v[4:5], null, s30, v10, 0
	v_mul_lo_u32 v9, s25, v0
	v_mul_lo_u32 v16, s24, v1
	s_mul_i32 s1, s1, s15
	s_mul_hi_u32 s12, s0, s15
	v_lshlrev_b32_e32 v12, 4, v3
	s_add_i32 s1, s12, s1
	s_delay_alu instid0(VALU_DEP_4) | instskip(SKIP_3) | instid1(VALU_DEP_2)
	v_add3_u32 v5, v5, v7, v6
	v_mad_u64_u32 v[6:7], null, s24, v0, 0
	s_mul_i32 s12, s27, s15
	s_mul_hi_u32 s13, s26, s15
	v_lshlrev_b64 v[3:4], 4, v[4:5]
	s_add_i32 s13, s13, s12
	s_mul_i32 s12, s26, s15
	s_mul_i32 s0, s0, s15
	s_delay_alu instid0(VALU_DEP_2)
	v_add3_u32 v7, v7, v16, v9
	s_lshl_b64 s[12:13], s[12:13], 4
	v_lshlrev_b32_e32 v8, 8, v2
	s_lshl_b64 s[0:1], s[0:1], 4
	v_lshlrev_b32_e32 v2, 4, v2
	v_lshlrev_b64 v[5:6], 4, v[6:7]
	s_delay_alu instid0(VALU_DEP_1) | instskip(NEXT) | instid1(VALU_DEP_2)
	v_add_co_u32 v5, vcc_lo, v5, s12
	v_add_co_ci_u32_e32 v6, vcc_lo, s13, v6, vcc_lo
	v_add_co_u32 v3, vcc_lo, v3, s0
	v_add_co_ci_u32_e32 v4, vcc_lo, s1, v4, vcc_lo
	s_delay_alu instid0(VALU_DEP_4) | instskip(NEXT) | instid1(VALU_DEP_4)
	v_add_co_u32 v2, vcc_lo, v5, v2
	v_add_co_ci_u32_e32 v5, vcc_lo, 0, v6, vcc_lo
	s_delay_alu instid0(VALU_DEP_4) | instskip(NEXT) | instid1(VALU_DEP_4)
	v_add_co_u32 v3, vcc_lo, v3, v12
	v_add_co_ci_u32_e32 v4, vcc_lo, 0, v4, vcc_lo
	v_mov_b32_e32 v6, 0
	v_mov_b32_e32 v7, 0
	v_add_nc_u32_e32 v13, 0x1000, v8
	v_add_nc_u32_e32 v14, v12, v8
	v_add_co_u32 v8, vcc_lo, v2, s22
	v_add_co_ci_u32_e32 v5, vcc_lo, s23, v5, vcc_lo
	v_add_co_u32 v2, vcc_lo, s28, v3
	v_add_co_ci_u32_e32 v3, vcc_lo, s29, v4, vcc_lo
	s_delay_alu instid0(VALU_DEP_4)
	v_add_co_u32 v4, vcc_lo, v8, 8
	v_dual_mov_b32 v9, v7 :: v_dual_mov_b32 v8, v6
	v_add_nc_u32_e32 v15, v13, v12
	v_add_co_ci_u32_e32 v5, vcc_lo, 0, v5, vcc_lo
	s_mov_b64 s[0:1], 0
.LBB1203_2:                             ; =>This Inner Loop Header: Depth=1
	global_load_b128 v[16:19], v[4:5], off offset:-8
	global_load_b128 v[20:23], v[2:3], off
	s_add_u32 s0, s0, 16
	v_add_co_u32 v2, vcc_lo, 0x100, v2
	s_addc_u32 s1, s1, 0
	v_add_co_ci_u32_e32 v3, vcc_lo, 0, v3, vcc_lo
	v_cmp_lt_i64_e64 s12, s[0:1], s[16:17]
	v_add_co_u32 v4, vcc_lo, 0x100, v4
	v_add_co_ci_u32_e32 v5, vcc_lo, 0, v5, vcc_lo
	s_waitcnt vmcnt(1)
	ds_store_b128 v14, v[16:19]
	s_waitcnt vmcnt(0)
	ds_store_2addr_b64 v15, v[20:21], v[22:23] offset1:1
	s_waitcnt lgkmcnt(0)
	s_barrier
	buffer_gl0_inv
	ds_load_b128 v[16:19], v12
	ds_load_b128 v[20:23], v13
	ds_load_b128 v[24:27], v13 offset:16
	ds_load_b128 v[28:31], v12 offset:256
	s_and_b32 vcc_lo, exec_lo, s12
	s_waitcnt lgkmcnt(2)
	v_mul_f64 v[32:33], v[22:23], v[18:19]
	v_mul_f64 v[18:19], v[20:21], v[18:19]
	s_waitcnt lgkmcnt(0)
	v_mul_f64 v[38:39], v[26:27], v[30:31]
	v_mul_f64 v[40:41], v[24:25], v[30:31]
	s_delay_alu instid0(VALU_DEP_4) | instskip(NEXT) | instid1(VALU_DEP_4)
	v_fma_f64 v[42:43], v[20:21], v[16:17], -v[32:33]
	v_fma_f64 v[44:45], v[22:23], v[16:17], v[18:19]
	ds_load_b128 v[16:19], v12 offset:512
	ds_load_b128 v[20:23], v13 offset:32
	;; [unrolled: 1-line block ×4, first 2 shown]
	v_fma_f64 v[24:25], v[24:25], v[28:29], -v[38:39]
	v_fma_f64 v[26:27], v[26:27], v[28:29], v[40:41]
	s_waitcnt lgkmcnt(2)
	v_mul_f64 v[46:47], v[22:23], v[18:19]
	v_mul_f64 v[18:19], v[20:21], v[18:19]
	s_waitcnt lgkmcnt(0)
	v_mul_f64 v[28:29], v[32:33], v[36:37]
	v_mul_f64 v[36:37], v[30:31], v[36:37]
	v_add_f64 v[8:9], v[8:9], v[42:43]
	v_add_f64 v[6:7], v[6:7], v[44:45]
	v_fma_f64 v[38:39], v[20:21], v[16:17], -v[46:47]
	v_fma_f64 v[40:41], v[22:23], v[16:17], v[18:19]
	v_fma_f64 v[28:29], v[30:31], v[34:35], -v[28:29]
	v_fma_f64 v[30:31], v[32:33], v[34:35], v[36:37]
	v_add_f64 v[42:43], v[8:9], v[24:25]
	v_add_f64 v[44:45], v[6:7], v[26:27]
	ds_load_b128 v[6:9], v12 offset:1024
	ds_load_b128 v[16:19], v13 offset:64
	;; [unrolled: 1-line block ×4, first 2 shown]
	s_waitcnt lgkmcnt(2)
	v_mul_f64 v[46:47], v[18:19], v[8:9]
	v_mul_f64 v[8:9], v[16:17], v[8:9]
	s_waitcnt lgkmcnt(0)
	v_mul_f64 v[36:37], v[22:23], v[26:27]
	v_add_f64 v[32:33], v[42:43], v[38:39]
	v_add_f64 v[34:35], v[44:45], v[40:41]
	v_mul_f64 v[38:39], v[20:21], v[26:27]
	v_fma_f64 v[40:41], v[16:17], v[6:7], -v[46:47]
	v_fma_f64 v[42:43], v[18:19], v[6:7], v[8:9]
	v_fma_f64 v[20:21], v[20:21], v[24:25], -v[36:37]
	v_add_f64 v[44:45], v[32:33], v[28:29]
	v_add_f64 v[34:35], v[34:35], v[30:31]
	ds_load_b128 v[6:9], v12 offset:1536
	ds_load_b128 v[16:19], v13 offset:96
	;; [unrolled: 1-line block ×4, first 2 shown]
	v_fma_f64 v[22:23], v[22:23], v[24:25], v[38:39]
	s_waitcnt lgkmcnt(2)
	v_mul_f64 v[46:47], v[18:19], v[8:9]
	v_mul_f64 v[8:9], v[16:17], v[8:9]
	s_waitcnt lgkmcnt(0)
	v_mul_f64 v[36:37], v[28:29], v[32:33]
	v_mul_f64 v[38:39], v[26:27], v[32:33]
	v_add_f64 v[24:25], v[44:45], v[40:41]
	v_add_f64 v[34:35], v[34:35], v[42:43]
	v_fma_f64 v[40:41], v[16:17], v[6:7], -v[46:47]
	v_fma_f64 v[42:43], v[18:19], v[6:7], v[8:9]
	v_fma_f64 v[26:27], v[26:27], v[30:31], -v[36:37]
	v_fma_f64 v[28:29], v[28:29], v[30:31], v[38:39]
	v_add_f64 v[24:25], v[24:25], v[20:21]
	v_add_f64 v[44:45], v[34:35], v[22:23]
	ds_load_b128 v[6:9], v12 offset:2048
	ds_load_b128 v[16:19], v13 offset:128
	ds_load_b128 v[20:23], v13 offset:144
	ds_load_b128 v[32:35], v12 offset:2304
	s_waitcnt lgkmcnt(2)
	v_mul_f64 v[46:47], v[18:19], v[8:9]
	v_mul_f64 v[8:9], v[16:17], v[8:9]
	s_waitcnt lgkmcnt(0)
	v_mul_f64 v[36:37], v[22:23], v[34:35]
	v_mul_f64 v[34:35], v[20:21], v[34:35]
	v_add_f64 v[24:25], v[24:25], v[40:41]
	v_add_f64 v[30:31], v[44:45], v[42:43]
	v_fma_f64 v[38:39], v[16:17], v[6:7], -v[46:47]
	v_fma_f64 v[40:41], v[18:19], v[6:7], v[8:9]
	v_fma_f64 v[20:21], v[20:21], v[32:33], -v[36:37]
	v_fma_f64 v[22:23], v[22:23], v[32:33], v[34:35]
	v_add_f64 v[42:43], v[24:25], v[26:27]
	v_add_f64 v[44:45], v[30:31], v[28:29]
	ds_load_b128 v[6:9], v12 offset:2560
	ds_load_b128 v[16:19], v13 offset:160
	;; [unrolled: 1-line block ×4, first 2 shown]
	s_waitcnt lgkmcnt(2)
	v_mul_f64 v[46:47], v[18:19], v[8:9]
	v_mul_f64 v[8:9], v[16:17], v[8:9]
	s_waitcnt lgkmcnt(0)
	v_mul_f64 v[36:37], v[26:27], v[30:31]
	v_add_f64 v[32:33], v[42:43], v[38:39]
	v_add_f64 v[34:35], v[44:45], v[40:41]
	v_mul_f64 v[38:39], v[24:25], v[30:31]
	v_fma_f64 v[40:41], v[16:17], v[6:7], -v[46:47]
	v_fma_f64 v[42:43], v[18:19], v[6:7], v[8:9]
	v_fma_f64 v[24:25], v[24:25], v[28:29], -v[36:37]
	v_add_f64 v[44:45], v[32:33], v[20:21]
	v_add_f64 v[34:35], v[34:35], v[22:23]
	ds_load_b128 v[6:9], v12 offset:3072
	ds_load_b128 v[16:19], v13 offset:192
	;; [unrolled: 1-line block ×4, first 2 shown]
	v_fma_f64 v[26:27], v[26:27], v[28:29], v[38:39]
	s_waitcnt lgkmcnt(2)
	v_mul_f64 v[46:47], v[18:19], v[8:9]
	v_mul_f64 v[8:9], v[16:17], v[8:9]
	s_waitcnt lgkmcnt(0)
	v_mul_f64 v[36:37], v[22:23], v[32:33]
	v_mul_f64 v[38:39], v[20:21], v[32:33]
	v_add_f64 v[28:29], v[44:45], v[40:41]
	v_add_f64 v[34:35], v[34:35], v[42:43]
	v_fma_f64 v[40:41], v[16:17], v[6:7], -v[46:47]
	v_fma_f64 v[42:43], v[18:19], v[6:7], v[8:9]
	v_fma_f64 v[20:21], v[20:21], v[30:31], -v[36:37]
	v_fma_f64 v[22:23], v[22:23], v[30:31], v[38:39]
	v_add_f64 v[28:29], v[28:29], v[24:25]
	v_add_f64 v[44:45], v[34:35], v[26:27]
	ds_load_b128 v[6:9], v12 offset:3584
	ds_load_b128 v[16:19], v13 offset:224
	ds_load_b128 v[24:27], v13 offset:240
	ds_load_b128 v[32:35], v12 offset:3840
	s_waitcnt lgkmcnt(0)
	s_barrier
	buffer_gl0_inv
	v_mul_f64 v[46:47], v[18:19], v[8:9]
	v_mul_f64 v[8:9], v[16:17], v[8:9]
	;; [unrolled: 1-line block ×4, first 2 shown]
	v_add_f64 v[28:29], v[28:29], v[40:41]
	v_add_f64 v[30:31], v[44:45], v[42:43]
	v_fma_f64 v[16:17], v[16:17], v[6:7], -v[46:47]
	v_fma_f64 v[6:7], v[18:19], v[6:7], v[8:9]
	s_delay_alu instid0(VALU_DEP_4) | instskip(NEXT) | instid1(VALU_DEP_4)
	v_add_f64 v[8:9], v[28:29], v[20:21]
	v_add_f64 v[18:19], v[30:31], v[22:23]
	v_fma_f64 v[20:21], v[24:25], v[32:33], -v[36:37]
	v_fma_f64 v[22:23], v[26:27], v[32:33], v[34:35]
	s_delay_alu instid0(VALU_DEP_4) | instskip(NEXT) | instid1(VALU_DEP_4)
	v_add_f64 v[8:9], v[8:9], v[16:17]
	v_add_f64 v[6:7], v[18:19], v[6:7]
	s_delay_alu instid0(VALU_DEP_2) | instskip(NEXT) | instid1(VALU_DEP_2)
	v_add_f64 v[8:9], v[8:9], v[20:21]
	v_add_f64 v[6:7], v[6:7], v[22:23]
	s_cbranch_vccnz .LBB1203_2
.LBB1203_3:
	s_mov_b32 s0, exec_lo
	v_cmpx_le_i32_e64 v0, v10
	s_cbranch_execz .LBB1203_5
; %bb.4:
	v_mul_lo_u32 v4, v10, s9
	v_mul_lo_u32 v5, v11, s8
	v_mad_u64_u32 v[2:3], null, v10, s8, 0
	s_mul_i32 s1, s15, s11
	s_mul_hi_u32 s8, s15, s10
	s_mul_i32 s0, s15, s10
	s_add_i32 s1, s8, s1
	v_lshlrev_b64 v[0:1], 4, v[0:1]
	s_lshl_b64 s[0:1], s[0:1], 4
	s_delay_alu instid0(VALU_DEP_2)
	v_add3_u32 v3, v3, v4, v5
	s_add_u32 s0, s6, s0
	s_addc_u32 s1, s7, s1
	v_mul_f64 v[10:11], s[20:21], v[6:7]
	v_mul_f64 v[6:7], s[18:19], v[6:7]
	v_lshlrev_b64 v[2:3], 4, v[2:3]
	s_delay_alu instid0(VALU_DEP_1) | instskip(NEXT) | instid1(VALU_DEP_2)
	v_add_co_u32 v2, vcc_lo, s0, v2
	v_add_co_ci_u32_e32 v3, vcc_lo, s1, v3, vcc_lo
	s_delay_alu instid0(VALU_DEP_2) | instskip(NEXT) | instid1(VALU_DEP_2)
	v_add_co_u32 v4, vcc_lo, v2, v0
	v_add_co_ci_u32_e32 v5, vcc_lo, v3, v1, vcc_lo
	global_load_b128 v[0:3], v[4:5], off
	v_fma_f64 v[10:11], s[18:19], v[8:9], -v[10:11]
	v_fma_f64 v[6:7], s[20:21], v[8:9], v[6:7]
	s_waitcnt vmcnt(0)
	v_mul_f64 v[12:13], s[4:5], v[2:3]
	v_mul_f64 v[2:3], s[2:3], v[2:3]
	s_delay_alu instid0(VALU_DEP_2) | instskip(NEXT) | instid1(VALU_DEP_2)
	v_fma_f64 v[8:9], s[2:3], v[0:1], -v[12:13]
	v_fma_f64 v[2:3], s[4:5], v[0:1], v[2:3]
	s_delay_alu instid0(VALU_DEP_2) | instskip(NEXT) | instid1(VALU_DEP_2)
	v_add_f64 v[0:1], v[10:11], v[8:9]
	v_add_f64 v[2:3], v[6:7], v[2:3]
	global_store_b128 v[4:5], v[0:3], off
.LBB1203_5:
	s_nop 0
	s_sendmsg sendmsg(MSG_DEALLOC_VGPRS)
	s_endpgm
	.section	.rodata,"a",@progbits
	.p2align	6, 0x0
	.amdhsa_kernel _ZL41rocblas_syrkx_herkx_small_restrict_kernelIl19rocblas_complex_numIdELi16ELb0ELb0ELc67ELc85EKS1_S1_EviT_T0_PT6_S3_lS6_S3_lS4_PT7_S3_li
		.amdhsa_group_segment_fixed_size 8192
		.amdhsa_private_segment_fixed_size 0
		.amdhsa_kernarg_size 124
		.amdhsa_user_sgpr_count 13
		.amdhsa_user_sgpr_dispatch_ptr 0
		.amdhsa_user_sgpr_queue_ptr 0
		.amdhsa_user_sgpr_kernarg_segment_ptr 1
		.amdhsa_user_sgpr_dispatch_id 0
		.amdhsa_user_sgpr_private_segment_size 0
		.amdhsa_wavefront_size32 1
		.amdhsa_uses_dynamic_stack 0
		.amdhsa_enable_private_segment 0
		.amdhsa_system_sgpr_workgroup_id_x 1
		.amdhsa_system_sgpr_workgroup_id_y 1
		.amdhsa_system_sgpr_workgroup_id_z 1
		.amdhsa_system_sgpr_workgroup_info 0
		.amdhsa_system_vgpr_workitem_id 1
		.amdhsa_next_free_vgpr 48
		.amdhsa_next_free_sgpr 32
		.amdhsa_reserve_vcc 1
		.amdhsa_float_round_mode_32 0
		.amdhsa_float_round_mode_16_64 0
		.amdhsa_float_denorm_mode_32 3
		.amdhsa_float_denorm_mode_16_64 3
		.amdhsa_dx10_clamp 1
		.amdhsa_ieee_mode 1
		.amdhsa_fp16_overflow 0
		.amdhsa_workgroup_processor_mode 1
		.amdhsa_memory_ordered 1
		.amdhsa_forward_progress 0
		.amdhsa_shared_vgpr_count 0
		.amdhsa_exception_fp_ieee_invalid_op 0
		.amdhsa_exception_fp_denorm_src 0
		.amdhsa_exception_fp_ieee_div_zero 0
		.amdhsa_exception_fp_ieee_overflow 0
		.amdhsa_exception_fp_ieee_underflow 0
		.amdhsa_exception_fp_ieee_inexact 0
		.amdhsa_exception_int_div_zero 0
	.end_amdhsa_kernel
	.section	.text._ZL41rocblas_syrkx_herkx_small_restrict_kernelIl19rocblas_complex_numIdELi16ELb0ELb0ELc67ELc85EKS1_S1_EviT_T0_PT6_S3_lS6_S3_lS4_PT7_S3_li,"axG",@progbits,_ZL41rocblas_syrkx_herkx_small_restrict_kernelIl19rocblas_complex_numIdELi16ELb0ELb0ELc67ELc85EKS1_S1_EviT_T0_PT6_S3_lS6_S3_lS4_PT7_S3_li,comdat
.Lfunc_end1203:
	.size	_ZL41rocblas_syrkx_herkx_small_restrict_kernelIl19rocblas_complex_numIdELi16ELb0ELb0ELc67ELc85EKS1_S1_EviT_T0_PT6_S3_lS6_S3_lS4_PT7_S3_li, .Lfunc_end1203-_ZL41rocblas_syrkx_herkx_small_restrict_kernelIl19rocblas_complex_numIdELi16ELb0ELb0ELc67ELc85EKS1_S1_EviT_T0_PT6_S3_lS6_S3_lS4_PT7_S3_li
                                        ; -- End function
	.section	.AMDGPU.csdata,"",@progbits
; Kernel info:
; codeLenInByte = 1864
; NumSgprs: 34
; NumVgprs: 48
; ScratchSize: 0
; MemoryBound: 0
; FloatMode: 240
; IeeeMode: 1
; LDSByteSize: 8192 bytes/workgroup (compile time only)
; SGPRBlocks: 4
; VGPRBlocks: 5
; NumSGPRsForWavesPerEU: 34
; NumVGPRsForWavesPerEU: 48
; Occupancy: 16
; WaveLimiterHint : 0
; COMPUTE_PGM_RSRC2:SCRATCH_EN: 0
; COMPUTE_PGM_RSRC2:USER_SGPR: 13
; COMPUTE_PGM_RSRC2:TRAP_HANDLER: 0
; COMPUTE_PGM_RSRC2:TGID_X_EN: 1
; COMPUTE_PGM_RSRC2:TGID_Y_EN: 1
; COMPUTE_PGM_RSRC2:TGID_Z_EN: 1
; COMPUTE_PGM_RSRC2:TIDIG_COMP_CNT: 1
	.section	.text._ZL41rocblas_syrkx_herkx_small_restrict_kernelIl19rocblas_complex_numIdELi16ELb0ELb0ELc78ELc85EKS1_S1_EviT_T0_PT6_S3_lS6_S3_lS4_PT7_S3_li,"axG",@progbits,_ZL41rocblas_syrkx_herkx_small_restrict_kernelIl19rocblas_complex_numIdELi16ELb0ELb0ELc78ELc85EKS1_S1_EviT_T0_PT6_S3_lS6_S3_lS4_PT7_S3_li,comdat
	.globl	_ZL41rocblas_syrkx_herkx_small_restrict_kernelIl19rocblas_complex_numIdELi16ELb0ELb0ELc78ELc85EKS1_S1_EviT_T0_PT6_S3_lS6_S3_lS4_PT7_S3_li ; -- Begin function _ZL41rocblas_syrkx_herkx_small_restrict_kernelIl19rocblas_complex_numIdELi16ELb0ELb0ELc78ELc85EKS1_S1_EviT_T0_PT6_S3_lS6_S3_lS4_PT7_S3_li
	.p2align	8
	.type	_ZL41rocblas_syrkx_herkx_small_restrict_kernelIl19rocblas_complex_numIdELi16ELb0ELb0ELc78ELc85EKS1_S1_EviT_T0_PT6_S3_lS6_S3_lS4_PT7_S3_li,@function
_ZL41rocblas_syrkx_herkx_small_restrict_kernelIl19rocblas_complex_numIdELi16ELb0ELb0ELc78ELc85EKS1_S1_EviT_T0_PT6_S3_lS6_S3_lS4_PT7_S3_li: ; @_ZL41rocblas_syrkx_herkx_small_restrict_kernelIl19rocblas_complex_numIdELi16ELb0ELb0ELc78ELc85EKS1_S1_EviT_T0_PT6_S3_lS6_S3_lS4_PT7_S3_li
; %bb.0:
	s_clause 0x2
	s_load_b512 s[16:31], s[0:1], 0x8
	s_load_b128 s[8:11], s[0:1], 0x68
	s_load_b256 s[0:7], s[0:1], 0x48
	v_dual_mov_b32 v8, 0 :: v_dual_and_b32 v5, 0x3ff, v0
	v_bfe_u32 v4, v0, 10, 10
	v_mov_b32_e32 v9, 0
	s_delay_alu instid0(VALU_DEP_3) | instskip(NEXT) | instid1(VALU_DEP_3)
	v_lshl_add_u32 v0, s13, 4, v5
	v_lshl_add_u32 v2, s14, 4, v4
	s_delay_alu instid0(VALU_DEP_3) | instskip(NEXT) | instid1(VALU_DEP_3)
	v_dual_mov_b32 v11, v9 :: v_dual_mov_b32 v10, v8
	v_ashrrev_i32_e32 v1, 31, v0
	s_delay_alu instid0(VALU_DEP_3) | instskip(SKIP_2) | instid1(VALU_DEP_1)
	v_ashrrev_i32_e32 v3, 31, v2
	s_waitcnt lgkmcnt(0)
	v_cmp_lt_i64_e64 s12, s[16:17], 1
	s_and_b32 vcc_lo, exec_lo, s12
	s_cbranch_vccnz .LBB1204_3
; %bb.1:
	v_mad_u64_u32 v[6:7], null, s30, v5, 0
	v_mad_u64_u32 v[8:9], null, s24, v4, 0
	v_lshlrev_b32_e32 v14, 8, v4
	s_mul_i32 s1, s1, s15
	s_mul_hi_u32 s13, s0, s15
	s_mul_i32 s0, s0, s15
	s_add_i32 s1, s13, s1
	v_lshlrev_b64 v[16:17], 4, v[2:3]
	s_delay_alu instid0(VALU_DEP_3)
	v_mad_u64_u32 v[10:11], null, s31, v5, v[7:8]
	v_dual_mov_b32 v5, v9 :: v_dual_lshlrev_b32 v12, 4, v5
	s_lshl_b64 s[0:1], s[0:1], 4
	s_mul_i32 s14, s27, s15
	s_mul_hi_u32 s27, s26, s15
	s_mul_i32 s12, s26, s15
	s_delay_alu instid0(VALU_DEP_2) | instskip(SKIP_3) | instid1(VALU_DEP_3)
	v_mov_b32_e32 v7, v10
	v_mad_u64_u32 v[9:10], null, s25, v4, v[5:6]
	s_add_i32 s13, s27, s14
	v_add_nc_u32_e32 v13, 0x1000, v14
	v_lshlrev_b64 v[4:5], 4, v[6:7]
	s_lshl_b64 s[12:13], s[12:13], 4
	v_add_nc_u32_e32 v14, v12, v14
	s_delay_alu instid0(VALU_DEP_2) | instskip(NEXT) | instid1(VALU_DEP_3)
	v_add_co_u32 v6, vcc_lo, s0, v4
	v_add_co_ci_u32_e32 v7, vcc_lo, s1, v5, vcc_lo
	v_lshlrev_b64 v[4:5], 4, v[8:9]
	s_delay_alu instid0(VALU_DEP_3) | instskip(NEXT) | instid1(VALU_DEP_3)
	v_add_co_u32 v6, vcc_lo, v6, v16
	v_add_co_ci_u32_e32 v7, vcc_lo, v7, v17, vcc_lo
	s_lshl_b64 s[0:1], s[30:31], 8
	s_delay_alu instid0(VALU_DEP_3) | instskip(NEXT) | instid1(VALU_DEP_4)
	v_add_co_u32 v8, vcc_lo, s12, v4
	v_add_co_ci_u32_e32 v9, vcc_lo, s13, v5, vcc_lo
	v_lshlrev_b64 v[4:5], 4, v[0:1]
	v_add_co_u32 v6, vcc_lo, v6, s28
	v_add_co_ci_u32_e32 v7, vcc_lo, s29, v7, vcc_lo
	s_lshl_b64 s[12:13], s[24:25], 8
	s_delay_alu instid0(VALU_DEP_3) | instskip(NEXT) | instid1(VALU_DEP_4)
	v_add_co_u32 v10, vcc_lo, v8, v4
	v_add_co_ci_u32_e32 v11, vcc_lo, v9, v5, vcc_lo
	v_mov_b32_e32 v8, 0
	v_mov_b32_e32 v9, 0
	v_add_co_u32 v4, vcc_lo, v6, 8
	v_add_co_ci_u32_e32 v5, vcc_lo, 0, v7, vcc_lo
	v_add_co_u32 v6, vcc_lo, s22, v10
	v_add_co_ci_u32_e32 v7, vcc_lo, s23, v11, vcc_lo
	v_mov_b32_e32 v11, v9
	v_dual_mov_b32 v10, v8 :: v_dual_add_nc_u32 v15, v13, v12
	s_mov_b64 s[22:23], 0
.LBB1204_2:                             ; =>This Inner Loop Header: Depth=1
	global_load_b128 v[16:19], v[6:7], off
	global_load_b128 v[20:23], v[4:5], off offset:-8
	s_add_u32 s22, s22, 16
	v_add_co_u32 v4, vcc_lo, v4, s0
	s_addc_u32 s23, s23, 0
	v_add_co_ci_u32_e32 v5, vcc_lo, s1, v5, vcc_lo
	v_cmp_lt_i64_e64 s14, s[22:23], s[16:17]
	v_add_co_u32 v6, vcc_lo, v6, s12
	v_add_co_ci_u32_e32 v7, vcc_lo, s13, v7, vcc_lo
	s_waitcnt vmcnt(1)
	ds_store_2addr_b64 v14, v[16:17], v[18:19] offset1:1
	s_waitcnt vmcnt(0)
	ds_store_b128 v15, v[20:23]
	s_waitcnt lgkmcnt(0)
	s_barrier
	buffer_gl0_inv
	ds_load_b128 v[16:19], v12
	ds_load_b128 v[20:23], v13
	ds_load_b128 v[24:27], v13 offset:16
	ds_load_b128 v[28:31], v12 offset:256
	s_and_b32 vcc_lo, exec_lo, s14
	s_waitcnt lgkmcnt(2)
	v_mul_f64 v[32:33], v[22:23], v[18:19]
	v_mul_f64 v[18:19], v[20:21], v[18:19]
	s_waitcnt lgkmcnt(0)
	v_mul_f64 v[38:39], v[26:27], v[30:31]
	v_mul_f64 v[40:41], v[24:25], v[30:31]
	s_delay_alu instid0(VALU_DEP_4) | instskip(NEXT) | instid1(VALU_DEP_4)
	v_fma_f64 v[42:43], v[20:21], v[16:17], -v[32:33]
	v_fma_f64 v[44:45], v[22:23], v[16:17], v[18:19]
	ds_load_b128 v[16:19], v12 offset:512
	ds_load_b128 v[20:23], v13 offset:32
	;; [unrolled: 1-line block ×4, first 2 shown]
	v_fma_f64 v[24:25], v[24:25], v[28:29], -v[38:39]
	v_fma_f64 v[26:27], v[26:27], v[28:29], v[40:41]
	s_waitcnt lgkmcnt(2)
	v_mul_f64 v[46:47], v[22:23], v[18:19]
	v_mul_f64 v[18:19], v[20:21], v[18:19]
	s_waitcnt lgkmcnt(0)
	v_mul_f64 v[28:29], v[32:33], v[36:37]
	v_mul_f64 v[36:37], v[30:31], v[36:37]
	v_add_f64 v[10:11], v[10:11], v[42:43]
	v_add_f64 v[8:9], v[8:9], v[44:45]
	v_fma_f64 v[38:39], v[20:21], v[16:17], -v[46:47]
	v_fma_f64 v[40:41], v[22:23], v[16:17], v[18:19]
	v_fma_f64 v[28:29], v[30:31], v[34:35], -v[28:29]
	v_fma_f64 v[30:31], v[32:33], v[34:35], v[36:37]
	v_add_f64 v[42:43], v[10:11], v[24:25]
	v_add_f64 v[44:45], v[8:9], v[26:27]
	ds_load_b128 v[8:11], v12 offset:1024
	ds_load_b128 v[16:19], v13 offset:64
	;; [unrolled: 1-line block ×4, first 2 shown]
	s_waitcnt lgkmcnt(2)
	v_mul_f64 v[46:47], v[18:19], v[10:11]
	v_mul_f64 v[10:11], v[16:17], v[10:11]
	s_waitcnt lgkmcnt(0)
	v_mul_f64 v[36:37], v[22:23], v[26:27]
	v_add_f64 v[32:33], v[42:43], v[38:39]
	v_add_f64 v[34:35], v[44:45], v[40:41]
	v_mul_f64 v[38:39], v[20:21], v[26:27]
	v_fma_f64 v[40:41], v[16:17], v[8:9], -v[46:47]
	v_fma_f64 v[42:43], v[18:19], v[8:9], v[10:11]
	v_fma_f64 v[20:21], v[20:21], v[24:25], -v[36:37]
	v_add_f64 v[44:45], v[32:33], v[28:29]
	v_add_f64 v[34:35], v[34:35], v[30:31]
	ds_load_b128 v[8:11], v12 offset:1536
	ds_load_b128 v[16:19], v13 offset:96
	;; [unrolled: 1-line block ×4, first 2 shown]
	v_fma_f64 v[22:23], v[22:23], v[24:25], v[38:39]
	s_waitcnt lgkmcnt(2)
	v_mul_f64 v[46:47], v[18:19], v[10:11]
	v_mul_f64 v[10:11], v[16:17], v[10:11]
	s_waitcnt lgkmcnt(0)
	v_mul_f64 v[36:37], v[28:29], v[32:33]
	v_mul_f64 v[38:39], v[26:27], v[32:33]
	v_add_f64 v[24:25], v[44:45], v[40:41]
	v_add_f64 v[34:35], v[34:35], v[42:43]
	v_fma_f64 v[40:41], v[16:17], v[8:9], -v[46:47]
	v_fma_f64 v[42:43], v[18:19], v[8:9], v[10:11]
	v_fma_f64 v[26:27], v[26:27], v[30:31], -v[36:37]
	v_fma_f64 v[28:29], v[28:29], v[30:31], v[38:39]
	v_add_f64 v[24:25], v[24:25], v[20:21]
	v_add_f64 v[44:45], v[34:35], v[22:23]
	ds_load_b128 v[8:11], v12 offset:2048
	ds_load_b128 v[16:19], v13 offset:128
	;; [unrolled: 1-line block ×4, first 2 shown]
	s_waitcnt lgkmcnt(2)
	v_mul_f64 v[46:47], v[18:19], v[10:11]
	v_mul_f64 v[10:11], v[16:17], v[10:11]
	s_waitcnt lgkmcnt(0)
	v_mul_f64 v[36:37], v[22:23], v[34:35]
	v_mul_f64 v[34:35], v[20:21], v[34:35]
	v_add_f64 v[24:25], v[24:25], v[40:41]
	v_add_f64 v[30:31], v[44:45], v[42:43]
	v_fma_f64 v[38:39], v[16:17], v[8:9], -v[46:47]
	v_fma_f64 v[40:41], v[18:19], v[8:9], v[10:11]
	v_fma_f64 v[20:21], v[20:21], v[32:33], -v[36:37]
	v_fma_f64 v[22:23], v[22:23], v[32:33], v[34:35]
	v_add_f64 v[42:43], v[24:25], v[26:27]
	v_add_f64 v[44:45], v[30:31], v[28:29]
	ds_load_b128 v[8:11], v12 offset:2560
	ds_load_b128 v[16:19], v13 offset:160
	;; [unrolled: 1-line block ×4, first 2 shown]
	s_waitcnt lgkmcnt(2)
	v_mul_f64 v[46:47], v[18:19], v[10:11]
	v_mul_f64 v[10:11], v[16:17], v[10:11]
	s_waitcnt lgkmcnt(0)
	v_mul_f64 v[36:37], v[26:27], v[30:31]
	v_add_f64 v[32:33], v[42:43], v[38:39]
	v_add_f64 v[34:35], v[44:45], v[40:41]
	v_mul_f64 v[38:39], v[24:25], v[30:31]
	v_fma_f64 v[40:41], v[16:17], v[8:9], -v[46:47]
	v_fma_f64 v[42:43], v[18:19], v[8:9], v[10:11]
	v_fma_f64 v[24:25], v[24:25], v[28:29], -v[36:37]
	v_add_f64 v[44:45], v[32:33], v[20:21]
	v_add_f64 v[34:35], v[34:35], v[22:23]
	ds_load_b128 v[8:11], v12 offset:3072
	ds_load_b128 v[16:19], v13 offset:192
	;; [unrolled: 1-line block ×4, first 2 shown]
	v_fma_f64 v[26:27], v[26:27], v[28:29], v[38:39]
	s_waitcnt lgkmcnt(2)
	v_mul_f64 v[46:47], v[18:19], v[10:11]
	v_mul_f64 v[10:11], v[16:17], v[10:11]
	s_waitcnt lgkmcnt(0)
	v_mul_f64 v[36:37], v[22:23], v[32:33]
	v_mul_f64 v[38:39], v[20:21], v[32:33]
	v_add_f64 v[28:29], v[44:45], v[40:41]
	v_add_f64 v[34:35], v[34:35], v[42:43]
	v_fma_f64 v[40:41], v[16:17], v[8:9], -v[46:47]
	v_fma_f64 v[42:43], v[18:19], v[8:9], v[10:11]
	v_fma_f64 v[20:21], v[20:21], v[30:31], -v[36:37]
	v_fma_f64 v[22:23], v[22:23], v[30:31], v[38:39]
	v_add_f64 v[28:29], v[28:29], v[24:25]
	v_add_f64 v[44:45], v[34:35], v[26:27]
	ds_load_b128 v[8:11], v12 offset:3584
	ds_load_b128 v[16:19], v13 offset:224
	;; [unrolled: 1-line block ×4, first 2 shown]
	s_waitcnt lgkmcnt(0)
	s_barrier
	buffer_gl0_inv
	v_mul_f64 v[46:47], v[18:19], v[10:11]
	v_mul_f64 v[10:11], v[16:17], v[10:11]
	;; [unrolled: 1-line block ×4, first 2 shown]
	v_add_f64 v[28:29], v[28:29], v[40:41]
	v_add_f64 v[30:31], v[44:45], v[42:43]
	v_fma_f64 v[16:17], v[16:17], v[8:9], -v[46:47]
	v_fma_f64 v[8:9], v[18:19], v[8:9], v[10:11]
	s_delay_alu instid0(VALU_DEP_4) | instskip(NEXT) | instid1(VALU_DEP_4)
	v_add_f64 v[10:11], v[28:29], v[20:21]
	v_add_f64 v[18:19], v[30:31], v[22:23]
	v_fma_f64 v[20:21], v[24:25], v[32:33], -v[36:37]
	v_fma_f64 v[22:23], v[26:27], v[32:33], v[34:35]
	s_delay_alu instid0(VALU_DEP_4) | instskip(NEXT) | instid1(VALU_DEP_4)
	v_add_f64 v[10:11], v[10:11], v[16:17]
	v_add_f64 v[8:9], v[18:19], v[8:9]
	s_delay_alu instid0(VALU_DEP_2) | instskip(NEXT) | instid1(VALU_DEP_2)
	v_add_f64 v[10:11], v[10:11], v[20:21]
	v_add_f64 v[8:9], v[8:9], v[22:23]
	s_cbranch_vccnz .LBB1204_2
.LBB1204_3:
	s_mov_b32 s0, exec_lo
	v_cmpx_le_i32_e64 v0, v2
	s_cbranch_execz .LBB1204_5
; %bb.4:
	v_mul_lo_u32 v5, v2, s9
	v_mul_lo_u32 v6, v3, s8
	v_mad_u64_u32 v[3:4], null, v2, s8, 0
	s_mul_i32 s1, s15, s11
	s_mul_hi_u32 s8, s15, s10
	s_mul_i32 s0, s15, s10
	s_add_i32 s1, s8, s1
	v_lshlrev_b64 v[0:1], 4, v[0:1]
	s_lshl_b64 s[0:1], s[0:1], 4
	s_delay_alu instid0(VALU_DEP_2)
	v_add3_u32 v4, v4, v5, v6
	s_add_u32 s0, s6, s0
	s_addc_u32 s1, s7, s1
	v_mul_f64 v[6:7], s[20:21], v[8:9]
	v_mul_f64 v[8:9], s[18:19], v[8:9]
	v_lshlrev_b64 v[2:3], 4, v[3:4]
	s_delay_alu instid0(VALU_DEP_1) | instskip(NEXT) | instid1(VALU_DEP_2)
	v_add_co_u32 v2, vcc_lo, s0, v2
	v_add_co_ci_u32_e32 v3, vcc_lo, s1, v3, vcc_lo
	s_delay_alu instid0(VALU_DEP_2) | instskip(NEXT) | instid1(VALU_DEP_2)
	v_add_co_u32 v4, vcc_lo, v2, v0
	v_add_co_ci_u32_e32 v5, vcc_lo, v3, v1, vcc_lo
	global_load_b128 v[0:3], v[4:5], off
	v_fma_f64 v[6:7], s[18:19], v[10:11], -v[6:7]
	v_fma_f64 v[8:9], s[20:21], v[10:11], v[8:9]
	s_waitcnt vmcnt(0)
	v_mul_f64 v[12:13], s[4:5], v[2:3]
	v_mul_f64 v[2:3], s[2:3], v[2:3]
	s_delay_alu instid0(VALU_DEP_2) | instskip(NEXT) | instid1(VALU_DEP_2)
	v_fma_f64 v[10:11], s[2:3], v[0:1], -v[12:13]
	v_fma_f64 v[2:3], s[4:5], v[0:1], v[2:3]
	s_delay_alu instid0(VALU_DEP_2) | instskip(NEXT) | instid1(VALU_DEP_2)
	v_add_f64 v[0:1], v[6:7], v[10:11]
	v_add_f64 v[2:3], v[8:9], v[2:3]
	global_store_b128 v[4:5], v[0:3], off
.LBB1204_5:
	s_nop 0
	s_sendmsg sendmsg(MSG_DEALLOC_VGPRS)
	s_endpgm
	.section	.rodata,"a",@progbits
	.p2align	6, 0x0
	.amdhsa_kernel _ZL41rocblas_syrkx_herkx_small_restrict_kernelIl19rocblas_complex_numIdELi16ELb0ELb0ELc78ELc85EKS1_S1_EviT_T0_PT6_S3_lS6_S3_lS4_PT7_S3_li
		.amdhsa_group_segment_fixed_size 8192
		.amdhsa_private_segment_fixed_size 0
		.amdhsa_kernarg_size 124
		.amdhsa_user_sgpr_count 13
		.amdhsa_user_sgpr_dispatch_ptr 0
		.amdhsa_user_sgpr_queue_ptr 0
		.amdhsa_user_sgpr_kernarg_segment_ptr 1
		.amdhsa_user_sgpr_dispatch_id 0
		.amdhsa_user_sgpr_private_segment_size 0
		.amdhsa_wavefront_size32 1
		.amdhsa_uses_dynamic_stack 0
		.amdhsa_enable_private_segment 0
		.amdhsa_system_sgpr_workgroup_id_x 1
		.amdhsa_system_sgpr_workgroup_id_y 1
		.amdhsa_system_sgpr_workgroup_id_z 1
		.amdhsa_system_sgpr_workgroup_info 0
		.amdhsa_system_vgpr_workitem_id 1
		.amdhsa_next_free_vgpr 48
		.amdhsa_next_free_sgpr 32
		.amdhsa_reserve_vcc 1
		.amdhsa_float_round_mode_32 0
		.amdhsa_float_round_mode_16_64 0
		.amdhsa_float_denorm_mode_32 3
		.amdhsa_float_denorm_mode_16_64 3
		.amdhsa_dx10_clamp 1
		.amdhsa_ieee_mode 1
		.amdhsa_fp16_overflow 0
		.amdhsa_workgroup_processor_mode 1
		.amdhsa_memory_ordered 1
		.amdhsa_forward_progress 0
		.amdhsa_shared_vgpr_count 0
		.amdhsa_exception_fp_ieee_invalid_op 0
		.amdhsa_exception_fp_denorm_src 0
		.amdhsa_exception_fp_ieee_div_zero 0
		.amdhsa_exception_fp_ieee_overflow 0
		.amdhsa_exception_fp_ieee_underflow 0
		.amdhsa_exception_fp_ieee_inexact 0
		.amdhsa_exception_int_div_zero 0
	.end_amdhsa_kernel
	.section	.text._ZL41rocblas_syrkx_herkx_small_restrict_kernelIl19rocblas_complex_numIdELi16ELb0ELb0ELc78ELc85EKS1_S1_EviT_T0_PT6_S3_lS6_S3_lS4_PT7_S3_li,"axG",@progbits,_ZL41rocblas_syrkx_herkx_small_restrict_kernelIl19rocblas_complex_numIdELi16ELb0ELb0ELc78ELc85EKS1_S1_EviT_T0_PT6_S3_lS6_S3_lS4_PT7_S3_li,comdat
.Lfunc_end1204:
	.size	_ZL41rocblas_syrkx_herkx_small_restrict_kernelIl19rocblas_complex_numIdELi16ELb0ELb0ELc78ELc85EKS1_S1_EviT_T0_PT6_S3_lS6_S3_lS4_PT7_S3_li, .Lfunc_end1204-_ZL41rocblas_syrkx_herkx_small_restrict_kernelIl19rocblas_complex_numIdELi16ELb0ELb0ELc78ELc85EKS1_S1_EviT_T0_PT6_S3_lS6_S3_lS4_PT7_S3_li
                                        ; -- End function
	.section	.AMDGPU.csdata,"",@progbits
; Kernel info:
; codeLenInByte = 1852
; NumSgprs: 34
; NumVgprs: 48
; ScratchSize: 0
; MemoryBound: 0
; FloatMode: 240
; IeeeMode: 1
; LDSByteSize: 8192 bytes/workgroup (compile time only)
; SGPRBlocks: 4
; VGPRBlocks: 5
; NumSGPRsForWavesPerEU: 34
; NumVGPRsForWavesPerEU: 48
; Occupancy: 16
; WaveLimiterHint : 0
; COMPUTE_PGM_RSRC2:SCRATCH_EN: 0
; COMPUTE_PGM_RSRC2:USER_SGPR: 13
; COMPUTE_PGM_RSRC2:TRAP_HANDLER: 0
; COMPUTE_PGM_RSRC2:TGID_X_EN: 1
; COMPUTE_PGM_RSRC2:TGID_Y_EN: 1
; COMPUTE_PGM_RSRC2:TGID_Z_EN: 1
; COMPUTE_PGM_RSRC2:TIDIG_COMP_CNT: 1
	.section	.text._ZL32rocblas_syrkx_herkx_small_kernelIl19rocblas_complex_numIdELi16ELb1ELb0ELc84ELc76EKS1_S1_EviT_T0_PT6_S3_lS6_S3_lS4_PT7_S3_li,"axG",@progbits,_ZL32rocblas_syrkx_herkx_small_kernelIl19rocblas_complex_numIdELi16ELb1ELb0ELc84ELc76EKS1_S1_EviT_T0_PT6_S3_lS6_S3_lS4_PT7_S3_li,comdat
	.globl	_ZL32rocblas_syrkx_herkx_small_kernelIl19rocblas_complex_numIdELi16ELb1ELb0ELc84ELc76EKS1_S1_EviT_T0_PT6_S3_lS6_S3_lS4_PT7_S3_li ; -- Begin function _ZL32rocblas_syrkx_herkx_small_kernelIl19rocblas_complex_numIdELi16ELb1ELb0ELc84ELc76EKS1_S1_EviT_T0_PT6_S3_lS6_S3_lS4_PT7_S3_li
	.p2align	8
	.type	_ZL32rocblas_syrkx_herkx_small_kernelIl19rocblas_complex_numIdELi16ELb1ELb0ELc84ELc76EKS1_S1_EviT_T0_PT6_S3_lS6_S3_lS4_PT7_S3_li,@function
_ZL32rocblas_syrkx_herkx_small_kernelIl19rocblas_complex_numIdELi16ELb1ELb0ELc84ELc76EKS1_S1_EviT_T0_PT6_S3_lS6_S3_lS4_PT7_S3_li: ; @_ZL32rocblas_syrkx_herkx_small_kernelIl19rocblas_complex_numIdELi16ELb1ELb0ELc84ELc76EKS1_S1_EviT_T0_PT6_S3_lS6_S3_lS4_PT7_S3_li
; %bb.0:
	s_clause 0x1
	s_load_b512 s[16:31], s[0:1], 0x8
	s_load_b32 s6, s[0:1], 0x0
	v_and_b32_e32 v16, 0x3ff, v0
	v_bfe_u32 v17, v0, 10, 10
	v_mov_b32_e32 v10, 0
	v_mov_b32_e32 v11, 0
	s_delay_alu instid0(VALU_DEP_4) | instskip(NEXT) | instid1(VALU_DEP_4)
	v_lshl_add_u32 v4, s13, 4, v16
	v_lshl_add_u32 v14, s14, 4, v17
	s_delay_alu instid0(VALU_DEP_3) | instskip(NEXT) | instid1(VALU_DEP_3)
	v_dual_mov_b32 v13, v11 :: v_dual_mov_b32 v12, v10
	v_ashrrev_i32_e32 v5, 31, v4
	s_delay_alu instid0(VALU_DEP_3) | instskip(SKIP_3) | instid1(VALU_DEP_2)
	v_ashrrev_i32_e32 v15, 31, v14
	s_waitcnt lgkmcnt(0)
	v_cmp_lt_i64_e64 s3, s[16:17], 1
	v_cmp_gt_i32_e64 s2, s6, v4
	s_and_b32 vcc_lo, exec_lo, s3
	s_cbranch_vccnz .LBB1205_11
; %bb.1:
	s_load_b64 s[4:5], s[0:1], 0x48
	v_mul_lo_u32 v8, s31, v14
	v_mul_lo_u32 v9, s30, v15
	v_mad_u64_u32 v[1:2], null, s30, v14, 0
	v_mul_lo_u32 v10, s25, v4
	v_mul_lo_u32 v11, s24, v5
	v_mad_u64_u32 v[6:7], null, s24, v4, 0
	v_dual_mov_b32 v0, 0 :: v_dual_lshlrev_b32 v3, 8, v17
	v_add3_u32 v2, v2, v9, v8
	s_mul_i32 s3, s27, s15
	v_lshlrev_b32_e32 v18, 4, v16
	s_mul_i32 s8, s26, s15
	s_delay_alu instid0(VALU_DEP_4)
	v_add3_u32 v7, v7, v11, v10
	v_lshlrev_b64 v[1:2], 4, v[1:2]
	v_dual_mov_b32 v10, 0 :: v_dual_add_nc_u32 v19, 0x1000, v3
	v_mov_b32_e32 v11, 0
	s_waitcnt lgkmcnt(0)
	s_mul_i32 s5, s5, s15
	s_mul_hi_u32 s7, s4, s15
	s_mul_i32 s4, s4, s15
	s_add_i32 s5, s7, s5
	s_mul_hi_u32 s7, s26, s15
	s_lshl_b64 s[4:5], s[4:5], 4
	v_lshlrev_b64 v[6:7], 4, v[6:7]
	s_add_i32 s9, s7, s3
	v_add_co_u32 v1, s3, v1, s4
	s_delay_alu instid0(VALU_DEP_1) | instskip(SKIP_3) | instid1(VALU_DEP_1)
	v_add_co_ci_u32_e64 v2, s3, s5, v2, s3
	s_lshl_b64 s[4:5], s[8:9], 4
	v_dual_mov_b32 v13, v11 :: v_dual_add_nc_u32 v20, v18, v3
	v_add_co_u32 v3, s3, v6, s4
	v_add_co_ci_u32_e64 v6, s3, s5, v7, s3
	v_lshlrev_b32_e32 v7, 4, v17
	v_add_co_u32 v1, s3, v1, v18
	s_delay_alu instid0(VALU_DEP_1) | instskip(NEXT) | instid1(VALU_DEP_3)
	v_add_co_ci_u32_e64 v2, s3, 0, v2, s3
	v_add_co_u32 v3, s3, v3, v7
	s_delay_alu instid0(VALU_DEP_1) | instskip(NEXT) | instid1(VALU_DEP_4)
	v_add_co_ci_u32_e64 v9, s3, 0, v6, s3
	v_add_co_u32 v6, s3, s28, v1
	s_delay_alu instid0(VALU_DEP_1)
	v_add_co_ci_u32_e64 v7, s3, s29, v2, s3
	v_cmp_gt_i32_e32 vcc_lo, s6, v14
	v_add_co_u32 v8, s3, s22, v3
	v_dual_mov_b32 v12, v10 :: v_dual_add_nc_u32 v21, v19, v18
	v_add_co_ci_u32_e64 v9, s3, s23, v9, s3
	s_mov_b64 s[4:5], 0
	s_xor_b32 s2, s2, -1
	s_xor_b32 s3, vcc_lo, -1
	s_branch .LBB1205_3
.LBB1205_2:                             ;   in Loop: Header=BB1205_3 Depth=1
	s_or_b32 exec_lo, exec_lo, s7
	s_waitcnt lgkmcnt(0)
	s_barrier
	buffer_gl0_inv
	ds_load_b128 v[22:25], v18
	ds_load_b128 v[26:29], v19
	ds_load_b128 v[30:33], v19 offset:16
	ds_load_b128 v[34:37], v18 offset:256
	s_add_u32 s4, s4, 16
	s_addc_u32 s5, s5, 0
	v_add_co_u32 v6, vcc_lo, 0x100, v6
	v_cmp_ge_i64_e64 s7, s[4:5], s[16:17]
	v_add_co_ci_u32_e32 v7, vcc_lo, 0, v7, vcc_lo
	v_add_co_u32 v8, vcc_lo, 0x100, v8
	v_add_co_ci_u32_e32 v9, vcc_lo, 0, v9, vcc_lo
	s_delay_alu instid0(VALU_DEP_4)
	s_and_b32 vcc_lo, exec_lo, s7
	s_waitcnt lgkmcnt(2)
	v_mul_f64 v[1:2], v[28:29], v[24:25]
	v_mul_f64 v[24:25], v[26:27], v[24:25]
	s_waitcnt lgkmcnt(0)
	v_mul_f64 v[44:45], v[32:33], v[36:37]
	v_mul_f64 v[46:47], v[30:31], v[36:37]
	s_delay_alu instid0(VALU_DEP_4) | instskip(NEXT) | instid1(VALU_DEP_4)
	v_fma_f64 v[1:2], v[26:27], v[22:23], -v[1:2]
	v_fma_f64 v[48:49], v[28:29], v[22:23], v[24:25]
	ds_load_b128 v[22:25], v18 offset:512
	ds_load_b128 v[26:29], v19 offset:32
	;; [unrolled: 1-line block ×4, first 2 shown]
	v_fma_f64 v[30:31], v[30:31], v[34:35], -v[44:45]
	v_fma_f64 v[32:33], v[32:33], v[34:35], v[46:47]
	s_waitcnt lgkmcnt(2)
	v_mul_f64 v[50:51], v[28:29], v[24:25]
	v_mul_f64 v[24:25], v[26:27], v[24:25]
	s_waitcnt lgkmcnt(0)
	v_mul_f64 v[34:35], v[38:39], v[42:43]
	v_mul_f64 v[42:43], v[36:37], v[42:43]
	v_add_f64 v[1:2], v[12:13], v[1:2]
	v_add_f64 v[10:11], v[10:11], v[48:49]
	v_fma_f64 v[44:45], v[26:27], v[22:23], -v[50:51]
	v_fma_f64 v[46:47], v[28:29], v[22:23], v[24:25]
	v_fma_f64 v[34:35], v[36:37], v[40:41], -v[34:35]
	v_fma_f64 v[36:37], v[38:39], v[40:41], v[42:43]
	v_add_f64 v[1:2], v[1:2], v[30:31]
	v_add_f64 v[48:49], v[10:11], v[32:33]
	ds_load_b128 v[10:13], v18 offset:1024
	ds_load_b128 v[22:25], v19 offset:64
	;; [unrolled: 1-line block ×4, first 2 shown]
	s_waitcnt lgkmcnt(2)
	v_mul_f64 v[50:51], v[24:25], v[12:13]
	v_mul_f64 v[12:13], v[22:23], v[12:13]
	s_waitcnt lgkmcnt(0)
	v_mul_f64 v[40:41], v[28:29], v[32:33]
	v_mul_f64 v[42:43], v[26:27], v[32:33]
	v_add_f64 v[1:2], v[1:2], v[44:45]
	v_add_f64 v[38:39], v[48:49], v[46:47]
	v_fma_f64 v[44:45], v[22:23], v[10:11], -v[50:51]
	v_fma_f64 v[46:47], v[24:25], v[10:11], v[12:13]
	v_fma_f64 v[26:27], v[26:27], v[30:31], -v[40:41]
	v_fma_f64 v[28:29], v[28:29], v[30:31], v[42:43]
	v_add_f64 v[1:2], v[1:2], v[34:35]
	v_add_f64 v[48:49], v[38:39], v[36:37]
	ds_load_b128 v[10:13], v18 offset:1536
	ds_load_b128 v[22:25], v19 offset:96
	;; [unrolled: 1-line block ×4, first 2 shown]
	s_waitcnt lgkmcnt(2)
	v_mul_f64 v[50:51], v[24:25], v[12:13]
	v_mul_f64 v[12:13], v[22:23], v[12:13]
	s_waitcnt lgkmcnt(0)
	v_mul_f64 v[42:43], v[34:35], v[38:39]
	v_add_f64 v[1:2], v[1:2], v[44:45]
	v_add_f64 v[30:31], v[48:49], v[46:47]
	v_mul_f64 v[44:45], v[32:33], v[38:39]
	v_fma_f64 v[46:47], v[22:23], v[10:11], -v[50:51]
	v_fma_f64 v[48:49], v[24:25], v[10:11], v[12:13]
	v_fma_f64 v[32:33], v[32:33], v[36:37], -v[42:43]
	v_add_f64 v[1:2], v[1:2], v[26:27]
	v_add_f64 v[30:31], v[30:31], v[28:29]
	ds_load_b128 v[10:13], v18 offset:2048
	ds_load_b128 v[22:25], v19 offset:128
	;; [unrolled: 1-line block ×4, first 2 shown]
	v_fma_f64 v[34:35], v[34:35], v[36:37], v[44:45]
	s_waitcnt lgkmcnt(2)
	v_mul_f64 v[50:51], v[24:25], v[12:13]
	v_mul_f64 v[12:13], v[22:23], v[12:13]
	s_waitcnt lgkmcnt(0)
	v_mul_f64 v[42:43], v[28:29], v[40:41]
	v_mul_f64 v[40:41], v[26:27], v[40:41]
	v_add_f64 v[1:2], v[1:2], v[46:47]
	v_add_f64 v[30:31], v[30:31], v[48:49]
	v_fma_f64 v[44:45], v[22:23], v[10:11], -v[50:51]
	v_fma_f64 v[46:47], v[24:25], v[10:11], v[12:13]
	v_fma_f64 v[26:27], v[26:27], v[38:39], -v[42:43]
	v_fma_f64 v[28:29], v[28:29], v[38:39], v[40:41]
	v_add_f64 v[1:2], v[1:2], v[32:33]
	v_add_f64 v[48:49], v[30:31], v[34:35]
	ds_load_b128 v[10:13], v18 offset:2560
	ds_load_b128 v[22:25], v19 offset:160
	;; [unrolled: 1-line block ×4, first 2 shown]
	s_waitcnt lgkmcnt(2)
	v_mul_f64 v[50:51], v[24:25], v[12:13]
	v_mul_f64 v[12:13], v[22:23], v[12:13]
	s_waitcnt lgkmcnt(0)
	v_mul_f64 v[40:41], v[32:33], v[36:37]
	v_mul_f64 v[42:43], v[30:31], v[36:37]
	v_add_f64 v[1:2], v[1:2], v[44:45]
	v_add_f64 v[38:39], v[48:49], v[46:47]
	v_fma_f64 v[44:45], v[22:23], v[10:11], -v[50:51]
	v_fma_f64 v[46:47], v[24:25], v[10:11], v[12:13]
	v_fma_f64 v[30:31], v[30:31], v[34:35], -v[40:41]
	v_fma_f64 v[32:33], v[32:33], v[34:35], v[42:43]
	v_add_f64 v[1:2], v[1:2], v[26:27]
	v_add_f64 v[48:49], v[38:39], v[28:29]
	ds_load_b128 v[10:13], v18 offset:3072
	ds_load_b128 v[22:25], v19 offset:192
	;; [unrolled: 1-line block ×4, first 2 shown]
	s_waitcnt lgkmcnt(2)
	v_mul_f64 v[50:51], v[24:25], v[12:13]
	v_mul_f64 v[12:13], v[22:23], v[12:13]
	s_waitcnt lgkmcnt(0)
	v_mul_f64 v[42:43], v[28:29], v[38:39]
	v_add_f64 v[1:2], v[1:2], v[44:45]
	v_add_f64 v[34:35], v[48:49], v[46:47]
	v_mul_f64 v[44:45], v[26:27], v[38:39]
	v_fma_f64 v[46:47], v[22:23], v[10:11], -v[50:51]
	v_fma_f64 v[48:49], v[24:25], v[10:11], v[12:13]
	v_fma_f64 v[26:27], v[26:27], v[36:37], -v[42:43]
	v_add_f64 v[1:2], v[1:2], v[30:31]
	v_add_f64 v[34:35], v[34:35], v[32:33]
	ds_load_b128 v[10:13], v18 offset:3584
	ds_load_b128 v[22:25], v19 offset:224
	ds_load_b128 v[30:33], v19 offset:240
	ds_load_b128 v[38:41], v18 offset:3840
	v_fma_f64 v[28:29], v[28:29], v[36:37], v[44:45]
	s_waitcnt lgkmcnt(0)
	s_barrier
	buffer_gl0_inv
	v_mul_f64 v[50:51], v[24:25], v[12:13]
	v_mul_f64 v[12:13], v[22:23], v[12:13]
	;; [unrolled: 1-line block ×4, first 2 shown]
	v_add_f64 v[1:2], v[1:2], v[46:47]
	v_add_f64 v[34:35], v[34:35], v[48:49]
	v_fma_f64 v[22:23], v[22:23], v[10:11], -v[50:51]
	v_fma_f64 v[10:11], v[24:25], v[10:11], v[12:13]
	v_fma_f64 v[24:25], v[30:31], v[38:39], -v[36:37]
	v_add_f64 v[1:2], v[1:2], v[26:27]
	v_add_f64 v[12:13], v[34:35], v[28:29]
	v_fma_f64 v[26:27], v[32:33], v[38:39], v[40:41]
	s_delay_alu instid0(VALU_DEP_3) | instskip(NEXT) | instid1(VALU_DEP_3)
	v_add_f64 v[1:2], v[1:2], v[22:23]
	v_add_f64 v[10:11], v[12:13], v[10:11]
	s_delay_alu instid0(VALU_DEP_2) | instskip(NEXT) | instid1(VALU_DEP_2)
	v_add_f64 v[12:13], v[1:2], v[24:25]
	v_add_f64 v[10:11], v[10:11], v[26:27]
	s_cbranch_vccnz .LBB1205_11
.LBB1205_3:                             ; =>This Inner Loop Header: Depth=1
	v_add_co_u32 v1, s7, v17, s4
	s_delay_alu instid0(VALU_DEP_1) | instskip(NEXT) | instid1(VALU_DEP_1)
	v_add_co_ci_u32_e64 v2, null, 0, s5, s7
	v_cmp_le_i64_e32 vcc_lo, s[16:17], v[1:2]
	s_or_b32 s7, s2, vcc_lo
	s_delay_alu instid0(SALU_CYCLE_1) | instskip(NEXT) | instid1(SALU_CYCLE_1)
	s_and_saveexec_b32 s8, s7
	s_xor_b32 s7, exec_lo, s8
	s_cbranch_execz .LBB1205_5
; %bb.4:                                ;   in Loop: Header=BB1205_3 Depth=1
	v_mov_b32_e32 v1, v0
	v_mov_b32_e32 v2, v0
	;; [unrolled: 1-line block ×3, first 2 shown]
	ds_store_b128 v20, v[0:3]
.LBB1205_5:                             ;   in Loop: Header=BB1205_3 Depth=1
	s_and_not1_saveexec_b32 s7, s7
	s_cbranch_execz .LBB1205_7
; %bb.6:                                ;   in Loop: Header=BB1205_3 Depth=1
	global_load_b128 v[22:25], v[8:9], off
	s_waitcnt vmcnt(0)
	ds_store_2addr_b64 v20, v[22:23], v[24:25] offset1:1
.LBB1205_7:                             ;   in Loop: Header=BB1205_3 Depth=1
	s_or_b32 exec_lo, exec_lo, s7
	v_add_co_u32 v1, s7, v16, s4
	s_delay_alu instid0(VALU_DEP_1) | instskip(NEXT) | instid1(VALU_DEP_1)
	v_add_co_ci_u32_e64 v2, null, 0, s5, s7
	v_cmp_le_i64_e32 vcc_lo, s[16:17], v[1:2]
	s_or_b32 s7, s3, vcc_lo
	s_delay_alu instid0(SALU_CYCLE_1) | instskip(NEXT) | instid1(SALU_CYCLE_1)
	s_and_saveexec_b32 s8, s7
	s_xor_b32 s7, exec_lo, s8
	s_cbranch_execz .LBB1205_9
; %bb.8:                                ;   in Loop: Header=BB1205_3 Depth=1
	v_mov_b32_e32 v1, v0
	v_mov_b32_e32 v2, v0
	;; [unrolled: 1-line block ×3, first 2 shown]
	ds_store_b128 v21, v[0:3]
.LBB1205_9:                             ;   in Loop: Header=BB1205_3 Depth=1
	s_and_not1_saveexec_b32 s7, s7
	s_cbranch_execz .LBB1205_2
; %bb.10:                               ;   in Loop: Header=BB1205_3 Depth=1
	global_load_b128 v[22:25], v[6:7], off
	s_waitcnt vmcnt(0)
	ds_store_2addr_b64 v21, v[22:23], v[24:25] offset1:1
	s_branch .LBB1205_2
.LBB1205_11:
	v_cmp_le_i32_e32 vcc_lo, v14, v4
	v_cmp_gt_i32_e64 s2, s6, v4
	s_delay_alu instid0(VALU_DEP_1) | instskip(NEXT) | instid1(SALU_CYCLE_1)
	s_and_b32 s2, vcc_lo, s2
	s_and_saveexec_b32 s3, s2
	s_cbranch_execz .LBB1205_13
; %bb.12:
	s_delay_alu instid0(VALU_DEP_3)
	v_mul_f64 v[0:1], s[20:21], v[10:11]
	v_mul_f64 v[2:3], s[18:19], v[10:11]
	s_clause 0x1
	s_load_b128 s[4:7], s[0:1], 0x60
	s_load_b64 s[0:1], s[0:1], 0x70
	v_lshlrev_b64 v[4:5], 4, v[4:5]
	s_waitcnt lgkmcnt(0)
	v_mul_lo_u32 v8, v14, s7
	v_mul_lo_u32 v9, v15, s6
	v_mad_u64_u32 v[6:7], null, v14, s6, 0
	s_mul_i32 s1, s15, s1
	s_mul_hi_u32 s2, s15, s0
	s_mul_i32 s0, s15, s0
	s_add_i32 s1, s2, s1
	s_delay_alu instid0(SALU_CYCLE_1) | instskip(NEXT) | instid1(VALU_DEP_1)
	s_lshl_b64 s[0:1], s[0:1], 4
	v_add3_u32 v7, v7, v8, v9
	s_add_u32 s0, s4, s0
	s_addc_u32 s1, s5, s1
	s_delay_alu instid0(VALU_DEP_1) | instskip(SKIP_2) | instid1(VALU_DEP_3)
	v_lshlrev_b64 v[6:7], 4, v[6:7]
	v_fma_f64 v[0:1], s[18:19], v[12:13], -v[0:1]
	v_fma_f64 v[2:3], s[20:21], v[12:13], v[2:3]
	v_add_co_u32 v6, vcc_lo, s0, v6
	s_delay_alu instid0(VALU_DEP_4) | instskip(NEXT) | instid1(VALU_DEP_2)
	v_add_co_ci_u32_e32 v7, vcc_lo, s1, v7, vcc_lo
	v_add_co_u32 v4, vcc_lo, v6, v4
	s_delay_alu instid0(VALU_DEP_2)
	v_add_co_ci_u32_e32 v5, vcc_lo, v7, v5, vcc_lo
	global_store_b128 v[4:5], v[0:3], off
.LBB1205_13:
	s_nop 0
	s_sendmsg sendmsg(MSG_DEALLOC_VGPRS)
	s_endpgm
	.section	.rodata,"a",@progbits
	.p2align	6, 0x0
	.amdhsa_kernel _ZL32rocblas_syrkx_herkx_small_kernelIl19rocblas_complex_numIdELi16ELb1ELb0ELc84ELc76EKS1_S1_EviT_T0_PT6_S3_lS6_S3_lS4_PT7_S3_li
		.amdhsa_group_segment_fixed_size 8192
		.amdhsa_private_segment_fixed_size 0
		.amdhsa_kernarg_size 124
		.amdhsa_user_sgpr_count 13
		.amdhsa_user_sgpr_dispatch_ptr 0
		.amdhsa_user_sgpr_queue_ptr 0
		.amdhsa_user_sgpr_kernarg_segment_ptr 1
		.amdhsa_user_sgpr_dispatch_id 0
		.amdhsa_user_sgpr_private_segment_size 0
		.amdhsa_wavefront_size32 1
		.amdhsa_uses_dynamic_stack 0
		.amdhsa_enable_private_segment 0
		.amdhsa_system_sgpr_workgroup_id_x 1
		.amdhsa_system_sgpr_workgroup_id_y 1
		.amdhsa_system_sgpr_workgroup_id_z 1
		.amdhsa_system_sgpr_workgroup_info 0
		.amdhsa_system_vgpr_workitem_id 1
		.amdhsa_next_free_vgpr 52
		.amdhsa_next_free_sgpr 32
		.amdhsa_reserve_vcc 1
		.amdhsa_float_round_mode_32 0
		.amdhsa_float_round_mode_16_64 0
		.amdhsa_float_denorm_mode_32 3
		.amdhsa_float_denorm_mode_16_64 3
		.amdhsa_dx10_clamp 1
		.amdhsa_ieee_mode 1
		.amdhsa_fp16_overflow 0
		.amdhsa_workgroup_processor_mode 1
		.amdhsa_memory_ordered 1
		.amdhsa_forward_progress 0
		.amdhsa_shared_vgpr_count 0
		.amdhsa_exception_fp_ieee_invalid_op 0
		.amdhsa_exception_fp_denorm_src 0
		.amdhsa_exception_fp_ieee_div_zero 0
		.amdhsa_exception_fp_ieee_overflow 0
		.amdhsa_exception_fp_ieee_underflow 0
		.amdhsa_exception_fp_ieee_inexact 0
		.amdhsa_exception_int_div_zero 0
	.end_amdhsa_kernel
	.section	.text._ZL32rocblas_syrkx_herkx_small_kernelIl19rocblas_complex_numIdELi16ELb1ELb0ELc84ELc76EKS1_S1_EviT_T0_PT6_S3_lS6_S3_lS4_PT7_S3_li,"axG",@progbits,_ZL32rocblas_syrkx_herkx_small_kernelIl19rocblas_complex_numIdELi16ELb1ELb0ELc84ELc76EKS1_S1_EviT_T0_PT6_S3_lS6_S3_lS4_PT7_S3_li,comdat
.Lfunc_end1205:
	.size	_ZL32rocblas_syrkx_herkx_small_kernelIl19rocblas_complex_numIdELi16ELb1ELb0ELc84ELc76EKS1_S1_EviT_T0_PT6_S3_lS6_S3_lS4_PT7_S3_li, .Lfunc_end1205-_ZL32rocblas_syrkx_herkx_small_kernelIl19rocblas_complex_numIdELi16ELb1ELb0ELc84ELc76EKS1_S1_EviT_T0_PT6_S3_lS6_S3_lS4_PT7_S3_li
                                        ; -- End function
	.section	.AMDGPU.csdata,"",@progbits
; Kernel info:
; codeLenInByte = 2036
; NumSgprs: 34
; NumVgprs: 52
; ScratchSize: 0
; MemoryBound: 0
; FloatMode: 240
; IeeeMode: 1
; LDSByteSize: 8192 bytes/workgroup (compile time only)
; SGPRBlocks: 4
; VGPRBlocks: 6
; NumSGPRsForWavesPerEU: 34
; NumVGPRsForWavesPerEU: 52
; Occupancy: 16
; WaveLimiterHint : 0
; COMPUTE_PGM_RSRC2:SCRATCH_EN: 0
; COMPUTE_PGM_RSRC2:USER_SGPR: 13
; COMPUTE_PGM_RSRC2:TRAP_HANDLER: 0
; COMPUTE_PGM_RSRC2:TGID_X_EN: 1
; COMPUTE_PGM_RSRC2:TGID_Y_EN: 1
; COMPUTE_PGM_RSRC2:TGID_Z_EN: 1
; COMPUTE_PGM_RSRC2:TIDIG_COMP_CNT: 1
	.section	.text._ZL32rocblas_syrkx_herkx_small_kernelIl19rocblas_complex_numIdELi16ELb1ELb0ELc67ELc76EKS1_S1_EviT_T0_PT6_S3_lS6_S3_lS4_PT7_S3_li,"axG",@progbits,_ZL32rocblas_syrkx_herkx_small_kernelIl19rocblas_complex_numIdELi16ELb1ELb0ELc67ELc76EKS1_S1_EviT_T0_PT6_S3_lS6_S3_lS4_PT7_S3_li,comdat
	.globl	_ZL32rocblas_syrkx_herkx_small_kernelIl19rocblas_complex_numIdELi16ELb1ELb0ELc67ELc76EKS1_S1_EviT_T0_PT6_S3_lS6_S3_lS4_PT7_S3_li ; -- Begin function _ZL32rocblas_syrkx_herkx_small_kernelIl19rocblas_complex_numIdELi16ELb1ELb0ELc67ELc76EKS1_S1_EviT_T0_PT6_S3_lS6_S3_lS4_PT7_S3_li
	.p2align	8
	.type	_ZL32rocblas_syrkx_herkx_small_kernelIl19rocblas_complex_numIdELi16ELb1ELb0ELc67ELc76EKS1_S1_EviT_T0_PT6_S3_lS6_S3_lS4_PT7_S3_li,@function
_ZL32rocblas_syrkx_herkx_small_kernelIl19rocblas_complex_numIdELi16ELb1ELb0ELc67ELc76EKS1_S1_EviT_T0_PT6_S3_lS6_S3_lS4_PT7_S3_li: ; @_ZL32rocblas_syrkx_herkx_small_kernelIl19rocblas_complex_numIdELi16ELb1ELb0ELc67ELc76EKS1_S1_EviT_T0_PT6_S3_lS6_S3_lS4_PT7_S3_li
; %bb.0:
	s_clause 0x1
	s_load_b512 s[16:31], s[0:1], 0x8
	s_load_b32 s6, s[0:1], 0x0
	v_and_b32_e32 v19, 0x3ff, v0
	v_bfe_u32 v20, v0, 10, 10
	v_mov_b32_e32 v13, 0
	v_mov_b32_e32 v14, 0
	s_delay_alu instid0(VALU_DEP_4) | instskip(NEXT) | instid1(VALU_DEP_4)
	v_lshl_add_u32 v5, s13, 4, v19
	v_lshl_add_u32 v17, s14, 4, v20
	s_delay_alu instid0(VALU_DEP_3) | instskip(NEXT) | instid1(VALU_DEP_3)
	v_dual_mov_b32 v16, v14 :: v_dual_mov_b32 v15, v13
	v_ashrrev_i32_e32 v6, 31, v5
	s_delay_alu instid0(VALU_DEP_3) | instskip(SKIP_3) | instid1(VALU_DEP_2)
	v_ashrrev_i32_e32 v18, 31, v17
	s_waitcnt lgkmcnt(0)
	v_cmp_lt_i64_e64 s3, s[16:17], 1
	v_cmp_gt_i32_e64 s2, s6, v5
	s_and_b32 vcc_lo, exec_lo, s3
	s_cbranch_vccnz .LBB1206_9
; %bb.1:
	s_load_b64 s[4:5], s[0:1], 0x48
	v_mul_lo_u32 v10, s25, v5
	v_mul_lo_u32 v11, s24, v6
	v_mad_u64_u32 v[3:4], null, s24, v5, 0
	v_mul_lo_u32 v8, s31, v17
	v_mul_lo_u32 v9, s30, v18
	v_mad_u64_u32 v[1:2], null, s30, v17, 0
	s_mul_hi_u32 s7, s26, s15
	v_dual_mov_b32 v0, 0 :: v_dual_lshlrev_b32 v7, 8, v20
	v_add3_u32 v4, v4, v11, v10
	v_lshlrev_b32_e32 v21, 4, v19
	s_mul_i32 s8, s26, s15
	s_delay_alu instid0(VALU_DEP_4)
	v_add3_u32 v2, v2, v9, v8
	v_add_nc_u32_e32 v22, 0x1000, v7
	v_lshlrev_b64 v[3:4], 4, v[3:4]
	v_add_nc_u32_e32 v23, v21, v7
	v_lshlrev_b32_e32 v7, 4, v20
	s_waitcnt lgkmcnt(0)
	s_mul_i32 s3, s5, s15
	s_mul_hi_u32 s5, s4, s15
	v_lshlrev_b64 v[1:2], 4, v[1:2]
	s_add_i32 s5, s5, s3
	s_mul_i32 s3, s27, s15
	s_mul_i32 s4, s4, s15
	s_add_i32 s9, s7, s3
	s_lshl_b64 s[4:5], s[4:5], 4
	s_lshl_b64 s[8:9], s[8:9], 4
	v_cmp_gt_i32_e32 vcc_lo, s6, v17
	v_add_co_u32 v3, s3, v3, s8
	s_delay_alu instid0(VALU_DEP_1) | instskip(SKIP_1) | instid1(VALU_DEP_1)
	v_add_co_ci_u32_e64 v4, s3, s9, v4, s3
	v_add_co_u32 v1, s3, v1, s4
	v_add_co_ci_u32_e64 v2, s3, s5, v2, s3
	s_delay_alu instid0(VALU_DEP_4) | instskip(NEXT) | instid1(VALU_DEP_1)
	v_add_co_u32 v3, s3, v3, v7
	v_add_co_ci_u32_e64 v4, s3, 0, v4, s3
	v_mov_b32_e32 v7, 0
	v_mov_b32_e32 v8, 0
	v_add_co_u32 v1, s3, v1, v21
	s_delay_alu instid0(VALU_DEP_1) | instskip(NEXT) | instid1(VALU_DEP_3)
	v_add_co_ci_u32_e64 v2, s3, 0, v2, s3
	v_mov_b32_e32 v14, v8
	v_add_co_u32 v3, s3, v3, s22
	s_delay_alu instid0(VALU_DEP_1) | instskip(SKIP_1) | instid1(VALU_DEP_1)
	v_add_co_ci_u32_e64 v4, s3, s23, v4, s3
	v_add_co_u32 v9, s3, s28, v1
	v_add_co_ci_u32_e64 v10, s3, s29, v2, s3
	s_delay_alu instid0(VALU_DEP_4)
	v_add_co_u32 v11, s3, v3, 8
	v_dual_mov_b32 v13, v7 :: v_dual_add_nc_u32 v24, v22, v21
	v_add_co_ci_u32_e64 v12, s3, 0, v4, s3
	v_dual_mov_b32 v16, v8 :: v_dual_mov_b32 v15, v7
	s_mov_b64 s[4:5], 0
	s_xor_b32 s3, vcc_lo, -1
	s_branch .LBB1206_3
.LBB1206_2:                             ;   in Loop: Header=BB1206_3 Depth=1
	s_or_b32 exec_lo, exec_lo, s7
	s_waitcnt lgkmcnt(0)
	s_barrier
	buffer_gl0_inv
	ds_load_b128 v[1:4], v21
	ds_load_b128 v[25:28], v22
	ds_load_b128 v[29:32], v22 offset:16
	ds_load_b128 v[33:36], v21 offset:256
	s_add_u32 s4, s4, 16
	s_addc_u32 s5, s5, 0
	v_add_co_u32 v9, vcc_lo, 0x100, v9
	v_cmp_ge_i64_e64 s7, s[4:5], s[16:17]
	v_add_co_ci_u32_e32 v10, vcc_lo, 0, v10, vcc_lo
	v_add_co_u32 v11, vcc_lo, 0x100, v11
	v_add_co_ci_u32_e32 v12, vcc_lo, 0, v12, vcc_lo
	s_delay_alu instid0(VALU_DEP_4)
	s_and_b32 vcc_lo, exec_lo, s7
	s_waitcnt lgkmcnt(2)
	v_mul_f64 v[37:38], v[27:28], v[3:4]
	v_mul_f64 v[3:4], v[25:26], v[3:4]
	s_waitcnt lgkmcnt(0)
	v_mul_f64 v[43:44], v[31:32], v[35:36]
	v_mul_f64 v[45:46], v[29:30], v[35:36]
	s_delay_alu instid0(VALU_DEP_4) | instskip(NEXT) | instid1(VALU_DEP_4)
	v_fma_f64 v[47:48], v[25:26], v[1:2], -v[37:38]
	v_fma_f64 v[49:50], v[27:28], v[1:2], v[3:4]
	ds_load_b128 v[1:4], v21 offset:512
	ds_load_b128 v[25:28], v22 offset:32
	;; [unrolled: 1-line block ×4, first 2 shown]
	v_fma_f64 v[29:30], v[29:30], v[33:34], -v[43:44]
	v_fma_f64 v[31:32], v[31:32], v[33:34], v[45:46]
	s_waitcnt lgkmcnt(2)
	v_mul_f64 v[51:52], v[27:28], v[3:4]
	v_mul_f64 v[3:4], v[25:26], v[3:4]
	s_waitcnt lgkmcnt(0)
	v_mul_f64 v[33:34], v[37:38], v[41:42]
	v_mul_f64 v[41:42], v[35:36], v[41:42]
	v_add_f64 v[15:16], v[15:16], v[47:48]
	v_add_f64 v[13:14], v[13:14], v[49:50]
	v_fma_f64 v[43:44], v[25:26], v[1:2], -v[51:52]
	v_fma_f64 v[45:46], v[27:28], v[1:2], v[3:4]
	v_fma_f64 v[33:34], v[35:36], v[39:40], -v[33:34]
	v_fma_f64 v[35:36], v[37:38], v[39:40], v[41:42]
	v_add_f64 v[47:48], v[15:16], v[29:30]
	v_add_f64 v[49:50], v[13:14], v[31:32]
	ds_load_b128 v[1:4], v21 offset:1024
	ds_load_b128 v[13:16], v22 offset:64
	;; [unrolled: 1-line block ×4, first 2 shown]
	s_waitcnt lgkmcnt(2)
	v_mul_f64 v[51:52], v[15:16], v[3:4]
	v_mul_f64 v[3:4], v[13:14], v[3:4]
	s_waitcnt lgkmcnt(0)
	v_mul_f64 v[41:42], v[27:28], v[31:32]
	v_add_f64 v[37:38], v[47:48], v[43:44]
	v_add_f64 v[39:40], v[49:50], v[45:46]
	v_mul_f64 v[43:44], v[25:26], v[31:32]
	v_fma_f64 v[45:46], v[13:14], v[1:2], -v[51:52]
	v_fma_f64 v[47:48], v[15:16], v[1:2], v[3:4]
	v_fma_f64 v[25:26], v[25:26], v[29:30], -v[41:42]
	v_add_f64 v[49:50], v[37:38], v[33:34]
	v_add_f64 v[39:40], v[39:40], v[35:36]
	ds_load_b128 v[1:4], v21 offset:1536
	ds_load_b128 v[13:16], v22 offset:96
	;; [unrolled: 1-line block ×4, first 2 shown]
	v_fma_f64 v[27:28], v[27:28], v[29:30], v[43:44]
	s_waitcnt lgkmcnt(2)
	v_mul_f64 v[51:52], v[15:16], v[3:4]
	v_mul_f64 v[3:4], v[13:14], v[3:4]
	s_waitcnt lgkmcnt(0)
	v_mul_f64 v[41:42], v[33:34], v[37:38]
	v_mul_f64 v[43:44], v[31:32], v[37:38]
	v_add_f64 v[29:30], v[49:50], v[45:46]
	v_add_f64 v[39:40], v[39:40], v[47:48]
	v_fma_f64 v[45:46], v[13:14], v[1:2], -v[51:52]
	v_fma_f64 v[47:48], v[15:16], v[1:2], v[3:4]
	v_fma_f64 v[31:32], v[31:32], v[35:36], -v[41:42]
	v_fma_f64 v[33:34], v[33:34], v[35:36], v[43:44]
	v_add_f64 v[29:30], v[29:30], v[25:26]
	v_add_f64 v[49:50], v[39:40], v[27:28]
	ds_load_b128 v[1:4], v21 offset:2048
	ds_load_b128 v[13:16], v22 offset:128
	;; [unrolled: 1-line block ×4, first 2 shown]
	s_waitcnt lgkmcnt(2)
	v_mul_f64 v[51:52], v[15:16], v[3:4]
	v_mul_f64 v[3:4], v[13:14], v[3:4]
	s_waitcnt lgkmcnt(0)
	v_mul_f64 v[41:42], v[27:28], v[39:40]
	v_mul_f64 v[39:40], v[25:26], v[39:40]
	v_add_f64 v[29:30], v[29:30], v[45:46]
	v_add_f64 v[35:36], v[49:50], v[47:48]
	v_fma_f64 v[43:44], v[13:14], v[1:2], -v[51:52]
	v_fma_f64 v[45:46], v[15:16], v[1:2], v[3:4]
	v_fma_f64 v[25:26], v[25:26], v[37:38], -v[41:42]
	v_fma_f64 v[27:28], v[27:28], v[37:38], v[39:40]
	v_add_f64 v[47:48], v[29:30], v[31:32]
	v_add_f64 v[49:50], v[35:36], v[33:34]
	ds_load_b128 v[1:4], v21 offset:2560
	ds_load_b128 v[13:16], v22 offset:160
	;; [unrolled: 1-line block ×4, first 2 shown]
	s_waitcnt lgkmcnt(2)
	v_mul_f64 v[51:52], v[15:16], v[3:4]
	v_mul_f64 v[3:4], v[13:14], v[3:4]
	s_waitcnt lgkmcnt(0)
	v_mul_f64 v[41:42], v[31:32], v[35:36]
	v_add_f64 v[37:38], v[47:48], v[43:44]
	v_add_f64 v[39:40], v[49:50], v[45:46]
	v_mul_f64 v[43:44], v[29:30], v[35:36]
	v_fma_f64 v[45:46], v[13:14], v[1:2], -v[51:52]
	v_fma_f64 v[47:48], v[15:16], v[1:2], v[3:4]
	v_fma_f64 v[29:30], v[29:30], v[33:34], -v[41:42]
	v_add_f64 v[49:50], v[37:38], v[25:26]
	v_add_f64 v[39:40], v[39:40], v[27:28]
	ds_load_b128 v[1:4], v21 offset:3072
	ds_load_b128 v[13:16], v22 offset:192
	;; [unrolled: 1-line block ×4, first 2 shown]
	v_fma_f64 v[31:32], v[31:32], v[33:34], v[43:44]
	s_waitcnt lgkmcnt(2)
	v_mul_f64 v[51:52], v[15:16], v[3:4]
	v_mul_f64 v[3:4], v[13:14], v[3:4]
	s_waitcnt lgkmcnt(0)
	v_mul_f64 v[41:42], v[27:28], v[37:38]
	v_mul_f64 v[43:44], v[25:26], v[37:38]
	v_add_f64 v[33:34], v[49:50], v[45:46]
	v_add_f64 v[39:40], v[39:40], v[47:48]
	v_fma_f64 v[45:46], v[13:14], v[1:2], -v[51:52]
	v_fma_f64 v[47:48], v[15:16], v[1:2], v[3:4]
	v_fma_f64 v[25:26], v[25:26], v[35:36], -v[41:42]
	v_fma_f64 v[27:28], v[27:28], v[35:36], v[43:44]
	v_add_f64 v[33:34], v[33:34], v[29:30]
	v_add_f64 v[49:50], v[39:40], v[31:32]
	ds_load_b128 v[1:4], v21 offset:3584
	ds_load_b128 v[13:16], v22 offset:224
	;; [unrolled: 1-line block ×4, first 2 shown]
	s_waitcnt lgkmcnt(0)
	s_barrier
	buffer_gl0_inv
	v_mul_f64 v[51:52], v[15:16], v[3:4]
	v_mul_f64 v[3:4], v[13:14], v[3:4]
	;; [unrolled: 1-line block ×4, first 2 shown]
	v_add_f64 v[33:34], v[33:34], v[45:46]
	v_add_f64 v[35:36], v[49:50], v[47:48]
	v_fma_f64 v[13:14], v[13:14], v[1:2], -v[51:52]
	v_fma_f64 v[1:2], v[15:16], v[1:2], v[3:4]
	s_delay_alu instid0(VALU_DEP_4) | instskip(NEXT) | instid1(VALU_DEP_4)
	v_add_f64 v[3:4], v[33:34], v[25:26]
	v_add_f64 v[15:16], v[35:36], v[27:28]
	v_fma_f64 v[25:26], v[29:30], v[37:38], -v[41:42]
	v_fma_f64 v[27:28], v[31:32], v[37:38], v[39:40]
	s_delay_alu instid0(VALU_DEP_4) | instskip(NEXT) | instid1(VALU_DEP_4)
	v_add_f64 v[3:4], v[3:4], v[13:14]
	v_add_f64 v[1:2], v[15:16], v[1:2]
	s_delay_alu instid0(VALU_DEP_2) | instskip(NEXT) | instid1(VALU_DEP_2)
	v_add_f64 v[15:16], v[3:4], v[25:26]
	v_add_f64 v[13:14], v[1:2], v[27:28]
	s_cbranch_vccnz .LBB1206_9
.LBB1206_3:                             ; =>This Inner Loop Header: Depth=1
	v_add_co_u32 v1, s7, v20, s4
	s_delay_alu instid0(VALU_DEP_1) | instskip(SKIP_1) | instid1(VALU_DEP_2)
	v_add_co_ci_u32_e64 v2, null, 0, s5, s7
	v_dual_mov_b32 v3, v7 :: v_dual_mov_b32 v4, v8
	v_cmp_gt_i64_e32 vcc_lo, s[16:17], v[1:2]
	v_dual_mov_b32 v1, v7 :: v_dual_mov_b32 v2, v8
	s_and_b32 s8, s2, vcc_lo
	s_delay_alu instid0(SALU_CYCLE_1)
	s_and_saveexec_b32 s7, s8
	s_cbranch_execz .LBB1206_5
; %bb.4:                                ;   in Loop: Header=BB1206_3 Depth=1
	global_load_b128 v[1:4], v[11:12], off offset:-8
.LBB1206_5:                             ;   in Loop: Header=BB1206_3 Depth=1
	s_or_b32 exec_lo, exec_lo, s7
	v_add_co_u32 v25, s7, v19, s4
	s_delay_alu instid0(VALU_DEP_1) | instskip(SKIP_4) | instid1(SALU_CYCLE_1)
	v_add_co_ci_u32_e64 v26, null, 0, s5, s7
	s_waitcnt vmcnt(0)
	ds_store_b128 v23, v[1:4]
	v_cmp_le_i64_e32 vcc_lo, s[16:17], v[25:26]
	s_or_b32 s7, s3, vcc_lo
	s_and_saveexec_b32 s8, s7
	s_delay_alu instid0(SALU_CYCLE_1)
	s_xor_b32 s7, exec_lo, s8
	s_cbranch_execz .LBB1206_7
; %bb.6:                                ;   in Loop: Header=BB1206_3 Depth=1
	v_mov_b32_e32 v1, v0
	v_mov_b32_e32 v2, v0
	;; [unrolled: 1-line block ×3, first 2 shown]
	ds_store_b128 v24, v[0:3]
.LBB1206_7:                             ;   in Loop: Header=BB1206_3 Depth=1
	s_and_not1_saveexec_b32 s7, s7
	s_cbranch_execz .LBB1206_2
; %bb.8:                                ;   in Loop: Header=BB1206_3 Depth=1
	global_load_b128 v[1:4], v[9:10], off
	s_waitcnt vmcnt(0)
	ds_store_2addr_b64 v24, v[1:2], v[3:4] offset1:1
	s_branch .LBB1206_2
.LBB1206_9:
	v_cmp_le_i32_e32 vcc_lo, v17, v5
	v_cmp_gt_i32_e64 s2, s6, v5
	s_delay_alu instid0(VALU_DEP_1) | instskip(NEXT) | instid1(SALU_CYCLE_1)
	s_and_b32 s2, vcc_lo, s2
	s_and_saveexec_b32 s3, s2
	s_cbranch_execz .LBB1206_11
; %bb.10:
	s_delay_alu instid0(VALU_DEP_3)
	v_mul_f64 v[0:1], s[20:21], v[13:14]
	v_mul_f64 v[2:3], s[18:19], v[13:14]
	s_clause 0x1
	s_load_b128 s[4:7], s[0:1], 0x60
	s_load_b64 s[0:1], s[0:1], 0x70
	s_waitcnt lgkmcnt(0)
	v_mul_lo_u32 v4, v17, s7
	v_mul_lo_u32 v9, v18, s6
	v_mad_u64_u32 v[7:8], null, v17, s6, 0
	s_mul_i32 s1, s15, s1
	s_mul_hi_u32 s2, s15, s0
	s_mul_i32 s0, s15, s0
	s_add_i32 s1, s2, s1
	s_delay_alu instid0(SALU_CYCLE_1) | instskip(NEXT) | instid1(VALU_DEP_1)
	s_lshl_b64 s[0:1], s[0:1], 4
	v_add3_u32 v8, v8, v4, v9
	s_add_u32 s0, s4, s0
	v_lshlrev_b64 v[4:5], 4, v[5:6]
	s_addc_u32 s1, s5, s1
	s_delay_alu instid0(VALU_DEP_2) | instskip(SKIP_2) | instid1(VALU_DEP_3)
	v_lshlrev_b64 v[7:8], 4, v[7:8]
	v_fma_f64 v[0:1], s[18:19], v[15:16], -v[0:1]
	v_fma_f64 v[2:3], s[20:21], v[15:16], v[2:3]
	v_add_co_u32 v6, vcc_lo, s0, v7
	s_delay_alu instid0(VALU_DEP_4) | instskip(NEXT) | instid1(VALU_DEP_2)
	v_add_co_ci_u32_e32 v7, vcc_lo, s1, v8, vcc_lo
	v_add_co_u32 v4, vcc_lo, v6, v4
	s_delay_alu instid0(VALU_DEP_2)
	v_add_co_ci_u32_e32 v5, vcc_lo, v7, v5, vcc_lo
	global_store_b128 v[4:5], v[0:3], off
.LBB1206_11:
	s_nop 0
	s_sendmsg sendmsg(MSG_DEALLOC_VGPRS)
	s_endpgm
	.section	.rodata,"a",@progbits
	.p2align	6, 0x0
	.amdhsa_kernel _ZL32rocblas_syrkx_herkx_small_kernelIl19rocblas_complex_numIdELi16ELb1ELb0ELc67ELc76EKS1_S1_EviT_T0_PT6_S3_lS6_S3_lS4_PT7_S3_li
		.amdhsa_group_segment_fixed_size 8192
		.amdhsa_private_segment_fixed_size 0
		.amdhsa_kernarg_size 124
		.amdhsa_user_sgpr_count 13
		.amdhsa_user_sgpr_dispatch_ptr 0
		.amdhsa_user_sgpr_queue_ptr 0
		.amdhsa_user_sgpr_kernarg_segment_ptr 1
		.amdhsa_user_sgpr_dispatch_id 0
		.amdhsa_user_sgpr_private_segment_size 0
		.amdhsa_wavefront_size32 1
		.amdhsa_uses_dynamic_stack 0
		.amdhsa_enable_private_segment 0
		.amdhsa_system_sgpr_workgroup_id_x 1
		.amdhsa_system_sgpr_workgroup_id_y 1
		.amdhsa_system_sgpr_workgroup_id_z 1
		.amdhsa_system_sgpr_workgroup_info 0
		.amdhsa_system_vgpr_workitem_id 1
		.amdhsa_next_free_vgpr 53
		.amdhsa_next_free_sgpr 32
		.amdhsa_reserve_vcc 1
		.amdhsa_float_round_mode_32 0
		.amdhsa_float_round_mode_16_64 0
		.amdhsa_float_denorm_mode_32 3
		.amdhsa_float_denorm_mode_16_64 3
		.amdhsa_dx10_clamp 1
		.amdhsa_ieee_mode 1
		.amdhsa_fp16_overflow 0
		.amdhsa_workgroup_processor_mode 1
		.amdhsa_memory_ordered 1
		.amdhsa_forward_progress 0
		.amdhsa_shared_vgpr_count 0
		.amdhsa_exception_fp_ieee_invalid_op 0
		.amdhsa_exception_fp_denorm_src 0
		.amdhsa_exception_fp_ieee_div_zero 0
		.amdhsa_exception_fp_ieee_overflow 0
		.amdhsa_exception_fp_ieee_underflow 0
		.amdhsa_exception_fp_ieee_inexact 0
		.amdhsa_exception_int_div_zero 0
	.end_amdhsa_kernel
	.section	.text._ZL32rocblas_syrkx_herkx_small_kernelIl19rocblas_complex_numIdELi16ELb1ELb0ELc67ELc76EKS1_S1_EviT_T0_PT6_S3_lS6_S3_lS4_PT7_S3_li,"axG",@progbits,_ZL32rocblas_syrkx_herkx_small_kernelIl19rocblas_complex_numIdELi16ELb1ELb0ELc67ELc76EKS1_S1_EviT_T0_PT6_S3_lS6_S3_lS4_PT7_S3_li,comdat
.Lfunc_end1206:
	.size	_ZL32rocblas_syrkx_herkx_small_kernelIl19rocblas_complex_numIdELi16ELb1ELb0ELc67ELc76EKS1_S1_EviT_T0_PT6_S3_lS6_S3_lS4_PT7_S3_li, .Lfunc_end1206-_ZL32rocblas_syrkx_herkx_small_kernelIl19rocblas_complex_numIdELi16ELb1ELb0ELc67ELc76EKS1_S1_EviT_T0_PT6_S3_lS6_S3_lS4_PT7_S3_li
                                        ; -- End function
	.section	.AMDGPU.csdata,"",@progbits
; Kernel info:
; codeLenInByte = 2048
; NumSgprs: 34
; NumVgprs: 53
; ScratchSize: 0
; MemoryBound: 1
; FloatMode: 240
; IeeeMode: 1
; LDSByteSize: 8192 bytes/workgroup (compile time only)
; SGPRBlocks: 4
; VGPRBlocks: 6
; NumSGPRsForWavesPerEU: 34
; NumVGPRsForWavesPerEU: 53
; Occupancy: 16
; WaveLimiterHint : 0
; COMPUTE_PGM_RSRC2:SCRATCH_EN: 0
; COMPUTE_PGM_RSRC2:USER_SGPR: 13
; COMPUTE_PGM_RSRC2:TRAP_HANDLER: 0
; COMPUTE_PGM_RSRC2:TGID_X_EN: 1
; COMPUTE_PGM_RSRC2:TGID_Y_EN: 1
; COMPUTE_PGM_RSRC2:TGID_Z_EN: 1
; COMPUTE_PGM_RSRC2:TIDIG_COMP_CNT: 1
	.section	.text._ZL32rocblas_syrkx_herkx_small_kernelIl19rocblas_complex_numIdELi16ELb1ELb0ELc78ELc76EKS1_S1_EviT_T0_PT6_S3_lS6_S3_lS4_PT7_S3_li,"axG",@progbits,_ZL32rocblas_syrkx_herkx_small_kernelIl19rocblas_complex_numIdELi16ELb1ELb0ELc78ELc76EKS1_S1_EviT_T0_PT6_S3_lS6_S3_lS4_PT7_S3_li,comdat
	.globl	_ZL32rocblas_syrkx_herkx_small_kernelIl19rocblas_complex_numIdELi16ELb1ELb0ELc78ELc76EKS1_S1_EviT_T0_PT6_S3_lS6_S3_lS4_PT7_S3_li ; -- Begin function _ZL32rocblas_syrkx_herkx_small_kernelIl19rocblas_complex_numIdELi16ELb1ELb0ELc78ELc76EKS1_S1_EviT_T0_PT6_S3_lS6_S3_lS4_PT7_S3_li
	.p2align	8
	.type	_ZL32rocblas_syrkx_herkx_small_kernelIl19rocblas_complex_numIdELi16ELb1ELb0ELc78ELc76EKS1_S1_EviT_T0_PT6_S3_lS6_S3_lS4_PT7_S3_li,@function
_ZL32rocblas_syrkx_herkx_small_kernelIl19rocblas_complex_numIdELi16ELb1ELb0ELc78ELc76EKS1_S1_EviT_T0_PT6_S3_lS6_S3_lS4_PT7_S3_li: ; @_ZL32rocblas_syrkx_herkx_small_kernelIl19rocblas_complex_numIdELi16ELb1ELb0ELc78ELc76EKS1_S1_EviT_T0_PT6_S3_lS6_S3_lS4_PT7_S3_li
; %bb.0:
	s_clause 0x1
	s_load_b512 s[16:31], s[0:1], 0x8
	s_load_b32 s10, s[0:1], 0x0
	v_and_b32_e32 v17, 0x3ff, v0
	v_bfe_u32 v18, v0, 10, 10
	v_mov_b32_e32 v13, 0
	v_mov_b32_e32 v14, 0
	s_delay_alu instid0(VALU_DEP_4) | instskip(NEXT) | instid1(VALU_DEP_4)
	v_lshl_add_u32 v5, s13, 4, v17
	v_lshl_add_u32 v7, s14, 4, v18
	s_delay_alu instid0(VALU_DEP_3) | instskip(NEXT) | instid1(VALU_DEP_3)
	v_dual_mov_b32 v16, v14 :: v_dual_mov_b32 v15, v13
	v_ashrrev_i32_e32 v6, 31, v5
	s_delay_alu instid0(VALU_DEP_3) | instskip(SKIP_3) | instid1(VALU_DEP_2)
	v_ashrrev_i32_e32 v8, 31, v7
	s_waitcnt lgkmcnt(0)
	v_cmp_lt_i64_e64 s2, s[16:17], 1
	v_cmp_gt_i32_e64 s3, s10, v5
	s_and_b32 vcc_lo, exec_lo, s2
	s_cbranch_vccnz .LBB1207_9
; %bb.1:
	v_mad_u64_u32 v[1:2], null, s30, v17, 0
	v_mad_u64_u32 v[3:4], null, s24, v18, 0
	s_load_b64 s[4:5], s[0:1], 0x48
	s_mul_i32 s7, s27, s15
	s_mul_hi_u32 s8, s26, s15
	v_dual_mov_b32 v0, 0 :: v_dual_lshlrev_b32 v13, 8, v18
	s_add_i32 s7, s8, s7
	s_delay_alu instid0(VALU_DEP_2)
	v_mad_u64_u32 v[11:12], null, s31, v17, v[2:3]
	v_lshlrev_b32_e32 v19, 4, v17
	v_lshlrev_b64 v[9:10], 4, v[7:8]
	s_mul_i32 s6, s26, s15
	v_cmp_gt_i32_e64 s2, s10, v7
	s_xor_b32 s3, s3, -1
	s_delay_alu instid0(VALU_DEP_4)
	v_mov_b32_e32 v2, v11
	v_mad_u64_u32 v[11:12], null, s25, v18, v[4:5]
	v_add_nc_u32_e32 v21, 0x1000, v13
	v_dual_mov_b32 v13, 0 :: v_dual_add_nc_u32 v20, v19, v13
	s_waitcnt lgkmcnt(0)
	s_mul_i32 s5, s5, s15
	s_mul_hi_u32 s8, s4, s15
	v_lshlrev_b64 v[1:2], 4, v[1:2]
	s_mul_i32 s4, s4, s15
	s_add_i32 s5, s8, s5
	v_mov_b32_e32 v4, v11
	s_lshl_b64 s[4:5], s[4:5], 4
	v_mov_b32_e32 v14, 0
	v_add_co_u32 v1, vcc_lo, s4, v1
	v_add_co_ci_u32_e32 v2, vcc_lo, s5, v2, vcc_lo
	s_lshl_b64 s[4:5], s[6:7], 4
	s_delay_alu instid0(VALU_DEP_2) | instskip(NEXT) | instid1(VALU_DEP_2)
	v_add_co_u32 v9, vcc_lo, v1, v9
	v_add_co_ci_u32_e32 v10, vcc_lo, v2, v10, vcc_lo
	v_lshlrev_b64 v[1:2], 4, v[3:4]
	s_delay_alu instid0(VALU_DEP_3) | instskip(NEXT) | instid1(VALU_DEP_3)
	v_add_co_u32 v3, vcc_lo, v9, s28
	v_add_co_ci_u32_e32 v4, vcc_lo, s29, v10, vcc_lo
	v_add_nc_u32_e32 v22, v21, v19
	s_delay_alu instid0(VALU_DEP_4)
	v_add_co_u32 v11, vcc_lo, s4, v1
	v_add_co_ci_u32_e32 v12, vcc_lo, s5, v2, vcc_lo
	v_lshlrev_b64 v[1:2], 4, v[5:6]
	v_add_co_u32 v9, vcc_lo, v3, 8
	v_add_co_ci_u32_e32 v10, vcc_lo, 0, v4, vcc_lo
	v_dual_mov_b32 v16, v14 :: v_dual_mov_b32 v15, v13
	s_delay_alu instid0(VALU_DEP_4) | instskip(SKIP_2) | instid1(VALU_DEP_2)
	v_add_co_u32 v1, vcc_lo, v11, v1
	v_add_co_ci_u32_e32 v2, vcc_lo, v12, v2, vcc_lo
	s_lshl_b64 s[4:5], s[30:31], 8
	v_add_co_u32 v11, vcc_lo, s22, v1
	s_delay_alu instid0(VALU_DEP_2)
	v_add_co_ci_u32_e32 v12, vcc_lo, s23, v2, vcc_lo
	s_lshl_b64 s[6:7], s[24:25], 8
	s_mov_b64 s[8:9], 0
	s_branch .LBB1207_3
.LBB1207_2:                             ;   in Loop: Header=BB1207_3 Depth=1
	s_or_b32 exec_lo, exec_lo, s11
	s_waitcnt vmcnt(0)
	ds_store_b128 v22, v[1:4]
	s_waitcnt lgkmcnt(0)
	s_barrier
	buffer_gl0_inv
	ds_load_b128 v[1:4], v19
	ds_load_b128 v[23:26], v21
	ds_load_b128 v[27:30], v21 offset:16
	ds_load_b128 v[31:34], v19 offset:256
	s_add_u32 s8, s8, 16
	s_addc_u32 s9, s9, 0
	v_add_co_u32 v9, vcc_lo, v9, s4
	v_cmp_ge_i64_e64 s11, s[8:9], s[16:17]
	v_add_co_ci_u32_e32 v10, vcc_lo, s5, v10, vcc_lo
	v_add_co_u32 v11, vcc_lo, v11, s6
	v_add_co_ci_u32_e32 v12, vcc_lo, s7, v12, vcc_lo
	s_delay_alu instid0(VALU_DEP_4)
	s_and_b32 vcc_lo, exec_lo, s11
	s_waitcnt lgkmcnt(2)
	v_mul_f64 v[35:36], v[25:26], v[3:4]
	v_mul_f64 v[3:4], v[23:24], v[3:4]
	s_waitcnt lgkmcnt(0)
	v_mul_f64 v[41:42], v[29:30], v[33:34]
	v_mul_f64 v[43:44], v[27:28], v[33:34]
	s_delay_alu instid0(VALU_DEP_4) | instskip(NEXT) | instid1(VALU_DEP_4)
	v_fma_f64 v[45:46], v[23:24], v[1:2], -v[35:36]
	v_fma_f64 v[47:48], v[25:26], v[1:2], v[3:4]
	ds_load_b128 v[1:4], v19 offset:512
	ds_load_b128 v[23:26], v21 offset:32
	;; [unrolled: 1-line block ×4, first 2 shown]
	v_fma_f64 v[27:28], v[27:28], v[31:32], -v[41:42]
	v_fma_f64 v[29:30], v[29:30], v[31:32], v[43:44]
	s_waitcnt lgkmcnt(2)
	v_mul_f64 v[49:50], v[25:26], v[3:4]
	v_mul_f64 v[3:4], v[23:24], v[3:4]
	s_waitcnt lgkmcnt(0)
	v_mul_f64 v[31:32], v[35:36], v[39:40]
	v_mul_f64 v[39:40], v[33:34], v[39:40]
	v_add_f64 v[15:16], v[15:16], v[45:46]
	v_add_f64 v[13:14], v[13:14], v[47:48]
	v_fma_f64 v[41:42], v[23:24], v[1:2], -v[49:50]
	v_fma_f64 v[43:44], v[25:26], v[1:2], v[3:4]
	v_fma_f64 v[31:32], v[33:34], v[37:38], -v[31:32]
	v_fma_f64 v[33:34], v[35:36], v[37:38], v[39:40]
	v_add_f64 v[45:46], v[15:16], v[27:28]
	v_add_f64 v[47:48], v[13:14], v[29:30]
	ds_load_b128 v[1:4], v19 offset:1024
	ds_load_b128 v[13:16], v21 offset:64
	;; [unrolled: 1-line block ×4, first 2 shown]
	s_waitcnt lgkmcnt(2)
	v_mul_f64 v[49:50], v[15:16], v[3:4]
	v_mul_f64 v[3:4], v[13:14], v[3:4]
	s_waitcnt lgkmcnt(0)
	v_mul_f64 v[39:40], v[25:26], v[29:30]
	v_add_f64 v[35:36], v[45:46], v[41:42]
	v_add_f64 v[37:38], v[47:48], v[43:44]
	v_mul_f64 v[41:42], v[23:24], v[29:30]
	v_fma_f64 v[43:44], v[13:14], v[1:2], -v[49:50]
	v_fma_f64 v[45:46], v[15:16], v[1:2], v[3:4]
	v_fma_f64 v[23:24], v[23:24], v[27:28], -v[39:40]
	v_add_f64 v[47:48], v[35:36], v[31:32]
	v_add_f64 v[37:38], v[37:38], v[33:34]
	ds_load_b128 v[1:4], v19 offset:1536
	ds_load_b128 v[13:16], v21 offset:96
	;; [unrolled: 1-line block ×4, first 2 shown]
	v_fma_f64 v[25:26], v[25:26], v[27:28], v[41:42]
	s_waitcnt lgkmcnt(2)
	v_mul_f64 v[49:50], v[15:16], v[3:4]
	v_mul_f64 v[3:4], v[13:14], v[3:4]
	s_waitcnt lgkmcnt(0)
	v_mul_f64 v[39:40], v[31:32], v[35:36]
	v_mul_f64 v[41:42], v[29:30], v[35:36]
	v_add_f64 v[27:28], v[47:48], v[43:44]
	v_add_f64 v[37:38], v[37:38], v[45:46]
	v_fma_f64 v[43:44], v[13:14], v[1:2], -v[49:50]
	v_fma_f64 v[45:46], v[15:16], v[1:2], v[3:4]
	v_fma_f64 v[29:30], v[29:30], v[33:34], -v[39:40]
	v_fma_f64 v[31:32], v[31:32], v[33:34], v[41:42]
	v_add_f64 v[27:28], v[27:28], v[23:24]
	v_add_f64 v[47:48], v[37:38], v[25:26]
	ds_load_b128 v[1:4], v19 offset:2048
	ds_load_b128 v[13:16], v21 offset:128
	ds_load_b128 v[23:26], v21 offset:144
	ds_load_b128 v[35:38], v19 offset:2304
	s_waitcnt lgkmcnt(2)
	v_mul_f64 v[49:50], v[15:16], v[3:4]
	v_mul_f64 v[3:4], v[13:14], v[3:4]
	s_waitcnt lgkmcnt(0)
	v_mul_f64 v[39:40], v[25:26], v[37:38]
	v_mul_f64 v[37:38], v[23:24], v[37:38]
	v_add_f64 v[27:28], v[27:28], v[43:44]
	v_add_f64 v[33:34], v[47:48], v[45:46]
	v_fma_f64 v[41:42], v[13:14], v[1:2], -v[49:50]
	v_fma_f64 v[43:44], v[15:16], v[1:2], v[3:4]
	v_fma_f64 v[23:24], v[23:24], v[35:36], -v[39:40]
	v_fma_f64 v[25:26], v[25:26], v[35:36], v[37:38]
	v_add_f64 v[45:46], v[27:28], v[29:30]
	v_add_f64 v[47:48], v[33:34], v[31:32]
	ds_load_b128 v[1:4], v19 offset:2560
	ds_load_b128 v[13:16], v21 offset:160
	;; [unrolled: 1-line block ×4, first 2 shown]
	s_waitcnt lgkmcnt(2)
	v_mul_f64 v[49:50], v[15:16], v[3:4]
	v_mul_f64 v[3:4], v[13:14], v[3:4]
	s_waitcnt lgkmcnt(0)
	v_mul_f64 v[39:40], v[29:30], v[33:34]
	v_add_f64 v[35:36], v[45:46], v[41:42]
	v_add_f64 v[37:38], v[47:48], v[43:44]
	v_mul_f64 v[41:42], v[27:28], v[33:34]
	v_fma_f64 v[43:44], v[13:14], v[1:2], -v[49:50]
	v_fma_f64 v[45:46], v[15:16], v[1:2], v[3:4]
	v_fma_f64 v[27:28], v[27:28], v[31:32], -v[39:40]
	v_add_f64 v[47:48], v[35:36], v[23:24]
	v_add_f64 v[37:38], v[37:38], v[25:26]
	ds_load_b128 v[1:4], v19 offset:3072
	ds_load_b128 v[13:16], v21 offset:192
	;; [unrolled: 1-line block ×4, first 2 shown]
	v_fma_f64 v[29:30], v[29:30], v[31:32], v[41:42]
	s_waitcnt lgkmcnt(2)
	v_mul_f64 v[49:50], v[15:16], v[3:4]
	v_mul_f64 v[3:4], v[13:14], v[3:4]
	s_waitcnt lgkmcnt(0)
	v_mul_f64 v[39:40], v[25:26], v[35:36]
	v_mul_f64 v[41:42], v[23:24], v[35:36]
	v_add_f64 v[31:32], v[47:48], v[43:44]
	v_add_f64 v[37:38], v[37:38], v[45:46]
	v_fma_f64 v[43:44], v[13:14], v[1:2], -v[49:50]
	v_fma_f64 v[45:46], v[15:16], v[1:2], v[3:4]
	v_fma_f64 v[23:24], v[23:24], v[33:34], -v[39:40]
	v_fma_f64 v[25:26], v[25:26], v[33:34], v[41:42]
	v_add_f64 v[31:32], v[31:32], v[27:28]
	v_add_f64 v[47:48], v[37:38], v[29:30]
	ds_load_b128 v[1:4], v19 offset:3584
	ds_load_b128 v[13:16], v21 offset:224
	;; [unrolled: 1-line block ×4, first 2 shown]
	s_waitcnt lgkmcnt(0)
	s_barrier
	buffer_gl0_inv
	v_mul_f64 v[49:50], v[15:16], v[3:4]
	v_mul_f64 v[3:4], v[13:14], v[3:4]
	;; [unrolled: 1-line block ×4, first 2 shown]
	v_add_f64 v[31:32], v[31:32], v[43:44]
	v_add_f64 v[33:34], v[47:48], v[45:46]
	v_fma_f64 v[13:14], v[13:14], v[1:2], -v[49:50]
	v_fma_f64 v[1:2], v[15:16], v[1:2], v[3:4]
	s_delay_alu instid0(VALU_DEP_4) | instskip(NEXT) | instid1(VALU_DEP_4)
	v_add_f64 v[3:4], v[31:32], v[23:24]
	v_add_f64 v[15:16], v[33:34], v[25:26]
	v_fma_f64 v[23:24], v[27:28], v[35:36], -v[39:40]
	v_fma_f64 v[25:26], v[29:30], v[35:36], v[37:38]
	s_delay_alu instid0(VALU_DEP_4) | instskip(NEXT) | instid1(VALU_DEP_4)
	v_add_f64 v[3:4], v[3:4], v[13:14]
	v_add_f64 v[1:2], v[15:16], v[1:2]
	s_delay_alu instid0(VALU_DEP_2) | instskip(NEXT) | instid1(VALU_DEP_2)
	v_add_f64 v[15:16], v[3:4], v[23:24]
	v_add_f64 v[13:14], v[1:2], v[25:26]
	s_cbranch_vccnz .LBB1207_9
.LBB1207_3:                             ; =>This Inner Loop Header: Depth=1
	v_add_co_u32 v1, s11, v18, s8
	s_delay_alu instid0(VALU_DEP_1) | instskip(NEXT) | instid1(VALU_DEP_1)
	v_add_co_ci_u32_e64 v2, null, 0, s9, s11
	v_cmp_le_i64_e32 vcc_lo, s[16:17], v[1:2]
	s_or_b32 s11, s3, vcc_lo
	s_delay_alu instid0(SALU_CYCLE_1) | instskip(NEXT) | instid1(SALU_CYCLE_1)
	s_and_saveexec_b32 s12, s11
	s_xor_b32 s11, exec_lo, s12
	s_cbranch_execz .LBB1207_5
; %bb.4:                                ;   in Loop: Header=BB1207_3 Depth=1
	v_mov_b32_e32 v1, v0
	v_mov_b32_e32 v2, v0
	;; [unrolled: 1-line block ×3, first 2 shown]
	ds_store_b128 v20, v[0:3]
.LBB1207_5:                             ;   in Loop: Header=BB1207_3 Depth=1
	s_and_not1_saveexec_b32 s11, s11
	s_cbranch_execz .LBB1207_7
; %bb.6:                                ;   in Loop: Header=BB1207_3 Depth=1
	global_load_b128 v[1:4], v[11:12], off
	s_waitcnt vmcnt(0)
	ds_store_2addr_b64 v20, v[1:2], v[3:4] offset1:1
.LBB1207_7:                             ;   in Loop: Header=BB1207_3 Depth=1
	s_or_b32 exec_lo, exec_lo, s11
	v_add_co_u32 v3, s11, v17, s8
	s_delay_alu instid0(VALU_DEP_1) | instskip(SKIP_2) | instid1(VALU_DEP_3)
	v_add_co_ci_u32_e64 v4, null, 0, s9, s11
	v_mov_b32_e32 v1, 0
	v_mov_b32_e32 v2, 0
	v_cmp_gt_i64_e32 vcc_lo, s[16:17], v[3:4]
	s_delay_alu instid0(VALU_DEP_2) | instskip(SKIP_1) | instid1(SALU_CYCLE_1)
	v_dual_mov_b32 v4, v2 :: v_dual_mov_b32 v3, v1
	s_and_b32 s12, s2, vcc_lo
	s_and_saveexec_b32 s11, s12
	s_cbranch_execz .LBB1207_2
; %bb.8:                                ;   in Loop: Header=BB1207_3 Depth=1
	global_load_b128 v[1:4], v[9:10], off offset:-8
	s_branch .LBB1207_2
.LBB1207_9:
	v_cmp_le_i32_e32 vcc_lo, v7, v5
	v_cmp_gt_i32_e64 s2, s10, v5
	s_delay_alu instid0(VALU_DEP_1) | instskip(NEXT) | instid1(SALU_CYCLE_1)
	s_and_b32 s2, vcc_lo, s2
	s_and_saveexec_b32 s3, s2
	s_cbranch_execz .LBB1207_11
; %bb.10:
	s_delay_alu instid0(VALU_DEP_3)
	v_mul_f64 v[0:1], s[20:21], v[13:14]
	v_mul_f64 v[2:3], s[18:19], v[13:14]
	s_clause 0x1
	s_load_b128 s[4:7], s[0:1], 0x60
	s_load_b64 s[0:1], s[0:1], 0x70
	s_waitcnt lgkmcnt(0)
	v_mul_lo_u32 v4, v7, s7
	v_mul_lo_u32 v10, v8, s6
	v_mad_u64_u32 v[8:9], null, v7, s6, 0
	s_mul_i32 s1, s15, s1
	s_mul_hi_u32 s2, s15, s0
	s_mul_i32 s0, s15, s0
	s_add_i32 s1, s2, s1
	s_delay_alu instid0(SALU_CYCLE_1) | instskip(NEXT) | instid1(VALU_DEP_1)
	s_lshl_b64 s[0:1], s[0:1], 4
	v_add3_u32 v9, v9, v4, v10
	s_add_u32 s0, s4, s0
	v_lshlrev_b64 v[4:5], 4, v[5:6]
	s_addc_u32 s1, s5, s1
	s_delay_alu instid0(VALU_DEP_2) | instskip(SKIP_2) | instid1(VALU_DEP_3)
	v_lshlrev_b64 v[7:8], 4, v[8:9]
	v_fma_f64 v[0:1], s[18:19], v[15:16], -v[0:1]
	v_fma_f64 v[2:3], s[20:21], v[15:16], v[2:3]
	v_add_co_u32 v6, vcc_lo, s0, v7
	s_delay_alu instid0(VALU_DEP_4) | instskip(NEXT) | instid1(VALU_DEP_2)
	v_add_co_ci_u32_e32 v7, vcc_lo, s1, v8, vcc_lo
	v_add_co_u32 v4, vcc_lo, v6, v4
	s_delay_alu instid0(VALU_DEP_2)
	v_add_co_ci_u32_e32 v5, vcc_lo, v7, v5, vcc_lo
	global_store_b128 v[4:5], v[0:3], off
.LBB1207_11:
	s_nop 0
	s_sendmsg sendmsg(MSG_DEALLOC_VGPRS)
	s_endpgm
	.section	.rodata,"a",@progbits
	.p2align	6, 0x0
	.amdhsa_kernel _ZL32rocblas_syrkx_herkx_small_kernelIl19rocblas_complex_numIdELi16ELb1ELb0ELc78ELc76EKS1_S1_EviT_T0_PT6_S3_lS6_S3_lS4_PT7_S3_li
		.amdhsa_group_segment_fixed_size 8192
		.amdhsa_private_segment_fixed_size 0
		.amdhsa_kernarg_size 124
		.amdhsa_user_sgpr_count 13
		.amdhsa_user_sgpr_dispatch_ptr 0
		.amdhsa_user_sgpr_queue_ptr 0
		.amdhsa_user_sgpr_kernarg_segment_ptr 1
		.amdhsa_user_sgpr_dispatch_id 0
		.amdhsa_user_sgpr_private_segment_size 0
		.amdhsa_wavefront_size32 1
		.amdhsa_uses_dynamic_stack 0
		.amdhsa_enable_private_segment 0
		.amdhsa_system_sgpr_workgroup_id_x 1
		.amdhsa_system_sgpr_workgroup_id_y 1
		.amdhsa_system_sgpr_workgroup_id_z 1
		.amdhsa_system_sgpr_workgroup_info 0
		.amdhsa_system_vgpr_workitem_id 1
		.amdhsa_next_free_vgpr 51
		.amdhsa_next_free_sgpr 32
		.amdhsa_reserve_vcc 1
		.amdhsa_float_round_mode_32 0
		.amdhsa_float_round_mode_16_64 0
		.amdhsa_float_denorm_mode_32 3
		.amdhsa_float_denorm_mode_16_64 3
		.amdhsa_dx10_clamp 1
		.amdhsa_ieee_mode 1
		.amdhsa_fp16_overflow 0
		.amdhsa_workgroup_processor_mode 1
		.amdhsa_memory_ordered 1
		.amdhsa_forward_progress 0
		.amdhsa_shared_vgpr_count 0
		.amdhsa_exception_fp_ieee_invalid_op 0
		.amdhsa_exception_fp_denorm_src 0
		.amdhsa_exception_fp_ieee_div_zero 0
		.amdhsa_exception_fp_ieee_overflow 0
		.amdhsa_exception_fp_ieee_underflow 0
		.amdhsa_exception_fp_ieee_inexact 0
		.amdhsa_exception_int_div_zero 0
	.end_amdhsa_kernel
	.section	.text._ZL32rocblas_syrkx_herkx_small_kernelIl19rocblas_complex_numIdELi16ELb1ELb0ELc78ELc76EKS1_S1_EviT_T0_PT6_S3_lS6_S3_lS4_PT7_S3_li,"axG",@progbits,_ZL32rocblas_syrkx_herkx_small_kernelIl19rocblas_complex_numIdELi16ELb1ELb0ELc78ELc76EKS1_S1_EviT_T0_PT6_S3_lS6_S3_lS4_PT7_S3_li,comdat
.Lfunc_end1207:
	.size	_ZL32rocblas_syrkx_herkx_small_kernelIl19rocblas_complex_numIdELi16ELb1ELb0ELc78ELc76EKS1_S1_EviT_T0_PT6_S3_lS6_S3_lS4_PT7_S3_li, .Lfunc_end1207-_ZL32rocblas_syrkx_herkx_small_kernelIl19rocblas_complex_numIdELi16ELb1ELb0ELc78ELc76EKS1_S1_EviT_T0_PT6_S3_lS6_S3_lS4_PT7_S3_li
                                        ; -- End function
	.section	.AMDGPU.csdata,"",@progbits
; Kernel info:
; codeLenInByte = 2008
; NumSgprs: 34
; NumVgprs: 51
; ScratchSize: 0
; MemoryBound: 1
; FloatMode: 240
; IeeeMode: 1
; LDSByteSize: 8192 bytes/workgroup (compile time only)
; SGPRBlocks: 4
; VGPRBlocks: 6
; NumSGPRsForWavesPerEU: 34
; NumVGPRsForWavesPerEU: 51
; Occupancy: 16
; WaveLimiterHint : 0
; COMPUTE_PGM_RSRC2:SCRATCH_EN: 0
; COMPUTE_PGM_RSRC2:USER_SGPR: 13
; COMPUTE_PGM_RSRC2:TRAP_HANDLER: 0
; COMPUTE_PGM_RSRC2:TGID_X_EN: 1
; COMPUTE_PGM_RSRC2:TGID_Y_EN: 1
; COMPUTE_PGM_RSRC2:TGID_Z_EN: 1
; COMPUTE_PGM_RSRC2:TIDIG_COMP_CNT: 1
	.section	.text._ZL32rocblas_syrkx_herkx_small_kernelIl19rocblas_complex_numIdELi16ELb1ELb0ELc84ELc85EKS1_S1_EviT_T0_PT6_S3_lS6_S3_lS4_PT7_S3_li,"axG",@progbits,_ZL32rocblas_syrkx_herkx_small_kernelIl19rocblas_complex_numIdELi16ELb1ELb0ELc84ELc85EKS1_S1_EviT_T0_PT6_S3_lS6_S3_lS4_PT7_S3_li,comdat
	.globl	_ZL32rocblas_syrkx_herkx_small_kernelIl19rocblas_complex_numIdELi16ELb1ELb0ELc84ELc85EKS1_S1_EviT_T0_PT6_S3_lS6_S3_lS4_PT7_S3_li ; -- Begin function _ZL32rocblas_syrkx_herkx_small_kernelIl19rocblas_complex_numIdELi16ELb1ELb0ELc84ELc85EKS1_S1_EviT_T0_PT6_S3_lS6_S3_lS4_PT7_S3_li
	.p2align	8
	.type	_ZL32rocblas_syrkx_herkx_small_kernelIl19rocblas_complex_numIdELi16ELb1ELb0ELc84ELc85EKS1_S1_EviT_T0_PT6_S3_lS6_S3_lS4_PT7_S3_li,@function
_ZL32rocblas_syrkx_herkx_small_kernelIl19rocblas_complex_numIdELi16ELb1ELb0ELc84ELc85EKS1_S1_EviT_T0_PT6_S3_lS6_S3_lS4_PT7_S3_li: ; @_ZL32rocblas_syrkx_herkx_small_kernelIl19rocblas_complex_numIdELi16ELb1ELb0ELc84ELc85EKS1_S1_EviT_T0_PT6_S3_lS6_S3_lS4_PT7_S3_li
; %bb.0:
	s_clause 0x1
	s_load_b512 s[16:31], s[0:1], 0x8
	s_load_b32 s6, s[0:1], 0x0
	v_and_b32_e32 v16, 0x3ff, v0
	v_bfe_u32 v17, v0, 10, 10
	v_mov_b32_e32 v10, 0
	v_mov_b32_e32 v11, 0
	s_delay_alu instid0(VALU_DEP_4) | instskip(NEXT) | instid1(VALU_DEP_4)
	v_lshl_add_u32 v4, s13, 4, v16
	v_lshl_add_u32 v14, s14, 4, v17
	s_delay_alu instid0(VALU_DEP_3) | instskip(NEXT) | instid1(VALU_DEP_3)
	v_dual_mov_b32 v13, v11 :: v_dual_mov_b32 v12, v10
	v_ashrrev_i32_e32 v5, 31, v4
	s_delay_alu instid0(VALU_DEP_3) | instskip(SKIP_3) | instid1(VALU_DEP_2)
	v_ashrrev_i32_e32 v15, 31, v14
	s_waitcnt lgkmcnt(0)
	v_cmp_lt_i64_e64 s3, s[16:17], 1
	v_cmp_gt_i32_e64 s2, s6, v14
	s_and_b32 vcc_lo, exec_lo, s3
	s_cbranch_vccnz .LBB1208_11
; %bb.1:
	s_load_b64 s[4:5], s[0:1], 0x48
	v_mul_lo_u32 v8, s31, v14
	v_mul_lo_u32 v9, s30, v15
	v_mad_u64_u32 v[1:2], null, s30, v14, 0
	v_mul_lo_u32 v10, s25, v4
	v_mul_lo_u32 v11, s24, v5
	v_mad_u64_u32 v[6:7], null, s24, v4, 0
	v_dual_mov_b32 v0, 0 :: v_dual_lshlrev_b32 v3, 8, v17
	v_add3_u32 v2, v2, v9, v8
	s_mul_i32 s3, s27, s15
	v_lshlrev_b32_e32 v18, 4, v16
	s_mul_i32 s8, s26, s15
	s_delay_alu instid0(VALU_DEP_4)
	v_add3_u32 v7, v7, v11, v10
	v_lshlrev_b64 v[1:2], 4, v[1:2]
	v_dual_mov_b32 v10, 0 :: v_dual_add_nc_u32 v19, 0x1000, v3
	v_mov_b32_e32 v11, 0
	s_waitcnt lgkmcnt(0)
	s_mul_i32 s5, s5, s15
	s_mul_hi_u32 s7, s4, s15
	s_mul_i32 s4, s4, s15
	s_add_i32 s5, s7, s5
	s_mul_hi_u32 s7, s26, s15
	s_lshl_b64 s[4:5], s[4:5], 4
	v_lshlrev_b64 v[6:7], 4, v[6:7]
	s_add_i32 s9, s7, s3
	v_add_co_u32 v1, s3, v1, s4
	s_delay_alu instid0(VALU_DEP_1) | instskip(SKIP_3) | instid1(VALU_DEP_1)
	v_add_co_ci_u32_e64 v2, s3, s5, v2, s3
	s_lshl_b64 s[4:5], s[8:9], 4
	v_dual_mov_b32 v13, v11 :: v_dual_add_nc_u32 v20, v18, v3
	v_add_co_u32 v3, s3, v6, s4
	v_add_co_ci_u32_e64 v6, s3, s5, v7, s3
	v_lshlrev_b32_e32 v7, 4, v17
	v_add_co_u32 v1, s3, v1, v18
	s_delay_alu instid0(VALU_DEP_1) | instskip(NEXT) | instid1(VALU_DEP_3)
	v_add_co_ci_u32_e64 v2, s3, 0, v2, s3
	v_add_co_u32 v3, s3, v3, v7
	s_delay_alu instid0(VALU_DEP_1) | instskip(NEXT) | instid1(VALU_DEP_4)
	v_add_co_ci_u32_e64 v9, s3, 0, v6, s3
	v_add_co_u32 v6, s3, s28, v1
	s_delay_alu instid0(VALU_DEP_1)
	v_add_co_ci_u32_e64 v7, s3, s29, v2, s3
	v_cmp_gt_i32_e32 vcc_lo, s6, v4
	v_add_co_u32 v8, s3, s22, v3
	v_dual_mov_b32 v12, v10 :: v_dual_add_nc_u32 v21, v19, v18
	v_add_co_ci_u32_e64 v9, s3, s23, v9, s3
	s_mov_b64 s[4:5], 0
	s_xor_b32 s3, vcc_lo, -1
	s_xor_b32 s2, s2, -1
	s_branch .LBB1208_3
.LBB1208_2:                             ;   in Loop: Header=BB1208_3 Depth=1
	s_or_b32 exec_lo, exec_lo, s7
	s_waitcnt lgkmcnt(0)
	s_barrier
	buffer_gl0_inv
	ds_load_b128 v[22:25], v18
	ds_load_b128 v[26:29], v19
	ds_load_b128 v[30:33], v19 offset:16
	ds_load_b128 v[34:37], v18 offset:256
	s_add_u32 s4, s4, 16
	s_addc_u32 s5, s5, 0
	v_add_co_u32 v6, vcc_lo, 0x100, v6
	v_cmp_ge_i64_e64 s7, s[4:5], s[16:17]
	v_add_co_ci_u32_e32 v7, vcc_lo, 0, v7, vcc_lo
	v_add_co_u32 v8, vcc_lo, 0x100, v8
	v_add_co_ci_u32_e32 v9, vcc_lo, 0, v9, vcc_lo
	s_delay_alu instid0(VALU_DEP_4)
	s_and_b32 vcc_lo, exec_lo, s7
	s_waitcnt lgkmcnt(2)
	v_mul_f64 v[1:2], v[28:29], v[24:25]
	v_mul_f64 v[24:25], v[26:27], v[24:25]
	s_waitcnt lgkmcnt(0)
	v_mul_f64 v[44:45], v[32:33], v[36:37]
	v_mul_f64 v[46:47], v[30:31], v[36:37]
	s_delay_alu instid0(VALU_DEP_4) | instskip(NEXT) | instid1(VALU_DEP_4)
	v_fma_f64 v[1:2], v[26:27], v[22:23], -v[1:2]
	v_fma_f64 v[48:49], v[28:29], v[22:23], v[24:25]
	ds_load_b128 v[22:25], v18 offset:512
	ds_load_b128 v[26:29], v19 offset:32
	;; [unrolled: 1-line block ×4, first 2 shown]
	v_fma_f64 v[30:31], v[30:31], v[34:35], -v[44:45]
	v_fma_f64 v[32:33], v[32:33], v[34:35], v[46:47]
	s_waitcnt lgkmcnt(2)
	v_mul_f64 v[50:51], v[28:29], v[24:25]
	v_mul_f64 v[24:25], v[26:27], v[24:25]
	s_waitcnt lgkmcnt(0)
	v_mul_f64 v[34:35], v[38:39], v[42:43]
	v_mul_f64 v[42:43], v[36:37], v[42:43]
	v_add_f64 v[1:2], v[12:13], v[1:2]
	v_add_f64 v[10:11], v[10:11], v[48:49]
	v_fma_f64 v[44:45], v[26:27], v[22:23], -v[50:51]
	v_fma_f64 v[46:47], v[28:29], v[22:23], v[24:25]
	v_fma_f64 v[34:35], v[36:37], v[40:41], -v[34:35]
	v_fma_f64 v[36:37], v[38:39], v[40:41], v[42:43]
	v_add_f64 v[1:2], v[1:2], v[30:31]
	v_add_f64 v[48:49], v[10:11], v[32:33]
	ds_load_b128 v[10:13], v18 offset:1024
	ds_load_b128 v[22:25], v19 offset:64
	;; [unrolled: 1-line block ×4, first 2 shown]
	s_waitcnt lgkmcnt(2)
	v_mul_f64 v[50:51], v[24:25], v[12:13]
	v_mul_f64 v[12:13], v[22:23], v[12:13]
	s_waitcnt lgkmcnt(0)
	v_mul_f64 v[40:41], v[28:29], v[32:33]
	v_mul_f64 v[42:43], v[26:27], v[32:33]
	v_add_f64 v[1:2], v[1:2], v[44:45]
	v_add_f64 v[38:39], v[48:49], v[46:47]
	v_fma_f64 v[44:45], v[22:23], v[10:11], -v[50:51]
	v_fma_f64 v[46:47], v[24:25], v[10:11], v[12:13]
	v_fma_f64 v[26:27], v[26:27], v[30:31], -v[40:41]
	v_fma_f64 v[28:29], v[28:29], v[30:31], v[42:43]
	v_add_f64 v[1:2], v[1:2], v[34:35]
	v_add_f64 v[48:49], v[38:39], v[36:37]
	ds_load_b128 v[10:13], v18 offset:1536
	ds_load_b128 v[22:25], v19 offset:96
	;; [unrolled: 1-line block ×4, first 2 shown]
	s_waitcnt lgkmcnt(2)
	v_mul_f64 v[50:51], v[24:25], v[12:13]
	v_mul_f64 v[12:13], v[22:23], v[12:13]
	s_waitcnt lgkmcnt(0)
	v_mul_f64 v[42:43], v[34:35], v[38:39]
	v_add_f64 v[1:2], v[1:2], v[44:45]
	v_add_f64 v[30:31], v[48:49], v[46:47]
	v_mul_f64 v[44:45], v[32:33], v[38:39]
	v_fma_f64 v[46:47], v[22:23], v[10:11], -v[50:51]
	v_fma_f64 v[48:49], v[24:25], v[10:11], v[12:13]
	v_fma_f64 v[32:33], v[32:33], v[36:37], -v[42:43]
	v_add_f64 v[1:2], v[1:2], v[26:27]
	v_add_f64 v[30:31], v[30:31], v[28:29]
	ds_load_b128 v[10:13], v18 offset:2048
	ds_load_b128 v[22:25], v19 offset:128
	;; [unrolled: 1-line block ×4, first 2 shown]
	v_fma_f64 v[34:35], v[34:35], v[36:37], v[44:45]
	s_waitcnt lgkmcnt(2)
	v_mul_f64 v[50:51], v[24:25], v[12:13]
	v_mul_f64 v[12:13], v[22:23], v[12:13]
	s_waitcnt lgkmcnt(0)
	v_mul_f64 v[42:43], v[28:29], v[40:41]
	v_mul_f64 v[40:41], v[26:27], v[40:41]
	v_add_f64 v[1:2], v[1:2], v[46:47]
	v_add_f64 v[30:31], v[30:31], v[48:49]
	v_fma_f64 v[44:45], v[22:23], v[10:11], -v[50:51]
	v_fma_f64 v[46:47], v[24:25], v[10:11], v[12:13]
	v_fma_f64 v[26:27], v[26:27], v[38:39], -v[42:43]
	v_fma_f64 v[28:29], v[28:29], v[38:39], v[40:41]
	v_add_f64 v[1:2], v[1:2], v[32:33]
	v_add_f64 v[48:49], v[30:31], v[34:35]
	ds_load_b128 v[10:13], v18 offset:2560
	ds_load_b128 v[22:25], v19 offset:160
	;; [unrolled: 1-line block ×4, first 2 shown]
	s_waitcnt lgkmcnt(2)
	v_mul_f64 v[50:51], v[24:25], v[12:13]
	v_mul_f64 v[12:13], v[22:23], v[12:13]
	s_waitcnt lgkmcnt(0)
	v_mul_f64 v[40:41], v[32:33], v[36:37]
	v_mul_f64 v[42:43], v[30:31], v[36:37]
	v_add_f64 v[1:2], v[1:2], v[44:45]
	v_add_f64 v[38:39], v[48:49], v[46:47]
	v_fma_f64 v[44:45], v[22:23], v[10:11], -v[50:51]
	v_fma_f64 v[46:47], v[24:25], v[10:11], v[12:13]
	v_fma_f64 v[30:31], v[30:31], v[34:35], -v[40:41]
	v_fma_f64 v[32:33], v[32:33], v[34:35], v[42:43]
	v_add_f64 v[1:2], v[1:2], v[26:27]
	v_add_f64 v[48:49], v[38:39], v[28:29]
	ds_load_b128 v[10:13], v18 offset:3072
	ds_load_b128 v[22:25], v19 offset:192
	ds_load_b128 v[26:29], v19 offset:208
	ds_load_b128 v[36:39], v18 offset:3328
	s_waitcnt lgkmcnt(2)
	v_mul_f64 v[50:51], v[24:25], v[12:13]
	v_mul_f64 v[12:13], v[22:23], v[12:13]
	s_waitcnt lgkmcnt(0)
	v_mul_f64 v[42:43], v[28:29], v[38:39]
	v_add_f64 v[1:2], v[1:2], v[44:45]
	v_add_f64 v[34:35], v[48:49], v[46:47]
	v_mul_f64 v[44:45], v[26:27], v[38:39]
	v_fma_f64 v[46:47], v[22:23], v[10:11], -v[50:51]
	v_fma_f64 v[48:49], v[24:25], v[10:11], v[12:13]
	v_fma_f64 v[26:27], v[26:27], v[36:37], -v[42:43]
	v_add_f64 v[1:2], v[1:2], v[30:31]
	v_add_f64 v[34:35], v[34:35], v[32:33]
	ds_load_b128 v[10:13], v18 offset:3584
	ds_load_b128 v[22:25], v19 offset:224
	;; [unrolled: 1-line block ×4, first 2 shown]
	v_fma_f64 v[28:29], v[28:29], v[36:37], v[44:45]
	s_waitcnt lgkmcnt(0)
	s_barrier
	buffer_gl0_inv
	v_mul_f64 v[50:51], v[24:25], v[12:13]
	v_mul_f64 v[12:13], v[22:23], v[12:13]
	v_mul_f64 v[36:37], v[32:33], v[40:41]
	v_mul_f64 v[40:41], v[30:31], v[40:41]
	v_add_f64 v[1:2], v[1:2], v[46:47]
	v_add_f64 v[34:35], v[34:35], v[48:49]
	v_fma_f64 v[22:23], v[22:23], v[10:11], -v[50:51]
	v_fma_f64 v[10:11], v[24:25], v[10:11], v[12:13]
	v_fma_f64 v[24:25], v[30:31], v[38:39], -v[36:37]
	v_add_f64 v[1:2], v[1:2], v[26:27]
	v_add_f64 v[12:13], v[34:35], v[28:29]
	v_fma_f64 v[26:27], v[32:33], v[38:39], v[40:41]
	s_delay_alu instid0(VALU_DEP_3) | instskip(NEXT) | instid1(VALU_DEP_3)
	v_add_f64 v[1:2], v[1:2], v[22:23]
	v_add_f64 v[10:11], v[12:13], v[10:11]
	s_delay_alu instid0(VALU_DEP_2) | instskip(NEXT) | instid1(VALU_DEP_2)
	v_add_f64 v[12:13], v[1:2], v[24:25]
	v_add_f64 v[10:11], v[10:11], v[26:27]
	s_cbranch_vccnz .LBB1208_11
.LBB1208_3:                             ; =>This Inner Loop Header: Depth=1
	v_add_co_u32 v1, s7, v17, s4
	s_delay_alu instid0(VALU_DEP_1) | instskip(NEXT) | instid1(VALU_DEP_1)
	v_add_co_ci_u32_e64 v2, null, 0, s5, s7
	v_cmp_le_i64_e32 vcc_lo, s[16:17], v[1:2]
	s_or_b32 s7, s3, vcc_lo
	s_delay_alu instid0(SALU_CYCLE_1) | instskip(NEXT) | instid1(SALU_CYCLE_1)
	s_and_saveexec_b32 s8, s7
	s_xor_b32 s7, exec_lo, s8
	s_cbranch_execz .LBB1208_5
; %bb.4:                                ;   in Loop: Header=BB1208_3 Depth=1
	v_mov_b32_e32 v1, v0
	v_mov_b32_e32 v2, v0
	;; [unrolled: 1-line block ×3, first 2 shown]
	ds_store_b128 v20, v[0:3]
.LBB1208_5:                             ;   in Loop: Header=BB1208_3 Depth=1
	s_and_not1_saveexec_b32 s7, s7
	s_cbranch_execz .LBB1208_7
; %bb.6:                                ;   in Loop: Header=BB1208_3 Depth=1
	global_load_b128 v[22:25], v[8:9], off
	s_waitcnt vmcnt(0)
	ds_store_2addr_b64 v20, v[22:23], v[24:25] offset1:1
.LBB1208_7:                             ;   in Loop: Header=BB1208_3 Depth=1
	s_or_b32 exec_lo, exec_lo, s7
	v_add_co_u32 v1, s7, v16, s4
	s_delay_alu instid0(VALU_DEP_1) | instskip(NEXT) | instid1(VALU_DEP_1)
	v_add_co_ci_u32_e64 v2, null, 0, s5, s7
	v_cmp_le_i64_e32 vcc_lo, s[16:17], v[1:2]
	s_or_b32 s7, s2, vcc_lo
	s_delay_alu instid0(SALU_CYCLE_1) | instskip(NEXT) | instid1(SALU_CYCLE_1)
	s_and_saveexec_b32 s8, s7
	s_xor_b32 s7, exec_lo, s8
	s_cbranch_execz .LBB1208_9
; %bb.8:                                ;   in Loop: Header=BB1208_3 Depth=1
	v_mov_b32_e32 v1, v0
	v_mov_b32_e32 v2, v0
	;; [unrolled: 1-line block ×3, first 2 shown]
	ds_store_b128 v21, v[0:3]
.LBB1208_9:                             ;   in Loop: Header=BB1208_3 Depth=1
	s_and_not1_saveexec_b32 s7, s7
	s_cbranch_execz .LBB1208_2
; %bb.10:                               ;   in Loop: Header=BB1208_3 Depth=1
	global_load_b128 v[22:25], v[6:7], off
	s_waitcnt vmcnt(0)
	ds_store_2addr_b64 v21, v[22:23], v[24:25] offset1:1
	s_branch .LBB1208_2
.LBB1208_11:
	v_cmp_le_i32_e32 vcc_lo, v4, v14
	v_cmp_gt_i32_e64 s2, s6, v14
	s_delay_alu instid0(VALU_DEP_1) | instskip(NEXT) | instid1(SALU_CYCLE_1)
	s_and_b32 s2, vcc_lo, s2
	s_and_saveexec_b32 s3, s2
	s_cbranch_execz .LBB1208_13
; %bb.12:
	s_delay_alu instid0(VALU_DEP_3)
	v_mul_f64 v[0:1], s[20:21], v[10:11]
	v_mul_f64 v[2:3], s[18:19], v[10:11]
	s_clause 0x1
	s_load_b128 s[4:7], s[0:1], 0x60
	s_load_b64 s[0:1], s[0:1], 0x70
	v_lshlrev_b64 v[4:5], 4, v[4:5]
	s_waitcnt lgkmcnt(0)
	v_mul_lo_u32 v8, v14, s7
	v_mul_lo_u32 v9, v15, s6
	v_mad_u64_u32 v[6:7], null, v14, s6, 0
	s_mul_i32 s1, s15, s1
	s_mul_hi_u32 s2, s15, s0
	s_mul_i32 s0, s15, s0
	s_add_i32 s1, s2, s1
	s_delay_alu instid0(SALU_CYCLE_1) | instskip(NEXT) | instid1(VALU_DEP_1)
	s_lshl_b64 s[0:1], s[0:1], 4
	v_add3_u32 v7, v7, v8, v9
	s_add_u32 s0, s4, s0
	s_addc_u32 s1, s5, s1
	s_delay_alu instid0(VALU_DEP_1) | instskip(SKIP_2) | instid1(VALU_DEP_3)
	v_lshlrev_b64 v[6:7], 4, v[6:7]
	v_fma_f64 v[0:1], s[18:19], v[12:13], -v[0:1]
	v_fma_f64 v[2:3], s[20:21], v[12:13], v[2:3]
	v_add_co_u32 v6, vcc_lo, s0, v6
	s_delay_alu instid0(VALU_DEP_4) | instskip(NEXT) | instid1(VALU_DEP_2)
	v_add_co_ci_u32_e32 v7, vcc_lo, s1, v7, vcc_lo
	v_add_co_u32 v4, vcc_lo, v6, v4
	s_delay_alu instid0(VALU_DEP_2)
	v_add_co_ci_u32_e32 v5, vcc_lo, v7, v5, vcc_lo
	global_store_b128 v[4:5], v[0:3], off
.LBB1208_13:
	s_nop 0
	s_sendmsg sendmsg(MSG_DEALLOC_VGPRS)
	s_endpgm
	.section	.rodata,"a",@progbits
	.p2align	6, 0x0
	.amdhsa_kernel _ZL32rocblas_syrkx_herkx_small_kernelIl19rocblas_complex_numIdELi16ELb1ELb0ELc84ELc85EKS1_S1_EviT_T0_PT6_S3_lS6_S3_lS4_PT7_S3_li
		.amdhsa_group_segment_fixed_size 8192
		.amdhsa_private_segment_fixed_size 0
		.amdhsa_kernarg_size 124
		.amdhsa_user_sgpr_count 13
		.amdhsa_user_sgpr_dispatch_ptr 0
		.amdhsa_user_sgpr_queue_ptr 0
		.amdhsa_user_sgpr_kernarg_segment_ptr 1
		.amdhsa_user_sgpr_dispatch_id 0
		.amdhsa_user_sgpr_private_segment_size 0
		.amdhsa_wavefront_size32 1
		.amdhsa_uses_dynamic_stack 0
		.amdhsa_enable_private_segment 0
		.amdhsa_system_sgpr_workgroup_id_x 1
		.amdhsa_system_sgpr_workgroup_id_y 1
		.amdhsa_system_sgpr_workgroup_id_z 1
		.amdhsa_system_sgpr_workgroup_info 0
		.amdhsa_system_vgpr_workitem_id 1
		.amdhsa_next_free_vgpr 52
		.amdhsa_next_free_sgpr 32
		.amdhsa_reserve_vcc 1
		.amdhsa_float_round_mode_32 0
		.amdhsa_float_round_mode_16_64 0
		.amdhsa_float_denorm_mode_32 3
		.amdhsa_float_denorm_mode_16_64 3
		.amdhsa_dx10_clamp 1
		.amdhsa_ieee_mode 1
		.amdhsa_fp16_overflow 0
		.amdhsa_workgroup_processor_mode 1
		.amdhsa_memory_ordered 1
		.amdhsa_forward_progress 0
		.amdhsa_shared_vgpr_count 0
		.amdhsa_exception_fp_ieee_invalid_op 0
		.amdhsa_exception_fp_denorm_src 0
		.amdhsa_exception_fp_ieee_div_zero 0
		.amdhsa_exception_fp_ieee_overflow 0
		.amdhsa_exception_fp_ieee_underflow 0
		.amdhsa_exception_fp_ieee_inexact 0
		.amdhsa_exception_int_div_zero 0
	.end_amdhsa_kernel
	.section	.text._ZL32rocblas_syrkx_herkx_small_kernelIl19rocblas_complex_numIdELi16ELb1ELb0ELc84ELc85EKS1_S1_EviT_T0_PT6_S3_lS6_S3_lS4_PT7_S3_li,"axG",@progbits,_ZL32rocblas_syrkx_herkx_small_kernelIl19rocblas_complex_numIdELi16ELb1ELb0ELc84ELc85EKS1_S1_EviT_T0_PT6_S3_lS6_S3_lS4_PT7_S3_li,comdat
.Lfunc_end1208:
	.size	_ZL32rocblas_syrkx_herkx_small_kernelIl19rocblas_complex_numIdELi16ELb1ELb0ELc84ELc85EKS1_S1_EviT_T0_PT6_S3_lS6_S3_lS4_PT7_S3_li, .Lfunc_end1208-_ZL32rocblas_syrkx_herkx_small_kernelIl19rocblas_complex_numIdELi16ELb1ELb0ELc84ELc85EKS1_S1_EviT_T0_PT6_S3_lS6_S3_lS4_PT7_S3_li
                                        ; -- End function
	.section	.AMDGPU.csdata,"",@progbits
; Kernel info:
; codeLenInByte = 2036
; NumSgprs: 34
; NumVgprs: 52
; ScratchSize: 0
; MemoryBound: 0
; FloatMode: 240
; IeeeMode: 1
; LDSByteSize: 8192 bytes/workgroup (compile time only)
; SGPRBlocks: 4
; VGPRBlocks: 6
; NumSGPRsForWavesPerEU: 34
; NumVGPRsForWavesPerEU: 52
; Occupancy: 16
; WaveLimiterHint : 0
; COMPUTE_PGM_RSRC2:SCRATCH_EN: 0
; COMPUTE_PGM_RSRC2:USER_SGPR: 13
; COMPUTE_PGM_RSRC2:TRAP_HANDLER: 0
; COMPUTE_PGM_RSRC2:TGID_X_EN: 1
; COMPUTE_PGM_RSRC2:TGID_Y_EN: 1
; COMPUTE_PGM_RSRC2:TGID_Z_EN: 1
; COMPUTE_PGM_RSRC2:TIDIG_COMP_CNT: 1
	.section	.text._ZL32rocblas_syrkx_herkx_small_kernelIl19rocblas_complex_numIdELi16ELb1ELb0ELc67ELc85EKS1_S1_EviT_T0_PT6_S3_lS6_S3_lS4_PT7_S3_li,"axG",@progbits,_ZL32rocblas_syrkx_herkx_small_kernelIl19rocblas_complex_numIdELi16ELb1ELb0ELc67ELc85EKS1_S1_EviT_T0_PT6_S3_lS6_S3_lS4_PT7_S3_li,comdat
	.globl	_ZL32rocblas_syrkx_herkx_small_kernelIl19rocblas_complex_numIdELi16ELb1ELb0ELc67ELc85EKS1_S1_EviT_T0_PT6_S3_lS6_S3_lS4_PT7_S3_li ; -- Begin function _ZL32rocblas_syrkx_herkx_small_kernelIl19rocblas_complex_numIdELi16ELb1ELb0ELc67ELc85EKS1_S1_EviT_T0_PT6_S3_lS6_S3_lS4_PT7_S3_li
	.p2align	8
	.type	_ZL32rocblas_syrkx_herkx_small_kernelIl19rocblas_complex_numIdELi16ELb1ELb0ELc67ELc85EKS1_S1_EviT_T0_PT6_S3_lS6_S3_lS4_PT7_S3_li,@function
_ZL32rocblas_syrkx_herkx_small_kernelIl19rocblas_complex_numIdELi16ELb1ELb0ELc67ELc85EKS1_S1_EviT_T0_PT6_S3_lS6_S3_lS4_PT7_S3_li: ; @_ZL32rocblas_syrkx_herkx_small_kernelIl19rocblas_complex_numIdELi16ELb1ELb0ELc67ELc85EKS1_S1_EviT_T0_PT6_S3_lS6_S3_lS4_PT7_S3_li
; %bb.0:
	s_clause 0x1
	s_load_b512 s[16:31], s[0:1], 0x8
	s_load_b32 s6, s[0:1], 0x0
	v_and_b32_e32 v19, 0x3ff, v0
	v_bfe_u32 v20, v0, 10, 10
	v_mov_b32_e32 v13, 0
	v_mov_b32_e32 v14, 0
	s_delay_alu instid0(VALU_DEP_4) | instskip(NEXT) | instid1(VALU_DEP_4)
	v_lshl_add_u32 v5, s13, 4, v19
	v_lshl_add_u32 v17, s14, 4, v20
	s_delay_alu instid0(VALU_DEP_3) | instskip(NEXT) | instid1(VALU_DEP_3)
	v_dual_mov_b32 v16, v14 :: v_dual_mov_b32 v15, v13
	v_ashrrev_i32_e32 v6, 31, v5
	s_delay_alu instid0(VALU_DEP_3) | instskip(SKIP_3) | instid1(VALU_DEP_2)
	v_ashrrev_i32_e32 v18, 31, v17
	s_waitcnt lgkmcnt(0)
	v_cmp_lt_i64_e64 s2, s[16:17], 1
	v_cmp_gt_i32_e64 s3, s6, v17
	s_and_b32 vcc_lo, exec_lo, s2
	s_cbranch_vccnz .LBB1209_9
; %bb.1:
	s_load_b64 s[4:5], s[0:1], 0x48
	v_mul_lo_u32 v10, s25, v5
	v_mul_lo_u32 v11, s24, v6
	v_mad_u64_u32 v[3:4], null, s24, v5, 0
	v_mul_lo_u32 v8, s31, v17
	v_mul_lo_u32 v9, s30, v18
	v_mad_u64_u32 v[1:2], null, s30, v17, 0
	s_mul_hi_u32 s8, s26, s15
	v_dual_mov_b32 v0, 0 :: v_dual_lshlrev_b32 v7, 8, v20
	v_add3_u32 v4, v4, v11, v10
	v_lshlrev_b32_e32 v21, 4, v19
	v_cmp_gt_i32_e64 s2, s6, v5
	v_add3_u32 v2, v2, v9, v8
	v_add_nc_u32_e32 v22, 0x1000, v7
	v_lshlrev_b64 v[3:4], 4, v[3:4]
	v_add_nc_u32_e32 v23, v21, v7
	v_lshlrev_b32_e32 v7, 4, v20
	s_waitcnt lgkmcnt(0)
	s_mul_i32 s5, s5, s15
	s_mul_hi_u32 s7, s4, s15
	v_lshlrev_b64 v[1:2], 4, v[1:2]
	s_add_i32 s5, s7, s5
	s_mul_i32 s7, s27, s15
	s_mul_i32 s4, s4, s15
	s_add_i32 s9, s8, s7
	s_mul_i32 s8, s26, s15
	s_lshl_b64 s[4:5], s[4:5], 4
	s_lshl_b64 s[8:9], s[8:9], 4
	s_xor_b32 s3, s3, -1
	v_add_co_u32 v3, vcc_lo, v3, s8
	v_add_co_ci_u32_e32 v4, vcc_lo, s9, v4, vcc_lo
	v_add_co_u32 v1, vcc_lo, v1, s4
	v_add_co_ci_u32_e32 v2, vcc_lo, s5, v2, vcc_lo
	s_delay_alu instid0(VALU_DEP_4) | instskip(NEXT) | instid1(VALU_DEP_4)
	v_add_co_u32 v3, vcc_lo, v3, v7
	v_add_co_ci_u32_e32 v4, vcc_lo, 0, v4, vcc_lo
	v_mov_b32_e32 v7, 0
	v_mov_b32_e32 v8, 0
	v_add_co_u32 v1, vcc_lo, v1, v21
	v_add_co_ci_u32_e32 v2, vcc_lo, 0, v2, vcc_lo
	s_delay_alu instid0(VALU_DEP_3) | instskip(SKIP_4) | instid1(VALU_DEP_4)
	v_mov_b32_e32 v14, v8
	v_add_co_u32 v3, vcc_lo, v3, s22
	v_add_co_ci_u32_e32 v4, vcc_lo, s23, v4, vcc_lo
	v_add_co_u32 v9, vcc_lo, s28, v1
	v_add_co_ci_u32_e32 v10, vcc_lo, s29, v2, vcc_lo
	v_add_co_u32 v11, vcc_lo, v3, 8
	v_dual_mov_b32 v13, v7 :: v_dual_add_nc_u32 v24, v22, v21
	v_add_co_ci_u32_e32 v12, vcc_lo, 0, v4, vcc_lo
	v_dual_mov_b32 v16, v8 :: v_dual_mov_b32 v15, v7
	s_mov_b64 s[4:5], 0
	s_branch .LBB1209_3
.LBB1209_2:                             ;   in Loop: Header=BB1209_3 Depth=1
	s_or_b32 exec_lo, exec_lo, s7
	s_waitcnt lgkmcnt(0)
	s_barrier
	buffer_gl0_inv
	ds_load_b128 v[1:4], v21
	ds_load_b128 v[25:28], v22
	ds_load_b128 v[29:32], v22 offset:16
	ds_load_b128 v[33:36], v21 offset:256
	s_add_u32 s4, s4, 16
	s_addc_u32 s5, s5, 0
	v_add_co_u32 v9, vcc_lo, 0x100, v9
	v_cmp_ge_i64_e64 s7, s[4:5], s[16:17]
	v_add_co_ci_u32_e32 v10, vcc_lo, 0, v10, vcc_lo
	v_add_co_u32 v11, vcc_lo, 0x100, v11
	v_add_co_ci_u32_e32 v12, vcc_lo, 0, v12, vcc_lo
	s_delay_alu instid0(VALU_DEP_4)
	s_and_b32 vcc_lo, exec_lo, s7
	s_waitcnt lgkmcnt(2)
	v_mul_f64 v[37:38], v[27:28], v[3:4]
	v_mul_f64 v[3:4], v[25:26], v[3:4]
	s_waitcnt lgkmcnt(0)
	v_mul_f64 v[43:44], v[31:32], v[35:36]
	v_mul_f64 v[45:46], v[29:30], v[35:36]
	s_delay_alu instid0(VALU_DEP_4) | instskip(NEXT) | instid1(VALU_DEP_4)
	v_fma_f64 v[47:48], v[25:26], v[1:2], -v[37:38]
	v_fma_f64 v[49:50], v[27:28], v[1:2], v[3:4]
	ds_load_b128 v[1:4], v21 offset:512
	ds_load_b128 v[25:28], v22 offset:32
	ds_load_b128 v[35:38], v22 offset:48
	ds_load_b128 v[39:42], v21 offset:768
	v_fma_f64 v[29:30], v[29:30], v[33:34], -v[43:44]
	v_fma_f64 v[31:32], v[31:32], v[33:34], v[45:46]
	s_waitcnt lgkmcnt(2)
	v_mul_f64 v[51:52], v[27:28], v[3:4]
	v_mul_f64 v[3:4], v[25:26], v[3:4]
	s_waitcnt lgkmcnt(0)
	v_mul_f64 v[33:34], v[37:38], v[41:42]
	v_mul_f64 v[41:42], v[35:36], v[41:42]
	v_add_f64 v[15:16], v[15:16], v[47:48]
	v_add_f64 v[13:14], v[13:14], v[49:50]
	v_fma_f64 v[43:44], v[25:26], v[1:2], -v[51:52]
	v_fma_f64 v[45:46], v[27:28], v[1:2], v[3:4]
	v_fma_f64 v[33:34], v[35:36], v[39:40], -v[33:34]
	v_fma_f64 v[35:36], v[37:38], v[39:40], v[41:42]
	v_add_f64 v[47:48], v[15:16], v[29:30]
	v_add_f64 v[49:50], v[13:14], v[31:32]
	ds_load_b128 v[1:4], v21 offset:1024
	ds_load_b128 v[13:16], v22 offset:64
	;; [unrolled: 1-line block ×4, first 2 shown]
	s_waitcnt lgkmcnt(2)
	v_mul_f64 v[51:52], v[15:16], v[3:4]
	v_mul_f64 v[3:4], v[13:14], v[3:4]
	s_waitcnt lgkmcnt(0)
	v_mul_f64 v[41:42], v[27:28], v[31:32]
	v_add_f64 v[37:38], v[47:48], v[43:44]
	v_add_f64 v[39:40], v[49:50], v[45:46]
	v_mul_f64 v[43:44], v[25:26], v[31:32]
	v_fma_f64 v[45:46], v[13:14], v[1:2], -v[51:52]
	v_fma_f64 v[47:48], v[15:16], v[1:2], v[3:4]
	v_fma_f64 v[25:26], v[25:26], v[29:30], -v[41:42]
	v_add_f64 v[49:50], v[37:38], v[33:34]
	v_add_f64 v[39:40], v[39:40], v[35:36]
	ds_load_b128 v[1:4], v21 offset:1536
	ds_load_b128 v[13:16], v22 offset:96
	;; [unrolled: 1-line block ×4, first 2 shown]
	v_fma_f64 v[27:28], v[27:28], v[29:30], v[43:44]
	s_waitcnt lgkmcnt(2)
	v_mul_f64 v[51:52], v[15:16], v[3:4]
	v_mul_f64 v[3:4], v[13:14], v[3:4]
	s_waitcnt lgkmcnt(0)
	v_mul_f64 v[41:42], v[33:34], v[37:38]
	v_mul_f64 v[43:44], v[31:32], v[37:38]
	v_add_f64 v[29:30], v[49:50], v[45:46]
	v_add_f64 v[39:40], v[39:40], v[47:48]
	v_fma_f64 v[45:46], v[13:14], v[1:2], -v[51:52]
	v_fma_f64 v[47:48], v[15:16], v[1:2], v[3:4]
	v_fma_f64 v[31:32], v[31:32], v[35:36], -v[41:42]
	v_fma_f64 v[33:34], v[33:34], v[35:36], v[43:44]
	v_add_f64 v[29:30], v[29:30], v[25:26]
	v_add_f64 v[49:50], v[39:40], v[27:28]
	ds_load_b128 v[1:4], v21 offset:2048
	ds_load_b128 v[13:16], v22 offset:128
	;; [unrolled: 1-line block ×4, first 2 shown]
	s_waitcnt lgkmcnt(2)
	v_mul_f64 v[51:52], v[15:16], v[3:4]
	v_mul_f64 v[3:4], v[13:14], v[3:4]
	s_waitcnt lgkmcnt(0)
	v_mul_f64 v[41:42], v[27:28], v[39:40]
	v_mul_f64 v[39:40], v[25:26], v[39:40]
	v_add_f64 v[29:30], v[29:30], v[45:46]
	v_add_f64 v[35:36], v[49:50], v[47:48]
	v_fma_f64 v[43:44], v[13:14], v[1:2], -v[51:52]
	v_fma_f64 v[45:46], v[15:16], v[1:2], v[3:4]
	v_fma_f64 v[25:26], v[25:26], v[37:38], -v[41:42]
	v_fma_f64 v[27:28], v[27:28], v[37:38], v[39:40]
	v_add_f64 v[47:48], v[29:30], v[31:32]
	v_add_f64 v[49:50], v[35:36], v[33:34]
	ds_load_b128 v[1:4], v21 offset:2560
	ds_load_b128 v[13:16], v22 offset:160
	;; [unrolled: 1-line block ×4, first 2 shown]
	s_waitcnt lgkmcnt(2)
	v_mul_f64 v[51:52], v[15:16], v[3:4]
	v_mul_f64 v[3:4], v[13:14], v[3:4]
	s_waitcnt lgkmcnt(0)
	v_mul_f64 v[41:42], v[31:32], v[35:36]
	v_add_f64 v[37:38], v[47:48], v[43:44]
	v_add_f64 v[39:40], v[49:50], v[45:46]
	v_mul_f64 v[43:44], v[29:30], v[35:36]
	v_fma_f64 v[45:46], v[13:14], v[1:2], -v[51:52]
	v_fma_f64 v[47:48], v[15:16], v[1:2], v[3:4]
	v_fma_f64 v[29:30], v[29:30], v[33:34], -v[41:42]
	v_add_f64 v[49:50], v[37:38], v[25:26]
	v_add_f64 v[39:40], v[39:40], v[27:28]
	ds_load_b128 v[1:4], v21 offset:3072
	ds_load_b128 v[13:16], v22 offset:192
	;; [unrolled: 1-line block ×4, first 2 shown]
	v_fma_f64 v[31:32], v[31:32], v[33:34], v[43:44]
	s_waitcnt lgkmcnt(2)
	v_mul_f64 v[51:52], v[15:16], v[3:4]
	v_mul_f64 v[3:4], v[13:14], v[3:4]
	s_waitcnt lgkmcnt(0)
	v_mul_f64 v[41:42], v[27:28], v[37:38]
	v_mul_f64 v[43:44], v[25:26], v[37:38]
	v_add_f64 v[33:34], v[49:50], v[45:46]
	v_add_f64 v[39:40], v[39:40], v[47:48]
	v_fma_f64 v[45:46], v[13:14], v[1:2], -v[51:52]
	v_fma_f64 v[47:48], v[15:16], v[1:2], v[3:4]
	v_fma_f64 v[25:26], v[25:26], v[35:36], -v[41:42]
	v_fma_f64 v[27:28], v[27:28], v[35:36], v[43:44]
	v_add_f64 v[33:34], v[33:34], v[29:30]
	v_add_f64 v[49:50], v[39:40], v[31:32]
	ds_load_b128 v[1:4], v21 offset:3584
	ds_load_b128 v[13:16], v22 offset:224
	ds_load_b128 v[29:32], v22 offset:240
	ds_load_b128 v[37:40], v21 offset:3840
	s_waitcnt lgkmcnt(0)
	s_barrier
	buffer_gl0_inv
	v_mul_f64 v[51:52], v[15:16], v[3:4]
	v_mul_f64 v[3:4], v[13:14], v[3:4]
	;; [unrolled: 1-line block ×4, first 2 shown]
	v_add_f64 v[33:34], v[33:34], v[45:46]
	v_add_f64 v[35:36], v[49:50], v[47:48]
	v_fma_f64 v[13:14], v[13:14], v[1:2], -v[51:52]
	v_fma_f64 v[1:2], v[15:16], v[1:2], v[3:4]
	s_delay_alu instid0(VALU_DEP_4) | instskip(NEXT) | instid1(VALU_DEP_4)
	v_add_f64 v[3:4], v[33:34], v[25:26]
	v_add_f64 v[15:16], v[35:36], v[27:28]
	v_fma_f64 v[25:26], v[29:30], v[37:38], -v[41:42]
	v_fma_f64 v[27:28], v[31:32], v[37:38], v[39:40]
	s_delay_alu instid0(VALU_DEP_4) | instskip(NEXT) | instid1(VALU_DEP_4)
	v_add_f64 v[3:4], v[3:4], v[13:14]
	v_add_f64 v[1:2], v[15:16], v[1:2]
	s_delay_alu instid0(VALU_DEP_2) | instskip(NEXT) | instid1(VALU_DEP_2)
	v_add_f64 v[15:16], v[3:4], v[25:26]
	v_add_f64 v[13:14], v[1:2], v[27:28]
	s_cbranch_vccnz .LBB1209_9
.LBB1209_3:                             ; =>This Inner Loop Header: Depth=1
	v_add_co_u32 v1, s7, v20, s4
	s_delay_alu instid0(VALU_DEP_1) | instskip(SKIP_1) | instid1(VALU_DEP_2)
	v_add_co_ci_u32_e64 v2, null, 0, s5, s7
	v_dual_mov_b32 v3, v7 :: v_dual_mov_b32 v4, v8
	v_cmp_gt_i64_e32 vcc_lo, s[16:17], v[1:2]
	v_dual_mov_b32 v1, v7 :: v_dual_mov_b32 v2, v8
	s_and_b32 s8, s2, vcc_lo
	s_delay_alu instid0(SALU_CYCLE_1)
	s_and_saveexec_b32 s7, s8
	s_cbranch_execz .LBB1209_5
; %bb.4:                                ;   in Loop: Header=BB1209_3 Depth=1
	global_load_b128 v[1:4], v[11:12], off offset:-8
.LBB1209_5:                             ;   in Loop: Header=BB1209_3 Depth=1
	s_or_b32 exec_lo, exec_lo, s7
	v_add_co_u32 v25, s7, v19, s4
	s_delay_alu instid0(VALU_DEP_1) | instskip(SKIP_4) | instid1(SALU_CYCLE_1)
	v_add_co_ci_u32_e64 v26, null, 0, s5, s7
	s_waitcnt vmcnt(0)
	ds_store_b128 v23, v[1:4]
	v_cmp_le_i64_e32 vcc_lo, s[16:17], v[25:26]
	s_or_b32 s7, s3, vcc_lo
	s_and_saveexec_b32 s8, s7
	s_delay_alu instid0(SALU_CYCLE_1)
	s_xor_b32 s7, exec_lo, s8
	s_cbranch_execz .LBB1209_7
; %bb.6:                                ;   in Loop: Header=BB1209_3 Depth=1
	v_mov_b32_e32 v1, v0
	v_mov_b32_e32 v2, v0
	;; [unrolled: 1-line block ×3, first 2 shown]
	ds_store_b128 v24, v[0:3]
.LBB1209_7:                             ;   in Loop: Header=BB1209_3 Depth=1
	s_and_not1_saveexec_b32 s7, s7
	s_cbranch_execz .LBB1209_2
; %bb.8:                                ;   in Loop: Header=BB1209_3 Depth=1
	global_load_b128 v[1:4], v[9:10], off
	s_waitcnt vmcnt(0)
	ds_store_2addr_b64 v24, v[1:2], v[3:4] offset1:1
	s_branch .LBB1209_2
.LBB1209_9:
	v_cmp_le_i32_e32 vcc_lo, v5, v17
	v_cmp_gt_i32_e64 s2, s6, v17
	s_delay_alu instid0(VALU_DEP_1) | instskip(NEXT) | instid1(SALU_CYCLE_1)
	s_and_b32 s2, vcc_lo, s2
	s_and_saveexec_b32 s3, s2
	s_cbranch_execz .LBB1209_11
; %bb.10:
	s_delay_alu instid0(VALU_DEP_3)
	v_mul_f64 v[0:1], s[20:21], v[13:14]
	v_mul_f64 v[2:3], s[18:19], v[13:14]
	s_clause 0x1
	s_load_b128 s[4:7], s[0:1], 0x60
	s_load_b64 s[0:1], s[0:1], 0x70
	s_waitcnt lgkmcnt(0)
	v_mul_lo_u32 v4, v17, s7
	v_mul_lo_u32 v9, v18, s6
	v_mad_u64_u32 v[7:8], null, v17, s6, 0
	s_mul_i32 s1, s15, s1
	s_mul_hi_u32 s2, s15, s0
	s_mul_i32 s0, s15, s0
	s_add_i32 s1, s2, s1
	s_delay_alu instid0(SALU_CYCLE_1) | instskip(NEXT) | instid1(VALU_DEP_1)
	s_lshl_b64 s[0:1], s[0:1], 4
	v_add3_u32 v8, v8, v4, v9
	s_add_u32 s0, s4, s0
	v_lshlrev_b64 v[4:5], 4, v[5:6]
	s_addc_u32 s1, s5, s1
	s_delay_alu instid0(VALU_DEP_2) | instskip(SKIP_2) | instid1(VALU_DEP_3)
	v_lshlrev_b64 v[7:8], 4, v[7:8]
	v_fma_f64 v[0:1], s[18:19], v[15:16], -v[0:1]
	v_fma_f64 v[2:3], s[20:21], v[15:16], v[2:3]
	v_add_co_u32 v6, vcc_lo, s0, v7
	s_delay_alu instid0(VALU_DEP_4) | instskip(NEXT) | instid1(VALU_DEP_2)
	v_add_co_ci_u32_e32 v7, vcc_lo, s1, v8, vcc_lo
	v_add_co_u32 v4, vcc_lo, v6, v4
	s_delay_alu instid0(VALU_DEP_2)
	v_add_co_ci_u32_e32 v5, vcc_lo, v7, v5, vcc_lo
	global_store_b128 v[4:5], v[0:3], off
.LBB1209_11:
	s_nop 0
	s_sendmsg sendmsg(MSG_DEALLOC_VGPRS)
	s_endpgm
	.section	.rodata,"a",@progbits
	.p2align	6, 0x0
	.amdhsa_kernel _ZL32rocblas_syrkx_herkx_small_kernelIl19rocblas_complex_numIdELi16ELb1ELb0ELc67ELc85EKS1_S1_EviT_T0_PT6_S3_lS6_S3_lS4_PT7_S3_li
		.amdhsa_group_segment_fixed_size 8192
		.amdhsa_private_segment_fixed_size 0
		.amdhsa_kernarg_size 124
		.amdhsa_user_sgpr_count 13
		.amdhsa_user_sgpr_dispatch_ptr 0
		.amdhsa_user_sgpr_queue_ptr 0
		.amdhsa_user_sgpr_kernarg_segment_ptr 1
		.amdhsa_user_sgpr_dispatch_id 0
		.amdhsa_user_sgpr_private_segment_size 0
		.amdhsa_wavefront_size32 1
		.amdhsa_uses_dynamic_stack 0
		.amdhsa_enable_private_segment 0
		.amdhsa_system_sgpr_workgroup_id_x 1
		.amdhsa_system_sgpr_workgroup_id_y 1
		.amdhsa_system_sgpr_workgroup_id_z 1
		.amdhsa_system_sgpr_workgroup_info 0
		.amdhsa_system_vgpr_workitem_id 1
		.amdhsa_next_free_vgpr 53
		.amdhsa_next_free_sgpr 32
		.amdhsa_reserve_vcc 1
		.amdhsa_float_round_mode_32 0
		.amdhsa_float_round_mode_16_64 0
		.amdhsa_float_denorm_mode_32 3
		.amdhsa_float_denorm_mode_16_64 3
		.amdhsa_dx10_clamp 1
		.amdhsa_ieee_mode 1
		.amdhsa_fp16_overflow 0
		.amdhsa_workgroup_processor_mode 1
		.amdhsa_memory_ordered 1
		.amdhsa_forward_progress 0
		.amdhsa_shared_vgpr_count 0
		.amdhsa_exception_fp_ieee_invalid_op 0
		.amdhsa_exception_fp_denorm_src 0
		.amdhsa_exception_fp_ieee_div_zero 0
		.amdhsa_exception_fp_ieee_overflow 0
		.amdhsa_exception_fp_ieee_underflow 0
		.amdhsa_exception_fp_ieee_inexact 0
		.amdhsa_exception_int_div_zero 0
	.end_amdhsa_kernel
	.section	.text._ZL32rocblas_syrkx_herkx_small_kernelIl19rocblas_complex_numIdELi16ELb1ELb0ELc67ELc85EKS1_S1_EviT_T0_PT6_S3_lS6_S3_lS4_PT7_S3_li,"axG",@progbits,_ZL32rocblas_syrkx_herkx_small_kernelIl19rocblas_complex_numIdELi16ELb1ELb0ELc67ELc85EKS1_S1_EviT_T0_PT6_S3_lS6_S3_lS4_PT7_S3_li,comdat
.Lfunc_end1209:
	.size	_ZL32rocblas_syrkx_herkx_small_kernelIl19rocblas_complex_numIdELi16ELb1ELb0ELc67ELc85EKS1_S1_EviT_T0_PT6_S3_lS6_S3_lS4_PT7_S3_li, .Lfunc_end1209-_ZL32rocblas_syrkx_herkx_small_kernelIl19rocblas_complex_numIdELi16ELb1ELb0ELc67ELc85EKS1_S1_EviT_T0_PT6_S3_lS6_S3_lS4_PT7_S3_li
                                        ; -- End function
	.section	.AMDGPU.csdata,"",@progbits
; Kernel info:
; codeLenInByte = 2008
; NumSgprs: 34
; NumVgprs: 53
; ScratchSize: 0
; MemoryBound: 1
; FloatMode: 240
; IeeeMode: 1
; LDSByteSize: 8192 bytes/workgroup (compile time only)
; SGPRBlocks: 4
; VGPRBlocks: 6
; NumSGPRsForWavesPerEU: 34
; NumVGPRsForWavesPerEU: 53
; Occupancy: 16
; WaveLimiterHint : 0
; COMPUTE_PGM_RSRC2:SCRATCH_EN: 0
; COMPUTE_PGM_RSRC2:USER_SGPR: 13
; COMPUTE_PGM_RSRC2:TRAP_HANDLER: 0
; COMPUTE_PGM_RSRC2:TGID_X_EN: 1
; COMPUTE_PGM_RSRC2:TGID_Y_EN: 1
; COMPUTE_PGM_RSRC2:TGID_Z_EN: 1
; COMPUTE_PGM_RSRC2:TIDIG_COMP_CNT: 1
	.section	.text._ZL32rocblas_syrkx_herkx_small_kernelIl19rocblas_complex_numIdELi16ELb1ELb0ELc78ELc85EKS1_S1_EviT_T0_PT6_S3_lS6_S3_lS4_PT7_S3_li,"axG",@progbits,_ZL32rocblas_syrkx_herkx_small_kernelIl19rocblas_complex_numIdELi16ELb1ELb0ELc78ELc85EKS1_S1_EviT_T0_PT6_S3_lS6_S3_lS4_PT7_S3_li,comdat
	.globl	_ZL32rocblas_syrkx_herkx_small_kernelIl19rocblas_complex_numIdELi16ELb1ELb0ELc78ELc85EKS1_S1_EviT_T0_PT6_S3_lS6_S3_lS4_PT7_S3_li ; -- Begin function _ZL32rocblas_syrkx_herkx_small_kernelIl19rocblas_complex_numIdELi16ELb1ELb0ELc78ELc85EKS1_S1_EviT_T0_PT6_S3_lS6_S3_lS4_PT7_S3_li
	.p2align	8
	.type	_ZL32rocblas_syrkx_herkx_small_kernelIl19rocblas_complex_numIdELi16ELb1ELb0ELc78ELc85EKS1_S1_EviT_T0_PT6_S3_lS6_S3_lS4_PT7_S3_li,@function
_ZL32rocblas_syrkx_herkx_small_kernelIl19rocblas_complex_numIdELi16ELb1ELb0ELc78ELc85EKS1_S1_EviT_T0_PT6_S3_lS6_S3_lS4_PT7_S3_li: ; @_ZL32rocblas_syrkx_herkx_small_kernelIl19rocblas_complex_numIdELi16ELb1ELb0ELc78ELc85EKS1_S1_EviT_T0_PT6_S3_lS6_S3_lS4_PT7_S3_li
; %bb.0:
	s_clause 0x1
	s_load_b512 s[16:31], s[0:1], 0x8
	s_load_b32 s10, s[0:1], 0x0
	v_and_b32_e32 v17, 0x3ff, v0
	v_bfe_u32 v18, v0, 10, 10
	v_mov_b32_e32 v13, 0
	v_mov_b32_e32 v14, 0
	s_delay_alu instid0(VALU_DEP_4) | instskip(NEXT) | instid1(VALU_DEP_4)
	v_lshl_add_u32 v5, s13, 4, v17
	v_lshl_add_u32 v7, s14, 4, v18
	s_delay_alu instid0(VALU_DEP_3) | instskip(NEXT) | instid1(VALU_DEP_3)
	v_dual_mov_b32 v16, v14 :: v_dual_mov_b32 v15, v13
	v_ashrrev_i32_e32 v6, 31, v5
	s_delay_alu instid0(VALU_DEP_3) | instskip(SKIP_3) | instid1(VALU_DEP_2)
	v_ashrrev_i32_e32 v8, 31, v7
	s_waitcnt lgkmcnt(0)
	v_cmp_lt_i64_e64 s3, s[16:17], 1
	v_cmp_gt_i32_e64 s2, s10, v7
	s_and_b32 vcc_lo, exec_lo, s3
	s_cbranch_vccnz .LBB1210_9
; %bb.1:
	v_mad_u64_u32 v[1:2], null, s30, v17, 0
	v_mad_u64_u32 v[3:4], null, s24, v18, 0
	s_load_b64 s[4:5], s[0:1], 0x48
	s_mul_i32 s3, s27, s15
	s_mul_hi_u32 s7, s26, s15
	v_dual_mov_b32 v0, 0 :: v_dual_lshlrev_b32 v13, 8, v18
	s_add_i32 s7, s7, s3
	s_delay_alu instid0(VALU_DEP_2)
	v_mad_u64_u32 v[11:12], null, s31, v17, v[2:3]
	v_lshlrev_b32_e32 v19, 4, v17
	v_lshlrev_b64 v[9:10], 4, v[7:8]
	s_mul_i32 s6, s26, s15
	v_cmp_gt_i32_e32 vcc_lo, s10, v5
	s_mov_b64 s[8:9], 0
	s_delay_alu instid0(VALU_DEP_4)
	v_mov_b32_e32 v2, v11
	v_mad_u64_u32 v[11:12], null, s25, v18, v[4:5]
	v_add_nc_u32_e32 v21, 0x1000, v13
	v_dual_mov_b32 v13, 0 :: v_dual_add_nc_u32 v20, v19, v13
	s_waitcnt lgkmcnt(0)
	s_mul_i32 s3, s5, s15
	s_mul_hi_u32 s5, s4, s15
	v_lshlrev_b64 v[1:2], 4, v[1:2]
	s_mul_i32 s4, s4, s15
	s_add_i32 s5, s5, s3
	v_mov_b32_e32 v4, v11
	s_lshl_b64 s[4:5], s[4:5], 4
	v_mov_b32_e32 v14, 0
	v_add_co_u32 v1, s3, s4, v1
	s_delay_alu instid0(VALU_DEP_1) | instskip(SKIP_1) | instid1(VALU_DEP_2)
	v_add_co_ci_u32_e64 v2, s3, s5, v2, s3
	s_lshl_b64 s[4:5], s[6:7], 4
	v_add_co_u32 v9, s3, v1, v9
	s_delay_alu instid0(VALU_DEP_1) | instskip(SKIP_1) | instid1(VALU_DEP_3)
	v_add_co_ci_u32_e64 v10, s3, v2, v10, s3
	v_lshlrev_b64 v[1:2], 4, v[3:4]
	v_add_co_u32 v3, s3, v9, s28
	s_delay_alu instid0(VALU_DEP_1) | instskip(SKIP_1) | instid1(VALU_DEP_4)
	v_add_co_ci_u32_e64 v4, s3, s29, v10, s3
	v_add_nc_u32_e32 v22, v21, v19
	v_add_co_u32 v11, s3, s4, v1
	s_delay_alu instid0(VALU_DEP_1) | instskip(SKIP_2) | instid1(VALU_DEP_1)
	v_add_co_ci_u32_e64 v12, s3, s5, v2, s3
	v_lshlrev_b64 v[1:2], 4, v[5:6]
	v_add_co_u32 v9, s3, v3, 8
	v_add_co_ci_u32_e64 v10, s3, 0, v4, s3
	v_dual_mov_b32 v16, v14 :: v_dual_mov_b32 v15, v13
	s_delay_alu instid0(VALU_DEP_4) | instskip(NEXT) | instid1(VALU_DEP_1)
	v_add_co_u32 v1, s3, v11, v1
	v_add_co_ci_u32_e64 v2, s3, v12, v2, s3
	s_lshl_b64 s[4:5], s[30:31], 8
	s_delay_alu instid0(VALU_DEP_2) | instskip(NEXT) | instid1(VALU_DEP_1)
	v_add_co_u32 v11, s3, s22, v1
	v_add_co_ci_u32_e64 v12, s3, s23, v2, s3
	s_lshl_b64 s[6:7], s[24:25], 8
	s_xor_b32 s3, vcc_lo, -1
	s_branch .LBB1210_3
.LBB1210_2:                             ;   in Loop: Header=BB1210_3 Depth=1
	s_or_b32 exec_lo, exec_lo, s11
	s_waitcnt vmcnt(0)
	ds_store_b128 v22, v[1:4]
	s_waitcnt lgkmcnt(0)
	s_barrier
	buffer_gl0_inv
	ds_load_b128 v[1:4], v19
	ds_load_b128 v[23:26], v21
	ds_load_b128 v[27:30], v21 offset:16
	ds_load_b128 v[31:34], v19 offset:256
	s_add_u32 s8, s8, 16
	s_addc_u32 s9, s9, 0
	v_add_co_u32 v9, vcc_lo, v9, s4
	v_cmp_ge_i64_e64 s11, s[8:9], s[16:17]
	v_add_co_ci_u32_e32 v10, vcc_lo, s5, v10, vcc_lo
	v_add_co_u32 v11, vcc_lo, v11, s6
	v_add_co_ci_u32_e32 v12, vcc_lo, s7, v12, vcc_lo
	s_delay_alu instid0(VALU_DEP_4)
	s_and_b32 vcc_lo, exec_lo, s11
	s_waitcnt lgkmcnt(2)
	v_mul_f64 v[35:36], v[25:26], v[3:4]
	v_mul_f64 v[3:4], v[23:24], v[3:4]
	s_waitcnt lgkmcnt(0)
	v_mul_f64 v[41:42], v[29:30], v[33:34]
	v_mul_f64 v[43:44], v[27:28], v[33:34]
	s_delay_alu instid0(VALU_DEP_4) | instskip(NEXT) | instid1(VALU_DEP_4)
	v_fma_f64 v[45:46], v[23:24], v[1:2], -v[35:36]
	v_fma_f64 v[47:48], v[25:26], v[1:2], v[3:4]
	ds_load_b128 v[1:4], v19 offset:512
	ds_load_b128 v[23:26], v21 offset:32
	;; [unrolled: 1-line block ×4, first 2 shown]
	v_fma_f64 v[27:28], v[27:28], v[31:32], -v[41:42]
	v_fma_f64 v[29:30], v[29:30], v[31:32], v[43:44]
	s_waitcnt lgkmcnt(2)
	v_mul_f64 v[49:50], v[25:26], v[3:4]
	v_mul_f64 v[3:4], v[23:24], v[3:4]
	s_waitcnt lgkmcnt(0)
	v_mul_f64 v[31:32], v[35:36], v[39:40]
	v_mul_f64 v[39:40], v[33:34], v[39:40]
	v_add_f64 v[15:16], v[15:16], v[45:46]
	v_add_f64 v[13:14], v[13:14], v[47:48]
	v_fma_f64 v[41:42], v[23:24], v[1:2], -v[49:50]
	v_fma_f64 v[43:44], v[25:26], v[1:2], v[3:4]
	v_fma_f64 v[31:32], v[33:34], v[37:38], -v[31:32]
	v_fma_f64 v[33:34], v[35:36], v[37:38], v[39:40]
	v_add_f64 v[45:46], v[15:16], v[27:28]
	v_add_f64 v[47:48], v[13:14], v[29:30]
	ds_load_b128 v[1:4], v19 offset:1024
	ds_load_b128 v[13:16], v21 offset:64
	;; [unrolled: 1-line block ×4, first 2 shown]
	s_waitcnt lgkmcnt(2)
	v_mul_f64 v[49:50], v[15:16], v[3:4]
	v_mul_f64 v[3:4], v[13:14], v[3:4]
	s_waitcnt lgkmcnt(0)
	v_mul_f64 v[39:40], v[25:26], v[29:30]
	v_add_f64 v[35:36], v[45:46], v[41:42]
	v_add_f64 v[37:38], v[47:48], v[43:44]
	v_mul_f64 v[41:42], v[23:24], v[29:30]
	v_fma_f64 v[43:44], v[13:14], v[1:2], -v[49:50]
	v_fma_f64 v[45:46], v[15:16], v[1:2], v[3:4]
	v_fma_f64 v[23:24], v[23:24], v[27:28], -v[39:40]
	v_add_f64 v[47:48], v[35:36], v[31:32]
	v_add_f64 v[37:38], v[37:38], v[33:34]
	ds_load_b128 v[1:4], v19 offset:1536
	ds_load_b128 v[13:16], v21 offset:96
	;; [unrolled: 1-line block ×4, first 2 shown]
	v_fma_f64 v[25:26], v[25:26], v[27:28], v[41:42]
	s_waitcnt lgkmcnt(2)
	v_mul_f64 v[49:50], v[15:16], v[3:4]
	v_mul_f64 v[3:4], v[13:14], v[3:4]
	s_waitcnt lgkmcnt(0)
	v_mul_f64 v[39:40], v[31:32], v[35:36]
	v_mul_f64 v[41:42], v[29:30], v[35:36]
	v_add_f64 v[27:28], v[47:48], v[43:44]
	v_add_f64 v[37:38], v[37:38], v[45:46]
	v_fma_f64 v[43:44], v[13:14], v[1:2], -v[49:50]
	v_fma_f64 v[45:46], v[15:16], v[1:2], v[3:4]
	v_fma_f64 v[29:30], v[29:30], v[33:34], -v[39:40]
	v_fma_f64 v[31:32], v[31:32], v[33:34], v[41:42]
	v_add_f64 v[27:28], v[27:28], v[23:24]
	v_add_f64 v[47:48], v[37:38], v[25:26]
	ds_load_b128 v[1:4], v19 offset:2048
	ds_load_b128 v[13:16], v21 offset:128
	;; [unrolled: 1-line block ×4, first 2 shown]
	s_waitcnt lgkmcnt(2)
	v_mul_f64 v[49:50], v[15:16], v[3:4]
	v_mul_f64 v[3:4], v[13:14], v[3:4]
	s_waitcnt lgkmcnt(0)
	v_mul_f64 v[39:40], v[25:26], v[37:38]
	v_mul_f64 v[37:38], v[23:24], v[37:38]
	v_add_f64 v[27:28], v[27:28], v[43:44]
	v_add_f64 v[33:34], v[47:48], v[45:46]
	v_fma_f64 v[41:42], v[13:14], v[1:2], -v[49:50]
	v_fma_f64 v[43:44], v[15:16], v[1:2], v[3:4]
	v_fma_f64 v[23:24], v[23:24], v[35:36], -v[39:40]
	v_fma_f64 v[25:26], v[25:26], v[35:36], v[37:38]
	v_add_f64 v[45:46], v[27:28], v[29:30]
	v_add_f64 v[47:48], v[33:34], v[31:32]
	ds_load_b128 v[1:4], v19 offset:2560
	ds_load_b128 v[13:16], v21 offset:160
	;; [unrolled: 1-line block ×4, first 2 shown]
	s_waitcnt lgkmcnt(2)
	v_mul_f64 v[49:50], v[15:16], v[3:4]
	v_mul_f64 v[3:4], v[13:14], v[3:4]
	s_waitcnt lgkmcnt(0)
	v_mul_f64 v[39:40], v[29:30], v[33:34]
	v_add_f64 v[35:36], v[45:46], v[41:42]
	v_add_f64 v[37:38], v[47:48], v[43:44]
	v_mul_f64 v[41:42], v[27:28], v[33:34]
	v_fma_f64 v[43:44], v[13:14], v[1:2], -v[49:50]
	v_fma_f64 v[45:46], v[15:16], v[1:2], v[3:4]
	v_fma_f64 v[27:28], v[27:28], v[31:32], -v[39:40]
	v_add_f64 v[47:48], v[35:36], v[23:24]
	v_add_f64 v[37:38], v[37:38], v[25:26]
	ds_load_b128 v[1:4], v19 offset:3072
	ds_load_b128 v[13:16], v21 offset:192
	;; [unrolled: 1-line block ×4, first 2 shown]
	v_fma_f64 v[29:30], v[29:30], v[31:32], v[41:42]
	s_waitcnt lgkmcnt(2)
	v_mul_f64 v[49:50], v[15:16], v[3:4]
	v_mul_f64 v[3:4], v[13:14], v[3:4]
	s_waitcnt lgkmcnt(0)
	v_mul_f64 v[39:40], v[25:26], v[35:36]
	v_mul_f64 v[41:42], v[23:24], v[35:36]
	v_add_f64 v[31:32], v[47:48], v[43:44]
	v_add_f64 v[37:38], v[37:38], v[45:46]
	v_fma_f64 v[43:44], v[13:14], v[1:2], -v[49:50]
	v_fma_f64 v[45:46], v[15:16], v[1:2], v[3:4]
	v_fma_f64 v[23:24], v[23:24], v[33:34], -v[39:40]
	v_fma_f64 v[25:26], v[25:26], v[33:34], v[41:42]
	v_add_f64 v[31:32], v[31:32], v[27:28]
	v_add_f64 v[47:48], v[37:38], v[29:30]
	ds_load_b128 v[1:4], v19 offset:3584
	ds_load_b128 v[13:16], v21 offset:224
	;; [unrolled: 1-line block ×4, first 2 shown]
	s_waitcnt lgkmcnt(0)
	s_barrier
	buffer_gl0_inv
	v_mul_f64 v[49:50], v[15:16], v[3:4]
	v_mul_f64 v[3:4], v[13:14], v[3:4]
	;; [unrolled: 1-line block ×4, first 2 shown]
	v_add_f64 v[31:32], v[31:32], v[43:44]
	v_add_f64 v[33:34], v[47:48], v[45:46]
	v_fma_f64 v[13:14], v[13:14], v[1:2], -v[49:50]
	v_fma_f64 v[1:2], v[15:16], v[1:2], v[3:4]
	s_delay_alu instid0(VALU_DEP_4) | instskip(NEXT) | instid1(VALU_DEP_4)
	v_add_f64 v[3:4], v[31:32], v[23:24]
	v_add_f64 v[15:16], v[33:34], v[25:26]
	v_fma_f64 v[23:24], v[27:28], v[35:36], -v[39:40]
	v_fma_f64 v[25:26], v[29:30], v[35:36], v[37:38]
	s_delay_alu instid0(VALU_DEP_4) | instskip(NEXT) | instid1(VALU_DEP_4)
	v_add_f64 v[3:4], v[3:4], v[13:14]
	v_add_f64 v[1:2], v[15:16], v[1:2]
	s_delay_alu instid0(VALU_DEP_2) | instskip(NEXT) | instid1(VALU_DEP_2)
	v_add_f64 v[15:16], v[3:4], v[23:24]
	v_add_f64 v[13:14], v[1:2], v[25:26]
	s_cbranch_vccnz .LBB1210_9
.LBB1210_3:                             ; =>This Inner Loop Header: Depth=1
	v_add_co_u32 v1, s11, v18, s8
	s_delay_alu instid0(VALU_DEP_1) | instskip(NEXT) | instid1(VALU_DEP_1)
	v_add_co_ci_u32_e64 v2, null, 0, s9, s11
	v_cmp_le_i64_e32 vcc_lo, s[16:17], v[1:2]
	s_or_b32 s11, s3, vcc_lo
	s_delay_alu instid0(SALU_CYCLE_1) | instskip(NEXT) | instid1(SALU_CYCLE_1)
	s_and_saveexec_b32 s12, s11
	s_xor_b32 s11, exec_lo, s12
	s_cbranch_execz .LBB1210_5
; %bb.4:                                ;   in Loop: Header=BB1210_3 Depth=1
	v_mov_b32_e32 v1, v0
	v_mov_b32_e32 v2, v0
	;; [unrolled: 1-line block ×3, first 2 shown]
	ds_store_b128 v20, v[0:3]
.LBB1210_5:                             ;   in Loop: Header=BB1210_3 Depth=1
	s_and_not1_saveexec_b32 s11, s11
	s_cbranch_execz .LBB1210_7
; %bb.6:                                ;   in Loop: Header=BB1210_3 Depth=1
	global_load_b128 v[1:4], v[11:12], off
	s_waitcnt vmcnt(0)
	ds_store_2addr_b64 v20, v[1:2], v[3:4] offset1:1
.LBB1210_7:                             ;   in Loop: Header=BB1210_3 Depth=1
	s_or_b32 exec_lo, exec_lo, s11
	v_add_co_u32 v3, s11, v17, s8
	s_delay_alu instid0(VALU_DEP_1) | instskip(SKIP_2) | instid1(VALU_DEP_3)
	v_add_co_ci_u32_e64 v4, null, 0, s9, s11
	v_mov_b32_e32 v1, 0
	v_mov_b32_e32 v2, 0
	v_cmp_gt_i64_e32 vcc_lo, s[16:17], v[3:4]
	s_delay_alu instid0(VALU_DEP_2) | instskip(SKIP_1) | instid1(SALU_CYCLE_1)
	v_dual_mov_b32 v4, v2 :: v_dual_mov_b32 v3, v1
	s_and_b32 s12, s2, vcc_lo
	s_and_saveexec_b32 s11, s12
	s_cbranch_execz .LBB1210_2
; %bb.8:                                ;   in Loop: Header=BB1210_3 Depth=1
	global_load_b128 v[1:4], v[9:10], off offset:-8
	s_branch .LBB1210_2
.LBB1210_9:
	v_cmp_le_i32_e32 vcc_lo, v5, v7
	v_cmp_gt_i32_e64 s2, s10, v7
	s_delay_alu instid0(VALU_DEP_1) | instskip(NEXT) | instid1(SALU_CYCLE_1)
	s_and_b32 s2, vcc_lo, s2
	s_and_saveexec_b32 s3, s2
	s_cbranch_execz .LBB1210_11
; %bb.10:
	s_delay_alu instid0(VALU_DEP_3)
	v_mul_f64 v[0:1], s[20:21], v[13:14]
	v_mul_f64 v[2:3], s[18:19], v[13:14]
	s_clause 0x1
	s_load_b128 s[4:7], s[0:1], 0x60
	s_load_b64 s[0:1], s[0:1], 0x70
	s_waitcnt lgkmcnt(0)
	v_mul_lo_u32 v4, v7, s7
	v_mul_lo_u32 v10, v8, s6
	v_mad_u64_u32 v[8:9], null, v7, s6, 0
	s_mul_i32 s1, s15, s1
	s_mul_hi_u32 s2, s15, s0
	s_mul_i32 s0, s15, s0
	s_add_i32 s1, s2, s1
	s_delay_alu instid0(SALU_CYCLE_1) | instskip(NEXT) | instid1(VALU_DEP_1)
	s_lshl_b64 s[0:1], s[0:1], 4
	v_add3_u32 v9, v9, v4, v10
	s_add_u32 s0, s4, s0
	v_lshlrev_b64 v[4:5], 4, v[5:6]
	s_addc_u32 s1, s5, s1
	s_delay_alu instid0(VALU_DEP_2) | instskip(SKIP_2) | instid1(VALU_DEP_3)
	v_lshlrev_b64 v[7:8], 4, v[8:9]
	v_fma_f64 v[0:1], s[18:19], v[15:16], -v[0:1]
	v_fma_f64 v[2:3], s[20:21], v[15:16], v[2:3]
	v_add_co_u32 v6, vcc_lo, s0, v7
	s_delay_alu instid0(VALU_DEP_4) | instskip(NEXT) | instid1(VALU_DEP_2)
	v_add_co_ci_u32_e32 v7, vcc_lo, s1, v8, vcc_lo
	v_add_co_u32 v4, vcc_lo, v6, v4
	s_delay_alu instid0(VALU_DEP_2)
	v_add_co_ci_u32_e32 v5, vcc_lo, v7, v5, vcc_lo
	global_store_b128 v[4:5], v[0:3], off
.LBB1210_11:
	s_nop 0
	s_sendmsg sendmsg(MSG_DEALLOC_VGPRS)
	s_endpgm
	.section	.rodata,"a",@progbits
	.p2align	6, 0x0
	.amdhsa_kernel _ZL32rocblas_syrkx_herkx_small_kernelIl19rocblas_complex_numIdELi16ELb1ELb0ELc78ELc85EKS1_S1_EviT_T0_PT6_S3_lS6_S3_lS4_PT7_S3_li
		.amdhsa_group_segment_fixed_size 8192
		.amdhsa_private_segment_fixed_size 0
		.amdhsa_kernarg_size 124
		.amdhsa_user_sgpr_count 13
		.amdhsa_user_sgpr_dispatch_ptr 0
		.amdhsa_user_sgpr_queue_ptr 0
		.amdhsa_user_sgpr_kernarg_segment_ptr 1
		.amdhsa_user_sgpr_dispatch_id 0
		.amdhsa_user_sgpr_private_segment_size 0
		.amdhsa_wavefront_size32 1
		.amdhsa_uses_dynamic_stack 0
		.amdhsa_enable_private_segment 0
		.amdhsa_system_sgpr_workgroup_id_x 1
		.amdhsa_system_sgpr_workgroup_id_y 1
		.amdhsa_system_sgpr_workgroup_id_z 1
		.amdhsa_system_sgpr_workgroup_info 0
		.amdhsa_system_vgpr_workitem_id 1
		.amdhsa_next_free_vgpr 51
		.amdhsa_next_free_sgpr 32
		.amdhsa_reserve_vcc 1
		.amdhsa_float_round_mode_32 0
		.amdhsa_float_round_mode_16_64 0
		.amdhsa_float_denorm_mode_32 3
		.amdhsa_float_denorm_mode_16_64 3
		.amdhsa_dx10_clamp 1
		.amdhsa_ieee_mode 1
		.amdhsa_fp16_overflow 0
		.amdhsa_workgroup_processor_mode 1
		.amdhsa_memory_ordered 1
		.amdhsa_forward_progress 0
		.amdhsa_shared_vgpr_count 0
		.amdhsa_exception_fp_ieee_invalid_op 0
		.amdhsa_exception_fp_denorm_src 0
		.amdhsa_exception_fp_ieee_div_zero 0
		.amdhsa_exception_fp_ieee_overflow 0
		.amdhsa_exception_fp_ieee_underflow 0
		.amdhsa_exception_fp_ieee_inexact 0
		.amdhsa_exception_int_div_zero 0
	.end_amdhsa_kernel
	.section	.text._ZL32rocblas_syrkx_herkx_small_kernelIl19rocblas_complex_numIdELi16ELb1ELb0ELc78ELc85EKS1_S1_EviT_T0_PT6_S3_lS6_S3_lS4_PT7_S3_li,"axG",@progbits,_ZL32rocblas_syrkx_herkx_small_kernelIl19rocblas_complex_numIdELi16ELb1ELb0ELc78ELc85EKS1_S1_EviT_T0_PT6_S3_lS6_S3_lS4_PT7_S3_li,comdat
.Lfunc_end1210:
	.size	_ZL32rocblas_syrkx_herkx_small_kernelIl19rocblas_complex_numIdELi16ELb1ELb0ELc78ELc85EKS1_S1_EviT_T0_PT6_S3_lS6_S3_lS4_PT7_S3_li, .Lfunc_end1210-_ZL32rocblas_syrkx_herkx_small_kernelIl19rocblas_complex_numIdELi16ELb1ELb0ELc78ELc85EKS1_S1_EviT_T0_PT6_S3_lS6_S3_lS4_PT7_S3_li
                                        ; -- End function
	.section	.AMDGPU.csdata,"",@progbits
; Kernel info:
; codeLenInByte = 2036
; NumSgprs: 34
; NumVgprs: 51
; ScratchSize: 0
; MemoryBound: 1
; FloatMode: 240
; IeeeMode: 1
; LDSByteSize: 8192 bytes/workgroup (compile time only)
; SGPRBlocks: 4
; VGPRBlocks: 6
; NumSGPRsForWavesPerEU: 34
; NumVGPRsForWavesPerEU: 51
; Occupancy: 16
; WaveLimiterHint : 0
; COMPUTE_PGM_RSRC2:SCRATCH_EN: 0
; COMPUTE_PGM_RSRC2:USER_SGPR: 13
; COMPUTE_PGM_RSRC2:TRAP_HANDLER: 0
; COMPUTE_PGM_RSRC2:TGID_X_EN: 1
; COMPUTE_PGM_RSRC2:TGID_Y_EN: 1
; COMPUTE_PGM_RSRC2:TGID_Z_EN: 1
; COMPUTE_PGM_RSRC2:TIDIG_COMP_CNT: 1
	.section	.text._ZL32rocblas_syrkx_herkx_small_kernelIl19rocblas_complex_numIdELi16ELb0ELb0ELc84ELc76EKS1_S1_EviT_T0_PT6_S3_lS6_S3_lS4_PT7_S3_li,"axG",@progbits,_ZL32rocblas_syrkx_herkx_small_kernelIl19rocblas_complex_numIdELi16ELb0ELb0ELc84ELc76EKS1_S1_EviT_T0_PT6_S3_lS6_S3_lS4_PT7_S3_li,comdat
	.globl	_ZL32rocblas_syrkx_herkx_small_kernelIl19rocblas_complex_numIdELi16ELb0ELb0ELc84ELc76EKS1_S1_EviT_T0_PT6_S3_lS6_S3_lS4_PT7_S3_li ; -- Begin function _ZL32rocblas_syrkx_herkx_small_kernelIl19rocblas_complex_numIdELi16ELb0ELb0ELc84ELc76EKS1_S1_EviT_T0_PT6_S3_lS6_S3_lS4_PT7_S3_li
	.p2align	8
	.type	_ZL32rocblas_syrkx_herkx_small_kernelIl19rocblas_complex_numIdELi16ELb0ELb0ELc84ELc76EKS1_S1_EviT_T0_PT6_S3_lS6_S3_lS4_PT7_S3_li,@function
_ZL32rocblas_syrkx_herkx_small_kernelIl19rocblas_complex_numIdELi16ELb0ELb0ELc84ELc76EKS1_S1_EviT_T0_PT6_S3_lS6_S3_lS4_PT7_S3_li: ; @_ZL32rocblas_syrkx_herkx_small_kernelIl19rocblas_complex_numIdELi16ELb0ELb0ELc84ELc76EKS1_S1_EviT_T0_PT6_S3_lS6_S3_lS4_PT7_S3_li
; %bb.0:
	s_clause 0x3
	s_load_b512 s[16:31], s[0:1], 0x8
	s_load_b32 s12, s[0:1], 0x0
	s_load_b128 s[36:39], s[0:1], 0x68
	s_load_b256 s[4:11], s[0:1], 0x48
	v_and_b32_e32 v16, 0x3ff, v0
	v_bfe_u32 v17, v0, 10, 10
	v_mov_b32_e32 v10, 0
	v_mov_b32_e32 v11, 0
	s_delay_alu instid0(VALU_DEP_4) | instskip(NEXT) | instid1(VALU_DEP_4)
	v_lshl_add_u32 v4, s13, 4, v16
	v_lshl_add_u32 v14, s14, 4, v17
	s_delay_alu instid0(VALU_DEP_3) | instskip(NEXT) | instid1(VALU_DEP_3)
	v_dual_mov_b32 v13, v11 :: v_dual_mov_b32 v12, v10
	v_ashrrev_i32_e32 v5, 31, v4
	s_delay_alu instid0(VALU_DEP_3) | instskip(SKIP_3) | instid1(VALU_DEP_2)
	v_ashrrev_i32_e32 v15, 31, v14
	s_waitcnt lgkmcnt(0)
	v_cmp_lt_i64_e64 s1, s[16:17], 1
	v_cmp_gt_i32_e64 s0, s12, v4
	s_and_b32 vcc_lo, exec_lo, s1
	s_cbranch_vccnz .LBB1211_11
; %bb.1:
	v_dual_mov_b32 v0, 0 :: v_dual_lshlrev_b32 v3, 8, v17
	v_lshlrev_b32_e32 v18, 4, v16
	v_mul_lo_u32 v8, s31, v14
	v_mul_lo_u32 v9, s30, v15
	v_mad_u64_u32 v[1:2], null, s30, v14, 0
	s_delay_alu instid0(VALU_DEP_4)
	v_add_nc_u32_e32 v19, v18, v3
	v_add_nc_u32_e32 v20, 0x1000, v3
	v_mul_lo_u32 v3, s25, v4
	v_mul_lo_u32 v10, s24, v5
	v_mad_u64_u32 v[6:7], null, s24, v4, 0
	v_add3_u32 v2, v2, v9, v8
	s_mul_i32 s1, s5, s15
	s_mul_hi_u32 s2, s4, s15
	v_cmp_gt_i32_e32 vcc_lo, s12, v14
	s_add_i32 s3, s2, s1
	v_lshlrev_b64 v[1:2], 4, v[1:2]
	s_delay_alu instid0(VALU_DEP_4)
	v_add3_u32 v7, v7, v10, v3
	s_mul_i32 s2, s4, s15
	s_mul_i32 s1, s27, s15
	s_lshl_b64 s[2:3], s[2:3], 4
	s_mul_hi_u32 s4, s26, s15
	v_lshlrev_b64 v[6:7], 4, v[6:7]
	s_add_i32 s5, s4, s1
	s_mul_i32 s4, s26, s15
	v_add_co_u32 v1, s1, v1, s2
	s_delay_alu instid0(VALU_DEP_1) | instskip(SKIP_3) | instid1(VALU_DEP_1)
	v_add_co_ci_u32_e64 v2, s1, s3, v2, s1
	s_lshl_b64 s[2:3], s[4:5], 4
	v_mov_b32_e32 v10, 0
	v_add_co_u32 v3, s1, v6, s2
	v_add_co_ci_u32_e64 v6, s1, s3, v7, s1
	v_lshlrev_b32_e32 v7, 4, v17
	v_mov_b32_e32 v11, 0
	v_add_co_u32 v1, s1, v1, v18
	s_delay_alu instid0(VALU_DEP_1) | instskip(NEXT) | instid1(VALU_DEP_3)
	v_add_co_ci_u32_e64 v2, s1, 0, v2, s1
	v_mov_b32_e32 v13, v11
	v_add_co_u32 v3, s1, v3, v7
	s_delay_alu instid0(VALU_DEP_1) | instskip(SKIP_1) | instid1(VALU_DEP_1)
	v_add_co_ci_u32_e64 v9, s1, 0, v6, s1
	v_add_co_u32 v6, s1, s28, v1
	v_add_co_ci_u32_e64 v7, s1, s29, v2, s1
	s_delay_alu instid0(VALU_DEP_4)
	v_add_co_u32 v8, s1, s22, v3
	v_dual_mov_b32 v12, v10 :: v_dual_add_nc_u32 v21, v20, v18
	v_add_co_ci_u32_e64 v9, s1, s23, v9, s1
	s_mov_b64 s[2:3], 0
	s_xor_b32 s0, s0, -1
	s_xor_b32 s1, vcc_lo, -1
	s_branch .LBB1211_3
.LBB1211_2:                             ;   in Loop: Header=BB1211_3 Depth=1
	s_or_b32 exec_lo, exec_lo, s4
	s_waitcnt lgkmcnt(0)
	s_barrier
	buffer_gl0_inv
	ds_load_b128 v[22:25], v18
	ds_load_b128 v[26:29], v20
	ds_load_b128 v[30:33], v20 offset:16
	ds_load_b128 v[34:37], v18 offset:256
	s_add_u32 s2, s2, 16
	s_addc_u32 s3, s3, 0
	v_add_co_u32 v6, vcc_lo, 0x100, v6
	v_cmp_ge_i64_e64 s4, s[2:3], s[16:17]
	v_add_co_ci_u32_e32 v7, vcc_lo, 0, v7, vcc_lo
	v_add_co_u32 v8, vcc_lo, 0x100, v8
	v_add_co_ci_u32_e32 v9, vcc_lo, 0, v9, vcc_lo
	s_delay_alu instid0(VALU_DEP_4)
	s_and_b32 vcc_lo, exec_lo, s4
	s_waitcnt lgkmcnt(2)
	v_mul_f64 v[1:2], v[28:29], v[24:25]
	v_mul_f64 v[24:25], v[26:27], v[24:25]
	s_waitcnt lgkmcnt(0)
	v_mul_f64 v[44:45], v[32:33], v[36:37]
	v_mul_f64 v[46:47], v[30:31], v[36:37]
	s_delay_alu instid0(VALU_DEP_4) | instskip(NEXT) | instid1(VALU_DEP_4)
	v_fma_f64 v[1:2], v[26:27], v[22:23], -v[1:2]
	v_fma_f64 v[48:49], v[28:29], v[22:23], v[24:25]
	ds_load_b128 v[22:25], v18 offset:512
	ds_load_b128 v[26:29], v20 offset:32
	;; [unrolled: 1-line block ×4, first 2 shown]
	v_fma_f64 v[30:31], v[30:31], v[34:35], -v[44:45]
	v_fma_f64 v[32:33], v[32:33], v[34:35], v[46:47]
	s_waitcnt lgkmcnt(2)
	v_mul_f64 v[50:51], v[28:29], v[24:25]
	v_mul_f64 v[24:25], v[26:27], v[24:25]
	s_waitcnt lgkmcnt(0)
	v_mul_f64 v[34:35], v[38:39], v[42:43]
	v_mul_f64 v[42:43], v[36:37], v[42:43]
	v_add_f64 v[1:2], v[12:13], v[1:2]
	v_add_f64 v[10:11], v[10:11], v[48:49]
	v_fma_f64 v[44:45], v[26:27], v[22:23], -v[50:51]
	v_fma_f64 v[46:47], v[28:29], v[22:23], v[24:25]
	v_fma_f64 v[34:35], v[36:37], v[40:41], -v[34:35]
	v_fma_f64 v[36:37], v[38:39], v[40:41], v[42:43]
	v_add_f64 v[1:2], v[1:2], v[30:31]
	v_add_f64 v[48:49], v[10:11], v[32:33]
	ds_load_b128 v[10:13], v18 offset:1024
	ds_load_b128 v[22:25], v20 offset:64
	ds_load_b128 v[26:29], v20 offset:80
	ds_load_b128 v[30:33], v18 offset:1280
	s_waitcnt lgkmcnt(2)
	v_mul_f64 v[50:51], v[24:25], v[12:13]
	v_mul_f64 v[12:13], v[22:23], v[12:13]
	s_waitcnt lgkmcnt(0)
	v_mul_f64 v[40:41], v[28:29], v[32:33]
	v_mul_f64 v[42:43], v[26:27], v[32:33]
	v_add_f64 v[1:2], v[1:2], v[44:45]
	v_add_f64 v[38:39], v[48:49], v[46:47]
	v_fma_f64 v[44:45], v[22:23], v[10:11], -v[50:51]
	v_fma_f64 v[46:47], v[24:25], v[10:11], v[12:13]
	v_fma_f64 v[26:27], v[26:27], v[30:31], -v[40:41]
	v_fma_f64 v[28:29], v[28:29], v[30:31], v[42:43]
	v_add_f64 v[1:2], v[1:2], v[34:35]
	v_add_f64 v[48:49], v[38:39], v[36:37]
	ds_load_b128 v[10:13], v18 offset:1536
	ds_load_b128 v[22:25], v20 offset:96
	;; [unrolled: 1-line block ×4, first 2 shown]
	s_waitcnt lgkmcnt(2)
	v_mul_f64 v[50:51], v[24:25], v[12:13]
	v_mul_f64 v[12:13], v[22:23], v[12:13]
	s_waitcnt lgkmcnt(0)
	v_mul_f64 v[42:43], v[34:35], v[38:39]
	v_add_f64 v[1:2], v[1:2], v[44:45]
	v_add_f64 v[30:31], v[48:49], v[46:47]
	v_mul_f64 v[44:45], v[32:33], v[38:39]
	v_fma_f64 v[46:47], v[22:23], v[10:11], -v[50:51]
	v_fma_f64 v[48:49], v[24:25], v[10:11], v[12:13]
	v_fma_f64 v[32:33], v[32:33], v[36:37], -v[42:43]
	v_add_f64 v[1:2], v[1:2], v[26:27]
	v_add_f64 v[30:31], v[30:31], v[28:29]
	ds_load_b128 v[10:13], v18 offset:2048
	ds_load_b128 v[22:25], v20 offset:128
	;; [unrolled: 1-line block ×4, first 2 shown]
	v_fma_f64 v[34:35], v[34:35], v[36:37], v[44:45]
	s_waitcnt lgkmcnt(2)
	v_mul_f64 v[50:51], v[24:25], v[12:13]
	v_mul_f64 v[12:13], v[22:23], v[12:13]
	s_waitcnt lgkmcnt(0)
	v_mul_f64 v[42:43], v[28:29], v[40:41]
	v_mul_f64 v[40:41], v[26:27], v[40:41]
	v_add_f64 v[1:2], v[1:2], v[46:47]
	v_add_f64 v[30:31], v[30:31], v[48:49]
	v_fma_f64 v[44:45], v[22:23], v[10:11], -v[50:51]
	v_fma_f64 v[46:47], v[24:25], v[10:11], v[12:13]
	v_fma_f64 v[26:27], v[26:27], v[38:39], -v[42:43]
	v_fma_f64 v[28:29], v[28:29], v[38:39], v[40:41]
	v_add_f64 v[1:2], v[1:2], v[32:33]
	v_add_f64 v[48:49], v[30:31], v[34:35]
	ds_load_b128 v[10:13], v18 offset:2560
	ds_load_b128 v[22:25], v20 offset:160
	;; [unrolled: 1-line block ×4, first 2 shown]
	s_waitcnt lgkmcnt(2)
	v_mul_f64 v[50:51], v[24:25], v[12:13]
	v_mul_f64 v[12:13], v[22:23], v[12:13]
	s_waitcnt lgkmcnt(0)
	v_mul_f64 v[40:41], v[32:33], v[36:37]
	v_mul_f64 v[42:43], v[30:31], v[36:37]
	v_add_f64 v[1:2], v[1:2], v[44:45]
	v_add_f64 v[38:39], v[48:49], v[46:47]
	v_fma_f64 v[44:45], v[22:23], v[10:11], -v[50:51]
	v_fma_f64 v[46:47], v[24:25], v[10:11], v[12:13]
	v_fma_f64 v[30:31], v[30:31], v[34:35], -v[40:41]
	v_fma_f64 v[32:33], v[32:33], v[34:35], v[42:43]
	v_add_f64 v[1:2], v[1:2], v[26:27]
	v_add_f64 v[48:49], v[38:39], v[28:29]
	ds_load_b128 v[10:13], v18 offset:3072
	ds_load_b128 v[22:25], v20 offset:192
	;; [unrolled: 1-line block ×4, first 2 shown]
	s_waitcnt lgkmcnt(2)
	v_mul_f64 v[50:51], v[24:25], v[12:13]
	v_mul_f64 v[12:13], v[22:23], v[12:13]
	s_waitcnt lgkmcnt(0)
	v_mul_f64 v[42:43], v[28:29], v[38:39]
	v_add_f64 v[1:2], v[1:2], v[44:45]
	v_add_f64 v[34:35], v[48:49], v[46:47]
	v_mul_f64 v[44:45], v[26:27], v[38:39]
	v_fma_f64 v[46:47], v[22:23], v[10:11], -v[50:51]
	v_fma_f64 v[48:49], v[24:25], v[10:11], v[12:13]
	v_fma_f64 v[26:27], v[26:27], v[36:37], -v[42:43]
	v_add_f64 v[1:2], v[1:2], v[30:31]
	v_add_f64 v[34:35], v[34:35], v[32:33]
	ds_load_b128 v[10:13], v18 offset:3584
	ds_load_b128 v[22:25], v20 offset:224
	;; [unrolled: 1-line block ×4, first 2 shown]
	v_fma_f64 v[28:29], v[28:29], v[36:37], v[44:45]
	s_waitcnt lgkmcnt(0)
	s_barrier
	buffer_gl0_inv
	v_mul_f64 v[50:51], v[24:25], v[12:13]
	v_mul_f64 v[12:13], v[22:23], v[12:13]
	;; [unrolled: 1-line block ×4, first 2 shown]
	v_add_f64 v[1:2], v[1:2], v[46:47]
	v_add_f64 v[34:35], v[34:35], v[48:49]
	v_fma_f64 v[22:23], v[22:23], v[10:11], -v[50:51]
	v_fma_f64 v[10:11], v[24:25], v[10:11], v[12:13]
	v_fma_f64 v[24:25], v[30:31], v[38:39], -v[36:37]
	v_add_f64 v[1:2], v[1:2], v[26:27]
	v_add_f64 v[12:13], v[34:35], v[28:29]
	v_fma_f64 v[26:27], v[32:33], v[38:39], v[40:41]
	s_delay_alu instid0(VALU_DEP_3) | instskip(NEXT) | instid1(VALU_DEP_3)
	v_add_f64 v[1:2], v[1:2], v[22:23]
	v_add_f64 v[10:11], v[12:13], v[10:11]
	s_delay_alu instid0(VALU_DEP_2) | instskip(NEXT) | instid1(VALU_DEP_2)
	v_add_f64 v[12:13], v[1:2], v[24:25]
	v_add_f64 v[10:11], v[10:11], v[26:27]
	s_cbranch_vccnz .LBB1211_11
.LBB1211_3:                             ; =>This Inner Loop Header: Depth=1
	v_add_co_u32 v1, s4, v17, s2
	s_delay_alu instid0(VALU_DEP_1) | instskip(NEXT) | instid1(VALU_DEP_1)
	v_add_co_ci_u32_e64 v2, null, 0, s3, s4
	v_cmp_le_i64_e32 vcc_lo, s[16:17], v[1:2]
	s_or_b32 s4, s0, vcc_lo
	s_delay_alu instid0(SALU_CYCLE_1) | instskip(NEXT) | instid1(SALU_CYCLE_1)
	s_and_saveexec_b32 s5, s4
	s_xor_b32 s4, exec_lo, s5
	s_cbranch_execz .LBB1211_5
; %bb.4:                                ;   in Loop: Header=BB1211_3 Depth=1
	v_mov_b32_e32 v1, v0
	v_mov_b32_e32 v2, v0
	;; [unrolled: 1-line block ×3, first 2 shown]
	ds_store_b128 v19, v[0:3]
.LBB1211_5:                             ;   in Loop: Header=BB1211_3 Depth=1
	s_and_not1_saveexec_b32 s4, s4
	s_cbranch_execz .LBB1211_7
; %bb.6:                                ;   in Loop: Header=BB1211_3 Depth=1
	global_load_b128 v[22:25], v[8:9], off
	s_waitcnt vmcnt(0)
	ds_store_2addr_b64 v19, v[22:23], v[24:25] offset1:1
.LBB1211_7:                             ;   in Loop: Header=BB1211_3 Depth=1
	s_or_b32 exec_lo, exec_lo, s4
	v_add_co_u32 v1, s4, v16, s2
	s_delay_alu instid0(VALU_DEP_1) | instskip(NEXT) | instid1(VALU_DEP_1)
	v_add_co_ci_u32_e64 v2, null, 0, s3, s4
	v_cmp_le_i64_e32 vcc_lo, s[16:17], v[1:2]
	s_or_b32 s4, s1, vcc_lo
	s_delay_alu instid0(SALU_CYCLE_1) | instskip(NEXT) | instid1(SALU_CYCLE_1)
	s_and_saveexec_b32 s5, s4
	s_xor_b32 s4, exec_lo, s5
	s_cbranch_execz .LBB1211_9
; %bb.8:                                ;   in Loop: Header=BB1211_3 Depth=1
	v_mov_b32_e32 v1, v0
	v_mov_b32_e32 v2, v0
	;; [unrolled: 1-line block ×3, first 2 shown]
	ds_store_b128 v21, v[0:3]
.LBB1211_9:                             ;   in Loop: Header=BB1211_3 Depth=1
	s_and_not1_saveexec_b32 s4, s4
	s_cbranch_execz .LBB1211_2
; %bb.10:                               ;   in Loop: Header=BB1211_3 Depth=1
	global_load_b128 v[22:25], v[6:7], off
	s_waitcnt vmcnt(0)
	ds_store_2addr_b64 v21, v[22:23], v[24:25] offset1:1
	s_branch .LBB1211_2
.LBB1211_11:
	v_cmp_le_i32_e32 vcc_lo, v14, v4
	v_cmp_gt_i32_e64 s0, s12, v4
	s_delay_alu instid0(VALU_DEP_1) | instskip(NEXT) | instid1(SALU_CYCLE_1)
	s_and_b32 s0, vcc_lo, s0
	s_and_saveexec_b32 s1, s0
	s_cbranch_execz .LBB1211_13
; %bb.12:
	v_mul_lo_u32 v2, v14, s37
	v_mul_lo_u32 v3, v15, s36
	v_mad_u64_u32 v[0:1], null, v14, s36, 0
	s_mul_i32 s1, s15, s39
	s_mul_hi_u32 s2, s15, s38
	s_mul_i32 s0, s15, s38
	s_add_i32 s1, s2, s1
	v_mul_f64 v[6:7], s[20:21], v[10:11]
	s_lshl_b64 s[0:1], s[0:1], 4
	s_delay_alu instid0(VALU_DEP_2)
	v_add3_u32 v1, v1, v2, v3
	s_add_u32 s0, s10, s0
	v_lshlrev_b64 v[2:3], 4, v[4:5]
	s_addc_u32 s1, s11, s1
	v_mul_f64 v[8:9], s[18:19], v[10:11]
	v_lshlrev_b64 v[0:1], 4, v[0:1]
	s_delay_alu instid0(VALU_DEP_1) | instskip(NEXT) | instid1(VALU_DEP_2)
	v_add_co_u32 v0, vcc_lo, s0, v0
	v_add_co_ci_u32_e32 v1, vcc_lo, s1, v1, vcc_lo
	s_delay_alu instid0(VALU_DEP_2) | instskip(NEXT) | instid1(VALU_DEP_2)
	v_add_co_u32 v4, vcc_lo, v0, v2
	v_add_co_ci_u32_e32 v5, vcc_lo, v1, v3, vcc_lo
	global_load_b128 v[0:3], v[4:5], off
	v_fma_f64 v[6:7], s[18:19], v[12:13], -v[6:7]
	v_fma_f64 v[8:9], s[20:21], v[12:13], v[8:9]
	s_waitcnt vmcnt(0)
	v_mul_f64 v[10:11], s[8:9], v[2:3]
	v_mul_f64 v[2:3], s[6:7], v[2:3]
	s_delay_alu instid0(VALU_DEP_2) | instskip(NEXT) | instid1(VALU_DEP_2)
	v_fma_f64 v[10:11], s[6:7], v[0:1], -v[10:11]
	v_fma_f64 v[2:3], s[8:9], v[0:1], v[2:3]
	s_delay_alu instid0(VALU_DEP_2) | instskip(NEXT) | instid1(VALU_DEP_2)
	v_add_f64 v[0:1], v[6:7], v[10:11]
	v_add_f64 v[2:3], v[8:9], v[2:3]
	global_store_b128 v[4:5], v[0:3], off
.LBB1211_13:
	s_nop 0
	s_sendmsg sendmsg(MSG_DEALLOC_VGPRS)
	s_endpgm
	.section	.rodata,"a",@progbits
	.p2align	6, 0x0
	.amdhsa_kernel _ZL32rocblas_syrkx_herkx_small_kernelIl19rocblas_complex_numIdELi16ELb0ELb0ELc84ELc76EKS1_S1_EviT_T0_PT6_S3_lS6_S3_lS4_PT7_S3_li
		.amdhsa_group_segment_fixed_size 8192
		.amdhsa_private_segment_fixed_size 0
		.amdhsa_kernarg_size 124
		.amdhsa_user_sgpr_count 13
		.amdhsa_user_sgpr_dispatch_ptr 0
		.amdhsa_user_sgpr_queue_ptr 0
		.amdhsa_user_sgpr_kernarg_segment_ptr 1
		.amdhsa_user_sgpr_dispatch_id 0
		.amdhsa_user_sgpr_private_segment_size 0
		.amdhsa_wavefront_size32 1
		.amdhsa_uses_dynamic_stack 0
		.amdhsa_enable_private_segment 0
		.amdhsa_system_sgpr_workgroup_id_x 1
		.amdhsa_system_sgpr_workgroup_id_y 1
		.amdhsa_system_sgpr_workgroup_id_z 1
		.amdhsa_system_sgpr_workgroup_info 0
		.amdhsa_system_vgpr_workitem_id 1
		.amdhsa_next_free_vgpr 52
		.amdhsa_next_free_sgpr 40
		.amdhsa_reserve_vcc 1
		.amdhsa_float_round_mode_32 0
		.amdhsa_float_round_mode_16_64 0
		.amdhsa_float_denorm_mode_32 3
		.amdhsa_float_denorm_mode_16_64 3
		.amdhsa_dx10_clamp 1
		.amdhsa_ieee_mode 1
		.amdhsa_fp16_overflow 0
		.amdhsa_workgroup_processor_mode 1
		.amdhsa_memory_ordered 1
		.amdhsa_forward_progress 0
		.amdhsa_shared_vgpr_count 0
		.amdhsa_exception_fp_ieee_invalid_op 0
		.amdhsa_exception_fp_denorm_src 0
		.amdhsa_exception_fp_ieee_div_zero 0
		.amdhsa_exception_fp_ieee_overflow 0
		.amdhsa_exception_fp_ieee_underflow 0
		.amdhsa_exception_fp_ieee_inexact 0
		.amdhsa_exception_int_div_zero 0
	.end_amdhsa_kernel
	.section	.text._ZL32rocblas_syrkx_herkx_small_kernelIl19rocblas_complex_numIdELi16ELb0ELb0ELc84ELc76EKS1_S1_EviT_T0_PT6_S3_lS6_S3_lS4_PT7_S3_li,"axG",@progbits,_ZL32rocblas_syrkx_herkx_small_kernelIl19rocblas_complex_numIdELi16ELb0ELb0ELc84ELc76EKS1_S1_EviT_T0_PT6_S3_lS6_S3_lS4_PT7_S3_li,comdat
.Lfunc_end1211:
	.size	_ZL32rocblas_syrkx_herkx_small_kernelIl19rocblas_complex_numIdELi16ELb0ELb0ELc84ELc76EKS1_S1_EviT_T0_PT6_S3_lS6_S3_lS4_PT7_S3_li, .Lfunc_end1211-_ZL32rocblas_syrkx_herkx_small_kernelIl19rocblas_complex_numIdELi16ELb0ELb0ELc84ELc76EKS1_S1_EviT_T0_PT6_S3_lS6_S3_lS4_PT7_S3_li
                                        ; -- End function
	.section	.AMDGPU.csdata,"",@progbits
; Kernel info:
; codeLenInByte = 2080
; NumSgprs: 42
; NumVgprs: 52
; ScratchSize: 0
; MemoryBound: 0
; FloatMode: 240
; IeeeMode: 1
; LDSByteSize: 8192 bytes/workgroup (compile time only)
; SGPRBlocks: 5
; VGPRBlocks: 6
; NumSGPRsForWavesPerEU: 42
; NumVGPRsForWavesPerEU: 52
; Occupancy: 16
; WaveLimiterHint : 0
; COMPUTE_PGM_RSRC2:SCRATCH_EN: 0
; COMPUTE_PGM_RSRC2:USER_SGPR: 13
; COMPUTE_PGM_RSRC2:TRAP_HANDLER: 0
; COMPUTE_PGM_RSRC2:TGID_X_EN: 1
; COMPUTE_PGM_RSRC2:TGID_Y_EN: 1
; COMPUTE_PGM_RSRC2:TGID_Z_EN: 1
; COMPUTE_PGM_RSRC2:TIDIG_COMP_CNT: 1
	.section	.text._ZL32rocblas_syrkx_herkx_small_kernelIl19rocblas_complex_numIdELi16ELb0ELb0ELc67ELc76EKS1_S1_EviT_T0_PT6_S3_lS6_S3_lS4_PT7_S3_li,"axG",@progbits,_ZL32rocblas_syrkx_herkx_small_kernelIl19rocblas_complex_numIdELi16ELb0ELb0ELc67ELc76EKS1_S1_EviT_T0_PT6_S3_lS6_S3_lS4_PT7_S3_li,comdat
	.globl	_ZL32rocblas_syrkx_herkx_small_kernelIl19rocblas_complex_numIdELi16ELb0ELb0ELc67ELc76EKS1_S1_EviT_T0_PT6_S3_lS6_S3_lS4_PT7_S3_li ; -- Begin function _ZL32rocblas_syrkx_herkx_small_kernelIl19rocblas_complex_numIdELi16ELb0ELb0ELc67ELc76EKS1_S1_EviT_T0_PT6_S3_lS6_S3_lS4_PT7_S3_li
	.p2align	8
	.type	_ZL32rocblas_syrkx_herkx_small_kernelIl19rocblas_complex_numIdELi16ELb0ELb0ELc67ELc76EKS1_S1_EviT_T0_PT6_S3_lS6_S3_lS4_PT7_S3_li,@function
_ZL32rocblas_syrkx_herkx_small_kernelIl19rocblas_complex_numIdELi16ELb0ELb0ELc67ELc76EKS1_S1_EviT_T0_PT6_S3_lS6_S3_lS4_PT7_S3_li: ; @_ZL32rocblas_syrkx_herkx_small_kernelIl19rocblas_complex_numIdELi16ELb0ELb0ELc67ELc76EKS1_S1_EviT_T0_PT6_S3_lS6_S3_lS4_PT7_S3_li
; %bb.0:
	s_clause 0x3
	s_load_b512 s[16:31], s[0:1], 0x8
	s_load_b32 s12, s[0:1], 0x0
	s_load_b128 s[36:39], s[0:1], 0x68
	s_load_b256 s[4:11], s[0:1], 0x48
	v_and_b32_e32 v19, 0x3ff, v0
	v_bfe_u32 v20, v0, 10, 10
	v_mov_b32_e32 v15, 0
	v_mov_b32_e32 v16, 0
	s_delay_alu instid0(VALU_DEP_2) | instskip(SKIP_2) | instid1(VALU_DEP_4)
	v_mov_b32_e32 v13, v15
	v_lshl_add_u32 v5, s13, 4, v19
	v_lshl_add_u32 v17, s14, 4, v20
	v_mov_b32_e32 v14, v16
	s_delay_alu instid0(VALU_DEP_3) | instskip(NEXT) | instid1(VALU_DEP_3)
	v_ashrrev_i32_e32 v6, 31, v5
	v_ashrrev_i32_e32 v18, 31, v17
	s_waitcnt lgkmcnt(0)
	v_cmp_lt_i64_e64 s1, s[16:17], 1
	v_cmp_gt_i32_e64 s0, s12, v5
	s_delay_alu instid0(VALU_DEP_2)
	s_and_b32 vcc_lo, exec_lo, s1
	s_cbranch_vccnz .LBB1212_9
; %bb.1:
	v_mul_lo_u32 v0, s31, v17
	v_mul_lo_u32 v3, s30, v18
	v_mad_u64_u32 v[1:2], null, s30, v17, 0
	v_mul_lo_u32 v8, s25, v5
	v_mul_lo_u32 v9, s24, v6
	s_mul_i32 s1, s5, s15
	s_mul_hi_u32 s2, s4, s15
	v_lshlrev_b32_e32 v7, 8, v20
	s_add_i32 s3, s2, s1
	s_delay_alu instid0(VALU_DEP_4)
	v_add3_u32 v2, v2, v3, v0
	v_mov_b32_e32 v0, 0
	v_mad_u64_u32 v[3:4], null, s24, v5, 0
	s_mul_i32 s2, s4, s15
	s_mul_i32 s1, s27, s15
	s_mul_hi_u32 s4, s26, s15
	v_lshlrev_b32_e32 v21, 4, v19
	s_add_i32 s5, s4, s1
	s_mul_i32 s4, s26, s15
	s_delay_alu instid0(VALU_DEP_2)
	v_add3_u32 v4, v4, v9, v8
	v_lshlrev_b64 v[1:2], 4, v[1:2]
	s_lshl_b64 s[4:5], s[4:5], 4
	v_add_nc_u32_e32 v22, 0x1000, v7
	v_add_nc_u32_e32 v23, v21, v7
	v_lshlrev_b64 v[3:4], 4, v[3:4]
	s_lshl_b64 s[2:3], s[2:3], 4
	v_lshlrev_b32_e32 v7, 4, v20
	v_cmp_gt_i32_e32 vcc_lo, s12, v17
	s_delay_alu instid0(VALU_DEP_3) | instskip(NEXT) | instid1(VALU_DEP_1)
	v_add_co_u32 v3, s1, v3, s4
	v_add_co_ci_u32_e64 v4, s1, s5, v4, s1
	v_add_co_u32 v1, s1, v1, s2
	s_delay_alu instid0(VALU_DEP_1) | instskip(NEXT) | instid1(VALU_DEP_4)
	v_add_co_ci_u32_e64 v2, s1, s3, v2, s1
	v_add_co_u32 v3, s1, v3, v7
	s_delay_alu instid0(VALU_DEP_1) | instskip(SKIP_3) | instid1(VALU_DEP_1)
	v_add_co_ci_u32_e64 v4, s1, 0, v4, s1
	v_mov_b32_e32 v7, 0
	v_mov_b32_e32 v8, 0
	v_add_co_u32 v1, s1, v1, v21
	v_add_co_ci_u32_e64 v2, s1, 0, v2, s1
	s_delay_alu instid0(VALU_DEP_3) | instskip(SKIP_1) | instid1(VALU_DEP_1)
	v_mov_b32_e32 v16, v8
	v_add_co_u32 v3, s1, v3, s22
	v_add_co_ci_u32_e64 v4, s1, s23, v4, s1
	v_add_co_u32 v9, s1, s28, v1
	s_delay_alu instid0(VALU_DEP_1) | instskip(NEXT) | instid1(VALU_DEP_4)
	v_add_co_ci_u32_e64 v10, s1, s29, v2, s1
	v_add_co_u32 v11, s1, v3, 8
	v_dual_mov_b32 v15, v7 :: v_dual_add_nc_u32 v24, v22, v21
	v_add_co_ci_u32_e64 v12, s1, 0, v4, s1
	v_dual_mov_b32 v14, v8 :: v_dual_mov_b32 v13, v7
	s_mov_b64 s[2:3], 0
	s_xor_b32 s1, vcc_lo, -1
	s_branch .LBB1212_3
.LBB1212_2:                             ;   in Loop: Header=BB1212_3 Depth=1
	s_or_b32 exec_lo, exec_lo, s4
	s_waitcnt lgkmcnt(0)
	s_barrier
	buffer_gl0_inv
	ds_load_b128 v[1:4], v21
	ds_load_b128 v[25:28], v22
	ds_load_b128 v[29:32], v22 offset:16
	ds_load_b128 v[33:36], v21 offset:256
	s_add_u32 s2, s2, 16
	s_addc_u32 s3, s3, 0
	v_add_co_u32 v9, vcc_lo, 0x100, v9
	v_cmp_ge_i64_e64 s4, s[2:3], s[16:17]
	v_add_co_ci_u32_e32 v10, vcc_lo, 0, v10, vcc_lo
	v_add_co_u32 v11, vcc_lo, 0x100, v11
	v_add_co_ci_u32_e32 v12, vcc_lo, 0, v12, vcc_lo
	s_delay_alu instid0(VALU_DEP_4)
	s_and_b32 vcc_lo, exec_lo, s4
	s_waitcnt lgkmcnt(2)
	v_mul_f64 v[37:38], v[27:28], v[3:4]
	v_mul_f64 v[3:4], v[25:26], v[3:4]
	s_waitcnt lgkmcnt(0)
	v_mul_f64 v[43:44], v[31:32], v[35:36]
	v_mul_f64 v[45:46], v[29:30], v[35:36]
	s_delay_alu instid0(VALU_DEP_4) | instskip(NEXT) | instid1(VALU_DEP_4)
	v_fma_f64 v[47:48], v[25:26], v[1:2], -v[37:38]
	v_fma_f64 v[49:50], v[27:28], v[1:2], v[3:4]
	ds_load_b128 v[1:4], v21 offset:512
	ds_load_b128 v[25:28], v22 offset:32
	;; [unrolled: 1-line block ×4, first 2 shown]
	v_fma_f64 v[29:30], v[29:30], v[33:34], -v[43:44]
	v_fma_f64 v[31:32], v[31:32], v[33:34], v[45:46]
	s_waitcnt lgkmcnt(2)
	v_mul_f64 v[51:52], v[27:28], v[3:4]
	v_mul_f64 v[3:4], v[25:26], v[3:4]
	s_waitcnt lgkmcnt(0)
	v_mul_f64 v[33:34], v[37:38], v[41:42]
	v_mul_f64 v[41:42], v[35:36], v[41:42]
	v_add_f64 v[13:14], v[13:14], v[47:48]
	v_add_f64 v[15:16], v[15:16], v[49:50]
	v_fma_f64 v[43:44], v[25:26], v[1:2], -v[51:52]
	v_fma_f64 v[45:46], v[27:28], v[1:2], v[3:4]
	v_fma_f64 v[33:34], v[35:36], v[39:40], -v[33:34]
	v_fma_f64 v[35:36], v[37:38], v[39:40], v[41:42]
	v_add_f64 v[47:48], v[13:14], v[29:30]
	v_add_f64 v[49:50], v[15:16], v[31:32]
	ds_load_b128 v[1:4], v21 offset:1024
	ds_load_b128 v[13:16], v22 offset:64
	;; [unrolled: 1-line block ×4, first 2 shown]
	s_waitcnt lgkmcnt(2)
	v_mul_f64 v[51:52], v[15:16], v[3:4]
	v_mul_f64 v[3:4], v[13:14], v[3:4]
	s_waitcnt lgkmcnt(0)
	v_mul_f64 v[41:42], v[27:28], v[31:32]
	v_add_f64 v[37:38], v[47:48], v[43:44]
	v_add_f64 v[39:40], v[49:50], v[45:46]
	v_mul_f64 v[43:44], v[25:26], v[31:32]
	v_fma_f64 v[45:46], v[13:14], v[1:2], -v[51:52]
	v_fma_f64 v[47:48], v[15:16], v[1:2], v[3:4]
	v_fma_f64 v[25:26], v[25:26], v[29:30], -v[41:42]
	v_add_f64 v[49:50], v[37:38], v[33:34]
	v_add_f64 v[39:40], v[39:40], v[35:36]
	ds_load_b128 v[1:4], v21 offset:1536
	ds_load_b128 v[13:16], v22 offset:96
	ds_load_b128 v[31:34], v22 offset:112
	ds_load_b128 v[35:38], v21 offset:1792
	v_fma_f64 v[27:28], v[27:28], v[29:30], v[43:44]
	s_waitcnt lgkmcnt(2)
	v_mul_f64 v[51:52], v[15:16], v[3:4]
	v_mul_f64 v[3:4], v[13:14], v[3:4]
	s_waitcnt lgkmcnt(0)
	v_mul_f64 v[41:42], v[33:34], v[37:38]
	v_mul_f64 v[43:44], v[31:32], v[37:38]
	v_add_f64 v[29:30], v[49:50], v[45:46]
	v_add_f64 v[39:40], v[39:40], v[47:48]
	v_fma_f64 v[45:46], v[13:14], v[1:2], -v[51:52]
	v_fma_f64 v[47:48], v[15:16], v[1:2], v[3:4]
	v_fma_f64 v[31:32], v[31:32], v[35:36], -v[41:42]
	v_fma_f64 v[33:34], v[33:34], v[35:36], v[43:44]
	v_add_f64 v[29:30], v[29:30], v[25:26]
	v_add_f64 v[49:50], v[39:40], v[27:28]
	ds_load_b128 v[1:4], v21 offset:2048
	ds_load_b128 v[13:16], v22 offset:128
	;; [unrolled: 1-line block ×4, first 2 shown]
	s_waitcnt lgkmcnt(2)
	v_mul_f64 v[51:52], v[15:16], v[3:4]
	v_mul_f64 v[3:4], v[13:14], v[3:4]
	s_waitcnt lgkmcnt(0)
	v_mul_f64 v[41:42], v[27:28], v[39:40]
	v_mul_f64 v[39:40], v[25:26], v[39:40]
	v_add_f64 v[29:30], v[29:30], v[45:46]
	v_add_f64 v[35:36], v[49:50], v[47:48]
	v_fma_f64 v[43:44], v[13:14], v[1:2], -v[51:52]
	v_fma_f64 v[45:46], v[15:16], v[1:2], v[3:4]
	v_fma_f64 v[25:26], v[25:26], v[37:38], -v[41:42]
	v_fma_f64 v[27:28], v[27:28], v[37:38], v[39:40]
	v_add_f64 v[47:48], v[29:30], v[31:32]
	v_add_f64 v[49:50], v[35:36], v[33:34]
	ds_load_b128 v[1:4], v21 offset:2560
	ds_load_b128 v[13:16], v22 offset:160
	;; [unrolled: 1-line block ×4, first 2 shown]
	s_waitcnt lgkmcnt(2)
	v_mul_f64 v[51:52], v[15:16], v[3:4]
	v_mul_f64 v[3:4], v[13:14], v[3:4]
	s_waitcnt lgkmcnt(0)
	v_mul_f64 v[41:42], v[31:32], v[35:36]
	v_add_f64 v[37:38], v[47:48], v[43:44]
	v_add_f64 v[39:40], v[49:50], v[45:46]
	v_mul_f64 v[43:44], v[29:30], v[35:36]
	v_fma_f64 v[45:46], v[13:14], v[1:2], -v[51:52]
	v_fma_f64 v[47:48], v[15:16], v[1:2], v[3:4]
	v_fma_f64 v[29:30], v[29:30], v[33:34], -v[41:42]
	v_add_f64 v[49:50], v[37:38], v[25:26]
	v_add_f64 v[39:40], v[39:40], v[27:28]
	ds_load_b128 v[1:4], v21 offset:3072
	ds_load_b128 v[13:16], v22 offset:192
	ds_load_b128 v[25:28], v22 offset:208
	ds_load_b128 v[35:38], v21 offset:3328
	v_fma_f64 v[31:32], v[31:32], v[33:34], v[43:44]
	s_waitcnt lgkmcnt(2)
	v_mul_f64 v[51:52], v[15:16], v[3:4]
	v_mul_f64 v[3:4], v[13:14], v[3:4]
	s_waitcnt lgkmcnt(0)
	v_mul_f64 v[41:42], v[27:28], v[37:38]
	v_mul_f64 v[43:44], v[25:26], v[37:38]
	v_add_f64 v[33:34], v[49:50], v[45:46]
	v_add_f64 v[39:40], v[39:40], v[47:48]
	v_fma_f64 v[45:46], v[13:14], v[1:2], -v[51:52]
	v_fma_f64 v[47:48], v[15:16], v[1:2], v[3:4]
	v_fma_f64 v[25:26], v[25:26], v[35:36], -v[41:42]
	v_fma_f64 v[27:28], v[27:28], v[35:36], v[43:44]
	v_add_f64 v[33:34], v[33:34], v[29:30]
	v_add_f64 v[49:50], v[39:40], v[31:32]
	ds_load_b128 v[1:4], v21 offset:3584
	ds_load_b128 v[13:16], v22 offset:224
	;; [unrolled: 1-line block ×4, first 2 shown]
	s_waitcnt lgkmcnt(0)
	s_barrier
	buffer_gl0_inv
	v_mul_f64 v[51:52], v[15:16], v[3:4]
	v_mul_f64 v[3:4], v[13:14], v[3:4]
	;; [unrolled: 1-line block ×4, first 2 shown]
	v_add_f64 v[33:34], v[33:34], v[45:46]
	v_add_f64 v[35:36], v[49:50], v[47:48]
	v_fma_f64 v[13:14], v[13:14], v[1:2], -v[51:52]
	v_fma_f64 v[1:2], v[15:16], v[1:2], v[3:4]
	s_delay_alu instid0(VALU_DEP_4) | instskip(NEXT) | instid1(VALU_DEP_4)
	v_add_f64 v[3:4], v[33:34], v[25:26]
	v_add_f64 v[15:16], v[35:36], v[27:28]
	v_fma_f64 v[25:26], v[29:30], v[37:38], -v[41:42]
	v_fma_f64 v[27:28], v[31:32], v[37:38], v[39:40]
	s_delay_alu instid0(VALU_DEP_4) | instskip(NEXT) | instid1(VALU_DEP_4)
	v_add_f64 v[3:4], v[3:4], v[13:14]
	v_add_f64 v[1:2], v[15:16], v[1:2]
	s_delay_alu instid0(VALU_DEP_2) | instskip(NEXT) | instid1(VALU_DEP_2)
	v_add_f64 v[13:14], v[3:4], v[25:26]
	v_add_f64 v[15:16], v[1:2], v[27:28]
	s_cbranch_vccnz .LBB1212_9
.LBB1212_3:                             ; =>This Inner Loop Header: Depth=1
	v_add_co_u32 v1, s4, v20, s2
	s_delay_alu instid0(VALU_DEP_1) | instskip(SKIP_1) | instid1(VALU_DEP_2)
	v_add_co_ci_u32_e64 v2, null, 0, s3, s4
	v_dual_mov_b32 v3, v7 :: v_dual_mov_b32 v4, v8
	v_cmp_gt_i64_e32 vcc_lo, s[16:17], v[1:2]
	v_dual_mov_b32 v1, v7 :: v_dual_mov_b32 v2, v8
	s_and_b32 s5, s0, vcc_lo
	s_delay_alu instid0(SALU_CYCLE_1)
	s_and_saveexec_b32 s4, s5
	s_cbranch_execz .LBB1212_5
; %bb.4:                                ;   in Loop: Header=BB1212_3 Depth=1
	global_load_b128 v[1:4], v[11:12], off offset:-8
.LBB1212_5:                             ;   in Loop: Header=BB1212_3 Depth=1
	s_or_b32 exec_lo, exec_lo, s4
	v_add_co_u32 v25, s4, v19, s2
	s_delay_alu instid0(VALU_DEP_1) | instskip(SKIP_4) | instid1(SALU_CYCLE_1)
	v_add_co_ci_u32_e64 v26, null, 0, s3, s4
	s_waitcnt vmcnt(0)
	ds_store_b128 v23, v[1:4]
	v_cmp_le_i64_e32 vcc_lo, s[16:17], v[25:26]
	s_or_b32 s4, s1, vcc_lo
	s_and_saveexec_b32 s5, s4
	s_delay_alu instid0(SALU_CYCLE_1)
	s_xor_b32 s4, exec_lo, s5
	s_cbranch_execz .LBB1212_7
; %bb.6:                                ;   in Loop: Header=BB1212_3 Depth=1
	v_mov_b32_e32 v1, v0
	v_mov_b32_e32 v2, v0
	;; [unrolled: 1-line block ×3, first 2 shown]
	ds_store_b128 v24, v[0:3]
.LBB1212_7:                             ;   in Loop: Header=BB1212_3 Depth=1
	s_and_not1_saveexec_b32 s4, s4
	s_cbranch_execz .LBB1212_2
; %bb.8:                                ;   in Loop: Header=BB1212_3 Depth=1
	global_load_b128 v[1:4], v[9:10], off
	s_waitcnt vmcnt(0)
	ds_store_2addr_b64 v24, v[1:2], v[3:4] offset1:1
	s_branch .LBB1212_2
.LBB1212_9:
	v_cmp_le_i32_e32 vcc_lo, v17, v5
	v_cmp_gt_i32_e64 s0, s12, v5
	s_delay_alu instid0(VALU_DEP_1) | instskip(NEXT) | instid1(SALU_CYCLE_1)
	s_and_b32 s0, vcc_lo, s0
	s_and_saveexec_b32 s1, s0
	s_cbranch_execz .LBB1212_11
; %bb.10:
	v_mul_lo_u32 v2, v17, s37
	v_mul_lo_u32 v3, v18, s36
	v_mad_u64_u32 v[0:1], null, v17, s36, 0
	s_mul_i32 s1, s15, s39
	s_mul_hi_u32 s2, s15, s38
	s_mul_i32 s0, s15, s38
	s_add_i32 s1, s2, s1
	v_mul_f64 v[8:9], s[18:19], v[15:16]
	s_lshl_b64 s[0:1], s[0:1], 4
	s_delay_alu instid0(VALU_DEP_2)
	v_add3_u32 v1, v1, v2, v3
	s_add_u32 s0, s10, s0
	v_lshlrev_b64 v[2:3], 4, v[5:6]
	s_addc_u32 s1, s11, s1
	v_mul_f64 v[6:7], s[20:21], v[15:16]
	v_lshlrev_b64 v[0:1], 4, v[0:1]
	s_delay_alu instid0(VALU_DEP_1) | instskip(NEXT) | instid1(VALU_DEP_2)
	v_add_co_u32 v0, vcc_lo, s0, v0
	v_add_co_ci_u32_e32 v1, vcc_lo, s1, v1, vcc_lo
	s_delay_alu instid0(VALU_DEP_2) | instskip(NEXT) | instid1(VALU_DEP_2)
	v_add_co_u32 v4, vcc_lo, v0, v2
	v_add_co_ci_u32_e32 v5, vcc_lo, v1, v3, vcc_lo
	global_load_b128 v[0:3], v[4:5], off
	v_fma_f64 v[8:9], s[20:21], v[13:14], v[8:9]
	v_fma_f64 v[6:7], s[18:19], v[13:14], -v[6:7]
	s_waitcnt vmcnt(0)
	v_mul_f64 v[10:11], s[8:9], v[2:3]
	v_mul_f64 v[2:3], s[6:7], v[2:3]
	s_delay_alu instid0(VALU_DEP_2) | instskip(NEXT) | instid1(VALU_DEP_2)
	v_fma_f64 v[10:11], s[6:7], v[0:1], -v[10:11]
	v_fma_f64 v[2:3], s[8:9], v[0:1], v[2:3]
	s_delay_alu instid0(VALU_DEP_2) | instskip(NEXT) | instid1(VALU_DEP_2)
	v_add_f64 v[0:1], v[6:7], v[10:11]
	v_add_f64 v[2:3], v[8:9], v[2:3]
	global_store_b128 v[4:5], v[0:3], off
.LBB1212_11:
	s_nop 0
	s_sendmsg sendmsg(MSG_DEALLOC_VGPRS)
	s_endpgm
	.section	.rodata,"a",@progbits
	.p2align	6, 0x0
	.amdhsa_kernel _ZL32rocblas_syrkx_herkx_small_kernelIl19rocblas_complex_numIdELi16ELb0ELb0ELc67ELc76EKS1_S1_EviT_T0_PT6_S3_lS6_S3_lS4_PT7_S3_li
		.amdhsa_group_segment_fixed_size 8192
		.amdhsa_private_segment_fixed_size 0
		.amdhsa_kernarg_size 124
		.amdhsa_user_sgpr_count 13
		.amdhsa_user_sgpr_dispatch_ptr 0
		.amdhsa_user_sgpr_queue_ptr 0
		.amdhsa_user_sgpr_kernarg_segment_ptr 1
		.amdhsa_user_sgpr_dispatch_id 0
		.amdhsa_user_sgpr_private_segment_size 0
		.amdhsa_wavefront_size32 1
		.amdhsa_uses_dynamic_stack 0
		.amdhsa_enable_private_segment 0
		.amdhsa_system_sgpr_workgroup_id_x 1
		.amdhsa_system_sgpr_workgroup_id_y 1
		.amdhsa_system_sgpr_workgroup_id_z 1
		.amdhsa_system_sgpr_workgroup_info 0
		.amdhsa_system_vgpr_workitem_id 1
		.amdhsa_next_free_vgpr 53
		.amdhsa_next_free_sgpr 40
		.amdhsa_reserve_vcc 1
		.amdhsa_float_round_mode_32 0
		.amdhsa_float_round_mode_16_64 0
		.amdhsa_float_denorm_mode_32 3
		.amdhsa_float_denorm_mode_16_64 3
		.amdhsa_dx10_clamp 1
		.amdhsa_ieee_mode 1
		.amdhsa_fp16_overflow 0
		.amdhsa_workgroup_processor_mode 1
		.amdhsa_memory_ordered 1
		.amdhsa_forward_progress 0
		.amdhsa_shared_vgpr_count 0
		.amdhsa_exception_fp_ieee_invalid_op 0
		.amdhsa_exception_fp_denorm_src 0
		.amdhsa_exception_fp_ieee_div_zero 0
		.amdhsa_exception_fp_ieee_overflow 0
		.amdhsa_exception_fp_ieee_underflow 0
		.amdhsa_exception_fp_ieee_inexact 0
		.amdhsa_exception_int_div_zero 0
	.end_amdhsa_kernel
	.section	.text._ZL32rocblas_syrkx_herkx_small_kernelIl19rocblas_complex_numIdELi16ELb0ELb0ELc67ELc76EKS1_S1_EviT_T0_PT6_S3_lS6_S3_lS4_PT7_S3_li,"axG",@progbits,_ZL32rocblas_syrkx_herkx_small_kernelIl19rocblas_complex_numIdELi16ELb0ELb0ELc67ELc76EKS1_S1_EviT_T0_PT6_S3_lS6_S3_lS4_PT7_S3_li,comdat
.Lfunc_end1212:
	.size	_ZL32rocblas_syrkx_herkx_small_kernelIl19rocblas_complex_numIdELi16ELb0ELb0ELc67ELc76EKS1_S1_EviT_T0_PT6_S3_lS6_S3_lS4_PT7_S3_li, .Lfunc_end1212-_ZL32rocblas_syrkx_herkx_small_kernelIl19rocblas_complex_numIdELi16ELb0ELb0ELc67ELc76EKS1_S1_EviT_T0_PT6_S3_lS6_S3_lS4_PT7_S3_li
                                        ; -- End function
	.section	.AMDGPU.csdata,"",@progbits
; Kernel info:
; codeLenInByte = 2092
; NumSgprs: 42
; NumVgprs: 53
; ScratchSize: 0
; MemoryBound: 1
; FloatMode: 240
; IeeeMode: 1
; LDSByteSize: 8192 bytes/workgroup (compile time only)
; SGPRBlocks: 5
; VGPRBlocks: 6
; NumSGPRsForWavesPerEU: 42
; NumVGPRsForWavesPerEU: 53
; Occupancy: 16
; WaveLimiterHint : 0
; COMPUTE_PGM_RSRC2:SCRATCH_EN: 0
; COMPUTE_PGM_RSRC2:USER_SGPR: 13
; COMPUTE_PGM_RSRC2:TRAP_HANDLER: 0
; COMPUTE_PGM_RSRC2:TGID_X_EN: 1
; COMPUTE_PGM_RSRC2:TGID_Y_EN: 1
; COMPUTE_PGM_RSRC2:TGID_Z_EN: 1
; COMPUTE_PGM_RSRC2:TIDIG_COMP_CNT: 1
	.section	.text._ZL32rocblas_syrkx_herkx_small_kernelIl19rocblas_complex_numIdELi16ELb0ELb0ELc78ELc76EKS1_S1_EviT_T0_PT6_S3_lS6_S3_lS4_PT7_S3_li,"axG",@progbits,_ZL32rocblas_syrkx_herkx_small_kernelIl19rocblas_complex_numIdELi16ELb0ELb0ELc78ELc76EKS1_S1_EviT_T0_PT6_S3_lS6_S3_lS4_PT7_S3_li,comdat
	.globl	_ZL32rocblas_syrkx_herkx_small_kernelIl19rocblas_complex_numIdELi16ELb0ELb0ELc78ELc76EKS1_S1_EviT_T0_PT6_S3_lS6_S3_lS4_PT7_S3_li ; -- Begin function _ZL32rocblas_syrkx_herkx_small_kernelIl19rocblas_complex_numIdELi16ELb0ELb0ELc78ELc76EKS1_S1_EviT_T0_PT6_S3_lS6_S3_lS4_PT7_S3_li
	.p2align	8
	.type	_ZL32rocblas_syrkx_herkx_small_kernelIl19rocblas_complex_numIdELi16ELb0ELb0ELc78ELc76EKS1_S1_EviT_T0_PT6_S3_lS6_S3_lS4_PT7_S3_li,@function
_ZL32rocblas_syrkx_herkx_small_kernelIl19rocblas_complex_numIdELi16ELb0ELb0ELc78ELc76EKS1_S1_EviT_T0_PT6_S3_lS6_S3_lS4_PT7_S3_li: ; @_ZL32rocblas_syrkx_herkx_small_kernelIl19rocblas_complex_numIdELi16ELb0ELb0ELc78ELc76EKS1_S1_EviT_T0_PT6_S3_lS6_S3_lS4_PT7_S3_li
; %bb.0:
	s_clause 0x3
	s_load_b512 s[16:31], s[0:1], 0x8
	s_load_b32 s33, s[0:1], 0x0
	s_load_b128 s[36:39], s[0:1], 0x68
	s_load_b256 s[4:11], s[0:1], 0x48
	v_and_b32_e32 v17, 0x3ff, v0
	v_bfe_u32 v18, v0, 10, 10
	v_mov_b32_e32 v13, 0
	v_mov_b32_e32 v14, 0
	s_delay_alu instid0(VALU_DEP_4) | instskip(NEXT) | instid1(VALU_DEP_4)
	v_lshl_add_u32 v5, s13, 4, v17
	v_lshl_add_u32 v7, s14, 4, v18
	s_delay_alu instid0(VALU_DEP_3) | instskip(NEXT) | instid1(VALU_DEP_3)
	v_dual_mov_b32 v16, v14 :: v_dual_mov_b32 v15, v13
	v_ashrrev_i32_e32 v6, 31, v5
	s_delay_alu instid0(VALU_DEP_3) | instskip(SKIP_3) | instid1(VALU_DEP_2)
	v_ashrrev_i32_e32 v8, 31, v7
	s_waitcnt lgkmcnt(0)
	v_cmp_lt_i64_e64 s0, s[16:17], 1
	v_cmp_gt_i32_e64 s1, s33, v5
	s_and_b32 vcc_lo, exec_lo, s0
	s_cbranch_vccnz .LBB1213_9
; %bb.1:
	v_mad_u64_u32 v[1:2], null, s30, v17, 0
	v_mad_u64_u32 v[9:10], null, s24, v18, 0
	v_dual_mov_b32 v0, 0 :: v_dual_lshlrev_b32 v15, 8, v18
	s_mul_i32 s3, s5, s15
	s_mul_hi_u32 s5, s4, s15
	s_delay_alu instid0(VALU_DEP_3)
	v_mad_u64_u32 v[3:4], null, s31, v17, v[2:3]
	v_lshlrev_b32_e32 v19, 4, v17
	s_mul_i32 s2, s4, s15
	s_add_i32 s3, s5, s3
	v_lshlrev_b64 v[11:12], 4, v[7:8]
	s_lshl_b64 s[2:3], s[2:3], 4
	s_mul_i32 s12, s27, s15
	s_delay_alu instid0(VALU_DEP_3) | instskip(SKIP_3) | instid1(VALU_DEP_2)
	v_dual_mov_b32 v2, v3 :: v_dual_mov_b32 v3, v10
	v_add_nc_u32_e32 v20, 0x1000, v15
	s_mul_hi_u32 s13, s26, s15
	s_mul_i32 s4, s26, s15
	v_lshlrev_b64 v[1:2], 4, v[1:2]
	v_mad_u64_u32 v[13:14], null, s25, v18, v[3:4]
	v_add_nc_u32_e32 v21, v19, v15
	s_add_i32 s5, s13, s12
	v_add_nc_u32_e32 v22, v20, v19
	s_delay_alu instid0(VALU_DEP_4) | instskip(SKIP_2) | instid1(VALU_DEP_3)
	v_add_co_u32 v1, vcc_lo, s2, v1
	v_add_co_ci_u32_e32 v2, vcc_lo, s3, v2, vcc_lo
	v_dual_mov_b32 v10, v13 :: v_dual_mov_b32 v13, 0
	v_add_co_u32 v3, vcc_lo, v1, v11
	s_delay_alu instid0(VALU_DEP_3) | instskip(NEXT) | instid1(VALU_DEP_3)
	v_add_co_ci_u32_e32 v4, vcc_lo, v2, v12, vcc_lo
	v_lshlrev_b64 v[1:2], 4, v[9:10]
	s_delay_alu instid0(VALU_DEP_3) | instskip(SKIP_1) | instid1(VALU_DEP_3)
	v_add_co_u32 v3, vcc_lo, v3, s28
	s_lshl_b64 s[2:3], s[4:5], 4
	v_add_co_ci_u32_e32 v4, vcc_lo, s29, v4, vcc_lo
	s_delay_alu instid0(VALU_DEP_3) | instskip(NEXT) | instid1(VALU_DEP_4)
	v_add_co_u32 v11, vcc_lo, s2, v1
	v_add_co_ci_u32_e32 v12, vcc_lo, s3, v2, vcc_lo
	v_lshlrev_b64 v[1:2], 4, v[5:6]
	v_add_co_u32 v9, vcc_lo, v3, 8
	v_add_co_ci_u32_e32 v10, vcc_lo, 0, v4, vcc_lo
	v_mov_b32_e32 v14, 0
	s_delay_alu instid0(VALU_DEP_4) | instskip(SKIP_2) | instid1(VALU_DEP_3)
	v_add_co_u32 v1, vcc_lo, v11, v1
	v_add_co_ci_u32_e32 v2, vcc_lo, v12, v2, vcc_lo
	v_cmp_gt_i32_e64 s0, s33, v7
	v_add_co_u32 v11, vcc_lo, s22, v1
	s_delay_alu instid0(VALU_DEP_3)
	v_add_co_ci_u32_e32 v12, vcc_lo, s23, v2, vcc_lo
	v_dual_mov_b32 v16, v14 :: v_dual_mov_b32 v15, v13
	s_lshl_b64 s[2:3], s[30:31], 8
	s_lshl_b64 s[4:5], s[24:25], 8
	s_mov_b64 s[12:13], 0
	s_xor_b32 s1, s1, -1
	s_branch .LBB1213_3
.LBB1213_2:                             ;   in Loop: Header=BB1213_3 Depth=1
	s_or_b32 exec_lo, exec_lo, s14
	s_waitcnt vmcnt(0)
	ds_store_b128 v22, v[1:4]
	s_waitcnt lgkmcnt(0)
	s_barrier
	buffer_gl0_inv
	ds_load_b128 v[1:4], v19
	ds_load_b128 v[23:26], v20
	ds_load_b128 v[27:30], v20 offset:16
	ds_load_b128 v[31:34], v19 offset:256
	s_add_u32 s12, s12, 16
	s_addc_u32 s13, s13, 0
	v_add_co_u32 v9, vcc_lo, v9, s2
	v_cmp_ge_i64_e64 s14, s[12:13], s[16:17]
	v_add_co_ci_u32_e32 v10, vcc_lo, s3, v10, vcc_lo
	v_add_co_u32 v11, vcc_lo, v11, s4
	v_add_co_ci_u32_e32 v12, vcc_lo, s5, v12, vcc_lo
	s_delay_alu instid0(VALU_DEP_4)
	s_and_b32 vcc_lo, exec_lo, s14
	s_waitcnt lgkmcnt(2)
	v_mul_f64 v[35:36], v[25:26], v[3:4]
	v_mul_f64 v[3:4], v[23:24], v[3:4]
	s_waitcnt lgkmcnt(0)
	v_mul_f64 v[41:42], v[29:30], v[33:34]
	v_mul_f64 v[43:44], v[27:28], v[33:34]
	s_delay_alu instid0(VALU_DEP_4) | instskip(NEXT) | instid1(VALU_DEP_4)
	v_fma_f64 v[45:46], v[23:24], v[1:2], -v[35:36]
	v_fma_f64 v[47:48], v[25:26], v[1:2], v[3:4]
	ds_load_b128 v[1:4], v19 offset:512
	ds_load_b128 v[23:26], v20 offset:32
	;; [unrolled: 1-line block ×4, first 2 shown]
	v_fma_f64 v[27:28], v[27:28], v[31:32], -v[41:42]
	v_fma_f64 v[29:30], v[29:30], v[31:32], v[43:44]
	s_waitcnt lgkmcnt(2)
	v_mul_f64 v[49:50], v[25:26], v[3:4]
	v_mul_f64 v[3:4], v[23:24], v[3:4]
	s_waitcnt lgkmcnt(0)
	v_mul_f64 v[31:32], v[35:36], v[39:40]
	v_mul_f64 v[39:40], v[33:34], v[39:40]
	v_add_f64 v[15:16], v[15:16], v[45:46]
	v_add_f64 v[13:14], v[13:14], v[47:48]
	v_fma_f64 v[41:42], v[23:24], v[1:2], -v[49:50]
	v_fma_f64 v[43:44], v[25:26], v[1:2], v[3:4]
	v_fma_f64 v[31:32], v[33:34], v[37:38], -v[31:32]
	v_fma_f64 v[33:34], v[35:36], v[37:38], v[39:40]
	v_add_f64 v[45:46], v[15:16], v[27:28]
	v_add_f64 v[47:48], v[13:14], v[29:30]
	ds_load_b128 v[1:4], v19 offset:1024
	ds_load_b128 v[13:16], v20 offset:64
	;; [unrolled: 1-line block ×4, first 2 shown]
	s_waitcnt lgkmcnt(2)
	v_mul_f64 v[49:50], v[15:16], v[3:4]
	v_mul_f64 v[3:4], v[13:14], v[3:4]
	s_waitcnt lgkmcnt(0)
	v_mul_f64 v[39:40], v[25:26], v[29:30]
	v_add_f64 v[35:36], v[45:46], v[41:42]
	v_add_f64 v[37:38], v[47:48], v[43:44]
	v_mul_f64 v[41:42], v[23:24], v[29:30]
	v_fma_f64 v[43:44], v[13:14], v[1:2], -v[49:50]
	v_fma_f64 v[45:46], v[15:16], v[1:2], v[3:4]
	v_fma_f64 v[23:24], v[23:24], v[27:28], -v[39:40]
	v_add_f64 v[47:48], v[35:36], v[31:32]
	v_add_f64 v[37:38], v[37:38], v[33:34]
	ds_load_b128 v[1:4], v19 offset:1536
	ds_load_b128 v[13:16], v20 offset:96
	;; [unrolled: 1-line block ×4, first 2 shown]
	v_fma_f64 v[25:26], v[25:26], v[27:28], v[41:42]
	s_waitcnt lgkmcnt(2)
	v_mul_f64 v[49:50], v[15:16], v[3:4]
	v_mul_f64 v[3:4], v[13:14], v[3:4]
	s_waitcnt lgkmcnt(0)
	v_mul_f64 v[39:40], v[31:32], v[35:36]
	v_mul_f64 v[41:42], v[29:30], v[35:36]
	v_add_f64 v[27:28], v[47:48], v[43:44]
	v_add_f64 v[37:38], v[37:38], v[45:46]
	v_fma_f64 v[43:44], v[13:14], v[1:2], -v[49:50]
	v_fma_f64 v[45:46], v[15:16], v[1:2], v[3:4]
	v_fma_f64 v[29:30], v[29:30], v[33:34], -v[39:40]
	v_fma_f64 v[31:32], v[31:32], v[33:34], v[41:42]
	v_add_f64 v[27:28], v[27:28], v[23:24]
	v_add_f64 v[47:48], v[37:38], v[25:26]
	ds_load_b128 v[1:4], v19 offset:2048
	ds_load_b128 v[13:16], v20 offset:128
	;; [unrolled: 1-line block ×4, first 2 shown]
	s_waitcnt lgkmcnt(2)
	v_mul_f64 v[49:50], v[15:16], v[3:4]
	v_mul_f64 v[3:4], v[13:14], v[3:4]
	s_waitcnt lgkmcnt(0)
	v_mul_f64 v[39:40], v[25:26], v[37:38]
	v_mul_f64 v[37:38], v[23:24], v[37:38]
	v_add_f64 v[27:28], v[27:28], v[43:44]
	v_add_f64 v[33:34], v[47:48], v[45:46]
	v_fma_f64 v[41:42], v[13:14], v[1:2], -v[49:50]
	v_fma_f64 v[43:44], v[15:16], v[1:2], v[3:4]
	v_fma_f64 v[23:24], v[23:24], v[35:36], -v[39:40]
	v_fma_f64 v[25:26], v[25:26], v[35:36], v[37:38]
	v_add_f64 v[45:46], v[27:28], v[29:30]
	v_add_f64 v[47:48], v[33:34], v[31:32]
	ds_load_b128 v[1:4], v19 offset:2560
	ds_load_b128 v[13:16], v20 offset:160
	;; [unrolled: 1-line block ×4, first 2 shown]
	s_waitcnt lgkmcnt(2)
	v_mul_f64 v[49:50], v[15:16], v[3:4]
	v_mul_f64 v[3:4], v[13:14], v[3:4]
	s_waitcnt lgkmcnt(0)
	v_mul_f64 v[39:40], v[29:30], v[33:34]
	v_add_f64 v[35:36], v[45:46], v[41:42]
	v_add_f64 v[37:38], v[47:48], v[43:44]
	v_mul_f64 v[41:42], v[27:28], v[33:34]
	v_fma_f64 v[43:44], v[13:14], v[1:2], -v[49:50]
	v_fma_f64 v[45:46], v[15:16], v[1:2], v[3:4]
	v_fma_f64 v[27:28], v[27:28], v[31:32], -v[39:40]
	v_add_f64 v[47:48], v[35:36], v[23:24]
	v_add_f64 v[37:38], v[37:38], v[25:26]
	ds_load_b128 v[1:4], v19 offset:3072
	ds_load_b128 v[13:16], v20 offset:192
	ds_load_b128 v[23:26], v20 offset:208
	ds_load_b128 v[33:36], v19 offset:3328
	v_fma_f64 v[29:30], v[29:30], v[31:32], v[41:42]
	s_waitcnt lgkmcnt(2)
	v_mul_f64 v[49:50], v[15:16], v[3:4]
	v_mul_f64 v[3:4], v[13:14], v[3:4]
	s_waitcnt lgkmcnt(0)
	v_mul_f64 v[39:40], v[25:26], v[35:36]
	v_mul_f64 v[41:42], v[23:24], v[35:36]
	v_add_f64 v[31:32], v[47:48], v[43:44]
	v_add_f64 v[37:38], v[37:38], v[45:46]
	v_fma_f64 v[43:44], v[13:14], v[1:2], -v[49:50]
	v_fma_f64 v[45:46], v[15:16], v[1:2], v[3:4]
	v_fma_f64 v[23:24], v[23:24], v[33:34], -v[39:40]
	v_fma_f64 v[25:26], v[25:26], v[33:34], v[41:42]
	v_add_f64 v[31:32], v[31:32], v[27:28]
	v_add_f64 v[47:48], v[37:38], v[29:30]
	ds_load_b128 v[1:4], v19 offset:3584
	ds_load_b128 v[13:16], v20 offset:224
	;; [unrolled: 1-line block ×4, first 2 shown]
	s_waitcnt lgkmcnt(0)
	s_barrier
	buffer_gl0_inv
	v_mul_f64 v[49:50], v[15:16], v[3:4]
	v_mul_f64 v[3:4], v[13:14], v[3:4]
	;; [unrolled: 1-line block ×4, first 2 shown]
	v_add_f64 v[31:32], v[31:32], v[43:44]
	v_add_f64 v[33:34], v[47:48], v[45:46]
	v_fma_f64 v[13:14], v[13:14], v[1:2], -v[49:50]
	v_fma_f64 v[1:2], v[15:16], v[1:2], v[3:4]
	s_delay_alu instid0(VALU_DEP_4) | instskip(NEXT) | instid1(VALU_DEP_4)
	v_add_f64 v[3:4], v[31:32], v[23:24]
	v_add_f64 v[15:16], v[33:34], v[25:26]
	v_fma_f64 v[23:24], v[27:28], v[35:36], -v[39:40]
	v_fma_f64 v[25:26], v[29:30], v[35:36], v[37:38]
	s_delay_alu instid0(VALU_DEP_4) | instskip(NEXT) | instid1(VALU_DEP_4)
	v_add_f64 v[3:4], v[3:4], v[13:14]
	v_add_f64 v[1:2], v[15:16], v[1:2]
	s_delay_alu instid0(VALU_DEP_2) | instskip(NEXT) | instid1(VALU_DEP_2)
	v_add_f64 v[15:16], v[3:4], v[23:24]
	v_add_f64 v[13:14], v[1:2], v[25:26]
	s_cbranch_vccnz .LBB1213_9
.LBB1213_3:                             ; =>This Inner Loop Header: Depth=1
	v_add_co_u32 v1, s14, v18, s12
	s_delay_alu instid0(VALU_DEP_1) | instskip(NEXT) | instid1(VALU_DEP_1)
	v_add_co_ci_u32_e64 v2, null, 0, s13, s14
	v_cmp_le_i64_e32 vcc_lo, s[16:17], v[1:2]
	s_or_b32 s14, s1, vcc_lo
	s_delay_alu instid0(SALU_CYCLE_1) | instskip(NEXT) | instid1(SALU_CYCLE_1)
	s_and_saveexec_b32 s22, s14
	s_xor_b32 s14, exec_lo, s22
	s_cbranch_execz .LBB1213_5
; %bb.4:                                ;   in Loop: Header=BB1213_3 Depth=1
	v_mov_b32_e32 v1, v0
	v_mov_b32_e32 v2, v0
	;; [unrolled: 1-line block ×3, first 2 shown]
	ds_store_b128 v21, v[0:3]
.LBB1213_5:                             ;   in Loop: Header=BB1213_3 Depth=1
	s_and_not1_saveexec_b32 s14, s14
	s_cbranch_execz .LBB1213_7
; %bb.6:                                ;   in Loop: Header=BB1213_3 Depth=1
	global_load_b128 v[1:4], v[11:12], off
	s_waitcnt vmcnt(0)
	ds_store_2addr_b64 v21, v[1:2], v[3:4] offset1:1
.LBB1213_7:                             ;   in Loop: Header=BB1213_3 Depth=1
	s_or_b32 exec_lo, exec_lo, s14
	v_add_co_u32 v3, s14, v17, s12
	s_delay_alu instid0(VALU_DEP_1) | instskip(SKIP_2) | instid1(VALU_DEP_3)
	v_add_co_ci_u32_e64 v4, null, 0, s13, s14
	v_mov_b32_e32 v1, 0
	v_mov_b32_e32 v2, 0
	v_cmp_gt_i64_e32 vcc_lo, s[16:17], v[3:4]
	s_delay_alu instid0(VALU_DEP_2) | instskip(SKIP_1) | instid1(SALU_CYCLE_1)
	v_dual_mov_b32 v4, v2 :: v_dual_mov_b32 v3, v1
	s_and_b32 s22, s0, vcc_lo
	s_and_saveexec_b32 s14, s22
	s_cbranch_execz .LBB1213_2
; %bb.8:                                ;   in Loop: Header=BB1213_3 Depth=1
	global_load_b128 v[1:4], v[9:10], off offset:-8
	s_branch .LBB1213_2
.LBB1213_9:
	v_cmp_le_i32_e32 vcc_lo, v7, v5
	v_cmp_gt_i32_e64 s0, s33, v5
	s_delay_alu instid0(VALU_DEP_1) | instskip(NEXT) | instid1(SALU_CYCLE_1)
	s_and_b32 s0, vcc_lo, s0
	s_and_saveexec_b32 s1, s0
	s_cbranch_execz .LBB1213_11
; %bb.10:
	v_mul_lo_u32 v2, v7, s37
	v_mul_lo_u32 v3, v8, s36
	v_mad_u64_u32 v[0:1], null, v7, s36, 0
	s_mul_i32 s1, s15, s39
	s_mul_hi_u32 s2, s15, s38
	s_mul_i32 s0, s15, s38
	s_add_i32 s1, s2, s1
	v_mul_f64 v[8:9], s[18:19], v[13:14]
	s_lshl_b64 s[0:1], s[0:1], 4
	s_delay_alu instid0(VALU_DEP_2)
	v_add3_u32 v1, v1, v2, v3
	s_add_u32 s0, s10, s0
	v_lshlrev_b64 v[2:3], 4, v[5:6]
	s_addc_u32 s1, s11, s1
	v_mul_f64 v[6:7], s[20:21], v[13:14]
	v_lshlrev_b64 v[0:1], 4, v[0:1]
	s_delay_alu instid0(VALU_DEP_1) | instskip(NEXT) | instid1(VALU_DEP_2)
	v_add_co_u32 v0, vcc_lo, s0, v0
	v_add_co_ci_u32_e32 v1, vcc_lo, s1, v1, vcc_lo
	s_delay_alu instid0(VALU_DEP_2) | instskip(NEXT) | instid1(VALU_DEP_2)
	v_add_co_u32 v4, vcc_lo, v0, v2
	v_add_co_ci_u32_e32 v5, vcc_lo, v1, v3, vcc_lo
	global_load_b128 v[0:3], v[4:5], off
	v_fma_f64 v[8:9], s[20:21], v[15:16], v[8:9]
	v_fma_f64 v[6:7], s[18:19], v[15:16], -v[6:7]
	s_waitcnt vmcnt(0)
	v_mul_f64 v[10:11], s[8:9], v[2:3]
	v_mul_f64 v[2:3], s[6:7], v[2:3]
	s_delay_alu instid0(VALU_DEP_2) | instskip(NEXT) | instid1(VALU_DEP_2)
	v_fma_f64 v[10:11], s[6:7], v[0:1], -v[10:11]
	v_fma_f64 v[2:3], s[8:9], v[0:1], v[2:3]
	s_delay_alu instid0(VALU_DEP_2) | instskip(NEXT) | instid1(VALU_DEP_2)
	v_add_f64 v[0:1], v[6:7], v[10:11]
	v_add_f64 v[2:3], v[8:9], v[2:3]
	global_store_b128 v[4:5], v[0:3], off
.LBB1213_11:
	s_nop 0
	s_sendmsg sendmsg(MSG_DEALLOC_VGPRS)
	s_endpgm
	.section	.rodata,"a",@progbits
	.p2align	6, 0x0
	.amdhsa_kernel _ZL32rocblas_syrkx_herkx_small_kernelIl19rocblas_complex_numIdELi16ELb0ELb0ELc78ELc76EKS1_S1_EviT_T0_PT6_S3_lS6_S3_lS4_PT7_S3_li
		.amdhsa_group_segment_fixed_size 8192
		.amdhsa_private_segment_fixed_size 0
		.amdhsa_kernarg_size 124
		.amdhsa_user_sgpr_count 13
		.amdhsa_user_sgpr_dispatch_ptr 0
		.amdhsa_user_sgpr_queue_ptr 0
		.amdhsa_user_sgpr_kernarg_segment_ptr 1
		.amdhsa_user_sgpr_dispatch_id 0
		.amdhsa_user_sgpr_private_segment_size 0
		.amdhsa_wavefront_size32 1
		.amdhsa_uses_dynamic_stack 0
		.amdhsa_enable_private_segment 0
		.amdhsa_system_sgpr_workgroup_id_x 1
		.amdhsa_system_sgpr_workgroup_id_y 1
		.amdhsa_system_sgpr_workgroup_id_z 1
		.amdhsa_system_sgpr_workgroup_info 0
		.amdhsa_system_vgpr_workitem_id 1
		.amdhsa_next_free_vgpr 51
		.amdhsa_next_free_sgpr 40
		.amdhsa_reserve_vcc 1
		.amdhsa_float_round_mode_32 0
		.amdhsa_float_round_mode_16_64 0
		.amdhsa_float_denorm_mode_32 3
		.amdhsa_float_denorm_mode_16_64 3
		.amdhsa_dx10_clamp 1
		.amdhsa_ieee_mode 1
		.amdhsa_fp16_overflow 0
		.amdhsa_workgroup_processor_mode 1
		.amdhsa_memory_ordered 1
		.amdhsa_forward_progress 0
		.amdhsa_shared_vgpr_count 0
		.amdhsa_exception_fp_ieee_invalid_op 0
		.amdhsa_exception_fp_denorm_src 0
		.amdhsa_exception_fp_ieee_div_zero 0
		.amdhsa_exception_fp_ieee_overflow 0
		.amdhsa_exception_fp_ieee_underflow 0
		.amdhsa_exception_fp_ieee_inexact 0
		.amdhsa_exception_int_div_zero 0
	.end_amdhsa_kernel
	.section	.text._ZL32rocblas_syrkx_herkx_small_kernelIl19rocblas_complex_numIdELi16ELb0ELb0ELc78ELc76EKS1_S1_EviT_T0_PT6_S3_lS6_S3_lS4_PT7_S3_li,"axG",@progbits,_ZL32rocblas_syrkx_herkx_small_kernelIl19rocblas_complex_numIdELi16ELb0ELb0ELc78ELc76EKS1_S1_EviT_T0_PT6_S3_lS6_S3_lS4_PT7_S3_li,comdat
.Lfunc_end1213:
	.size	_ZL32rocblas_syrkx_herkx_small_kernelIl19rocblas_complex_numIdELi16ELb0ELb0ELc78ELc76EKS1_S1_EviT_T0_PT6_S3_lS6_S3_lS4_PT7_S3_li, .Lfunc_end1213-_ZL32rocblas_syrkx_herkx_small_kernelIl19rocblas_complex_numIdELi16ELb0ELb0ELc78ELc76EKS1_S1_EviT_T0_PT6_S3_lS6_S3_lS4_PT7_S3_li
                                        ; -- End function
	.section	.AMDGPU.csdata,"",@progbits
; Kernel info:
; codeLenInByte = 2056
; NumSgprs: 42
; NumVgprs: 51
; ScratchSize: 0
; MemoryBound: 1
; FloatMode: 240
; IeeeMode: 1
; LDSByteSize: 8192 bytes/workgroup (compile time only)
; SGPRBlocks: 5
; VGPRBlocks: 6
; NumSGPRsForWavesPerEU: 42
; NumVGPRsForWavesPerEU: 51
; Occupancy: 16
; WaveLimiterHint : 0
; COMPUTE_PGM_RSRC2:SCRATCH_EN: 0
; COMPUTE_PGM_RSRC2:USER_SGPR: 13
; COMPUTE_PGM_RSRC2:TRAP_HANDLER: 0
; COMPUTE_PGM_RSRC2:TGID_X_EN: 1
; COMPUTE_PGM_RSRC2:TGID_Y_EN: 1
; COMPUTE_PGM_RSRC2:TGID_Z_EN: 1
; COMPUTE_PGM_RSRC2:TIDIG_COMP_CNT: 1
	.section	.text._ZL32rocblas_syrkx_herkx_small_kernelIl19rocblas_complex_numIdELi16ELb0ELb0ELc84ELc85EKS1_S1_EviT_T0_PT6_S3_lS6_S3_lS4_PT7_S3_li,"axG",@progbits,_ZL32rocblas_syrkx_herkx_small_kernelIl19rocblas_complex_numIdELi16ELb0ELb0ELc84ELc85EKS1_S1_EviT_T0_PT6_S3_lS6_S3_lS4_PT7_S3_li,comdat
	.globl	_ZL32rocblas_syrkx_herkx_small_kernelIl19rocblas_complex_numIdELi16ELb0ELb0ELc84ELc85EKS1_S1_EviT_T0_PT6_S3_lS6_S3_lS4_PT7_S3_li ; -- Begin function _ZL32rocblas_syrkx_herkx_small_kernelIl19rocblas_complex_numIdELi16ELb0ELb0ELc84ELc85EKS1_S1_EviT_T0_PT6_S3_lS6_S3_lS4_PT7_S3_li
	.p2align	8
	.type	_ZL32rocblas_syrkx_herkx_small_kernelIl19rocblas_complex_numIdELi16ELb0ELb0ELc84ELc85EKS1_S1_EviT_T0_PT6_S3_lS6_S3_lS4_PT7_S3_li,@function
_ZL32rocblas_syrkx_herkx_small_kernelIl19rocblas_complex_numIdELi16ELb0ELb0ELc84ELc85EKS1_S1_EviT_T0_PT6_S3_lS6_S3_lS4_PT7_S3_li: ; @_ZL32rocblas_syrkx_herkx_small_kernelIl19rocblas_complex_numIdELi16ELb0ELb0ELc84ELc85EKS1_S1_EviT_T0_PT6_S3_lS6_S3_lS4_PT7_S3_li
; %bb.0:
	s_clause 0x3
	s_load_b512 s[16:31], s[0:1], 0x8
	s_load_b32 s12, s[0:1], 0x0
	s_load_b128 s[36:39], s[0:1], 0x68
	s_load_b256 s[4:11], s[0:1], 0x48
	v_and_b32_e32 v16, 0x3ff, v0
	v_bfe_u32 v17, v0, 10, 10
	v_mov_b32_e32 v10, 0
	v_mov_b32_e32 v11, 0
	s_delay_alu instid0(VALU_DEP_4) | instskip(NEXT) | instid1(VALU_DEP_4)
	v_lshl_add_u32 v4, s13, 4, v16
	v_lshl_add_u32 v14, s14, 4, v17
	s_delay_alu instid0(VALU_DEP_3) | instskip(NEXT) | instid1(VALU_DEP_3)
	v_dual_mov_b32 v13, v11 :: v_dual_mov_b32 v12, v10
	v_ashrrev_i32_e32 v5, 31, v4
	s_delay_alu instid0(VALU_DEP_3) | instskip(SKIP_3) | instid1(VALU_DEP_2)
	v_ashrrev_i32_e32 v15, 31, v14
	s_waitcnt lgkmcnt(0)
	v_cmp_lt_i64_e64 s1, s[16:17], 1
	v_cmp_gt_i32_e64 s0, s12, v14
	s_and_b32 vcc_lo, exec_lo, s1
	s_cbranch_vccnz .LBB1214_11
; %bb.1:
	v_mul_lo_u32 v8, s31, v14
	v_mul_lo_u32 v9, s30, v15
	v_mad_u64_u32 v[1:2], null, s30, v14, 0
	v_mul_lo_u32 v10, s25, v4
	v_mul_lo_u32 v11, s24, v5
	v_mad_u64_u32 v[6:7], null, s24, v4, 0
	s_mul_i32 s1, s5, s15
	s_mul_hi_u32 s2, s4, s15
	s_delay_alu instid0(VALU_DEP_4) | instskip(SKIP_3) | instid1(VALU_DEP_3)
	v_add3_u32 v2, v2, v9, v8
	s_add_i32 s3, s2, s1
	s_mul_i32 s2, s4, s15
	v_dual_mov_b32 v0, 0 :: v_dual_lshlrev_b32 v3, 8, v17
	v_add3_u32 v7, v7, v11, v10
	v_lshlrev_b64 v[1:2], 4, v[1:2]
	s_lshl_b64 s[2:3], s[2:3], 4
	s_mul_i32 s1, s27, s15
	s_mul_hi_u32 s4, s26, s15
	v_lshlrev_b64 v[6:7], 4, v[6:7]
	v_lshlrev_b32_e32 v18, 4, v16
	s_add_i32 s5, s4, s1
	s_mul_i32 s4, s26, s15
	v_add_co_u32 v1, s1, v1, s2
	s_delay_alu instid0(VALU_DEP_1) | instskip(SKIP_4) | instid1(VALU_DEP_1)
	v_add_co_ci_u32_e64 v2, s1, s3, v2, s1
	s_lshl_b64 s[2:3], s[4:5], 4
	v_dual_mov_b32 v10, 0 :: v_dual_add_nc_u32 v19, 0x1000, v3
	v_dual_mov_b32 v11, 0 :: v_dual_add_nc_u32 v20, v18, v3
	v_add_co_u32 v3, s1, v6, s2
	v_add_co_ci_u32_e64 v6, s1, s3, v7, s1
	s_delay_alu instid0(VALU_DEP_3) | instskip(SKIP_2) | instid1(VALU_DEP_1)
	v_mov_b32_e32 v13, v11
	v_lshlrev_b32_e32 v7, 4, v17
	v_add_co_u32 v1, s1, v1, v18
	v_add_co_ci_u32_e64 v2, s1, 0, v2, s1
	s_delay_alu instid0(VALU_DEP_3) | instskip(NEXT) | instid1(VALU_DEP_1)
	v_add_co_u32 v3, s1, v3, v7
	v_add_co_ci_u32_e64 v9, s1, 0, v6, s1
	s_delay_alu instid0(VALU_DEP_4) | instskip(NEXT) | instid1(VALU_DEP_1)
	v_add_co_u32 v6, s1, s28, v1
	v_add_co_ci_u32_e64 v7, s1, s29, v2, s1
	v_cmp_gt_i32_e32 vcc_lo, s12, v4
	v_add_co_u32 v8, s1, s22, v3
	v_dual_mov_b32 v12, v10 :: v_dual_add_nc_u32 v21, v19, v18
	v_add_co_ci_u32_e64 v9, s1, s23, v9, s1
	s_mov_b64 s[2:3], 0
	s_xor_b32 s1, vcc_lo, -1
	s_xor_b32 s0, s0, -1
	s_branch .LBB1214_3
.LBB1214_2:                             ;   in Loop: Header=BB1214_3 Depth=1
	s_or_b32 exec_lo, exec_lo, s4
	s_waitcnt lgkmcnt(0)
	s_barrier
	buffer_gl0_inv
	ds_load_b128 v[22:25], v18
	ds_load_b128 v[26:29], v19
	ds_load_b128 v[30:33], v19 offset:16
	ds_load_b128 v[34:37], v18 offset:256
	s_add_u32 s2, s2, 16
	s_addc_u32 s3, s3, 0
	v_add_co_u32 v6, vcc_lo, 0x100, v6
	v_cmp_ge_i64_e64 s4, s[2:3], s[16:17]
	v_add_co_ci_u32_e32 v7, vcc_lo, 0, v7, vcc_lo
	v_add_co_u32 v8, vcc_lo, 0x100, v8
	v_add_co_ci_u32_e32 v9, vcc_lo, 0, v9, vcc_lo
	s_delay_alu instid0(VALU_DEP_4)
	s_and_b32 vcc_lo, exec_lo, s4
	s_waitcnt lgkmcnt(2)
	v_mul_f64 v[1:2], v[28:29], v[24:25]
	v_mul_f64 v[24:25], v[26:27], v[24:25]
	s_waitcnt lgkmcnt(0)
	v_mul_f64 v[44:45], v[32:33], v[36:37]
	v_mul_f64 v[46:47], v[30:31], v[36:37]
	s_delay_alu instid0(VALU_DEP_4) | instskip(NEXT) | instid1(VALU_DEP_4)
	v_fma_f64 v[1:2], v[26:27], v[22:23], -v[1:2]
	v_fma_f64 v[48:49], v[28:29], v[22:23], v[24:25]
	ds_load_b128 v[22:25], v18 offset:512
	ds_load_b128 v[26:29], v19 offset:32
	;; [unrolled: 1-line block ×4, first 2 shown]
	v_fma_f64 v[30:31], v[30:31], v[34:35], -v[44:45]
	v_fma_f64 v[32:33], v[32:33], v[34:35], v[46:47]
	s_waitcnt lgkmcnt(2)
	v_mul_f64 v[50:51], v[28:29], v[24:25]
	v_mul_f64 v[24:25], v[26:27], v[24:25]
	s_waitcnt lgkmcnt(0)
	v_mul_f64 v[34:35], v[38:39], v[42:43]
	v_mul_f64 v[42:43], v[36:37], v[42:43]
	v_add_f64 v[1:2], v[12:13], v[1:2]
	v_add_f64 v[10:11], v[10:11], v[48:49]
	v_fma_f64 v[44:45], v[26:27], v[22:23], -v[50:51]
	v_fma_f64 v[46:47], v[28:29], v[22:23], v[24:25]
	v_fma_f64 v[34:35], v[36:37], v[40:41], -v[34:35]
	v_fma_f64 v[36:37], v[38:39], v[40:41], v[42:43]
	v_add_f64 v[1:2], v[1:2], v[30:31]
	v_add_f64 v[48:49], v[10:11], v[32:33]
	ds_load_b128 v[10:13], v18 offset:1024
	ds_load_b128 v[22:25], v19 offset:64
	;; [unrolled: 1-line block ×4, first 2 shown]
	s_waitcnt lgkmcnt(2)
	v_mul_f64 v[50:51], v[24:25], v[12:13]
	v_mul_f64 v[12:13], v[22:23], v[12:13]
	s_waitcnt lgkmcnt(0)
	v_mul_f64 v[40:41], v[28:29], v[32:33]
	v_mul_f64 v[42:43], v[26:27], v[32:33]
	v_add_f64 v[1:2], v[1:2], v[44:45]
	v_add_f64 v[38:39], v[48:49], v[46:47]
	v_fma_f64 v[44:45], v[22:23], v[10:11], -v[50:51]
	v_fma_f64 v[46:47], v[24:25], v[10:11], v[12:13]
	v_fma_f64 v[26:27], v[26:27], v[30:31], -v[40:41]
	v_fma_f64 v[28:29], v[28:29], v[30:31], v[42:43]
	v_add_f64 v[1:2], v[1:2], v[34:35]
	v_add_f64 v[48:49], v[38:39], v[36:37]
	ds_load_b128 v[10:13], v18 offset:1536
	ds_load_b128 v[22:25], v19 offset:96
	;; [unrolled: 1-line block ×4, first 2 shown]
	s_waitcnt lgkmcnt(2)
	v_mul_f64 v[50:51], v[24:25], v[12:13]
	v_mul_f64 v[12:13], v[22:23], v[12:13]
	s_waitcnt lgkmcnt(0)
	v_mul_f64 v[42:43], v[34:35], v[38:39]
	v_add_f64 v[1:2], v[1:2], v[44:45]
	v_add_f64 v[30:31], v[48:49], v[46:47]
	v_mul_f64 v[44:45], v[32:33], v[38:39]
	v_fma_f64 v[46:47], v[22:23], v[10:11], -v[50:51]
	v_fma_f64 v[48:49], v[24:25], v[10:11], v[12:13]
	v_fma_f64 v[32:33], v[32:33], v[36:37], -v[42:43]
	v_add_f64 v[1:2], v[1:2], v[26:27]
	v_add_f64 v[30:31], v[30:31], v[28:29]
	ds_load_b128 v[10:13], v18 offset:2048
	ds_load_b128 v[22:25], v19 offset:128
	;; [unrolled: 1-line block ×4, first 2 shown]
	v_fma_f64 v[34:35], v[34:35], v[36:37], v[44:45]
	s_waitcnt lgkmcnt(2)
	v_mul_f64 v[50:51], v[24:25], v[12:13]
	v_mul_f64 v[12:13], v[22:23], v[12:13]
	s_waitcnt lgkmcnt(0)
	v_mul_f64 v[42:43], v[28:29], v[40:41]
	v_mul_f64 v[40:41], v[26:27], v[40:41]
	v_add_f64 v[1:2], v[1:2], v[46:47]
	v_add_f64 v[30:31], v[30:31], v[48:49]
	v_fma_f64 v[44:45], v[22:23], v[10:11], -v[50:51]
	v_fma_f64 v[46:47], v[24:25], v[10:11], v[12:13]
	v_fma_f64 v[26:27], v[26:27], v[38:39], -v[42:43]
	v_fma_f64 v[28:29], v[28:29], v[38:39], v[40:41]
	v_add_f64 v[1:2], v[1:2], v[32:33]
	v_add_f64 v[48:49], v[30:31], v[34:35]
	ds_load_b128 v[10:13], v18 offset:2560
	ds_load_b128 v[22:25], v19 offset:160
	;; [unrolled: 1-line block ×4, first 2 shown]
	s_waitcnt lgkmcnt(2)
	v_mul_f64 v[50:51], v[24:25], v[12:13]
	v_mul_f64 v[12:13], v[22:23], v[12:13]
	s_waitcnt lgkmcnt(0)
	v_mul_f64 v[40:41], v[32:33], v[36:37]
	v_mul_f64 v[42:43], v[30:31], v[36:37]
	v_add_f64 v[1:2], v[1:2], v[44:45]
	v_add_f64 v[38:39], v[48:49], v[46:47]
	v_fma_f64 v[44:45], v[22:23], v[10:11], -v[50:51]
	v_fma_f64 v[46:47], v[24:25], v[10:11], v[12:13]
	v_fma_f64 v[30:31], v[30:31], v[34:35], -v[40:41]
	v_fma_f64 v[32:33], v[32:33], v[34:35], v[42:43]
	v_add_f64 v[1:2], v[1:2], v[26:27]
	v_add_f64 v[48:49], v[38:39], v[28:29]
	ds_load_b128 v[10:13], v18 offset:3072
	ds_load_b128 v[22:25], v19 offset:192
	;; [unrolled: 1-line block ×4, first 2 shown]
	s_waitcnt lgkmcnt(2)
	v_mul_f64 v[50:51], v[24:25], v[12:13]
	v_mul_f64 v[12:13], v[22:23], v[12:13]
	s_waitcnt lgkmcnt(0)
	v_mul_f64 v[42:43], v[28:29], v[38:39]
	v_add_f64 v[1:2], v[1:2], v[44:45]
	v_add_f64 v[34:35], v[48:49], v[46:47]
	v_mul_f64 v[44:45], v[26:27], v[38:39]
	v_fma_f64 v[46:47], v[22:23], v[10:11], -v[50:51]
	v_fma_f64 v[48:49], v[24:25], v[10:11], v[12:13]
	v_fma_f64 v[26:27], v[26:27], v[36:37], -v[42:43]
	v_add_f64 v[1:2], v[1:2], v[30:31]
	v_add_f64 v[34:35], v[34:35], v[32:33]
	ds_load_b128 v[10:13], v18 offset:3584
	ds_load_b128 v[22:25], v19 offset:224
	;; [unrolled: 1-line block ×4, first 2 shown]
	v_fma_f64 v[28:29], v[28:29], v[36:37], v[44:45]
	s_waitcnt lgkmcnt(0)
	s_barrier
	buffer_gl0_inv
	v_mul_f64 v[50:51], v[24:25], v[12:13]
	v_mul_f64 v[12:13], v[22:23], v[12:13]
	;; [unrolled: 1-line block ×4, first 2 shown]
	v_add_f64 v[1:2], v[1:2], v[46:47]
	v_add_f64 v[34:35], v[34:35], v[48:49]
	v_fma_f64 v[22:23], v[22:23], v[10:11], -v[50:51]
	v_fma_f64 v[10:11], v[24:25], v[10:11], v[12:13]
	v_fma_f64 v[24:25], v[30:31], v[38:39], -v[36:37]
	v_add_f64 v[1:2], v[1:2], v[26:27]
	v_add_f64 v[12:13], v[34:35], v[28:29]
	v_fma_f64 v[26:27], v[32:33], v[38:39], v[40:41]
	s_delay_alu instid0(VALU_DEP_3) | instskip(NEXT) | instid1(VALU_DEP_3)
	v_add_f64 v[1:2], v[1:2], v[22:23]
	v_add_f64 v[10:11], v[12:13], v[10:11]
	s_delay_alu instid0(VALU_DEP_2) | instskip(NEXT) | instid1(VALU_DEP_2)
	v_add_f64 v[12:13], v[1:2], v[24:25]
	v_add_f64 v[10:11], v[10:11], v[26:27]
	s_cbranch_vccnz .LBB1214_11
.LBB1214_3:                             ; =>This Inner Loop Header: Depth=1
	v_add_co_u32 v1, s4, v17, s2
	s_delay_alu instid0(VALU_DEP_1) | instskip(NEXT) | instid1(VALU_DEP_1)
	v_add_co_ci_u32_e64 v2, null, 0, s3, s4
	v_cmp_le_i64_e32 vcc_lo, s[16:17], v[1:2]
	s_or_b32 s4, s1, vcc_lo
	s_delay_alu instid0(SALU_CYCLE_1) | instskip(NEXT) | instid1(SALU_CYCLE_1)
	s_and_saveexec_b32 s5, s4
	s_xor_b32 s4, exec_lo, s5
	s_cbranch_execz .LBB1214_5
; %bb.4:                                ;   in Loop: Header=BB1214_3 Depth=1
	v_mov_b32_e32 v1, v0
	v_mov_b32_e32 v2, v0
	;; [unrolled: 1-line block ×3, first 2 shown]
	ds_store_b128 v20, v[0:3]
.LBB1214_5:                             ;   in Loop: Header=BB1214_3 Depth=1
	s_and_not1_saveexec_b32 s4, s4
	s_cbranch_execz .LBB1214_7
; %bb.6:                                ;   in Loop: Header=BB1214_3 Depth=1
	global_load_b128 v[22:25], v[8:9], off
	s_waitcnt vmcnt(0)
	ds_store_2addr_b64 v20, v[22:23], v[24:25] offset1:1
.LBB1214_7:                             ;   in Loop: Header=BB1214_3 Depth=1
	s_or_b32 exec_lo, exec_lo, s4
	v_add_co_u32 v1, s4, v16, s2
	s_delay_alu instid0(VALU_DEP_1) | instskip(NEXT) | instid1(VALU_DEP_1)
	v_add_co_ci_u32_e64 v2, null, 0, s3, s4
	v_cmp_le_i64_e32 vcc_lo, s[16:17], v[1:2]
	s_or_b32 s4, s0, vcc_lo
	s_delay_alu instid0(SALU_CYCLE_1) | instskip(NEXT) | instid1(SALU_CYCLE_1)
	s_and_saveexec_b32 s5, s4
	s_xor_b32 s4, exec_lo, s5
	s_cbranch_execz .LBB1214_9
; %bb.8:                                ;   in Loop: Header=BB1214_3 Depth=1
	v_mov_b32_e32 v1, v0
	v_mov_b32_e32 v2, v0
	;; [unrolled: 1-line block ×3, first 2 shown]
	ds_store_b128 v21, v[0:3]
.LBB1214_9:                             ;   in Loop: Header=BB1214_3 Depth=1
	s_and_not1_saveexec_b32 s4, s4
	s_cbranch_execz .LBB1214_2
; %bb.10:                               ;   in Loop: Header=BB1214_3 Depth=1
	global_load_b128 v[22:25], v[6:7], off
	s_waitcnt vmcnt(0)
	ds_store_2addr_b64 v21, v[22:23], v[24:25] offset1:1
	s_branch .LBB1214_2
.LBB1214_11:
	v_cmp_le_i32_e32 vcc_lo, v4, v14
	v_cmp_gt_i32_e64 s0, s12, v14
	s_delay_alu instid0(VALU_DEP_1) | instskip(NEXT) | instid1(SALU_CYCLE_1)
	s_and_b32 s0, vcc_lo, s0
	s_and_saveexec_b32 s1, s0
	s_cbranch_execz .LBB1214_13
; %bb.12:
	v_mul_lo_u32 v2, v14, s37
	v_mul_lo_u32 v3, v15, s36
	v_mad_u64_u32 v[0:1], null, v14, s36, 0
	s_mul_i32 s1, s15, s39
	s_mul_hi_u32 s2, s15, s38
	s_mul_i32 s0, s15, s38
	s_add_i32 s1, s2, s1
	v_mul_f64 v[6:7], s[20:21], v[10:11]
	s_lshl_b64 s[0:1], s[0:1], 4
	s_delay_alu instid0(VALU_DEP_2)
	v_add3_u32 v1, v1, v2, v3
	s_add_u32 s0, s10, s0
	v_lshlrev_b64 v[2:3], 4, v[4:5]
	s_addc_u32 s1, s11, s1
	v_mul_f64 v[8:9], s[18:19], v[10:11]
	v_lshlrev_b64 v[0:1], 4, v[0:1]
	s_delay_alu instid0(VALU_DEP_1) | instskip(NEXT) | instid1(VALU_DEP_2)
	v_add_co_u32 v0, vcc_lo, s0, v0
	v_add_co_ci_u32_e32 v1, vcc_lo, s1, v1, vcc_lo
	s_delay_alu instid0(VALU_DEP_2) | instskip(NEXT) | instid1(VALU_DEP_2)
	v_add_co_u32 v4, vcc_lo, v0, v2
	v_add_co_ci_u32_e32 v5, vcc_lo, v1, v3, vcc_lo
	global_load_b128 v[0:3], v[4:5], off
	v_fma_f64 v[6:7], s[18:19], v[12:13], -v[6:7]
	v_fma_f64 v[8:9], s[20:21], v[12:13], v[8:9]
	s_waitcnt vmcnt(0)
	v_mul_f64 v[10:11], s[8:9], v[2:3]
	v_mul_f64 v[2:3], s[6:7], v[2:3]
	s_delay_alu instid0(VALU_DEP_2) | instskip(NEXT) | instid1(VALU_DEP_2)
	v_fma_f64 v[10:11], s[6:7], v[0:1], -v[10:11]
	v_fma_f64 v[2:3], s[8:9], v[0:1], v[2:3]
	s_delay_alu instid0(VALU_DEP_2) | instskip(NEXT) | instid1(VALU_DEP_2)
	v_add_f64 v[0:1], v[6:7], v[10:11]
	v_add_f64 v[2:3], v[8:9], v[2:3]
	global_store_b128 v[4:5], v[0:3], off
.LBB1214_13:
	s_nop 0
	s_sendmsg sendmsg(MSG_DEALLOC_VGPRS)
	s_endpgm
	.section	.rodata,"a",@progbits
	.p2align	6, 0x0
	.amdhsa_kernel _ZL32rocblas_syrkx_herkx_small_kernelIl19rocblas_complex_numIdELi16ELb0ELb0ELc84ELc85EKS1_S1_EviT_T0_PT6_S3_lS6_S3_lS4_PT7_S3_li
		.amdhsa_group_segment_fixed_size 8192
		.amdhsa_private_segment_fixed_size 0
		.amdhsa_kernarg_size 124
		.amdhsa_user_sgpr_count 13
		.amdhsa_user_sgpr_dispatch_ptr 0
		.amdhsa_user_sgpr_queue_ptr 0
		.amdhsa_user_sgpr_kernarg_segment_ptr 1
		.amdhsa_user_sgpr_dispatch_id 0
		.amdhsa_user_sgpr_private_segment_size 0
		.amdhsa_wavefront_size32 1
		.amdhsa_uses_dynamic_stack 0
		.amdhsa_enable_private_segment 0
		.amdhsa_system_sgpr_workgroup_id_x 1
		.amdhsa_system_sgpr_workgroup_id_y 1
		.amdhsa_system_sgpr_workgroup_id_z 1
		.amdhsa_system_sgpr_workgroup_info 0
		.amdhsa_system_vgpr_workitem_id 1
		.amdhsa_next_free_vgpr 52
		.amdhsa_next_free_sgpr 40
		.amdhsa_reserve_vcc 1
		.amdhsa_float_round_mode_32 0
		.amdhsa_float_round_mode_16_64 0
		.amdhsa_float_denorm_mode_32 3
		.amdhsa_float_denorm_mode_16_64 3
		.amdhsa_dx10_clamp 1
		.amdhsa_ieee_mode 1
		.amdhsa_fp16_overflow 0
		.amdhsa_workgroup_processor_mode 1
		.amdhsa_memory_ordered 1
		.amdhsa_forward_progress 0
		.amdhsa_shared_vgpr_count 0
		.amdhsa_exception_fp_ieee_invalid_op 0
		.amdhsa_exception_fp_denorm_src 0
		.amdhsa_exception_fp_ieee_div_zero 0
		.amdhsa_exception_fp_ieee_overflow 0
		.amdhsa_exception_fp_ieee_underflow 0
		.amdhsa_exception_fp_ieee_inexact 0
		.amdhsa_exception_int_div_zero 0
	.end_amdhsa_kernel
	.section	.text._ZL32rocblas_syrkx_herkx_small_kernelIl19rocblas_complex_numIdELi16ELb0ELb0ELc84ELc85EKS1_S1_EviT_T0_PT6_S3_lS6_S3_lS4_PT7_S3_li,"axG",@progbits,_ZL32rocblas_syrkx_herkx_small_kernelIl19rocblas_complex_numIdELi16ELb0ELb0ELc84ELc85EKS1_S1_EviT_T0_PT6_S3_lS6_S3_lS4_PT7_S3_li,comdat
.Lfunc_end1214:
	.size	_ZL32rocblas_syrkx_herkx_small_kernelIl19rocblas_complex_numIdELi16ELb0ELb0ELc84ELc85EKS1_S1_EviT_T0_PT6_S3_lS6_S3_lS4_PT7_S3_li, .Lfunc_end1214-_ZL32rocblas_syrkx_herkx_small_kernelIl19rocblas_complex_numIdELi16ELb0ELb0ELc84ELc85EKS1_S1_EviT_T0_PT6_S3_lS6_S3_lS4_PT7_S3_li
                                        ; -- End function
	.section	.AMDGPU.csdata,"",@progbits
; Kernel info:
; codeLenInByte = 2076
; NumSgprs: 42
; NumVgprs: 52
; ScratchSize: 0
; MemoryBound: 0
; FloatMode: 240
; IeeeMode: 1
; LDSByteSize: 8192 bytes/workgroup (compile time only)
; SGPRBlocks: 5
; VGPRBlocks: 6
; NumSGPRsForWavesPerEU: 42
; NumVGPRsForWavesPerEU: 52
; Occupancy: 16
; WaveLimiterHint : 0
; COMPUTE_PGM_RSRC2:SCRATCH_EN: 0
; COMPUTE_PGM_RSRC2:USER_SGPR: 13
; COMPUTE_PGM_RSRC2:TRAP_HANDLER: 0
; COMPUTE_PGM_RSRC2:TGID_X_EN: 1
; COMPUTE_PGM_RSRC2:TGID_Y_EN: 1
; COMPUTE_PGM_RSRC2:TGID_Z_EN: 1
; COMPUTE_PGM_RSRC2:TIDIG_COMP_CNT: 1
	.section	.text._ZL32rocblas_syrkx_herkx_small_kernelIl19rocblas_complex_numIdELi16ELb0ELb0ELc67ELc85EKS1_S1_EviT_T0_PT6_S3_lS6_S3_lS4_PT7_S3_li,"axG",@progbits,_ZL32rocblas_syrkx_herkx_small_kernelIl19rocblas_complex_numIdELi16ELb0ELb0ELc67ELc85EKS1_S1_EviT_T0_PT6_S3_lS6_S3_lS4_PT7_S3_li,comdat
	.globl	_ZL32rocblas_syrkx_herkx_small_kernelIl19rocblas_complex_numIdELi16ELb0ELb0ELc67ELc85EKS1_S1_EviT_T0_PT6_S3_lS6_S3_lS4_PT7_S3_li ; -- Begin function _ZL32rocblas_syrkx_herkx_small_kernelIl19rocblas_complex_numIdELi16ELb0ELb0ELc67ELc85EKS1_S1_EviT_T0_PT6_S3_lS6_S3_lS4_PT7_S3_li
	.p2align	8
	.type	_ZL32rocblas_syrkx_herkx_small_kernelIl19rocblas_complex_numIdELi16ELb0ELb0ELc67ELc85EKS1_S1_EviT_T0_PT6_S3_lS6_S3_lS4_PT7_S3_li,@function
_ZL32rocblas_syrkx_herkx_small_kernelIl19rocblas_complex_numIdELi16ELb0ELb0ELc67ELc85EKS1_S1_EviT_T0_PT6_S3_lS6_S3_lS4_PT7_S3_li: ; @_ZL32rocblas_syrkx_herkx_small_kernelIl19rocblas_complex_numIdELi16ELb0ELb0ELc67ELc85EKS1_S1_EviT_T0_PT6_S3_lS6_S3_lS4_PT7_S3_li
; %bb.0:
	s_clause 0x3
	s_load_b512 s[16:31], s[0:1], 0x8
	s_load_b32 s12, s[0:1], 0x0
	s_load_b128 s[36:39], s[0:1], 0x68
	s_load_b256 s[4:11], s[0:1], 0x48
	v_and_b32_e32 v19, 0x3ff, v0
	v_bfe_u32 v20, v0, 10, 10
	v_mov_b32_e32 v15, 0
	v_mov_b32_e32 v16, 0
	s_delay_alu instid0(VALU_DEP_2) | instskip(SKIP_2) | instid1(VALU_DEP_4)
	v_mov_b32_e32 v13, v15
	v_lshl_add_u32 v5, s13, 4, v19
	v_lshl_add_u32 v17, s14, 4, v20
	v_mov_b32_e32 v14, v16
	s_delay_alu instid0(VALU_DEP_3) | instskip(NEXT) | instid1(VALU_DEP_3)
	v_ashrrev_i32_e32 v6, 31, v5
	v_ashrrev_i32_e32 v18, 31, v17
	s_waitcnt lgkmcnt(0)
	v_cmp_lt_i64_e64 s0, s[16:17], 1
	v_cmp_gt_i32_e64 s1, s12, v17
	s_delay_alu instid0(VALU_DEP_2)
	s_and_b32 vcc_lo, exec_lo, s0
	s_cbranch_vccnz .LBB1215_9
; %bb.1:
	v_mul_lo_u32 v0, s31, v17
	v_mul_lo_u32 v3, s30, v18
	v_mad_u64_u32 v[1:2], null, s30, v17, 0
	v_mul_lo_u32 v8, s25, v5
	v_mul_lo_u32 v9, s24, v6
	s_mul_i32 s2, s5, s15
	s_mul_hi_u32 s3, s4, s15
	s_mul_hi_u32 s5, s26, s15
	s_add_i32 s3, s3, s2
	s_delay_alu instid0(VALU_DEP_3)
	v_add3_u32 v2, v2, v3, v0
	v_mad_u64_u32 v[3:4], null, s24, v5, 0
	s_mul_i32 s2, s4, s15
	s_mul_i32 s4, s27, s15
	v_dual_mov_b32 v0, 0 :: v_dual_lshlrev_b32 v7, 8, v20
	v_lshlrev_b32_e32 v21, 4, v19
	s_add_i32 s5, s5, s4
	s_delay_alu instid0(VALU_DEP_3)
	v_add3_u32 v4, v4, v9, v8
	s_mul_i32 s4, s26, s15
	v_lshlrev_b64 v[1:2], 4, v[1:2]
	s_lshl_b64 s[4:5], s[4:5], 4
	v_add_nc_u32_e32 v22, 0x1000, v7
	v_lshlrev_b64 v[3:4], 4, v[3:4]
	v_add_nc_u32_e32 v23, v21, v7
	s_lshl_b64 s[2:3], s[2:3], 4
	v_lshlrev_b32_e32 v7, 4, v20
	v_cmp_gt_i32_e64 s0, s12, v5
	s_xor_b32 s1, s1, -1
	v_add_co_u32 v3, vcc_lo, v3, s4
	v_add_co_ci_u32_e32 v4, vcc_lo, s5, v4, vcc_lo
	v_add_co_u32 v1, vcc_lo, v1, s2
	v_add_co_ci_u32_e32 v2, vcc_lo, s3, v2, vcc_lo
	s_delay_alu instid0(VALU_DEP_4) | instskip(NEXT) | instid1(VALU_DEP_4)
	v_add_co_u32 v3, vcc_lo, v3, v7
	v_add_co_ci_u32_e32 v4, vcc_lo, 0, v4, vcc_lo
	v_mov_b32_e32 v7, 0
	v_mov_b32_e32 v8, 0
	v_add_co_u32 v1, vcc_lo, v1, v21
	v_add_co_ci_u32_e32 v2, vcc_lo, 0, v2, vcc_lo
	s_delay_alu instid0(VALU_DEP_3) | instskip(SKIP_4) | instid1(VALU_DEP_4)
	v_mov_b32_e32 v16, v8
	v_add_co_u32 v3, vcc_lo, v3, s22
	v_add_co_ci_u32_e32 v4, vcc_lo, s23, v4, vcc_lo
	v_add_co_u32 v9, vcc_lo, s28, v1
	v_add_co_ci_u32_e32 v10, vcc_lo, s29, v2, vcc_lo
	v_add_co_u32 v11, vcc_lo, v3, 8
	v_dual_mov_b32 v15, v7 :: v_dual_add_nc_u32 v24, v22, v21
	v_add_co_ci_u32_e32 v12, vcc_lo, 0, v4, vcc_lo
	v_dual_mov_b32 v14, v8 :: v_dual_mov_b32 v13, v7
	s_mov_b64 s[2:3], 0
	s_branch .LBB1215_3
.LBB1215_2:                             ;   in Loop: Header=BB1215_3 Depth=1
	s_or_b32 exec_lo, exec_lo, s4
	s_waitcnt lgkmcnt(0)
	s_barrier
	buffer_gl0_inv
	ds_load_b128 v[1:4], v21
	ds_load_b128 v[25:28], v22
	ds_load_b128 v[29:32], v22 offset:16
	ds_load_b128 v[33:36], v21 offset:256
	s_add_u32 s2, s2, 16
	s_addc_u32 s3, s3, 0
	v_add_co_u32 v9, vcc_lo, 0x100, v9
	v_cmp_ge_i64_e64 s4, s[2:3], s[16:17]
	v_add_co_ci_u32_e32 v10, vcc_lo, 0, v10, vcc_lo
	v_add_co_u32 v11, vcc_lo, 0x100, v11
	v_add_co_ci_u32_e32 v12, vcc_lo, 0, v12, vcc_lo
	s_delay_alu instid0(VALU_DEP_4)
	s_and_b32 vcc_lo, exec_lo, s4
	s_waitcnt lgkmcnt(2)
	v_mul_f64 v[37:38], v[27:28], v[3:4]
	v_mul_f64 v[3:4], v[25:26], v[3:4]
	s_waitcnt lgkmcnt(0)
	v_mul_f64 v[43:44], v[31:32], v[35:36]
	v_mul_f64 v[45:46], v[29:30], v[35:36]
	s_delay_alu instid0(VALU_DEP_4) | instskip(NEXT) | instid1(VALU_DEP_4)
	v_fma_f64 v[47:48], v[25:26], v[1:2], -v[37:38]
	v_fma_f64 v[49:50], v[27:28], v[1:2], v[3:4]
	ds_load_b128 v[1:4], v21 offset:512
	ds_load_b128 v[25:28], v22 offset:32
	ds_load_b128 v[35:38], v22 offset:48
	ds_load_b128 v[39:42], v21 offset:768
	v_fma_f64 v[29:30], v[29:30], v[33:34], -v[43:44]
	v_fma_f64 v[31:32], v[31:32], v[33:34], v[45:46]
	s_waitcnt lgkmcnt(2)
	v_mul_f64 v[51:52], v[27:28], v[3:4]
	v_mul_f64 v[3:4], v[25:26], v[3:4]
	s_waitcnt lgkmcnt(0)
	v_mul_f64 v[33:34], v[37:38], v[41:42]
	v_mul_f64 v[41:42], v[35:36], v[41:42]
	v_add_f64 v[13:14], v[13:14], v[47:48]
	v_add_f64 v[15:16], v[15:16], v[49:50]
	v_fma_f64 v[43:44], v[25:26], v[1:2], -v[51:52]
	v_fma_f64 v[45:46], v[27:28], v[1:2], v[3:4]
	v_fma_f64 v[33:34], v[35:36], v[39:40], -v[33:34]
	v_fma_f64 v[35:36], v[37:38], v[39:40], v[41:42]
	v_add_f64 v[47:48], v[13:14], v[29:30]
	v_add_f64 v[49:50], v[15:16], v[31:32]
	ds_load_b128 v[1:4], v21 offset:1024
	ds_load_b128 v[13:16], v22 offset:64
	;; [unrolled: 1-line block ×4, first 2 shown]
	s_waitcnt lgkmcnt(2)
	v_mul_f64 v[51:52], v[15:16], v[3:4]
	v_mul_f64 v[3:4], v[13:14], v[3:4]
	s_waitcnt lgkmcnt(0)
	v_mul_f64 v[41:42], v[27:28], v[31:32]
	v_add_f64 v[37:38], v[47:48], v[43:44]
	v_add_f64 v[39:40], v[49:50], v[45:46]
	v_mul_f64 v[43:44], v[25:26], v[31:32]
	v_fma_f64 v[45:46], v[13:14], v[1:2], -v[51:52]
	v_fma_f64 v[47:48], v[15:16], v[1:2], v[3:4]
	v_fma_f64 v[25:26], v[25:26], v[29:30], -v[41:42]
	v_add_f64 v[49:50], v[37:38], v[33:34]
	v_add_f64 v[39:40], v[39:40], v[35:36]
	ds_load_b128 v[1:4], v21 offset:1536
	ds_load_b128 v[13:16], v22 offset:96
	;; [unrolled: 1-line block ×4, first 2 shown]
	v_fma_f64 v[27:28], v[27:28], v[29:30], v[43:44]
	s_waitcnt lgkmcnt(2)
	v_mul_f64 v[51:52], v[15:16], v[3:4]
	v_mul_f64 v[3:4], v[13:14], v[3:4]
	s_waitcnt lgkmcnt(0)
	v_mul_f64 v[41:42], v[33:34], v[37:38]
	v_mul_f64 v[43:44], v[31:32], v[37:38]
	v_add_f64 v[29:30], v[49:50], v[45:46]
	v_add_f64 v[39:40], v[39:40], v[47:48]
	v_fma_f64 v[45:46], v[13:14], v[1:2], -v[51:52]
	v_fma_f64 v[47:48], v[15:16], v[1:2], v[3:4]
	v_fma_f64 v[31:32], v[31:32], v[35:36], -v[41:42]
	v_fma_f64 v[33:34], v[33:34], v[35:36], v[43:44]
	v_add_f64 v[29:30], v[29:30], v[25:26]
	v_add_f64 v[49:50], v[39:40], v[27:28]
	ds_load_b128 v[1:4], v21 offset:2048
	ds_load_b128 v[13:16], v22 offset:128
	;; [unrolled: 1-line block ×4, first 2 shown]
	s_waitcnt lgkmcnt(2)
	v_mul_f64 v[51:52], v[15:16], v[3:4]
	v_mul_f64 v[3:4], v[13:14], v[3:4]
	s_waitcnt lgkmcnt(0)
	v_mul_f64 v[41:42], v[27:28], v[39:40]
	v_mul_f64 v[39:40], v[25:26], v[39:40]
	v_add_f64 v[29:30], v[29:30], v[45:46]
	v_add_f64 v[35:36], v[49:50], v[47:48]
	v_fma_f64 v[43:44], v[13:14], v[1:2], -v[51:52]
	v_fma_f64 v[45:46], v[15:16], v[1:2], v[3:4]
	v_fma_f64 v[25:26], v[25:26], v[37:38], -v[41:42]
	v_fma_f64 v[27:28], v[27:28], v[37:38], v[39:40]
	v_add_f64 v[47:48], v[29:30], v[31:32]
	v_add_f64 v[49:50], v[35:36], v[33:34]
	ds_load_b128 v[1:4], v21 offset:2560
	ds_load_b128 v[13:16], v22 offset:160
	ds_load_b128 v[29:32], v22 offset:176
	ds_load_b128 v[33:36], v21 offset:2816
	s_waitcnt lgkmcnt(2)
	v_mul_f64 v[51:52], v[15:16], v[3:4]
	v_mul_f64 v[3:4], v[13:14], v[3:4]
	s_waitcnt lgkmcnt(0)
	v_mul_f64 v[41:42], v[31:32], v[35:36]
	v_add_f64 v[37:38], v[47:48], v[43:44]
	v_add_f64 v[39:40], v[49:50], v[45:46]
	v_mul_f64 v[43:44], v[29:30], v[35:36]
	v_fma_f64 v[45:46], v[13:14], v[1:2], -v[51:52]
	v_fma_f64 v[47:48], v[15:16], v[1:2], v[3:4]
	v_fma_f64 v[29:30], v[29:30], v[33:34], -v[41:42]
	v_add_f64 v[49:50], v[37:38], v[25:26]
	v_add_f64 v[39:40], v[39:40], v[27:28]
	ds_load_b128 v[1:4], v21 offset:3072
	ds_load_b128 v[13:16], v22 offset:192
	ds_load_b128 v[25:28], v22 offset:208
	ds_load_b128 v[35:38], v21 offset:3328
	v_fma_f64 v[31:32], v[31:32], v[33:34], v[43:44]
	s_waitcnt lgkmcnt(2)
	v_mul_f64 v[51:52], v[15:16], v[3:4]
	v_mul_f64 v[3:4], v[13:14], v[3:4]
	s_waitcnt lgkmcnt(0)
	v_mul_f64 v[41:42], v[27:28], v[37:38]
	v_mul_f64 v[43:44], v[25:26], v[37:38]
	v_add_f64 v[33:34], v[49:50], v[45:46]
	v_add_f64 v[39:40], v[39:40], v[47:48]
	v_fma_f64 v[45:46], v[13:14], v[1:2], -v[51:52]
	v_fma_f64 v[47:48], v[15:16], v[1:2], v[3:4]
	v_fma_f64 v[25:26], v[25:26], v[35:36], -v[41:42]
	v_fma_f64 v[27:28], v[27:28], v[35:36], v[43:44]
	v_add_f64 v[33:34], v[33:34], v[29:30]
	v_add_f64 v[49:50], v[39:40], v[31:32]
	ds_load_b128 v[1:4], v21 offset:3584
	ds_load_b128 v[13:16], v22 offset:224
	;; [unrolled: 1-line block ×4, first 2 shown]
	s_waitcnt lgkmcnt(0)
	s_barrier
	buffer_gl0_inv
	v_mul_f64 v[51:52], v[15:16], v[3:4]
	v_mul_f64 v[3:4], v[13:14], v[3:4]
	;; [unrolled: 1-line block ×4, first 2 shown]
	v_add_f64 v[33:34], v[33:34], v[45:46]
	v_add_f64 v[35:36], v[49:50], v[47:48]
	v_fma_f64 v[13:14], v[13:14], v[1:2], -v[51:52]
	v_fma_f64 v[1:2], v[15:16], v[1:2], v[3:4]
	s_delay_alu instid0(VALU_DEP_4) | instskip(NEXT) | instid1(VALU_DEP_4)
	v_add_f64 v[3:4], v[33:34], v[25:26]
	v_add_f64 v[15:16], v[35:36], v[27:28]
	v_fma_f64 v[25:26], v[29:30], v[37:38], -v[41:42]
	v_fma_f64 v[27:28], v[31:32], v[37:38], v[39:40]
	s_delay_alu instid0(VALU_DEP_4) | instskip(NEXT) | instid1(VALU_DEP_4)
	v_add_f64 v[3:4], v[3:4], v[13:14]
	v_add_f64 v[1:2], v[15:16], v[1:2]
	s_delay_alu instid0(VALU_DEP_2) | instskip(NEXT) | instid1(VALU_DEP_2)
	v_add_f64 v[13:14], v[3:4], v[25:26]
	v_add_f64 v[15:16], v[1:2], v[27:28]
	s_cbranch_vccnz .LBB1215_9
.LBB1215_3:                             ; =>This Inner Loop Header: Depth=1
	v_add_co_u32 v1, s4, v20, s2
	s_delay_alu instid0(VALU_DEP_1) | instskip(SKIP_1) | instid1(VALU_DEP_2)
	v_add_co_ci_u32_e64 v2, null, 0, s3, s4
	v_dual_mov_b32 v3, v7 :: v_dual_mov_b32 v4, v8
	v_cmp_gt_i64_e32 vcc_lo, s[16:17], v[1:2]
	v_dual_mov_b32 v1, v7 :: v_dual_mov_b32 v2, v8
	s_and_b32 s5, s0, vcc_lo
	s_delay_alu instid0(SALU_CYCLE_1)
	s_and_saveexec_b32 s4, s5
	s_cbranch_execz .LBB1215_5
; %bb.4:                                ;   in Loop: Header=BB1215_3 Depth=1
	global_load_b128 v[1:4], v[11:12], off offset:-8
.LBB1215_5:                             ;   in Loop: Header=BB1215_3 Depth=1
	s_or_b32 exec_lo, exec_lo, s4
	v_add_co_u32 v25, s4, v19, s2
	s_delay_alu instid0(VALU_DEP_1) | instskip(SKIP_4) | instid1(SALU_CYCLE_1)
	v_add_co_ci_u32_e64 v26, null, 0, s3, s4
	s_waitcnt vmcnt(0)
	ds_store_b128 v23, v[1:4]
	v_cmp_le_i64_e32 vcc_lo, s[16:17], v[25:26]
	s_or_b32 s4, s1, vcc_lo
	s_and_saveexec_b32 s5, s4
	s_delay_alu instid0(SALU_CYCLE_1)
	s_xor_b32 s4, exec_lo, s5
	s_cbranch_execz .LBB1215_7
; %bb.6:                                ;   in Loop: Header=BB1215_3 Depth=1
	v_mov_b32_e32 v1, v0
	v_mov_b32_e32 v2, v0
	;; [unrolled: 1-line block ×3, first 2 shown]
	ds_store_b128 v24, v[0:3]
.LBB1215_7:                             ;   in Loop: Header=BB1215_3 Depth=1
	s_and_not1_saveexec_b32 s4, s4
	s_cbranch_execz .LBB1215_2
; %bb.8:                                ;   in Loop: Header=BB1215_3 Depth=1
	global_load_b128 v[1:4], v[9:10], off
	s_waitcnt vmcnt(0)
	ds_store_2addr_b64 v24, v[1:2], v[3:4] offset1:1
	s_branch .LBB1215_2
.LBB1215_9:
	v_cmp_le_i32_e32 vcc_lo, v5, v17
	v_cmp_gt_i32_e64 s0, s12, v17
	s_delay_alu instid0(VALU_DEP_1) | instskip(NEXT) | instid1(SALU_CYCLE_1)
	s_and_b32 s0, vcc_lo, s0
	s_and_saveexec_b32 s1, s0
	s_cbranch_execz .LBB1215_11
; %bb.10:
	v_mul_lo_u32 v2, v17, s37
	v_mul_lo_u32 v3, v18, s36
	v_mad_u64_u32 v[0:1], null, v17, s36, 0
	s_mul_i32 s1, s15, s39
	s_mul_hi_u32 s2, s15, s38
	s_mul_i32 s0, s15, s38
	s_add_i32 s1, s2, s1
	v_mul_f64 v[8:9], s[18:19], v[15:16]
	s_lshl_b64 s[0:1], s[0:1], 4
	s_delay_alu instid0(VALU_DEP_2)
	v_add3_u32 v1, v1, v2, v3
	s_add_u32 s0, s10, s0
	v_lshlrev_b64 v[2:3], 4, v[5:6]
	s_addc_u32 s1, s11, s1
	v_mul_f64 v[6:7], s[20:21], v[15:16]
	v_lshlrev_b64 v[0:1], 4, v[0:1]
	s_delay_alu instid0(VALU_DEP_1) | instskip(NEXT) | instid1(VALU_DEP_2)
	v_add_co_u32 v0, vcc_lo, s0, v0
	v_add_co_ci_u32_e32 v1, vcc_lo, s1, v1, vcc_lo
	s_delay_alu instid0(VALU_DEP_2) | instskip(NEXT) | instid1(VALU_DEP_2)
	v_add_co_u32 v4, vcc_lo, v0, v2
	v_add_co_ci_u32_e32 v5, vcc_lo, v1, v3, vcc_lo
	global_load_b128 v[0:3], v[4:5], off
	v_fma_f64 v[8:9], s[20:21], v[13:14], v[8:9]
	v_fma_f64 v[6:7], s[18:19], v[13:14], -v[6:7]
	s_waitcnt vmcnt(0)
	v_mul_f64 v[10:11], s[8:9], v[2:3]
	v_mul_f64 v[2:3], s[6:7], v[2:3]
	s_delay_alu instid0(VALU_DEP_2) | instskip(NEXT) | instid1(VALU_DEP_2)
	v_fma_f64 v[10:11], s[6:7], v[0:1], -v[10:11]
	v_fma_f64 v[2:3], s[8:9], v[0:1], v[2:3]
	s_delay_alu instid0(VALU_DEP_2) | instskip(NEXT) | instid1(VALU_DEP_2)
	v_add_f64 v[0:1], v[6:7], v[10:11]
	v_add_f64 v[2:3], v[8:9], v[2:3]
	global_store_b128 v[4:5], v[0:3], off
.LBB1215_11:
	s_nop 0
	s_sendmsg sendmsg(MSG_DEALLOC_VGPRS)
	s_endpgm
	.section	.rodata,"a",@progbits
	.p2align	6, 0x0
	.amdhsa_kernel _ZL32rocblas_syrkx_herkx_small_kernelIl19rocblas_complex_numIdELi16ELb0ELb0ELc67ELc85EKS1_S1_EviT_T0_PT6_S3_lS6_S3_lS4_PT7_S3_li
		.amdhsa_group_segment_fixed_size 8192
		.amdhsa_private_segment_fixed_size 0
		.amdhsa_kernarg_size 124
		.amdhsa_user_sgpr_count 13
		.amdhsa_user_sgpr_dispatch_ptr 0
		.amdhsa_user_sgpr_queue_ptr 0
		.amdhsa_user_sgpr_kernarg_segment_ptr 1
		.amdhsa_user_sgpr_dispatch_id 0
		.amdhsa_user_sgpr_private_segment_size 0
		.amdhsa_wavefront_size32 1
		.amdhsa_uses_dynamic_stack 0
		.amdhsa_enable_private_segment 0
		.amdhsa_system_sgpr_workgroup_id_x 1
		.amdhsa_system_sgpr_workgroup_id_y 1
		.amdhsa_system_sgpr_workgroup_id_z 1
		.amdhsa_system_sgpr_workgroup_info 0
		.amdhsa_system_vgpr_workitem_id 1
		.amdhsa_next_free_vgpr 53
		.amdhsa_next_free_sgpr 40
		.amdhsa_reserve_vcc 1
		.amdhsa_float_round_mode_32 0
		.amdhsa_float_round_mode_16_64 0
		.amdhsa_float_denorm_mode_32 3
		.amdhsa_float_denorm_mode_16_64 3
		.amdhsa_dx10_clamp 1
		.amdhsa_ieee_mode 1
		.amdhsa_fp16_overflow 0
		.amdhsa_workgroup_processor_mode 1
		.amdhsa_memory_ordered 1
		.amdhsa_forward_progress 0
		.amdhsa_shared_vgpr_count 0
		.amdhsa_exception_fp_ieee_invalid_op 0
		.amdhsa_exception_fp_denorm_src 0
		.amdhsa_exception_fp_ieee_div_zero 0
		.amdhsa_exception_fp_ieee_overflow 0
		.amdhsa_exception_fp_ieee_underflow 0
		.amdhsa_exception_fp_ieee_inexact 0
		.amdhsa_exception_int_div_zero 0
	.end_amdhsa_kernel
	.section	.text._ZL32rocblas_syrkx_herkx_small_kernelIl19rocblas_complex_numIdELi16ELb0ELb0ELc67ELc85EKS1_S1_EviT_T0_PT6_S3_lS6_S3_lS4_PT7_S3_li,"axG",@progbits,_ZL32rocblas_syrkx_herkx_small_kernelIl19rocblas_complex_numIdELi16ELb0ELb0ELc67ELc85EKS1_S1_EviT_T0_PT6_S3_lS6_S3_lS4_PT7_S3_li,comdat
.Lfunc_end1215:
	.size	_ZL32rocblas_syrkx_herkx_small_kernelIl19rocblas_complex_numIdELi16ELb0ELb0ELc67ELc85EKS1_S1_EviT_T0_PT6_S3_lS6_S3_lS4_PT7_S3_li, .Lfunc_end1215-_ZL32rocblas_syrkx_herkx_small_kernelIl19rocblas_complex_numIdELi16ELb0ELb0ELc67ELc85EKS1_S1_EviT_T0_PT6_S3_lS6_S3_lS4_PT7_S3_li
                                        ; -- End function
	.section	.AMDGPU.csdata,"",@progbits
; Kernel info:
; codeLenInByte = 2056
; NumSgprs: 42
; NumVgprs: 53
; ScratchSize: 0
; MemoryBound: 1
; FloatMode: 240
; IeeeMode: 1
; LDSByteSize: 8192 bytes/workgroup (compile time only)
; SGPRBlocks: 5
; VGPRBlocks: 6
; NumSGPRsForWavesPerEU: 42
; NumVGPRsForWavesPerEU: 53
; Occupancy: 16
; WaveLimiterHint : 0
; COMPUTE_PGM_RSRC2:SCRATCH_EN: 0
; COMPUTE_PGM_RSRC2:USER_SGPR: 13
; COMPUTE_PGM_RSRC2:TRAP_HANDLER: 0
; COMPUTE_PGM_RSRC2:TGID_X_EN: 1
; COMPUTE_PGM_RSRC2:TGID_Y_EN: 1
; COMPUTE_PGM_RSRC2:TGID_Z_EN: 1
; COMPUTE_PGM_RSRC2:TIDIG_COMP_CNT: 1
	.section	.text._ZL32rocblas_syrkx_herkx_small_kernelIl19rocblas_complex_numIdELi16ELb0ELb0ELc78ELc85EKS1_S1_EviT_T0_PT6_S3_lS6_S3_lS4_PT7_S3_li,"axG",@progbits,_ZL32rocblas_syrkx_herkx_small_kernelIl19rocblas_complex_numIdELi16ELb0ELb0ELc78ELc85EKS1_S1_EviT_T0_PT6_S3_lS6_S3_lS4_PT7_S3_li,comdat
	.globl	_ZL32rocblas_syrkx_herkx_small_kernelIl19rocblas_complex_numIdELi16ELb0ELb0ELc78ELc85EKS1_S1_EviT_T0_PT6_S3_lS6_S3_lS4_PT7_S3_li ; -- Begin function _ZL32rocblas_syrkx_herkx_small_kernelIl19rocblas_complex_numIdELi16ELb0ELb0ELc78ELc85EKS1_S1_EviT_T0_PT6_S3_lS6_S3_lS4_PT7_S3_li
	.p2align	8
	.type	_ZL32rocblas_syrkx_herkx_small_kernelIl19rocblas_complex_numIdELi16ELb0ELb0ELc78ELc85EKS1_S1_EviT_T0_PT6_S3_lS6_S3_lS4_PT7_S3_li,@function
_ZL32rocblas_syrkx_herkx_small_kernelIl19rocblas_complex_numIdELi16ELb0ELb0ELc78ELc85EKS1_S1_EviT_T0_PT6_S3_lS6_S3_lS4_PT7_S3_li: ; @_ZL32rocblas_syrkx_herkx_small_kernelIl19rocblas_complex_numIdELi16ELb0ELb0ELc78ELc85EKS1_S1_EviT_T0_PT6_S3_lS6_S3_lS4_PT7_S3_li
; %bb.0:
	s_clause 0x3
	s_load_b512 s[16:31], s[0:1], 0x8
	s_load_b32 s33, s[0:1], 0x0
	s_load_b128 s[36:39], s[0:1], 0x68
	s_load_b256 s[4:11], s[0:1], 0x48
	v_and_b32_e32 v17, 0x3ff, v0
	v_bfe_u32 v18, v0, 10, 10
	v_mov_b32_e32 v13, 0
	v_mov_b32_e32 v14, 0
	s_delay_alu instid0(VALU_DEP_4) | instskip(NEXT) | instid1(VALU_DEP_4)
	v_lshl_add_u32 v5, s13, 4, v17
	v_lshl_add_u32 v7, s14, 4, v18
	s_delay_alu instid0(VALU_DEP_3) | instskip(NEXT) | instid1(VALU_DEP_3)
	v_dual_mov_b32 v16, v14 :: v_dual_mov_b32 v15, v13
	v_ashrrev_i32_e32 v6, 31, v5
	s_delay_alu instid0(VALU_DEP_3) | instskip(SKIP_3) | instid1(VALU_DEP_2)
	v_ashrrev_i32_e32 v8, 31, v7
	s_waitcnt lgkmcnt(0)
	v_cmp_lt_i64_e64 s1, s[16:17], 1
	v_cmp_gt_i32_e64 s0, s33, v7
	s_and_b32 vcc_lo, exec_lo, s1
	s_cbranch_vccnz .LBB1216_9
; %bb.1:
	v_mad_u64_u32 v[1:2], null, s30, v17, 0
	v_mad_u64_u32 v[9:10], null, s24, v18, 0
	v_dual_mov_b32 v0, 0 :: v_dual_lshlrev_b32 v15, 8, v18
	s_mul_i32 s1, s5, s15
	s_mul_hi_u32 s3, s4, s15
	s_delay_alu instid0(VALU_DEP_3)
	v_mad_u64_u32 v[3:4], null, s31, v17, v[2:3]
	v_lshlrev_b32_e32 v19, 4, v17
	s_mul_i32 s2, s4, s15
	s_add_i32 s3, s3, s1
	v_lshlrev_b64 v[11:12], 4, v[7:8]
	s_lshl_b64 s[2:3], s[2:3], 4
	s_mul_i32 s5, s27, s15
	s_delay_alu instid0(VALU_DEP_3) | instskip(SKIP_3) | instid1(VALU_DEP_2)
	v_dual_mov_b32 v2, v3 :: v_dual_mov_b32 v3, v10
	v_add_nc_u32_e32 v20, 0x1000, v15
	s_mul_hi_u32 s12, s26, s15
	s_mul_i32 s4, s26, s15
	v_lshlrev_b64 v[1:2], 4, v[1:2]
	v_mad_u64_u32 v[13:14], null, s25, v18, v[3:4]
	v_add_nc_u32_e32 v21, v19, v15
	s_add_i32 s5, s12, s5
	v_add_nc_u32_e32 v22, v20, v19
	s_delay_alu instid0(VALU_DEP_4) | instskip(NEXT) | instid1(VALU_DEP_1)
	v_add_co_u32 v1, s1, s2, v1
	v_add_co_ci_u32_e64 v2, s1, s3, v2, s1
	v_dual_mov_b32 v10, v13 :: v_dual_mov_b32 v13, 0
	s_delay_alu instid0(VALU_DEP_3) | instskip(NEXT) | instid1(VALU_DEP_1)
	v_add_co_u32 v3, s1, v1, v11
	v_add_co_ci_u32_e64 v4, s1, v2, v12, s1
	s_delay_alu instid0(VALU_DEP_3) | instskip(NEXT) | instid1(VALU_DEP_3)
	v_lshlrev_b64 v[1:2], 4, v[9:10]
	v_add_co_u32 v3, s1, v3, s28
	s_lshl_b64 s[2:3], s[4:5], 4
	s_delay_alu instid0(VALU_DEP_3) | instskip(NEXT) | instid1(VALU_DEP_3)
	v_add_co_ci_u32_e64 v4, s1, s29, v4, s1
	v_add_co_u32 v11, s1, s2, v1
	s_delay_alu instid0(VALU_DEP_1) | instskip(SKIP_2) | instid1(VALU_DEP_1)
	v_add_co_ci_u32_e64 v12, s1, s3, v2, s1
	v_lshlrev_b64 v[1:2], 4, v[5:6]
	v_add_co_u32 v9, s1, v3, 8
	v_add_co_ci_u32_e64 v10, s1, 0, v4, s1
	v_mov_b32_e32 v14, 0
	s_delay_alu instid0(VALU_DEP_4) | instskip(NEXT) | instid1(VALU_DEP_1)
	v_add_co_u32 v1, s1, v11, v1
	v_add_co_ci_u32_e64 v2, s1, v12, v2, s1
	v_cmp_gt_i32_e32 vcc_lo, s33, v5
	s_delay_alu instid0(VALU_DEP_3) | instskip(NEXT) | instid1(VALU_DEP_1)
	v_add_co_u32 v11, s1, s22, v1
	v_add_co_ci_u32_e64 v12, s1, s23, v2, s1
	v_dual_mov_b32 v16, v14 :: v_dual_mov_b32 v15, v13
	s_lshl_b64 s[2:3], s[30:31], 8
	s_lshl_b64 s[4:5], s[24:25], 8
	s_mov_b64 s[12:13], 0
	s_xor_b32 s1, vcc_lo, -1
	s_branch .LBB1216_3
.LBB1216_2:                             ;   in Loop: Header=BB1216_3 Depth=1
	s_or_b32 exec_lo, exec_lo, s14
	s_waitcnt vmcnt(0)
	ds_store_b128 v22, v[1:4]
	s_waitcnt lgkmcnt(0)
	s_barrier
	buffer_gl0_inv
	ds_load_b128 v[1:4], v19
	ds_load_b128 v[23:26], v20
	ds_load_b128 v[27:30], v20 offset:16
	ds_load_b128 v[31:34], v19 offset:256
	s_add_u32 s12, s12, 16
	s_addc_u32 s13, s13, 0
	v_add_co_u32 v9, vcc_lo, v9, s2
	v_cmp_ge_i64_e64 s14, s[12:13], s[16:17]
	v_add_co_ci_u32_e32 v10, vcc_lo, s3, v10, vcc_lo
	v_add_co_u32 v11, vcc_lo, v11, s4
	v_add_co_ci_u32_e32 v12, vcc_lo, s5, v12, vcc_lo
	s_delay_alu instid0(VALU_DEP_4)
	s_and_b32 vcc_lo, exec_lo, s14
	s_waitcnt lgkmcnt(2)
	v_mul_f64 v[35:36], v[25:26], v[3:4]
	v_mul_f64 v[3:4], v[23:24], v[3:4]
	s_waitcnt lgkmcnt(0)
	v_mul_f64 v[41:42], v[29:30], v[33:34]
	v_mul_f64 v[43:44], v[27:28], v[33:34]
	s_delay_alu instid0(VALU_DEP_4) | instskip(NEXT) | instid1(VALU_DEP_4)
	v_fma_f64 v[45:46], v[23:24], v[1:2], -v[35:36]
	v_fma_f64 v[47:48], v[25:26], v[1:2], v[3:4]
	ds_load_b128 v[1:4], v19 offset:512
	ds_load_b128 v[23:26], v20 offset:32
	;; [unrolled: 1-line block ×4, first 2 shown]
	v_fma_f64 v[27:28], v[27:28], v[31:32], -v[41:42]
	v_fma_f64 v[29:30], v[29:30], v[31:32], v[43:44]
	s_waitcnt lgkmcnt(2)
	v_mul_f64 v[49:50], v[25:26], v[3:4]
	v_mul_f64 v[3:4], v[23:24], v[3:4]
	s_waitcnt lgkmcnt(0)
	v_mul_f64 v[31:32], v[35:36], v[39:40]
	v_mul_f64 v[39:40], v[33:34], v[39:40]
	v_add_f64 v[15:16], v[15:16], v[45:46]
	v_add_f64 v[13:14], v[13:14], v[47:48]
	v_fma_f64 v[41:42], v[23:24], v[1:2], -v[49:50]
	v_fma_f64 v[43:44], v[25:26], v[1:2], v[3:4]
	v_fma_f64 v[31:32], v[33:34], v[37:38], -v[31:32]
	v_fma_f64 v[33:34], v[35:36], v[37:38], v[39:40]
	v_add_f64 v[45:46], v[15:16], v[27:28]
	v_add_f64 v[47:48], v[13:14], v[29:30]
	ds_load_b128 v[1:4], v19 offset:1024
	ds_load_b128 v[13:16], v20 offset:64
	;; [unrolled: 1-line block ×4, first 2 shown]
	s_waitcnt lgkmcnt(2)
	v_mul_f64 v[49:50], v[15:16], v[3:4]
	v_mul_f64 v[3:4], v[13:14], v[3:4]
	s_waitcnt lgkmcnt(0)
	v_mul_f64 v[39:40], v[25:26], v[29:30]
	v_add_f64 v[35:36], v[45:46], v[41:42]
	v_add_f64 v[37:38], v[47:48], v[43:44]
	v_mul_f64 v[41:42], v[23:24], v[29:30]
	v_fma_f64 v[43:44], v[13:14], v[1:2], -v[49:50]
	v_fma_f64 v[45:46], v[15:16], v[1:2], v[3:4]
	v_fma_f64 v[23:24], v[23:24], v[27:28], -v[39:40]
	v_add_f64 v[47:48], v[35:36], v[31:32]
	v_add_f64 v[37:38], v[37:38], v[33:34]
	ds_load_b128 v[1:4], v19 offset:1536
	ds_load_b128 v[13:16], v20 offset:96
	;; [unrolled: 1-line block ×4, first 2 shown]
	v_fma_f64 v[25:26], v[25:26], v[27:28], v[41:42]
	s_waitcnt lgkmcnt(2)
	v_mul_f64 v[49:50], v[15:16], v[3:4]
	v_mul_f64 v[3:4], v[13:14], v[3:4]
	s_waitcnt lgkmcnt(0)
	v_mul_f64 v[39:40], v[31:32], v[35:36]
	v_mul_f64 v[41:42], v[29:30], v[35:36]
	v_add_f64 v[27:28], v[47:48], v[43:44]
	v_add_f64 v[37:38], v[37:38], v[45:46]
	v_fma_f64 v[43:44], v[13:14], v[1:2], -v[49:50]
	v_fma_f64 v[45:46], v[15:16], v[1:2], v[3:4]
	v_fma_f64 v[29:30], v[29:30], v[33:34], -v[39:40]
	v_fma_f64 v[31:32], v[31:32], v[33:34], v[41:42]
	v_add_f64 v[27:28], v[27:28], v[23:24]
	v_add_f64 v[47:48], v[37:38], v[25:26]
	ds_load_b128 v[1:4], v19 offset:2048
	ds_load_b128 v[13:16], v20 offset:128
	;; [unrolled: 1-line block ×4, first 2 shown]
	s_waitcnt lgkmcnt(2)
	v_mul_f64 v[49:50], v[15:16], v[3:4]
	v_mul_f64 v[3:4], v[13:14], v[3:4]
	s_waitcnt lgkmcnt(0)
	v_mul_f64 v[39:40], v[25:26], v[37:38]
	v_mul_f64 v[37:38], v[23:24], v[37:38]
	v_add_f64 v[27:28], v[27:28], v[43:44]
	v_add_f64 v[33:34], v[47:48], v[45:46]
	v_fma_f64 v[41:42], v[13:14], v[1:2], -v[49:50]
	v_fma_f64 v[43:44], v[15:16], v[1:2], v[3:4]
	v_fma_f64 v[23:24], v[23:24], v[35:36], -v[39:40]
	v_fma_f64 v[25:26], v[25:26], v[35:36], v[37:38]
	v_add_f64 v[45:46], v[27:28], v[29:30]
	v_add_f64 v[47:48], v[33:34], v[31:32]
	ds_load_b128 v[1:4], v19 offset:2560
	ds_load_b128 v[13:16], v20 offset:160
	;; [unrolled: 1-line block ×4, first 2 shown]
	s_waitcnt lgkmcnt(2)
	v_mul_f64 v[49:50], v[15:16], v[3:4]
	v_mul_f64 v[3:4], v[13:14], v[3:4]
	s_waitcnt lgkmcnt(0)
	v_mul_f64 v[39:40], v[29:30], v[33:34]
	v_add_f64 v[35:36], v[45:46], v[41:42]
	v_add_f64 v[37:38], v[47:48], v[43:44]
	v_mul_f64 v[41:42], v[27:28], v[33:34]
	v_fma_f64 v[43:44], v[13:14], v[1:2], -v[49:50]
	v_fma_f64 v[45:46], v[15:16], v[1:2], v[3:4]
	v_fma_f64 v[27:28], v[27:28], v[31:32], -v[39:40]
	v_add_f64 v[47:48], v[35:36], v[23:24]
	v_add_f64 v[37:38], v[37:38], v[25:26]
	ds_load_b128 v[1:4], v19 offset:3072
	ds_load_b128 v[13:16], v20 offset:192
	;; [unrolled: 1-line block ×4, first 2 shown]
	v_fma_f64 v[29:30], v[29:30], v[31:32], v[41:42]
	s_waitcnt lgkmcnt(2)
	v_mul_f64 v[49:50], v[15:16], v[3:4]
	v_mul_f64 v[3:4], v[13:14], v[3:4]
	s_waitcnt lgkmcnt(0)
	v_mul_f64 v[39:40], v[25:26], v[35:36]
	v_mul_f64 v[41:42], v[23:24], v[35:36]
	v_add_f64 v[31:32], v[47:48], v[43:44]
	v_add_f64 v[37:38], v[37:38], v[45:46]
	v_fma_f64 v[43:44], v[13:14], v[1:2], -v[49:50]
	v_fma_f64 v[45:46], v[15:16], v[1:2], v[3:4]
	v_fma_f64 v[23:24], v[23:24], v[33:34], -v[39:40]
	v_fma_f64 v[25:26], v[25:26], v[33:34], v[41:42]
	v_add_f64 v[31:32], v[31:32], v[27:28]
	v_add_f64 v[47:48], v[37:38], v[29:30]
	ds_load_b128 v[1:4], v19 offset:3584
	ds_load_b128 v[13:16], v20 offset:224
	ds_load_b128 v[27:30], v20 offset:240
	ds_load_b128 v[35:38], v19 offset:3840
	s_waitcnt lgkmcnt(0)
	s_barrier
	buffer_gl0_inv
	v_mul_f64 v[49:50], v[15:16], v[3:4]
	v_mul_f64 v[3:4], v[13:14], v[3:4]
	;; [unrolled: 1-line block ×4, first 2 shown]
	v_add_f64 v[31:32], v[31:32], v[43:44]
	v_add_f64 v[33:34], v[47:48], v[45:46]
	v_fma_f64 v[13:14], v[13:14], v[1:2], -v[49:50]
	v_fma_f64 v[1:2], v[15:16], v[1:2], v[3:4]
	s_delay_alu instid0(VALU_DEP_4) | instskip(NEXT) | instid1(VALU_DEP_4)
	v_add_f64 v[3:4], v[31:32], v[23:24]
	v_add_f64 v[15:16], v[33:34], v[25:26]
	v_fma_f64 v[23:24], v[27:28], v[35:36], -v[39:40]
	v_fma_f64 v[25:26], v[29:30], v[35:36], v[37:38]
	s_delay_alu instid0(VALU_DEP_4) | instskip(NEXT) | instid1(VALU_DEP_4)
	v_add_f64 v[3:4], v[3:4], v[13:14]
	v_add_f64 v[1:2], v[15:16], v[1:2]
	s_delay_alu instid0(VALU_DEP_2) | instskip(NEXT) | instid1(VALU_DEP_2)
	v_add_f64 v[15:16], v[3:4], v[23:24]
	v_add_f64 v[13:14], v[1:2], v[25:26]
	s_cbranch_vccnz .LBB1216_9
.LBB1216_3:                             ; =>This Inner Loop Header: Depth=1
	v_add_co_u32 v1, s14, v18, s12
	s_delay_alu instid0(VALU_DEP_1) | instskip(NEXT) | instid1(VALU_DEP_1)
	v_add_co_ci_u32_e64 v2, null, 0, s13, s14
	v_cmp_le_i64_e32 vcc_lo, s[16:17], v[1:2]
	s_or_b32 s14, s1, vcc_lo
	s_delay_alu instid0(SALU_CYCLE_1) | instskip(NEXT) | instid1(SALU_CYCLE_1)
	s_and_saveexec_b32 s22, s14
	s_xor_b32 s14, exec_lo, s22
	s_cbranch_execz .LBB1216_5
; %bb.4:                                ;   in Loop: Header=BB1216_3 Depth=1
	v_mov_b32_e32 v1, v0
	v_mov_b32_e32 v2, v0
	;; [unrolled: 1-line block ×3, first 2 shown]
	ds_store_b128 v21, v[0:3]
.LBB1216_5:                             ;   in Loop: Header=BB1216_3 Depth=1
	s_and_not1_saveexec_b32 s14, s14
	s_cbranch_execz .LBB1216_7
; %bb.6:                                ;   in Loop: Header=BB1216_3 Depth=1
	global_load_b128 v[1:4], v[11:12], off
	s_waitcnt vmcnt(0)
	ds_store_2addr_b64 v21, v[1:2], v[3:4] offset1:1
.LBB1216_7:                             ;   in Loop: Header=BB1216_3 Depth=1
	s_or_b32 exec_lo, exec_lo, s14
	v_add_co_u32 v3, s14, v17, s12
	s_delay_alu instid0(VALU_DEP_1) | instskip(SKIP_2) | instid1(VALU_DEP_3)
	v_add_co_ci_u32_e64 v4, null, 0, s13, s14
	v_mov_b32_e32 v1, 0
	v_mov_b32_e32 v2, 0
	v_cmp_gt_i64_e32 vcc_lo, s[16:17], v[3:4]
	s_delay_alu instid0(VALU_DEP_2) | instskip(SKIP_1) | instid1(SALU_CYCLE_1)
	v_dual_mov_b32 v4, v2 :: v_dual_mov_b32 v3, v1
	s_and_b32 s22, s0, vcc_lo
	s_and_saveexec_b32 s14, s22
	s_cbranch_execz .LBB1216_2
; %bb.8:                                ;   in Loop: Header=BB1216_3 Depth=1
	global_load_b128 v[1:4], v[9:10], off offset:-8
	s_branch .LBB1216_2
.LBB1216_9:
	v_cmp_le_i32_e32 vcc_lo, v5, v7
	v_cmp_gt_i32_e64 s0, s33, v7
	s_delay_alu instid0(VALU_DEP_1) | instskip(NEXT) | instid1(SALU_CYCLE_1)
	s_and_b32 s0, vcc_lo, s0
	s_and_saveexec_b32 s1, s0
	s_cbranch_execz .LBB1216_11
; %bb.10:
	v_mul_lo_u32 v2, v7, s37
	v_mul_lo_u32 v3, v8, s36
	v_mad_u64_u32 v[0:1], null, v7, s36, 0
	s_mul_i32 s1, s15, s39
	s_mul_hi_u32 s2, s15, s38
	s_mul_i32 s0, s15, s38
	s_add_i32 s1, s2, s1
	v_mul_f64 v[8:9], s[18:19], v[13:14]
	s_lshl_b64 s[0:1], s[0:1], 4
	s_delay_alu instid0(VALU_DEP_2)
	v_add3_u32 v1, v1, v2, v3
	s_add_u32 s0, s10, s0
	v_lshlrev_b64 v[2:3], 4, v[5:6]
	s_addc_u32 s1, s11, s1
	v_mul_f64 v[6:7], s[20:21], v[13:14]
	v_lshlrev_b64 v[0:1], 4, v[0:1]
	s_delay_alu instid0(VALU_DEP_1) | instskip(NEXT) | instid1(VALU_DEP_2)
	v_add_co_u32 v0, vcc_lo, s0, v0
	v_add_co_ci_u32_e32 v1, vcc_lo, s1, v1, vcc_lo
	s_delay_alu instid0(VALU_DEP_2) | instskip(NEXT) | instid1(VALU_DEP_2)
	v_add_co_u32 v4, vcc_lo, v0, v2
	v_add_co_ci_u32_e32 v5, vcc_lo, v1, v3, vcc_lo
	global_load_b128 v[0:3], v[4:5], off
	v_fma_f64 v[8:9], s[20:21], v[15:16], v[8:9]
	v_fma_f64 v[6:7], s[18:19], v[15:16], -v[6:7]
	s_waitcnt vmcnt(0)
	v_mul_f64 v[10:11], s[8:9], v[2:3]
	v_mul_f64 v[2:3], s[6:7], v[2:3]
	s_delay_alu instid0(VALU_DEP_2) | instskip(NEXT) | instid1(VALU_DEP_2)
	v_fma_f64 v[10:11], s[6:7], v[0:1], -v[10:11]
	v_fma_f64 v[2:3], s[8:9], v[0:1], v[2:3]
	s_delay_alu instid0(VALU_DEP_2) | instskip(NEXT) | instid1(VALU_DEP_2)
	v_add_f64 v[0:1], v[6:7], v[10:11]
	v_add_f64 v[2:3], v[8:9], v[2:3]
	global_store_b128 v[4:5], v[0:3], off
.LBB1216_11:
	s_nop 0
	s_sendmsg sendmsg(MSG_DEALLOC_VGPRS)
	s_endpgm
	.section	.rodata,"a",@progbits
	.p2align	6, 0x0
	.amdhsa_kernel _ZL32rocblas_syrkx_herkx_small_kernelIl19rocblas_complex_numIdELi16ELb0ELb0ELc78ELc85EKS1_S1_EviT_T0_PT6_S3_lS6_S3_lS4_PT7_S3_li
		.amdhsa_group_segment_fixed_size 8192
		.amdhsa_private_segment_fixed_size 0
		.amdhsa_kernarg_size 124
		.amdhsa_user_sgpr_count 13
		.amdhsa_user_sgpr_dispatch_ptr 0
		.amdhsa_user_sgpr_queue_ptr 0
		.amdhsa_user_sgpr_kernarg_segment_ptr 1
		.amdhsa_user_sgpr_dispatch_id 0
		.amdhsa_user_sgpr_private_segment_size 0
		.amdhsa_wavefront_size32 1
		.amdhsa_uses_dynamic_stack 0
		.amdhsa_enable_private_segment 0
		.amdhsa_system_sgpr_workgroup_id_x 1
		.amdhsa_system_sgpr_workgroup_id_y 1
		.amdhsa_system_sgpr_workgroup_id_z 1
		.amdhsa_system_sgpr_workgroup_info 0
		.amdhsa_system_vgpr_workitem_id 1
		.amdhsa_next_free_vgpr 51
		.amdhsa_next_free_sgpr 40
		.amdhsa_reserve_vcc 1
		.amdhsa_float_round_mode_32 0
		.amdhsa_float_round_mode_16_64 0
		.amdhsa_float_denorm_mode_32 3
		.amdhsa_float_denorm_mode_16_64 3
		.amdhsa_dx10_clamp 1
		.amdhsa_ieee_mode 1
		.amdhsa_fp16_overflow 0
		.amdhsa_workgroup_processor_mode 1
		.amdhsa_memory_ordered 1
		.amdhsa_forward_progress 0
		.amdhsa_shared_vgpr_count 0
		.amdhsa_exception_fp_ieee_invalid_op 0
		.amdhsa_exception_fp_denorm_src 0
		.amdhsa_exception_fp_ieee_div_zero 0
		.amdhsa_exception_fp_ieee_overflow 0
		.amdhsa_exception_fp_ieee_underflow 0
		.amdhsa_exception_fp_ieee_inexact 0
		.amdhsa_exception_int_div_zero 0
	.end_amdhsa_kernel
	.section	.text._ZL32rocblas_syrkx_herkx_small_kernelIl19rocblas_complex_numIdELi16ELb0ELb0ELc78ELc85EKS1_S1_EviT_T0_PT6_S3_lS6_S3_lS4_PT7_S3_li,"axG",@progbits,_ZL32rocblas_syrkx_herkx_small_kernelIl19rocblas_complex_numIdELi16ELb0ELb0ELc78ELc85EKS1_S1_EviT_T0_PT6_S3_lS6_S3_lS4_PT7_S3_li,comdat
.Lfunc_end1216:
	.size	_ZL32rocblas_syrkx_herkx_small_kernelIl19rocblas_complex_numIdELi16ELb0ELb0ELc78ELc85EKS1_S1_EviT_T0_PT6_S3_lS6_S3_lS4_PT7_S3_li, .Lfunc_end1216-_ZL32rocblas_syrkx_herkx_small_kernelIl19rocblas_complex_numIdELi16ELb0ELb0ELc78ELc85EKS1_S1_EviT_T0_PT6_S3_lS6_S3_lS4_PT7_S3_li
                                        ; -- End function
	.section	.AMDGPU.csdata,"",@progbits
; Kernel info:
; codeLenInByte = 2084
; NumSgprs: 42
; NumVgprs: 51
; ScratchSize: 0
; MemoryBound: 1
; FloatMode: 240
; IeeeMode: 1
; LDSByteSize: 8192 bytes/workgroup (compile time only)
; SGPRBlocks: 5
; VGPRBlocks: 6
; NumSGPRsForWavesPerEU: 42
; NumVGPRsForWavesPerEU: 51
; Occupancy: 16
; WaveLimiterHint : 0
; COMPUTE_PGM_RSRC2:SCRATCH_EN: 0
; COMPUTE_PGM_RSRC2:USER_SGPR: 13
; COMPUTE_PGM_RSRC2:TRAP_HANDLER: 0
; COMPUTE_PGM_RSRC2:TGID_X_EN: 1
; COMPUTE_PGM_RSRC2:TGID_Y_EN: 1
; COMPUTE_PGM_RSRC2:TGID_Z_EN: 1
; COMPUTE_PGM_RSRC2:TIDIG_COMP_CNT: 1
	.section	.text._ZL34rocblas_syrkx_herkx_general_kernelIl19rocblas_complex_numIdELi16ELi32ELi8ELb1ELb0ELc84ELc76EKS1_S1_EviT_T0_PT8_S3_lS6_S3_lS4_PT9_S3_li,"axG",@progbits,_ZL34rocblas_syrkx_herkx_general_kernelIl19rocblas_complex_numIdELi16ELi32ELi8ELb1ELb0ELc84ELc76EKS1_S1_EviT_T0_PT8_S3_lS6_S3_lS4_PT9_S3_li,comdat
	.globl	_ZL34rocblas_syrkx_herkx_general_kernelIl19rocblas_complex_numIdELi16ELi32ELi8ELb1ELb0ELc84ELc76EKS1_S1_EviT_T0_PT8_S3_lS6_S3_lS4_PT9_S3_li ; -- Begin function _ZL34rocblas_syrkx_herkx_general_kernelIl19rocblas_complex_numIdELi16ELi32ELi8ELb1ELb0ELc84ELc76EKS1_S1_EviT_T0_PT8_S3_lS6_S3_lS4_PT9_S3_li
	.p2align	8
	.type	_ZL34rocblas_syrkx_herkx_general_kernelIl19rocblas_complex_numIdELi16ELi32ELi8ELb1ELb0ELc84ELc76EKS1_S1_EviT_T0_PT8_S3_lS6_S3_lS4_PT9_S3_li,@function
_ZL34rocblas_syrkx_herkx_general_kernelIl19rocblas_complex_numIdELi16ELi32ELi8ELb1ELb0ELc84ELc76EKS1_S1_EviT_T0_PT8_S3_lS6_S3_lS4_PT9_S3_li: ; @_ZL34rocblas_syrkx_herkx_general_kernelIl19rocblas_complex_numIdELi16ELi32ELi8ELb1ELb0ELc84ELc76EKS1_S1_EviT_T0_PT8_S3_lS6_S3_lS4_PT9_S3_li
; %bb.0:
	s_clause 0x1
	s_load_b512 s[16:31], s[0:1], 0x8
	s_load_b32 s8, s[0:1], 0x0
	v_mov_b32_e32 v20, 0
	v_dual_mov_b32 v21, 0 :: v_dual_and_b32 v24, 0x3ff, v0
	v_bfe_u32 v25, v0, 10, 10
	s_delay_alu instid0(VALU_DEP_3) | instskip(NEXT) | instid1(VALU_DEP_3)
	v_mov_b32_e32 v8, v20
	v_dual_mov_b32 v10, v20 :: v_dual_mov_b32 v11, v21
	v_dual_mov_b32 v23, v21 :: v_dual_mov_b32 v22, v20
	;; [unrolled: 1-line block ×6, first 2 shown]
	v_mov_b32_e32 v13, v21
	s_waitcnt lgkmcnt(0)
	v_cmp_lt_i64_e64 s2, s[16:17], 1
	s_lshl_b32 s9, s13, 5
	s_lshl_b32 s10, s14, 5
	s_mov_b64 s[4:5], 0
	s_delay_alu instid0(VALU_DEP_1)
	s_and_b32 vcc_lo, exec_lo, s2
	s_cbranch_vccnz .LBB1217_11
; %bb.1:
	v_lshl_add_u32 v1, v25, 4, v24
	v_mov_b32_e32 v0, 0
	s_load_b64 s[6:7], s[0:1], 0x48
	v_and_b32_e32 v26, 7, v24
	v_lshlrev_b32_e32 v27, 4, v24
	v_and_b32_e32 v3, 31, v1
	v_lshrrev_b32_e32 v5, 3, v1
	v_lshrrev_b32_e32 v29, 5, v1
	s_mul_i32 s3, s27, s15
	s_mul_hi_u32 s11, s26, s15
	v_add_nc_u32_e32 v4, s9, v3
	v_add_nc_u32_e32 v7, s10, v5
	v_or_b32_e32 v10, s9, v3
	v_lshlrev_b32_e32 v11, 4, v3
	s_mul_i32 s2, s26, s15
	v_ashrrev_i32_e32 v6, 31, v4
	v_mul_lo_u32 v8, s25, v4
	v_mad_u64_u32 v[1:2], null, s24, v4, 0
	v_ashrrev_i32_e32 v12, 31, v7
	s_delay_alu instid0(VALU_DEP_4)
	v_mul_lo_u32 v6, s24, v6
	v_mul_lo_u32 v13, s31, v7
	v_mad_u64_u32 v[3:4], null, s30, v7, 0
	s_add_i32 s3, s11, s3
	v_cmp_gt_i32_e32 vcc_lo, s8, v10
	s_lshl_b64 s[12:13], s[2:3], 4
	v_lshl_add_u32 v28, v25, 7, 0x1000
	v_add3_u32 v2, v2, v6, v8
	v_mul_lo_u32 v6, s30, v12
	s_delay_alu instid0(VALU_DEP_2) | instskip(NEXT) | instid1(VALU_DEP_2)
	v_lshlrev_b64 v[1:2], 4, v[1:2]
	v_add3_u32 v4, v4, v6, v13
	v_mov_b32_e32 v12, 0
	v_mov_b32_e32 v13, 0
	v_lshlrev_b32_e32 v9, 4, v26
	s_delay_alu instid0(VALU_DEP_2) | instskip(NEXT) | instid1(VALU_DEP_2)
	v_dual_mov_b32 v17, v13 :: v_dual_mov_b32 v16, v12
	v_lshl_or_b32 v5, v5, 7, v9
	v_dual_mov_b32 v19, v13 :: v_dual_mov_b32 v18, v12
	v_cmp_gt_i32_e64 s2, s8, v7
	v_mov_b32_e32 v15, v13
	s_delay_alu instid0(VALU_DEP_4) | instskip(SKIP_1) | instid1(VALU_DEP_1)
	v_add_nc_u32_e32 v31, 0x1000, v5
	v_add_co_u32 v5, s3, v1, s12
	v_add_co_ci_u32_e64 v6, s3, s13, v2, s3
	s_waitcnt lgkmcnt(0)
	s_mul_i32 s3, s7, s15
	s_mul_hi_u32 s7, s6, s15
	v_lshlrev_b64 v[1:2], 4, v[3:4]
	s_add_i32 s7, s7, s3
	s_mul_i32 s6, s6, s15
	v_lshlrev_b32_e32 v3, 4, v29
	s_lshl_b64 s[6:7], s[6:7], 4
	v_mov_b32_e32 v14, v12
	v_add_co_u32 v1, s3, v1, s6
	s_delay_alu instid0(VALU_DEP_1) | instskip(SKIP_1) | instid1(VALU_DEP_1)
	v_add_co_ci_u32_e64 v2, s3, s7, v2, s3
	v_add_co_u32 v3, s3, v5, v3
	v_add_co_ci_u32_e64 v5, s3, 0, v6, s3
	s_delay_alu instid0(VALU_DEP_4) | instskip(SKIP_3) | instid1(VALU_DEP_1)
	v_add_co_u32 v1, s3, v1, v9
	v_mov_b32_e32 v8, v12
	v_add_co_ci_u32_e64 v2, s3, 0, v2, s3
	v_add_co_u32 v4, s3, s22, v3
	v_add_co_ci_u32_e64 v5, s3, s23, v5, s3
	v_add_co_u32 v6, s3, s28, v1
	v_lshl_or_b32 v30, v29, 9, v11
	v_dual_mov_b32 v10, v12 :: v_dual_mov_b32 v23, v13
	v_mov_b32_e32 v21, v13
	v_add_co_ci_u32_e64 v7, s3, s29, v2, s3
	v_mov_b32_e32 v11, v13
	v_dual_mov_b32 v9, v13 :: v_dual_mov_b32 v22, v12
	v_mov_b32_e32 v20, v12
	s_xor_b32 s3, vcc_lo, -1
	s_xor_b32 s2, s2, -1
	s_branch .LBB1217_3
.LBB1217_2:                             ;   in Loop: Header=BB1217_3 Depth=1
	s_or_b32 exec_lo, exec_lo, s6
	s_waitcnt lgkmcnt(0)
	s_barrier
	buffer_gl0_inv
	ds_load_b128 v[32:35], v28
	ds_load_b128 v[36:39], v28 offset:16
	ds_load_b128 v[40:43], v28 offset:32
	ds_load_b128 v[44:47], v28 offset:48
	ds_load_b128 v[48:51], v27
	s_add_u32 s4, s4, 8
	s_addc_u32 s5, s5, 0
	v_add_co_u32 v4, vcc_lo, 0x80, v4
	v_add_co_ci_u32_e32 v5, vcc_lo, 0, v5, vcc_lo
	v_cmp_ge_i64_e64 s6, s[4:5], s[16:17]
	v_add_co_u32 v6, vcc_lo, 0x80, v6
	v_add_co_ci_u32_e32 v7, vcc_lo, 0, v7, vcc_lo
	s_delay_alu instid0(VALU_DEP_3) | instskip(SKIP_3) | instid1(VALU_DEP_2)
	s_and_b32 vcc_lo, exec_lo, s6
	s_waitcnt lgkmcnt(0)
	v_mul_f64 v[1:2], v[34:35], v[50:51]
	v_mul_f64 v[52:53], v[32:33], v[50:51]
	v_fma_f64 v[1:2], v[32:33], v[48:49], -v[1:2]
	s_delay_alu instid0(VALU_DEP_2) | instskip(NEXT) | instid1(VALU_DEP_2)
	v_fma_f64 v[52:53], v[34:35], v[48:49], v[52:53]
	v_add_f64 v[1:2], v[20:21], v[1:2]
	s_delay_alu instid0(VALU_DEP_2) | instskip(SKIP_3) | instid1(VALU_DEP_1)
	v_add_f64 v[52:53], v[22:23], v[52:53]
	ds_load_b128 v[20:23], v27 offset:256
	s_waitcnt lgkmcnt(0)
	v_mul_f64 v[54:55], v[34:35], v[22:23]
	v_fma_f64 v[54:55], v[32:33], v[20:21], -v[54:55]
	v_mul_f64 v[32:33], v[32:33], v[22:23]
	s_delay_alu instid0(VALU_DEP_1) | instskip(NEXT) | instid1(VALU_DEP_3)
	v_fma_f64 v[32:33], v[34:35], v[20:21], v[32:33]
	v_add_f64 v[34:35], v[8:9], v[54:55]
	s_delay_alu instid0(VALU_DEP_2) | instskip(SKIP_4) | instid1(VALU_DEP_2)
	v_add_f64 v[32:33], v[10:11], v[32:33]
	ds_load_b128 v[8:11], v28 offset:2048
	s_waitcnt lgkmcnt(0)
	v_mul_f64 v[54:55], v[10:11], v[50:51]
	v_mul_f64 v[50:51], v[8:9], v[50:51]
	v_fma_f64 v[54:55], v[8:9], v[48:49], -v[54:55]
	s_delay_alu instid0(VALU_DEP_2) | instskip(NEXT) | instid1(VALU_DEP_2)
	v_fma_f64 v[48:49], v[10:11], v[48:49], v[50:51]
	v_add_f64 v[50:51], v[14:15], v[54:55]
	v_mul_f64 v[14:15], v[10:11], v[22:23]
	s_delay_alu instid0(VALU_DEP_3) | instskip(NEXT) | instid1(VALU_DEP_2)
	v_add_f64 v[48:49], v[16:17], v[48:49]
	v_fma_f64 v[14:15], v[8:9], v[20:21], -v[14:15]
	v_mul_f64 v[8:9], v[8:9], v[22:23]
	s_delay_alu instid0(VALU_DEP_1) | instskip(NEXT) | instid1(VALU_DEP_3)
	v_fma_f64 v[8:9], v[10:11], v[20:21], v[8:9]
	v_add_f64 v[20:21], v[18:19], v[14:15]
	s_delay_alu instid0(VALU_DEP_2) | instskip(SKIP_4) | instid1(VALU_DEP_2)
	v_add_f64 v[22:23], v[12:13], v[8:9]
	ds_load_b128 v[8:11], v27 offset:512
	s_waitcnt lgkmcnt(0)
	v_mul_f64 v[12:13], v[38:39], v[10:11]
	v_mul_f64 v[14:15], v[36:37], v[10:11]
	v_fma_f64 v[12:13], v[36:37], v[8:9], -v[12:13]
	s_delay_alu instid0(VALU_DEP_2) | instskip(NEXT) | instid1(VALU_DEP_2)
	v_fma_f64 v[14:15], v[38:39], v[8:9], v[14:15]
	v_add_f64 v[1:2], v[1:2], v[12:13]
	s_delay_alu instid0(VALU_DEP_2) | instskip(SKIP_4) | instid1(VALU_DEP_2)
	v_add_f64 v[52:53], v[52:53], v[14:15]
	ds_load_b128 v[12:15], v27 offset:768
	s_waitcnt lgkmcnt(0)
	v_mul_f64 v[16:17], v[38:39], v[14:15]
	v_mul_f64 v[18:19], v[36:37], v[14:15]
	v_fma_f64 v[16:17], v[36:37], v[12:13], -v[16:17]
	s_delay_alu instid0(VALU_DEP_2) | instskip(NEXT) | instid1(VALU_DEP_2)
	v_fma_f64 v[18:19], v[38:39], v[12:13], v[18:19]
	v_add_f64 v[34:35], v[34:35], v[16:17]
	s_delay_alu instid0(VALU_DEP_2) | instskip(SKIP_4) | instid1(VALU_DEP_2)
	v_add_f64 v[32:33], v[32:33], v[18:19]
	ds_load_b128 v[16:19], v28 offset:2064
	s_waitcnt lgkmcnt(0)
	v_mul_f64 v[36:37], v[18:19], v[10:11]
	v_mul_f64 v[10:11], v[16:17], v[10:11]
	v_fma_f64 v[36:37], v[16:17], v[8:9], -v[36:37]
	s_delay_alu instid0(VALU_DEP_2) | instskip(SKIP_1) | instid1(VALU_DEP_3)
	v_fma_f64 v[8:9], v[18:19], v[8:9], v[10:11]
	v_mul_f64 v[10:11], v[16:17], v[14:15]
	v_add_f64 v[36:37], v[50:51], v[36:37]
	s_delay_alu instid0(VALU_DEP_3) | instskip(SKIP_1) | instid1(VALU_DEP_4)
	v_add_f64 v[38:39], v[48:49], v[8:9]
	v_mul_f64 v[8:9], v[18:19], v[14:15]
	v_fma_f64 v[10:11], v[18:19], v[12:13], v[10:11]
	s_delay_alu instid0(VALU_DEP_2) | instskip(NEXT) | instid1(VALU_DEP_2)
	v_fma_f64 v[8:9], v[16:17], v[12:13], -v[8:9]
	v_add_f64 v[22:23], v[22:23], v[10:11]
	s_delay_alu instid0(VALU_DEP_2) | instskip(SKIP_4) | instid1(VALU_DEP_2)
	v_add_f64 v[20:21], v[20:21], v[8:9]
	ds_load_b128 v[8:11], v27 offset:1024
	s_waitcnt lgkmcnt(0)
	v_mul_f64 v[12:13], v[42:43], v[10:11]
	v_mul_f64 v[14:15], v[40:41], v[10:11]
	v_fma_f64 v[12:13], v[40:41], v[8:9], -v[12:13]
	s_delay_alu instid0(VALU_DEP_2) | instskip(NEXT) | instid1(VALU_DEP_2)
	v_fma_f64 v[14:15], v[42:43], v[8:9], v[14:15]
	v_add_f64 v[1:2], v[1:2], v[12:13]
	s_delay_alu instid0(VALU_DEP_2) | instskip(SKIP_4) | instid1(VALU_DEP_2)
	v_add_f64 v[48:49], v[52:53], v[14:15]
	ds_load_b128 v[12:15], v27 offset:1280
	s_waitcnt lgkmcnt(0)
	v_mul_f64 v[16:17], v[42:43], v[14:15]
	v_mul_f64 v[18:19], v[40:41], v[14:15]
	v_fma_f64 v[16:17], v[40:41], v[12:13], -v[16:17]
	s_delay_alu instid0(VALU_DEP_2) | instskip(NEXT) | instid1(VALU_DEP_2)
	v_fma_f64 v[18:19], v[42:43], v[12:13], v[18:19]
	v_add_f64 v[34:35], v[34:35], v[16:17]
	s_delay_alu instid0(VALU_DEP_2) | instskip(SKIP_4) | instid1(VALU_DEP_2)
	v_add_f64 v[32:33], v[32:33], v[18:19]
	ds_load_b128 v[16:19], v28 offset:2080
	s_waitcnt lgkmcnt(0)
	v_mul_f64 v[40:41], v[18:19], v[10:11]
	v_mul_f64 v[10:11], v[16:17], v[10:11]
	v_fma_f64 v[40:41], v[16:17], v[8:9], -v[40:41]
	s_delay_alu instid0(VALU_DEP_2) | instskip(SKIP_1) | instid1(VALU_DEP_3)
	v_fma_f64 v[8:9], v[18:19], v[8:9], v[10:11]
	v_mul_f64 v[10:11], v[16:17], v[14:15]
	v_add_f64 v[36:37], v[36:37], v[40:41]
	s_delay_alu instid0(VALU_DEP_3) | instskip(SKIP_1) | instid1(VALU_DEP_4)
	v_add_f64 v[38:39], v[38:39], v[8:9]
	v_mul_f64 v[8:9], v[18:19], v[14:15]
	v_fma_f64 v[10:11], v[18:19], v[12:13], v[10:11]
	s_delay_alu instid0(VALU_DEP_2) | instskip(NEXT) | instid1(VALU_DEP_2)
	v_fma_f64 v[8:9], v[16:17], v[12:13], -v[8:9]
	;; [unrolled: 38-line block ×3, first 2 shown]
	v_add_f64 v[22:23], v[22:23], v[10:11]
	s_delay_alu instid0(VALU_DEP_2)
	v_add_f64 v[20:21], v[20:21], v[8:9]
	ds_load_b128 v[8:11], v28 offset:64
	ds_load_b128 v[12:15], v27 offset:2048
	s_waitcnt lgkmcnt(0)
	v_mul_f64 v[16:17], v[10:11], v[14:15]
	v_mul_f64 v[18:19], v[8:9], v[14:15]
	s_delay_alu instid0(VALU_DEP_2) | instskip(NEXT) | instid1(VALU_DEP_2)
	v_fma_f64 v[16:17], v[8:9], v[12:13], -v[16:17]
	v_fma_f64 v[18:19], v[10:11], v[12:13], v[18:19]
	s_delay_alu instid0(VALU_DEP_2) | instskip(NEXT) | instid1(VALU_DEP_2)
	v_add_f64 v[1:2], v[1:2], v[16:17]
	v_add_f64 v[40:41], v[40:41], v[18:19]
	ds_load_b128 v[16:19], v27 offset:2304
	s_waitcnt lgkmcnt(0)
	v_mul_f64 v[42:43], v[10:11], v[18:19]
	s_delay_alu instid0(VALU_DEP_1) | instskip(SKIP_1) | instid1(VALU_DEP_2)
	v_fma_f64 v[42:43], v[8:9], v[16:17], -v[42:43]
	v_mul_f64 v[8:9], v[8:9], v[18:19]
	v_add_f64 v[34:35], v[34:35], v[42:43]
	s_delay_alu instid0(VALU_DEP_2) | instskip(NEXT) | instid1(VALU_DEP_1)
	v_fma_f64 v[8:9], v[10:11], v[16:17], v[8:9]
	v_add_f64 v[32:33], v[32:33], v[8:9]
	ds_load_b128 v[8:11], v28 offset:2112
	s_waitcnt lgkmcnt(0)
	v_mul_f64 v[42:43], v[10:11], v[14:15]
	v_mul_f64 v[14:15], v[8:9], v[14:15]
	s_delay_alu instid0(VALU_DEP_2) | instskip(NEXT) | instid1(VALU_DEP_2)
	v_fma_f64 v[42:43], v[8:9], v[12:13], -v[42:43]
	v_fma_f64 v[12:13], v[10:11], v[12:13], v[14:15]
	s_delay_alu instid0(VALU_DEP_2) | instskip(NEXT) | instid1(VALU_DEP_2)
	v_add_f64 v[36:37], v[36:37], v[42:43]
	v_add_f64 v[38:39], v[38:39], v[12:13]
	v_mul_f64 v[12:13], v[10:11], v[18:19]
	s_delay_alu instid0(VALU_DEP_1) | instskip(SKIP_1) | instid1(VALU_DEP_2)
	v_fma_f64 v[12:13], v[8:9], v[16:17], -v[12:13]
	v_mul_f64 v[8:9], v[8:9], v[18:19]
	v_add_f64 v[20:21], v[20:21], v[12:13]
	s_delay_alu instid0(VALU_DEP_2) | instskip(NEXT) | instid1(VALU_DEP_1)
	v_fma_f64 v[8:9], v[10:11], v[16:17], v[8:9]
	v_add_f64 v[22:23], v[22:23], v[8:9]
	ds_load_b128 v[8:11], v28 offset:80
	ds_load_b128 v[12:15], v27 offset:2560
	s_waitcnt lgkmcnt(0)
	v_mul_f64 v[16:17], v[10:11], v[14:15]
	v_mul_f64 v[18:19], v[8:9], v[14:15]
	s_delay_alu instid0(VALU_DEP_2) | instskip(NEXT) | instid1(VALU_DEP_2)
	v_fma_f64 v[16:17], v[8:9], v[12:13], -v[16:17]
	v_fma_f64 v[18:19], v[10:11], v[12:13], v[18:19]
	s_delay_alu instid0(VALU_DEP_2) | instskip(NEXT) | instid1(VALU_DEP_2)
	v_add_f64 v[1:2], v[1:2], v[16:17]
	v_add_f64 v[40:41], v[40:41], v[18:19]
	ds_load_b128 v[16:19], v27 offset:2816
	s_waitcnt lgkmcnt(0)
	v_mul_f64 v[42:43], v[10:11], v[18:19]
	s_delay_alu instid0(VALU_DEP_1) | instskip(SKIP_1) | instid1(VALU_DEP_2)
	v_fma_f64 v[42:43], v[8:9], v[16:17], -v[42:43]
	v_mul_f64 v[8:9], v[8:9], v[18:19]
	v_add_f64 v[34:35], v[34:35], v[42:43]
	s_delay_alu instid0(VALU_DEP_2) | instskip(NEXT) | instid1(VALU_DEP_1)
	v_fma_f64 v[8:9], v[10:11], v[16:17], v[8:9]
	v_add_f64 v[32:33], v[32:33], v[8:9]
	ds_load_b128 v[8:11], v28 offset:2128
	s_waitcnt lgkmcnt(0)
	v_mul_f64 v[42:43], v[10:11], v[14:15]
	v_mul_f64 v[14:15], v[8:9], v[14:15]
	s_delay_alu instid0(VALU_DEP_2) | instskip(NEXT) | instid1(VALU_DEP_2)
	v_fma_f64 v[42:43], v[8:9], v[12:13], -v[42:43]
	v_fma_f64 v[12:13], v[10:11], v[12:13], v[14:15]
	s_delay_alu instid0(VALU_DEP_2) | instskip(NEXT) | instid1(VALU_DEP_2)
	v_add_f64 v[36:37], v[36:37], v[42:43]
	v_add_f64 v[38:39], v[38:39], v[12:13]
	v_mul_f64 v[12:13], v[10:11], v[18:19]
	s_delay_alu instid0(VALU_DEP_1) | instskip(SKIP_1) | instid1(VALU_DEP_2)
	v_fma_f64 v[12:13], v[8:9], v[16:17], -v[12:13]
	v_mul_f64 v[8:9], v[8:9], v[18:19]
	v_add_f64 v[20:21], v[20:21], v[12:13]
	s_delay_alu instid0(VALU_DEP_2) | instskip(NEXT) | instid1(VALU_DEP_1)
	v_fma_f64 v[8:9], v[10:11], v[16:17], v[8:9]
	;; [unrolled: 39-line block ×3, first 2 shown]
	v_add_f64 v[50:51], v[22:23], v[8:9]
	ds_load_b128 v[8:11], v28 offset:112
	ds_load_b128 v[12:15], v27 offset:3584
	;; [unrolled: 1-line block ×4, first 2 shown]
	s_waitcnt lgkmcnt(0)
	s_barrier
	buffer_gl0_inv
	v_mul_f64 v[16:17], v[10:11], v[14:15]
	v_mul_f64 v[20:21], v[8:9], v[14:15]
	s_delay_alu instid0(VALU_DEP_2) | instskip(NEXT) | instid1(VALU_DEP_2)
	v_fma_f64 v[16:17], v[8:9], v[12:13], -v[16:17]
	v_fma_f64 v[22:23], v[10:11], v[12:13], v[20:21]
	s_delay_alu instid0(VALU_DEP_2) | instskip(SKIP_1) | instid1(VALU_DEP_3)
	v_add_f64 v[20:21], v[1:2], v[16:17]
	v_mul_f64 v[1:2], v[10:11], v[34:35]
	v_add_f64 v[22:23], v[40:41], v[22:23]
	s_delay_alu instid0(VALU_DEP_2) | instskip(SKIP_1) | instid1(VALU_DEP_1)
	v_fma_f64 v[1:2], v[8:9], v[32:33], -v[1:2]
	v_mul_f64 v[8:9], v[8:9], v[34:35]
	v_fma_f64 v[10:11], v[10:11], v[32:33], v[8:9]
	s_delay_alu instid0(VALU_DEP_3) | instskip(SKIP_2) | instid1(VALU_DEP_4)
	v_add_f64 v[8:9], v[42:43], v[1:2]
	v_mul_f64 v[1:2], v[38:39], v[14:15]
	v_mul_f64 v[14:15], v[36:37], v[14:15]
	v_add_f64 v[10:11], v[44:45], v[10:11]
	s_delay_alu instid0(VALU_DEP_3) | instskip(NEXT) | instid1(VALU_DEP_3)
	v_fma_f64 v[1:2], v[36:37], v[12:13], -v[1:2]
	v_fma_f64 v[12:13], v[38:39], v[12:13], v[14:15]
	s_delay_alu instid0(VALU_DEP_2) | instskip(NEXT) | instid1(VALU_DEP_2)
	v_add_f64 v[14:15], v[46:47], v[1:2]
	v_add_f64 v[16:17], v[48:49], v[12:13]
	v_mul_f64 v[1:2], v[38:39], v[34:35]
	v_mul_f64 v[12:13], v[36:37], v[34:35]
	s_delay_alu instid0(VALU_DEP_2) | instskip(NEXT) | instid1(VALU_DEP_2)
	v_fma_f64 v[1:2], v[36:37], v[32:33], -v[1:2]
	v_fma_f64 v[12:13], v[38:39], v[32:33], v[12:13]
	s_delay_alu instid0(VALU_DEP_2) | instskip(NEXT) | instid1(VALU_DEP_2)
	v_add_f64 v[18:19], v[18:19], v[1:2]
	v_add_f64 v[12:13], v[50:51], v[12:13]
	s_cbranch_vccnz .LBB1217_11
.LBB1217_3:                             ; =>This Inner Loop Header: Depth=1
	v_add_co_u32 v1, s6, v29, s4
	s_delay_alu instid0(VALU_DEP_1) | instskip(NEXT) | instid1(VALU_DEP_1)
	v_add_co_ci_u32_e64 v2, null, 0, s5, s6
	v_cmp_le_i64_e32 vcc_lo, s[16:17], v[1:2]
	s_or_b32 s6, s3, vcc_lo
	s_delay_alu instid0(SALU_CYCLE_1) | instskip(NEXT) | instid1(SALU_CYCLE_1)
	s_and_saveexec_b32 s7, s6
	s_xor_b32 s6, exec_lo, s7
	s_cbranch_execz .LBB1217_5
; %bb.4:                                ;   in Loop: Header=BB1217_3 Depth=1
	v_mov_b32_e32 v1, v0
	v_mov_b32_e32 v2, v0
	;; [unrolled: 1-line block ×3, first 2 shown]
	ds_store_b128 v30, v[0:3]
.LBB1217_5:                             ;   in Loop: Header=BB1217_3 Depth=1
	s_and_not1_saveexec_b32 s6, s6
	s_cbranch_execz .LBB1217_7
; %bb.6:                                ;   in Loop: Header=BB1217_3 Depth=1
	global_load_b128 v[32:35], v[4:5], off
	s_waitcnt vmcnt(0)
	ds_store_2addr_b64 v30, v[32:33], v[34:35] offset1:1
.LBB1217_7:                             ;   in Loop: Header=BB1217_3 Depth=1
	s_or_b32 exec_lo, exec_lo, s6
	v_add_co_u32 v1, s6, v26, s4
	s_delay_alu instid0(VALU_DEP_1) | instskip(NEXT) | instid1(VALU_DEP_1)
	v_add_co_ci_u32_e64 v2, null, 0, s5, s6
	v_cmp_le_i64_e32 vcc_lo, s[16:17], v[1:2]
	s_or_b32 s6, vcc_lo, s2
	s_delay_alu instid0(SALU_CYCLE_1) | instskip(NEXT) | instid1(SALU_CYCLE_1)
	s_and_saveexec_b32 s7, s6
	s_xor_b32 s6, exec_lo, s7
	s_cbranch_execz .LBB1217_9
; %bb.8:                                ;   in Loop: Header=BB1217_3 Depth=1
	v_mov_b32_e32 v1, v0
	v_mov_b32_e32 v2, v0
	;; [unrolled: 1-line block ×3, first 2 shown]
	ds_store_b128 v31, v[0:3]
.LBB1217_9:                             ;   in Loop: Header=BB1217_3 Depth=1
	s_and_not1_saveexec_b32 s6, s6
	s_cbranch_execz .LBB1217_2
; %bb.10:                               ;   in Loop: Header=BB1217_3 Depth=1
	global_load_b128 v[32:35], v[6:7], off
	s_waitcnt vmcnt(0)
	ds_store_2addr_b64 v31, v[32:33], v[34:35] offset1:1
	s_branch .LBB1217_2
.LBB1217_11:
	s_clause 0x1
	s_load_b128 s[4:7], s[0:1], 0x60
	s_load_b64 s[2:3], s[0:1], 0x70
	v_add_nc_u32_e32 v4, s10, v25
	s_delay_alu instid0(VALU_DEP_1) | instskip(SKIP_1) | instid1(VALU_DEP_1)
	v_ashrrev_i32_e32 v0, 31, v4
	s_waitcnt lgkmcnt(0)
	v_mul_lo_u32 v3, v0, s6
	v_mul_lo_u32 v5, v4, s7
	v_mad_u64_u32 v[1:2], null, v4, s6, 0
	s_mul_i32 s1, s15, s3
	s_mul_hi_u32 s3, s15, s2
	s_mul_i32 s2, s15, s2
	s_add_i32 s3, s3, s1
	v_add_nc_u32_e32 v0, s9, v24
	s_lshl_b64 s[2:3], s[2:3], 4
	s_delay_alu instid0(VALU_DEP_2)
	v_add3_u32 v2, v2, v5, v3
	s_add_u32 s2, s4, s2
	s_addc_u32 s3, s5, s3
	v_cmp_le_i32_e64 s0, v4, v0
	v_cmp_gt_i32_e32 vcc_lo, s8, v0
	v_lshlrev_b64 v[1:2], 4, v[1:2]
	s_delay_alu instid0(VALU_DEP_3) | instskip(NEXT) | instid1(VALU_DEP_1)
	s_and_b32 s0, s0, vcc_lo
	v_add_co_u32 v5, s1, s2, v1
	s_delay_alu instid0(VALU_DEP_1)
	v_add_co_ci_u32_e64 v6, s1, s3, v2, s1
	s_and_saveexec_b32 s1, s0
	s_cbranch_execz .LBB1217_13
; %bb.12:
	v_mul_f64 v[1:2], s[20:21], v[22:23]
	v_mul_f64 v[24:25], s[18:19], v[22:23]
	s_delay_alu instid0(VALU_DEP_2) | instskip(NEXT) | instid1(VALU_DEP_2)
	v_fma_f64 v[22:23], s[18:19], v[20:21], -v[1:2]
	v_fma_f64 v[24:25], s[20:21], v[20:21], v[24:25]
	v_ashrrev_i32_e32 v1, 31, v0
	s_delay_alu instid0(VALU_DEP_1) | instskip(NEXT) | instid1(VALU_DEP_1)
	v_lshlrev_b64 v[1:2], 4, v[0:1]
	v_add_co_u32 v1, s0, v5, v1
	s_delay_alu instid0(VALU_DEP_1)
	v_add_co_ci_u32_e64 v2, s0, v6, v2, s0
	global_store_b128 v[1:2], v[22:25], off
.LBB1217_13:
	s_or_b32 exec_lo, exec_lo, s1
	v_add_nc_u32_e32 v2, 16, v0
	s_delay_alu instid0(VALU_DEP_1) | instskip(SKIP_1) | instid1(VALU_DEP_1)
	v_cmp_le_i32_e64 s1, v4, v2
	v_cmp_gt_i32_e64 s0, s8, v2
	s_and_b32 s1, s1, s0
	s_delay_alu instid0(SALU_CYCLE_1)
	s_and_saveexec_b32 s4, s1
	s_cbranch_execz .LBB1217_15
; %bb.14:
	v_mul_f64 v[20:21], s[20:21], v[10:11]
	v_mul_f64 v[10:11], s[18:19], v[10:11]
	v_ashrrev_i32_e32 v3, 31, v2
	s_delay_alu instid0(VALU_DEP_3) | instskip(NEXT) | instid1(VALU_DEP_3)
	v_fma_f64 v[20:21], s[18:19], v[8:9], -v[20:21]
	v_fma_f64 v[22:23], s[20:21], v[8:9], v[10:11]
	s_delay_alu instid0(VALU_DEP_3) | instskip(NEXT) | instid1(VALU_DEP_1)
	v_lshlrev_b64 v[7:8], 4, v[2:3]
	v_add_co_u32 v5, s1, v5, v7
	s_delay_alu instid0(VALU_DEP_1)
	v_add_co_ci_u32_e64 v6, s1, v6, v8, s1
	global_store_b128 v[5:6], v[20:23], off
.LBB1217_15:
	s_or_b32 exec_lo, exec_lo, s4
	v_add_nc_u32_e32 v3, 16, v4
	s_delay_alu instid0(VALU_DEP_1) | instskip(SKIP_3) | instid1(VALU_DEP_4)
	v_ashrrev_i32_e32 v1, 31, v3
	v_mul_lo_u32 v6, v3, s7
	v_mad_u64_u32 v[4:5], null, v3, s6, 0
	v_cmp_le_i32_e64 s1, v3, v0
	v_mul_lo_u32 v1, v1, s6
	s_delay_alu instid0(VALU_DEP_1) | instskip(NEXT) | instid1(VALU_DEP_1)
	v_add3_u32 v5, v5, v6, v1
	v_lshlrev_b64 v[4:5], 4, v[4:5]
	s_delay_alu instid0(VALU_DEP_1) | instskip(NEXT) | instid1(VALU_DEP_1)
	v_add_co_u32 v4, s2, s2, v4
	v_add_co_ci_u32_e64 v5, s2, s3, v5, s2
	s_and_b32 s2, s1, vcc_lo
	s_delay_alu instid0(SALU_CYCLE_1)
	s_and_saveexec_b32 s1, s2
	s_cbranch_execz .LBB1217_17
; %bb.16:
	v_mul_f64 v[6:7], s[20:21], v[16:17]
	v_mul_f64 v[8:9], s[18:19], v[16:17]
	v_ashrrev_i32_e32 v1, 31, v0
	s_delay_alu instid0(VALU_DEP_1) | instskip(NEXT) | instid1(VALU_DEP_1)
	v_lshlrev_b64 v[0:1], 4, v[0:1]
	v_add_co_u32 v0, vcc_lo, v4, v0
	s_delay_alu instid0(VALU_DEP_2)
	v_add_co_ci_u32_e32 v1, vcc_lo, v5, v1, vcc_lo
	v_fma_f64 v[6:7], s[18:19], v[14:15], -v[6:7]
	v_fma_f64 v[8:9], s[20:21], v[14:15], v[8:9]
	global_store_b128 v[0:1], v[6:9], off
.LBB1217_17:
	s_or_b32 exec_lo, exec_lo, s1
	v_cmp_le_i32_e32 vcc_lo, v3, v2
	s_and_b32 s0, vcc_lo, s0
	s_delay_alu instid0(SALU_CYCLE_1)
	s_and_saveexec_b32 s1, s0
	s_cbranch_execz .LBB1217_19
; %bb.18:
	v_mul_f64 v[0:1], s[20:21], v[12:13]
	v_mul_f64 v[8:9], s[18:19], v[12:13]
	v_ashrrev_i32_e32 v3, 31, v2
	s_delay_alu instid0(VALU_DEP_3) | instskip(NEXT) | instid1(VALU_DEP_3)
	v_fma_f64 v[6:7], s[18:19], v[18:19], -v[0:1]
	v_fma_f64 v[8:9], s[20:21], v[18:19], v[8:9]
	s_delay_alu instid0(VALU_DEP_3) | instskip(NEXT) | instid1(VALU_DEP_1)
	v_lshlrev_b64 v[0:1], 4, v[2:3]
	v_add_co_u32 v0, vcc_lo, v4, v0
	s_delay_alu instid0(VALU_DEP_2)
	v_add_co_ci_u32_e32 v1, vcc_lo, v5, v1, vcc_lo
	global_store_b128 v[0:1], v[6:9], off
.LBB1217_19:
	s_nop 0
	s_sendmsg sendmsg(MSG_DEALLOC_VGPRS)
	s_endpgm
	.section	.rodata,"a",@progbits
	.p2align	6, 0x0
	.amdhsa_kernel _ZL34rocblas_syrkx_herkx_general_kernelIl19rocblas_complex_numIdELi16ELi32ELi8ELb1ELb0ELc84ELc76EKS1_S1_EviT_T0_PT8_S3_lS6_S3_lS4_PT9_S3_li
		.amdhsa_group_segment_fixed_size 8192
		.amdhsa_private_segment_fixed_size 0
		.amdhsa_kernarg_size 124
		.amdhsa_user_sgpr_count 13
		.amdhsa_user_sgpr_dispatch_ptr 0
		.amdhsa_user_sgpr_queue_ptr 0
		.amdhsa_user_sgpr_kernarg_segment_ptr 1
		.amdhsa_user_sgpr_dispatch_id 0
		.amdhsa_user_sgpr_private_segment_size 0
		.amdhsa_wavefront_size32 1
		.amdhsa_uses_dynamic_stack 0
		.amdhsa_enable_private_segment 0
		.amdhsa_system_sgpr_workgroup_id_x 1
		.amdhsa_system_sgpr_workgroup_id_y 1
		.amdhsa_system_sgpr_workgroup_id_z 1
		.amdhsa_system_sgpr_workgroup_info 0
		.amdhsa_system_vgpr_workitem_id 1
		.amdhsa_next_free_vgpr 56
		.amdhsa_next_free_sgpr 32
		.amdhsa_reserve_vcc 1
		.amdhsa_float_round_mode_32 0
		.amdhsa_float_round_mode_16_64 0
		.amdhsa_float_denorm_mode_32 3
		.amdhsa_float_denorm_mode_16_64 3
		.amdhsa_dx10_clamp 1
		.amdhsa_ieee_mode 1
		.amdhsa_fp16_overflow 0
		.amdhsa_workgroup_processor_mode 1
		.amdhsa_memory_ordered 1
		.amdhsa_forward_progress 0
		.amdhsa_shared_vgpr_count 0
		.amdhsa_exception_fp_ieee_invalid_op 0
		.amdhsa_exception_fp_denorm_src 0
		.amdhsa_exception_fp_ieee_div_zero 0
		.amdhsa_exception_fp_ieee_overflow 0
		.amdhsa_exception_fp_ieee_underflow 0
		.amdhsa_exception_fp_ieee_inexact 0
		.amdhsa_exception_int_div_zero 0
	.end_amdhsa_kernel
	.section	.text._ZL34rocblas_syrkx_herkx_general_kernelIl19rocblas_complex_numIdELi16ELi32ELi8ELb1ELb0ELc84ELc76EKS1_S1_EviT_T0_PT8_S3_lS6_S3_lS4_PT9_S3_li,"axG",@progbits,_ZL34rocblas_syrkx_herkx_general_kernelIl19rocblas_complex_numIdELi16ELi32ELi8ELb1ELb0ELc84ELc76EKS1_S1_EviT_T0_PT8_S3_lS6_S3_lS4_PT9_S3_li,comdat
.Lfunc_end1217:
	.size	_ZL34rocblas_syrkx_herkx_general_kernelIl19rocblas_complex_numIdELi16ELi32ELi8ELb1ELb0ELc84ELc76EKS1_S1_EviT_T0_PT8_S3_lS6_S3_lS4_PT9_S3_li, .Lfunc_end1217-_ZL34rocblas_syrkx_herkx_general_kernelIl19rocblas_complex_numIdELi16ELi32ELi8ELb1ELb0ELc84ELc76EKS1_S1_EviT_T0_PT8_S3_lS6_S3_lS4_PT9_S3_li
                                        ; -- End function
	.section	.AMDGPU.csdata,"",@progbits
; Kernel info:
; codeLenInByte = 3652
; NumSgprs: 34
; NumVgprs: 56
; ScratchSize: 0
; MemoryBound: 0
; FloatMode: 240
; IeeeMode: 1
; LDSByteSize: 8192 bytes/workgroup (compile time only)
; SGPRBlocks: 4
; VGPRBlocks: 6
; NumSGPRsForWavesPerEU: 34
; NumVGPRsForWavesPerEU: 56
; Occupancy: 16
; WaveLimiterHint : 0
; COMPUTE_PGM_RSRC2:SCRATCH_EN: 0
; COMPUTE_PGM_RSRC2:USER_SGPR: 13
; COMPUTE_PGM_RSRC2:TRAP_HANDLER: 0
; COMPUTE_PGM_RSRC2:TGID_X_EN: 1
; COMPUTE_PGM_RSRC2:TGID_Y_EN: 1
; COMPUTE_PGM_RSRC2:TGID_Z_EN: 1
; COMPUTE_PGM_RSRC2:TIDIG_COMP_CNT: 1
	.section	.text._ZL34rocblas_syrkx_herkx_general_kernelIl19rocblas_complex_numIdELi16ELi32ELi8ELb1ELb0ELc67ELc76EKS1_S1_EviT_T0_PT8_S3_lS6_S3_lS4_PT9_S3_li,"axG",@progbits,_ZL34rocblas_syrkx_herkx_general_kernelIl19rocblas_complex_numIdELi16ELi32ELi8ELb1ELb0ELc67ELc76EKS1_S1_EviT_T0_PT8_S3_lS6_S3_lS4_PT9_S3_li,comdat
	.globl	_ZL34rocblas_syrkx_herkx_general_kernelIl19rocblas_complex_numIdELi16ELi32ELi8ELb1ELb0ELc67ELc76EKS1_S1_EviT_T0_PT8_S3_lS6_S3_lS4_PT9_S3_li ; -- Begin function _ZL34rocblas_syrkx_herkx_general_kernelIl19rocblas_complex_numIdELi16ELi32ELi8ELb1ELb0ELc67ELc76EKS1_S1_EviT_T0_PT8_S3_lS6_S3_lS4_PT9_S3_li
	.p2align	8
	.type	_ZL34rocblas_syrkx_herkx_general_kernelIl19rocblas_complex_numIdELi16ELi32ELi8ELb1ELb0ELc67ELc76EKS1_S1_EviT_T0_PT8_S3_lS6_S3_lS4_PT9_S3_li,@function
_ZL34rocblas_syrkx_herkx_general_kernelIl19rocblas_complex_numIdELi16ELi32ELi8ELb1ELb0ELc67ELc76EKS1_S1_EviT_T0_PT8_S3_lS6_S3_lS4_PT9_S3_li: ; @_ZL34rocblas_syrkx_herkx_general_kernelIl19rocblas_complex_numIdELi16ELi32ELi8ELb1ELb0ELc67ELc76EKS1_S1_EviT_T0_PT8_S3_lS6_S3_lS4_PT9_S3_li
; %bb.0:
	s_clause 0x1
	s_load_b512 s[16:31], s[0:1], 0x8
	s_load_b32 s8, s[0:1], 0x0
	v_mov_b32_e32 v23, 0
	v_dual_mov_b32 v24, 0 :: v_dual_and_b32 v27, 0x3ff, v0
	v_bfe_u32 v28, v0, 10, 10
	s_delay_alu instid0(VALU_DEP_3) | instskip(NEXT) | instid1(VALU_DEP_3)
	v_mov_b32_e32 v19, v23
	v_dual_mov_b32 v21, v23 :: v_dual_mov_b32 v22, v24
	v_dual_mov_b32 v26, v24 :: v_dual_mov_b32 v25, v23
	;; [unrolled: 1-line block ×6, first 2 shown]
	v_mov_b32_e32 v14, v24
	s_waitcnt lgkmcnt(0)
	v_cmp_lt_i64_e64 s2, s[16:17], 1
	s_lshl_b32 s9, s13, 5
	s_lshl_b32 s10, s14, 5
	s_mov_b64 s[4:5], 0
	s_delay_alu instid0(VALU_DEP_1)
	s_and_b32 vcc_lo, exec_lo, s2
	s_cbranch_vccnz .LBB1218_9
; %bb.1:
	v_lshl_add_u32 v1, v28, 4, v27
	s_load_b64 s[6:7], s[0:1], 0x48
	v_dual_mov_b32 v0, 0 :: v_dual_and_b32 v29, 7, v27
	s_mul_i32 s3, s27, s15
	s_delay_alu instid0(VALU_DEP_2)
	v_and_b32_e32 v3, 31, v1
	v_lshrrev_b32_e32 v5, 3, v1
	v_lshrrev_b32_e32 v32, 5, v1
	v_lshlrev_b32_e32 v9, 4, v29
	s_mul_hi_u32 s11, s26, s15
	v_add_nc_u32_e32 v4, s9, v3
	v_add_nc_u32_e32 v7, s10, v5
	v_or_b32_e32 v10, s9, v3
	v_lshlrev_b32_e32 v11, 4, v3
	v_lshl_or_b32 v5, v5, 7, v9
	v_ashrrev_i32_e32 v6, 31, v4
	v_mul_lo_u32 v8, s25, v4
	v_mad_u64_u32 v[1:2], null, s24, v4, 0
	v_ashrrev_i32_e32 v12, 31, v7
	s_delay_alu instid0(VALU_DEP_4)
	v_mul_lo_u32 v6, s24, v6
	v_mul_lo_u32 v13, s31, v7
	v_mad_u64_u32 v[3:4], null, s30, v7, 0
	s_mul_i32 s2, s26, s15
	s_add_i32 s3, s11, s3
	v_add_nc_u32_e32 v34, 0x1000, v5
	s_lshl_b64 s[12:13], s[2:3], 4
	s_delay_alu instid0(VALU_DEP_4)
	v_add3_u32 v2, v2, v6, v8
	v_mul_lo_u32 v6, s30, v12
	v_cmp_gt_i32_e32 vcc_lo, s8, v7
	v_lshlrev_b32_e32 v7, 4, v32
	v_lshlrev_b32_e32 v30, 4, v27
	v_lshlrev_b64 v[1:2], 4, v[1:2]
	v_lshl_add_u32 v31, v28, 7, 0x1000
	v_cmp_gt_i32_e64 s2, s8, v10
	v_add3_u32 v4, v4, v6, v13
	s_delay_alu instid0(VALU_DEP_4) | instskip(NEXT) | instid1(VALU_DEP_1)
	v_add_co_u32 v5, s3, v1, s12
	v_add_co_ci_u32_e64 v6, s3, s13, v2, s3
	s_waitcnt lgkmcnt(0)
	s_mul_i32 s3, s7, s15
	s_mul_hi_u32 s7, s6, s15
	v_lshlrev_b64 v[1:2], 4, v[3:4]
	s_add_i32 s7, s7, s3
	s_mul_i32 s6, s6, s15
	v_add_co_u32 v3, s3, v5, v7
	s_lshl_b64 s[6:7], s[6:7], 4
	v_add_co_ci_u32_e64 v4, s3, 0, v6, s3
	v_mov_b32_e32 v5, 0
	v_add_co_u32 v1, s3, v1, s6
	v_mov_b32_e32 v6, 0
	v_add_co_ci_u32_e64 v2, s3, s7, v2, s3
	v_add_co_u32 v3, s3, v3, s22
	s_delay_alu instid0(VALU_DEP_1) | instskip(NEXT) | instid1(VALU_DEP_4)
	v_add_co_ci_u32_e64 v4, s3, s23, v4, s3
	v_mov_b32_e32 v18, v6
	v_lshl_or_b32 v33, v32, 9, v11
	v_mov_b32_e32 v12, v6
	v_add_co_u32 v1, s3, v1, v9
	s_delay_alu instid0(VALU_DEP_1) | instskip(SKIP_1) | instid1(VALU_DEP_1)
	v_add_co_ci_u32_e64 v2, s3, 0, v2, s3
	v_add_co_u32 v7, s3, v3, 8
	v_add_co_ci_u32_e64 v8, s3, 0, v4, s3
	v_mov_b32_e32 v16, v6
	v_add_co_u32 v9, s3, s28, v1
	v_dual_mov_b32 v17, v5 :: v_dual_mov_b32 v22, v6
	v_dual_mov_b32 v15, v5 :: v_dual_mov_b32 v20, v6
	;; [unrolled: 1-line block ×4, first 2 shown]
	v_mov_b32_e32 v24, v6
	v_add_co_ci_u32_e64 v10, s3, s29, v2, s3
	v_mov_b32_e32 v13, v5
	v_mov_b32_e32 v11, v5
	;; [unrolled: 1-line block ×4, first 2 shown]
	s_xor_b32 s3, vcc_lo, -1
	s_branch .LBB1218_3
.LBB1218_2:                             ;   in Loop: Header=BB1218_3 Depth=1
	s_or_b32 exec_lo, exec_lo, s6
	s_waitcnt lgkmcnt(0)
	s_barrier
	buffer_gl0_inv
	ds_load_b128 v[1:4], v31
	ds_load_b128 v[35:38], v30
	ds_load_b128 v[39:42], v30 offset:256
	ds_load_b128 v[43:46], v31 offset:2048
	;; [unrolled: 1-line block ×9, first 2 shown]
	s_add_u32 s4, s4, 8
	s_addc_u32 s5, s5, 0
	v_add_co_u32 v7, vcc_lo, 0x80, v7
	v_cmp_ge_i64_e64 s6, s[4:5], s[16:17]
	v_add_co_ci_u32_e32 v8, vcc_lo, 0, v8, vcc_lo
	v_add_co_u32 v9, vcc_lo, 0x80, v9
	v_add_co_ci_u32_e32 v10, vcc_lo, 0, v10, vcc_lo
	s_delay_alu instid0(VALU_DEP_4)
	s_and_b32 vcc_lo, exec_lo, s6
	s_waitcnt lgkmcnt(9)
	v_mul_f64 v[75:76], v[3:4], v[37:38]
	v_mul_f64 v[77:78], v[1:2], v[37:38]
	s_waitcnt lgkmcnt(8)
	v_mul_f64 v[79:80], v[3:4], v[41:42]
	v_mul_f64 v[81:82], v[1:2], v[41:42]
	;; [unrolled: 3-line block ×3, first 2 shown]
	v_mul_f64 v[85:86], v[45:46], v[41:42]
	v_mul_f64 v[41:42], v[43:44], v[41:42]
	s_waitcnt lgkmcnt(4)
	v_mul_f64 v[87:88], v[49:50], v[57:58]
	v_mul_f64 v[89:90], v[47:48], v[57:58]
	s_waitcnt lgkmcnt(3)
	v_mul_f64 v[91:92], v[49:50], v[61:62]
	v_mul_f64 v[93:94], v[47:48], v[61:62]
	;; [unrolled: 1-line block ×6, first 2 shown]
	s_waitcnt lgkmcnt(0)
	v_mul_f64 v[115:116], v[73:74], v[65:66]
	v_mul_f64 v[117:118], v[73:74], v[69:70]
	v_fma_f64 v[99:100], v[1:2], v[35:36], -v[75:76]
	v_fma_f64 v[101:102], v[3:4], v[35:36], v[77:78]
	v_fma_f64 v[79:80], v[1:2], v[39:40], -v[79:80]
	v_fma_f64 v[81:82], v[3:4], v[39:40], v[81:82]
	;; [unrolled: 2-line block ×4, first 2 shown]
	ds_load_b128 v[75:78], v31 offset:32
	v_fma_f64 v[87:88], v[47:48], v[55:56], -v[87:88]
	v_fma_f64 v[89:90], v[49:50], v[55:56], v[89:90]
	v_fma_f64 v[47:48], v[47:48], v[59:60], -v[91:92]
	v_fma_f64 v[49:50], v[49:50], v[59:60], v[93:94]
	;; [unrolled: 2-line block ×4, first 2 shown]
	ds_load_b128 v[1:4], v31 offset:48
	ds_load_b128 v[35:38], v31 offset:2096
	;; [unrolled: 1-line block ×4, first 2 shown]
	s_waitcnt lgkmcnt(4)
	v_mul_f64 v[107:108], v[77:78], v[65:66]
	v_mul_f64 v[109:110], v[75:76], v[65:66]
	;; [unrolled: 1-line block ×6, first 2 shown]
	s_waitcnt lgkmcnt(1)
	v_mul_f64 v[93:94], v[1:2], v[41:42]
	s_waitcnt lgkmcnt(0)
	v_mul_f64 v[95:96], v[3:4], v[45:46]
	v_add_f64 v[23:24], v[23:24], v[99:100]
	v_add_f64 v[25:26], v[25:26], v[101:102]
	;; [unrolled: 1-line block ×8, first 2 shown]
	v_mul_f64 v[85:86], v[3:4], v[41:42]
	v_mul_f64 v[97:98], v[1:2], v[45:46]
	;; [unrolled: 1-line block ×6, first 2 shown]
	ds_load_b128 v[11:14], v30 offset:2048
	ds_load_b128 v[15:18], v30 offset:2304
	;; [unrolled: 1-line block ×3, first 2 shown]
	v_fma_f64 v[105:106], v[75:76], v[63:64], -v[107:108]
	v_fma_f64 v[107:108], v[77:78], v[63:64], v[109:110]
	v_fma_f64 v[75:76], v[75:76], v[67:68], -v[111:112]
	v_fma_f64 v[77:78], v[77:78], v[67:68], v[113:114]
	;; [unrolled: 2-line block ×4, first 2 shown]
	s_waitcnt lgkmcnt(0)
	v_mul_f64 v[115:116], v[21:22], v[13:14]
	v_mul_f64 v[117:118], v[21:22], v[17:18]
	v_add_f64 v[69:70], v[23:24], v[87:88]
	v_add_f64 v[71:72], v[25:26], v[89:90]
	;; [unrolled: 1-line block ×8, first 2 shown]
	ds_load_b128 v[23:26], v31 offset:64
	v_fma_f64 v[85:86], v[1:2], v[39:40], -v[85:86]
	v_fma_f64 v[93:94], v[3:4], v[39:40], v[93:94]
	v_fma_f64 v[95:96], v[1:2], v[43:44], -v[95:96]
	v_fma_f64 v[97:98], v[3:4], v[43:44], v[97:98]
	v_fma_f64 v[99:100], v[35:36], v[39:40], -v[99:100]
	v_fma_f64 v[119:120], v[37:38], v[39:40], v[41:42]
	v_fma_f64 v[101:102], v[35:36], v[43:44], -v[101:102]
	v_fma_f64 v[43:44], v[37:38], v[43:44], v[103:104]
	ds_load_b128 v[45:48], v31 offset:80
	ds_load_b128 v[49:52], v31 offset:2128
	;; [unrolled: 1-line block ×7, first 2 shown]
	s_waitcnt lgkmcnt(7)
	v_mul_f64 v[89:90], v[25:26], v[13:14]
	v_mul_f64 v[91:92], v[23:24], v[13:14]
	;; [unrolled: 1-line block ×6, first 2 shown]
	s_waitcnt lgkmcnt(3)
	v_mul_f64 v[103:104], v[51:52], v[59:60]
	v_add_f64 v[69:70], v[69:70], v[105:106]
	v_add_f64 v[71:72], v[71:72], v[107:108]
	;; [unrolled: 1-line block ×8, first 2 shown]
	v_mul_f64 v[77:78], v[47:48], v[55:56]
	v_mul_f64 v[79:80], v[45:46], v[55:56]
	;; [unrolled: 1-line block ×7, first 2 shown]
	v_fma_f64 v[89:90], v[23:24], v[11:12], -v[89:90]
	v_fma_f64 v[91:92], v[25:26], v[11:12], v[91:92]
	v_fma_f64 v[107:108], v[23:24], v[15:16], -v[111:112]
	v_fma_f64 v[109:110], v[25:26], v[15:16], v[113:114]
	;; [unrolled: 2-line block ×4, first 2 shown]
	ds_load_b128 v[11:14], v31 offset:96
	v_add_f64 v[69:70], v[69:70], v[85:86]
	v_add_f64 v[71:72], v[71:72], v[93:94]
	;; [unrolled: 1-line block ×8, first 2 shown]
	s_waitcnt lgkmcnt(1)
	v_mul_f64 v[99:100], v[41:42], v[3:4]
	v_mul_f64 v[101:102], v[41:42], v[37:38]
	v_fma_f64 v[77:78], v[45:46], v[53:54], -v[77:78]
	v_fma_f64 v[79:80], v[47:48], v[53:54], v[79:80]
	v_fma_f64 v[45:46], v[45:46], v[57:58], -v[81:82]
	v_fma_f64 v[47:48], v[47:48], v[57:58], v[83:84]
	;; [unrolled: 2-line block ×4, first 2 shown]
	s_waitcnt lgkmcnt(0)
	v_mul_f64 v[67:68], v[13:14], v[3:4]
	v_mul_f64 v[93:94], v[11:12], v[3:4]
	;; [unrolled: 1-line block ×6, first 2 shown]
	ds_load_b128 v[15:18], v31 offset:112
	ds_load_b128 v[19:22], v31 offset:2160
	;; [unrolled: 1-line block ×4, first 2 shown]
	s_waitcnt lgkmcnt(0)
	s_barrier
	buffer_gl0_inv
	v_add_f64 v[55:56], v[69:70], v[89:90]
	v_add_f64 v[57:58], v[71:72], v[91:92]
	;; [unrolled: 1-line block ×8, first 2 shown]
	v_mul_f64 v[75:76], v[17:18], v[25:26]
	v_mul_f64 v[83:84], v[15:16], v[25:26]
	;; [unrolled: 1-line block ×8, first 2 shown]
	v_fma_f64 v[67:68], v[11:12], v[1:2], -v[67:68]
	v_fma_f64 v[93:94], v[13:14], v[1:2], v[93:94]
	v_fma_f64 v[11:12], v[11:12], v[35:36], -v[95:96]
	v_fma_f64 v[13:14], v[13:14], v[35:36], v[97:98]
	;; [unrolled: 2-line block ×4, first 2 shown]
	v_add_f64 v[37:38], v[55:56], v[77:78]
	v_add_f64 v[39:40], v[57:58], v[79:80]
	v_add_f64 v[41:42], v[69:70], v[45:46]
	v_add_f64 v[45:46], v[71:72], v[47:48]
	v_add_f64 v[47:48], v[73:74], v[81:82]
	v_add_f64 v[53:54], v[63:64], v[53:54]
	v_add_f64 v[49:50], v[65:66], v[49:50]
	v_add_f64 v[43:44], v[43:44], v[51:52]
	v_fma_f64 v[51:52], v[15:16], v[23:24], -v[75:76]
	v_fma_f64 v[55:56], v[17:18], v[23:24], v[83:84]
	v_fma_f64 v[15:16], v[15:16], v[59:60], -v[85:86]
	v_fma_f64 v[17:18], v[17:18], v[59:60], v[87:88]
	v_fma_f64 v[57:58], v[19:20], v[23:24], -v[89:90]
	v_fma_f64 v[63:64], v[21:22], v[23:24], v[25:26]
	v_fma_f64 v[65:66], v[19:20], v[59:60], -v[91:92]
	v_fma_f64 v[59:60], v[21:22], v[59:60], v[61:62]
	v_add_f64 v[19:20], v[37:38], v[67:68]
	v_add_f64 v[21:22], v[39:40], v[93:94]
	;; [unrolled: 1-line block ×16, first 2 shown]
	s_cbranch_vccnz .LBB1218_9
.LBB1218_3:                             ; =>This Inner Loop Header: Depth=1
	v_add_co_u32 v1, s6, v32, s4
	s_delay_alu instid0(VALU_DEP_1) | instskip(SKIP_1) | instid1(VALU_DEP_2)
	v_add_co_ci_u32_e64 v2, null, 0, s5, s6
	v_dual_mov_b32 v3, v5 :: v_dual_mov_b32 v4, v6
	v_cmp_gt_i64_e32 vcc_lo, s[16:17], v[1:2]
	v_dual_mov_b32 v1, v5 :: v_dual_mov_b32 v2, v6
	s_and_b32 s7, s2, vcc_lo
	s_delay_alu instid0(SALU_CYCLE_1)
	s_and_saveexec_b32 s6, s7
	s_cbranch_execz .LBB1218_5
; %bb.4:                                ;   in Loop: Header=BB1218_3 Depth=1
	global_load_b128 v[1:4], v[7:8], off offset:-8
.LBB1218_5:                             ;   in Loop: Header=BB1218_3 Depth=1
	s_or_b32 exec_lo, exec_lo, s6
	v_add_co_u32 v35, s6, v29, s4
	s_delay_alu instid0(VALU_DEP_1) | instskip(SKIP_4) | instid1(SALU_CYCLE_1)
	v_add_co_ci_u32_e64 v36, null, 0, s5, s6
	s_waitcnt vmcnt(0)
	ds_store_b128 v33, v[1:4]
	v_cmp_le_i64_e32 vcc_lo, s[16:17], v[35:36]
	s_or_b32 s6, vcc_lo, s3
	s_and_saveexec_b32 s7, s6
	s_delay_alu instid0(SALU_CYCLE_1)
	s_xor_b32 s6, exec_lo, s7
	s_cbranch_execz .LBB1218_7
; %bb.6:                                ;   in Loop: Header=BB1218_3 Depth=1
	v_mov_b32_e32 v1, v0
	v_mov_b32_e32 v2, v0
	;; [unrolled: 1-line block ×3, first 2 shown]
	ds_store_b128 v34, v[0:3]
.LBB1218_7:                             ;   in Loop: Header=BB1218_3 Depth=1
	s_and_not1_saveexec_b32 s6, s6
	s_cbranch_execz .LBB1218_2
; %bb.8:                                ;   in Loop: Header=BB1218_3 Depth=1
	global_load_b128 v[1:4], v[9:10], off
	s_waitcnt vmcnt(0)
	ds_store_2addr_b64 v34, v[1:2], v[3:4] offset1:1
	s_branch .LBB1218_2
.LBB1218_9:
	s_clause 0x1
	s_load_b128 s[4:7], s[0:1], 0x60
	s_load_b64 s[2:3], s[0:1], 0x70
	v_add_nc_u32_e32 v4, s10, v28
	s_delay_alu instid0(VALU_DEP_1) | instskip(SKIP_1) | instid1(VALU_DEP_1)
	v_ashrrev_i32_e32 v0, 31, v4
	s_waitcnt lgkmcnt(0)
	v_mul_lo_u32 v3, v0, s6
	v_mul_lo_u32 v5, v4, s7
	v_mad_u64_u32 v[1:2], null, v4, s6, 0
	s_mul_i32 s1, s15, s3
	s_mul_hi_u32 s3, s15, s2
	s_mul_i32 s2, s15, s2
	s_add_i32 s3, s3, s1
	v_add_nc_u32_e32 v0, s9, v27
	s_lshl_b64 s[2:3], s[2:3], 4
	s_delay_alu instid0(VALU_DEP_2)
	v_add3_u32 v2, v2, v5, v3
	s_add_u32 s2, s4, s2
	s_addc_u32 s3, s5, s3
	v_cmp_le_i32_e64 s0, v4, v0
	v_cmp_gt_i32_e32 vcc_lo, s8, v0
	v_lshlrev_b64 v[1:2], 4, v[1:2]
	s_delay_alu instid0(VALU_DEP_3) | instskip(NEXT) | instid1(VALU_DEP_1)
	s_and_b32 s0, s0, vcc_lo
	v_add_co_u32 v5, s1, s2, v1
	s_delay_alu instid0(VALU_DEP_1)
	v_add_co_ci_u32_e64 v6, s1, s3, v2, s1
	s_and_saveexec_b32 s1, s0
	s_cbranch_execz .LBB1218_11
; %bb.10:
	v_mul_f64 v[1:2], s[20:21], v[25:26]
	v_mul_f64 v[9:10], s[18:19], v[25:26]
	s_delay_alu instid0(VALU_DEP_2) | instskip(NEXT) | instid1(VALU_DEP_2)
	v_fma_f64 v[7:8], s[18:19], v[23:24], -v[1:2]
	v_fma_f64 v[9:10], s[20:21], v[23:24], v[9:10]
	v_ashrrev_i32_e32 v1, 31, v0
	s_delay_alu instid0(VALU_DEP_1) | instskip(NEXT) | instid1(VALU_DEP_1)
	v_lshlrev_b64 v[1:2], 4, v[0:1]
	v_add_co_u32 v1, s0, v5, v1
	s_delay_alu instid0(VALU_DEP_1)
	v_add_co_ci_u32_e64 v2, s0, v6, v2, s0
	global_store_b128 v[1:2], v[7:10], off
.LBB1218_11:
	s_or_b32 exec_lo, exec_lo, s1
	v_add_nc_u32_e32 v2, 16, v0
	s_delay_alu instid0(VALU_DEP_1) | instskip(SKIP_1) | instid1(VALU_DEP_1)
	v_cmp_le_i32_e64 s1, v4, v2
	v_cmp_gt_i32_e64 s0, s8, v2
	s_and_b32 s1, s1, s0
	s_delay_alu instid0(SALU_CYCLE_1)
	s_and_saveexec_b32 s4, s1
	s_cbranch_execz .LBB1218_13
; %bb.12:
	v_mul_f64 v[7:8], s[20:21], v[21:22]
	v_mul_f64 v[9:10], s[18:19], v[21:22]
	v_ashrrev_i32_e32 v3, 31, v2
	s_delay_alu instid0(VALU_DEP_3) | instskip(NEXT) | instid1(VALU_DEP_3)
	v_fma_f64 v[7:8], s[18:19], v[19:20], -v[7:8]
	v_fma_f64 v[9:10], s[20:21], v[19:20], v[9:10]
	s_delay_alu instid0(VALU_DEP_3) | instskip(NEXT) | instid1(VALU_DEP_1)
	v_lshlrev_b64 v[19:20], 4, v[2:3]
	v_add_co_u32 v5, s1, v5, v19
	s_delay_alu instid0(VALU_DEP_1)
	v_add_co_ci_u32_e64 v6, s1, v6, v20, s1
	global_store_b128 v[5:6], v[7:10], off
.LBB1218_13:
	s_or_b32 exec_lo, exec_lo, s4
	v_add_nc_u32_e32 v3, 16, v4
	s_delay_alu instid0(VALU_DEP_1) | instskip(SKIP_3) | instid1(VALU_DEP_4)
	v_ashrrev_i32_e32 v1, 31, v3
	v_mul_lo_u32 v6, v3, s7
	v_mad_u64_u32 v[4:5], null, v3, s6, 0
	v_cmp_le_i32_e64 s1, v3, v0
	v_mul_lo_u32 v1, v1, s6
	s_delay_alu instid0(VALU_DEP_1) | instskip(NEXT) | instid1(VALU_DEP_1)
	v_add3_u32 v5, v5, v6, v1
	v_lshlrev_b64 v[4:5], 4, v[4:5]
	s_delay_alu instid0(VALU_DEP_1) | instskip(NEXT) | instid1(VALU_DEP_1)
	v_add_co_u32 v4, s2, s2, v4
	v_add_co_ci_u32_e64 v5, s2, s3, v5, s2
	s_and_b32 s2, s1, vcc_lo
	s_delay_alu instid0(SALU_CYCLE_1)
	s_and_saveexec_b32 s1, s2
	s_cbranch_execz .LBB1218_15
; %bb.14:
	v_mul_f64 v[6:7], s[20:21], v[17:18]
	v_mul_f64 v[8:9], s[18:19], v[17:18]
	v_ashrrev_i32_e32 v1, 31, v0
	s_delay_alu instid0(VALU_DEP_1) | instskip(NEXT) | instid1(VALU_DEP_1)
	v_lshlrev_b64 v[0:1], 4, v[0:1]
	v_add_co_u32 v0, vcc_lo, v4, v0
	s_delay_alu instid0(VALU_DEP_2)
	v_add_co_ci_u32_e32 v1, vcc_lo, v5, v1, vcc_lo
	v_fma_f64 v[6:7], s[18:19], v[15:16], -v[6:7]
	v_fma_f64 v[8:9], s[20:21], v[15:16], v[8:9]
	global_store_b128 v[0:1], v[6:9], off
.LBB1218_15:
	s_or_b32 exec_lo, exec_lo, s1
	v_cmp_le_i32_e32 vcc_lo, v3, v2
	s_and_b32 s0, vcc_lo, s0
	s_delay_alu instid0(SALU_CYCLE_1)
	s_and_saveexec_b32 s1, s0
	s_cbranch_execz .LBB1218_17
; %bb.16:
	v_mul_f64 v[0:1], s[20:21], v[13:14]
	v_mul_f64 v[8:9], s[18:19], v[13:14]
	v_ashrrev_i32_e32 v3, 31, v2
	s_delay_alu instid0(VALU_DEP_3) | instskip(NEXT) | instid1(VALU_DEP_3)
	v_fma_f64 v[6:7], s[18:19], v[11:12], -v[0:1]
	v_fma_f64 v[8:9], s[20:21], v[11:12], v[8:9]
	s_delay_alu instid0(VALU_DEP_3) | instskip(NEXT) | instid1(VALU_DEP_1)
	v_lshlrev_b64 v[0:1], 4, v[2:3]
	v_add_co_u32 v0, vcc_lo, v4, v0
	s_delay_alu instid0(VALU_DEP_2)
	v_add_co_ci_u32_e32 v1, vcc_lo, v5, v1, vcc_lo
	global_store_b128 v[0:1], v[6:9], off
.LBB1218_17:
	s_nop 0
	s_sendmsg sendmsg(MSG_DEALLOC_VGPRS)
	s_endpgm
	.section	.rodata,"a",@progbits
	.p2align	6, 0x0
	.amdhsa_kernel _ZL34rocblas_syrkx_herkx_general_kernelIl19rocblas_complex_numIdELi16ELi32ELi8ELb1ELb0ELc67ELc76EKS1_S1_EviT_T0_PT8_S3_lS6_S3_lS4_PT9_S3_li
		.amdhsa_group_segment_fixed_size 8192
		.amdhsa_private_segment_fixed_size 0
		.amdhsa_kernarg_size 124
		.amdhsa_user_sgpr_count 13
		.amdhsa_user_sgpr_dispatch_ptr 0
		.amdhsa_user_sgpr_queue_ptr 0
		.amdhsa_user_sgpr_kernarg_segment_ptr 1
		.amdhsa_user_sgpr_dispatch_id 0
		.amdhsa_user_sgpr_private_segment_size 0
		.amdhsa_wavefront_size32 1
		.amdhsa_uses_dynamic_stack 0
		.amdhsa_enable_private_segment 0
		.amdhsa_system_sgpr_workgroup_id_x 1
		.amdhsa_system_sgpr_workgroup_id_y 1
		.amdhsa_system_sgpr_workgroup_id_z 1
		.amdhsa_system_sgpr_workgroup_info 0
		.amdhsa_system_vgpr_workitem_id 1
		.amdhsa_next_free_vgpr 121
		.amdhsa_next_free_sgpr 32
		.amdhsa_reserve_vcc 1
		.amdhsa_float_round_mode_32 0
		.amdhsa_float_round_mode_16_64 0
		.amdhsa_float_denorm_mode_32 3
		.amdhsa_float_denorm_mode_16_64 3
		.amdhsa_dx10_clamp 1
		.amdhsa_ieee_mode 1
		.amdhsa_fp16_overflow 0
		.amdhsa_workgroup_processor_mode 1
		.amdhsa_memory_ordered 1
		.amdhsa_forward_progress 0
		.amdhsa_shared_vgpr_count 0
		.amdhsa_exception_fp_ieee_invalid_op 0
		.amdhsa_exception_fp_denorm_src 0
		.amdhsa_exception_fp_ieee_div_zero 0
		.amdhsa_exception_fp_ieee_overflow 0
		.amdhsa_exception_fp_ieee_underflow 0
		.amdhsa_exception_fp_ieee_inexact 0
		.amdhsa_exception_int_div_zero 0
	.end_amdhsa_kernel
	.section	.text._ZL34rocblas_syrkx_herkx_general_kernelIl19rocblas_complex_numIdELi16ELi32ELi8ELb1ELb0ELc67ELc76EKS1_S1_EviT_T0_PT8_S3_lS6_S3_lS4_PT9_S3_li,"axG",@progbits,_ZL34rocblas_syrkx_herkx_general_kernelIl19rocblas_complex_numIdELi16ELi32ELi8ELb1ELb0ELc67ELc76EKS1_S1_EviT_T0_PT8_S3_lS6_S3_lS4_PT9_S3_li,comdat
.Lfunc_end1218:
	.size	_ZL34rocblas_syrkx_herkx_general_kernelIl19rocblas_complex_numIdELi16ELi32ELi8ELb1ELb0ELc67ELc76EKS1_S1_EviT_T0_PT8_S3_lS6_S3_lS4_PT9_S3_li, .Lfunc_end1218-_ZL34rocblas_syrkx_herkx_general_kernelIl19rocblas_complex_numIdELi16ELi32ELi8ELb1ELb0ELc67ELc76EKS1_S1_EviT_T0_PT8_S3_lS6_S3_lS4_PT9_S3_li
                                        ; -- End function
	.section	.AMDGPU.csdata,"",@progbits
; Kernel info:
; codeLenInByte = 3372
; NumSgprs: 34
; NumVgprs: 121
; ScratchSize: 0
; MemoryBound: 1
; FloatMode: 240
; IeeeMode: 1
; LDSByteSize: 8192 bytes/workgroup (compile time only)
; SGPRBlocks: 4
; VGPRBlocks: 15
; NumSGPRsForWavesPerEU: 34
; NumVGPRsForWavesPerEU: 121
; Occupancy: 10
; WaveLimiterHint : 0
; COMPUTE_PGM_RSRC2:SCRATCH_EN: 0
; COMPUTE_PGM_RSRC2:USER_SGPR: 13
; COMPUTE_PGM_RSRC2:TRAP_HANDLER: 0
; COMPUTE_PGM_RSRC2:TGID_X_EN: 1
; COMPUTE_PGM_RSRC2:TGID_Y_EN: 1
; COMPUTE_PGM_RSRC2:TGID_Z_EN: 1
; COMPUTE_PGM_RSRC2:TIDIG_COMP_CNT: 1
	.section	.text._ZL34rocblas_syrkx_herkx_general_kernelIl19rocblas_complex_numIdELi16ELi32ELi8ELb1ELb0ELc78ELc76EKS1_S1_EviT_T0_PT8_S3_lS6_S3_lS4_PT9_S3_li,"axG",@progbits,_ZL34rocblas_syrkx_herkx_general_kernelIl19rocblas_complex_numIdELi16ELi32ELi8ELb1ELb0ELc78ELc76EKS1_S1_EviT_T0_PT8_S3_lS6_S3_lS4_PT9_S3_li,comdat
	.globl	_ZL34rocblas_syrkx_herkx_general_kernelIl19rocblas_complex_numIdELi16ELi32ELi8ELb1ELb0ELc78ELc76EKS1_S1_EviT_T0_PT8_S3_lS6_S3_lS4_PT9_S3_li ; -- Begin function _ZL34rocblas_syrkx_herkx_general_kernelIl19rocblas_complex_numIdELi16ELi32ELi8ELb1ELb0ELc78ELc76EKS1_S1_EviT_T0_PT8_S3_lS6_S3_lS4_PT9_S3_li
	.p2align	8
	.type	_ZL34rocblas_syrkx_herkx_general_kernelIl19rocblas_complex_numIdELi16ELi32ELi8ELb1ELb0ELc78ELc76EKS1_S1_EviT_T0_PT8_S3_lS6_S3_lS4_PT9_S3_li,@function
_ZL34rocblas_syrkx_herkx_general_kernelIl19rocblas_complex_numIdELi16ELi32ELi8ELb1ELb0ELc78ELc76EKS1_S1_EviT_T0_PT8_S3_lS6_S3_lS4_PT9_S3_li: ; @_ZL34rocblas_syrkx_herkx_general_kernelIl19rocblas_complex_numIdELi16ELi32ELi8ELb1ELb0ELc78ELc76EKS1_S1_EviT_T0_PT8_S3_lS6_S3_lS4_PT9_S3_li
; %bb.0:
	s_clause 0x1
	s_load_b512 s[16:31], s[0:1], 0x8
	s_load_b32 s10, s[0:1], 0x0
	v_mov_b32_e32 v21, 0
	v_dual_mov_b32 v22, 0 :: v_dual_and_b32 v25, 0x3ff, v0
	v_bfe_u32 v26, v0, 10, 10
	s_delay_alu instid0(VALU_DEP_3) | instskip(NEXT) | instid1(VALU_DEP_3)
	v_mov_b32_e32 v17, v21
	v_dual_mov_b32 v19, v21 :: v_dual_mov_b32 v20, v22
	v_dual_mov_b32 v24, v22 :: v_dual_mov_b32 v23, v21
	v_dual_mov_b32 v18, v22 :: v_dual_mov_b32 v13, v21
	v_dual_mov_b32 v14, v22 :: v_dual_mov_b32 v15, v21
	v_dual_mov_b32 v16, v22 :: v_dual_mov_b32 v11, v21
	v_dual_mov_b32 v12, v22 :: v_dual_mov_b32 v9, v21
	v_mov_b32_e32 v10, v22
	s_waitcnt lgkmcnt(0)
	v_cmp_lt_i64_e64 s2, s[16:17], 1
	s_lshl_b32 s11, s13, 5
	s_lshl_b32 s12, s14, 5
	s_mov_b64 s[4:5], 0
	s_delay_alu instid0(VALU_DEP_1)
	s_and_b32 vcc_lo, exec_lo, s2
	s_cbranch_vccnz .LBB1219_9
; %bb.1:
	v_lshl_add_u32 v3, v26, 4, v25
	v_dual_mov_b32 v0, 0 :: v_dual_and_b32 v27, 7, v25
	s_load_b64 s[6:7], s[0:1], 0x48
	s_mul_i32 s3, s27, s15
	s_delay_alu instid0(VALU_DEP_2) | instskip(SKIP_3) | instid1(VALU_DEP_4)
	v_lshrrev_b32_e32 v28, 5, v3
	v_lshrrev_b32_e32 v7, 3, v3
	v_and_b32_e32 v8, 31, v3
	v_mad_u64_u32 v[3:4], null, s30, v27, 0
	v_mad_u64_u32 v[1:2], null, s24, v28, 0
	v_lshlrev_b32_e32 v9, 4, v27
	s_mul_hi_u32 s8, s26, s15
	s_mul_i32 s2, s26, s15
	s_add_i32 s3, s8, s3
	v_lshl_add_u32 v30, v26, 7, 0x1000
	s_lshl_b64 s[8:9], s[2:3], 4
	s_delay_alu instid0(VALU_DEP_3)
	v_mad_u64_u32 v[5:6], null, s25, v28, v[2:3]
	v_or_b32_e32 v2, s11, v8
	v_lshlrev_b32_e32 v29, 4, v25
	v_add_nc_u32_e32 v6, s12, v7
	v_lshl_or_b32 v7, v7, 7, v9
	s_waitcnt lgkmcnt(0)
	s_mul_i32 s7, s7, s15
	v_cmp_gt_i32_e32 vcc_lo, s10, v2
	v_mov_b32_e32 v2, v5
	v_mad_u64_u32 v[9:10], null, s31, v27, v[4:5]
	v_lshlrev_b32_e32 v11, 4, v8
	v_add_nc_u32_e32 v8, s11, v8
	s_delay_alu instid0(VALU_DEP_4)
	v_lshlrev_b64 v[1:2], 4, v[1:2]
	v_add_nc_u32_e32 v32, 0x1000, v7
	v_ashrrev_i32_e32 v7, 31, v6
	s_mul_hi_u32 s13, s6, s15
	v_mov_b32_e32 v4, v9
	s_add_i32 s7, s13, s7
	v_add_co_u32 v5, s3, v1, s8
	s_delay_alu instid0(VALU_DEP_1) | instskip(NEXT) | instid1(VALU_DEP_3)
	v_add_co_ci_u32_e64 v10, s3, s9, v2, s3
	v_lshlrev_b64 v[1:2], 4, v[3:4]
	s_mul_i32 s6, s6, s15
	v_ashrrev_i32_e32 v9, 31, v8
	s_lshl_b64 s[6:7], s[6:7], 4
	v_lshlrev_b64 v[3:4], 4, v[6:7]
	v_cmp_gt_i32_e64 s2, s10, v6
	v_add_co_u32 v6, s3, s6, v1
	s_delay_alu instid0(VALU_DEP_1) | instskip(SKIP_1) | instid1(VALU_DEP_3)
	v_add_co_ci_u32_e64 v7, s3, s7, v2, s3
	v_lshlrev_b64 v[1:2], 4, v[8:9]
	v_add_co_u32 v3, s3, v6, v3
	s_delay_alu instid0(VALU_DEP_1) | instskip(SKIP_1) | instid1(VALU_DEP_4)
	v_add_co_ci_u32_e64 v4, s3, v7, v4, s3
	v_lshl_or_b32 v31, v28, 9, v11
	v_add_co_u32 v1, s3, v5, v1
	s_delay_alu instid0(VALU_DEP_1)
	v_add_co_ci_u32_e64 v2, s3, v10, v2, s3
	v_add_co_u32 v3, s3, v3, s28
	v_mov_b32_e32 v9, 0
	v_add_co_ci_u32_e64 v4, s3, s29, v4, s3
	v_mov_b32_e32 v10, 0
	v_add_co_u32 v5, s3, s22, v1
	s_delay_alu instid0(VALU_DEP_1) | instskip(SKIP_1) | instid1(VALU_DEP_4)
	v_add_co_ci_u32_e64 v6, s3, s23, v2, s3
	v_add_co_u32 v7, s3, v3, 8
	v_mov_b32_e32 v12, v10
	v_mov_b32_e32 v16, v10
	;; [unrolled: 1-line block ×6, first 2 shown]
	v_dual_mov_b32 v22, v10 :: v_dual_mov_b32 v21, v9
	v_add_co_ci_u32_e64 v8, s3, 0, v4, s3
	v_mov_b32_e32 v11, v9
	v_mov_b32_e32 v15, v9
	;; [unrolled: 1-line block ×6, first 2 shown]
	s_lshl_b64 s[6:7], s[24:25], 7
	s_lshl_b64 s[8:9], s[30:31], 7
	s_xor_b32 s3, vcc_lo, -1
	s_branch .LBB1219_3
.LBB1219_2:                             ;   in Loop: Header=BB1219_3 Depth=1
	s_or_b32 exec_lo, exec_lo, s13
	s_waitcnt vmcnt(0)
	ds_store_b128 v32, v[1:4]
	s_waitcnt lgkmcnt(0)
	s_barrier
	buffer_gl0_inv
	ds_load_b128 v[1:4], v30
	ds_load_b128 v[33:36], v29
	ds_load_b128 v[37:40], v29 offset:256
	ds_load_b128 v[41:44], v30 offset:2048
	;; [unrolled: 1-line block ×9, first 2 shown]
	s_add_u32 s4, s4, 8
	s_addc_u32 s5, s5, 0
	v_add_co_u32 v5, vcc_lo, v5, s6
	v_cmp_ge_i64_e64 s13, s[4:5], s[16:17]
	v_add_co_ci_u32_e32 v6, vcc_lo, s7, v6, vcc_lo
	v_add_co_u32 v7, vcc_lo, v7, s8
	v_add_co_ci_u32_e32 v8, vcc_lo, s9, v8, vcc_lo
	s_delay_alu instid0(VALU_DEP_4)
	s_and_b32 vcc_lo, exec_lo, s13
	s_waitcnt lgkmcnt(9)
	v_mul_f64 v[73:74], v[3:4], v[35:36]
	v_mul_f64 v[75:76], v[1:2], v[35:36]
	s_waitcnt lgkmcnt(8)
	v_mul_f64 v[77:78], v[3:4], v[39:40]
	v_mul_f64 v[79:80], v[1:2], v[39:40]
	;; [unrolled: 3-line block ×3, first 2 shown]
	v_mul_f64 v[83:84], v[43:44], v[39:40]
	v_mul_f64 v[39:40], v[41:42], v[39:40]
	s_waitcnt lgkmcnt(4)
	v_mul_f64 v[85:86], v[47:48], v[55:56]
	v_mul_f64 v[87:88], v[45:46], v[55:56]
	s_waitcnt lgkmcnt(3)
	v_mul_f64 v[89:90], v[47:48], v[59:60]
	v_mul_f64 v[91:92], v[45:46], v[59:60]
	v_mul_f64 v[93:94], v[51:52], v[55:56]
	v_mul_f64 v[55:56], v[49:50], v[55:56]
	v_mul_f64 v[95:96], v[51:52], v[59:60]
	v_mul_f64 v[59:60], v[49:50], v[59:60]
	v_fma_f64 v[97:98], v[1:2], v[33:34], -v[73:74]
	v_fma_f64 v[99:100], v[3:4], v[33:34], v[75:76]
	ds_load_b128 v[73:76], v30 offset:32
	v_fma_f64 v[77:78], v[1:2], v[37:38], -v[77:78]
	v_fma_f64 v[79:80], v[3:4], v[37:38], v[79:80]
	v_fma_f64 v[81:82], v[41:42], v[33:34], -v[81:82]
	v_fma_f64 v[101:102], v[43:44], v[33:34], v[35:36]
	;; [unrolled: 2-line block ×3, first 2 shown]
	s_waitcnt lgkmcnt(1)
	v_mul_f64 v[113:114], v[71:72], v[63:64]
	v_fma_f64 v[85:86], v[45:46], v[53:54], -v[85:86]
	v_fma_f64 v[87:88], v[47:48], v[53:54], v[87:88]
	v_fma_f64 v[45:46], v[45:46], v[57:58], -v[89:90]
	v_fma_f64 v[47:48], v[47:48], v[57:58], v[91:92]
	v_mul_f64 v[89:90], v[71:72], v[67:68]
	v_fma_f64 v[91:92], v[49:50], v[53:54], -v[93:94]
	v_fma_f64 v[53:54], v[51:52], v[53:54], v[55:56]
	v_fma_f64 v[49:50], v[49:50], v[57:58], -v[95:96]
	v_fma_f64 v[51:52], v[51:52], v[57:58], v[59:60]
	ds_load_b128 v[1:4], v30 offset:48
	ds_load_b128 v[33:36], v30 offset:2096
	;; [unrolled: 1-line block ×4, first 2 shown]
	s_waitcnt lgkmcnt(4)
	v_mul_f64 v[105:106], v[75:76], v[63:64]
	v_mul_f64 v[107:108], v[73:74], v[63:64]
	;; [unrolled: 1-line block ×6, first 2 shown]
	s_waitcnt lgkmcnt(1)
	v_mul_f64 v[93:94], v[1:2], v[39:40]
	v_add_f64 v[21:22], v[21:22], v[97:98]
	v_add_f64 v[23:24], v[23:24], v[99:100]
	;; [unrolled: 1-line block ×8, first 2 shown]
	v_mul_f64 v[83:84], v[3:4], v[39:40]
	s_waitcnt lgkmcnt(0)
	v_mul_f64 v[95:96], v[3:4], v[43:44]
	v_mul_f64 v[97:98], v[1:2], v[43:44]
	;; [unrolled: 1-line block ×6, first 2 shown]
	ds_load_b128 v[9:12], v29 offset:2048
	ds_load_b128 v[13:16], v29 offset:2304
	;; [unrolled: 1-line block ×3, first 2 shown]
	v_fma_f64 v[105:106], v[73:74], v[61:62], -v[105:106]
	v_fma_f64 v[107:108], v[75:76], v[61:62], v[107:108]
	v_fma_f64 v[73:74], v[73:74], v[65:66], -v[109:110]
	v_fma_f64 v[75:76], v[75:76], v[65:66], v[111:112]
	v_fma_f64 v[109:110], v[69:70], v[61:62], -v[113:114]
	v_fma_f64 v[61:62], v[71:72], v[61:62], v[63:64]
	v_fma_f64 v[63:64], v[69:70], v[65:66], -v[89:90]
	v_fma_f64 v[65:66], v[71:72], v[65:66], v[67:68]
	s_waitcnt lgkmcnt(0)
	v_mul_f64 v[113:114], v[19:20], v[11:12]
	v_mul_f64 v[115:116], v[19:20], v[15:16]
	v_fma_f64 v[93:94], v[3:4], v[37:38], v[93:94]
	v_add_f64 v[67:68], v[21:22], v[85:86]
	v_add_f64 v[69:70], v[23:24], v[87:88]
	;; [unrolled: 1-line block ×8, first 2 shown]
	ds_load_b128 v[21:24], v30 offset:64
	v_fma_f64 v[83:84], v[1:2], v[37:38], -v[83:84]
	v_fma_f64 v[95:96], v[1:2], v[41:42], -v[95:96]
	v_fma_f64 v[97:98], v[3:4], v[41:42], v[97:98]
	v_fma_f64 v[99:100], v[33:34], v[37:38], -v[99:100]
	v_fma_f64 v[117:118], v[35:36], v[37:38], v[39:40]
	;; [unrolled: 2-line block ×3, first 2 shown]
	ds_load_b128 v[43:46], v30 offset:80
	ds_load_b128 v[47:50], v30 offset:2128
	;; [unrolled: 1-line block ×7, first 2 shown]
	s_waitcnt lgkmcnt(7)
	v_mul_f64 v[87:88], v[23:24], v[11:12]
	v_mul_f64 v[89:90], v[21:22], v[11:12]
	v_mul_f64 v[91:92], v[23:24], v[15:16]
	v_mul_f64 v[111:112], v[21:22], v[15:16]
	v_mul_f64 v[11:12], v[17:18], v[11:12]
	v_mul_f64 v[15:16], v[17:18], v[15:16]
	s_waitcnt lgkmcnt(3)
	v_mul_f64 v[103:104], v[49:50], v[57:58]
	v_add_f64 v[67:68], v[67:68], v[105:106]
	v_add_f64 v[69:70], v[69:70], v[107:108]
	;; [unrolled: 1-line block ×8, first 2 shown]
	v_mul_f64 v[75:76], v[45:46], v[53:54]
	v_mul_f64 v[77:78], v[43:44], v[53:54]
	v_mul_f64 v[79:80], v[45:46], v[57:58]
	v_mul_f64 v[81:82], v[43:44], v[57:58]
	v_mul_f64 v[85:86], v[49:50], v[53:54]
	v_mul_f64 v[53:54], v[47:48], v[53:54]
	v_mul_f64 v[105:106], v[47:48], v[57:58]
	v_fma_f64 v[109:110], v[17:18], v[9:10], -v[113:114]
	v_fma_f64 v[113:114], v[17:18], v[13:14], -v[115:116]
	;; [unrolled: 1-line block ×3, first 2 shown]
	v_fma_f64 v[89:90], v[23:24], v[9:10], v[89:90]
	v_fma_f64 v[91:92], v[21:22], v[13:14], -v[91:92]
	v_fma_f64 v[107:108], v[23:24], v[13:14], v[111:112]
	v_fma_f64 v[111:112], v[19:20], v[9:10], v[11:12]
	;; [unrolled: 1-line block ×3, first 2 shown]
	ds_load_b128 v[9:12], v30 offset:96
	v_add_f64 v[67:68], v[67:68], v[83:84]
	v_add_f64 v[69:70], v[69:70], v[93:94]
	v_add_f64 v[71:72], v[71:72], v[95:96]
	v_add_f64 v[73:74], v[73:74], v[97:98]
	v_add_f64 v[83:84], v[59:60], v[99:100]
	v_add_f64 v[61:62], v[61:62], v[117:118]
	v_add_f64 v[63:64], v[63:64], v[101:102]
	v_add_f64 v[41:42], v[65:66], v[41:42]
	s_waitcnt lgkmcnt(1)
	v_mul_f64 v[99:100], v[39:40], v[3:4]
	v_fma_f64 v[75:76], v[43:44], v[51:52], -v[75:76]
	v_fma_f64 v[77:78], v[45:46], v[51:52], v[77:78]
	v_fma_f64 v[43:44], v[43:44], v[55:56], -v[79:80]
	v_fma_f64 v[45:46], v[45:46], v[55:56], v[81:82]
	v_mul_f64 v[79:80], v[39:40], v[35:36]
	v_fma_f64 v[81:82], v[47:48], v[51:52], -v[85:86]
	v_fma_f64 v[51:52], v[49:50], v[51:52], v[53:54]
	s_waitcnt lgkmcnt(0)
	v_mul_f64 v[65:66], v[11:12], v[3:4]
	v_mul_f64 v[93:94], v[9:10], v[3:4]
	;; [unrolled: 1-line block ×6, first 2 shown]
	v_fma_f64 v[47:48], v[47:48], v[55:56], -v[103:104]
	v_fma_f64 v[49:50], v[49:50], v[55:56], v[105:106]
	ds_load_b128 v[13:16], v30 offset:112
	ds_load_b128 v[17:20], v30 offset:2160
	;; [unrolled: 1-line block ×4, first 2 shown]
	s_waitcnt lgkmcnt(0)
	s_barrier
	buffer_gl0_inv
	v_add_f64 v[53:54], v[67:68], v[87:88]
	v_add_f64 v[55:56], v[69:70], v[89:90]
	;; [unrolled: 1-line block ×8, first 2 shown]
	v_mul_f64 v[73:74], v[15:16], v[23:24]
	v_mul_f64 v[83:84], v[13:14], v[23:24]
	;; [unrolled: 1-line block ×8, first 2 shown]
	v_fma_f64 v[65:66], v[9:10], v[1:2], -v[65:66]
	v_fma_f64 v[93:94], v[11:12], v[1:2], v[93:94]
	v_fma_f64 v[9:10], v[9:10], v[33:34], -v[95:96]
	v_fma_f64 v[11:12], v[11:12], v[33:34], v[97:98]
	;; [unrolled: 2-line block ×4, first 2 shown]
	v_add_f64 v[35:36], v[53:54], v[75:76]
	v_add_f64 v[37:38], v[55:56], v[77:78]
	;; [unrolled: 1-line block ×8, first 2 shown]
	v_fma_f64 v[49:50], v[13:14], v[21:22], -v[73:74]
	v_fma_f64 v[53:54], v[15:16], v[21:22], v[83:84]
	v_fma_f64 v[13:14], v[13:14], v[57:58], -v[85:86]
	v_fma_f64 v[15:16], v[15:16], v[57:58], v[87:88]
	;; [unrolled: 2-line block ×4, first 2 shown]
	v_add_f64 v[17:18], v[35:36], v[65:66]
	v_add_f64 v[19:20], v[37:38], v[93:94]
	;; [unrolled: 1-line block ×16, first 2 shown]
	s_cbranch_vccnz .LBB1219_9
.LBB1219_3:                             ; =>This Inner Loop Header: Depth=1
	v_add_co_u32 v1, s13, v28, s4
	s_delay_alu instid0(VALU_DEP_1) | instskip(NEXT) | instid1(VALU_DEP_1)
	v_add_co_ci_u32_e64 v2, null, 0, s5, s13
	v_cmp_le_i64_e32 vcc_lo, s[16:17], v[1:2]
	s_or_b32 s13, s3, vcc_lo
	s_delay_alu instid0(SALU_CYCLE_1) | instskip(NEXT) | instid1(SALU_CYCLE_1)
	s_and_saveexec_b32 s14, s13
	s_xor_b32 s13, exec_lo, s14
	s_cbranch_execz .LBB1219_5
; %bb.4:                                ;   in Loop: Header=BB1219_3 Depth=1
	v_mov_b32_e32 v1, v0
	v_mov_b32_e32 v2, v0
	;; [unrolled: 1-line block ×3, first 2 shown]
	ds_store_b128 v31, v[0:3]
.LBB1219_5:                             ;   in Loop: Header=BB1219_3 Depth=1
	s_and_not1_saveexec_b32 s13, s13
	s_cbranch_execz .LBB1219_7
; %bb.6:                                ;   in Loop: Header=BB1219_3 Depth=1
	global_load_b128 v[1:4], v[5:6], off
	s_waitcnt vmcnt(0)
	ds_store_2addr_b64 v31, v[1:2], v[3:4] offset1:1
.LBB1219_7:                             ;   in Loop: Header=BB1219_3 Depth=1
	s_or_b32 exec_lo, exec_lo, s13
	v_add_co_u32 v3, s13, v27, s4
	s_delay_alu instid0(VALU_DEP_1) | instskip(SKIP_2) | instid1(VALU_DEP_3)
	v_add_co_ci_u32_e64 v4, null, 0, s5, s13
	v_mov_b32_e32 v1, 0
	v_mov_b32_e32 v2, 0
	v_cmp_gt_i64_e32 vcc_lo, s[16:17], v[3:4]
	s_delay_alu instid0(VALU_DEP_2) | instskip(SKIP_1) | instid1(SALU_CYCLE_1)
	v_dual_mov_b32 v4, v2 :: v_dual_mov_b32 v3, v1
	s_and_b32 s14, vcc_lo, s2
	s_and_saveexec_b32 s13, s14
	s_cbranch_execz .LBB1219_2
; %bb.8:                                ;   in Loop: Header=BB1219_3 Depth=1
	global_load_b128 v[1:4], v[7:8], off offset:-8
	s_branch .LBB1219_2
.LBB1219_9:
	s_clause 0x1
	s_load_b128 s[4:7], s[0:1], 0x60
	s_load_b64 s[2:3], s[0:1], 0x70
	v_add_nc_u32_e32 v4, s12, v26
	s_delay_alu instid0(VALU_DEP_1) | instskip(SKIP_1) | instid1(VALU_DEP_1)
	v_ashrrev_i32_e32 v0, 31, v4
	s_waitcnt lgkmcnt(0)
	v_mul_lo_u32 v3, v0, s6
	v_mul_lo_u32 v5, v4, s7
	v_mad_u64_u32 v[1:2], null, v4, s6, 0
	s_mul_i32 s1, s15, s3
	s_mul_hi_u32 s3, s15, s2
	s_mul_i32 s2, s15, s2
	s_add_i32 s3, s3, s1
	v_add_nc_u32_e32 v0, s11, v25
	s_lshl_b64 s[2:3], s[2:3], 4
	s_delay_alu instid0(VALU_DEP_2)
	v_add3_u32 v2, v2, v5, v3
	s_add_u32 s2, s4, s2
	s_addc_u32 s3, s5, s3
	v_cmp_le_i32_e64 s0, v4, v0
	v_cmp_gt_i32_e32 vcc_lo, s10, v0
	v_lshlrev_b64 v[1:2], 4, v[1:2]
	s_delay_alu instid0(VALU_DEP_3) | instskip(NEXT) | instid1(VALU_DEP_1)
	s_and_b32 s0, s0, vcc_lo
	v_add_co_u32 v5, s1, s2, v1
	s_delay_alu instid0(VALU_DEP_1)
	v_add_co_ci_u32_e64 v6, s1, s3, v2, s1
	s_and_saveexec_b32 s1, s0
	s_cbranch_execz .LBB1219_11
; %bb.10:
	v_mul_f64 v[1:2], s[20:21], v[23:24]
	v_mul_f64 v[7:8], s[18:19], v[23:24]
	s_delay_alu instid0(VALU_DEP_2) | instskip(NEXT) | instid1(VALU_DEP_2)
	v_fma_f64 v[23:24], s[18:19], v[21:22], -v[1:2]
	v_fma_f64 v[25:26], s[20:21], v[21:22], v[7:8]
	v_ashrrev_i32_e32 v1, 31, v0
	s_delay_alu instid0(VALU_DEP_1) | instskip(NEXT) | instid1(VALU_DEP_1)
	v_lshlrev_b64 v[1:2], 4, v[0:1]
	v_add_co_u32 v1, s0, v5, v1
	s_delay_alu instid0(VALU_DEP_1)
	v_add_co_ci_u32_e64 v2, s0, v6, v2, s0
	global_store_b128 v[1:2], v[23:26], off
.LBB1219_11:
	s_or_b32 exec_lo, exec_lo, s1
	v_add_nc_u32_e32 v2, 16, v0
	s_delay_alu instid0(VALU_DEP_1) | instskip(SKIP_1) | instid1(VALU_DEP_1)
	v_cmp_le_i32_e64 s1, v4, v2
	v_cmp_gt_i32_e64 s0, s10, v2
	s_and_b32 s1, s1, s0
	s_delay_alu instid0(SALU_CYCLE_1)
	s_and_saveexec_b32 s4, s1
	s_cbranch_execz .LBB1219_13
; %bb.12:
	v_mul_f64 v[7:8], s[20:21], v[19:20]
	v_mul_f64 v[21:22], s[18:19], v[19:20]
	v_ashrrev_i32_e32 v3, 31, v2
	s_delay_alu instid0(VALU_DEP_3) | instskip(NEXT) | instid1(VALU_DEP_3)
	v_fma_f64 v[19:20], s[18:19], v[17:18], -v[7:8]
	v_fma_f64 v[21:22], s[20:21], v[17:18], v[21:22]
	s_delay_alu instid0(VALU_DEP_3) | instskip(NEXT) | instid1(VALU_DEP_1)
	v_lshlrev_b64 v[7:8], 4, v[2:3]
	v_add_co_u32 v5, s1, v5, v7
	s_delay_alu instid0(VALU_DEP_1)
	v_add_co_ci_u32_e64 v6, s1, v6, v8, s1
	global_store_b128 v[5:6], v[19:22], off
.LBB1219_13:
	s_or_b32 exec_lo, exec_lo, s4
	v_add_nc_u32_e32 v3, 16, v4
	s_delay_alu instid0(VALU_DEP_1) | instskip(SKIP_3) | instid1(VALU_DEP_4)
	v_ashrrev_i32_e32 v1, 31, v3
	v_mul_lo_u32 v6, v3, s7
	v_mad_u64_u32 v[4:5], null, v3, s6, 0
	v_cmp_le_i32_e64 s1, v3, v0
	v_mul_lo_u32 v1, v1, s6
	s_delay_alu instid0(VALU_DEP_1) | instskip(NEXT) | instid1(VALU_DEP_1)
	v_add3_u32 v5, v5, v6, v1
	v_lshlrev_b64 v[4:5], 4, v[4:5]
	s_delay_alu instid0(VALU_DEP_1) | instskip(NEXT) | instid1(VALU_DEP_1)
	v_add_co_u32 v4, s2, s2, v4
	v_add_co_ci_u32_e64 v5, s2, s3, v5, s2
	s_and_b32 s2, s1, vcc_lo
	s_delay_alu instid0(SALU_CYCLE_1)
	s_and_saveexec_b32 s1, s2
	s_cbranch_execz .LBB1219_15
; %bb.14:
	v_mul_f64 v[6:7], s[20:21], v[15:16]
	v_mul_f64 v[17:18], s[18:19], v[15:16]
	v_ashrrev_i32_e32 v1, 31, v0
	s_delay_alu instid0(VALU_DEP_1) | instskip(NEXT) | instid1(VALU_DEP_1)
	v_lshlrev_b64 v[0:1], 4, v[0:1]
	v_add_co_u32 v0, vcc_lo, v4, v0
	s_delay_alu instid0(VALU_DEP_2)
	v_add_co_ci_u32_e32 v1, vcc_lo, v5, v1, vcc_lo
	v_fma_f64 v[15:16], s[18:19], v[13:14], -v[6:7]
	v_fma_f64 v[17:18], s[20:21], v[13:14], v[17:18]
	global_store_b128 v[0:1], v[15:18], off
.LBB1219_15:
	s_or_b32 exec_lo, exec_lo, s1
	v_cmp_le_i32_e32 vcc_lo, v3, v2
	s_and_b32 s0, vcc_lo, s0
	s_delay_alu instid0(SALU_CYCLE_1)
	s_and_saveexec_b32 s1, s0
	s_cbranch_execz .LBB1219_17
; %bb.16:
	v_mul_f64 v[0:1], s[20:21], v[9:10]
	v_mul_f64 v[8:9], s[18:19], v[9:10]
	v_ashrrev_i32_e32 v3, 31, v2
	s_delay_alu instid0(VALU_DEP_3) | instskip(NEXT) | instid1(VALU_DEP_3)
	v_fma_f64 v[6:7], s[18:19], v[11:12], -v[0:1]
	v_fma_f64 v[8:9], s[20:21], v[11:12], v[8:9]
	s_delay_alu instid0(VALU_DEP_3) | instskip(NEXT) | instid1(VALU_DEP_1)
	v_lshlrev_b64 v[0:1], 4, v[2:3]
	v_add_co_u32 v0, vcc_lo, v4, v0
	s_delay_alu instid0(VALU_DEP_2)
	v_add_co_ci_u32_e32 v1, vcc_lo, v5, v1, vcc_lo
	global_store_b128 v[0:1], v[6:9], off
.LBB1219_17:
	s_nop 0
	s_sendmsg sendmsg(MSG_DEALLOC_VGPRS)
	s_endpgm
	.section	.rodata,"a",@progbits
	.p2align	6, 0x0
	.amdhsa_kernel _ZL34rocblas_syrkx_herkx_general_kernelIl19rocblas_complex_numIdELi16ELi32ELi8ELb1ELb0ELc78ELc76EKS1_S1_EviT_T0_PT8_S3_lS6_S3_lS4_PT9_S3_li
		.amdhsa_group_segment_fixed_size 8192
		.amdhsa_private_segment_fixed_size 0
		.amdhsa_kernarg_size 124
		.amdhsa_user_sgpr_count 13
		.amdhsa_user_sgpr_dispatch_ptr 0
		.amdhsa_user_sgpr_queue_ptr 0
		.amdhsa_user_sgpr_kernarg_segment_ptr 1
		.amdhsa_user_sgpr_dispatch_id 0
		.amdhsa_user_sgpr_private_segment_size 0
		.amdhsa_wavefront_size32 1
		.amdhsa_uses_dynamic_stack 0
		.amdhsa_enable_private_segment 0
		.amdhsa_system_sgpr_workgroup_id_x 1
		.amdhsa_system_sgpr_workgroup_id_y 1
		.amdhsa_system_sgpr_workgroup_id_z 1
		.amdhsa_system_sgpr_workgroup_info 0
		.amdhsa_system_vgpr_workitem_id 1
		.amdhsa_next_free_vgpr 119
		.amdhsa_next_free_sgpr 32
		.amdhsa_reserve_vcc 1
		.amdhsa_float_round_mode_32 0
		.amdhsa_float_round_mode_16_64 0
		.amdhsa_float_denorm_mode_32 3
		.amdhsa_float_denorm_mode_16_64 3
		.amdhsa_dx10_clamp 1
		.amdhsa_ieee_mode 1
		.amdhsa_fp16_overflow 0
		.amdhsa_workgroup_processor_mode 1
		.amdhsa_memory_ordered 1
		.amdhsa_forward_progress 0
		.amdhsa_shared_vgpr_count 0
		.amdhsa_exception_fp_ieee_invalid_op 0
		.amdhsa_exception_fp_denorm_src 0
		.amdhsa_exception_fp_ieee_div_zero 0
		.amdhsa_exception_fp_ieee_overflow 0
		.amdhsa_exception_fp_ieee_underflow 0
		.amdhsa_exception_fp_ieee_inexact 0
		.amdhsa_exception_int_div_zero 0
	.end_amdhsa_kernel
	.section	.text._ZL34rocblas_syrkx_herkx_general_kernelIl19rocblas_complex_numIdELi16ELi32ELi8ELb1ELb0ELc78ELc76EKS1_S1_EviT_T0_PT8_S3_lS6_S3_lS4_PT9_S3_li,"axG",@progbits,_ZL34rocblas_syrkx_herkx_general_kernelIl19rocblas_complex_numIdELi16ELi32ELi8ELb1ELb0ELc78ELc76EKS1_S1_EviT_T0_PT8_S3_lS6_S3_lS4_PT9_S3_li,comdat
.Lfunc_end1219:
	.size	_ZL34rocblas_syrkx_herkx_general_kernelIl19rocblas_complex_numIdELi16ELi32ELi8ELb1ELb0ELc78ELc76EKS1_S1_EviT_T0_PT8_S3_lS6_S3_lS4_PT9_S3_li, .Lfunc_end1219-_ZL34rocblas_syrkx_herkx_general_kernelIl19rocblas_complex_numIdELi16ELi32ELi8ELb1ELb0ELc78ELc76EKS1_S1_EviT_T0_PT8_S3_lS6_S3_lS4_PT9_S3_li
                                        ; -- End function
	.section	.AMDGPU.csdata,"",@progbits
; Kernel info:
; codeLenInByte = 3360
; NumSgprs: 34
; NumVgprs: 119
; ScratchSize: 0
; MemoryBound: 1
; FloatMode: 240
; IeeeMode: 1
; LDSByteSize: 8192 bytes/workgroup (compile time only)
; SGPRBlocks: 4
; VGPRBlocks: 14
; NumSGPRsForWavesPerEU: 34
; NumVGPRsForWavesPerEU: 119
; Occupancy: 12
; WaveLimiterHint : 0
; COMPUTE_PGM_RSRC2:SCRATCH_EN: 0
; COMPUTE_PGM_RSRC2:USER_SGPR: 13
; COMPUTE_PGM_RSRC2:TRAP_HANDLER: 0
; COMPUTE_PGM_RSRC2:TGID_X_EN: 1
; COMPUTE_PGM_RSRC2:TGID_Y_EN: 1
; COMPUTE_PGM_RSRC2:TGID_Z_EN: 1
; COMPUTE_PGM_RSRC2:TIDIG_COMP_CNT: 1
	.section	.text._ZL34rocblas_syrkx_herkx_general_kernelIl19rocblas_complex_numIdELi16ELi32ELi8ELb1ELb0ELc84ELc85EKS1_S1_EviT_T0_PT8_S3_lS6_S3_lS4_PT9_S3_li,"axG",@progbits,_ZL34rocblas_syrkx_herkx_general_kernelIl19rocblas_complex_numIdELi16ELi32ELi8ELb1ELb0ELc84ELc85EKS1_S1_EviT_T0_PT8_S3_lS6_S3_lS4_PT9_S3_li,comdat
	.globl	_ZL34rocblas_syrkx_herkx_general_kernelIl19rocblas_complex_numIdELi16ELi32ELi8ELb1ELb0ELc84ELc85EKS1_S1_EviT_T0_PT8_S3_lS6_S3_lS4_PT9_S3_li ; -- Begin function _ZL34rocblas_syrkx_herkx_general_kernelIl19rocblas_complex_numIdELi16ELi32ELi8ELb1ELb0ELc84ELc85EKS1_S1_EviT_T0_PT8_S3_lS6_S3_lS4_PT9_S3_li
	.p2align	8
	.type	_ZL34rocblas_syrkx_herkx_general_kernelIl19rocblas_complex_numIdELi16ELi32ELi8ELb1ELb0ELc84ELc85EKS1_S1_EviT_T0_PT8_S3_lS6_S3_lS4_PT9_S3_li,@function
_ZL34rocblas_syrkx_herkx_general_kernelIl19rocblas_complex_numIdELi16ELi32ELi8ELb1ELb0ELc84ELc85EKS1_S1_EviT_T0_PT8_S3_lS6_S3_lS4_PT9_S3_li: ; @_ZL34rocblas_syrkx_herkx_general_kernelIl19rocblas_complex_numIdELi16ELi32ELi8ELb1ELb0ELc84ELc85EKS1_S1_EviT_T0_PT8_S3_lS6_S3_lS4_PT9_S3_li
; %bb.0:
	s_clause 0x1
	s_load_b512 s[16:31], s[0:1], 0x8
	s_load_b32 s8, s[0:1], 0x0
	v_mov_b32_e32 v20, 0
	v_dual_mov_b32 v21, 0 :: v_dual_and_b32 v24, 0x3ff, v0
	v_bfe_u32 v25, v0, 10, 10
	s_delay_alu instid0(VALU_DEP_3) | instskip(NEXT) | instid1(VALU_DEP_3)
	v_mov_b32_e32 v8, v20
	v_dual_mov_b32 v10, v20 :: v_dual_mov_b32 v11, v21
	v_dual_mov_b32 v23, v21 :: v_dual_mov_b32 v22, v20
	;; [unrolled: 1-line block ×6, first 2 shown]
	v_mov_b32_e32 v13, v21
	s_waitcnt lgkmcnt(0)
	v_cmp_lt_i64_e64 s2, s[16:17], 1
	s_lshl_b32 s9, s13, 5
	s_lshl_b32 s10, s14, 5
	s_mov_b64 s[4:5], 0
	s_delay_alu instid0(VALU_DEP_1)
	s_and_b32 vcc_lo, exec_lo, s2
	s_cbranch_vccnz .LBB1220_11
; %bb.1:
	v_lshl_add_u32 v1, v25, 4, v24
	v_mov_b32_e32 v0, 0
	s_load_b64 s[6:7], s[0:1], 0x48
	v_and_b32_e32 v26, 7, v24
	v_lshlrev_b32_e32 v27, 4, v24
	v_and_b32_e32 v3, 31, v1
	v_lshrrev_b32_e32 v5, 3, v1
	v_lshrrev_b32_e32 v29, 5, v1
	s_mul_i32 s3, s27, s15
	s_mul_hi_u32 s11, s26, s15
	v_add_nc_u32_e32 v4, s9, v3
	v_add_nc_u32_e32 v7, s10, v5
	v_or_b32_e32 v10, s9, v3
	v_lshlrev_b32_e32 v11, 4, v3
	s_mul_i32 s2, s26, s15
	v_ashrrev_i32_e32 v6, 31, v4
	v_mul_lo_u32 v8, s25, v4
	v_mad_u64_u32 v[1:2], null, s24, v4, 0
	v_ashrrev_i32_e32 v12, 31, v7
	s_delay_alu instid0(VALU_DEP_4)
	v_mul_lo_u32 v6, s24, v6
	v_mul_lo_u32 v13, s31, v7
	v_mad_u64_u32 v[3:4], null, s30, v7, 0
	s_add_i32 s3, s11, s3
	v_cmp_gt_i32_e32 vcc_lo, s8, v10
	s_lshl_b64 s[12:13], s[2:3], 4
	v_lshl_add_u32 v28, v25, 7, 0x1000
	v_add3_u32 v2, v2, v6, v8
	v_mul_lo_u32 v6, s30, v12
	s_delay_alu instid0(VALU_DEP_2) | instskip(NEXT) | instid1(VALU_DEP_2)
	v_lshlrev_b64 v[1:2], 4, v[1:2]
	v_add3_u32 v4, v4, v6, v13
	v_mov_b32_e32 v12, 0
	v_mov_b32_e32 v13, 0
	v_lshlrev_b32_e32 v9, 4, v26
	s_delay_alu instid0(VALU_DEP_2) | instskip(NEXT) | instid1(VALU_DEP_2)
	v_dual_mov_b32 v17, v13 :: v_dual_mov_b32 v16, v12
	v_lshl_or_b32 v5, v5, 7, v9
	v_dual_mov_b32 v19, v13 :: v_dual_mov_b32 v18, v12
	v_cmp_gt_i32_e64 s2, s8, v7
	v_mov_b32_e32 v15, v13
	s_delay_alu instid0(VALU_DEP_4) | instskip(SKIP_1) | instid1(VALU_DEP_1)
	v_add_nc_u32_e32 v31, 0x1000, v5
	v_add_co_u32 v5, s3, v1, s12
	v_add_co_ci_u32_e64 v6, s3, s13, v2, s3
	s_waitcnt lgkmcnt(0)
	s_mul_i32 s3, s7, s15
	s_mul_hi_u32 s7, s6, s15
	v_lshlrev_b64 v[1:2], 4, v[3:4]
	s_add_i32 s7, s7, s3
	s_mul_i32 s6, s6, s15
	v_lshlrev_b32_e32 v3, 4, v29
	s_lshl_b64 s[6:7], s[6:7], 4
	v_mov_b32_e32 v14, v12
	v_add_co_u32 v1, s3, v1, s6
	s_delay_alu instid0(VALU_DEP_1) | instskip(SKIP_1) | instid1(VALU_DEP_1)
	v_add_co_ci_u32_e64 v2, s3, s7, v2, s3
	v_add_co_u32 v3, s3, v5, v3
	v_add_co_ci_u32_e64 v5, s3, 0, v6, s3
	s_delay_alu instid0(VALU_DEP_4) | instskip(SKIP_3) | instid1(VALU_DEP_1)
	v_add_co_u32 v1, s3, v1, v9
	v_mov_b32_e32 v8, v12
	v_add_co_ci_u32_e64 v2, s3, 0, v2, s3
	v_add_co_u32 v4, s3, s22, v3
	v_add_co_ci_u32_e64 v5, s3, s23, v5, s3
	v_add_co_u32 v6, s3, s28, v1
	v_lshl_or_b32 v30, v29, 9, v11
	v_dual_mov_b32 v10, v12 :: v_dual_mov_b32 v23, v13
	v_mov_b32_e32 v21, v13
	v_add_co_ci_u32_e64 v7, s3, s29, v2, s3
	v_mov_b32_e32 v11, v13
	v_dual_mov_b32 v9, v13 :: v_dual_mov_b32 v22, v12
	v_mov_b32_e32 v20, v12
	s_xor_b32 s3, vcc_lo, -1
	s_xor_b32 s2, s2, -1
	s_branch .LBB1220_3
.LBB1220_2:                             ;   in Loop: Header=BB1220_3 Depth=1
	s_or_b32 exec_lo, exec_lo, s6
	s_waitcnt lgkmcnt(0)
	s_barrier
	buffer_gl0_inv
	ds_load_b128 v[32:35], v28
	ds_load_b128 v[36:39], v28 offset:16
	ds_load_b128 v[40:43], v28 offset:32
	;; [unrolled: 1-line block ×3, first 2 shown]
	ds_load_b128 v[48:51], v27
	s_add_u32 s4, s4, 8
	s_addc_u32 s5, s5, 0
	v_add_co_u32 v4, vcc_lo, 0x80, v4
	v_add_co_ci_u32_e32 v5, vcc_lo, 0, v5, vcc_lo
	v_cmp_ge_i64_e64 s6, s[4:5], s[16:17]
	v_add_co_u32 v6, vcc_lo, 0x80, v6
	v_add_co_ci_u32_e32 v7, vcc_lo, 0, v7, vcc_lo
	s_delay_alu instid0(VALU_DEP_3) | instskip(SKIP_3) | instid1(VALU_DEP_2)
	s_and_b32 vcc_lo, exec_lo, s6
	s_waitcnt lgkmcnt(0)
	v_mul_f64 v[1:2], v[34:35], v[50:51]
	v_mul_f64 v[52:53], v[32:33], v[50:51]
	v_fma_f64 v[1:2], v[32:33], v[48:49], -v[1:2]
	s_delay_alu instid0(VALU_DEP_2) | instskip(NEXT) | instid1(VALU_DEP_2)
	v_fma_f64 v[52:53], v[34:35], v[48:49], v[52:53]
	v_add_f64 v[1:2], v[20:21], v[1:2]
	s_delay_alu instid0(VALU_DEP_2) | instskip(SKIP_3) | instid1(VALU_DEP_1)
	v_add_f64 v[52:53], v[22:23], v[52:53]
	ds_load_b128 v[20:23], v27 offset:256
	s_waitcnt lgkmcnt(0)
	v_mul_f64 v[54:55], v[34:35], v[22:23]
	v_fma_f64 v[54:55], v[32:33], v[20:21], -v[54:55]
	v_mul_f64 v[32:33], v[32:33], v[22:23]
	s_delay_alu instid0(VALU_DEP_1) | instskip(NEXT) | instid1(VALU_DEP_3)
	v_fma_f64 v[32:33], v[34:35], v[20:21], v[32:33]
	v_add_f64 v[34:35], v[8:9], v[54:55]
	s_delay_alu instid0(VALU_DEP_2) | instskip(SKIP_4) | instid1(VALU_DEP_2)
	v_add_f64 v[32:33], v[10:11], v[32:33]
	ds_load_b128 v[8:11], v28 offset:2048
	s_waitcnt lgkmcnt(0)
	v_mul_f64 v[54:55], v[10:11], v[50:51]
	v_mul_f64 v[50:51], v[8:9], v[50:51]
	v_fma_f64 v[54:55], v[8:9], v[48:49], -v[54:55]
	s_delay_alu instid0(VALU_DEP_2) | instskip(NEXT) | instid1(VALU_DEP_2)
	v_fma_f64 v[48:49], v[10:11], v[48:49], v[50:51]
	v_add_f64 v[50:51], v[14:15], v[54:55]
	v_mul_f64 v[14:15], v[10:11], v[22:23]
	s_delay_alu instid0(VALU_DEP_3) | instskip(NEXT) | instid1(VALU_DEP_2)
	v_add_f64 v[48:49], v[16:17], v[48:49]
	v_fma_f64 v[14:15], v[8:9], v[20:21], -v[14:15]
	v_mul_f64 v[8:9], v[8:9], v[22:23]
	s_delay_alu instid0(VALU_DEP_1) | instskip(NEXT) | instid1(VALU_DEP_3)
	v_fma_f64 v[8:9], v[10:11], v[20:21], v[8:9]
	v_add_f64 v[20:21], v[18:19], v[14:15]
	s_delay_alu instid0(VALU_DEP_2) | instskip(SKIP_4) | instid1(VALU_DEP_2)
	v_add_f64 v[22:23], v[12:13], v[8:9]
	ds_load_b128 v[8:11], v27 offset:512
	s_waitcnt lgkmcnt(0)
	v_mul_f64 v[12:13], v[38:39], v[10:11]
	v_mul_f64 v[14:15], v[36:37], v[10:11]
	v_fma_f64 v[12:13], v[36:37], v[8:9], -v[12:13]
	s_delay_alu instid0(VALU_DEP_2) | instskip(NEXT) | instid1(VALU_DEP_2)
	v_fma_f64 v[14:15], v[38:39], v[8:9], v[14:15]
	v_add_f64 v[1:2], v[1:2], v[12:13]
	s_delay_alu instid0(VALU_DEP_2) | instskip(SKIP_4) | instid1(VALU_DEP_2)
	v_add_f64 v[52:53], v[52:53], v[14:15]
	ds_load_b128 v[12:15], v27 offset:768
	s_waitcnt lgkmcnt(0)
	v_mul_f64 v[16:17], v[38:39], v[14:15]
	v_mul_f64 v[18:19], v[36:37], v[14:15]
	v_fma_f64 v[16:17], v[36:37], v[12:13], -v[16:17]
	s_delay_alu instid0(VALU_DEP_2) | instskip(NEXT) | instid1(VALU_DEP_2)
	v_fma_f64 v[18:19], v[38:39], v[12:13], v[18:19]
	v_add_f64 v[34:35], v[34:35], v[16:17]
	s_delay_alu instid0(VALU_DEP_2) | instskip(SKIP_4) | instid1(VALU_DEP_2)
	v_add_f64 v[32:33], v[32:33], v[18:19]
	ds_load_b128 v[16:19], v28 offset:2064
	s_waitcnt lgkmcnt(0)
	v_mul_f64 v[36:37], v[18:19], v[10:11]
	v_mul_f64 v[10:11], v[16:17], v[10:11]
	v_fma_f64 v[36:37], v[16:17], v[8:9], -v[36:37]
	s_delay_alu instid0(VALU_DEP_2) | instskip(SKIP_1) | instid1(VALU_DEP_3)
	v_fma_f64 v[8:9], v[18:19], v[8:9], v[10:11]
	v_mul_f64 v[10:11], v[16:17], v[14:15]
	v_add_f64 v[36:37], v[50:51], v[36:37]
	s_delay_alu instid0(VALU_DEP_3) | instskip(SKIP_1) | instid1(VALU_DEP_4)
	v_add_f64 v[38:39], v[48:49], v[8:9]
	v_mul_f64 v[8:9], v[18:19], v[14:15]
	v_fma_f64 v[10:11], v[18:19], v[12:13], v[10:11]
	s_delay_alu instid0(VALU_DEP_2) | instskip(NEXT) | instid1(VALU_DEP_2)
	v_fma_f64 v[8:9], v[16:17], v[12:13], -v[8:9]
	v_add_f64 v[22:23], v[22:23], v[10:11]
	s_delay_alu instid0(VALU_DEP_2) | instskip(SKIP_4) | instid1(VALU_DEP_2)
	v_add_f64 v[20:21], v[20:21], v[8:9]
	ds_load_b128 v[8:11], v27 offset:1024
	s_waitcnt lgkmcnt(0)
	v_mul_f64 v[12:13], v[42:43], v[10:11]
	v_mul_f64 v[14:15], v[40:41], v[10:11]
	v_fma_f64 v[12:13], v[40:41], v[8:9], -v[12:13]
	s_delay_alu instid0(VALU_DEP_2) | instskip(NEXT) | instid1(VALU_DEP_2)
	v_fma_f64 v[14:15], v[42:43], v[8:9], v[14:15]
	v_add_f64 v[1:2], v[1:2], v[12:13]
	s_delay_alu instid0(VALU_DEP_2) | instskip(SKIP_4) | instid1(VALU_DEP_2)
	v_add_f64 v[48:49], v[52:53], v[14:15]
	ds_load_b128 v[12:15], v27 offset:1280
	s_waitcnt lgkmcnt(0)
	v_mul_f64 v[16:17], v[42:43], v[14:15]
	v_mul_f64 v[18:19], v[40:41], v[14:15]
	v_fma_f64 v[16:17], v[40:41], v[12:13], -v[16:17]
	s_delay_alu instid0(VALU_DEP_2) | instskip(NEXT) | instid1(VALU_DEP_2)
	v_fma_f64 v[18:19], v[42:43], v[12:13], v[18:19]
	v_add_f64 v[34:35], v[34:35], v[16:17]
	s_delay_alu instid0(VALU_DEP_2) | instskip(SKIP_4) | instid1(VALU_DEP_2)
	v_add_f64 v[32:33], v[32:33], v[18:19]
	ds_load_b128 v[16:19], v28 offset:2080
	s_waitcnt lgkmcnt(0)
	v_mul_f64 v[40:41], v[18:19], v[10:11]
	v_mul_f64 v[10:11], v[16:17], v[10:11]
	v_fma_f64 v[40:41], v[16:17], v[8:9], -v[40:41]
	s_delay_alu instid0(VALU_DEP_2) | instskip(SKIP_1) | instid1(VALU_DEP_3)
	v_fma_f64 v[8:9], v[18:19], v[8:9], v[10:11]
	v_mul_f64 v[10:11], v[16:17], v[14:15]
	v_add_f64 v[36:37], v[36:37], v[40:41]
	s_delay_alu instid0(VALU_DEP_3) | instskip(SKIP_1) | instid1(VALU_DEP_4)
	v_add_f64 v[38:39], v[38:39], v[8:9]
	v_mul_f64 v[8:9], v[18:19], v[14:15]
	v_fma_f64 v[10:11], v[18:19], v[12:13], v[10:11]
	s_delay_alu instid0(VALU_DEP_2) | instskip(NEXT) | instid1(VALU_DEP_2)
	v_fma_f64 v[8:9], v[16:17], v[12:13], -v[8:9]
	v_add_f64 v[22:23], v[22:23], v[10:11]
	s_delay_alu instid0(VALU_DEP_2) | instskip(SKIP_4) | instid1(VALU_DEP_2)
	v_add_f64 v[20:21], v[20:21], v[8:9]
	ds_load_b128 v[8:11], v27 offset:1536
	s_waitcnt lgkmcnt(0)
	v_mul_f64 v[12:13], v[46:47], v[10:11]
	v_mul_f64 v[14:15], v[44:45], v[10:11]
	v_fma_f64 v[12:13], v[44:45], v[8:9], -v[12:13]
	s_delay_alu instid0(VALU_DEP_2) | instskip(NEXT) | instid1(VALU_DEP_2)
	v_fma_f64 v[14:15], v[46:47], v[8:9], v[14:15]
	v_add_f64 v[1:2], v[1:2], v[12:13]
	s_delay_alu instid0(VALU_DEP_2) | instskip(SKIP_4) | instid1(VALU_DEP_2)
	v_add_f64 v[40:41], v[48:49], v[14:15]
	ds_load_b128 v[12:15], v27 offset:1792
	s_waitcnt lgkmcnt(0)
	v_mul_f64 v[16:17], v[46:47], v[14:15]
	v_mul_f64 v[18:19], v[44:45], v[14:15]
	v_fma_f64 v[16:17], v[44:45], v[12:13], -v[16:17]
	s_delay_alu instid0(VALU_DEP_2) | instskip(NEXT) | instid1(VALU_DEP_2)
	v_fma_f64 v[18:19], v[46:47], v[12:13], v[18:19]
	v_add_f64 v[34:35], v[34:35], v[16:17]
	s_delay_alu instid0(VALU_DEP_2) | instskip(SKIP_4) | instid1(VALU_DEP_2)
	v_add_f64 v[32:33], v[32:33], v[18:19]
	ds_load_b128 v[16:19], v28 offset:2096
	s_waitcnt lgkmcnt(0)
	v_mul_f64 v[42:43], v[18:19], v[10:11]
	v_mul_f64 v[10:11], v[16:17], v[10:11]
	v_fma_f64 v[42:43], v[16:17], v[8:9], -v[42:43]
	s_delay_alu instid0(VALU_DEP_2) | instskip(SKIP_1) | instid1(VALU_DEP_3)
	v_fma_f64 v[8:9], v[18:19], v[8:9], v[10:11]
	v_mul_f64 v[10:11], v[16:17], v[14:15]
	v_add_f64 v[36:37], v[36:37], v[42:43]
	s_delay_alu instid0(VALU_DEP_3) | instskip(SKIP_1) | instid1(VALU_DEP_4)
	v_add_f64 v[38:39], v[38:39], v[8:9]
	v_mul_f64 v[8:9], v[18:19], v[14:15]
	v_fma_f64 v[10:11], v[18:19], v[12:13], v[10:11]
	s_delay_alu instid0(VALU_DEP_2) | instskip(NEXT) | instid1(VALU_DEP_2)
	v_fma_f64 v[8:9], v[16:17], v[12:13], -v[8:9]
	v_add_f64 v[22:23], v[22:23], v[10:11]
	s_delay_alu instid0(VALU_DEP_2)
	v_add_f64 v[20:21], v[20:21], v[8:9]
	ds_load_b128 v[8:11], v28 offset:64
	ds_load_b128 v[12:15], v27 offset:2048
	s_waitcnt lgkmcnt(0)
	v_mul_f64 v[16:17], v[10:11], v[14:15]
	v_mul_f64 v[18:19], v[8:9], v[14:15]
	s_delay_alu instid0(VALU_DEP_2) | instskip(NEXT) | instid1(VALU_DEP_2)
	v_fma_f64 v[16:17], v[8:9], v[12:13], -v[16:17]
	v_fma_f64 v[18:19], v[10:11], v[12:13], v[18:19]
	s_delay_alu instid0(VALU_DEP_2) | instskip(NEXT) | instid1(VALU_DEP_2)
	v_add_f64 v[1:2], v[1:2], v[16:17]
	v_add_f64 v[40:41], v[40:41], v[18:19]
	ds_load_b128 v[16:19], v27 offset:2304
	s_waitcnt lgkmcnt(0)
	v_mul_f64 v[42:43], v[10:11], v[18:19]
	s_delay_alu instid0(VALU_DEP_1) | instskip(SKIP_1) | instid1(VALU_DEP_2)
	v_fma_f64 v[42:43], v[8:9], v[16:17], -v[42:43]
	v_mul_f64 v[8:9], v[8:9], v[18:19]
	v_add_f64 v[34:35], v[34:35], v[42:43]
	s_delay_alu instid0(VALU_DEP_2) | instskip(NEXT) | instid1(VALU_DEP_1)
	v_fma_f64 v[8:9], v[10:11], v[16:17], v[8:9]
	v_add_f64 v[32:33], v[32:33], v[8:9]
	ds_load_b128 v[8:11], v28 offset:2112
	s_waitcnt lgkmcnt(0)
	v_mul_f64 v[42:43], v[10:11], v[14:15]
	v_mul_f64 v[14:15], v[8:9], v[14:15]
	s_delay_alu instid0(VALU_DEP_2) | instskip(NEXT) | instid1(VALU_DEP_2)
	v_fma_f64 v[42:43], v[8:9], v[12:13], -v[42:43]
	v_fma_f64 v[12:13], v[10:11], v[12:13], v[14:15]
	s_delay_alu instid0(VALU_DEP_2) | instskip(NEXT) | instid1(VALU_DEP_2)
	v_add_f64 v[36:37], v[36:37], v[42:43]
	v_add_f64 v[38:39], v[38:39], v[12:13]
	v_mul_f64 v[12:13], v[10:11], v[18:19]
	s_delay_alu instid0(VALU_DEP_1) | instskip(SKIP_1) | instid1(VALU_DEP_2)
	v_fma_f64 v[12:13], v[8:9], v[16:17], -v[12:13]
	v_mul_f64 v[8:9], v[8:9], v[18:19]
	v_add_f64 v[20:21], v[20:21], v[12:13]
	s_delay_alu instid0(VALU_DEP_2) | instskip(NEXT) | instid1(VALU_DEP_1)
	v_fma_f64 v[8:9], v[10:11], v[16:17], v[8:9]
	v_add_f64 v[22:23], v[22:23], v[8:9]
	ds_load_b128 v[8:11], v28 offset:80
	ds_load_b128 v[12:15], v27 offset:2560
	s_waitcnt lgkmcnt(0)
	v_mul_f64 v[16:17], v[10:11], v[14:15]
	v_mul_f64 v[18:19], v[8:9], v[14:15]
	s_delay_alu instid0(VALU_DEP_2) | instskip(NEXT) | instid1(VALU_DEP_2)
	v_fma_f64 v[16:17], v[8:9], v[12:13], -v[16:17]
	v_fma_f64 v[18:19], v[10:11], v[12:13], v[18:19]
	s_delay_alu instid0(VALU_DEP_2) | instskip(NEXT) | instid1(VALU_DEP_2)
	v_add_f64 v[1:2], v[1:2], v[16:17]
	v_add_f64 v[40:41], v[40:41], v[18:19]
	ds_load_b128 v[16:19], v27 offset:2816
	s_waitcnt lgkmcnt(0)
	v_mul_f64 v[42:43], v[10:11], v[18:19]
	s_delay_alu instid0(VALU_DEP_1) | instskip(SKIP_1) | instid1(VALU_DEP_2)
	v_fma_f64 v[42:43], v[8:9], v[16:17], -v[42:43]
	v_mul_f64 v[8:9], v[8:9], v[18:19]
	v_add_f64 v[34:35], v[34:35], v[42:43]
	s_delay_alu instid0(VALU_DEP_2) | instskip(NEXT) | instid1(VALU_DEP_1)
	v_fma_f64 v[8:9], v[10:11], v[16:17], v[8:9]
	v_add_f64 v[32:33], v[32:33], v[8:9]
	ds_load_b128 v[8:11], v28 offset:2128
	s_waitcnt lgkmcnt(0)
	v_mul_f64 v[42:43], v[10:11], v[14:15]
	v_mul_f64 v[14:15], v[8:9], v[14:15]
	s_delay_alu instid0(VALU_DEP_2) | instskip(NEXT) | instid1(VALU_DEP_2)
	v_fma_f64 v[42:43], v[8:9], v[12:13], -v[42:43]
	v_fma_f64 v[12:13], v[10:11], v[12:13], v[14:15]
	s_delay_alu instid0(VALU_DEP_2) | instskip(NEXT) | instid1(VALU_DEP_2)
	v_add_f64 v[36:37], v[36:37], v[42:43]
	v_add_f64 v[38:39], v[38:39], v[12:13]
	v_mul_f64 v[12:13], v[10:11], v[18:19]
	s_delay_alu instid0(VALU_DEP_1) | instskip(SKIP_1) | instid1(VALU_DEP_2)
	v_fma_f64 v[12:13], v[8:9], v[16:17], -v[12:13]
	v_mul_f64 v[8:9], v[8:9], v[18:19]
	v_add_f64 v[20:21], v[20:21], v[12:13]
	s_delay_alu instid0(VALU_DEP_2) | instskip(NEXT) | instid1(VALU_DEP_1)
	v_fma_f64 v[8:9], v[10:11], v[16:17], v[8:9]
	v_add_f64 v[22:23], v[22:23], v[8:9]
	ds_load_b128 v[8:11], v28 offset:96
	ds_load_b128 v[12:15], v27 offset:3072
	s_waitcnt lgkmcnt(0)
	v_mul_f64 v[16:17], v[10:11], v[14:15]
	v_mul_f64 v[18:19], v[8:9], v[14:15]
	s_delay_alu instid0(VALU_DEP_2) | instskip(NEXT) | instid1(VALU_DEP_2)
	v_fma_f64 v[16:17], v[8:9], v[12:13], -v[16:17]
	v_fma_f64 v[18:19], v[10:11], v[12:13], v[18:19]
	s_delay_alu instid0(VALU_DEP_2) | instskip(NEXT) | instid1(VALU_DEP_2)
	v_add_f64 v[1:2], v[1:2], v[16:17]
	v_add_f64 v[40:41], v[40:41], v[18:19]
	ds_load_b128 v[16:19], v27 offset:3328
	s_waitcnt lgkmcnt(0)
	v_mul_f64 v[42:43], v[10:11], v[18:19]
	s_delay_alu instid0(VALU_DEP_1) | instskip(SKIP_1) | instid1(VALU_DEP_2)
	v_fma_f64 v[42:43], v[8:9], v[16:17], -v[42:43]
	v_mul_f64 v[8:9], v[8:9], v[18:19]
	v_add_f64 v[42:43], v[34:35], v[42:43]
	s_delay_alu instid0(VALU_DEP_2) | instskip(NEXT) | instid1(VALU_DEP_1)
	v_fma_f64 v[8:9], v[10:11], v[16:17], v[8:9]
	v_add_f64 v[44:45], v[32:33], v[8:9]
	ds_load_b128 v[8:11], v28 offset:2144
	s_waitcnt lgkmcnt(0)
	v_mul_f64 v[32:33], v[10:11], v[14:15]
	v_mul_f64 v[14:15], v[8:9], v[14:15]
	s_delay_alu instid0(VALU_DEP_2) | instskip(NEXT) | instid1(VALU_DEP_2)
	v_fma_f64 v[32:33], v[8:9], v[12:13], -v[32:33]
	v_fma_f64 v[12:13], v[10:11], v[12:13], v[14:15]
	s_delay_alu instid0(VALU_DEP_2) | instskip(NEXT) | instid1(VALU_DEP_2)
	v_add_f64 v[46:47], v[36:37], v[32:33]
	v_add_f64 v[48:49], v[38:39], v[12:13]
	v_mul_f64 v[12:13], v[10:11], v[18:19]
	s_delay_alu instid0(VALU_DEP_1) | instskip(SKIP_1) | instid1(VALU_DEP_2)
	v_fma_f64 v[12:13], v[8:9], v[16:17], -v[12:13]
	v_mul_f64 v[8:9], v[8:9], v[18:19]
	v_add_f64 v[18:19], v[20:21], v[12:13]
	s_delay_alu instid0(VALU_DEP_2) | instskip(NEXT) | instid1(VALU_DEP_1)
	v_fma_f64 v[8:9], v[10:11], v[16:17], v[8:9]
	v_add_f64 v[50:51], v[22:23], v[8:9]
	ds_load_b128 v[8:11], v28 offset:112
	ds_load_b128 v[12:15], v27 offset:3584
	ds_load_b128 v[32:35], v27 offset:3840
	ds_load_b128 v[36:39], v28 offset:2160
	s_waitcnt lgkmcnt(0)
	s_barrier
	buffer_gl0_inv
	v_mul_f64 v[16:17], v[10:11], v[14:15]
	v_mul_f64 v[20:21], v[8:9], v[14:15]
	s_delay_alu instid0(VALU_DEP_2) | instskip(NEXT) | instid1(VALU_DEP_2)
	v_fma_f64 v[16:17], v[8:9], v[12:13], -v[16:17]
	v_fma_f64 v[22:23], v[10:11], v[12:13], v[20:21]
	s_delay_alu instid0(VALU_DEP_2) | instskip(SKIP_1) | instid1(VALU_DEP_3)
	v_add_f64 v[20:21], v[1:2], v[16:17]
	v_mul_f64 v[1:2], v[10:11], v[34:35]
	v_add_f64 v[22:23], v[40:41], v[22:23]
	s_delay_alu instid0(VALU_DEP_2) | instskip(SKIP_1) | instid1(VALU_DEP_1)
	v_fma_f64 v[1:2], v[8:9], v[32:33], -v[1:2]
	v_mul_f64 v[8:9], v[8:9], v[34:35]
	v_fma_f64 v[10:11], v[10:11], v[32:33], v[8:9]
	s_delay_alu instid0(VALU_DEP_3) | instskip(SKIP_2) | instid1(VALU_DEP_4)
	v_add_f64 v[8:9], v[42:43], v[1:2]
	v_mul_f64 v[1:2], v[38:39], v[14:15]
	v_mul_f64 v[14:15], v[36:37], v[14:15]
	v_add_f64 v[10:11], v[44:45], v[10:11]
	s_delay_alu instid0(VALU_DEP_3) | instskip(NEXT) | instid1(VALU_DEP_3)
	v_fma_f64 v[1:2], v[36:37], v[12:13], -v[1:2]
	v_fma_f64 v[12:13], v[38:39], v[12:13], v[14:15]
	s_delay_alu instid0(VALU_DEP_2) | instskip(NEXT) | instid1(VALU_DEP_2)
	v_add_f64 v[14:15], v[46:47], v[1:2]
	v_add_f64 v[16:17], v[48:49], v[12:13]
	v_mul_f64 v[1:2], v[38:39], v[34:35]
	v_mul_f64 v[12:13], v[36:37], v[34:35]
	s_delay_alu instid0(VALU_DEP_2) | instskip(NEXT) | instid1(VALU_DEP_2)
	v_fma_f64 v[1:2], v[36:37], v[32:33], -v[1:2]
	v_fma_f64 v[12:13], v[38:39], v[32:33], v[12:13]
	s_delay_alu instid0(VALU_DEP_2) | instskip(NEXT) | instid1(VALU_DEP_2)
	v_add_f64 v[18:19], v[18:19], v[1:2]
	v_add_f64 v[12:13], v[50:51], v[12:13]
	s_cbranch_vccnz .LBB1220_11
.LBB1220_3:                             ; =>This Inner Loop Header: Depth=1
	v_add_co_u32 v1, s6, v29, s4
	s_delay_alu instid0(VALU_DEP_1) | instskip(NEXT) | instid1(VALU_DEP_1)
	v_add_co_ci_u32_e64 v2, null, 0, s5, s6
	v_cmp_le_i64_e32 vcc_lo, s[16:17], v[1:2]
	s_or_b32 s6, s3, vcc_lo
	s_delay_alu instid0(SALU_CYCLE_1) | instskip(NEXT) | instid1(SALU_CYCLE_1)
	s_and_saveexec_b32 s7, s6
	s_xor_b32 s6, exec_lo, s7
	s_cbranch_execz .LBB1220_5
; %bb.4:                                ;   in Loop: Header=BB1220_3 Depth=1
	v_mov_b32_e32 v1, v0
	v_mov_b32_e32 v2, v0
	;; [unrolled: 1-line block ×3, first 2 shown]
	ds_store_b128 v30, v[0:3]
.LBB1220_5:                             ;   in Loop: Header=BB1220_3 Depth=1
	s_and_not1_saveexec_b32 s6, s6
	s_cbranch_execz .LBB1220_7
; %bb.6:                                ;   in Loop: Header=BB1220_3 Depth=1
	global_load_b128 v[32:35], v[4:5], off
	s_waitcnt vmcnt(0)
	ds_store_2addr_b64 v30, v[32:33], v[34:35] offset1:1
.LBB1220_7:                             ;   in Loop: Header=BB1220_3 Depth=1
	s_or_b32 exec_lo, exec_lo, s6
	v_add_co_u32 v1, s6, v26, s4
	s_delay_alu instid0(VALU_DEP_1) | instskip(NEXT) | instid1(VALU_DEP_1)
	v_add_co_ci_u32_e64 v2, null, 0, s5, s6
	v_cmp_le_i64_e32 vcc_lo, s[16:17], v[1:2]
	s_or_b32 s6, vcc_lo, s2
	s_delay_alu instid0(SALU_CYCLE_1) | instskip(NEXT) | instid1(SALU_CYCLE_1)
	s_and_saveexec_b32 s7, s6
	s_xor_b32 s6, exec_lo, s7
	s_cbranch_execz .LBB1220_9
; %bb.8:                                ;   in Loop: Header=BB1220_3 Depth=1
	v_mov_b32_e32 v1, v0
	v_mov_b32_e32 v2, v0
	v_mov_b32_e32 v3, v0
	ds_store_b128 v31, v[0:3]
.LBB1220_9:                             ;   in Loop: Header=BB1220_3 Depth=1
	s_and_not1_saveexec_b32 s6, s6
	s_cbranch_execz .LBB1220_2
; %bb.10:                               ;   in Loop: Header=BB1220_3 Depth=1
	global_load_b128 v[32:35], v[6:7], off
	s_waitcnt vmcnt(0)
	ds_store_2addr_b64 v31, v[32:33], v[34:35] offset1:1
	s_branch .LBB1220_2
.LBB1220_11:
	s_load_b128 s[4:7], s[0:1], 0x60
	v_add_nc_u32_e32 v4, s10, v25
	s_load_b64 s[0:1], s[0:1], 0x70
	s_delay_alu instid0(VALU_DEP_1) | instskip(SKIP_2) | instid1(VALU_DEP_2)
	v_ashrrev_i32_e32 v0, 31, v4
	v_cmp_gt_i32_e32 vcc_lo, s8, v4
	s_waitcnt lgkmcnt(0)
	v_mul_lo_u32 v3, v0, s6
	v_mul_lo_u32 v5, v4, s7
	v_mad_u64_u32 v[1:2], null, v4, s6, 0
	s_mul_i32 s1, s15, s1
	s_mul_hi_u32 s2, s15, s0
	s_mul_i32 s0, s15, s0
	s_add_i32 s1, s2, s1
	v_add_nc_u32_e32 v0, s9, v24
	s_lshl_b64 s[2:3], s[0:1], 4
	s_delay_alu instid0(VALU_DEP_2) | instskip(SKIP_3) | instid1(VALU_DEP_2)
	v_add3_u32 v2, v2, v5, v3
	s_add_u32 s2, s4, s2
	s_addc_u32 s3, s5, s3
	v_cmp_le_i32_e64 s0, v0, v4
	v_lshlrev_b64 v[1:2], 4, v[1:2]
	s_delay_alu instid0(VALU_DEP_2) | instskip(NEXT) | instid1(VALU_DEP_1)
	s_and_b32 s0, vcc_lo, s0
	v_add_co_u32 v5, s1, s2, v1
	s_delay_alu instid0(VALU_DEP_1)
	v_add_co_ci_u32_e64 v6, s1, s3, v2, s1
	s_and_saveexec_b32 s1, s0
	s_cbranch_execz .LBB1220_13
; %bb.12:
	v_mul_f64 v[1:2], s[20:21], v[22:23]
	v_mul_f64 v[24:25], s[18:19], v[22:23]
	s_delay_alu instid0(VALU_DEP_2) | instskip(NEXT) | instid1(VALU_DEP_2)
	v_fma_f64 v[22:23], s[18:19], v[20:21], -v[1:2]
	v_fma_f64 v[24:25], s[20:21], v[20:21], v[24:25]
	v_ashrrev_i32_e32 v1, 31, v0
	s_delay_alu instid0(VALU_DEP_1) | instskip(NEXT) | instid1(VALU_DEP_1)
	v_lshlrev_b64 v[1:2], 4, v[0:1]
	v_add_co_u32 v1, s0, v5, v1
	s_delay_alu instid0(VALU_DEP_1)
	v_add_co_ci_u32_e64 v2, s0, v6, v2, s0
	global_store_b128 v[1:2], v[22:25], off
.LBB1220_13:
	s_or_b32 exec_lo, exec_lo, s1
	v_add_nc_u32_e32 v2, 16, v0
	s_delay_alu instid0(VALU_DEP_1) | instskip(NEXT) | instid1(VALU_DEP_1)
	v_cmp_le_i32_e64 s0, v2, v4
	s_and_b32 s1, vcc_lo, s0
	s_delay_alu instid0(SALU_CYCLE_1)
	s_and_saveexec_b32 s0, s1
	s_cbranch_execz .LBB1220_15
; %bb.14:
	v_mul_f64 v[20:21], s[20:21], v[10:11]
	v_mul_f64 v[10:11], s[18:19], v[10:11]
	v_ashrrev_i32_e32 v3, 31, v2
	s_delay_alu instid0(VALU_DEP_3) | instskip(NEXT) | instid1(VALU_DEP_3)
	v_fma_f64 v[20:21], s[18:19], v[8:9], -v[20:21]
	v_fma_f64 v[22:23], s[20:21], v[8:9], v[10:11]
	s_delay_alu instid0(VALU_DEP_3) | instskip(NEXT) | instid1(VALU_DEP_1)
	v_lshlrev_b64 v[7:8], 4, v[2:3]
	v_add_co_u32 v5, vcc_lo, v5, v7
	s_delay_alu instid0(VALU_DEP_2)
	v_add_co_ci_u32_e32 v6, vcc_lo, v6, v8, vcc_lo
	global_store_b128 v[5:6], v[20:23], off
.LBB1220_15:
	s_or_b32 exec_lo, exec_lo, s0
	v_add_nc_u32_e32 v3, 16, v4
	s_delay_alu instid0(VALU_DEP_1) | instskip(SKIP_3) | instid1(VALU_DEP_4)
	v_ashrrev_i32_e32 v1, 31, v3
	v_mul_lo_u32 v6, v3, s7
	v_mad_u64_u32 v[4:5], null, v3, s6, 0
	v_cmp_gt_i32_e32 vcc_lo, s8, v3
	v_mul_lo_u32 v1, v1, s6
	v_cmp_le_i32_e64 s0, v0, v3
	s_delay_alu instid0(VALU_DEP_1) | instskip(NEXT) | instid1(VALU_DEP_2)
	s_and_b32 s0, vcc_lo, s0
	v_add3_u32 v5, v5, v6, v1
	s_delay_alu instid0(VALU_DEP_1) | instskip(NEXT) | instid1(VALU_DEP_1)
	v_lshlrev_b64 v[4:5], 4, v[4:5]
	v_add_co_u32 v4, s1, s2, v4
	s_delay_alu instid0(VALU_DEP_1)
	v_add_co_ci_u32_e64 v5, s1, s3, v5, s1
	s_and_saveexec_b32 s1, s0
	s_cbranch_execz .LBB1220_17
; %bb.16:
	v_mul_f64 v[6:7], s[20:21], v[16:17]
	v_mul_f64 v[8:9], s[18:19], v[16:17]
	v_ashrrev_i32_e32 v1, 31, v0
	s_delay_alu instid0(VALU_DEP_1) | instskip(NEXT) | instid1(VALU_DEP_1)
	v_lshlrev_b64 v[0:1], 4, v[0:1]
	v_add_co_u32 v0, s0, v4, v0
	s_delay_alu instid0(VALU_DEP_1)
	v_add_co_ci_u32_e64 v1, s0, v5, v1, s0
	v_fma_f64 v[6:7], s[18:19], v[14:15], -v[6:7]
	v_fma_f64 v[8:9], s[20:21], v[14:15], v[8:9]
	global_store_b128 v[0:1], v[6:9], off
.LBB1220_17:
	s_or_b32 exec_lo, exec_lo, s1
	v_cmp_le_i32_e64 s0, v2, v3
	s_delay_alu instid0(VALU_DEP_1) | instskip(NEXT) | instid1(SALU_CYCLE_1)
	s_and_b32 s0, vcc_lo, s0
	s_and_saveexec_b32 s1, s0
	s_cbranch_execz .LBB1220_19
; %bb.18:
	v_mul_f64 v[0:1], s[20:21], v[12:13]
	v_mul_f64 v[8:9], s[18:19], v[12:13]
	v_ashrrev_i32_e32 v3, 31, v2
	s_delay_alu instid0(VALU_DEP_3) | instskip(NEXT) | instid1(VALU_DEP_3)
	v_fma_f64 v[6:7], s[18:19], v[18:19], -v[0:1]
	v_fma_f64 v[8:9], s[20:21], v[18:19], v[8:9]
	s_delay_alu instid0(VALU_DEP_3) | instskip(NEXT) | instid1(VALU_DEP_1)
	v_lshlrev_b64 v[0:1], 4, v[2:3]
	v_add_co_u32 v0, vcc_lo, v4, v0
	s_delay_alu instid0(VALU_DEP_2)
	v_add_co_ci_u32_e32 v1, vcc_lo, v5, v1, vcc_lo
	global_store_b128 v[0:1], v[6:9], off
.LBB1220_19:
	s_nop 0
	s_sendmsg sendmsg(MSG_DEALLOC_VGPRS)
	s_endpgm
	.section	.rodata,"a",@progbits
	.p2align	6, 0x0
	.amdhsa_kernel _ZL34rocblas_syrkx_herkx_general_kernelIl19rocblas_complex_numIdELi16ELi32ELi8ELb1ELb0ELc84ELc85EKS1_S1_EviT_T0_PT8_S3_lS6_S3_lS4_PT9_S3_li
		.amdhsa_group_segment_fixed_size 8192
		.amdhsa_private_segment_fixed_size 0
		.amdhsa_kernarg_size 124
		.amdhsa_user_sgpr_count 13
		.amdhsa_user_sgpr_dispatch_ptr 0
		.amdhsa_user_sgpr_queue_ptr 0
		.amdhsa_user_sgpr_kernarg_segment_ptr 1
		.amdhsa_user_sgpr_dispatch_id 0
		.amdhsa_user_sgpr_private_segment_size 0
		.amdhsa_wavefront_size32 1
		.amdhsa_uses_dynamic_stack 0
		.amdhsa_enable_private_segment 0
		.amdhsa_system_sgpr_workgroup_id_x 1
		.amdhsa_system_sgpr_workgroup_id_y 1
		.amdhsa_system_sgpr_workgroup_id_z 1
		.amdhsa_system_sgpr_workgroup_info 0
		.amdhsa_system_vgpr_workitem_id 1
		.amdhsa_next_free_vgpr 56
		.amdhsa_next_free_sgpr 32
		.amdhsa_reserve_vcc 1
		.amdhsa_float_round_mode_32 0
		.amdhsa_float_round_mode_16_64 0
		.amdhsa_float_denorm_mode_32 3
		.amdhsa_float_denorm_mode_16_64 3
		.amdhsa_dx10_clamp 1
		.amdhsa_ieee_mode 1
		.amdhsa_fp16_overflow 0
		.amdhsa_workgroup_processor_mode 1
		.amdhsa_memory_ordered 1
		.amdhsa_forward_progress 0
		.amdhsa_shared_vgpr_count 0
		.amdhsa_exception_fp_ieee_invalid_op 0
		.amdhsa_exception_fp_denorm_src 0
		.amdhsa_exception_fp_ieee_div_zero 0
		.amdhsa_exception_fp_ieee_overflow 0
		.amdhsa_exception_fp_ieee_underflow 0
		.amdhsa_exception_fp_ieee_inexact 0
		.amdhsa_exception_int_div_zero 0
	.end_amdhsa_kernel
	.section	.text._ZL34rocblas_syrkx_herkx_general_kernelIl19rocblas_complex_numIdELi16ELi32ELi8ELb1ELb0ELc84ELc85EKS1_S1_EviT_T0_PT8_S3_lS6_S3_lS4_PT9_S3_li,"axG",@progbits,_ZL34rocblas_syrkx_herkx_general_kernelIl19rocblas_complex_numIdELi16ELi32ELi8ELb1ELb0ELc84ELc85EKS1_S1_EviT_T0_PT8_S3_lS6_S3_lS4_PT9_S3_li,comdat
.Lfunc_end1220:
	.size	_ZL34rocblas_syrkx_herkx_general_kernelIl19rocblas_complex_numIdELi16ELi32ELi8ELb1ELb0ELc84ELc85EKS1_S1_EviT_T0_PT8_S3_lS6_S3_lS4_PT9_S3_li, .Lfunc_end1220-_ZL34rocblas_syrkx_herkx_general_kernelIl19rocblas_complex_numIdELi16ELi32ELi8ELb1ELb0ELc84ELc85EKS1_S1_EviT_T0_PT8_S3_lS6_S3_lS4_PT9_S3_li
                                        ; -- End function
	.section	.AMDGPU.csdata,"",@progbits
; Kernel info:
; codeLenInByte = 3648
; NumSgprs: 34
; NumVgprs: 56
; ScratchSize: 0
; MemoryBound: 0
; FloatMode: 240
; IeeeMode: 1
; LDSByteSize: 8192 bytes/workgroup (compile time only)
; SGPRBlocks: 4
; VGPRBlocks: 6
; NumSGPRsForWavesPerEU: 34
; NumVGPRsForWavesPerEU: 56
; Occupancy: 16
; WaveLimiterHint : 0
; COMPUTE_PGM_RSRC2:SCRATCH_EN: 0
; COMPUTE_PGM_RSRC2:USER_SGPR: 13
; COMPUTE_PGM_RSRC2:TRAP_HANDLER: 0
; COMPUTE_PGM_RSRC2:TGID_X_EN: 1
; COMPUTE_PGM_RSRC2:TGID_Y_EN: 1
; COMPUTE_PGM_RSRC2:TGID_Z_EN: 1
; COMPUTE_PGM_RSRC2:TIDIG_COMP_CNT: 1
	.section	.text._ZL34rocblas_syrkx_herkx_general_kernelIl19rocblas_complex_numIdELi16ELi32ELi8ELb1ELb0ELc67ELc85EKS1_S1_EviT_T0_PT8_S3_lS6_S3_lS4_PT9_S3_li,"axG",@progbits,_ZL34rocblas_syrkx_herkx_general_kernelIl19rocblas_complex_numIdELi16ELi32ELi8ELb1ELb0ELc67ELc85EKS1_S1_EviT_T0_PT8_S3_lS6_S3_lS4_PT9_S3_li,comdat
	.globl	_ZL34rocblas_syrkx_herkx_general_kernelIl19rocblas_complex_numIdELi16ELi32ELi8ELb1ELb0ELc67ELc85EKS1_S1_EviT_T0_PT8_S3_lS6_S3_lS4_PT9_S3_li ; -- Begin function _ZL34rocblas_syrkx_herkx_general_kernelIl19rocblas_complex_numIdELi16ELi32ELi8ELb1ELb0ELc67ELc85EKS1_S1_EviT_T0_PT8_S3_lS6_S3_lS4_PT9_S3_li
	.p2align	8
	.type	_ZL34rocblas_syrkx_herkx_general_kernelIl19rocblas_complex_numIdELi16ELi32ELi8ELb1ELb0ELc67ELc85EKS1_S1_EviT_T0_PT8_S3_lS6_S3_lS4_PT9_S3_li,@function
_ZL34rocblas_syrkx_herkx_general_kernelIl19rocblas_complex_numIdELi16ELi32ELi8ELb1ELb0ELc67ELc85EKS1_S1_EviT_T0_PT8_S3_lS6_S3_lS4_PT9_S3_li: ; @_ZL34rocblas_syrkx_herkx_general_kernelIl19rocblas_complex_numIdELi16ELi32ELi8ELb1ELb0ELc67ELc85EKS1_S1_EviT_T0_PT8_S3_lS6_S3_lS4_PT9_S3_li
; %bb.0:
	s_clause 0x1
	s_load_b512 s[16:31], s[0:1], 0x8
	s_load_b32 s8, s[0:1], 0x0
	v_mov_b32_e32 v23, 0
	v_dual_mov_b32 v24, 0 :: v_dual_and_b32 v27, 0x3ff, v0
	v_bfe_u32 v28, v0, 10, 10
	s_delay_alu instid0(VALU_DEP_3) | instskip(NEXT) | instid1(VALU_DEP_3)
	v_mov_b32_e32 v19, v23
	v_dual_mov_b32 v21, v23 :: v_dual_mov_b32 v22, v24
	v_dual_mov_b32 v26, v24 :: v_dual_mov_b32 v25, v23
	;; [unrolled: 1-line block ×6, first 2 shown]
	v_mov_b32_e32 v14, v24
	s_waitcnt lgkmcnt(0)
	v_cmp_lt_i64_e64 s2, s[16:17], 1
	s_lshl_b32 s9, s13, 5
	s_lshl_b32 s10, s14, 5
	s_mov_b64 s[4:5], 0
	s_delay_alu instid0(VALU_DEP_1)
	s_and_b32 vcc_lo, exec_lo, s2
	s_cbranch_vccnz .LBB1221_9
; %bb.1:
	v_lshl_add_u32 v1, v28, 4, v27
	s_load_b64 s[6:7], s[0:1], 0x48
	v_dual_mov_b32 v0, 0 :: v_dual_and_b32 v29, 7, v27
	s_mul_i32 s3, s27, s15
	s_delay_alu instid0(VALU_DEP_2)
	v_and_b32_e32 v3, 31, v1
	v_lshrrev_b32_e32 v5, 3, v1
	v_lshrrev_b32_e32 v32, 5, v1
	v_lshlrev_b32_e32 v9, 4, v29
	s_mul_hi_u32 s11, s26, s15
	v_add_nc_u32_e32 v4, s9, v3
	v_add_nc_u32_e32 v7, s10, v5
	v_or_b32_e32 v10, s9, v3
	v_lshlrev_b32_e32 v11, 4, v3
	v_lshl_or_b32 v5, v5, 7, v9
	v_ashrrev_i32_e32 v6, 31, v4
	v_mul_lo_u32 v8, s25, v4
	v_mad_u64_u32 v[1:2], null, s24, v4, 0
	v_ashrrev_i32_e32 v12, 31, v7
	s_delay_alu instid0(VALU_DEP_4)
	v_mul_lo_u32 v6, s24, v6
	v_mul_lo_u32 v13, s31, v7
	v_mad_u64_u32 v[3:4], null, s30, v7, 0
	s_mul_i32 s2, s26, s15
	s_add_i32 s3, s11, s3
	v_add_nc_u32_e32 v34, 0x1000, v5
	s_lshl_b64 s[12:13], s[2:3], 4
	s_delay_alu instid0(VALU_DEP_4)
	v_add3_u32 v2, v2, v6, v8
	v_mul_lo_u32 v6, s30, v12
	v_cmp_gt_i32_e32 vcc_lo, s8, v7
	v_lshlrev_b32_e32 v7, 4, v32
	v_lshlrev_b32_e32 v30, 4, v27
	v_lshlrev_b64 v[1:2], 4, v[1:2]
	v_lshl_add_u32 v31, v28, 7, 0x1000
	v_cmp_gt_i32_e64 s2, s8, v10
	v_add3_u32 v4, v4, v6, v13
	s_delay_alu instid0(VALU_DEP_4) | instskip(NEXT) | instid1(VALU_DEP_1)
	v_add_co_u32 v5, s3, v1, s12
	v_add_co_ci_u32_e64 v6, s3, s13, v2, s3
	s_waitcnt lgkmcnt(0)
	s_mul_i32 s3, s7, s15
	s_mul_hi_u32 s7, s6, s15
	v_lshlrev_b64 v[1:2], 4, v[3:4]
	s_add_i32 s7, s7, s3
	s_mul_i32 s6, s6, s15
	v_add_co_u32 v3, s3, v5, v7
	s_lshl_b64 s[6:7], s[6:7], 4
	v_add_co_ci_u32_e64 v4, s3, 0, v6, s3
	v_mov_b32_e32 v5, 0
	v_add_co_u32 v1, s3, v1, s6
	v_mov_b32_e32 v6, 0
	v_add_co_ci_u32_e64 v2, s3, s7, v2, s3
	v_add_co_u32 v3, s3, v3, s22
	s_delay_alu instid0(VALU_DEP_1) | instskip(NEXT) | instid1(VALU_DEP_4)
	v_add_co_ci_u32_e64 v4, s3, s23, v4, s3
	v_mov_b32_e32 v18, v6
	v_lshl_or_b32 v33, v32, 9, v11
	v_mov_b32_e32 v12, v6
	v_add_co_u32 v1, s3, v1, v9
	s_delay_alu instid0(VALU_DEP_1) | instskip(SKIP_1) | instid1(VALU_DEP_1)
	v_add_co_ci_u32_e64 v2, s3, 0, v2, s3
	v_add_co_u32 v7, s3, v3, 8
	v_add_co_ci_u32_e64 v8, s3, 0, v4, s3
	v_mov_b32_e32 v16, v6
	v_add_co_u32 v9, s3, s28, v1
	v_dual_mov_b32 v17, v5 :: v_dual_mov_b32 v22, v6
	v_dual_mov_b32 v15, v5 :: v_dual_mov_b32 v20, v6
	v_dual_mov_b32 v14, v6 :: v_dual_mov_b32 v21, v5
	v_dual_mov_b32 v26, v6 :: v_dual_mov_b32 v19, v5
	v_mov_b32_e32 v24, v6
	v_add_co_ci_u32_e64 v10, s3, s29, v2, s3
	v_mov_b32_e32 v13, v5
	v_mov_b32_e32 v11, v5
	;; [unrolled: 1-line block ×4, first 2 shown]
	s_xor_b32 s3, vcc_lo, -1
	s_branch .LBB1221_3
.LBB1221_2:                             ;   in Loop: Header=BB1221_3 Depth=1
	s_or_b32 exec_lo, exec_lo, s6
	s_waitcnt lgkmcnt(0)
	s_barrier
	buffer_gl0_inv
	ds_load_b128 v[1:4], v31
	ds_load_b128 v[35:38], v30
	ds_load_b128 v[39:42], v30 offset:256
	ds_load_b128 v[43:46], v31 offset:2048
	;; [unrolled: 1-line block ×9, first 2 shown]
	s_add_u32 s4, s4, 8
	s_addc_u32 s5, s5, 0
	v_add_co_u32 v7, vcc_lo, 0x80, v7
	v_cmp_ge_i64_e64 s6, s[4:5], s[16:17]
	v_add_co_ci_u32_e32 v8, vcc_lo, 0, v8, vcc_lo
	v_add_co_u32 v9, vcc_lo, 0x80, v9
	v_add_co_ci_u32_e32 v10, vcc_lo, 0, v10, vcc_lo
	s_delay_alu instid0(VALU_DEP_4)
	s_and_b32 vcc_lo, exec_lo, s6
	s_waitcnt lgkmcnt(9)
	v_mul_f64 v[75:76], v[3:4], v[37:38]
	v_mul_f64 v[77:78], v[1:2], v[37:38]
	s_waitcnt lgkmcnt(8)
	v_mul_f64 v[79:80], v[3:4], v[41:42]
	v_mul_f64 v[81:82], v[1:2], v[41:42]
	;; [unrolled: 3-line block ×3, first 2 shown]
	v_mul_f64 v[85:86], v[45:46], v[41:42]
	v_mul_f64 v[41:42], v[43:44], v[41:42]
	s_waitcnt lgkmcnt(4)
	v_mul_f64 v[87:88], v[49:50], v[57:58]
	v_mul_f64 v[89:90], v[47:48], v[57:58]
	s_waitcnt lgkmcnt(3)
	v_mul_f64 v[91:92], v[49:50], v[61:62]
	v_mul_f64 v[93:94], v[47:48], v[61:62]
	;; [unrolled: 1-line block ×6, first 2 shown]
	s_waitcnt lgkmcnt(0)
	v_mul_f64 v[115:116], v[73:74], v[65:66]
	v_mul_f64 v[117:118], v[73:74], v[69:70]
	v_fma_f64 v[99:100], v[1:2], v[35:36], -v[75:76]
	v_fma_f64 v[101:102], v[3:4], v[35:36], v[77:78]
	v_fma_f64 v[79:80], v[1:2], v[39:40], -v[79:80]
	v_fma_f64 v[81:82], v[3:4], v[39:40], v[81:82]
	;; [unrolled: 2-line block ×4, first 2 shown]
	ds_load_b128 v[75:78], v31 offset:32
	v_fma_f64 v[87:88], v[47:48], v[55:56], -v[87:88]
	v_fma_f64 v[89:90], v[49:50], v[55:56], v[89:90]
	v_fma_f64 v[47:48], v[47:48], v[59:60], -v[91:92]
	v_fma_f64 v[49:50], v[49:50], v[59:60], v[93:94]
	;; [unrolled: 2-line block ×4, first 2 shown]
	ds_load_b128 v[1:4], v31 offset:48
	ds_load_b128 v[35:38], v31 offset:2096
	;; [unrolled: 1-line block ×4, first 2 shown]
	s_waitcnt lgkmcnt(4)
	v_mul_f64 v[107:108], v[77:78], v[65:66]
	v_mul_f64 v[109:110], v[75:76], v[65:66]
	;; [unrolled: 1-line block ×6, first 2 shown]
	s_waitcnt lgkmcnt(1)
	v_mul_f64 v[93:94], v[1:2], v[41:42]
	s_waitcnt lgkmcnt(0)
	v_mul_f64 v[95:96], v[3:4], v[45:46]
	v_add_f64 v[23:24], v[23:24], v[99:100]
	v_add_f64 v[25:26], v[25:26], v[101:102]
	;; [unrolled: 1-line block ×8, first 2 shown]
	v_mul_f64 v[85:86], v[3:4], v[41:42]
	v_mul_f64 v[97:98], v[1:2], v[45:46]
	;; [unrolled: 1-line block ×6, first 2 shown]
	ds_load_b128 v[11:14], v30 offset:2048
	ds_load_b128 v[15:18], v30 offset:2304
	;; [unrolled: 1-line block ×3, first 2 shown]
	v_fma_f64 v[105:106], v[75:76], v[63:64], -v[107:108]
	v_fma_f64 v[107:108], v[77:78], v[63:64], v[109:110]
	v_fma_f64 v[75:76], v[75:76], v[67:68], -v[111:112]
	v_fma_f64 v[77:78], v[77:78], v[67:68], v[113:114]
	v_fma_f64 v[109:110], v[71:72], v[63:64], -v[115:116]
	v_fma_f64 v[63:64], v[73:74], v[63:64], v[65:66]
	v_fma_f64 v[65:66], v[71:72], v[67:68], -v[117:118]
	v_fma_f64 v[67:68], v[73:74], v[67:68], v[69:70]
	s_waitcnt lgkmcnt(0)
	v_mul_f64 v[115:116], v[21:22], v[13:14]
	v_mul_f64 v[117:118], v[21:22], v[17:18]
	v_add_f64 v[69:70], v[23:24], v[87:88]
	v_add_f64 v[71:72], v[25:26], v[89:90]
	v_add_f64 v[73:74], v[57:58], v[47:48]
	v_add_f64 v[87:88], v[59:60], v[49:50]
	v_add_f64 v[61:62], v[61:62], v[91:92]
	v_add_f64 v[79:80], v[79:80], v[55:56]
	v_add_f64 v[81:82], v[81:82], v[51:52]
	v_add_f64 v[83:84], v[83:84], v[53:54]
	ds_load_b128 v[23:26], v31 offset:64
	v_fma_f64 v[85:86], v[1:2], v[39:40], -v[85:86]
	v_fma_f64 v[93:94], v[3:4], v[39:40], v[93:94]
	v_fma_f64 v[95:96], v[1:2], v[43:44], -v[95:96]
	v_fma_f64 v[97:98], v[3:4], v[43:44], v[97:98]
	;; [unrolled: 2-line block ×4, first 2 shown]
	ds_load_b128 v[45:48], v31 offset:80
	ds_load_b128 v[49:52], v31 offset:2128
	ds_load_b128 v[53:56], v30 offset:2560
	ds_load_b128 v[57:60], v30 offset:2816
	ds_load_b128 v[1:4], v30 offset:3072
	ds_load_b128 v[35:38], v30 offset:3328
	ds_load_b128 v[39:42], v31 offset:2144
	s_waitcnt lgkmcnt(7)
	v_mul_f64 v[89:90], v[25:26], v[13:14]
	v_mul_f64 v[91:92], v[23:24], v[13:14]
	v_mul_f64 v[111:112], v[25:26], v[17:18]
	v_mul_f64 v[113:114], v[23:24], v[17:18]
	v_mul_f64 v[13:14], v[19:20], v[13:14]
	v_mul_f64 v[17:18], v[19:20], v[17:18]
	s_waitcnt lgkmcnt(3)
	v_mul_f64 v[103:104], v[51:52], v[59:60]
	v_add_f64 v[69:70], v[69:70], v[105:106]
	v_add_f64 v[71:72], v[71:72], v[107:108]
	v_add_f64 v[73:74], v[73:74], v[75:76]
	v_add_f64 v[75:76], v[87:88], v[77:78]
	v_add_f64 v[61:62], v[61:62], v[109:110]
	v_add_f64 v[63:64], v[79:80], v[63:64]
	v_add_f64 v[65:66], v[81:82], v[65:66]
	v_add_f64 v[67:68], v[83:84], v[67:68]
	v_mul_f64 v[77:78], v[47:48], v[55:56]
	v_mul_f64 v[79:80], v[45:46], v[55:56]
	;; [unrolled: 1-line block ×7, first 2 shown]
	v_fma_f64 v[89:90], v[23:24], v[11:12], -v[89:90]
	v_fma_f64 v[91:92], v[25:26], v[11:12], v[91:92]
	v_fma_f64 v[107:108], v[23:24], v[15:16], -v[111:112]
	v_fma_f64 v[109:110], v[25:26], v[15:16], v[113:114]
	;; [unrolled: 2-line block ×4, first 2 shown]
	ds_load_b128 v[11:14], v31 offset:96
	v_add_f64 v[69:70], v[69:70], v[85:86]
	v_add_f64 v[71:72], v[71:72], v[93:94]
	;; [unrolled: 1-line block ×8, first 2 shown]
	s_waitcnt lgkmcnt(1)
	v_mul_f64 v[99:100], v[41:42], v[3:4]
	v_mul_f64 v[101:102], v[41:42], v[37:38]
	v_fma_f64 v[77:78], v[45:46], v[53:54], -v[77:78]
	v_fma_f64 v[79:80], v[47:48], v[53:54], v[79:80]
	v_fma_f64 v[45:46], v[45:46], v[57:58], -v[81:82]
	v_fma_f64 v[47:48], v[47:48], v[57:58], v[83:84]
	;; [unrolled: 2-line block ×4, first 2 shown]
	s_waitcnt lgkmcnt(0)
	v_mul_f64 v[67:68], v[13:14], v[3:4]
	v_mul_f64 v[93:94], v[11:12], v[3:4]
	;; [unrolled: 1-line block ×6, first 2 shown]
	ds_load_b128 v[15:18], v31 offset:112
	ds_load_b128 v[19:22], v31 offset:2160
	;; [unrolled: 1-line block ×4, first 2 shown]
	s_waitcnt lgkmcnt(0)
	s_barrier
	buffer_gl0_inv
	v_add_f64 v[55:56], v[69:70], v[89:90]
	v_add_f64 v[57:58], v[71:72], v[91:92]
	;; [unrolled: 1-line block ×8, first 2 shown]
	v_mul_f64 v[75:76], v[17:18], v[25:26]
	v_mul_f64 v[83:84], v[15:16], v[25:26]
	;; [unrolled: 1-line block ×8, first 2 shown]
	v_fma_f64 v[67:68], v[11:12], v[1:2], -v[67:68]
	v_fma_f64 v[93:94], v[13:14], v[1:2], v[93:94]
	v_fma_f64 v[11:12], v[11:12], v[35:36], -v[95:96]
	v_fma_f64 v[13:14], v[13:14], v[35:36], v[97:98]
	;; [unrolled: 2-line block ×4, first 2 shown]
	v_add_f64 v[37:38], v[55:56], v[77:78]
	v_add_f64 v[39:40], v[57:58], v[79:80]
	;; [unrolled: 1-line block ×8, first 2 shown]
	v_fma_f64 v[51:52], v[15:16], v[23:24], -v[75:76]
	v_fma_f64 v[55:56], v[17:18], v[23:24], v[83:84]
	v_fma_f64 v[15:16], v[15:16], v[59:60], -v[85:86]
	v_fma_f64 v[17:18], v[17:18], v[59:60], v[87:88]
	v_fma_f64 v[57:58], v[19:20], v[23:24], -v[89:90]
	v_fma_f64 v[63:64], v[21:22], v[23:24], v[25:26]
	v_fma_f64 v[65:66], v[19:20], v[59:60], -v[91:92]
	v_fma_f64 v[59:60], v[21:22], v[59:60], v[61:62]
	v_add_f64 v[19:20], v[37:38], v[67:68]
	v_add_f64 v[21:22], v[39:40], v[93:94]
	;; [unrolled: 1-line block ×16, first 2 shown]
	s_cbranch_vccnz .LBB1221_9
.LBB1221_3:                             ; =>This Inner Loop Header: Depth=1
	v_add_co_u32 v1, s6, v32, s4
	s_delay_alu instid0(VALU_DEP_1) | instskip(SKIP_1) | instid1(VALU_DEP_2)
	v_add_co_ci_u32_e64 v2, null, 0, s5, s6
	v_dual_mov_b32 v3, v5 :: v_dual_mov_b32 v4, v6
	v_cmp_gt_i64_e32 vcc_lo, s[16:17], v[1:2]
	v_dual_mov_b32 v1, v5 :: v_dual_mov_b32 v2, v6
	s_and_b32 s7, s2, vcc_lo
	s_delay_alu instid0(SALU_CYCLE_1)
	s_and_saveexec_b32 s6, s7
	s_cbranch_execz .LBB1221_5
; %bb.4:                                ;   in Loop: Header=BB1221_3 Depth=1
	global_load_b128 v[1:4], v[7:8], off offset:-8
.LBB1221_5:                             ;   in Loop: Header=BB1221_3 Depth=1
	s_or_b32 exec_lo, exec_lo, s6
	v_add_co_u32 v35, s6, v29, s4
	s_delay_alu instid0(VALU_DEP_1) | instskip(SKIP_4) | instid1(SALU_CYCLE_1)
	v_add_co_ci_u32_e64 v36, null, 0, s5, s6
	s_waitcnt vmcnt(0)
	ds_store_b128 v33, v[1:4]
	v_cmp_le_i64_e32 vcc_lo, s[16:17], v[35:36]
	s_or_b32 s6, vcc_lo, s3
	s_and_saveexec_b32 s7, s6
	s_delay_alu instid0(SALU_CYCLE_1)
	s_xor_b32 s6, exec_lo, s7
	s_cbranch_execz .LBB1221_7
; %bb.6:                                ;   in Loop: Header=BB1221_3 Depth=1
	v_mov_b32_e32 v1, v0
	v_mov_b32_e32 v2, v0
	;; [unrolled: 1-line block ×3, first 2 shown]
	ds_store_b128 v34, v[0:3]
.LBB1221_7:                             ;   in Loop: Header=BB1221_3 Depth=1
	s_and_not1_saveexec_b32 s6, s6
	s_cbranch_execz .LBB1221_2
; %bb.8:                                ;   in Loop: Header=BB1221_3 Depth=1
	global_load_b128 v[1:4], v[9:10], off
	s_waitcnt vmcnt(0)
	ds_store_2addr_b64 v34, v[1:2], v[3:4] offset1:1
	s_branch .LBB1221_2
.LBB1221_9:
	s_load_b128 s[4:7], s[0:1], 0x60
	v_add_nc_u32_e32 v4, s10, v28
	s_load_b64 s[0:1], s[0:1], 0x70
	s_delay_alu instid0(VALU_DEP_1) | instskip(SKIP_2) | instid1(VALU_DEP_2)
	v_ashrrev_i32_e32 v0, 31, v4
	v_cmp_gt_i32_e32 vcc_lo, s8, v4
	s_waitcnt lgkmcnt(0)
	v_mul_lo_u32 v3, v0, s6
	v_mul_lo_u32 v5, v4, s7
	v_mad_u64_u32 v[1:2], null, v4, s6, 0
	s_mul_i32 s1, s15, s1
	s_mul_hi_u32 s2, s15, s0
	s_mul_i32 s0, s15, s0
	s_add_i32 s1, s2, s1
	v_add_nc_u32_e32 v0, s9, v27
	s_lshl_b64 s[2:3], s[0:1], 4
	s_delay_alu instid0(VALU_DEP_2) | instskip(SKIP_3) | instid1(VALU_DEP_2)
	v_add3_u32 v2, v2, v5, v3
	s_add_u32 s2, s4, s2
	s_addc_u32 s3, s5, s3
	v_cmp_le_i32_e64 s0, v0, v4
	v_lshlrev_b64 v[1:2], 4, v[1:2]
	s_delay_alu instid0(VALU_DEP_2) | instskip(NEXT) | instid1(VALU_DEP_1)
	s_and_b32 s0, vcc_lo, s0
	v_add_co_u32 v5, s1, s2, v1
	s_delay_alu instid0(VALU_DEP_1)
	v_add_co_ci_u32_e64 v6, s1, s3, v2, s1
	s_and_saveexec_b32 s1, s0
	s_cbranch_execz .LBB1221_11
; %bb.10:
	v_mul_f64 v[1:2], s[20:21], v[25:26]
	v_mul_f64 v[9:10], s[18:19], v[25:26]
	s_delay_alu instid0(VALU_DEP_2) | instskip(NEXT) | instid1(VALU_DEP_2)
	v_fma_f64 v[7:8], s[18:19], v[23:24], -v[1:2]
	v_fma_f64 v[9:10], s[20:21], v[23:24], v[9:10]
	v_ashrrev_i32_e32 v1, 31, v0
	s_delay_alu instid0(VALU_DEP_1) | instskip(NEXT) | instid1(VALU_DEP_1)
	v_lshlrev_b64 v[1:2], 4, v[0:1]
	v_add_co_u32 v1, s0, v5, v1
	s_delay_alu instid0(VALU_DEP_1)
	v_add_co_ci_u32_e64 v2, s0, v6, v2, s0
	global_store_b128 v[1:2], v[7:10], off
.LBB1221_11:
	s_or_b32 exec_lo, exec_lo, s1
	v_add_nc_u32_e32 v2, 16, v0
	s_delay_alu instid0(VALU_DEP_1) | instskip(NEXT) | instid1(VALU_DEP_1)
	v_cmp_le_i32_e64 s0, v2, v4
	s_and_b32 s1, vcc_lo, s0
	s_delay_alu instid0(SALU_CYCLE_1)
	s_and_saveexec_b32 s0, s1
	s_cbranch_execz .LBB1221_13
; %bb.12:
	v_mul_f64 v[7:8], s[20:21], v[21:22]
	v_mul_f64 v[9:10], s[18:19], v[21:22]
	v_ashrrev_i32_e32 v3, 31, v2
	s_delay_alu instid0(VALU_DEP_3) | instskip(NEXT) | instid1(VALU_DEP_3)
	v_fma_f64 v[7:8], s[18:19], v[19:20], -v[7:8]
	v_fma_f64 v[9:10], s[20:21], v[19:20], v[9:10]
	s_delay_alu instid0(VALU_DEP_3) | instskip(NEXT) | instid1(VALU_DEP_1)
	v_lshlrev_b64 v[19:20], 4, v[2:3]
	v_add_co_u32 v5, vcc_lo, v5, v19
	s_delay_alu instid0(VALU_DEP_2)
	v_add_co_ci_u32_e32 v6, vcc_lo, v6, v20, vcc_lo
	global_store_b128 v[5:6], v[7:10], off
.LBB1221_13:
	s_or_b32 exec_lo, exec_lo, s0
	v_add_nc_u32_e32 v3, 16, v4
	s_delay_alu instid0(VALU_DEP_1) | instskip(SKIP_3) | instid1(VALU_DEP_4)
	v_ashrrev_i32_e32 v1, 31, v3
	v_mul_lo_u32 v6, v3, s7
	v_mad_u64_u32 v[4:5], null, v3, s6, 0
	v_cmp_gt_i32_e32 vcc_lo, s8, v3
	v_mul_lo_u32 v1, v1, s6
	v_cmp_le_i32_e64 s0, v0, v3
	s_delay_alu instid0(VALU_DEP_1) | instskip(NEXT) | instid1(VALU_DEP_2)
	s_and_b32 s0, vcc_lo, s0
	v_add3_u32 v5, v5, v6, v1
	s_delay_alu instid0(VALU_DEP_1) | instskip(NEXT) | instid1(VALU_DEP_1)
	v_lshlrev_b64 v[4:5], 4, v[4:5]
	v_add_co_u32 v4, s1, s2, v4
	s_delay_alu instid0(VALU_DEP_1)
	v_add_co_ci_u32_e64 v5, s1, s3, v5, s1
	s_and_saveexec_b32 s1, s0
	s_cbranch_execz .LBB1221_15
; %bb.14:
	v_mul_f64 v[6:7], s[20:21], v[17:18]
	v_mul_f64 v[8:9], s[18:19], v[17:18]
	v_ashrrev_i32_e32 v1, 31, v0
	s_delay_alu instid0(VALU_DEP_1) | instskip(NEXT) | instid1(VALU_DEP_1)
	v_lshlrev_b64 v[0:1], 4, v[0:1]
	v_add_co_u32 v0, s0, v4, v0
	s_delay_alu instid0(VALU_DEP_1)
	v_add_co_ci_u32_e64 v1, s0, v5, v1, s0
	v_fma_f64 v[6:7], s[18:19], v[15:16], -v[6:7]
	v_fma_f64 v[8:9], s[20:21], v[15:16], v[8:9]
	global_store_b128 v[0:1], v[6:9], off
.LBB1221_15:
	s_or_b32 exec_lo, exec_lo, s1
	v_cmp_le_i32_e64 s0, v2, v3
	s_delay_alu instid0(VALU_DEP_1) | instskip(NEXT) | instid1(SALU_CYCLE_1)
	s_and_b32 s0, vcc_lo, s0
	s_and_saveexec_b32 s1, s0
	s_cbranch_execz .LBB1221_17
; %bb.16:
	v_mul_f64 v[0:1], s[20:21], v[13:14]
	v_mul_f64 v[8:9], s[18:19], v[13:14]
	v_ashrrev_i32_e32 v3, 31, v2
	s_delay_alu instid0(VALU_DEP_3) | instskip(NEXT) | instid1(VALU_DEP_3)
	v_fma_f64 v[6:7], s[18:19], v[11:12], -v[0:1]
	v_fma_f64 v[8:9], s[20:21], v[11:12], v[8:9]
	s_delay_alu instid0(VALU_DEP_3) | instskip(NEXT) | instid1(VALU_DEP_1)
	v_lshlrev_b64 v[0:1], 4, v[2:3]
	v_add_co_u32 v0, vcc_lo, v4, v0
	s_delay_alu instid0(VALU_DEP_2)
	v_add_co_ci_u32_e32 v1, vcc_lo, v5, v1, vcc_lo
	global_store_b128 v[0:1], v[6:9], off
.LBB1221_17:
	s_nop 0
	s_sendmsg sendmsg(MSG_DEALLOC_VGPRS)
	s_endpgm
	.section	.rodata,"a",@progbits
	.p2align	6, 0x0
	.amdhsa_kernel _ZL34rocblas_syrkx_herkx_general_kernelIl19rocblas_complex_numIdELi16ELi32ELi8ELb1ELb0ELc67ELc85EKS1_S1_EviT_T0_PT8_S3_lS6_S3_lS4_PT9_S3_li
		.amdhsa_group_segment_fixed_size 8192
		.amdhsa_private_segment_fixed_size 0
		.amdhsa_kernarg_size 124
		.amdhsa_user_sgpr_count 13
		.amdhsa_user_sgpr_dispatch_ptr 0
		.amdhsa_user_sgpr_queue_ptr 0
		.amdhsa_user_sgpr_kernarg_segment_ptr 1
		.amdhsa_user_sgpr_dispatch_id 0
		.amdhsa_user_sgpr_private_segment_size 0
		.amdhsa_wavefront_size32 1
		.amdhsa_uses_dynamic_stack 0
		.amdhsa_enable_private_segment 0
		.amdhsa_system_sgpr_workgroup_id_x 1
		.amdhsa_system_sgpr_workgroup_id_y 1
		.amdhsa_system_sgpr_workgroup_id_z 1
		.amdhsa_system_sgpr_workgroup_info 0
		.amdhsa_system_vgpr_workitem_id 1
		.amdhsa_next_free_vgpr 121
		.amdhsa_next_free_sgpr 32
		.amdhsa_reserve_vcc 1
		.amdhsa_float_round_mode_32 0
		.amdhsa_float_round_mode_16_64 0
		.amdhsa_float_denorm_mode_32 3
		.amdhsa_float_denorm_mode_16_64 3
		.amdhsa_dx10_clamp 1
		.amdhsa_ieee_mode 1
		.amdhsa_fp16_overflow 0
		.amdhsa_workgroup_processor_mode 1
		.amdhsa_memory_ordered 1
		.amdhsa_forward_progress 0
		.amdhsa_shared_vgpr_count 0
		.amdhsa_exception_fp_ieee_invalid_op 0
		.amdhsa_exception_fp_denorm_src 0
		.amdhsa_exception_fp_ieee_div_zero 0
		.amdhsa_exception_fp_ieee_overflow 0
		.amdhsa_exception_fp_ieee_underflow 0
		.amdhsa_exception_fp_ieee_inexact 0
		.amdhsa_exception_int_div_zero 0
	.end_amdhsa_kernel
	.section	.text._ZL34rocblas_syrkx_herkx_general_kernelIl19rocblas_complex_numIdELi16ELi32ELi8ELb1ELb0ELc67ELc85EKS1_S1_EviT_T0_PT8_S3_lS6_S3_lS4_PT9_S3_li,"axG",@progbits,_ZL34rocblas_syrkx_herkx_general_kernelIl19rocblas_complex_numIdELi16ELi32ELi8ELb1ELb0ELc67ELc85EKS1_S1_EviT_T0_PT8_S3_lS6_S3_lS4_PT9_S3_li,comdat
.Lfunc_end1221:
	.size	_ZL34rocblas_syrkx_herkx_general_kernelIl19rocblas_complex_numIdELi16ELi32ELi8ELb1ELb0ELc67ELc85EKS1_S1_EviT_T0_PT8_S3_lS6_S3_lS4_PT9_S3_li, .Lfunc_end1221-_ZL34rocblas_syrkx_herkx_general_kernelIl19rocblas_complex_numIdELi16ELi32ELi8ELb1ELb0ELc67ELc85EKS1_S1_EviT_T0_PT8_S3_lS6_S3_lS4_PT9_S3_li
                                        ; -- End function
	.section	.AMDGPU.csdata,"",@progbits
; Kernel info:
; codeLenInByte = 3368
; NumSgprs: 34
; NumVgprs: 121
; ScratchSize: 0
; MemoryBound: 1
; FloatMode: 240
; IeeeMode: 1
; LDSByteSize: 8192 bytes/workgroup (compile time only)
; SGPRBlocks: 4
; VGPRBlocks: 15
; NumSGPRsForWavesPerEU: 34
; NumVGPRsForWavesPerEU: 121
; Occupancy: 10
; WaveLimiterHint : 0
; COMPUTE_PGM_RSRC2:SCRATCH_EN: 0
; COMPUTE_PGM_RSRC2:USER_SGPR: 13
; COMPUTE_PGM_RSRC2:TRAP_HANDLER: 0
; COMPUTE_PGM_RSRC2:TGID_X_EN: 1
; COMPUTE_PGM_RSRC2:TGID_Y_EN: 1
; COMPUTE_PGM_RSRC2:TGID_Z_EN: 1
; COMPUTE_PGM_RSRC2:TIDIG_COMP_CNT: 1
	.section	.text._ZL34rocblas_syrkx_herkx_general_kernelIl19rocblas_complex_numIdELi16ELi32ELi8ELb1ELb0ELc78ELc85EKS1_S1_EviT_T0_PT8_S3_lS6_S3_lS4_PT9_S3_li,"axG",@progbits,_ZL34rocblas_syrkx_herkx_general_kernelIl19rocblas_complex_numIdELi16ELi32ELi8ELb1ELb0ELc78ELc85EKS1_S1_EviT_T0_PT8_S3_lS6_S3_lS4_PT9_S3_li,comdat
	.globl	_ZL34rocblas_syrkx_herkx_general_kernelIl19rocblas_complex_numIdELi16ELi32ELi8ELb1ELb0ELc78ELc85EKS1_S1_EviT_T0_PT8_S3_lS6_S3_lS4_PT9_S3_li ; -- Begin function _ZL34rocblas_syrkx_herkx_general_kernelIl19rocblas_complex_numIdELi16ELi32ELi8ELb1ELb0ELc78ELc85EKS1_S1_EviT_T0_PT8_S3_lS6_S3_lS4_PT9_S3_li
	.p2align	8
	.type	_ZL34rocblas_syrkx_herkx_general_kernelIl19rocblas_complex_numIdELi16ELi32ELi8ELb1ELb0ELc78ELc85EKS1_S1_EviT_T0_PT8_S3_lS6_S3_lS4_PT9_S3_li,@function
_ZL34rocblas_syrkx_herkx_general_kernelIl19rocblas_complex_numIdELi16ELi32ELi8ELb1ELb0ELc78ELc85EKS1_S1_EviT_T0_PT8_S3_lS6_S3_lS4_PT9_S3_li: ; @_ZL34rocblas_syrkx_herkx_general_kernelIl19rocblas_complex_numIdELi16ELi32ELi8ELb1ELb0ELc78ELc85EKS1_S1_EviT_T0_PT8_S3_lS6_S3_lS4_PT9_S3_li
; %bb.0:
	s_clause 0x1
	s_load_b512 s[16:31], s[0:1], 0x8
	s_load_b32 s10, s[0:1], 0x0
	v_mov_b32_e32 v21, 0
	v_dual_mov_b32 v22, 0 :: v_dual_and_b32 v25, 0x3ff, v0
	v_bfe_u32 v26, v0, 10, 10
	s_delay_alu instid0(VALU_DEP_3) | instskip(NEXT) | instid1(VALU_DEP_3)
	v_mov_b32_e32 v17, v21
	v_dual_mov_b32 v19, v21 :: v_dual_mov_b32 v20, v22
	v_dual_mov_b32 v24, v22 :: v_dual_mov_b32 v23, v21
	;; [unrolled: 1-line block ×6, first 2 shown]
	v_mov_b32_e32 v10, v22
	s_waitcnt lgkmcnt(0)
	v_cmp_lt_i64_e64 s2, s[16:17], 1
	s_lshl_b32 s11, s13, 5
	s_lshl_b32 s12, s14, 5
	s_mov_b64 s[4:5], 0
	s_delay_alu instid0(VALU_DEP_1)
	s_and_b32 vcc_lo, exec_lo, s2
	s_cbranch_vccnz .LBB1222_9
; %bb.1:
	v_lshl_add_u32 v3, v26, 4, v25
	v_dual_mov_b32 v0, 0 :: v_dual_and_b32 v27, 7, v25
	s_load_b64 s[6:7], s[0:1], 0x48
	s_mul_i32 s3, s27, s15
	s_delay_alu instid0(VALU_DEP_2) | instskip(SKIP_3) | instid1(VALU_DEP_4)
	v_lshrrev_b32_e32 v28, 5, v3
	v_lshrrev_b32_e32 v7, 3, v3
	v_and_b32_e32 v8, 31, v3
	v_mad_u64_u32 v[3:4], null, s30, v27, 0
	v_mad_u64_u32 v[1:2], null, s24, v28, 0
	v_lshlrev_b32_e32 v9, 4, v27
	s_mul_hi_u32 s8, s26, s15
	s_mul_i32 s2, s26, s15
	s_add_i32 s3, s8, s3
	v_lshl_add_u32 v30, v26, 7, 0x1000
	s_lshl_b64 s[8:9], s[2:3], 4
	s_delay_alu instid0(VALU_DEP_3)
	v_mad_u64_u32 v[5:6], null, s25, v28, v[2:3]
	v_or_b32_e32 v2, s11, v8
	v_lshlrev_b32_e32 v29, 4, v25
	v_add_nc_u32_e32 v6, s12, v7
	v_lshl_or_b32 v7, v7, 7, v9
	s_waitcnt lgkmcnt(0)
	s_mul_i32 s7, s7, s15
	v_cmp_gt_i32_e32 vcc_lo, s10, v2
	v_mov_b32_e32 v2, v5
	v_mad_u64_u32 v[9:10], null, s31, v27, v[4:5]
	v_lshlrev_b32_e32 v11, 4, v8
	v_add_nc_u32_e32 v8, s11, v8
	s_delay_alu instid0(VALU_DEP_4)
	v_lshlrev_b64 v[1:2], 4, v[1:2]
	v_add_nc_u32_e32 v32, 0x1000, v7
	v_ashrrev_i32_e32 v7, 31, v6
	s_mul_hi_u32 s13, s6, s15
	v_mov_b32_e32 v4, v9
	s_add_i32 s7, s13, s7
	v_add_co_u32 v5, s3, v1, s8
	s_delay_alu instid0(VALU_DEP_1) | instskip(NEXT) | instid1(VALU_DEP_3)
	v_add_co_ci_u32_e64 v10, s3, s9, v2, s3
	v_lshlrev_b64 v[1:2], 4, v[3:4]
	s_mul_i32 s6, s6, s15
	v_ashrrev_i32_e32 v9, 31, v8
	s_lshl_b64 s[6:7], s[6:7], 4
	v_lshlrev_b64 v[3:4], 4, v[6:7]
	v_cmp_gt_i32_e64 s2, s10, v6
	v_add_co_u32 v6, s3, s6, v1
	s_delay_alu instid0(VALU_DEP_1) | instskip(SKIP_1) | instid1(VALU_DEP_3)
	v_add_co_ci_u32_e64 v7, s3, s7, v2, s3
	v_lshlrev_b64 v[1:2], 4, v[8:9]
	v_add_co_u32 v3, s3, v6, v3
	s_delay_alu instid0(VALU_DEP_1) | instskip(SKIP_1) | instid1(VALU_DEP_4)
	v_add_co_ci_u32_e64 v4, s3, v7, v4, s3
	v_lshl_or_b32 v31, v28, 9, v11
	v_add_co_u32 v1, s3, v5, v1
	s_delay_alu instid0(VALU_DEP_1)
	v_add_co_ci_u32_e64 v2, s3, v10, v2, s3
	v_add_co_u32 v3, s3, v3, s28
	v_mov_b32_e32 v9, 0
	v_add_co_ci_u32_e64 v4, s3, s29, v4, s3
	v_mov_b32_e32 v10, 0
	v_add_co_u32 v5, s3, s22, v1
	s_delay_alu instid0(VALU_DEP_1) | instskip(SKIP_1) | instid1(VALU_DEP_4)
	v_add_co_ci_u32_e64 v6, s3, s23, v2, s3
	v_add_co_u32 v7, s3, v3, 8
	v_mov_b32_e32 v12, v10
	v_mov_b32_e32 v16, v10
	;; [unrolled: 1-line block ×6, first 2 shown]
	v_dual_mov_b32 v22, v10 :: v_dual_mov_b32 v21, v9
	v_add_co_ci_u32_e64 v8, s3, 0, v4, s3
	v_mov_b32_e32 v11, v9
	v_mov_b32_e32 v15, v9
	;; [unrolled: 1-line block ×6, first 2 shown]
	s_lshl_b64 s[6:7], s[24:25], 7
	s_lshl_b64 s[8:9], s[30:31], 7
	s_xor_b32 s3, vcc_lo, -1
	s_branch .LBB1222_3
.LBB1222_2:                             ;   in Loop: Header=BB1222_3 Depth=1
	s_or_b32 exec_lo, exec_lo, s13
	s_waitcnt vmcnt(0)
	ds_store_b128 v32, v[1:4]
	s_waitcnt lgkmcnt(0)
	s_barrier
	buffer_gl0_inv
	ds_load_b128 v[1:4], v30
	ds_load_b128 v[33:36], v29
	ds_load_b128 v[37:40], v29 offset:256
	ds_load_b128 v[41:44], v30 offset:2048
	;; [unrolled: 1-line block ×9, first 2 shown]
	s_add_u32 s4, s4, 8
	s_addc_u32 s5, s5, 0
	v_add_co_u32 v5, vcc_lo, v5, s6
	v_cmp_ge_i64_e64 s13, s[4:5], s[16:17]
	v_add_co_ci_u32_e32 v6, vcc_lo, s7, v6, vcc_lo
	v_add_co_u32 v7, vcc_lo, v7, s8
	v_add_co_ci_u32_e32 v8, vcc_lo, s9, v8, vcc_lo
	s_delay_alu instid0(VALU_DEP_4)
	s_and_b32 vcc_lo, exec_lo, s13
	s_waitcnt lgkmcnt(9)
	v_mul_f64 v[73:74], v[3:4], v[35:36]
	v_mul_f64 v[75:76], v[1:2], v[35:36]
	s_waitcnt lgkmcnt(8)
	v_mul_f64 v[77:78], v[3:4], v[39:40]
	v_mul_f64 v[79:80], v[1:2], v[39:40]
	;; [unrolled: 3-line block ×3, first 2 shown]
	v_mul_f64 v[83:84], v[43:44], v[39:40]
	v_mul_f64 v[39:40], v[41:42], v[39:40]
	s_waitcnt lgkmcnt(4)
	v_mul_f64 v[85:86], v[47:48], v[55:56]
	v_mul_f64 v[87:88], v[45:46], v[55:56]
	s_waitcnt lgkmcnt(3)
	v_mul_f64 v[89:90], v[47:48], v[59:60]
	v_mul_f64 v[91:92], v[45:46], v[59:60]
	;; [unrolled: 1-line block ×6, first 2 shown]
	v_fma_f64 v[97:98], v[1:2], v[33:34], -v[73:74]
	v_fma_f64 v[99:100], v[3:4], v[33:34], v[75:76]
	ds_load_b128 v[73:76], v30 offset:32
	v_fma_f64 v[77:78], v[1:2], v[37:38], -v[77:78]
	v_fma_f64 v[79:80], v[3:4], v[37:38], v[79:80]
	v_fma_f64 v[81:82], v[41:42], v[33:34], -v[81:82]
	v_fma_f64 v[101:102], v[43:44], v[33:34], v[35:36]
	;; [unrolled: 2-line block ×3, first 2 shown]
	s_waitcnt lgkmcnt(1)
	v_mul_f64 v[113:114], v[71:72], v[63:64]
	v_fma_f64 v[85:86], v[45:46], v[53:54], -v[85:86]
	v_fma_f64 v[87:88], v[47:48], v[53:54], v[87:88]
	v_fma_f64 v[45:46], v[45:46], v[57:58], -v[89:90]
	v_fma_f64 v[47:48], v[47:48], v[57:58], v[91:92]
	v_mul_f64 v[89:90], v[71:72], v[67:68]
	v_fma_f64 v[91:92], v[49:50], v[53:54], -v[93:94]
	v_fma_f64 v[53:54], v[51:52], v[53:54], v[55:56]
	v_fma_f64 v[49:50], v[49:50], v[57:58], -v[95:96]
	v_fma_f64 v[51:52], v[51:52], v[57:58], v[59:60]
	ds_load_b128 v[1:4], v30 offset:48
	ds_load_b128 v[33:36], v30 offset:2096
	;; [unrolled: 1-line block ×4, first 2 shown]
	s_waitcnt lgkmcnt(4)
	v_mul_f64 v[105:106], v[75:76], v[63:64]
	v_mul_f64 v[107:108], v[73:74], v[63:64]
	;; [unrolled: 1-line block ×6, first 2 shown]
	s_waitcnt lgkmcnt(1)
	v_mul_f64 v[93:94], v[1:2], v[39:40]
	v_add_f64 v[21:22], v[21:22], v[97:98]
	v_add_f64 v[23:24], v[23:24], v[99:100]
	;; [unrolled: 1-line block ×8, first 2 shown]
	v_mul_f64 v[83:84], v[3:4], v[39:40]
	s_waitcnt lgkmcnt(0)
	v_mul_f64 v[95:96], v[3:4], v[43:44]
	v_mul_f64 v[97:98], v[1:2], v[43:44]
	;; [unrolled: 1-line block ×6, first 2 shown]
	ds_load_b128 v[9:12], v29 offset:2048
	ds_load_b128 v[13:16], v29 offset:2304
	;; [unrolled: 1-line block ×3, first 2 shown]
	v_fma_f64 v[105:106], v[73:74], v[61:62], -v[105:106]
	v_fma_f64 v[107:108], v[75:76], v[61:62], v[107:108]
	v_fma_f64 v[73:74], v[73:74], v[65:66], -v[109:110]
	v_fma_f64 v[75:76], v[75:76], v[65:66], v[111:112]
	;; [unrolled: 2-line block ×4, first 2 shown]
	s_waitcnt lgkmcnt(0)
	v_mul_f64 v[113:114], v[19:20], v[11:12]
	v_mul_f64 v[115:116], v[19:20], v[15:16]
	v_fma_f64 v[93:94], v[3:4], v[37:38], v[93:94]
	v_add_f64 v[67:68], v[21:22], v[85:86]
	v_add_f64 v[69:70], v[23:24], v[87:88]
	;; [unrolled: 1-line block ×8, first 2 shown]
	ds_load_b128 v[21:24], v30 offset:64
	v_fma_f64 v[83:84], v[1:2], v[37:38], -v[83:84]
	v_fma_f64 v[95:96], v[1:2], v[41:42], -v[95:96]
	v_fma_f64 v[97:98], v[3:4], v[41:42], v[97:98]
	v_fma_f64 v[99:100], v[33:34], v[37:38], -v[99:100]
	v_fma_f64 v[117:118], v[35:36], v[37:38], v[39:40]
	;; [unrolled: 2-line block ×3, first 2 shown]
	ds_load_b128 v[43:46], v30 offset:80
	ds_load_b128 v[47:50], v30 offset:2128
	;; [unrolled: 1-line block ×7, first 2 shown]
	s_waitcnt lgkmcnt(7)
	v_mul_f64 v[87:88], v[23:24], v[11:12]
	v_mul_f64 v[89:90], v[21:22], v[11:12]
	;; [unrolled: 1-line block ×6, first 2 shown]
	s_waitcnt lgkmcnt(3)
	v_mul_f64 v[103:104], v[49:50], v[57:58]
	v_add_f64 v[67:68], v[67:68], v[105:106]
	v_add_f64 v[69:70], v[69:70], v[107:108]
	;; [unrolled: 1-line block ×8, first 2 shown]
	v_mul_f64 v[75:76], v[45:46], v[53:54]
	v_mul_f64 v[77:78], v[43:44], v[53:54]
	;; [unrolled: 1-line block ×7, first 2 shown]
	v_fma_f64 v[109:110], v[17:18], v[9:10], -v[113:114]
	v_fma_f64 v[113:114], v[17:18], v[13:14], -v[115:116]
	;; [unrolled: 1-line block ×3, first 2 shown]
	v_fma_f64 v[89:90], v[23:24], v[9:10], v[89:90]
	v_fma_f64 v[91:92], v[21:22], v[13:14], -v[91:92]
	v_fma_f64 v[107:108], v[23:24], v[13:14], v[111:112]
	v_fma_f64 v[111:112], v[19:20], v[9:10], v[11:12]
	v_fma_f64 v[115:116], v[19:20], v[13:14], v[15:16]
	ds_load_b128 v[9:12], v30 offset:96
	v_add_f64 v[67:68], v[67:68], v[83:84]
	v_add_f64 v[69:70], v[69:70], v[93:94]
	;; [unrolled: 1-line block ×8, first 2 shown]
	s_waitcnt lgkmcnt(1)
	v_mul_f64 v[99:100], v[39:40], v[3:4]
	v_fma_f64 v[75:76], v[43:44], v[51:52], -v[75:76]
	v_fma_f64 v[77:78], v[45:46], v[51:52], v[77:78]
	v_fma_f64 v[43:44], v[43:44], v[55:56], -v[79:80]
	v_fma_f64 v[45:46], v[45:46], v[55:56], v[81:82]
	v_mul_f64 v[79:80], v[39:40], v[35:36]
	v_fma_f64 v[81:82], v[47:48], v[51:52], -v[85:86]
	v_fma_f64 v[51:52], v[49:50], v[51:52], v[53:54]
	s_waitcnt lgkmcnt(0)
	v_mul_f64 v[65:66], v[11:12], v[3:4]
	v_mul_f64 v[93:94], v[9:10], v[3:4]
	;; [unrolled: 1-line block ×6, first 2 shown]
	v_fma_f64 v[47:48], v[47:48], v[55:56], -v[103:104]
	v_fma_f64 v[49:50], v[49:50], v[55:56], v[105:106]
	ds_load_b128 v[13:16], v30 offset:112
	ds_load_b128 v[17:20], v30 offset:2160
	;; [unrolled: 1-line block ×4, first 2 shown]
	s_waitcnt lgkmcnt(0)
	s_barrier
	buffer_gl0_inv
	v_add_f64 v[53:54], v[67:68], v[87:88]
	v_add_f64 v[55:56], v[69:70], v[89:90]
	;; [unrolled: 1-line block ×8, first 2 shown]
	v_mul_f64 v[73:74], v[15:16], v[23:24]
	v_mul_f64 v[83:84], v[13:14], v[23:24]
	;; [unrolled: 1-line block ×8, first 2 shown]
	v_fma_f64 v[65:66], v[9:10], v[1:2], -v[65:66]
	v_fma_f64 v[93:94], v[11:12], v[1:2], v[93:94]
	v_fma_f64 v[9:10], v[9:10], v[33:34], -v[95:96]
	v_fma_f64 v[11:12], v[11:12], v[33:34], v[97:98]
	;; [unrolled: 2-line block ×4, first 2 shown]
	v_add_f64 v[35:36], v[53:54], v[75:76]
	v_add_f64 v[37:38], v[55:56], v[77:78]
	;; [unrolled: 1-line block ×8, first 2 shown]
	v_fma_f64 v[49:50], v[13:14], v[21:22], -v[73:74]
	v_fma_f64 v[53:54], v[15:16], v[21:22], v[83:84]
	v_fma_f64 v[13:14], v[13:14], v[57:58], -v[85:86]
	v_fma_f64 v[15:16], v[15:16], v[57:58], v[87:88]
	;; [unrolled: 2-line block ×4, first 2 shown]
	v_add_f64 v[17:18], v[35:36], v[65:66]
	v_add_f64 v[19:20], v[37:38], v[93:94]
	;; [unrolled: 1-line block ×16, first 2 shown]
	s_cbranch_vccnz .LBB1222_9
.LBB1222_3:                             ; =>This Inner Loop Header: Depth=1
	v_add_co_u32 v1, s13, v28, s4
	s_delay_alu instid0(VALU_DEP_1) | instskip(NEXT) | instid1(VALU_DEP_1)
	v_add_co_ci_u32_e64 v2, null, 0, s5, s13
	v_cmp_le_i64_e32 vcc_lo, s[16:17], v[1:2]
	s_or_b32 s13, s3, vcc_lo
	s_delay_alu instid0(SALU_CYCLE_1) | instskip(NEXT) | instid1(SALU_CYCLE_1)
	s_and_saveexec_b32 s14, s13
	s_xor_b32 s13, exec_lo, s14
	s_cbranch_execz .LBB1222_5
; %bb.4:                                ;   in Loop: Header=BB1222_3 Depth=1
	v_mov_b32_e32 v1, v0
	v_mov_b32_e32 v2, v0
	;; [unrolled: 1-line block ×3, first 2 shown]
	ds_store_b128 v31, v[0:3]
.LBB1222_5:                             ;   in Loop: Header=BB1222_3 Depth=1
	s_and_not1_saveexec_b32 s13, s13
	s_cbranch_execz .LBB1222_7
; %bb.6:                                ;   in Loop: Header=BB1222_3 Depth=1
	global_load_b128 v[1:4], v[5:6], off
	s_waitcnt vmcnt(0)
	ds_store_2addr_b64 v31, v[1:2], v[3:4] offset1:1
.LBB1222_7:                             ;   in Loop: Header=BB1222_3 Depth=1
	s_or_b32 exec_lo, exec_lo, s13
	v_add_co_u32 v3, s13, v27, s4
	s_delay_alu instid0(VALU_DEP_1) | instskip(SKIP_2) | instid1(VALU_DEP_3)
	v_add_co_ci_u32_e64 v4, null, 0, s5, s13
	v_mov_b32_e32 v1, 0
	v_mov_b32_e32 v2, 0
	v_cmp_gt_i64_e32 vcc_lo, s[16:17], v[3:4]
	s_delay_alu instid0(VALU_DEP_2) | instskip(SKIP_1) | instid1(SALU_CYCLE_1)
	v_dual_mov_b32 v4, v2 :: v_dual_mov_b32 v3, v1
	s_and_b32 s14, vcc_lo, s2
	s_and_saveexec_b32 s13, s14
	s_cbranch_execz .LBB1222_2
; %bb.8:                                ;   in Loop: Header=BB1222_3 Depth=1
	global_load_b128 v[1:4], v[7:8], off offset:-8
	s_branch .LBB1222_2
.LBB1222_9:
	s_load_b128 s[4:7], s[0:1], 0x60
	v_add_nc_u32_e32 v4, s12, v26
	s_load_b64 s[0:1], s[0:1], 0x70
	s_delay_alu instid0(VALU_DEP_1) | instskip(SKIP_2) | instid1(VALU_DEP_2)
	v_ashrrev_i32_e32 v0, 31, v4
	v_cmp_gt_i32_e32 vcc_lo, s10, v4
	s_waitcnt lgkmcnt(0)
	v_mul_lo_u32 v3, v0, s6
	v_mul_lo_u32 v5, v4, s7
	v_mad_u64_u32 v[1:2], null, v4, s6, 0
	s_mul_i32 s1, s15, s1
	s_mul_hi_u32 s2, s15, s0
	s_mul_i32 s0, s15, s0
	s_add_i32 s1, s2, s1
	v_add_nc_u32_e32 v0, s11, v25
	s_lshl_b64 s[2:3], s[0:1], 4
	s_delay_alu instid0(VALU_DEP_2) | instskip(SKIP_3) | instid1(VALU_DEP_2)
	v_add3_u32 v2, v2, v5, v3
	s_add_u32 s2, s4, s2
	s_addc_u32 s3, s5, s3
	v_cmp_le_i32_e64 s0, v0, v4
	v_lshlrev_b64 v[1:2], 4, v[1:2]
	s_delay_alu instid0(VALU_DEP_2) | instskip(NEXT) | instid1(VALU_DEP_1)
	s_and_b32 s0, vcc_lo, s0
	v_add_co_u32 v5, s1, s2, v1
	s_delay_alu instid0(VALU_DEP_1)
	v_add_co_ci_u32_e64 v6, s1, s3, v2, s1
	s_and_saveexec_b32 s1, s0
	s_cbranch_execz .LBB1222_11
; %bb.10:
	v_mul_f64 v[1:2], s[20:21], v[23:24]
	v_mul_f64 v[7:8], s[18:19], v[23:24]
	s_delay_alu instid0(VALU_DEP_2) | instskip(NEXT) | instid1(VALU_DEP_2)
	v_fma_f64 v[23:24], s[18:19], v[21:22], -v[1:2]
	v_fma_f64 v[25:26], s[20:21], v[21:22], v[7:8]
	v_ashrrev_i32_e32 v1, 31, v0
	s_delay_alu instid0(VALU_DEP_1) | instskip(NEXT) | instid1(VALU_DEP_1)
	v_lshlrev_b64 v[1:2], 4, v[0:1]
	v_add_co_u32 v1, s0, v5, v1
	s_delay_alu instid0(VALU_DEP_1)
	v_add_co_ci_u32_e64 v2, s0, v6, v2, s0
	global_store_b128 v[1:2], v[23:26], off
.LBB1222_11:
	s_or_b32 exec_lo, exec_lo, s1
	v_add_nc_u32_e32 v2, 16, v0
	s_delay_alu instid0(VALU_DEP_1) | instskip(NEXT) | instid1(VALU_DEP_1)
	v_cmp_le_i32_e64 s0, v2, v4
	s_and_b32 s1, vcc_lo, s0
	s_delay_alu instid0(SALU_CYCLE_1)
	s_and_saveexec_b32 s0, s1
	s_cbranch_execz .LBB1222_13
; %bb.12:
	v_mul_f64 v[7:8], s[20:21], v[19:20]
	v_mul_f64 v[21:22], s[18:19], v[19:20]
	v_ashrrev_i32_e32 v3, 31, v2
	s_delay_alu instid0(VALU_DEP_3) | instskip(NEXT) | instid1(VALU_DEP_3)
	v_fma_f64 v[19:20], s[18:19], v[17:18], -v[7:8]
	v_fma_f64 v[21:22], s[20:21], v[17:18], v[21:22]
	s_delay_alu instid0(VALU_DEP_3) | instskip(NEXT) | instid1(VALU_DEP_1)
	v_lshlrev_b64 v[7:8], 4, v[2:3]
	v_add_co_u32 v5, vcc_lo, v5, v7
	s_delay_alu instid0(VALU_DEP_2)
	v_add_co_ci_u32_e32 v6, vcc_lo, v6, v8, vcc_lo
	global_store_b128 v[5:6], v[19:22], off
.LBB1222_13:
	s_or_b32 exec_lo, exec_lo, s0
	v_add_nc_u32_e32 v3, 16, v4
	s_delay_alu instid0(VALU_DEP_1) | instskip(SKIP_3) | instid1(VALU_DEP_4)
	v_ashrrev_i32_e32 v1, 31, v3
	v_mul_lo_u32 v6, v3, s7
	v_mad_u64_u32 v[4:5], null, v3, s6, 0
	v_cmp_gt_i32_e32 vcc_lo, s10, v3
	v_mul_lo_u32 v1, v1, s6
	v_cmp_le_i32_e64 s0, v0, v3
	s_delay_alu instid0(VALU_DEP_1) | instskip(NEXT) | instid1(VALU_DEP_2)
	s_and_b32 s0, vcc_lo, s0
	v_add3_u32 v5, v5, v6, v1
	s_delay_alu instid0(VALU_DEP_1) | instskip(NEXT) | instid1(VALU_DEP_1)
	v_lshlrev_b64 v[4:5], 4, v[4:5]
	v_add_co_u32 v4, s1, s2, v4
	s_delay_alu instid0(VALU_DEP_1)
	v_add_co_ci_u32_e64 v5, s1, s3, v5, s1
	s_and_saveexec_b32 s1, s0
	s_cbranch_execz .LBB1222_15
; %bb.14:
	v_mul_f64 v[6:7], s[20:21], v[15:16]
	v_mul_f64 v[17:18], s[18:19], v[15:16]
	v_ashrrev_i32_e32 v1, 31, v0
	s_delay_alu instid0(VALU_DEP_1) | instskip(NEXT) | instid1(VALU_DEP_1)
	v_lshlrev_b64 v[0:1], 4, v[0:1]
	v_add_co_u32 v0, s0, v4, v0
	s_delay_alu instid0(VALU_DEP_1)
	v_add_co_ci_u32_e64 v1, s0, v5, v1, s0
	v_fma_f64 v[15:16], s[18:19], v[13:14], -v[6:7]
	v_fma_f64 v[17:18], s[20:21], v[13:14], v[17:18]
	global_store_b128 v[0:1], v[15:18], off
.LBB1222_15:
	s_or_b32 exec_lo, exec_lo, s1
	v_cmp_le_i32_e64 s0, v2, v3
	s_delay_alu instid0(VALU_DEP_1) | instskip(NEXT) | instid1(SALU_CYCLE_1)
	s_and_b32 s0, vcc_lo, s0
	s_and_saveexec_b32 s1, s0
	s_cbranch_execz .LBB1222_17
; %bb.16:
	v_mul_f64 v[0:1], s[20:21], v[9:10]
	v_mul_f64 v[8:9], s[18:19], v[9:10]
	v_ashrrev_i32_e32 v3, 31, v2
	s_delay_alu instid0(VALU_DEP_3) | instskip(NEXT) | instid1(VALU_DEP_3)
	v_fma_f64 v[6:7], s[18:19], v[11:12], -v[0:1]
	v_fma_f64 v[8:9], s[20:21], v[11:12], v[8:9]
	s_delay_alu instid0(VALU_DEP_3) | instskip(NEXT) | instid1(VALU_DEP_1)
	v_lshlrev_b64 v[0:1], 4, v[2:3]
	v_add_co_u32 v0, vcc_lo, v4, v0
	s_delay_alu instid0(VALU_DEP_2)
	v_add_co_ci_u32_e32 v1, vcc_lo, v5, v1, vcc_lo
	global_store_b128 v[0:1], v[6:9], off
.LBB1222_17:
	s_nop 0
	s_sendmsg sendmsg(MSG_DEALLOC_VGPRS)
	s_endpgm
	.section	.rodata,"a",@progbits
	.p2align	6, 0x0
	.amdhsa_kernel _ZL34rocblas_syrkx_herkx_general_kernelIl19rocblas_complex_numIdELi16ELi32ELi8ELb1ELb0ELc78ELc85EKS1_S1_EviT_T0_PT8_S3_lS6_S3_lS4_PT9_S3_li
		.amdhsa_group_segment_fixed_size 8192
		.amdhsa_private_segment_fixed_size 0
		.amdhsa_kernarg_size 124
		.amdhsa_user_sgpr_count 13
		.amdhsa_user_sgpr_dispatch_ptr 0
		.amdhsa_user_sgpr_queue_ptr 0
		.amdhsa_user_sgpr_kernarg_segment_ptr 1
		.amdhsa_user_sgpr_dispatch_id 0
		.amdhsa_user_sgpr_private_segment_size 0
		.amdhsa_wavefront_size32 1
		.amdhsa_uses_dynamic_stack 0
		.amdhsa_enable_private_segment 0
		.amdhsa_system_sgpr_workgroup_id_x 1
		.amdhsa_system_sgpr_workgroup_id_y 1
		.amdhsa_system_sgpr_workgroup_id_z 1
		.amdhsa_system_sgpr_workgroup_info 0
		.amdhsa_system_vgpr_workitem_id 1
		.amdhsa_next_free_vgpr 119
		.amdhsa_next_free_sgpr 32
		.amdhsa_reserve_vcc 1
		.amdhsa_float_round_mode_32 0
		.amdhsa_float_round_mode_16_64 0
		.amdhsa_float_denorm_mode_32 3
		.amdhsa_float_denorm_mode_16_64 3
		.amdhsa_dx10_clamp 1
		.amdhsa_ieee_mode 1
		.amdhsa_fp16_overflow 0
		.amdhsa_workgroup_processor_mode 1
		.amdhsa_memory_ordered 1
		.amdhsa_forward_progress 0
		.amdhsa_shared_vgpr_count 0
		.amdhsa_exception_fp_ieee_invalid_op 0
		.amdhsa_exception_fp_denorm_src 0
		.amdhsa_exception_fp_ieee_div_zero 0
		.amdhsa_exception_fp_ieee_overflow 0
		.amdhsa_exception_fp_ieee_underflow 0
		.amdhsa_exception_fp_ieee_inexact 0
		.amdhsa_exception_int_div_zero 0
	.end_amdhsa_kernel
	.section	.text._ZL34rocblas_syrkx_herkx_general_kernelIl19rocblas_complex_numIdELi16ELi32ELi8ELb1ELb0ELc78ELc85EKS1_S1_EviT_T0_PT8_S3_lS6_S3_lS4_PT9_S3_li,"axG",@progbits,_ZL34rocblas_syrkx_herkx_general_kernelIl19rocblas_complex_numIdELi16ELi32ELi8ELb1ELb0ELc78ELc85EKS1_S1_EviT_T0_PT8_S3_lS6_S3_lS4_PT9_S3_li,comdat
.Lfunc_end1222:
	.size	_ZL34rocblas_syrkx_herkx_general_kernelIl19rocblas_complex_numIdELi16ELi32ELi8ELb1ELb0ELc78ELc85EKS1_S1_EviT_T0_PT8_S3_lS6_S3_lS4_PT9_S3_li, .Lfunc_end1222-_ZL34rocblas_syrkx_herkx_general_kernelIl19rocblas_complex_numIdELi16ELi32ELi8ELb1ELb0ELc78ELc85EKS1_S1_EviT_T0_PT8_S3_lS6_S3_lS4_PT9_S3_li
                                        ; -- End function
	.section	.AMDGPU.csdata,"",@progbits
; Kernel info:
; codeLenInByte = 3356
; NumSgprs: 34
; NumVgprs: 119
; ScratchSize: 0
; MemoryBound: 1
; FloatMode: 240
; IeeeMode: 1
; LDSByteSize: 8192 bytes/workgroup (compile time only)
; SGPRBlocks: 4
; VGPRBlocks: 14
; NumSGPRsForWavesPerEU: 34
; NumVGPRsForWavesPerEU: 119
; Occupancy: 12
; WaveLimiterHint : 0
; COMPUTE_PGM_RSRC2:SCRATCH_EN: 0
; COMPUTE_PGM_RSRC2:USER_SGPR: 13
; COMPUTE_PGM_RSRC2:TRAP_HANDLER: 0
; COMPUTE_PGM_RSRC2:TGID_X_EN: 1
; COMPUTE_PGM_RSRC2:TGID_Y_EN: 1
; COMPUTE_PGM_RSRC2:TGID_Z_EN: 1
; COMPUTE_PGM_RSRC2:TIDIG_COMP_CNT: 1
	.section	.text._ZL34rocblas_syrkx_herkx_general_kernelIl19rocblas_complex_numIdELi16ELi32ELi8ELb0ELb0ELc84ELc76EKS1_S1_EviT_T0_PT8_S3_lS6_S3_lS4_PT9_S3_li,"axG",@progbits,_ZL34rocblas_syrkx_herkx_general_kernelIl19rocblas_complex_numIdELi16ELi32ELi8ELb0ELb0ELc84ELc76EKS1_S1_EviT_T0_PT8_S3_lS6_S3_lS4_PT9_S3_li,comdat
	.globl	_ZL34rocblas_syrkx_herkx_general_kernelIl19rocblas_complex_numIdELi16ELi32ELi8ELb0ELb0ELc84ELc76EKS1_S1_EviT_T0_PT8_S3_lS6_S3_lS4_PT9_S3_li ; -- Begin function _ZL34rocblas_syrkx_herkx_general_kernelIl19rocblas_complex_numIdELi16ELi32ELi8ELb0ELb0ELc84ELc76EKS1_S1_EviT_T0_PT8_S3_lS6_S3_lS4_PT9_S3_li
	.p2align	8
	.type	_ZL34rocblas_syrkx_herkx_general_kernelIl19rocblas_complex_numIdELi16ELi32ELi8ELb0ELb0ELc84ELc76EKS1_S1_EviT_T0_PT8_S3_lS6_S3_lS4_PT9_S3_li,@function
_ZL34rocblas_syrkx_herkx_general_kernelIl19rocblas_complex_numIdELi16ELi32ELi8ELb0ELb0ELc84ELc76EKS1_S1_EviT_T0_PT8_S3_lS6_S3_lS4_PT9_S3_li: ; @_ZL34rocblas_syrkx_herkx_general_kernelIl19rocblas_complex_numIdELi16ELi32ELi8ELb0ELb0ELc84ELc76EKS1_S1_EviT_T0_PT8_S3_lS6_S3_lS4_PT9_S3_li
; %bb.0:
	s_clause 0x3
	s_load_b512 s[16:31], s[0:1], 0x8
	s_load_b32 s12, s[0:1], 0x0
	s_load_b128 s[36:39], s[0:1], 0x68
	s_load_b256 s[4:11], s[0:1], 0x48
	v_mov_b32_e32 v20, 0
	v_dual_mov_b32 v21, 0 :: v_dual_and_b32 v24, 0x3ff, v0
	v_bfe_u32 v25, v0, 10, 10
	s_delay_alu instid0(VALU_DEP_3) | instskip(NEXT) | instid1(VALU_DEP_3)
	v_mov_b32_e32 v12, v20
	v_dual_mov_b32 v16, v20 :: v_dual_mov_b32 v17, v21
	v_dual_mov_b32 v23, v21 :: v_dual_mov_b32 v22, v20
	;; [unrolled: 1-line block ×5, first 2 shown]
	v_mov_b32_e32 v9, v21
	s_waitcnt lgkmcnt(0)
	v_cmp_lt_i64_e64 s0, s[16:17], 1
	v_dual_mov_b32 v10, v20 :: v_dual_mov_b32 v11, v21
	s_lshl_b32 s13, s13, 5
	s_lshl_b32 s14, s14, 5
	s_mov_b64 s[2:3], 0
	s_delay_alu instid0(VALU_DEP_2)
	s_and_b32 vcc_lo, exec_lo, s0
	s_cbranch_vccnz .LBB1223_11
; %bb.1:
	v_lshl_add_u32 v1, v25, 4, v24
	v_dual_mov_b32 v0, 0 :: v_dual_lshlrev_b32 v27, 4, v24
	v_and_b32_e32 v26, 7, v24
	s_mul_i32 s1, s27, s15
	s_delay_alu instid0(VALU_DEP_3)
	v_and_b32_e32 v3, 31, v1
	v_lshrrev_b32_e32 v29, 5, v1
	v_lshrrev_b32_e32 v5, 3, v1
	s_mul_hi_u32 s27, s26, s15
	s_mul_i32 s0, s26, s15
	v_or_b32_e32 v10, s13, v3
	v_lshlrev_b32_e32 v11, 4, v3
	s_add_i32 s1, s27, s1
	v_lshl_add_u32 v28, v25, 7, 0x1000
	s_delay_alu instid0(VALU_DEP_3) | instskip(NEXT) | instid1(VALU_DEP_3)
	v_cmp_gt_i32_e32 vcc_lo, s12, v10
	v_lshl_or_b32 v30, v29, 9, v11
	v_mov_b32_e32 v10, 0
	v_dual_mov_b32 v11, 0 :: v_dual_add_nc_u32 v4, s13, v3
	v_add_nc_u32_e32 v7, s14, v5
	v_lshlrev_b32_e32 v9, 4, v26
	s_delay_alu instid0(VALU_DEP_3) | instskip(NEXT) | instid1(VALU_DEP_4)
	v_mov_b32_e32 v19, v11
	v_ashrrev_i32_e32 v6, 31, v4
	v_mul_lo_u32 v8, s25, v4
	v_mad_u64_u32 v[1:2], null, s24, v4, 0
	v_ashrrev_i32_e32 v12, 31, v7
	s_delay_alu instid0(VALU_DEP_4)
	v_mul_lo_u32 v6, s24, v6
	v_mul_lo_u32 v13, s31, v7
	v_mad_u64_u32 v[3:4], null, s30, v7, 0
	v_mov_b32_e32 v18, v10
	v_lshl_or_b32 v5, v5, 7, v9
	s_lshl_b64 s[24:25], s[0:1], 4
	v_mov_b32_e32 v17, v11
	v_add3_u32 v2, v2, v6, v8
	v_mul_lo_u32 v6, s30, v12
	v_add_nc_u32_e32 v31, 0x1000, v5
	v_mov_b32_e32 v15, v11
	v_dual_mov_b32 v23, v11 :: v_dual_mov_b32 v22, v10
	v_lshlrev_b64 v[1:2], 4, v[1:2]
	v_dual_mov_b32 v21, v11 :: v_dual_mov_b32 v14, v10
	v_add3_u32 v4, v4, v6, v13
	v_dual_mov_b32 v16, v10 :: v_dual_mov_b32 v13, v11
	s_delay_alu instid0(VALU_DEP_4) | instskip(NEXT) | instid1(VALU_DEP_1)
	v_add_co_u32 v5, s1, v1, s24
	v_add_co_ci_u32_e64 v6, s1, s25, v2, s1
	s_mul_i32 s1, s5, s15
	s_mul_hi_u32 s5, s4, s15
	v_lshlrev_b64 v[1:2], 4, v[3:4]
	s_add_i32 s5, s5, s1
	s_mul_i32 s4, s4, s15
	v_lshlrev_b32_e32 v3, 4, v29
	s_lshl_b64 s[4:5], s[4:5], 4
	v_mov_b32_e32 v12, v10
	v_add_co_u32 v1, s1, v1, s4
	s_delay_alu instid0(VALU_DEP_1) | instskip(SKIP_1) | instid1(VALU_DEP_1)
	v_add_co_ci_u32_e64 v2, s1, s5, v2, s1
	v_add_co_u32 v3, s1, v5, v3
	v_add_co_ci_u32_e64 v5, s1, 0, v6, s1
	s_delay_alu instid0(VALU_DEP_4) | instskip(NEXT) | instid1(VALU_DEP_1)
	v_add_co_u32 v1, s1, v1, v9
	v_add_co_ci_u32_e64 v2, s1, 0, v2, s1
	s_delay_alu instid0(VALU_DEP_4) | instskip(NEXT) | instid1(VALU_DEP_1)
	v_add_co_u32 v4, s1, s22, v3
	v_add_co_ci_u32_e64 v5, s1, s23, v5, s1
	s_delay_alu instid0(VALU_DEP_4)
	v_add_co_u32 v6, s1, s28, v1
	v_mov_b32_e32 v8, v10
	v_cmp_gt_i32_e64 s0, s12, v7
	v_add_co_ci_u32_e64 v7, s1, s29, v2, s1
	v_dual_mov_b32 v9, v11 :: v_dual_mov_b32 v20, v10
	s_xor_b32 s1, vcc_lo, -1
	s_delay_alu instid0(VALU_DEP_3)
	s_xor_b32 s0, s0, -1
	s_branch .LBB1223_3
.LBB1223_2:                             ;   in Loop: Header=BB1223_3 Depth=1
	s_or_b32 exec_lo, exec_lo, s4
	s_waitcnt lgkmcnt(0)
	s_barrier
	buffer_gl0_inv
	ds_load_b128 v[32:35], v28
	ds_load_b128 v[36:39], v28 offset:16
	ds_load_b128 v[40:43], v28 offset:32
	;; [unrolled: 1-line block ×3, first 2 shown]
	ds_load_b128 v[48:51], v27
	s_add_u32 s2, s2, 8
	s_addc_u32 s3, s3, 0
	v_add_co_u32 v4, vcc_lo, 0x80, v4
	v_add_co_ci_u32_e32 v5, vcc_lo, 0, v5, vcc_lo
	v_cmp_ge_i64_e64 s4, s[2:3], s[16:17]
	v_add_co_u32 v6, vcc_lo, 0x80, v6
	v_add_co_ci_u32_e32 v7, vcc_lo, 0, v7, vcc_lo
	s_delay_alu instid0(VALU_DEP_3) | instskip(SKIP_3) | instid1(VALU_DEP_2)
	s_and_b32 vcc_lo, exec_lo, s4
	s_waitcnt lgkmcnt(0)
	v_mul_f64 v[1:2], v[34:35], v[50:51]
	v_mul_f64 v[52:53], v[32:33], v[50:51]
	v_fma_f64 v[1:2], v[32:33], v[48:49], -v[1:2]
	s_delay_alu instid0(VALU_DEP_2) | instskip(NEXT) | instid1(VALU_DEP_2)
	v_fma_f64 v[52:53], v[34:35], v[48:49], v[52:53]
	v_add_f64 v[1:2], v[20:21], v[1:2]
	s_delay_alu instid0(VALU_DEP_2) | instskip(SKIP_3) | instid1(VALU_DEP_1)
	v_add_f64 v[52:53], v[22:23], v[52:53]
	ds_load_b128 v[20:23], v27 offset:256
	s_waitcnt lgkmcnt(0)
	v_mul_f64 v[54:55], v[34:35], v[22:23]
	v_fma_f64 v[54:55], v[32:33], v[20:21], -v[54:55]
	v_mul_f64 v[32:33], v[32:33], v[22:23]
	s_delay_alu instid0(VALU_DEP_2) | instskip(NEXT) | instid1(VALU_DEP_2)
	v_add_f64 v[54:55], v[12:13], v[54:55]
	v_fma_f64 v[32:33], v[34:35], v[20:21], v[32:33]
	s_delay_alu instid0(VALU_DEP_1) | instskip(SKIP_4) | instid1(VALU_DEP_2)
	v_add_f64 v[16:17], v[16:17], v[32:33]
	ds_load_b128 v[32:35], v28 offset:2048
	s_waitcnt lgkmcnt(0)
	v_mul_f64 v[12:13], v[34:35], v[50:51]
	v_mul_f64 v[50:51], v[32:33], v[50:51]
	v_fma_f64 v[12:13], v[32:33], v[48:49], -v[12:13]
	s_delay_alu instid0(VALU_DEP_2) | instskip(NEXT) | instid1(VALU_DEP_2)
	v_fma_f64 v[48:49], v[34:35], v[48:49], v[50:51]
	v_add_f64 v[50:51], v[14:15], v[12:13]
	v_mul_f64 v[12:13], v[34:35], v[22:23]
	v_mul_f64 v[14:15], v[32:33], v[22:23]
	s_delay_alu instid0(VALU_DEP_4) | instskip(NEXT) | instid1(VALU_DEP_3)
	v_add_f64 v[48:49], v[18:19], v[48:49]
	v_fma_f64 v[12:13], v[32:33], v[20:21], -v[12:13]
	s_delay_alu instid0(VALU_DEP_3) | instskip(NEXT) | instid1(VALU_DEP_2)
	v_fma_f64 v[14:15], v[34:35], v[20:21], v[14:15]
	v_add_f64 v[20:21], v[8:9], v[12:13]
	s_delay_alu instid0(VALU_DEP_2) | instskip(SKIP_4) | instid1(VALU_DEP_2)
	v_add_f64 v[22:23], v[10:11], v[14:15]
	ds_load_b128 v[8:11], v27 offset:512
	s_waitcnt lgkmcnt(0)
	v_mul_f64 v[12:13], v[38:39], v[10:11]
	v_mul_f64 v[14:15], v[36:37], v[10:11]
	v_fma_f64 v[12:13], v[36:37], v[8:9], -v[12:13]
	s_delay_alu instid0(VALU_DEP_2) | instskip(NEXT) | instid1(VALU_DEP_2)
	v_fma_f64 v[14:15], v[38:39], v[8:9], v[14:15]
	v_add_f64 v[1:2], v[1:2], v[12:13]
	s_delay_alu instid0(VALU_DEP_2) | instskip(SKIP_4) | instid1(VALU_DEP_2)
	v_add_f64 v[32:33], v[52:53], v[14:15]
	ds_load_b128 v[12:15], v27 offset:768
	s_waitcnt lgkmcnt(0)
	v_mul_f64 v[18:19], v[38:39], v[14:15]
	v_mul_f64 v[34:35], v[36:37], v[14:15]
	v_fma_f64 v[18:19], v[36:37], v[12:13], -v[18:19]
	s_delay_alu instid0(VALU_DEP_2) | instskip(NEXT) | instid1(VALU_DEP_2)
	v_fma_f64 v[34:35], v[38:39], v[12:13], v[34:35]
	v_add_f64 v[36:37], v[54:55], v[18:19]
	s_delay_alu instid0(VALU_DEP_2) | instskip(SKIP_4) | instid1(VALU_DEP_2)
	v_add_f64 v[34:35], v[16:17], v[34:35]
	ds_load_b128 v[16:19], v28 offset:2064
	s_waitcnt lgkmcnt(0)
	v_mul_f64 v[38:39], v[18:19], v[10:11]
	v_mul_f64 v[10:11], v[16:17], v[10:11]
	v_fma_f64 v[38:39], v[16:17], v[8:9], -v[38:39]
	s_delay_alu instid0(VALU_DEP_2) | instskip(SKIP_1) | instid1(VALU_DEP_3)
	v_fma_f64 v[8:9], v[18:19], v[8:9], v[10:11]
	v_mul_f64 v[10:11], v[16:17], v[14:15]
	v_add_f64 v[38:39], v[50:51], v[38:39]
	s_delay_alu instid0(VALU_DEP_3) | instskip(SKIP_1) | instid1(VALU_DEP_4)
	v_add_f64 v[48:49], v[48:49], v[8:9]
	v_mul_f64 v[8:9], v[18:19], v[14:15]
	v_fma_f64 v[10:11], v[18:19], v[12:13], v[10:11]
	s_delay_alu instid0(VALU_DEP_2) | instskip(NEXT) | instid1(VALU_DEP_2)
	v_fma_f64 v[8:9], v[16:17], v[12:13], -v[8:9]
	v_add_f64 v[22:23], v[22:23], v[10:11]
	s_delay_alu instid0(VALU_DEP_2) | instskip(SKIP_4) | instid1(VALU_DEP_2)
	v_add_f64 v[20:21], v[20:21], v[8:9]
	ds_load_b128 v[8:11], v27 offset:1024
	s_waitcnt lgkmcnt(0)
	v_mul_f64 v[12:13], v[42:43], v[10:11]
	v_mul_f64 v[14:15], v[40:41], v[10:11]
	v_fma_f64 v[12:13], v[40:41], v[8:9], -v[12:13]
	s_delay_alu instid0(VALU_DEP_2) | instskip(NEXT) | instid1(VALU_DEP_2)
	v_fma_f64 v[14:15], v[42:43], v[8:9], v[14:15]
	v_add_f64 v[1:2], v[1:2], v[12:13]
	s_delay_alu instid0(VALU_DEP_2) | instskip(SKIP_4) | instid1(VALU_DEP_2)
	v_add_f64 v[32:33], v[32:33], v[14:15]
	ds_load_b128 v[12:15], v27 offset:1280
	s_waitcnt lgkmcnt(0)
	v_mul_f64 v[16:17], v[42:43], v[14:15]
	v_mul_f64 v[18:19], v[40:41], v[14:15]
	v_fma_f64 v[16:17], v[40:41], v[12:13], -v[16:17]
	s_delay_alu instid0(VALU_DEP_2) | instskip(NEXT) | instid1(VALU_DEP_2)
	v_fma_f64 v[18:19], v[42:43], v[12:13], v[18:19]
	v_add_f64 v[36:37], v[36:37], v[16:17]
	s_delay_alu instid0(VALU_DEP_2) | instskip(SKIP_4) | instid1(VALU_DEP_2)
	v_add_f64 v[34:35], v[34:35], v[18:19]
	ds_load_b128 v[16:19], v28 offset:2080
	s_waitcnt lgkmcnt(0)
	v_mul_f64 v[40:41], v[18:19], v[10:11]
	v_mul_f64 v[10:11], v[16:17], v[10:11]
	v_fma_f64 v[40:41], v[16:17], v[8:9], -v[40:41]
	s_delay_alu instid0(VALU_DEP_2) | instskip(SKIP_1) | instid1(VALU_DEP_3)
	v_fma_f64 v[8:9], v[18:19], v[8:9], v[10:11]
	v_mul_f64 v[10:11], v[16:17], v[14:15]
	v_add_f64 v[38:39], v[38:39], v[40:41]
	s_delay_alu instid0(VALU_DEP_3) | instskip(SKIP_1) | instid1(VALU_DEP_4)
	v_add_f64 v[40:41], v[48:49], v[8:9]
	v_mul_f64 v[8:9], v[18:19], v[14:15]
	v_fma_f64 v[10:11], v[18:19], v[12:13], v[10:11]
	s_delay_alu instid0(VALU_DEP_2) | instskip(NEXT) | instid1(VALU_DEP_2)
	v_fma_f64 v[8:9], v[16:17], v[12:13], -v[8:9]
	;; [unrolled: 38-line block ×3, first 2 shown]
	v_add_f64 v[22:23], v[22:23], v[10:11]
	s_delay_alu instid0(VALU_DEP_2)
	v_add_f64 v[20:21], v[20:21], v[8:9]
	ds_load_b128 v[8:11], v28 offset:64
	ds_load_b128 v[12:15], v27 offset:2048
	s_waitcnt lgkmcnt(0)
	v_mul_f64 v[16:17], v[10:11], v[14:15]
	v_mul_f64 v[18:19], v[8:9], v[14:15]
	s_delay_alu instid0(VALU_DEP_2) | instskip(NEXT) | instid1(VALU_DEP_2)
	v_fma_f64 v[16:17], v[8:9], v[12:13], -v[16:17]
	v_fma_f64 v[18:19], v[10:11], v[12:13], v[18:19]
	s_delay_alu instid0(VALU_DEP_2) | instskip(NEXT) | instid1(VALU_DEP_2)
	v_add_f64 v[1:2], v[1:2], v[16:17]
	v_add_f64 v[32:33], v[32:33], v[18:19]
	ds_load_b128 v[16:19], v27 offset:2304
	s_waitcnt lgkmcnt(0)
	v_mul_f64 v[42:43], v[10:11], v[18:19]
	s_delay_alu instid0(VALU_DEP_1) | instskip(SKIP_1) | instid1(VALU_DEP_2)
	v_fma_f64 v[42:43], v[8:9], v[16:17], -v[42:43]
	v_mul_f64 v[8:9], v[8:9], v[18:19]
	v_add_f64 v[36:37], v[36:37], v[42:43]
	s_delay_alu instid0(VALU_DEP_2) | instskip(NEXT) | instid1(VALU_DEP_1)
	v_fma_f64 v[8:9], v[10:11], v[16:17], v[8:9]
	v_add_f64 v[34:35], v[34:35], v[8:9]
	ds_load_b128 v[8:11], v28 offset:2112
	s_waitcnt lgkmcnt(0)
	v_mul_f64 v[42:43], v[10:11], v[14:15]
	v_mul_f64 v[14:15], v[8:9], v[14:15]
	s_delay_alu instid0(VALU_DEP_2) | instskip(NEXT) | instid1(VALU_DEP_2)
	v_fma_f64 v[42:43], v[8:9], v[12:13], -v[42:43]
	v_fma_f64 v[12:13], v[10:11], v[12:13], v[14:15]
	s_delay_alu instid0(VALU_DEP_2) | instskip(NEXT) | instid1(VALU_DEP_2)
	v_add_f64 v[38:39], v[38:39], v[42:43]
	v_add_f64 v[40:41], v[40:41], v[12:13]
	v_mul_f64 v[12:13], v[10:11], v[18:19]
	s_delay_alu instid0(VALU_DEP_1) | instskip(SKIP_1) | instid1(VALU_DEP_2)
	v_fma_f64 v[12:13], v[8:9], v[16:17], -v[12:13]
	v_mul_f64 v[8:9], v[8:9], v[18:19]
	v_add_f64 v[20:21], v[20:21], v[12:13]
	s_delay_alu instid0(VALU_DEP_2) | instskip(NEXT) | instid1(VALU_DEP_1)
	v_fma_f64 v[8:9], v[10:11], v[16:17], v[8:9]
	v_add_f64 v[22:23], v[22:23], v[8:9]
	ds_load_b128 v[8:11], v28 offset:80
	ds_load_b128 v[12:15], v27 offset:2560
	s_waitcnt lgkmcnt(0)
	v_mul_f64 v[16:17], v[10:11], v[14:15]
	v_mul_f64 v[18:19], v[8:9], v[14:15]
	s_delay_alu instid0(VALU_DEP_2) | instskip(NEXT) | instid1(VALU_DEP_2)
	v_fma_f64 v[16:17], v[8:9], v[12:13], -v[16:17]
	v_fma_f64 v[18:19], v[10:11], v[12:13], v[18:19]
	s_delay_alu instid0(VALU_DEP_2) | instskip(NEXT) | instid1(VALU_DEP_2)
	v_add_f64 v[1:2], v[1:2], v[16:17]
	v_add_f64 v[32:33], v[32:33], v[18:19]
	ds_load_b128 v[16:19], v27 offset:2816
	s_waitcnt lgkmcnt(0)
	v_mul_f64 v[42:43], v[10:11], v[18:19]
	s_delay_alu instid0(VALU_DEP_1) | instskip(SKIP_1) | instid1(VALU_DEP_2)
	v_fma_f64 v[42:43], v[8:9], v[16:17], -v[42:43]
	v_mul_f64 v[8:9], v[8:9], v[18:19]
	v_add_f64 v[36:37], v[36:37], v[42:43]
	s_delay_alu instid0(VALU_DEP_2) | instskip(NEXT) | instid1(VALU_DEP_1)
	v_fma_f64 v[8:9], v[10:11], v[16:17], v[8:9]
	v_add_f64 v[34:35], v[34:35], v[8:9]
	ds_load_b128 v[8:11], v28 offset:2128
	s_waitcnt lgkmcnt(0)
	v_mul_f64 v[42:43], v[10:11], v[14:15]
	v_mul_f64 v[14:15], v[8:9], v[14:15]
	s_delay_alu instid0(VALU_DEP_2) | instskip(NEXT) | instid1(VALU_DEP_2)
	v_fma_f64 v[42:43], v[8:9], v[12:13], -v[42:43]
	v_fma_f64 v[12:13], v[10:11], v[12:13], v[14:15]
	s_delay_alu instid0(VALU_DEP_2) | instskip(NEXT) | instid1(VALU_DEP_2)
	v_add_f64 v[38:39], v[38:39], v[42:43]
	v_add_f64 v[40:41], v[40:41], v[12:13]
	v_mul_f64 v[12:13], v[10:11], v[18:19]
	s_delay_alu instid0(VALU_DEP_1) | instskip(SKIP_1) | instid1(VALU_DEP_2)
	v_fma_f64 v[12:13], v[8:9], v[16:17], -v[12:13]
	v_mul_f64 v[8:9], v[8:9], v[18:19]
	v_add_f64 v[20:21], v[20:21], v[12:13]
	s_delay_alu instid0(VALU_DEP_2) | instskip(NEXT) | instid1(VALU_DEP_1)
	v_fma_f64 v[8:9], v[10:11], v[16:17], v[8:9]
	;; [unrolled: 39-line block ×3, first 2 shown]
	v_add_f64 v[50:51], v[22:23], v[8:9]
	ds_load_b128 v[8:11], v28 offset:112
	ds_load_b128 v[32:35], v27 offset:3584
	;; [unrolled: 1-line block ×3, first 2 shown]
	s_waitcnt lgkmcnt(1)
	v_mul_f64 v[12:13], v[10:11], v[34:35]
	v_mul_f64 v[16:17], v[8:9], v[34:35]
	s_delay_alu instid0(VALU_DEP_2) | instskip(NEXT) | instid1(VALU_DEP_2)
	v_fma_f64 v[12:13], v[8:9], v[32:33], -v[12:13]
	v_fma_f64 v[16:17], v[10:11], v[32:33], v[16:17]
	s_delay_alu instid0(VALU_DEP_2) | instskip(SKIP_2) | instid1(VALU_DEP_3)
	v_add_f64 v[20:21], v[1:2], v[12:13]
	s_waitcnt lgkmcnt(0)
	v_mul_f64 v[1:2], v[10:11], v[38:39]
	v_add_f64 v[22:23], v[42:43], v[16:17]
	s_delay_alu instid0(VALU_DEP_2) | instskip(SKIP_1) | instid1(VALU_DEP_2)
	v_fma_f64 v[1:2], v[8:9], v[36:37], -v[1:2]
	v_mul_f64 v[8:9], v[8:9], v[38:39]
	v_add_f64 v[12:13], v[44:45], v[1:2]
	s_delay_alu instid0(VALU_DEP_2) | instskip(NEXT) | instid1(VALU_DEP_1)
	v_fma_f64 v[8:9], v[10:11], v[36:37], v[8:9]
	v_add_f64 v[16:17], v[46:47], v[8:9]
	ds_load_b128 v[8:11], v28 offset:2160
	s_waitcnt lgkmcnt(0)
	s_barrier
	buffer_gl0_inv
	v_mul_f64 v[1:2], v[10:11], v[34:35]
	v_mul_f64 v[18:19], v[8:9], v[34:35]
	s_delay_alu instid0(VALU_DEP_2) | instskip(NEXT) | instid1(VALU_DEP_2)
	v_fma_f64 v[1:2], v[8:9], v[32:33], -v[1:2]
	v_fma_f64 v[18:19], v[10:11], v[32:33], v[18:19]
	s_delay_alu instid0(VALU_DEP_2) | instskip(SKIP_1) | instid1(VALU_DEP_3)
	v_add_f64 v[14:15], v[14:15], v[1:2]
	v_mul_f64 v[1:2], v[10:11], v[38:39]
	v_add_f64 v[18:19], v[40:41], v[18:19]
	s_delay_alu instid0(VALU_DEP_2) | instskip(SKIP_1) | instid1(VALU_DEP_1)
	v_fma_f64 v[1:2], v[8:9], v[36:37], -v[1:2]
	v_mul_f64 v[8:9], v[8:9], v[38:39]
	v_fma_f64 v[10:11], v[10:11], v[36:37], v[8:9]
	s_delay_alu instid0(VALU_DEP_3) | instskip(NEXT) | instid1(VALU_DEP_2)
	v_add_f64 v[8:9], v[48:49], v[1:2]
	v_add_f64 v[10:11], v[50:51], v[10:11]
	s_cbranch_vccnz .LBB1223_11
.LBB1223_3:                             ; =>This Inner Loop Header: Depth=1
	v_add_co_u32 v1, s4, v29, s2
	s_delay_alu instid0(VALU_DEP_1) | instskip(NEXT) | instid1(VALU_DEP_1)
	v_add_co_ci_u32_e64 v2, null, 0, s3, s4
	v_cmp_le_i64_e32 vcc_lo, s[16:17], v[1:2]
	s_or_b32 s4, s1, vcc_lo
	s_delay_alu instid0(SALU_CYCLE_1) | instskip(NEXT) | instid1(SALU_CYCLE_1)
	s_and_saveexec_b32 s5, s4
	s_xor_b32 s4, exec_lo, s5
	s_cbranch_execz .LBB1223_5
; %bb.4:                                ;   in Loop: Header=BB1223_3 Depth=1
	v_mov_b32_e32 v1, v0
	v_mov_b32_e32 v2, v0
	;; [unrolled: 1-line block ×3, first 2 shown]
	ds_store_b128 v30, v[0:3]
.LBB1223_5:                             ;   in Loop: Header=BB1223_3 Depth=1
	s_and_not1_saveexec_b32 s4, s4
	s_cbranch_execz .LBB1223_7
; %bb.6:                                ;   in Loop: Header=BB1223_3 Depth=1
	global_load_b128 v[32:35], v[4:5], off
	s_waitcnt vmcnt(0)
	ds_store_2addr_b64 v30, v[32:33], v[34:35] offset1:1
.LBB1223_7:                             ;   in Loop: Header=BB1223_3 Depth=1
	s_or_b32 exec_lo, exec_lo, s4
	v_add_co_u32 v1, s4, v26, s2
	s_delay_alu instid0(VALU_DEP_1) | instskip(NEXT) | instid1(VALU_DEP_1)
	v_add_co_ci_u32_e64 v2, null, 0, s3, s4
	v_cmp_le_i64_e32 vcc_lo, s[16:17], v[1:2]
	s_or_b32 s4, vcc_lo, s0
	s_delay_alu instid0(SALU_CYCLE_1) | instskip(NEXT) | instid1(SALU_CYCLE_1)
	s_and_saveexec_b32 s5, s4
	s_xor_b32 s4, exec_lo, s5
	s_cbranch_execz .LBB1223_9
; %bb.8:                                ;   in Loop: Header=BB1223_3 Depth=1
	v_mov_b32_e32 v1, v0
	v_mov_b32_e32 v2, v0
	v_mov_b32_e32 v3, v0
	ds_store_b128 v31, v[0:3]
.LBB1223_9:                             ;   in Loop: Header=BB1223_3 Depth=1
	s_and_not1_saveexec_b32 s4, s4
	s_cbranch_execz .LBB1223_2
; %bb.10:                               ;   in Loop: Header=BB1223_3 Depth=1
	global_load_b128 v[32:35], v[6:7], off
	s_waitcnt vmcnt(0)
	ds_store_2addr_b64 v31, v[32:33], v[34:35] offset1:1
	s_branch .LBB1223_2
.LBB1223_11:
	v_add_nc_u32_e32 v4, s14, v25
	s_mul_i32 s1, s15, s39
	s_mul_hi_u32 s2, s15, s38
	s_mul_i32 s0, s15, s38
	s_add_i32 s1, s2, s1
	v_ashrrev_i32_e32 v0, 31, v4
	v_mul_lo_u32 v3, v4, s37
	v_mad_u64_u32 v[1:2], null, v4, s36, 0
	s_lshl_b64 s[2:3], s[0:1], 4
	s_delay_alu instid0(VALU_DEP_3) | instskip(SKIP_2) | instid1(VALU_DEP_1)
	v_mul_lo_u32 v0, v0, s36
	s_add_u32 s2, s10, s2
	s_addc_u32 s3, s11, s3
	v_add3_u32 v2, v2, v3, v0
	v_add_nc_u32_e32 v0, s13, v24
	s_delay_alu instid0(VALU_DEP_2) | instskip(NEXT) | instid1(VALU_DEP_2)
	v_lshlrev_b64 v[1:2], 4, v[1:2]
	v_cmp_le_i32_e64 s0, v4, v0
	v_cmp_gt_i32_e32 vcc_lo, s12, v0
	s_delay_alu instid0(VALU_DEP_3) | instskip(NEXT) | instid1(VALU_DEP_1)
	v_add_co_u32 v5, s1, s2, v1
	v_add_co_ci_u32_e64 v6, s1, s3, v2, s1
	s_delay_alu instid0(VALU_DEP_4) | instskip(NEXT) | instid1(SALU_CYCLE_1)
	s_and_b32 s0, s0, vcc_lo
	s_and_saveexec_b32 s1, s0
	s_cbranch_execz .LBB1223_13
; %bb.12:
	v_ashrrev_i32_e32 v1, 31, v0
	v_mul_f64 v[28:29], s[20:21], v[22:23]
	v_mul_f64 v[22:23], s[18:19], v[22:23]
	s_delay_alu instid0(VALU_DEP_3) | instskip(NEXT) | instid1(VALU_DEP_1)
	v_lshlrev_b64 v[1:2], 4, v[0:1]
	v_add_co_u32 v1, s0, v5, v1
	s_delay_alu instid0(VALU_DEP_1)
	v_add_co_ci_u32_e64 v2, s0, v6, v2, s0
	global_load_b128 v[24:27], v[1:2], off
	v_fma_f64 v[28:29], s[18:19], v[20:21], -v[28:29]
	v_fma_f64 v[22:23], s[20:21], v[20:21], v[22:23]
	s_waitcnt vmcnt(0)
	v_mul_f64 v[30:31], s[8:9], v[26:27]
	v_mul_f64 v[26:27], s[6:7], v[26:27]
	s_delay_alu instid0(VALU_DEP_2) | instskip(NEXT) | instid1(VALU_DEP_2)
	v_fma_f64 v[20:21], s[6:7], v[24:25], -v[30:31]
	v_fma_f64 v[24:25], s[8:9], v[24:25], v[26:27]
	s_delay_alu instid0(VALU_DEP_2) | instskip(NEXT) | instid1(VALU_DEP_2)
	v_add_f64 v[20:21], v[28:29], v[20:21]
	v_add_f64 v[22:23], v[22:23], v[24:25]
	global_store_b128 v[1:2], v[20:23], off
.LBB1223_13:
	s_or_b32 exec_lo, exec_lo, s1
	v_add_nc_u32_e32 v2, 16, v0
	s_delay_alu instid0(VALU_DEP_1) | instskip(SKIP_1) | instid1(VALU_DEP_1)
	v_cmp_le_i32_e64 s1, v4, v2
	v_cmp_gt_i32_e64 s0, s12, v2
	s_and_b32 s1, s1, s0
	s_delay_alu instid0(SALU_CYCLE_1)
	s_and_saveexec_b32 s4, s1
	s_cbranch_execz .LBB1223_15
; %bb.14:
	v_ashrrev_i32_e32 v3, 31, v2
	v_mul_f64 v[24:25], s[20:21], v[16:17]
	v_mul_f64 v[16:17], s[18:19], v[16:17]
	s_delay_alu instid0(VALU_DEP_3) | instskip(NEXT) | instid1(VALU_DEP_1)
	v_lshlrev_b64 v[20:21], 4, v[2:3]
	v_add_co_u32 v5, s1, v5, v20
	s_delay_alu instid0(VALU_DEP_1)
	v_add_co_ci_u32_e64 v6, s1, v6, v21, s1
	global_load_b128 v[20:23], v[5:6], off
	v_fma_f64 v[24:25], s[18:19], v[12:13], -v[24:25]
	v_fma_f64 v[12:13], s[20:21], v[12:13], v[16:17]
	s_waitcnt vmcnt(0)
	v_mul_f64 v[26:27], s[8:9], v[22:23]
	v_mul_f64 v[22:23], s[6:7], v[22:23]
	s_delay_alu instid0(VALU_DEP_2) | instskip(NEXT) | instid1(VALU_DEP_2)
	v_fma_f64 v[16:17], s[6:7], v[20:21], -v[26:27]
	v_fma_f64 v[22:23], s[8:9], v[20:21], v[22:23]
	s_delay_alu instid0(VALU_DEP_2) | instskip(NEXT) | instid1(VALU_DEP_2)
	v_add_f64 v[20:21], v[24:25], v[16:17]
	v_add_f64 v[22:23], v[12:13], v[22:23]
	global_store_b128 v[5:6], v[20:23], off
.LBB1223_15:
	s_or_b32 exec_lo, exec_lo, s4
	v_add_nc_u32_e32 v3, 16, v4
	s_delay_alu instid0(VALU_DEP_1) | instskip(SKIP_3) | instid1(VALU_DEP_4)
	v_ashrrev_i32_e32 v1, 31, v3
	v_mul_lo_u32 v6, v3, s37
	v_mad_u64_u32 v[4:5], null, v3, s36, 0
	v_cmp_le_i32_e64 s1, v3, v0
	v_mul_lo_u32 v1, v1, s36
	s_delay_alu instid0(VALU_DEP_1) | instskip(NEXT) | instid1(VALU_DEP_1)
	v_add3_u32 v5, v5, v6, v1
	v_lshlrev_b64 v[4:5], 4, v[4:5]
	s_delay_alu instid0(VALU_DEP_1) | instskip(NEXT) | instid1(VALU_DEP_1)
	v_add_co_u32 v4, s2, s2, v4
	v_add_co_ci_u32_e64 v5, s2, s3, v5, s2
	s_and_b32 s2, s1, vcc_lo
	s_delay_alu instid0(SALU_CYCLE_1)
	s_and_saveexec_b32 s1, s2
	s_cbranch_execz .LBB1223_17
; %bb.16:
	v_ashrrev_i32_e32 v1, 31, v0
	v_mul_f64 v[6:7], s[20:21], v[18:19]
	v_mul_f64 v[12:13], s[18:19], v[18:19]
	s_delay_alu instid0(VALU_DEP_3) | instskip(NEXT) | instid1(VALU_DEP_1)
	v_lshlrev_b64 v[0:1], 4, v[0:1]
	v_add_co_u32 v0, vcc_lo, v4, v0
	s_delay_alu instid0(VALU_DEP_2)
	v_add_co_ci_u32_e32 v1, vcc_lo, v5, v1, vcc_lo
	global_load_b128 v[20:23], v[0:1], off
	v_fma_f64 v[6:7], s[18:19], v[14:15], -v[6:7]
	v_fma_f64 v[14:15], s[20:21], v[14:15], v[12:13]
	s_waitcnt vmcnt(0)
	v_mul_f64 v[16:17], s[8:9], v[22:23]
	v_mul_f64 v[18:19], s[6:7], v[22:23]
	s_delay_alu instid0(VALU_DEP_2) | instskip(NEXT) | instid1(VALU_DEP_2)
	v_fma_f64 v[12:13], s[6:7], v[20:21], -v[16:17]
	v_fma_f64 v[16:17], s[8:9], v[20:21], v[18:19]
	s_delay_alu instid0(VALU_DEP_2) | instskip(NEXT) | instid1(VALU_DEP_2)
	v_add_f64 v[12:13], v[6:7], v[12:13]
	v_add_f64 v[14:15], v[14:15], v[16:17]
	global_store_b128 v[0:1], v[12:15], off
.LBB1223_17:
	s_or_b32 exec_lo, exec_lo, s1
	v_cmp_le_i32_e32 vcc_lo, v3, v2
	s_and_b32 s0, vcc_lo, s0
	s_delay_alu instid0(SALU_CYCLE_1)
	s_and_saveexec_b32 s1, s0
	s_cbranch_execz .LBB1223_19
; %bb.18:
	v_ashrrev_i32_e32 v3, 31, v2
	v_mul_f64 v[6:7], s[20:21], v[10:11]
	v_mul_f64 v[10:11], s[18:19], v[10:11]
	s_delay_alu instid0(VALU_DEP_3) | instskip(NEXT) | instid1(VALU_DEP_1)
	v_lshlrev_b64 v[0:1], 4, v[2:3]
	v_add_co_u32 v4, vcc_lo, v4, v0
	s_delay_alu instid0(VALU_DEP_2)
	v_add_co_ci_u32_e32 v5, vcc_lo, v5, v1, vcc_lo
	global_load_b128 v[0:3], v[4:5], off
	v_fma_f64 v[6:7], s[18:19], v[8:9], -v[6:7]
	v_fma_f64 v[8:9], s[20:21], v[8:9], v[10:11]
	s_waitcnt vmcnt(0)
	v_mul_f64 v[12:13], s[8:9], v[2:3]
	v_mul_f64 v[2:3], s[6:7], v[2:3]
	s_delay_alu instid0(VALU_DEP_2) | instskip(NEXT) | instid1(VALU_DEP_2)
	v_fma_f64 v[10:11], s[6:7], v[0:1], -v[12:13]
	v_fma_f64 v[2:3], s[8:9], v[0:1], v[2:3]
	s_delay_alu instid0(VALU_DEP_2) | instskip(NEXT) | instid1(VALU_DEP_2)
	v_add_f64 v[0:1], v[6:7], v[10:11]
	v_add_f64 v[2:3], v[8:9], v[2:3]
	global_store_b128 v[4:5], v[0:3], off
.LBB1223_19:
	s_nop 0
	s_sendmsg sendmsg(MSG_DEALLOC_VGPRS)
	s_endpgm
	.section	.rodata,"a",@progbits
	.p2align	6, 0x0
	.amdhsa_kernel _ZL34rocblas_syrkx_herkx_general_kernelIl19rocblas_complex_numIdELi16ELi32ELi8ELb0ELb0ELc84ELc76EKS1_S1_EviT_T0_PT8_S3_lS6_S3_lS4_PT9_S3_li
		.amdhsa_group_segment_fixed_size 8192
		.amdhsa_private_segment_fixed_size 0
		.amdhsa_kernarg_size 124
		.amdhsa_user_sgpr_count 13
		.amdhsa_user_sgpr_dispatch_ptr 0
		.amdhsa_user_sgpr_queue_ptr 0
		.amdhsa_user_sgpr_kernarg_segment_ptr 1
		.amdhsa_user_sgpr_dispatch_id 0
		.amdhsa_user_sgpr_private_segment_size 0
		.amdhsa_wavefront_size32 1
		.amdhsa_uses_dynamic_stack 0
		.amdhsa_enable_private_segment 0
		.amdhsa_system_sgpr_workgroup_id_x 1
		.amdhsa_system_sgpr_workgroup_id_y 1
		.amdhsa_system_sgpr_workgroup_id_z 1
		.amdhsa_system_sgpr_workgroup_info 0
		.amdhsa_system_vgpr_workitem_id 1
		.amdhsa_next_free_vgpr 56
		.amdhsa_next_free_sgpr 40
		.amdhsa_reserve_vcc 1
		.amdhsa_float_round_mode_32 0
		.amdhsa_float_round_mode_16_64 0
		.amdhsa_float_denorm_mode_32 3
		.amdhsa_float_denorm_mode_16_64 3
		.amdhsa_dx10_clamp 1
		.amdhsa_ieee_mode 1
		.amdhsa_fp16_overflow 0
		.amdhsa_workgroup_processor_mode 1
		.amdhsa_memory_ordered 1
		.amdhsa_forward_progress 0
		.amdhsa_shared_vgpr_count 0
		.amdhsa_exception_fp_ieee_invalid_op 0
		.amdhsa_exception_fp_denorm_src 0
		.amdhsa_exception_fp_ieee_div_zero 0
		.amdhsa_exception_fp_ieee_overflow 0
		.amdhsa_exception_fp_ieee_underflow 0
		.amdhsa_exception_fp_ieee_inexact 0
		.amdhsa_exception_int_div_zero 0
	.end_amdhsa_kernel
	.section	.text._ZL34rocblas_syrkx_herkx_general_kernelIl19rocblas_complex_numIdELi16ELi32ELi8ELb0ELb0ELc84ELc76EKS1_S1_EviT_T0_PT8_S3_lS6_S3_lS4_PT9_S3_li,"axG",@progbits,_ZL34rocblas_syrkx_herkx_general_kernelIl19rocblas_complex_numIdELi16ELi32ELi8ELb0ELb0ELc84ELc76EKS1_S1_EviT_T0_PT8_S3_lS6_S3_lS4_PT9_S3_li,comdat
.Lfunc_end1223:
	.size	_ZL34rocblas_syrkx_herkx_general_kernelIl19rocblas_complex_numIdELi16ELi32ELi8ELb0ELb0ELc84ELc76EKS1_S1_EviT_T0_PT8_S3_lS6_S3_lS4_PT9_S3_li, .Lfunc_end1223-_ZL34rocblas_syrkx_herkx_general_kernelIl19rocblas_complex_numIdELi16ELi32ELi8ELb0ELb0ELc84ELc76EKS1_S1_EviT_T0_PT8_S3_lS6_S3_lS4_PT9_S3_li
                                        ; -- End function
	.section	.AMDGPU.csdata,"",@progbits
; Kernel info:
; codeLenInByte = 3916
; NumSgprs: 42
; NumVgprs: 56
; ScratchSize: 0
; MemoryBound: 0
; FloatMode: 240
; IeeeMode: 1
; LDSByteSize: 8192 bytes/workgroup (compile time only)
; SGPRBlocks: 5
; VGPRBlocks: 6
; NumSGPRsForWavesPerEU: 42
; NumVGPRsForWavesPerEU: 56
; Occupancy: 16
; WaveLimiterHint : 0
; COMPUTE_PGM_RSRC2:SCRATCH_EN: 0
; COMPUTE_PGM_RSRC2:USER_SGPR: 13
; COMPUTE_PGM_RSRC2:TRAP_HANDLER: 0
; COMPUTE_PGM_RSRC2:TGID_X_EN: 1
; COMPUTE_PGM_RSRC2:TGID_Y_EN: 1
; COMPUTE_PGM_RSRC2:TGID_Z_EN: 1
; COMPUTE_PGM_RSRC2:TIDIG_COMP_CNT: 1
	.section	.text._ZL34rocblas_syrkx_herkx_general_kernelIl19rocblas_complex_numIdELi16ELi32ELi8ELb0ELb0ELc67ELc76EKS1_S1_EviT_T0_PT8_S3_lS6_S3_lS4_PT9_S3_li,"axG",@progbits,_ZL34rocblas_syrkx_herkx_general_kernelIl19rocblas_complex_numIdELi16ELi32ELi8ELb0ELb0ELc67ELc76EKS1_S1_EviT_T0_PT8_S3_lS6_S3_lS4_PT9_S3_li,comdat
	.globl	_ZL34rocblas_syrkx_herkx_general_kernelIl19rocblas_complex_numIdELi16ELi32ELi8ELb0ELb0ELc67ELc76EKS1_S1_EviT_T0_PT8_S3_lS6_S3_lS4_PT9_S3_li ; -- Begin function _ZL34rocblas_syrkx_herkx_general_kernelIl19rocblas_complex_numIdELi16ELi32ELi8ELb0ELb0ELc67ELc76EKS1_S1_EviT_T0_PT8_S3_lS6_S3_lS4_PT9_S3_li
	.p2align	8
	.type	_ZL34rocblas_syrkx_herkx_general_kernelIl19rocblas_complex_numIdELi16ELi32ELi8ELb0ELb0ELc67ELc76EKS1_S1_EviT_T0_PT8_S3_lS6_S3_lS4_PT9_S3_li,@function
_ZL34rocblas_syrkx_herkx_general_kernelIl19rocblas_complex_numIdELi16ELi32ELi8ELb0ELb0ELc67ELc76EKS1_S1_EviT_T0_PT8_S3_lS6_S3_lS4_PT9_S3_li: ; @_ZL34rocblas_syrkx_herkx_general_kernelIl19rocblas_complex_numIdELi16ELi32ELi8ELb0ELb0ELc67ELc76EKS1_S1_EviT_T0_PT8_S3_lS6_S3_lS4_PT9_S3_li
; %bb.0:
	s_clause 0x3
	s_load_b512 s[16:31], s[0:1], 0x8
	s_load_b32 s12, s[0:1], 0x0
	s_load_b128 s[36:39], s[0:1], 0x68
	s_load_b256 s[4:11], s[0:1], 0x48
	v_mov_b32_e32 v23, 0
	v_dual_mov_b32 v24, 0 :: v_dual_and_b32 v27, 0x3ff, v0
	v_bfe_u32 v28, v0, 10, 10
	s_delay_alu instid0(VALU_DEP_3) | instskip(NEXT) | instid1(VALU_DEP_3)
	v_mov_b32_e32 v19, v23
	v_dual_mov_b32 v21, v23 :: v_dual_mov_b32 v22, v24
	v_dual_mov_b32 v26, v24 :: v_dual_mov_b32 v25, v23
	;; [unrolled: 1-line block ×5, first 2 shown]
	v_mov_b32_e32 v12, v24
	s_waitcnt lgkmcnt(0)
	v_cmp_lt_i64_e64 s0, s[16:17], 1
	v_dual_mov_b32 v13, v23 :: v_dual_mov_b32 v14, v24
	s_lshl_b32 s13, s13, 5
	s_lshl_b32 s14, s14, 5
	s_mov_b64 s[2:3], 0
	s_delay_alu instid0(VALU_DEP_2)
	s_and_b32 vcc_lo, exec_lo, s0
	s_cbranch_vccnz .LBB1224_9
; %bb.1:
	v_lshl_add_u32 v1, v28, 4, v27
	v_dual_mov_b32 v0, 0 :: v_dual_and_b32 v29, 7, v27
	s_mul_i32 s1, s27, s15
	s_mul_hi_u32 s27, s26, s15
	s_delay_alu instid0(VALU_DEP_2)
	v_and_b32_e32 v3, 31, v1
	v_lshrrev_b32_e32 v5, 3, v1
	v_lshrrev_b32_e32 v32, 5, v1
	v_lshlrev_b32_e32 v9, 4, v29
	s_mul_i32 s0, s26, s15
	v_add_nc_u32_e32 v4, s13, v3
	v_add_nc_u32_e32 v7, s14, v5
	v_or_b32_e32 v10, s13, v3
	v_lshlrev_b32_e32 v11, 4, v3
	v_lshl_or_b32 v5, v5, 7, v9
	v_ashrrev_i32_e32 v6, 31, v4
	v_mul_lo_u32 v8, s25, v4
	v_mad_u64_u32 v[1:2], null, s24, v4, 0
	v_ashrrev_i32_e32 v12, 31, v7
	s_delay_alu instid0(VALU_DEP_4)
	v_mul_lo_u32 v6, s24, v6
	v_mul_lo_u32 v13, s31, v7
	v_mad_u64_u32 v[3:4], null, s30, v7, 0
	s_add_i32 s1, s27, s1
	v_add_nc_u32_e32 v34, 0x1000, v5
	s_lshl_b64 s[24:25], s[0:1], 4
	v_cmp_gt_i32_e32 vcc_lo, s12, v7
	v_add3_u32 v2, v2, v6, v8
	v_mul_lo_u32 v6, s30, v12
	v_lshlrev_b32_e32 v7, 4, v32
	v_lshlrev_b32_e32 v30, 4, v27
	v_lshl_add_u32 v31, v28, 7, 0x1000
	v_lshlrev_b64 v[1:2], 4, v[1:2]
	v_cmp_gt_i32_e64 s0, s12, v10
	v_add3_u32 v4, v4, v6, v13
	s_delay_alu instid0(VALU_DEP_3) | instskip(NEXT) | instid1(VALU_DEP_1)
	v_add_co_u32 v5, s1, v1, s24
	v_add_co_ci_u32_e64 v6, s1, s25, v2, s1
	s_mul_i32 s1, s5, s15
	s_mul_hi_u32 s5, s4, s15
	v_lshlrev_b64 v[1:2], 4, v[3:4]
	s_add_i32 s5, s5, s1
	s_mul_i32 s4, s4, s15
	v_add_co_u32 v3, s1, v5, v7
	s_lshl_b64 s[4:5], s[4:5], 4
	v_add_co_ci_u32_e64 v4, s1, 0, v6, s1
	v_mov_b32_e32 v5, 0
	v_add_co_u32 v1, s1, v1, s4
	v_mov_b32_e32 v6, 0
	v_add_co_ci_u32_e64 v2, s1, s5, v2, s1
	v_add_co_u32 v3, s1, v3, s22
	s_delay_alu instid0(VALU_DEP_1) | instskip(NEXT) | instid1(VALU_DEP_4)
	v_add_co_ci_u32_e64 v4, s1, s23, v4, s1
	v_mov_b32_e32 v18, v6
	v_lshl_or_b32 v33, v32, 9, v11
	v_mov_b32_e32 v12, v6
	v_add_co_u32 v1, s1, v1, v9
	s_delay_alu instid0(VALU_DEP_1) | instskip(SKIP_1) | instid1(VALU_DEP_1)
	v_add_co_ci_u32_e64 v2, s1, 0, v2, s1
	v_add_co_u32 v7, s1, v3, 8
	v_add_co_ci_u32_e64 v8, s1, 0, v4, s1
	v_mov_b32_e32 v16, v6
	v_add_co_u32 v9, s1, s28, v1
	v_dual_mov_b32 v17, v5 :: v_dual_mov_b32 v22, v6
	v_dual_mov_b32 v15, v5 :: v_dual_mov_b32 v20, v6
	;; [unrolled: 1-line block ×4, first 2 shown]
	v_mov_b32_e32 v24, v6
	v_add_co_ci_u32_e64 v10, s1, s29, v2, s1
	v_mov_b32_e32 v13, v5
	v_mov_b32_e32 v11, v5
	;; [unrolled: 1-line block ×4, first 2 shown]
	s_xor_b32 s1, vcc_lo, -1
	s_branch .LBB1224_3
.LBB1224_2:                             ;   in Loop: Header=BB1224_3 Depth=1
	s_or_b32 exec_lo, exec_lo, s4
	s_waitcnt lgkmcnt(0)
	s_barrier
	buffer_gl0_inv
	ds_load_b128 v[1:4], v31
	ds_load_b128 v[35:38], v30
	ds_load_b128 v[39:42], v30 offset:256
	ds_load_b128 v[43:46], v31 offset:2048
	ds_load_b128 v[47:50], v31 offset:16
	ds_load_b128 v[51:54], v31 offset:2064
	ds_load_b128 v[55:58], v30 offset:512
	ds_load_b128 v[59:62], v30 offset:768
	ds_load_b128 v[63:66], v30 offset:1024
	ds_load_b128 v[67:70], v30 offset:1280
	ds_load_b128 v[71:74], v31 offset:2080
	s_add_u32 s2, s2, 8
	s_addc_u32 s3, s3, 0
	v_add_co_u32 v7, vcc_lo, 0x80, v7
	v_cmp_ge_i64_e64 s4, s[2:3], s[16:17]
	v_add_co_ci_u32_e32 v8, vcc_lo, 0, v8, vcc_lo
	v_add_co_u32 v9, vcc_lo, 0x80, v9
	v_add_co_ci_u32_e32 v10, vcc_lo, 0, v10, vcc_lo
	s_delay_alu instid0(VALU_DEP_4)
	s_and_b32 vcc_lo, exec_lo, s4
	s_waitcnt lgkmcnt(9)
	v_mul_f64 v[75:76], v[3:4], v[37:38]
	v_mul_f64 v[77:78], v[1:2], v[37:38]
	s_waitcnt lgkmcnt(8)
	v_mul_f64 v[79:80], v[3:4], v[41:42]
	v_mul_f64 v[81:82], v[1:2], v[41:42]
	;; [unrolled: 3-line block ×3, first 2 shown]
	v_mul_f64 v[85:86], v[45:46], v[41:42]
	v_mul_f64 v[41:42], v[43:44], v[41:42]
	s_waitcnt lgkmcnt(4)
	v_mul_f64 v[87:88], v[49:50], v[57:58]
	v_mul_f64 v[89:90], v[47:48], v[57:58]
	s_waitcnt lgkmcnt(3)
	v_mul_f64 v[91:92], v[49:50], v[61:62]
	v_mul_f64 v[93:94], v[47:48], v[61:62]
	;; [unrolled: 1-line block ×6, first 2 shown]
	s_waitcnt lgkmcnt(0)
	v_mul_f64 v[115:116], v[73:74], v[65:66]
	v_mul_f64 v[117:118], v[73:74], v[69:70]
	v_fma_f64 v[99:100], v[1:2], v[35:36], -v[75:76]
	v_fma_f64 v[101:102], v[3:4], v[35:36], v[77:78]
	v_fma_f64 v[79:80], v[1:2], v[39:40], -v[79:80]
	v_fma_f64 v[81:82], v[3:4], v[39:40], v[81:82]
	;; [unrolled: 2-line block ×4, first 2 shown]
	ds_load_b128 v[75:78], v31 offset:32
	v_fma_f64 v[87:88], v[47:48], v[55:56], -v[87:88]
	v_fma_f64 v[89:90], v[49:50], v[55:56], v[89:90]
	v_fma_f64 v[47:48], v[47:48], v[59:60], -v[91:92]
	v_fma_f64 v[49:50], v[49:50], v[59:60], v[93:94]
	;; [unrolled: 2-line block ×4, first 2 shown]
	ds_load_b128 v[1:4], v31 offset:48
	ds_load_b128 v[35:38], v31 offset:2096
	;; [unrolled: 1-line block ×4, first 2 shown]
	s_waitcnt lgkmcnt(4)
	v_mul_f64 v[107:108], v[77:78], v[65:66]
	v_mul_f64 v[109:110], v[75:76], v[65:66]
	;; [unrolled: 1-line block ×6, first 2 shown]
	s_waitcnt lgkmcnt(1)
	v_mul_f64 v[93:94], v[1:2], v[41:42]
	s_waitcnt lgkmcnt(0)
	v_mul_f64 v[95:96], v[3:4], v[45:46]
	v_add_f64 v[23:24], v[23:24], v[99:100]
	v_add_f64 v[25:26], v[25:26], v[101:102]
	;; [unrolled: 1-line block ×8, first 2 shown]
	v_mul_f64 v[85:86], v[3:4], v[41:42]
	v_mul_f64 v[97:98], v[1:2], v[45:46]
	;; [unrolled: 1-line block ×6, first 2 shown]
	ds_load_b128 v[11:14], v30 offset:2048
	ds_load_b128 v[15:18], v30 offset:2304
	;; [unrolled: 1-line block ×3, first 2 shown]
	v_fma_f64 v[105:106], v[75:76], v[63:64], -v[107:108]
	v_fma_f64 v[107:108], v[77:78], v[63:64], v[109:110]
	v_fma_f64 v[75:76], v[75:76], v[67:68], -v[111:112]
	v_fma_f64 v[77:78], v[77:78], v[67:68], v[113:114]
	;; [unrolled: 2-line block ×4, first 2 shown]
	s_waitcnt lgkmcnt(0)
	v_mul_f64 v[115:116], v[21:22], v[13:14]
	v_mul_f64 v[117:118], v[21:22], v[17:18]
	v_add_f64 v[69:70], v[23:24], v[87:88]
	v_add_f64 v[71:72], v[25:26], v[89:90]
	;; [unrolled: 1-line block ×8, first 2 shown]
	ds_load_b128 v[23:26], v31 offset:64
	v_fma_f64 v[85:86], v[1:2], v[39:40], -v[85:86]
	v_fma_f64 v[93:94], v[3:4], v[39:40], v[93:94]
	v_fma_f64 v[95:96], v[1:2], v[43:44], -v[95:96]
	v_fma_f64 v[97:98], v[3:4], v[43:44], v[97:98]
	;; [unrolled: 2-line block ×4, first 2 shown]
	ds_load_b128 v[45:48], v31 offset:80
	ds_load_b128 v[49:52], v31 offset:2128
	;; [unrolled: 1-line block ×7, first 2 shown]
	s_waitcnt lgkmcnt(7)
	v_mul_f64 v[89:90], v[25:26], v[13:14]
	v_mul_f64 v[91:92], v[23:24], v[13:14]
	;; [unrolled: 1-line block ×6, first 2 shown]
	s_waitcnt lgkmcnt(3)
	v_mul_f64 v[103:104], v[51:52], v[59:60]
	v_add_f64 v[69:70], v[69:70], v[105:106]
	v_add_f64 v[71:72], v[71:72], v[107:108]
	;; [unrolled: 1-line block ×8, first 2 shown]
	v_mul_f64 v[77:78], v[47:48], v[55:56]
	v_mul_f64 v[79:80], v[45:46], v[55:56]
	;; [unrolled: 1-line block ×7, first 2 shown]
	v_fma_f64 v[89:90], v[23:24], v[11:12], -v[89:90]
	v_fma_f64 v[91:92], v[25:26], v[11:12], v[91:92]
	v_fma_f64 v[107:108], v[23:24], v[15:16], -v[111:112]
	v_fma_f64 v[109:110], v[25:26], v[15:16], v[113:114]
	;; [unrolled: 2-line block ×4, first 2 shown]
	ds_load_b128 v[11:14], v31 offset:96
	v_add_f64 v[69:70], v[69:70], v[85:86]
	v_add_f64 v[71:72], v[71:72], v[93:94]
	;; [unrolled: 1-line block ×8, first 2 shown]
	s_waitcnt lgkmcnt(1)
	v_mul_f64 v[99:100], v[41:42], v[3:4]
	v_mul_f64 v[101:102], v[41:42], v[37:38]
	v_fma_f64 v[77:78], v[45:46], v[53:54], -v[77:78]
	v_fma_f64 v[79:80], v[47:48], v[53:54], v[79:80]
	v_fma_f64 v[45:46], v[45:46], v[57:58], -v[81:82]
	v_fma_f64 v[47:48], v[47:48], v[57:58], v[83:84]
	v_fma_f64 v[81:82], v[49:50], v[53:54], -v[87:88]
	v_fma_f64 v[53:54], v[51:52], v[53:54], v[55:56]
	v_fma_f64 v[49:50], v[49:50], v[57:58], -v[103:104]
	v_fma_f64 v[51:52], v[51:52], v[57:58], v[105:106]
	s_waitcnt lgkmcnt(0)
	v_mul_f64 v[67:68], v[13:14], v[3:4]
	v_mul_f64 v[93:94], v[11:12], v[3:4]
	;; [unrolled: 1-line block ×6, first 2 shown]
	ds_load_b128 v[15:18], v31 offset:112
	ds_load_b128 v[19:22], v31 offset:2160
	;; [unrolled: 1-line block ×4, first 2 shown]
	s_waitcnt lgkmcnt(0)
	s_barrier
	buffer_gl0_inv
	v_add_f64 v[55:56], v[69:70], v[89:90]
	v_add_f64 v[57:58], v[71:72], v[91:92]
	;; [unrolled: 1-line block ×8, first 2 shown]
	v_mul_f64 v[75:76], v[17:18], v[25:26]
	v_mul_f64 v[83:84], v[15:16], v[25:26]
	;; [unrolled: 1-line block ×8, first 2 shown]
	v_fma_f64 v[67:68], v[11:12], v[1:2], -v[67:68]
	v_fma_f64 v[93:94], v[13:14], v[1:2], v[93:94]
	v_fma_f64 v[11:12], v[11:12], v[35:36], -v[95:96]
	v_fma_f64 v[13:14], v[13:14], v[35:36], v[97:98]
	;; [unrolled: 2-line block ×4, first 2 shown]
	v_add_f64 v[37:38], v[55:56], v[77:78]
	v_add_f64 v[39:40], v[57:58], v[79:80]
	;; [unrolled: 1-line block ×8, first 2 shown]
	v_fma_f64 v[51:52], v[15:16], v[23:24], -v[75:76]
	v_fma_f64 v[55:56], v[17:18], v[23:24], v[83:84]
	v_fma_f64 v[15:16], v[15:16], v[59:60], -v[85:86]
	v_fma_f64 v[17:18], v[17:18], v[59:60], v[87:88]
	;; [unrolled: 2-line block ×4, first 2 shown]
	v_add_f64 v[19:20], v[37:38], v[67:68]
	v_add_f64 v[21:22], v[39:40], v[93:94]
	;; [unrolled: 1-line block ×16, first 2 shown]
	s_cbranch_vccnz .LBB1224_9
.LBB1224_3:                             ; =>This Inner Loop Header: Depth=1
	v_add_co_u32 v1, s4, v32, s2
	s_delay_alu instid0(VALU_DEP_1) | instskip(SKIP_1) | instid1(VALU_DEP_2)
	v_add_co_ci_u32_e64 v2, null, 0, s3, s4
	v_dual_mov_b32 v3, v5 :: v_dual_mov_b32 v4, v6
	v_cmp_gt_i64_e32 vcc_lo, s[16:17], v[1:2]
	v_dual_mov_b32 v1, v5 :: v_dual_mov_b32 v2, v6
	s_and_b32 s5, s0, vcc_lo
	s_delay_alu instid0(SALU_CYCLE_1)
	s_and_saveexec_b32 s4, s5
	s_cbranch_execz .LBB1224_5
; %bb.4:                                ;   in Loop: Header=BB1224_3 Depth=1
	global_load_b128 v[1:4], v[7:8], off offset:-8
.LBB1224_5:                             ;   in Loop: Header=BB1224_3 Depth=1
	s_or_b32 exec_lo, exec_lo, s4
	v_add_co_u32 v35, s4, v29, s2
	s_delay_alu instid0(VALU_DEP_1) | instskip(SKIP_4) | instid1(SALU_CYCLE_1)
	v_add_co_ci_u32_e64 v36, null, 0, s3, s4
	s_waitcnt vmcnt(0)
	ds_store_b128 v33, v[1:4]
	v_cmp_le_i64_e32 vcc_lo, s[16:17], v[35:36]
	s_or_b32 s4, vcc_lo, s1
	s_and_saveexec_b32 s5, s4
	s_delay_alu instid0(SALU_CYCLE_1)
	s_xor_b32 s4, exec_lo, s5
	s_cbranch_execz .LBB1224_7
; %bb.6:                                ;   in Loop: Header=BB1224_3 Depth=1
	v_mov_b32_e32 v1, v0
	v_mov_b32_e32 v2, v0
	;; [unrolled: 1-line block ×3, first 2 shown]
	ds_store_b128 v34, v[0:3]
.LBB1224_7:                             ;   in Loop: Header=BB1224_3 Depth=1
	s_and_not1_saveexec_b32 s4, s4
	s_cbranch_execz .LBB1224_2
; %bb.8:                                ;   in Loop: Header=BB1224_3 Depth=1
	global_load_b128 v[1:4], v[9:10], off
	s_waitcnt vmcnt(0)
	ds_store_2addr_b64 v34, v[1:2], v[3:4] offset1:1
	s_branch .LBB1224_2
.LBB1224_9:
	v_add_nc_u32_e32 v4, s14, v28
	s_mul_i32 s1, s15, s39
	s_mul_hi_u32 s2, s15, s38
	s_mul_i32 s0, s15, s38
	s_add_i32 s1, s2, s1
	v_ashrrev_i32_e32 v0, 31, v4
	v_mul_lo_u32 v3, v4, s37
	v_mad_u64_u32 v[1:2], null, v4, s36, 0
	s_lshl_b64 s[2:3], s[0:1], 4
	s_delay_alu instid0(VALU_DEP_3) | instskip(SKIP_2) | instid1(VALU_DEP_1)
	v_mul_lo_u32 v0, v0, s36
	s_add_u32 s2, s10, s2
	s_addc_u32 s3, s11, s3
	v_add3_u32 v2, v2, v3, v0
	v_add_nc_u32_e32 v0, s13, v27
	s_delay_alu instid0(VALU_DEP_2) | instskip(NEXT) | instid1(VALU_DEP_2)
	v_lshlrev_b64 v[1:2], 4, v[1:2]
	v_cmp_le_i32_e64 s0, v4, v0
	v_cmp_gt_i32_e32 vcc_lo, s12, v0
	s_delay_alu instid0(VALU_DEP_3) | instskip(NEXT) | instid1(VALU_DEP_1)
	v_add_co_u32 v5, s1, s2, v1
	v_add_co_ci_u32_e64 v6, s1, s3, v2, s1
	s_delay_alu instid0(VALU_DEP_4) | instskip(NEXT) | instid1(SALU_CYCLE_1)
	s_and_b32 s0, s0, vcc_lo
	s_and_saveexec_b32 s1, s0
	s_cbranch_execz .LBB1224_11
; %bb.10:
	v_ashrrev_i32_e32 v1, 31, v0
	v_mul_f64 v[27:28], s[20:21], v[25:26]
	v_mul_f64 v[25:26], s[18:19], v[25:26]
	s_delay_alu instid0(VALU_DEP_3) | instskip(NEXT) | instid1(VALU_DEP_1)
	v_lshlrev_b64 v[1:2], 4, v[0:1]
	v_add_co_u32 v1, s0, v5, v1
	s_delay_alu instid0(VALU_DEP_1)
	v_add_co_ci_u32_e64 v2, s0, v6, v2, s0
	global_load_b128 v[7:10], v[1:2], off
	v_fma_f64 v[27:28], s[18:19], v[23:24], -v[27:28]
	v_fma_f64 v[23:24], s[20:21], v[23:24], v[25:26]
	s_waitcnt vmcnt(0)
	v_mul_f64 v[29:30], s[8:9], v[9:10]
	v_mul_f64 v[9:10], s[6:7], v[9:10]
	s_delay_alu instid0(VALU_DEP_2) | instskip(NEXT) | instid1(VALU_DEP_2)
	v_fma_f64 v[25:26], s[6:7], v[7:8], -v[29:30]
	v_fma_f64 v[9:10], s[8:9], v[7:8], v[9:10]
	s_delay_alu instid0(VALU_DEP_2) | instskip(NEXT) | instid1(VALU_DEP_2)
	v_add_f64 v[7:8], v[27:28], v[25:26]
	v_add_f64 v[9:10], v[23:24], v[9:10]
	global_store_b128 v[1:2], v[7:10], off
.LBB1224_11:
	s_or_b32 exec_lo, exec_lo, s1
	v_add_nc_u32_e32 v2, 16, v0
	s_delay_alu instid0(VALU_DEP_1) | instskip(SKIP_1) | instid1(VALU_DEP_1)
	v_cmp_le_i32_e64 s1, v4, v2
	v_cmp_gt_i32_e64 s0, s12, v2
	s_and_b32 s1, s1, s0
	s_delay_alu instid0(SALU_CYCLE_1)
	s_and_saveexec_b32 s4, s1
	s_cbranch_execz .LBB1224_13
; %bb.12:
	v_ashrrev_i32_e32 v3, 31, v2
	v_mul_f64 v[23:24], s[20:21], v[21:22]
	v_mul_f64 v[21:22], s[18:19], v[21:22]
	s_delay_alu instid0(VALU_DEP_3) | instskip(NEXT) | instid1(VALU_DEP_1)
	v_lshlrev_b64 v[7:8], 4, v[2:3]
	v_add_co_u32 v9, s1, v5, v7
	s_delay_alu instid0(VALU_DEP_1)
	v_add_co_ci_u32_e64 v10, s1, v6, v8, s1
	global_load_b128 v[5:8], v[9:10], off
	v_fma_f64 v[23:24], s[18:19], v[19:20], -v[23:24]
	v_fma_f64 v[19:20], s[20:21], v[19:20], v[21:22]
	s_waitcnt vmcnt(0)
	v_mul_f64 v[25:26], s[8:9], v[7:8]
	v_mul_f64 v[7:8], s[6:7], v[7:8]
	s_delay_alu instid0(VALU_DEP_2) | instskip(NEXT) | instid1(VALU_DEP_2)
	v_fma_f64 v[21:22], s[6:7], v[5:6], -v[25:26]
	v_fma_f64 v[7:8], s[8:9], v[5:6], v[7:8]
	s_delay_alu instid0(VALU_DEP_2) | instskip(NEXT) | instid1(VALU_DEP_2)
	v_add_f64 v[5:6], v[23:24], v[21:22]
	v_add_f64 v[7:8], v[19:20], v[7:8]
	global_store_b128 v[9:10], v[5:8], off
.LBB1224_13:
	s_or_b32 exec_lo, exec_lo, s4
	v_add_nc_u32_e32 v3, 16, v4
	s_delay_alu instid0(VALU_DEP_1) | instskip(SKIP_3) | instid1(VALU_DEP_4)
	v_ashrrev_i32_e32 v1, 31, v3
	v_mul_lo_u32 v6, v3, s37
	v_mad_u64_u32 v[4:5], null, v3, s36, 0
	v_cmp_le_i32_e64 s1, v3, v0
	v_mul_lo_u32 v1, v1, s36
	s_delay_alu instid0(VALU_DEP_1) | instskip(NEXT) | instid1(VALU_DEP_1)
	v_add3_u32 v5, v5, v6, v1
	v_lshlrev_b64 v[4:5], 4, v[4:5]
	s_delay_alu instid0(VALU_DEP_1) | instskip(NEXT) | instid1(VALU_DEP_1)
	v_add_co_u32 v4, s2, s2, v4
	v_add_co_ci_u32_e64 v5, s2, s3, v5, s2
	s_and_b32 s2, s1, vcc_lo
	s_delay_alu instid0(SALU_CYCLE_1)
	s_and_saveexec_b32 s1, s2
	s_cbranch_execz .LBB1224_15
; %bb.14:
	v_ashrrev_i32_e32 v1, 31, v0
	v_mul_f64 v[19:20], s[20:21], v[17:18]
	v_mul_f64 v[17:18], s[18:19], v[17:18]
	s_delay_alu instid0(VALU_DEP_3) | instskip(NEXT) | instid1(VALU_DEP_1)
	v_lshlrev_b64 v[0:1], 4, v[0:1]
	v_add_co_u32 v0, vcc_lo, v4, v0
	s_delay_alu instid0(VALU_DEP_2)
	v_add_co_ci_u32_e32 v1, vcc_lo, v5, v1, vcc_lo
	global_load_b128 v[6:9], v[0:1], off
	v_fma_f64 v[19:20], s[18:19], v[15:16], -v[19:20]
	v_fma_f64 v[15:16], s[20:21], v[15:16], v[17:18]
	s_waitcnt vmcnt(0)
	v_mul_f64 v[21:22], s[8:9], v[8:9]
	v_mul_f64 v[8:9], s[6:7], v[8:9]
	s_delay_alu instid0(VALU_DEP_2) | instskip(NEXT) | instid1(VALU_DEP_2)
	v_fma_f64 v[17:18], s[6:7], v[6:7], -v[21:22]
	v_fma_f64 v[8:9], s[8:9], v[6:7], v[8:9]
	s_delay_alu instid0(VALU_DEP_2) | instskip(NEXT) | instid1(VALU_DEP_2)
	v_add_f64 v[6:7], v[19:20], v[17:18]
	v_add_f64 v[8:9], v[15:16], v[8:9]
	global_store_b128 v[0:1], v[6:9], off
.LBB1224_15:
	s_or_b32 exec_lo, exec_lo, s1
	v_cmp_le_i32_e32 vcc_lo, v3, v2
	s_and_b32 s0, vcc_lo, s0
	s_delay_alu instid0(SALU_CYCLE_1)
	s_and_saveexec_b32 s1, s0
	s_cbranch_execz .LBB1224_17
; %bb.16:
	v_ashrrev_i32_e32 v3, 31, v2
	v_mul_f64 v[6:7], s[20:21], v[13:14]
	v_mul_f64 v[8:9], s[18:19], v[13:14]
	s_delay_alu instid0(VALU_DEP_3) | instskip(NEXT) | instid1(VALU_DEP_1)
	v_lshlrev_b64 v[0:1], 4, v[2:3]
	v_add_co_u32 v4, vcc_lo, v4, v0
	s_delay_alu instid0(VALU_DEP_2)
	v_add_co_ci_u32_e32 v5, vcc_lo, v5, v1, vcc_lo
	global_load_b128 v[0:3], v[4:5], off
	v_fma_f64 v[6:7], s[18:19], v[11:12], -v[6:7]
	v_fma_f64 v[8:9], s[20:21], v[11:12], v[8:9]
	s_waitcnt vmcnt(0)
	v_mul_f64 v[13:14], s[8:9], v[2:3]
	v_mul_f64 v[2:3], s[6:7], v[2:3]
	s_delay_alu instid0(VALU_DEP_2) | instskip(NEXT) | instid1(VALU_DEP_2)
	v_fma_f64 v[10:11], s[6:7], v[0:1], -v[13:14]
	v_fma_f64 v[2:3], s[8:9], v[0:1], v[2:3]
	s_delay_alu instid0(VALU_DEP_2) | instskip(NEXT) | instid1(VALU_DEP_2)
	v_add_f64 v[0:1], v[6:7], v[10:11]
	v_add_f64 v[2:3], v[8:9], v[2:3]
	global_store_b128 v[4:5], v[0:3], off
.LBB1224_17:
	s_nop 0
	s_sendmsg sendmsg(MSG_DEALLOC_VGPRS)
	s_endpgm
	.section	.rodata,"a",@progbits
	.p2align	6, 0x0
	.amdhsa_kernel _ZL34rocblas_syrkx_herkx_general_kernelIl19rocblas_complex_numIdELi16ELi32ELi8ELb0ELb0ELc67ELc76EKS1_S1_EviT_T0_PT8_S3_lS6_S3_lS4_PT9_S3_li
		.amdhsa_group_segment_fixed_size 8192
		.amdhsa_private_segment_fixed_size 0
		.amdhsa_kernarg_size 124
		.amdhsa_user_sgpr_count 13
		.amdhsa_user_sgpr_dispatch_ptr 0
		.amdhsa_user_sgpr_queue_ptr 0
		.amdhsa_user_sgpr_kernarg_segment_ptr 1
		.amdhsa_user_sgpr_dispatch_id 0
		.amdhsa_user_sgpr_private_segment_size 0
		.amdhsa_wavefront_size32 1
		.amdhsa_uses_dynamic_stack 0
		.amdhsa_enable_private_segment 0
		.amdhsa_system_sgpr_workgroup_id_x 1
		.amdhsa_system_sgpr_workgroup_id_y 1
		.amdhsa_system_sgpr_workgroup_id_z 1
		.amdhsa_system_sgpr_workgroup_info 0
		.amdhsa_system_vgpr_workitem_id 1
		.amdhsa_next_free_vgpr 121
		.amdhsa_next_free_sgpr 40
		.amdhsa_reserve_vcc 1
		.amdhsa_float_round_mode_32 0
		.amdhsa_float_round_mode_16_64 0
		.amdhsa_float_denorm_mode_32 3
		.amdhsa_float_denorm_mode_16_64 3
		.amdhsa_dx10_clamp 1
		.amdhsa_ieee_mode 1
		.amdhsa_fp16_overflow 0
		.amdhsa_workgroup_processor_mode 1
		.amdhsa_memory_ordered 1
		.amdhsa_forward_progress 0
		.amdhsa_shared_vgpr_count 0
		.amdhsa_exception_fp_ieee_invalid_op 0
		.amdhsa_exception_fp_denorm_src 0
		.amdhsa_exception_fp_ieee_div_zero 0
		.amdhsa_exception_fp_ieee_overflow 0
		.amdhsa_exception_fp_ieee_underflow 0
		.amdhsa_exception_fp_ieee_inexact 0
		.amdhsa_exception_int_div_zero 0
	.end_amdhsa_kernel
	.section	.text._ZL34rocblas_syrkx_herkx_general_kernelIl19rocblas_complex_numIdELi16ELi32ELi8ELb0ELb0ELc67ELc76EKS1_S1_EviT_T0_PT8_S3_lS6_S3_lS4_PT9_S3_li,"axG",@progbits,_ZL34rocblas_syrkx_herkx_general_kernelIl19rocblas_complex_numIdELi16ELi32ELi8ELb0ELb0ELc67ELc76EKS1_S1_EviT_T0_PT8_S3_lS6_S3_lS4_PT9_S3_li,comdat
.Lfunc_end1224:
	.size	_ZL34rocblas_syrkx_herkx_general_kernelIl19rocblas_complex_numIdELi16ELi32ELi8ELb0ELb0ELc67ELc76EKS1_S1_EviT_T0_PT8_S3_lS6_S3_lS4_PT9_S3_li, .Lfunc_end1224-_ZL34rocblas_syrkx_herkx_general_kernelIl19rocblas_complex_numIdELi16ELi32ELi8ELb0ELb0ELc67ELc76EKS1_S1_EviT_T0_PT8_S3_lS6_S3_lS4_PT9_S3_li
                                        ; -- End function
	.section	.AMDGPU.csdata,"",@progbits
; Kernel info:
; codeLenInByte = 3608
; NumSgprs: 42
; NumVgprs: 121
; ScratchSize: 0
; MemoryBound: 1
; FloatMode: 240
; IeeeMode: 1
; LDSByteSize: 8192 bytes/workgroup (compile time only)
; SGPRBlocks: 5
; VGPRBlocks: 15
; NumSGPRsForWavesPerEU: 42
; NumVGPRsForWavesPerEU: 121
; Occupancy: 10
; WaveLimiterHint : 0
; COMPUTE_PGM_RSRC2:SCRATCH_EN: 0
; COMPUTE_PGM_RSRC2:USER_SGPR: 13
; COMPUTE_PGM_RSRC2:TRAP_HANDLER: 0
; COMPUTE_PGM_RSRC2:TGID_X_EN: 1
; COMPUTE_PGM_RSRC2:TGID_Y_EN: 1
; COMPUTE_PGM_RSRC2:TGID_Z_EN: 1
; COMPUTE_PGM_RSRC2:TIDIG_COMP_CNT: 1
	.section	.text._ZL34rocblas_syrkx_herkx_general_kernelIl19rocblas_complex_numIdELi16ELi32ELi8ELb0ELb0ELc78ELc76EKS1_S1_EviT_T0_PT8_S3_lS6_S3_lS4_PT9_S3_li,"axG",@progbits,_ZL34rocblas_syrkx_herkx_general_kernelIl19rocblas_complex_numIdELi16ELi32ELi8ELb0ELb0ELc78ELc76EKS1_S1_EviT_T0_PT8_S3_lS6_S3_lS4_PT9_S3_li,comdat
	.globl	_ZL34rocblas_syrkx_herkx_general_kernelIl19rocblas_complex_numIdELi16ELi32ELi8ELb0ELb0ELc78ELc76EKS1_S1_EviT_T0_PT8_S3_lS6_S3_lS4_PT9_S3_li ; -- Begin function _ZL34rocblas_syrkx_herkx_general_kernelIl19rocblas_complex_numIdELi16ELi32ELi8ELb0ELb0ELc78ELc76EKS1_S1_EviT_T0_PT8_S3_lS6_S3_lS4_PT9_S3_li
	.p2align	8
	.type	_ZL34rocblas_syrkx_herkx_general_kernelIl19rocblas_complex_numIdELi16ELi32ELi8ELb0ELb0ELc78ELc76EKS1_S1_EviT_T0_PT8_S3_lS6_S3_lS4_PT9_S3_li,@function
_ZL34rocblas_syrkx_herkx_general_kernelIl19rocblas_complex_numIdELi16ELi32ELi8ELb0ELb0ELc78ELc76EKS1_S1_EviT_T0_PT8_S3_lS6_S3_lS4_PT9_S3_li: ; @_ZL34rocblas_syrkx_herkx_general_kernelIl19rocblas_complex_numIdELi16ELi32ELi8ELb0ELb0ELc78ELc76EKS1_S1_EviT_T0_PT8_S3_lS6_S3_lS4_PT9_S3_li
; %bb.0:
	s_clause 0x3
	s_load_b512 s[16:31], s[0:1], 0x8
	s_load_b32 s33, s[0:1], 0x0
	s_load_b128 s[36:39], s[0:1], 0x68
	s_load_b256 s[4:11], s[0:1], 0x48
	v_mov_b32_e32 v21, 0
	v_dual_mov_b32 v22, 0 :: v_dual_and_b32 v25, 0x3ff, v0
	v_bfe_u32 v26, v0, 10, 10
	s_delay_alu instid0(VALU_DEP_3) | instskip(NEXT) | instid1(VALU_DEP_3)
	v_mov_b32_e32 v17, v21
	v_dual_mov_b32 v19, v21 :: v_dual_mov_b32 v20, v22
	v_dual_mov_b32 v24, v22 :: v_dual_mov_b32 v23, v21
	v_dual_mov_b32 v18, v22 :: v_dual_mov_b32 v13, v21
	v_dual_mov_b32 v14, v22 :: v_dual_mov_b32 v15, v21
	v_dual_mov_b32 v16, v22 :: v_dual_mov_b32 v9, v21
	v_mov_b32_e32 v10, v22
	s_waitcnt lgkmcnt(0)
	v_cmp_lt_i64_e64 s0, s[16:17], 1
	v_dual_mov_b32 v11, v21 :: v_dual_mov_b32 v12, v22
	s_lshl_b32 s34, s13, 5
	s_lshl_b32 s14, s14, 5
	s_mov_b64 s[2:3], 0
	s_delay_alu instid0(VALU_DEP_2)
	s_and_b32 vcc_lo, exec_lo, s0
	s_cbranch_vccnz .LBB1225_9
; %bb.1:
	v_lshl_add_u32 v5, v26, 4, v25
	v_dual_mov_b32 v0, 0 :: v_dual_and_b32 v27, 7, v25
	s_mul_i32 s1, s27, s15
	s_mul_hi_u32 s12, s26, s15
	s_delay_alu instid0(VALU_DEP_2) | instskip(NEXT) | instid1(VALU_DEP_2)
	v_lshrrev_b32_e32 v28, 5, v5
	v_mad_u64_u32 v[3:4], null, s30, v27, 0
	v_and_b32_e32 v10, 31, v5
	v_lshrrev_b32_e32 v7, 3, v5
	s_delay_alu instid0(VALU_DEP_4) | instskip(SKIP_1) | instid1(VALU_DEP_3)
	v_mad_u64_u32 v[1:2], null, s24, v28, 0
	s_mul_i32 s0, s26, s15
	v_or_b32_e32 v11, s34, v10
	v_lshlrev_b32_e32 v12, 4, v10
	s_add_i32 s1, s12, s1
	s_mul_i32 s5, s5, s15
	s_lshl_b64 s[12:13], s[0:1], 4
	s_delay_alu instid0(VALU_DEP_3)
	v_mad_u64_u32 v[5:6], null, s25, v28, v[2:3]
	v_cmp_gt_i32_e32 vcc_lo, s33, v11
	v_lshl_or_b32 v31, v28, 9, v12
	v_mov_b32_e32 v11, 0
	v_mov_b32_e32 v12, 0
	v_lshlrev_b32_e32 v2, 4, v27
	v_lshlrev_b32_e32 v29, 4, v25
	v_add_nc_u32_e32 v6, s14, v7
	v_mad_u64_u32 v[8:9], null, s31, v27, v[4:5]
	s_delay_alu instid0(VALU_DEP_4) | instskip(SKIP_3) | instid1(VALU_DEP_3)
	v_lshl_or_b32 v7, v7, 7, v2
	v_dual_mov_b32 v2, v5 :: v_dual_add_nc_u32 v9, s34, v10
	v_mov_b32_e32 v16, v12
	s_mul_hi_u32 s26, s4, s15
	v_add_nc_u32_e32 v32, 0x1000, v7
	s_delay_alu instid0(VALU_DEP_3) | instskip(SKIP_4) | instid1(VALU_DEP_3)
	v_lshlrev_b64 v[1:2], 4, v[1:2]
	v_dual_mov_b32 v4, v8 :: v_dual_mov_b32 v15, v11
	v_ashrrev_i32_e32 v7, 31, v6
	s_add_i32 s5, s26, s5
	s_mul_i32 s4, s4, s15
	v_add_co_u32 v5, s1, v1, s12
	s_delay_alu instid0(VALU_DEP_1)
	v_add_co_ci_u32_e64 v8, s1, s13, v2, s1
	v_lshlrev_b64 v[1:2], 4, v[3:4]
	v_ashrrev_i32_e32 v10, 31, v9
	s_lshl_b64 s[4:5], s[4:5], 4
	v_lshlrev_b64 v[3:4], 4, v[6:7]
	v_cmp_gt_i32_e64 s0, s33, v6
	v_mov_b32_e32 v14, v12
	v_add_co_u32 v6, s1, s4, v1
	s_delay_alu instid0(VALU_DEP_1) | instskip(SKIP_1) | instid1(VALU_DEP_3)
	v_add_co_ci_u32_e64 v7, s1, s5, v2, s1
	v_lshlrev_b64 v[1:2], 4, v[9:10]
	v_add_co_u32 v3, s1, v6, v3
	s_delay_alu instid0(VALU_DEP_1) | instskip(SKIP_1) | instid1(VALU_DEP_4)
	v_add_co_ci_u32_e64 v4, s1, v7, v4, s1
	v_mov_b32_e32 v9, v11
	v_add_co_u32 v1, s1, v5, v1
	s_delay_alu instid0(VALU_DEP_1) | instskip(SKIP_1) | instid1(VALU_DEP_1)
	v_add_co_ci_u32_e64 v2, s1, v8, v2, s1
	v_add_co_u32 v3, s1, v3, s28
	v_add_co_ci_u32_e64 v4, s1, s29, v4, s1
	s_delay_alu instid0(VALU_DEP_4) | instskip(NEXT) | instid1(VALU_DEP_1)
	v_add_co_u32 v5, s1, s22, v1
	v_add_co_ci_u32_e64 v6, s1, s23, v2, s1
	s_delay_alu instid0(VALU_DEP_4)
	v_add_co_u32 v7, s1, v3, 8
	v_mov_b32_e32 v20, v12
	v_mov_b32_e32 v18, v12
	v_mov_b32_e32 v24, v12
	v_dual_mov_b32 v22, v12 :: v_dual_mov_b32 v21, v11
	v_lshl_add_u32 v30, v26, 7, 0x1000
	v_add_co_ci_u32_e64 v8, s1, 0, v4, s1
	v_dual_mov_b32 v10, v12 :: v_dual_mov_b32 v19, v11
	v_mov_b32_e32 v13, v11
	v_mov_b32_e32 v17, v11
	;; [unrolled: 1-line block ×3, first 2 shown]
	s_lshl_b64 s[4:5], s[24:25], 7
	s_lshl_b64 s[12:13], s[30:31], 7
	s_xor_b32 s1, vcc_lo, -1
	s_branch .LBB1225_3
.LBB1225_2:                             ;   in Loop: Header=BB1225_3 Depth=1
	s_or_b32 exec_lo, exec_lo, s22
	s_waitcnt vmcnt(0)
	ds_store_b128 v32, v[1:4]
	s_waitcnt lgkmcnt(0)
	s_barrier
	buffer_gl0_inv
	ds_load_b128 v[1:4], v30
	ds_load_b128 v[33:36], v29
	ds_load_b128 v[37:40], v29 offset:256
	ds_load_b128 v[41:44], v30 offset:2048
	ds_load_b128 v[45:48], v30 offset:16
	ds_load_b128 v[49:52], v30 offset:2064
	ds_load_b128 v[53:56], v29 offset:512
	ds_load_b128 v[57:60], v29 offset:768
	ds_load_b128 v[61:64], v29 offset:1024
	ds_load_b128 v[65:68], v29 offset:1280
	ds_load_b128 v[69:72], v30 offset:2080
	s_add_u32 s2, s2, 8
	s_addc_u32 s3, s3, 0
	v_add_co_u32 v5, vcc_lo, v5, s4
	v_cmp_ge_i64_e64 s22, s[2:3], s[16:17]
	v_add_co_ci_u32_e32 v6, vcc_lo, s5, v6, vcc_lo
	v_add_co_u32 v7, vcc_lo, v7, s12
	v_add_co_ci_u32_e32 v8, vcc_lo, s13, v8, vcc_lo
	s_delay_alu instid0(VALU_DEP_4)
	s_and_b32 vcc_lo, exec_lo, s22
	s_waitcnt lgkmcnt(9)
	v_mul_f64 v[73:74], v[3:4], v[35:36]
	v_mul_f64 v[75:76], v[1:2], v[35:36]
	s_waitcnt lgkmcnt(8)
	v_mul_f64 v[77:78], v[3:4], v[39:40]
	v_mul_f64 v[79:80], v[1:2], v[39:40]
	s_waitcnt lgkmcnt(7)
	v_mul_f64 v[81:82], v[43:44], v[35:36]
	v_mul_f64 v[35:36], v[41:42], v[35:36]
	v_mul_f64 v[83:84], v[43:44], v[39:40]
	v_mul_f64 v[39:40], v[41:42], v[39:40]
	s_waitcnt lgkmcnt(4)
	v_mul_f64 v[85:86], v[47:48], v[55:56]
	v_mul_f64 v[87:88], v[45:46], v[55:56]
	s_waitcnt lgkmcnt(3)
	v_mul_f64 v[89:90], v[47:48], v[59:60]
	v_mul_f64 v[91:92], v[45:46], v[59:60]
	;; [unrolled: 1-line block ×6, first 2 shown]
	v_fma_f64 v[97:98], v[1:2], v[33:34], -v[73:74]
	v_fma_f64 v[99:100], v[3:4], v[33:34], v[75:76]
	ds_load_b128 v[73:76], v30 offset:32
	v_fma_f64 v[77:78], v[1:2], v[37:38], -v[77:78]
	v_fma_f64 v[79:80], v[3:4], v[37:38], v[79:80]
	v_fma_f64 v[81:82], v[41:42], v[33:34], -v[81:82]
	v_fma_f64 v[101:102], v[43:44], v[33:34], v[35:36]
	;; [unrolled: 2-line block ×3, first 2 shown]
	s_waitcnt lgkmcnt(1)
	v_mul_f64 v[113:114], v[71:72], v[63:64]
	v_fma_f64 v[85:86], v[45:46], v[53:54], -v[85:86]
	v_fma_f64 v[87:88], v[47:48], v[53:54], v[87:88]
	v_fma_f64 v[45:46], v[45:46], v[57:58], -v[89:90]
	v_fma_f64 v[47:48], v[47:48], v[57:58], v[91:92]
	v_mul_f64 v[89:90], v[71:72], v[67:68]
	v_fma_f64 v[91:92], v[49:50], v[53:54], -v[93:94]
	v_fma_f64 v[53:54], v[51:52], v[53:54], v[55:56]
	v_fma_f64 v[49:50], v[49:50], v[57:58], -v[95:96]
	v_fma_f64 v[51:52], v[51:52], v[57:58], v[59:60]
	ds_load_b128 v[1:4], v30 offset:48
	ds_load_b128 v[33:36], v30 offset:2096
	;; [unrolled: 1-line block ×4, first 2 shown]
	s_waitcnt lgkmcnt(4)
	v_mul_f64 v[105:106], v[75:76], v[63:64]
	v_mul_f64 v[107:108], v[73:74], v[63:64]
	;; [unrolled: 1-line block ×6, first 2 shown]
	s_waitcnt lgkmcnt(1)
	v_mul_f64 v[93:94], v[1:2], v[39:40]
	v_add_f64 v[21:22], v[21:22], v[97:98]
	v_add_f64 v[23:24], v[23:24], v[99:100]
	;; [unrolled: 1-line block ×8, first 2 shown]
	v_mul_f64 v[83:84], v[3:4], v[39:40]
	s_waitcnt lgkmcnt(0)
	v_mul_f64 v[95:96], v[3:4], v[43:44]
	v_mul_f64 v[97:98], v[1:2], v[43:44]
	v_mul_f64 v[99:100], v[35:36], v[39:40]
	v_mul_f64 v[39:40], v[33:34], v[39:40]
	v_mul_f64 v[101:102], v[35:36], v[43:44]
	v_mul_f64 v[103:104], v[33:34], v[43:44]
	ds_load_b128 v[9:12], v29 offset:2048
	ds_load_b128 v[13:16], v29 offset:2304
	;; [unrolled: 1-line block ×3, first 2 shown]
	v_fma_f64 v[105:106], v[73:74], v[61:62], -v[105:106]
	v_fma_f64 v[107:108], v[75:76], v[61:62], v[107:108]
	v_fma_f64 v[73:74], v[73:74], v[65:66], -v[109:110]
	v_fma_f64 v[75:76], v[75:76], v[65:66], v[111:112]
	;; [unrolled: 2-line block ×4, first 2 shown]
	s_waitcnt lgkmcnt(0)
	v_mul_f64 v[113:114], v[19:20], v[11:12]
	v_mul_f64 v[115:116], v[19:20], v[15:16]
	v_fma_f64 v[93:94], v[3:4], v[37:38], v[93:94]
	v_add_f64 v[67:68], v[21:22], v[85:86]
	v_add_f64 v[69:70], v[23:24], v[87:88]
	;; [unrolled: 1-line block ×8, first 2 shown]
	ds_load_b128 v[21:24], v30 offset:64
	v_fma_f64 v[83:84], v[1:2], v[37:38], -v[83:84]
	v_fma_f64 v[95:96], v[1:2], v[41:42], -v[95:96]
	v_fma_f64 v[97:98], v[3:4], v[41:42], v[97:98]
	v_fma_f64 v[99:100], v[33:34], v[37:38], -v[99:100]
	v_fma_f64 v[117:118], v[35:36], v[37:38], v[39:40]
	;; [unrolled: 2-line block ×3, first 2 shown]
	ds_load_b128 v[43:46], v30 offset:80
	ds_load_b128 v[47:50], v30 offset:2128
	;; [unrolled: 1-line block ×7, first 2 shown]
	s_waitcnt lgkmcnt(7)
	v_mul_f64 v[87:88], v[23:24], v[11:12]
	v_mul_f64 v[89:90], v[21:22], v[11:12]
	;; [unrolled: 1-line block ×6, first 2 shown]
	s_waitcnt lgkmcnt(3)
	v_mul_f64 v[103:104], v[49:50], v[57:58]
	v_add_f64 v[67:68], v[67:68], v[105:106]
	v_add_f64 v[69:70], v[69:70], v[107:108]
	;; [unrolled: 1-line block ×8, first 2 shown]
	v_mul_f64 v[75:76], v[45:46], v[53:54]
	v_mul_f64 v[77:78], v[43:44], v[53:54]
	v_mul_f64 v[79:80], v[45:46], v[57:58]
	v_mul_f64 v[81:82], v[43:44], v[57:58]
	v_mul_f64 v[85:86], v[49:50], v[53:54]
	v_mul_f64 v[53:54], v[47:48], v[53:54]
	v_mul_f64 v[105:106], v[47:48], v[57:58]
	v_fma_f64 v[109:110], v[17:18], v[9:10], -v[113:114]
	v_fma_f64 v[113:114], v[17:18], v[13:14], -v[115:116]
	;; [unrolled: 1-line block ×3, first 2 shown]
	v_fma_f64 v[89:90], v[23:24], v[9:10], v[89:90]
	v_fma_f64 v[91:92], v[21:22], v[13:14], -v[91:92]
	v_fma_f64 v[107:108], v[23:24], v[13:14], v[111:112]
	v_fma_f64 v[111:112], v[19:20], v[9:10], v[11:12]
	;; [unrolled: 1-line block ×3, first 2 shown]
	ds_load_b128 v[9:12], v30 offset:96
	v_add_f64 v[67:68], v[67:68], v[83:84]
	v_add_f64 v[69:70], v[69:70], v[93:94]
	;; [unrolled: 1-line block ×8, first 2 shown]
	s_waitcnt lgkmcnt(1)
	v_mul_f64 v[99:100], v[39:40], v[3:4]
	v_fma_f64 v[75:76], v[43:44], v[51:52], -v[75:76]
	v_fma_f64 v[77:78], v[45:46], v[51:52], v[77:78]
	v_fma_f64 v[43:44], v[43:44], v[55:56], -v[79:80]
	v_fma_f64 v[45:46], v[45:46], v[55:56], v[81:82]
	v_mul_f64 v[79:80], v[39:40], v[35:36]
	v_fma_f64 v[81:82], v[47:48], v[51:52], -v[85:86]
	v_fma_f64 v[51:52], v[49:50], v[51:52], v[53:54]
	s_waitcnt lgkmcnt(0)
	v_mul_f64 v[65:66], v[11:12], v[3:4]
	v_mul_f64 v[93:94], v[9:10], v[3:4]
	;; [unrolled: 1-line block ×6, first 2 shown]
	v_fma_f64 v[47:48], v[47:48], v[55:56], -v[103:104]
	v_fma_f64 v[49:50], v[49:50], v[55:56], v[105:106]
	ds_load_b128 v[13:16], v30 offset:112
	ds_load_b128 v[17:20], v30 offset:2160
	;; [unrolled: 1-line block ×4, first 2 shown]
	s_waitcnt lgkmcnt(0)
	s_barrier
	buffer_gl0_inv
	v_add_f64 v[53:54], v[67:68], v[87:88]
	v_add_f64 v[55:56], v[69:70], v[89:90]
	;; [unrolled: 1-line block ×8, first 2 shown]
	v_mul_f64 v[73:74], v[15:16], v[23:24]
	v_mul_f64 v[83:84], v[13:14], v[23:24]
	v_mul_f64 v[85:86], v[15:16], v[59:60]
	v_mul_f64 v[87:88], v[13:14], v[59:60]
	v_mul_f64 v[89:90], v[19:20], v[23:24]
	v_mul_f64 v[23:24], v[17:18], v[23:24]
	v_mul_f64 v[91:92], v[19:20], v[59:60]
	v_mul_f64 v[59:60], v[17:18], v[59:60]
	v_fma_f64 v[65:66], v[9:10], v[1:2], -v[65:66]
	v_fma_f64 v[93:94], v[11:12], v[1:2], v[93:94]
	v_fma_f64 v[9:10], v[9:10], v[33:34], -v[95:96]
	v_fma_f64 v[11:12], v[11:12], v[33:34], v[97:98]
	;; [unrolled: 2-line block ×4, first 2 shown]
	v_add_f64 v[35:36], v[53:54], v[75:76]
	v_add_f64 v[37:38], v[55:56], v[77:78]
	;; [unrolled: 1-line block ×8, first 2 shown]
	v_fma_f64 v[49:50], v[13:14], v[21:22], -v[73:74]
	v_fma_f64 v[53:54], v[15:16], v[21:22], v[83:84]
	v_fma_f64 v[13:14], v[13:14], v[57:58], -v[85:86]
	v_fma_f64 v[15:16], v[15:16], v[57:58], v[87:88]
	;; [unrolled: 2-line block ×4, first 2 shown]
	v_add_f64 v[17:18], v[35:36], v[65:66]
	v_add_f64 v[19:20], v[37:38], v[93:94]
	;; [unrolled: 1-line block ×16, first 2 shown]
	s_cbranch_vccnz .LBB1225_9
.LBB1225_3:                             ; =>This Inner Loop Header: Depth=1
	v_add_co_u32 v1, s22, v28, s2
	s_delay_alu instid0(VALU_DEP_1) | instskip(NEXT) | instid1(VALU_DEP_1)
	v_add_co_ci_u32_e64 v2, null, 0, s3, s22
	v_cmp_le_i64_e32 vcc_lo, s[16:17], v[1:2]
	s_or_b32 s22, s1, vcc_lo
	s_delay_alu instid0(SALU_CYCLE_1) | instskip(NEXT) | instid1(SALU_CYCLE_1)
	s_and_saveexec_b32 s23, s22
	s_xor_b32 s22, exec_lo, s23
	s_cbranch_execz .LBB1225_5
; %bb.4:                                ;   in Loop: Header=BB1225_3 Depth=1
	v_mov_b32_e32 v1, v0
	v_mov_b32_e32 v2, v0
	;; [unrolled: 1-line block ×3, first 2 shown]
	ds_store_b128 v31, v[0:3]
.LBB1225_5:                             ;   in Loop: Header=BB1225_3 Depth=1
	s_and_not1_saveexec_b32 s22, s22
	s_cbranch_execz .LBB1225_7
; %bb.6:                                ;   in Loop: Header=BB1225_3 Depth=1
	global_load_b128 v[1:4], v[5:6], off
	s_waitcnt vmcnt(0)
	ds_store_2addr_b64 v31, v[1:2], v[3:4] offset1:1
.LBB1225_7:                             ;   in Loop: Header=BB1225_3 Depth=1
	s_or_b32 exec_lo, exec_lo, s22
	v_add_co_u32 v3, s22, v27, s2
	s_delay_alu instid0(VALU_DEP_1) | instskip(SKIP_2) | instid1(VALU_DEP_3)
	v_add_co_ci_u32_e64 v4, null, 0, s3, s22
	v_mov_b32_e32 v1, 0
	v_mov_b32_e32 v2, 0
	v_cmp_gt_i64_e32 vcc_lo, s[16:17], v[3:4]
	s_delay_alu instid0(VALU_DEP_2) | instskip(SKIP_1) | instid1(SALU_CYCLE_1)
	v_dual_mov_b32 v4, v2 :: v_dual_mov_b32 v3, v1
	s_and_b32 s23, vcc_lo, s0
	s_and_saveexec_b32 s22, s23
	s_cbranch_execz .LBB1225_2
; %bb.8:                                ;   in Loop: Header=BB1225_3 Depth=1
	global_load_b128 v[1:4], v[7:8], off offset:-8
	s_branch .LBB1225_2
.LBB1225_9:
	v_add_nc_u32_e32 v4, s14, v26
	s_mul_i32 s1, s15, s39
	s_mul_hi_u32 s2, s15, s38
	s_mul_i32 s0, s15, s38
	s_add_i32 s1, s2, s1
	v_ashrrev_i32_e32 v0, 31, v4
	v_mul_lo_u32 v3, v4, s37
	v_mad_u64_u32 v[1:2], null, v4, s36, 0
	s_lshl_b64 s[2:3], s[0:1], 4
	s_delay_alu instid0(VALU_DEP_3) | instskip(SKIP_2) | instid1(VALU_DEP_1)
	v_mul_lo_u32 v0, v0, s36
	s_add_u32 s2, s10, s2
	s_addc_u32 s3, s11, s3
	v_add3_u32 v2, v2, v3, v0
	v_add_nc_u32_e32 v0, s34, v25
	s_delay_alu instid0(VALU_DEP_2) | instskip(NEXT) | instid1(VALU_DEP_2)
	v_lshlrev_b64 v[1:2], 4, v[1:2]
	v_cmp_le_i32_e64 s0, v4, v0
	v_cmp_gt_i32_e32 vcc_lo, s33, v0
	s_delay_alu instid0(VALU_DEP_3) | instskip(NEXT) | instid1(VALU_DEP_1)
	v_add_co_u32 v5, s1, s2, v1
	v_add_co_ci_u32_e64 v6, s1, s3, v2, s1
	s_delay_alu instid0(VALU_DEP_4) | instskip(NEXT) | instid1(SALU_CYCLE_1)
	s_and_b32 s0, s0, vcc_lo
	s_and_saveexec_b32 s1, s0
	s_cbranch_execz .LBB1225_11
; %bb.10:
	v_ashrrev_i32_e32 v1, 31, v0
	v_mul_f64 v[7:8], s[20:21], v[23:24]
	v_mul_f64 v[23:24], s[18:19], v[23:24]
	s_delay_alu instid0(VALU_DEP_3) | instskip(NEXT) | instid1(VALU_DEP_1)
	v_lshlrev_b64 v[1:2], 4, v[0:1]
	v_add_co_u32 v1, s0, v5, v1
	s_delay_alu instid0(VALU_DEP_1)
	v_add_co_ci_u32_e64 v2, s0, v6, v2, s0
	global_load_b128 v[25:28], v[1:2], off
	v_fma_f64 v[7:8], s[18:19], v[21:22], -v[7:8]
	v_fma_f64 v[23:24], s[20:21], v[21:22], v[23:24]
	s_waitcnt vmcnt(0)
	v_mul_f64 v[29:30], s[8:9], v[27:28]
	v_mul_f64 v[27:28], s[6:7], v[27:28]
	s_delay_alu instid0(VALU_DEP_2) | instskip(NEXT) | instid1(VALU_DEP_2)
	v_fma_f64 v[21:22], s[6:7], v[25:26], -v[29:30]
	v_fma_f64 v[25:26], s[8:9], v[25:26], v[27:28]
	s_delay_alu instid0(VALU_DEP_2) | instskip(NEXT) | instid1(VALU_DEP_2)
	v_add_f64 v[21:22], v[7:8], v[21:22]
	v_add_f64 v[23:24], v[23:24], v[25:26]
	global_store_b128 v[1:2], v[21:24], off
.LBB1225_11:
	s_or_b32 exec_lo, exec_lo, s1
	v_add_nc_u32_e32 v2, 16, v0
	s_delay_alu instid0(VALU_DEP_1) | instskip(SKIP_1) | instid1(VALU_DEP_1)
	v_cmp_le_i32_e64 s1, v4, v2
	v_cmp_gt_i32_e64 s0, s33, v2
	s_and_b32 s1, s1, s0
	s_delay_alu instid0(SALU_CYCLE_1)
	s_and_saveexec_b32 s4, s1
	s_cbranch_execz .LBB1225_13
; %bb.12:
	v_ashrrev_i32_e32 v3, 31, v2
	v_mul_f64 v[23:24], s[20:21], v[19:20]
	v_mul_f64 v[19:20], s[18:19], v[19:20]
	s_delay_alu instid0(VALU_DEP_3) | instskip(NEXT) | instid1(VALU_DEP_1)
	v_lshlrev_b64 v[7:8], 4, v[2:3]
	v_add_co_u32 v21, s1, v5, v7
	s_delay_alu instid0(VALU_DEP_1)
	v_add_co_ci_u32_e64 v22, s1, v6, v8, s1
	global_load_b128 v[5:8], v[21:22], off
	v_fma_f64 v[23:24], s[18:19], v[17:18], -v[23:24]
	v_fma_f64 v[17:18], s[20:21], v[17:18], v[19:20]
	s_waitcnt vmcnt(0)
	v_mul_f64 v[25:26], s[8:9], v[7:8]
	v_mul_f64 v[7:8], s[6:7], v[7:8]
	s_delay_alu instid0(VALU_DEP_2) | instskip(NEXT) | instid1(VALU_DEP_2)
	v_fma_f64 v[19:20], s[6:7], v[5:6], -v[25:26]
	v_fma_f64 v[7:8], s[8:9], v[5:6], v[7:8]
	s_delay_alu instid0(VALU_DEP_2) | instskip(NEXT) | instid1(VALU_DEP_2)
	v_add_f64 v[5:6], v[23:24], v[19:20]
	v_add_f64 v[7:8], v[17:18], v[7:8]
	global_store_b128 v[21:22], v[5:8], off
.LBB1225_13:
	s_or_b32 exec_lo, exec_lo, s4
	v_add_nc_u32_e32 v3, 16, v4
	s_delay_alu instid0(VALU_DEP_1) | instskip(SKIP_3) | instid1(VALU_DEP_4)
	v_ashrrev_i32_e32 v1, 31, v3
	v_mul_lo_u32 v6, v3, s37
	v_mad_u64_u32 v[4:5], null, v3, s36, 0
	v_cmp_le_i32_e64 s1, v3, v0
	v_mul_lo_u32 v1, v1, s36
	s_delay_alu instid0(VALU_DEP_1) | instskip(NEXT) | instid1(VALU_DEP_1)
	v_add3_u32 v5, v5, v6, v1
	v_lshlrev_b64 v[4:5], 4, v[4:5]
	s_delay_alu instid0(VALU_DEP_1) | instskip(NEXT) | instid1(VALU_DEP_1)
	v_add_co_u32 v4, s2, s2, v4
	v_add_co_ci_u32_e64 v5, s2, s3, v5, s2
	s_and_b32 s2, s1, vcc_lo
	s_delay_alu instid0(SALU_CYCLE_1)
	s_and_saveexec_b32 s1, s2
	s_cbranch_execz .LBB1225_15
; %bb.14:
	v_ashrrev_i32_e32 v1, 31, v0
	v_mul_f64 v[6:7], s[20:21], v[15:16]
	v_mul_f64 v[15:16], s[18:19], v[15:16]
	s_delay_alu instid0(VALU_DEP_3) | instskip(NEXT) | instid1(VALU_DEP_1)
	v_lshlrev_b64 v[0:1], 4, v[0:1]
	v_add_co_u32 v0, vcc_lo, v4, v0
	s_delay_alu instid0(VALU_DEP_2)
	v_add_co_ci_u32_e32 v1, vcc_lo, v5, v1, vcc_lo
	global_load_b128 v[17:20], v[0:1], off
	v_fma_f64 v[6:7], s[18:19], v[13:14], -v[6:7]
	v_fma_f64 v[15:16], s[20:21], v[13:14], v[15:16]
	s_waitcnt vmcnt(0)
	v_mul_f64 v[21:22], s[8:9], v[19:20]
	v_mul_f64 v[19:20], s[6:7], v[19:20]
	s_delay_alu instid0(VALU_DEP_2) | instskip(NEXT) | instid1(VALU_DEP_2)
	v_fma_f64 v[13:14], s[6:7], v[17:18], -v[21:22]
	v_fma_f64 v[17:18], s[8:9], v[17:18], v[19:20]
	s_delay_alu instid0(VALU_DEP_2) | instskip(NEXT) | instid1(VALU_DEP_2)
	v_add_f64 v[13:14], v[6:7], v[13:14]
	v_add_f64 v[15:16], v[15:16], v[17:18]
	global_store_b128 v[0:1], v[13:16], off
.LBB1225_15:
	s_or_b32 exec_lo, exec_lo, s1
	v_cmp_le_i32_e32 vcc_lo, v3, v2
	s_and_b32 s0, vcc_lo, s0
	s_delay_alu instid0(SALU_CYCLE_1)
	s_and_saveexec_b32 s1, s0
	s_cbranch_execz .LBB1225_17
; %bb.16:
	v_ashrrev_i32_e32 v3, 31, v2
	v_mul_f64 v[6:7], s[20:21], v[11:12]
	v_mul_f64 v[11:12], s[18:19], v[11:12]
	s_delay_alu instid0(VALU_DEP_3) | instskip(NEXT) | instid1(VALU_DEP_1)
	v_lshlrev_b64 v[0:1], 4, v[2:3]
	v_add_co_u32 v4, vcc_lo, v4, v0
	s_delay_alu instid0(VALU_DEP_2)
	v_add_co_ci_u32_e32 v5, vcc_lo, v5, v1, vcc_lo
	global_load_b128 v[0:3], v[4:5], off
	v_fma_f64 v[6:7], s[18:19], v[9:10], -v[6:7]
	v_fma_f64 v[8:9], s[20:21], v[9:10], v[11:12]
	s_waitcnt vmcnt(0)
	v_mul_f64 v[13:14], s[8:9], v[2:3]
	v_mul_f64 v[2:3], s[6:7], v[2:3]
	s_delay_alu instid0(VALU_DEP_2) | instskip(NEXT) | instid1(VALU_DEP_2)
	v_fma_f64 v[10:11], s[6:7], v[0:1], -v[13:14]
	v_fma_f64 v[2:3], s[8:9], v[0:1], v[2:3]
	s_delay_alu instid0(VALU_DEP_2) | instskip(NEXT) | instid1(VALU_DEP_2)
	v_add_f64 v[0:1], v[6:7], v[10:11]
	v_add_f64 v[2:3], v[8:9], v[2:3]
	global_store_b128 v[4:5], v[0:3], off
.LBB1225_17:
	s_nop 0
	s_sendmsg sendmsg(MSG_DEALLOC_VGPRS)
	s_endpgm
	.section	.rodata,"a",@progbits
	.p2align	6, 0x0
	.amdhsa_kernel _ZL34rocblas_syrkx_herkx_general_kernelIl19rocblas_complex_numIdELi16ELi32ELi8ELb0ELb0ELc78ELc76EKS1_S1_EviT_T0_PT8_S3_lS6_S3_lS4_PT9_S3_li
		.amdhsa_group_segment_fixed_size 8192
		.amdhsa_private_segment_fixed_size 0
		.amdhsa_kernarg_size 124
		.amdhsa_user_sgpr_count 13
		.amdhsa_user_sgpr_dispatch_ptr 0
		.amdhsa_user_sgpr_queue_ptr 0
		.amdhsa_user_sgpr_kernarg_segment_ptr 1
		.amdhsa_user_sgpr_dispatch_id 0
		.amdhsa_user_sgpr_private_segment_size 0
		.amdhsa_wavefront_size32 1
		.amdhsa_uses_dynamic_stack 0
		.amdhsa_enable_private_segment 0
		.amdhsa_system_sgpr_workgroup_id_x 1
		.amdhsa_system_sgpr_workgroup_id_y 1
		.amdhsa_system_sgpr_workgroup_id_z 1
		.amdhsa_system_sgpr_workgroup_info 0
		.amdhsa_system_vgpr_workitem_id 1
		.amdhsa_next_free_vgpr 119
		.amdhsa_next_free_sgpr 40
		.amdhsa_reserve_vcc 1
		.amdhsa_float_round_mode_32 0
		.amdhsa_float_round_mode_16_64 0
		.amdhsa_float_denorm_mode_32 3
		.amdhsa_float_denorm_mode_16_64 3
		.amdhsa_dx10_clamp 1
		.amdhsa_ieee_mode 1
		.amdhsa_fp16_overflow 0
		.amdhsa_workgroup_processor_mode 1
		.amdhsa_memory_ordered 1
		.amdhsa_forward_progress 0
		.amdhsa_shared_vgpr_count 0
		.amdhsa_exception_fp_ieee_invalid_op 0
		.amdhsa_exception_fp_denorm_src 0
		.amdhsa_exception_fp_ieee_div_zero 0
		.amdhsa_exception_fp_ieee_overflow 0
		.amdhsa_exception_fp_ieee_underflow 0
		.amdhsa_exception_fp_ieee_inexact 0
		.amdhsa_exception_int_div_zero 0
	.end_amdhsa_kernel
	.section	.text._ZL34rocblas_syrkx_herkx_general_kernelIl19rocblas_complex_numIdELi16ELi32ELi8ELb0ELb0ELc78ELc76EKS1_S1_EviT_T0_PT8_S3_lS6_S3_lS4_PT9_S3_li,"axG",@progbits,_ZL34rocblas_syrkx_herkx_general_kernelIl19rocblas_complex_numIdELi16ELi32ELi8ELb0ELb0ELc78ELc76EKS1_S1_EviT_T0_PT8_S3_lS6_S3_lS4_PT9_S3_li,comdat
.Lfunc_end1225:
	.size	_ZL34rocblas_syrkx_herkx_general_kernelIl19rocblas_complex_numIdELi16ELi32ELi8ELb0ELb0ELc78ELc76EKS1_S1_EviT_T0_PT8_S3_lS6_S3_lS4_PT9_S3_li, .Lfunc_end1225-_ZL34rocblas_syrkx_herkx_general_kernelIl19rocblas_complex_numIdELi16ELi32ELi8ELb0ELb0ELc78ELc76EKS1_S1_EviT_T0_PT8_S3_lS6_S3_lS4_PT9_S3_li
                                        ; -- End function
	.section	.AMDGPU.csdata,"",@progbits
; Kernel info:
; codeLenInByte = 3612
; NumSgprs: 42
; NumVgprs: 119
; ScratchSize: 0
; MemoryBound: 1
; FloatMode: 240
; IeeeMode: 1
; LDSByteSize: 8192 bytes/workgroup (compile time only)
; SGPRBlocks: 5
; VGPRBlocks: 14
; NumSGPRsForWavesPerEU: 42
; NumVGPRsForWavesPerEU: 119
; Occupancy: 12
; WaveLimiterHint : 0
; COMPUTE_PGM_RSRC2:SCRATCH_EN: 0
; COMPUTE_PGM_RSRC2:USER_SGPR: 13
; COMPUTE_PGM_RSRC2:TRAP_HANDLER: 0
; COMPUTE_PGM_RSRC2:TGID_X_EN: 1
; COMPUTE_PGM_RSRC2:TGID_Y_EN: 1
; COMPUTE_PGM_RSRC2:TGID_Z_EN: 1
; COMPUTE_PGM_RSRC2:TIDIG_COMP_CNT: 1
	.section	.text._ZL34rocblas_syrkx_herkx_general_kernelIl19rocblas_complex_numIdELi16ELi32ELi8ELb0ELb0ELc84ELc85EKS1_S1_EviT_T0_PT8_S3_lS6_S3_lS4_PT9_S3_li,"axG",@progbits,_ZL34rocblas_syrkx_herkx_general_kernelIl19rocblas_complex_numIdELi16ELi32ELi8ELb0ELb0ELc84ELc85EKS1_S1_EviT_T0_PT8_S3_lS6_S3_lS4_PT9_S3_li,comdat
	.globl	_ZL34rocblas_syrkx_herkx_general_kernelIl19rocblas_complex_numIdELi16ELi32ELi8ELb0ELb0ELc84ELc85EKS1_S1_EviT_T0_PT8_S3_lS6_S3_lS4_PT9_S3_li ; -- Begin function _ZL34rocblas_syrkx_herkx_general_kernelIl19rocblas_complex_numIdELi16ELi32ELi8ELb0ELb0ELc84ELc85EKS1_S1_EviT_T0_PT8_S3_lS6_S3_lS4_PT9_S3_li
	.p2align	8
	.type	_ZL34rocblas_syrkx_herkx_general_kernelIl19rocblas_complex_numIdELi16ELi32ELi8ELb0ELb0ELc84ELc85EKS1_S1_EviT_T0_PT8_S3_lS6_S3_lS4_PT9_S3_li,@function
_ZL34rocblas_syrkx_herkx_general_kernelIl19rocblas_complex_numIdELi16ELi32ELi8ELb0ELb0ELc84ELc85EKS1_S1_EviT_T0_PT8_S3_lS6_S3_lS4_PT9_S3_li: ; @_ZL34rocblas_syrkx_herkx_general_kernelIl19rocblas_complex_numIdELi16ELi32ELi8ELb0ELb0ELc84ELc85EKS1_S1_EviT_T0_PT8_S3_lS6_S3_lS4_PT9_S3_li
; %bb.0:
	s_clause 0x3
	s_load_b512 s[16:31], s[0:1], 0x8
	s_load_b32 s12, s[0:1], 0x0
	s_load_b128 s[36:39], s[0:1], 0x68
	s_load_b256 s[4:11], s[0:1], 0x48
	v_mov_b32_e32 v20, 0
	v_dual_mov_b32 v21, 0 :: v_dual_and_b32 v24, 0x3ff, v0
	v_bfe_u32 v25, v0, 10, 10
	s_delay_alu instid0(VALU_DEP_3) | instskip(NEXT) | instid1(VALU_DEP_3)
	v_mov_b32_e32 v12, v20
	v_dual_mov_b32 v16, v20 :: v_dual_mov_b32 v17, v21
	v_dual_mov_b32 v23, v21 :: v_dual_mov_b32 v22, v20
	;; [unrolled: 1-line block ×5, first 2 shown]
	v_mov_b32_e32 v9, v21
	s_waitcnt lgkmcnt(0)
	v_cmp_lt_i64_e64 s0, s[16:17], 1
	v_dual_mov_b32 v10, v20 :: v_dual_mov_b32 v11, v21
	s_lshl_b32 s13, s13, 5
	s_lshl_b32 s14, s14, 5
	s_mov_b64 s[2:3], 0
	s_delay_alu instid0(VALU_DEP_2)
	s_and_b32 vcc_lo, exec_lo, s0
	s_cbranch_vccnz .LBB1226_11
; %bb.1:
	v_lshl_add_u32 v1, v25, 4, v24
	v_dual_mov_b32 v0, 0 :: v_dual_lshlrev_b32 v27, 4, v24
	v_and_b32_e32 v26, 7, v24
	s_mul_i32 s1, s27, s15
	s_delay_alu instid0(VALU_DEP_3)
	v_and_b32_e32 v3, 31, v1
	v_lshrrev_b32_e32 v29, 5, v1
	v_lshrrev_b32_e32 v5, 3, v1
	s_mul_hi_u32 s27, s26, s15
	s_mul_i32 s0, s26, s15
	v_or_b32_e32 v10, s13, v3
	v_lshlrev_b32_e32 v11, 4, v3
	s_add_i32 s1, s27, s1
	v_lshl_add_u32 v28, v25, 7, 0x1000
	s_delay_alu instid0(VALU_DEP_3) | instskip(NEXT) | instid1(VALU_DEP_3)
	v_cmp_gt_i32_e32 vcc_lo, s12, v10
	v_lshl_or_b32 v30, v29, 9, v11
	v_mov_b32_e32 v10, 0
	v_dual_mov_b32 v11, 0 :: v_dual_add_nc_u32 v4, s13, v3
	v_add_nc_u32_e32 v7, s14, v5
	v_lshlrev_b32_e32 v9, 4, v26
	s_delay_alu instid0(VALU_DEP_3) | instskip(NEXT) | instid1(VALU_DEP_4)
	v_mov_b32_e32 v19, v11
	v_ashrrev_i32_e32 v6, 31, v4
	v_mul_lo_u32 v8, s25, v4
	v_mad_u64_u32 v[1:2], null, s24, v4, 0
	v_ashrrev_i32_e32 v12, 31, v7
	s_delay_alu instid0(VALU_DEP_4)
	v_mul_lo_u32 v6, s24, v6
	v_mul_lo_u32 v13, s31, v7
	v_mad_u64_u32 v[3:4], null, s30, v7, 0
	v_mov_b32_e32 v18, v10
	v_lshl_or_b32 v5, v5, 7, v9
	s_lshl_b64 s[24:25], s[0:1], 4
	v_mov_b32_e32 v17, v11
	v_add3_u32 v2, v2, v6, v8
	v_mul_lo_u32 v6, s30, v12
	v_add_nc_u32_e32 v31, 0x1000, v5
	v_mov_b32_e32 v15, v11
	v_dual_mov_b32 v23, v11 :: v_dual_mov_b32 v22, v10
	v_lshlrev_b64 v[1:2], 4, v[1:2]
	v_dual_mov_b32 v21, v11 :: v_dual_mov_b32 v14, v10
	v_add3_u32 v4, v4, v6, v13
	v_dual_mov_b32 v16, v10 :: v_dual_mov_b32 v13, v11
	s_delay_alu instid0(VALU_DEP_4) | instskip(NEXT) | instid1(VALU_DEP_1)
	v_add_co_u32 v5, s1, v1, s24
	v_add_co_ci_u32_e64 v6, s1, s25, v2, s1
	s_mul_i32 s1, s5, s15
	s_mul_hi_u32 s5, s4, s15
	v_lshlrev_b64 v[1:2], 4, v[3:4]
	s_add_i32 s5, s5, s1
	s_mul_i32 s4, s4, s15
	v_lshlrev_b32_e32 v3, 4, v29
	s_lshl_b64 s[4:5], s[4:5], 4
	v_mov_b32_e32 v12, v10
	v_add_co_u32 v1, s1, v1, s4
	s_delay_alu instid0(VALU_DEP_1) | instskip(SKIP_1) | instid1(VALU_DEP_1)
	v_add_co_ci_u32_e64 v2, s1, s5, v2, s1
	v_add_co_u32 v3, s1, v5, v3
	v_add_co_ci_u32_e64 v5, s1, 0, v6, s1
	s_delay_alu instid0(VALU_DEP_4) | instskip(NEXT) | instid1(VALU_DEP_1)
	v_add_co_u32 v1, s1, v1, v9
	v_add_co_ci_u32_e64 v2, s1, 0, v2, s1
	s_delay_alu instid0(VALU_DEP_4) | instskip(NEXT) | instid1(VALU_DEP_1)
	v_add_co_u32 v4, s1, s22, v3
	v_add_co_ci_u32_e64 v5, s1, s23, v5, s1
	s_delay_alu instid0(VALU_DEP_4)
	v_add_co_u32 v6, s1, s28, v1
	v_mov_b32_e32 v8, v10
	v_cmp_gt_i32_e64 s0, s12, v7
	v_add_co_ci_u32_e64 v7, s1, s29, v2, s1
	v_dual_mov_b32 v9, v11 :: v_dual_mov_b32 v20, v10
	s_xor_b32 s1, vcc_lo, -1
	s_delay_alu instid0(VALU_DEP_3)
	s_xor_b32 s0, s0, -1
	s_branch .LBB1226_3
.LBB1226_2:                             ;   in Loop: Header=BB1226_3 Depth=1
	s_or_b32 exec_lo, exec_lo, s4
	s_waitcnt lgkmcnt(0)
	s_barrier
	buffer_gl0_inv
	ds_load_b128 v[32:35], v28
	ds_load_b128 v[36:39], v28 offset:16
	ds_load_b128 v[40:43], v28 offset:32
	;; [unrolled: 1-line block ×3, first 2 shown]
	ds_load_b128 v[48:51], v27
	s_add_u32 s2, s2, 8
	s_addc_u32 s3, s3, 0
	v_add_co_u32 v4, vcc_lo, 0x80, v4
	v_add_co_ci_u32_e32 v5, vcc_lo, 0, v5, vcc_lo
	v_cmp_ge_i64_e64 s4, s[2:3], s[16:17]
	v_add_co_u32 v6, vcc_lo, 0x80, v6
	v_add_co_ci_u32_e32 v7, vcc_lo, 0, v7, vcc_lo
	s_delay_alu instid0(VALU_DEP_3) | instskip(SKIP_3) | instid1(VALU_DEP_2)
	s_and_b32 vcc_lo, exec_lo, s4
	s_waitcnt lgkmcnt(0)
	v_mul_f64 v[1:2], v[34:35], v[50:51]
	v_mul_f64 v[52:53], v[32:33], v[50:51]
	v_fma_f64 v[1:2], v[32:33], v[48:49], -v[1:2]
	s_delay_alu instid0(VALU_DEP_2) | instskip(NEXT) | instid1(VALU_DEP_2)
	v_fma_f64 v[52:53], v[34:35], v[48:49], v[52:53]
	v_add_f64 v[1:2], v[20:21], v[1:2]
	s_delay_alu instid0(VALU_DEP_2) | instskip(SKIP_3) | instid1(VALU_DEP_1)
	v_add_f64 v[52:53], v[22:23], v[52:53]
	ds_load_b128 v[20:23], v27 offset:256
	s_waitcnt lgkmcnt(0)
	v_mul_f64 v[54:55], v[34:35], v[22:23]
	v_fma_f64 v[54:55], v[32:33], v[20:21], -v[54:55]
	v_mul_f64 v[32:33], v[32:33], v[22:23]
	s_delay_alu instid0(VALU_DEP_2) | instskip(NEXT) | instid1(VALU_DEP_2)
	v_add_f64 v[54:55], v[12:13], v[54:55]
	v_fma_f64 v[32:33], v[34:35], v[20:21], v[32:33]
	s_delay_alu instid0(VALU_DEP_1) | instskip(SKIP_4) | instid1(VALU_DEP_2)
	v_add_f64 v[16:17], v[16:17], v[32:33]
	ds_load_b128 v[32:35], v28 offset:2048
	s_waitcnt lgkmcnt(0)
	v_mul_f64 v[12:13], v[34:35], v[50:51]
	v_mul_f64 v[50:51], v[32:33], v[50:51]
	v_fma_f64 v[12:13], v[32:33], v[48:49], -v[12:13]
	s_delay_alu instid0(VALU_DEP_2) | instskip(NEXT) | instid1(VALU_DEP_2)
	v_fma_f64 v[48:49], v[34:35], v[48:49], v[50:51]
	v_add_f64 v[50:51], v[14:15], v[12:13]
	v_mul_f64 v[12:13], v[34:35], v[22:23]
	v_mul_f64 v[14:15], v[32:33], v[22:23]
	s_delay_alu instid0(VALU_DEP_4) | instskip(NEXT) | instid1(VALU_DEP_3)
	v_add_f64 v[48:49], v[18:19], v[48:49]
	v_fma_f64 v[12:13], v[32:33], v[20:21], -v[12:13]
	s_delay_alu instid0(VALU_DEP_3) | instskip(NEXT) | instid1(VALU_DEP_2)
	v_fma_f64 v[14:15], v[34:35], v[20:21], v[14:15]
	v_add_f64 v[20:21], v[8:9], v[12:13]
	s_delay_alu instid0(VALU_DEP_2) | instskip(SKIP_4) | instid1(VALU_DEP_2)
	v_add_f64 v[22:23], v[10:11], v[14:15]
	ds_load_b128 v[8:11], v27 offset:512
	s_waitcnt lgkmcnt(0)
	v_mul_f64 v[12:13], v[38:39], v[10:11]
	v_mul_f64 v[14:15], v[36:37], v[10:11]
	v_fma_f64 v[12:13], v[36:37], v[8:9], -v[12:13]
	s_delay_alu instid0(VALU_DEP_2) | instskip(NEXT) | instid1(VALU_DEP_2)
	v_fma_f64 v[14:15], v[38:39], v[8:9], v[14:15]
	v_add_f64 v[1:2], v[1:2], v[12:13]
	s_delay_alu instid0(VALU_DEP_2) | instskip(SKIP_4) | instid1(VALU_DEP_2)
	v_add_f64 v[32:33], v[52:53], v[14:15]
	ds_load_b128 v[12:15], v27 offset:768
	s_waitcnt lgkmcnt(0)
	v_mul_f64 v[18:19], v[38:39], v[14:15]
	v_mul_f64 v[34:35], v[36:37], v[14:15]
	v_fma_f64 v[18:19], v[36:37], v[12:13], -v[18:19]
	s_delay_alu instid0(VALU_DEP_2) | instskip(NEXT) | instid1(VALU_DEP_2)
	v_fma_f64 v[34:35], v[38:39], v[12:13], v[34:35]
	v_add_f64 v[36:37], v[54:55], v[18:19]
	s_delay_alu instid0(VALU_DEP_2) | instskip(SKIP_4) | instid1(VALU_DEP_2)
	v_add_f64 v[34:35], v[16:17], v[34:35]
	ds_load_b128 v[16:19], v28 offset:2064
	s_waitcnt lgkmcnt(0)
	v_mul_f64 v[38:39], v[18:19], v[10:11]
	v_mul_f64 v[10:11], v[16:17], v[10:11]
	v_fma_f64 v[38:39], v[16:17], v[8:9], -v[38:39]
	s_delay_alu instid0(VALU_DEP_2) | instskip(SKIP_1) | instid1(VALU_DEP_3)
	v_fma_f64 v[8:9], v[18:19], v[8:9], v[10:11]
	v_mul_f64 v[10:11], v[16:17], v[14:15]
	v_add_f64 v[38:39], v[50:51], v[38:39]
	s_delay_alu instid0(VALU_DEP_3) | instskip(SKIP_1) | instid1(VALU_DEP_4)
	v_add_f64 v[48:49], v[48:49], v[8:9]
	v_mul_f64 v[8:9], v[18:19], v[14:15]
	v_fma_f64 v[10:11], v[18:19], v[12:13], v[10:11]
	s_delay_alu instid0(VALU_DEP_2) | instskip(NEXT) | instid1(VALU_DEP_2)
	v_fma_f64 v[8:9], v[16:17], v[12:13], -v[8:9]
	v_add_f64 v[22:23], v[22:23], v[10:11]
	s_delay_alu instid0(VALU_DEP_2) | instskip(SKIP_4) | instid1(VALU_DEP_2)
	v_add_f64 v[20:21], v[20:21], v[8:9]
	ds_load_b128 v[8:11], v27 offset:1024
	s_waitcnt lgkmcnt(0)
	v_mul_f64 v[12:13], v[42:43], v[10:11]
	v_mul_f64 v[14:15], v[40:41], v[10:11]
	v_fma_f64 v[12:13], v[40:41], v[8:9], -v[12:13]
	s_delay_alu instid0(VALU_DEP_2) | instskip(NEXT) | instid1(VALU_DEP_2)
	v_fma_f64 v[14:15], v[42:43], v[8:9], v[14:15]
	v_add_f64 v[1:2], v[1:2], v[12:13]
	s_delay_alu instid0(VALU_DEP_2) | instskip(SKIP_4) | instid1(VALU_DEP_2)
	v_add_f64 v[32:33], v[32:33], v[14:15]
	ds_load_b128 v[12:15], v27 offset:1280
	s_waitcnt lgkmcnt(0)
	v_mul_f64 v[16:17], v[42:43], v[14:15]
	v_mul_f64 v[18:19], v[40:41], v[14:15]
	v_fma_f64 v[16:17], v[40:41], v[12:13], -v[16:17]
	s_delay_alu instid0(VALU_DEP_2) | instskip(NEXT) | instid1(VALU_DEP_2)
	v_fma_f64 v[18:19], v[42:43], v[12:13], v[18:19]
	v_add_f64 v[36:37], v[36:37], v[16:17]
	s_delay_alu instid0(VALU_DEP_2) | instskip(SKIP_4) | instid1(VALU_DEP_2)
	v_add_f64 v[34:35], v[34:35], v[18:19]
	ds_load_b128 v[16:19], v28 offset:2080
	s_waitcnt lgkmcnt(0)
	v_mul_f64 v[40:41], v[18:19], v[10:11]
	v_mul_f64 v[10:11], v[16:17], v[10:11]
	v_fma_f64 v[40:41], v[16:17], v[8:9], -v[40:41]
	s_delay_alu instid0(VALU_DEP_2) | instskip(SKIP_1) | instid1(VALU_DEP_3)
	v_fma_f64 v[8:9], v[18:19], v[8:9], v[10:11]
	v_mul_f64 v[10:11], v[16:17], v[14:15]
	v_add_f64 v[38:39], v[38:39], v[40:41]
	s_delay_alu instid0(VALU_DEP_3) | instskip(SKIP_1) | instid1(VALU_DEP_4)
	v_add_f64 v[40:41], v[48:49], v[8:9]
	v_mul_f64 v[8:9], v[18:19], v[14:15]
	v_fma_f64 v[10:11], v[18:19], v[12:13], v[10:11]
	s_delay_alu instid0(VALU_DEP_2) | instskip(NEXT) | instid1(VALU_DEP_2)
	v_fma_f64 v[8:9], v[16:17], v[12:13], -v[8:9]
	;; [unrolled: 38-line block ×3, first 2 shown]
	v_add_f64 v[22:23], v[22:23], v[10:11]
	s_delay_alu instid0(VALU_DEP_2)
	v_add_f64 v[20:21], v[20:21], v[8:9]
	ds_load_b128 v[8:11], v28 offset:64
	ds_load_b128 v[12:15], v27 offset:2048
	s_waitcnt lgkmcnt(0)
	v_mul_f64 v[16:17], v[10:11], v[14:15]
	v_mul_f64 v[18:19], v[8:9], v[14:15]
	s_delay_alu instid0(VALU_DEP_2) | instskip(NEXT) | instid1(VALU_DEP_2)
	v_fma_f64 v[16:17], v[8:9], v[12:13], -v[16:17]
	v_fma_f64 v[18:19], v[10:11], v[12:13], v[18:19]
	s_delay_alu instid0(VALU_DEP_2) | instskip(NEXT) | instid1(VALU_DEP_2)
	v_add_f64 v[1:2], v[1:2], v[16:17]
	v_add_f64 v[32:33], v[32:33], v[18:19]
	ds_load_b128 v[16:19], v27 offset:2304
	s_waitcnt lgkmcnt(0)
	v_mul_f64 v[42:43], v[10:11], v[18:19]
	s_delay_alu instid0(VALU_DEP_1) | instskip(SKIP_1) | instid1(VALU_DEP_2)
	v_fma_f64 v[42:43], v[8:9], v[16:17], -v[42:43]
	v_mul_f64 v[8:9], v[8:9], v[18:19]
	v_add_f64 v[36:37], v[36:37], v[42:43]
	s_delay_alu instid0(VALU_DEP_2) | instskip(NEXT) | instid1(VALU_DEP_1)
	v_fma_f64 v[8:9], v[10:11], v[16:17], v[8:9]
	v_add_f64 v[34:35], v[34:35], v[8:9]
	ds_load_b128 v[8:11], v28 offset:2112
	s_waitcnt lgkmcnt(0)
	v_mul_f64 v[42:43], v[10:11], v[14:15]
	v_mul_f64 v[14:15], v[8:9], v[14:15]
	s_delay_alu instid0(VALU_DEP_2) | instskip(NEXT) | instid1(VALU_DEP_2)
	v_fma_f64 v[42:43], v[8:9], v[12:13], -v[42:43]
	v_fma_f64 v[12:13], v[10:11], v[12:13], v[14:15]
	s_delay_alu instid0(VALU_DEP_2) | instskip(NEXT) | instid1(VALU_DEP_2)
	v_add_f64 v[38:39], v[38:39], v[42:43]
	v_add_f64 v[40:41], v[40:41], v[12:13]
	v_mul_f64 v[12:13], v[10:11], v[18:19]
	s_delay_alu instid0(VALU_DEP_1) | instskip(SKIP_1) | instid1(VALU_DEP_2)
	v_fma_f64 v[12:13], v[8:9], v[16:17], -v[12:13]
	v_mul_f64 v[8:9], v[8:9], v[18:19]
	v_add_f64 v[20:21], v[20:21], v[12:13]
	s_delay_alu instid0(VALU_DEP_2) | instskip(NEXT) | instid1(VALU_DEP_1)
	v_fma_f64 v[8:9], v[10:11], v[16:17], v[8:9]
	v_add_f64 v[22:23], v[22:23], v[8:9]
	ds_load_b128 v[8:11], v28 offset:80
	ds_load_b128 v[12:15], v27 offset:2560
	s_waitcnt lgkmcnt(0)
	v_mul_f64 v[16:17], v[10:11], v[14:15]
	v_mul_f64 v[18:19], v[8:9], v[14:15]
	s_delay_alu instid0(VALU_DEP_2) | instskip(NEXT) | instid1(VALU_DEP_2)
	v_fma_f64 v[16:17], v[8:9], v[12:13], -v[16:17]
	v_fma_f64 v[18:19], v[10:11], v[12:13], v[18:19]
	s_delay_alu instid0(VALU_DEP_2) | instskip(NEXT) | instid1(VALU_DEP_2)
	v_add_f64 v[1:2], v[1:2], v[16:17]
	v_add_f64 v[32:33], v[32:33], v[18:19]
	ds_load_b128 v[16:19], v27 offset:2816
	s_waitcnt lgkmcnt(0)
	v_mul_f64 v[42:43], v[10:11], v[18:19]
	s_delay_alu instid0(VALU_DEP_1) | instskip(SKIP_1) | instid1(VALU_DEP_2)
	v_fma_f64 v[42:43], v[8:9], v[16:17], -v[42:43]
	v_mul_f64 v[8:9], v[8:9], v[18:19]
	v_add_f64 v[36:37], v[36:37], v[42:43]
	s_delay_alu instid0(VALU_DEP_2) | instskip(NEXT) | instid1(VALU_DEP_1)
	v_fma_f64 v[8:9], v[10:11], v[16:17], v[8:9]
	v_add_f64 v[34:35], v[34:35], v[8:9]
	ds_load_b128 v[8:11], v28 offset:2128
	s_waitcnt lgkmcnt(0)
	v_mul_f64 v[42:43], v[10:11], v[14:15]
	v_mul_f64 v[14:15], v[8:9], v[14:15]
	s_delay_alu instid0(VALU_DEP_2) | instskip(NEXT) | instid1(VALU_DEP_2)
	v_fma_f64 v[42:43], v[8:9], v[12:13], -v[42:43]
	v_fma_f64 v[12:13], v[10:11], v[12:13], v[14:15]
	s_delay_alu instid0(VALU_DEP_2) | instskip(NEXT) | instid1(VALU_DEP_2)
	v_add_f64 v[38:39], v[38:39], v[42:43]
	v_add_f64 v[40:41], v[40:41], v[12:13]
	v_mul_f64 v[12:13], v[10:11], v[18:19]
	s_delay_alu instid0(VALU_DEP_1) | instskip(SKIP_1) | instid1(VALU_DEP_2)
	v_fma_f64 v[12:13], v[8:9], v[16:17], -v[12:13]
	v_mul_f64 v[8:9], v[8:9], v[18:19]
	v_add_f64 v[20:21], v[20:21], v[12:13]
	s_delay_alu instid0(VALU_DEP_2) | instskip(NEXT) | instid1(VALU_DEP_1)
	v_fma_f64 v[8:9], v[10:11], v[16:17], v[8:9]
	;; [unrolled: 39-line block ×3, first 2 shown]
	v_add_f64 v[50:51], v[22:23], v[8:9]
	ds_load_b128 v[8:11], v28 offset:112
	ds_load_b128 v[32:35], v27 offset:3584
	;; [unrolled: 1-line block ×3, first 2 shown]
	s_waitcnt lgkmcnt(1)
	v_mul_f64 v[12:13], v[10:11], v[34:35]
	v_mul_f64 v[16:17], v[8:9], v[34:35]
	s_delay_alu instid0(VALU_DEP_2) | instskip(NEXT) | instid1(VALU_DEP_2)
	v_fma_f64 v[12:13], v[8:9], v[32:33], -v[12:13]
	v_fma_f64 v[16:17], v[10:11], v[32:33], v[16:17]
	s_delay_alu instid0(VALU_DEP_2) | instskip(SKIP_2) | instid1(VALU_DEP_3)
	v_add_f64 v[20:21], v[1:2], v[12:13]
	s_waitcnt lgkmcnt(0)
	v_mul_f64 v[1:2], v[10:11], v[38:39]
	v_add_f64 v[22:23], v[42:43], v[16:17]
	s_delay_alu instid0(VALU_DEP_2) | instskip(SKIP_1) | instid1(VALU_DEP_2)
	v_fma_f64 v[1:2], v[8:9], v[36:37], -v[1:2]
	v_mul_f64 v[8:9], v[8:9], v[38:39]
	v_add_f64 v[12:13], v[44:45], v[1:2]
	s_delay_alu instid0(VALU_DEP_2) | instskip(NEXT) | instid1(VALU_DEP_1)
	v_fma_f64 v[8:9], v[10:11], v[36:37], v[8:9]
	v_add_f64 v[16:17], v[46:47], v[8:9]
	ds_load_b128 v[8:11], v28 offset:2160
	s_waitcnt lgkmcnt(0)
	s_barrier
	buffer_gl0_inv
	v_mul_f64 v[1:2], v[10:11], v[34:35]
	v_mul_f64 v[18:19], v[8:9], v[34:35]
	s_delay_alu instid0(VALU_DEP_2) | instskip(NEXT) | instid1(VALU_DEP_2)
	v_fma_f64 v[1:2], v[8:9], v[32:33], -v[1:2]
	v_fma_f64 v[18:19], v[10:11], v[32:33], v[18:19]
	s_delay_alu instid0(VALU_DEP_2) | instskip(SKIP_1) | instid1(VALU_DEP_3)
	v_add_f64 v[14:15], v[14:15], v[1:2]
	v_mul_f64 v[1:2], v[10:11], v[38:39]
	v_add_f64 v[18:19], v[40:41], v[18:19]
	s_delay_alu instid0(VALU_DEP_2) | instskip(SKIP_1) | instid1(VALU_DEP_1)
	v_fma_f64 v[1:2], v[8:9], v[36:37], -v[1:2]
	v_mul_f64 v[8:9], v[8:9], v[38:39]
	v_fma_f64 v[10:11], v[10:11], v[36:37], v[8:9]
	s_delay_alu instid0(VALU_DEP_3) | instskip(NEXT) | instid1(VALU_DEP_2)
	v_add_f64 v[8:9], v[48:49], v[1:2]
	v_add_f64 v[10:11], v[50:51], v[10:11]
	s_cbranch_vccnz .LBB1226_11
.LBB1226_3:                             ; =>This Inner Loop Header: Depth=1
	v_add_co_u32 v1, s4, v29, s2
	s_delay_alu instid0(VALU_DEP_1) | instskip(NEXT) | instid1(VALU_DEP_1)
	v_add_co_ci_u32_e64 v2, null, 0, s3, s4
	v_cmp_le_i64_e32 vcc_lo, s[16:17], v[1:2]
	s_or_b32 s4, s1, vcc_lo
	s_delay_alu instid0(SALU_CYCLE_1) | instskip(NEXT) | instid1(SALU_CYCLE_1)
	s_and_saveexec_b32 s5, s4
	s_xor_b32 s4, exec_lo, s5
	s_cbranch_execz .LBB1226_5
; %bb.4:                                ;   in Loop: Header=BB1226_3 Depth=1
	v_mov_b32_e32 v1, v0
	v_mov_b32_e32 v2, v0
	;; [unrolled: 1-line block ×3, first 2 shown]
	ds_store_b128 v30, v[0:3]
.LBB1226_5:                             ;   in Loop: Header=BB1226_3 Depth=1
	s_and_not1_saveexec_b32 s4, s4
	s_cbranch_execz .LBB1226_7
; %bb.6:                                ;   in Loop: Header=BB1226_3 Depth=1
	global_load_b128 v[32:35], v[4:5], off
	s_waitcnt vmcnt(0)
	ds_store_2addr_b64 v30, v[32:33], v[34:35] offset1:1
.LBB1226_7:                             ;   in Loop: Header=BB1226_3 Depth=1
	s_or_b32 exec_lo, exec_lo, s4
	v_add_co_u32 v1, s4, v26, s2
	s_delay_alu instid0(VALU_DEP_1) | instskip(NEXT) | instid1(VALU_DEP_1)
	v_add_co_ci_u32_e64 v2, null, 0, s3, s4
	v_cmp_le_i64_e32 vcc_lo, s[16:17], v[1:2]
	s_or_b32 s4, vcc_lo, s0
	s_delay_alu instid0(SALU_CYCLE_1) | instskip(NEXT) | instid1(SALU_CYCLE_1)
	s_and_saveexec_b32 s5, s4
	s_xor_b32 s4, exec_lo, s5
	s_cbranch_execz .LBB1226_9
; %bb.8:                                ;   in Loop: Header=BB1226_3 Depth=1
	v_mov_b32_e32 v1, v0
	v_mov_b32_e32 v2, v0
	;; [unrolled: 1-line block ×3, first 2 shown]
	ds_store_b128 v31, v[0:3]
.LBB1226_9:                             ;   in Loop: Header=BB1226_3 Depth=1
	s_and_not1_saveexec_b32 s4, s4
	s_cbranch_execz .LBB1226_2
; %bb.10:                               ;   in Loop: Header=BB1226_3 Depth=1
	global_load_b128 v[32:35], v[6:7], off
	s_waitcnt vmcnt(0)
	ds_store_2addr_b64 v31, v[32:33], v[34:35] offset1:1
	s_branch .LBB1226_2
.LBB1226_11:
	v_add_nc_u32_e32 v4, s14, v25
	s_mul_i32 s1, s15, s39
	s_mul_hi_u32 s2, s15, s38
	s_mul_i32 s0, s15, s38
	s_add_i32 s1, s2, s1
	v_ashrrev_i32_e32 v0, 31, v4
	v_mul_lo_u32 v3, v4, s37
	v_mad_u64_u32 v[1:2], null, v4, s36, 0
	s_lshl_b64 s[2:3], s[0:1], 4
	s_delay_alu instid0(VALU_DEP_3) | instskip(SKIP_3) | instid1(VALU_DEP_2)
	v_mul_lo_u32 v0, v0, s36
	s_add_u32 s2, s10, s2
	v_cmp_gt_i32_e32 vcc_lo, s12, v4
	s_addc_u32 s3, s11, s3
	v_add3_u32 v2, v2, v3, v0
	v_add_nc_u32_e32 v0, s13, v24
	s_delay_alu instid0(VALU_DEP_2) | instskip(NEXT) | instid1(VALU_DEP_2)
	v_lshlrev_b64 v[1:2], 4, v[1:2]
	v_cmp_le_i32_e64 s0, v0, v4
	s_delay_alu instid0(VALU_DEP_1) | instskip(NEXT) | instid1(VALU_DEP_2)
	s_and_b32 s0, vcc_lo, s0
	v_add_co_u32 v5, s1, s2, v1
	s_delay_alu instid0(VALU_DEP_1)
	v_add_co_ci_u32_e64 v6, s1, s3, v2, s1
	s_and_saveexec_b32 s1, s0
	s_cbranch_execz .LBB1226_13
; %bb.12:
	v_ashrrev_i32_e32 v1, 31, v0
	v_mul_f64 v[28:29], s[20:21], v[22:23]
	v_mul_f64 v[22:23], s[18:19], v[22:23]
	s_delay_alu instid0(VALU_DEP_3) | instskip(NEXT) | instid1(VALU_DEP_1)
	v_lshlrev_b64 v[1:2], 4, v[0:1]
	v_add_co_u32 v1, s0, v5, v1
	s_delay_alu instid0(VALU_DEP_1)
	v_add_co_ci_u32_e64 v2, s0, v6, v2, s0
	global_load_b128 v[24:27], v[1:2], off
	v_fma_f64 v[28:29], s[18:19], v[20:21], -v[28:29]
	v_fma_f64 v[22:23], s[20:21], v[20:21], v[22:23]
	s_waitcnt vmcnt(0)
	v_mul_f64 v[30:31], s[8:9], v[26:27]
	v_mul_f64 v[26:27], s[6:7], v[26:27]
	s_delay_alu instid0(VALU_DEP_2) | instskip(NEXT) | instid1(VALU_DEP_2)
	v_fma_f64 v[20:21], s[6:7], v[24:25], -v[30:31]
	v_fma_f64 v[24:25], s[8:9], v[24:25], v[26:27]
	s_delay_alu instid0(VALU_DEP_2) | instskip(NEXT) | instid1(VALU_DEP_2)
	v_add_f64 v[20:21], v[28:29], v[20:21]
	v_add_f64 v[22:23], v[22:23], v[24:25]
	global_store_b128 v[1:2], v[20:23], off
.LBB1226_13:
	s_or_b32 exec_lo, exec_lo, s1
	v_add_nc_u32_e32 v2, 16, v0
	s_delay_alu instid0(VALU_DEP_1) | instskip(NEXT) | instid1(VALU_DEP_1)
	v_cmp_le_i32_e64 s0, v2, v4
	s_and_b32 s1, vcc_lo, s0
	s_delay_alu instid0(SALU_CYCLE_1)
	s_and_saveexec_b32 s0, s1
	s_cbranch_execz .LBB1226_15
; %bb.14:
	v_ashrrev_i32_e32 v3, 31, v2
	v_mul_f64 v[24:25], s[20:21], v[16:17]
	v_mul_f64 v[16:17], s[18:19], v[16:17]
	s_delay_alu instid0(VALU_DEP_3) | instskip(NEXT) | instid1(VALU_DEP_1)
	v_lshlrev_b64 v[20:21], 4, v[2:3]
	v_add_co_u32 v5, vcc_lo, v5, v20
	s_delay_alu instid0(VALU_DEP_2)
	v_add_co_ci_u32_e32 v6, vcc_lo, v6, v21, vcc_lo
	global_load_b128 v[20:23], v[5:6], off
	v_fma_f64 v[24:25], s[18:19], v[12:13], -v[24:25]
	v_fma_f64 v[12:13], s[20:21], v[12:13], v[16:17]
	s_waitcnt vmcnt(0)
	v_mul_f64 v[26:27], s[8:9], v[22:23]
	v_mul_f64 v[22:23], s[6:7], v[22:23]
	s_delay_alu instid0(VALU_DEP_2) | instskip(NEXT) | instid1(VALU_DEP_2)
	v_fma_f64 v[16:17], s[6:7], v[20:21], -v[26:27]
	v_fma_f64 v[22:23], s[8:9], v[20:21], v[22:23]
	s_delay_alu instid0(VALU_DEP_2) | instskip(NEXT) | instid1(VALU_DEP_2)
	v_add_f64 v[20:21], v[24:25], v[16:17]
	v_add_f64 v[22:23], v[12:13], v[22:23]
	global_store_b128 v[5:6], v[20:23], off
.LBB1226_15:
	s_or_b32 exec_lo, exec_lo, s0
	v_add_nc_u32_e32 v3, 16, v4
	s_delay_alu instid0(VALU_DEP_1) | instskip(SKIP_3) | instid1(VALU_DEP_4)
	v_ashrrev_i32_e32 v1, 31, v3
	v_mul_lo_u32 v6, v3, s37
	v_mad_u64_u32 v[4:5], null, v3, s36, 0
	v_cmp_gt_i32_e32 vcc_lo, s12, v3
	v_mul_lo_u32 v1, v1, s36
	v_cmp_le_i32_e64 s0, v0, v3
	s_delay_alu instid0(VALU_DEP_1) | instskip(NEXT) | instid1(VALU_DEP_2)
	s_and_b32 s0, vcc_lo, s0
	v_add3_u32 v5, v5, v6, v1
	s_delay_alu instid0(VALU_DEP_1) | instskip(NEXT) | instid1(VALU_DEP_1)
	v_lshlrev_b64 v[4:5], 4, v[4:5]
	v_add_co_u32 v4, s1, s2, v4
	s_delay_alu instid0(VALU_DEP_1)
	v_add_co_ci_u32_e64 v5, s1, s3, v5, s1
	s_and_saveexec_b32 s1, s0
	s_cbranch_execz .LBB1226_17
; %bb.16:
	v_ashrrev_i32_e32 v1, 31, v0
	v_mul_f64 v[6:7], s[20:21], v[18:19]
	v_mul_f64 v[12:13], s[18:19], v[18:19]
	s_delay_alu instid0(VALU_DEP_3) | instskip(NEXT) | instid1(VALU_DEP_1)
	v_lshlrev_b64 v[0:1], 4, v[0:1]
	v_add_co_u32 v0, s0, v4, v0
	s_delay_alu instid0(VALU_DEP_1)
	v_add_co_ci_u32_e64 v1, s0, v5, v1, s0
	global_load_b128 v[20:23], v[0:1], off
	v_fma_f64 v[6:7], s[18:19], v[14:15], -v[6:7]
	v_fma_f64 v[14:15], s[20:21], v[14:15], v[12:13]
	s_waitcnt vmcnt(0)
	v_mul_f64 v[16:17], s[8:9], v[22:23]
	v_mul_f64 v[18:19], s[6:7], v[22:23]
	s_delay_alu instid0(VALU_DEP_2) | instskip(NEXT) | instid1(VALU_DEP_2)
	v_fma_f64 v[12:13], s[6:7], v[20:21], -v[16:17]
	v_fma_f64 v[16:17], s[8:9], v[20:21], v[18:19]
	s_delay_alu instid0(VALU_DEP_2) | instskip(NEXT) | instid1(VALU_DEP_2)
	v_add_f64 v[12:13], v[6:7], v[12:13]
	v_add_f64 v[14:15], v[14:15], v[16:17]
	global_store_b128 v[0:1], v[12:15], off
.LBB1226_17:
	s_or_b32 exec_lo, exec_lo, s1
	v_cmp_le_i32_e64 s0, v2, v3
	s_delay_alu instid0(VALU_DEP_1) | instskip(NEXT) | instid1(SALU_CYCLE_1)
	s_and_b32 s0, vcc_lo, s0
	s_and_saveexec_b32 s1, s0
	s_cbranch_execz .LBB1226_19
; %bb.18:
	v_ashrrev_i32_e32 v3, 31, v2
	v_mul_f64 v[6:7], s[20:21], v[10:11]
	v_mul_f64 v[10:11], s[18:19], v[10:11]
	s_delay_alu instid0(VALU_DEP_3) | instskip(NEXT) | instid1(VALU_DEP_1)
	v_lshlrev_b64 v[0:1], 4, v[2:3]
	v_add_co_u32 v4, vcc_lo, v4, v0
	s_delay_alu instid0(VALU_DEP_2)
	v_add_co_ci_u32_e32 v5, vcc_lo, v5, v1, vcc_lo
	global_load_b128 v[0:3], v[4:5], off
	v_fma_f64 v[6:7], s[18:19], v[8:9], -v[6:7]
	v_fma_f64 v[8:9], s[20:21], v[8:9], v[10:11]
	s_waitcnt vmcnt(0)
	v_mul_f64 v[12:13], s[8:9], v[2:3]
	v_mul_f64 v[2:3], s[6:7], v[2:3]
	s_delay_alu instid0(VALU_DEP_2) | instskip(NEXT) | instid1(VALU_DEP_2)
	v_fma_f64 v[10:11], s[6:7], v[0:1], -v[12:13]
	v_fma_f64 v[2:3], s[8:9], v[0:1], v[2:3]
	s_delay_alu instid0(VALU_DEP_2) | instskip(NEXT) | instid1(VALU_DEP_2)
	v_add_f64 v[0:1], v[6:7], v[10:11]
	v_add_f64 v[2:3], v[8:9], v[2:3]
	global_store_b128 v[4:5], v[0:3], off
.LBB1226_19:
	s_nop 0
	s_sendmsg sendmsg(MSG_DEALLOC_VGPRS)
	s_endpgm
	.section	.rodata,"a",@progbits
	.p2align	6, 0x0
	.amdhsa_kernel _ZL34rocblas_syrkx_herkx_general_kernelIl19rocblas_complex_numIdELi16ELi32ELi8ELb0ELb0ELc84ELc85EKS1_S1_EviT_T0_PT8_S3_lS6_S3_lS4_PT9_S3_li
		.amdhsa_group_segment_fixed_size 8192
		.amdhsa_private_segment_fixed_size 0
		.amdhsa_kernarg_size 124
		.amdhsa_user_sgpr_count 13
		.amdhsa_user_sgpr_dispatch_ptr 0
		.amdhsa_user_sgpr_queue_ptr 0
		.amdhsa_user_sgpr_kernarg_segment_ptr 1
		.amdhsa_user_sgpr_dispatch_id 0
		.amdhsa_user_sgpr_private_segment_size 0
		.amdhsa_wavefront_size32 1
		.amdhsa_uses_dynamic_stack 0
		.amdhsa_enable_private_segment 0
		.amdhsa_system_sgpr_workgroup_id_x 1
		.amdhsa_system_sgpr_workgroup_id_y 1
		.amdhsa_system_sgpr_workgroup_id_z 1
		.amdhsa_system_sgpr_workgroup_info 0
		.amdhsa_system_vgpr_workitem_id 1
		.amdhsa_next_free_vgpr 56
		.amdhsa_next_free_sgpr 40
		.amdhsa_reserve_vcc 1
		.amdhsa_float_round_mode_32 0
		.amdhsa_float_round_mode_16_64 0
		.amdhsa_float_denorm_mode_32 3
		.amdhsa_float_denorm_mode_16_64 3
		.amdhsa_dx10_clamp 1
		.amdhsa_ieee_mode 1
		.amdhsa_fp16_overflow 0
		.amdhsa_workgroup_processor_mode 1
		.amdhsa_memory_ordered 1
		.amdhsa_forward_progress 0
		.amdhsa_shared_vgpr_count 0
		.amdhsa_exception_fp_ieee_invalid_op 0
		.amdhsa_exception_fp_denorm_src 0
		.amdhsa_exception_fp_ieee_div_zero 0
		.amdhsa_exception_fp_ieee_overflow 0
		.amdhsa_exception_fp_ieee_underflow 0
		.amdhsa_exception_fp_ieee_inexact 0
		.amdhsa_exception_int_div_zero 0
	.end_amdhsa_kernel
	.section	.text._ZL34rocblas_syrkx_herkx_general_kernelIl19rocblas_complex_numIdELi16ELi32ELi8ELb0ELb0ELc84ELc85EKS1_S1_EviT_T0_PT8_S3_lS6_S3_lS4_PT9_S3_li,"axG",@progbits,_ZL34rocblas_syrkx_herkx_general_kernelIl19rocblas_complex_numIdELi16ELi32ELi8ELb0ELb0ELc84ELc85EKS1_S1_EviT_T0_PT8_S3_lS6_S3_lS4_PT9_S3_li,comdat
.Lfunc_end1226:
	.size	_ZL34rocblas_syrkx_herkx_general_kernelIl19rocblas_complex_numIdELi16ELi32ELi8ELb0ELb0ELc84ELc85EKS1_S1_EviT_T0_PT8_S3_lS6_S3_lS4_PT9_S3_li, .Lfunc_end1226-_ZL34rocblas_syrkx_herkx_general_kernelIl19rocblas_complex_numIdELi16ELi32ELi8ELb0ELb0ELc84ELc85EKS1_S1_EviT_T0_PT8_S3_lS6_S3_lS4_PT9_S3_li
                                        ; -- End function
	.section	.AMDGPU.csdata,"",@progbits
; Kernel info:
; codeLenInByte = 3916
; NumSgprs: 42
; NumVgprs: 56
; ScratchSize: 0
; MemoryBound: 0
; FloatMode: 240
; IeeeMode: 1
; LDSByteSize: 8192 bytes/workgroup (compile time only)
; SGPRBlocks: 5
; VGPRBlocks: 6
; NumSGPRsForWavesPerEU: 42
; NumVGPRsForWavesPerEU: 56
; Occupancy: 16
; WaveLimiterHint : 0
; COMPUTE_PGM_RSRC2:SCRATCH_EN: 0
; COMPUTE_PGM_RSRC2:USER_SGPR: 13
; COMPUTE_PGM_RSRC2:TRAP_HANDLER: 0
; COMPUTE_PGM_RSRC2:TGID_X_EN: 1
; COMPUTE_PGM_RSRC2:TGID_Y_EN: 1
; COMPUTE_PGM_RSRC2:TGID_Z_EN: 1
; COMPUTE_PGM_RSRC2:TIDIG_COMP_CNT: 1
	.section	.text._ZL34rocblas_syrkx_herkx_general_kernelIl19rocblas_complex_numIdELi16ELi32ELi8ELb0ELb0ELc67ELc85EKS1_S1_EviT_T0_PT8_S3_lS6_S3_lS4_PT9_S3_li,"axG",@progbits,_ZL34rocblas_syrkx_herkx_general_kernelIl19rocblas_complex_numIdELi16ELi32ELi8ELb0ELb0ELc67ELc85EKS1_S1_EviT_T0_PT8_S3_lS6_S3_lS4_PT9_S3_li,comdat
	.globl	_ZL34rocblas_syrkx_herkx_general_kernelIl19rocblas_complex_numIdELi16ELi32ELi8ELb0ELb0ELc67ELc85EKS1_S1_EviT_T0_PT8_S3_lS6_S3_lS4_PT9_S3_li ; -- Begin function _ZL34rocblas_syrkx_herkx_general_kernelIl19rocblas_complex_numIdELi16ELi32ELi8ELb0ELb0ELc67ELc85EKS1_S1_EviT_T0_PT8_S3_lS6_S3_lS4_PT9_S3_li
	.p2align	8
	.type	_ZL34rocblas_syrkx_herkx_general_kernelIl19rocblas_complex_numIdELi16ELi32ELi8ELb0ELb0ELc67ELc85EKS1_S1_EviT_T0_PT8_S3_lS6_S3_lS4_PT9_S3_li,@function
_ZL34rocblas_syrkx_herkx_general_kernelIl19rocblas_complex_numIdELi16ELi32ELi8ELb0ELb0ELc67ELc85EKS1_S1_EviT_T0_PT8_S3_lS6_S3_lS4_PT9_S3_li: ; @_ZL34rocblas_syrkx_herkx_general_kernelIl19rocblas_complex_numIdELi16ELi32ELi8ELb0ELb0ELc67ELc85EKS1_S1_EviT_T0_PT8_S3_lS6_S3_lS4_PT9_S3_li
; %bb.0:
	s_clause 0x3
	s_load_b512 s[16:31], s[0:1], 0x8
	s_load_b32 s12, s[0:1], 0x0
	s_load_b128 s[36:39], s[0:1], 0x68
	s_load_b256 s[4:11], s[0:1], 0x48
	v_mov_b32_e32 v23, 0
	v_dual_mov_b32 v24, 0 :: v_dual_and_b32 v27, 0x3ff, v0
	v_bfe_u32 v28, v0, 10, 10
	s_delay_alu instid0(VALU_DEP_3) | instskip(NEXT) | instid1(VALU_DEP_3)
	v_mov_b32_e32 v19, v23
	v_dual_mov_b32 v21, v23 :: v_dual_mov_b32 v22, v24
	v_dual_mov_b32 v26, v24 :: v_dual_mov_b32 v25, v23
	;; [unrolled: 1-line block ×5, first 2 shown]
	v_mov_b32_e32 v12, v24
	s_waitcnt lgkmcnt(0)
	v_cmp_lt_i64_e64 s0, s[16:17], 1
	v_dual_mov_b32 v13, v23 :: v_dual_mov_b32 v14, v24
	s_lshl_b32 s13, s13, 5
	s_lshl_b32 s14, s14, 5
	s_mov_b64 s[2:3], 0
	s_delay_alu instid0(VALU_DEP_2)
	s_and_b32 vcc_lo, exec_lo, s0
	s_cbranch_vccnz .LBB1227_9
; %bb.1:
	v_lshl_add_u32 v1, v28, 4, v27
	v_dual_mov_b32 v0, 0 :: v_dual_and_b32 v29, 7, v27
	s_mul_i32 s1, s27, s15
	s_mul_hi_u32 s27, s26, s15
	s_delay_alu instid0(VALU_DEP_2)
	v_and_b32_e32 v3, 31, v1
	v_lshrrev_b32_e32 v5, 3, v1
	v_lshrrev_b32_e32 v32, 5, v1
	v_lshlrev_b32_e32 v9, 4, v29
	s_mul_i32 s0, s26, s15
	v_add_nc_u32_e32 v4, s13, v3
	v_add_nc_u32_e32 v7, s14, v5
	v_or_b32_e32 v10, s13, v3
	v_lshlrev_b32_e32 v11, 4, v3
	v_lshl_or_b32 v5, v5, 7, v9
	v_ashrrev_i32_e32 v6, 31, v4
	v_mul_lo_u32 v8, s25, v4
	v_mad_u64_u32 v[1:2], null, s24, v4, 0
	v_ashrrev_i32_e32 v12, 31, v7
	s_delay_alu instid0(VALU_DEP_4)
	v_mul_lo_u32 v6, s24, v6
	v_mul_lo_u32 v13, s31, v7
	v_mad_u64_u32 v[3:4], null, s30, v7, 0
	s_add_i32 s1, s27, s1
	v_add_nc_u32_e32 v34, 0x1000, v5
	s_lshl_b64 s[24:25], s[0:1], 4
	v_cmp_gt_i32_e32 vcc_lo, s12, v7
	v_add3_u32 v2, v2, v6, v8
	v_mul_lo_u32 v6, s30, v12
	v_lshlrev_b32_e32 v7, 4, v32
	v_lshlrev_b32_e32 v30, 4, v27
	v_lshl_add_u32 v31, v28, 7, 0x1000
	v_lshlrev_b64 v[1:2], 4, v[1:2]
	v_cmp_gt_i32_e64 s0, s12, v10
	v_add3_u32 v4, v4, v6, v13
	s_delay_alu instid0(VALU_DEP_3) | instskip(NEXT) | instid1(VALU_DEP_1)
	v_add_co_u32 v5, s1, v1, s24
	v_add_co_ci_u32_e64 v6, s1, s25, v2, s1
	s_mul_i32 s1, s5, s15
	s_mul_hi_u32 s5, s4, s15
	v_lshlrev_b64 v[1:2], 4, v[3:4]
	s_add_i32 s5, s5, s1
	s_mul_i32 s4, s4, s15
	v_add_co_u32 v3, s1, v5, v7
	s_lshl_b64 s[4:5], s[4:5], 4
	v_add_co_ci_u32_e64 v4, s1, 0, v6, s1
	v_mov_b32_e32 v5, 0
	v_add_co_u32 v1, s1, v1, s4
	v_mov_b32_e32 v6, 0
	v_add_co_ci_u32_e64 v2, s1, s5, v2, s1
	v_add_co_u32 v3, s1, v3, s22
	s_delay_alu instid0(VALU_DEP_1) | instskip(NEXT) | instid1(VALU_DEP_4)
	v_add_co_ci_u32_e64 v4, s1, s23, v4, s1
	v_mov_b32_e32 v18, v6
	v_lshl_or_b32 v33, v32, 9, v11
	v_mov_b32_e32 v12, v6
	v_add_co_u32 v1, s1, v1, v9
	s_delay_alu instid0(VALU_DEP_1) | instskip(SKIP_1) | instid1(VALU_DEP_1)
	v_add_co_ci_u32_e64 v2, s1, 0, v2, s1
	v_add_co_u32 v7, s1, v3, 8
	v_add_co_ci_u32_e64 v8, s1, 0, v4, s1
	v_mov_b32_e32 v16, v6
	v_add_co_u32 v9, s1, s28, v1
	v_dual_mov_b32 v17, v5 :: v_dual_mov_b32 v22, v6
	v_dual_mov_b32 v15, v5 :: v_dual_mov_b32 v20, v6
	;; [unrolled: 1-line block ×4, first 2 shown]
	v_mov_b32_e32 v24, v6
	v_add_co_ci_u32_e64 v10, s1, s29, v2, s1
	v_mov_b32_e32 v13, v5
	v_mov_b32_e32 v11, v5
	v_mov_b32_e32 v25, v5
	v_mov_b32_e32 v23, v5
	s_xor_b32 s1, vcc_lo, -1
	s_branch .LBB1227_3
.LBB1227_2:                             ;   in Loop: Header=BB1227_3 Depth=1
	s_or_b32 exec_lo, exec_lo, s4
	s_waitcnt lgkmcnt(0)
	s_barrier
	buffer_gl0_inv
	ds_load_b128 v[1:4], v31
	ds_load_b128 v[35:38], v30
	ds_load_b128 v[39:42], v30 offset:256
	ds_load_b128 v[43:46], v31 offset:2048
	;; [unrolled: 1-line block ×9, first 2 shown]
	s_add_u32 s2, s2, 8
	s_addc_u32 s3, s3, 0
	v_add_co_u32 v7, vcc_lo, 0x80, v7
	v_cmp_ge_i64_e64 s4, s[2:3], s[16:17]
	v_add_co_ci_u32_e32 v8, vcc_lo, 0, v8, vcc_lo
	v_add_co_u32 v9, vcc_lo, 0x80, v9
	v_add_co_ci_u32_e32 v10, vcc_lo, 0, v10, vcc_lo
	s_delay_alu instid0(VALU_DEP_4)
	s_and_b32 vcc_lo, exec_lo, s4
	s_waitcnt lgkmcnt(9)
	v_mul_f64 v[75:76], v[3:4], v[37:38]
	v_mul_f64 v[77:78], v[1:2], v[37:38]
	s_waitcnt lgkmcnt(8)
	v_mul_f64 v[79:80], v[3:4], v[41:42]
	v_mul_f64 v[81:82], v[1:2], v[41:42]
	;; [unrolled: 3-line block ×3, first 2 shown]
	v_mul_f64 v[85:86], v[45:46], v[41:42]
	v_mul_f64 v[41:42], v[43:44], v[41:42]
	s_waitcnt lgkmcnt(4)
	v_mul_f64 v[87:88], v[49:50], v[57:58]
	v_mul_f64 v[89:90], v[47:48], v[57:58]
	s_waitcnt lgkmcnt(3)
	v_mul_f64 v[91:92], v[49:50], v[61:62]
	v_mul_f64 v[93:94], v[47:48], v[61:62]
	;; [unrolled: 1-line block ×6, first 2 shown]
	s_waitcnt lgkmcnt(0)
	v_mul_f64 v[115:116], v[73:74], v[65:66]
	v_mul_f64 v[117:118], v[73:74], v[69:70]
	v_fma_f64 v[99:100], v[1:2], v[35:36], -v[75:76]
	v_fma_f64 v[101:102], v[3:4], v[35:36], v[77:78]
	v_fma_f64 v[79:80], v[1:2], v[39:40], -v[79:80]
	v_fma_f64 v[81:82], v[3:4], v[39:40], v[81:82]
	v_fma_f64 v[83:84], v[43:44], v[35:36], -v[83:84]
	v_fma_f64 v[103:104], v[45:46], v[35:36], v[37:38]
	v_fma_f64 v[85:86], v[43:44], v[39:40], -v[85:86]
	v_fma_f64 v[105:106], v[45:46], v[39:40], v[41:42]
	ds_load_b128 v[75:78], v31 offset:32
	v_fma_f64 v[87:88], v[47:48], v[55:56], -v[87:88]
	v_fma_f64 v[89:90], v[49:50], v[55:56], v[89:90]
	v_fma_f64 v[47:48], v[47:48], v[59:60], -v[91:92]
	v_fma_f64 v[49:50], v[49:50], v[59:60], v[93:94]
	;; [unrolled: 2-line block ×4, first 2 shown]
	ds_load_b128 v[1:4], v31 offset:48
	ds_load_b128 v[35:38], v31 offset:2096
	;; [unrolled: 1-line block ×4, first 2 shown]
	s_waitcnt lgkmcnt(4)
	v_mul_f64 v[107:108], v[77:78], v[65:66]
	v_mul_f64 v[109:110], v[75:76], v[65:66]
	v_mul_f64 v[111:112], v[77:78], v[69:70]
	v_mul_f64 v[113:114], v[75:76], v[69:70]
	v_mul_f64 v[65:66], v[71:72], v[65:66]
	v_mul_f64 v[69:70], v[71:72], v[69:70]
	s_waitcnt lgkmcnt(1)
	v_mul_f64 v[93:94], v[1:2], v[41:42]
	s_waitcnt lgkmcnt(0)
	v_mul_f64 v[95:96], v[3:4], v[45:46]
	v_add_f64 v[23:24], v[23:24], v[99:100]
	v_add_f64 v[25:26], v[25:26], v[101:102]
	;; [unrolled: 1-line block ×8, first 2 shown]
	v_mul_f64 v[85:86], v[3:4], v[41:42]
	v_mul_f64 v[97:98], v[1:2], v[45:46]
	;; [unrolled: 1-line block ×6, first 2 shown]
	ds_load_b128 v[11:14], v30 offset:2048
	ds_load_b128 v[15:18], v30 offset:2304
	;; [unrolled: 1-line block ×3, first 2 shown]
	v_fma_f64 v[105:106], v[75:76], v[63:64], -v[107:108]
	v_fma_f64 v[107:108], v[77:78], v[63:64], v[109:110]
	v_fma_f64 v[75:76], v[75:76], v[67:68], -v[111:112]
	v_fma_f64 v[77:78], v[77:78], v[67:68], v[113:114]
	;; [unrolled: 2-line block ×4, first 2 shown]
	s_waitcnt lgkmcnt(0)
	v_mul_f64 v[115:116], v[21:22], v[13:14]
	v_mul_f64 v[117:118], v[21:22], v[17:18]
	v_add_f64 v[69:70], v[23:24], v[87:88]
	v_add_f64 v[71:72], v[25:26], v[89:90]
	;; [unrolled: 1-line block ×8, first 2 shown]
	ds_load_b128 v[23:26], v31 offset:64
	v_fma_f64 v[85:86], v[1:2], v[39:40], -v[85:86]
	v_fma_f64 v[93:94], v[3:4], v[39:40], v[93:94]
	v_fma_f64 v[95:96], v[1:2], v[43:44], -v[95:96]
	v_fma_f64 v[97:98], v[3:4], v[43:44], v[97:98]
	;; [unrolled: 2-line block ×4, first 2 shown]
	ds_load_b128 v[45:48], v31 offset:80
	ds_load_b128 v[49:52], v31 offset:2128
	;; [unrolled: 1-line block ×7, first 2 shown]
	s_waitcnt lgkmcnt(7)
	v_mul_f64 v[89:90], v[25:26], v[13:14]
	v_mul_f64 v[91:92], v[23:24], v[13:14]
	;; [unrolled: 1-line block ×6, first 2 shown]
	s_waitcnt lgkmcnt(3)
	v_mul_f64 v[103:104], v[51:52], v[59:60]
	v_add_f64 v[69:70], v[69:70], v[105:106]
	v_add_f64 v[71:72], v[71:72], v[107:108]
	v_add_f64 v[73:74], v[73:74], v[75:76]
	v_add_f64 v[75:76], v[87:88], v[77:78]
	v_add_f64 v[61:62], v[61:62], v[109:110]
	v_add_f64 v[63:64], v[79:80], v[63:64]
	v_add_f64 v[65:66], v[81:82], v[65:66]
	v_add_f64 v[67:68], v[83:84], v[67:68]
	v_mul_f64 v[77:78], v[47:48], v[55:56]
	v_mul_f64 v[79:80], v[45:46], v[55:56]
	;; [unrolled: 1-line block ×7, first 2 shown]
	v_fma_f64 v[89:90], v[23:24], v[11:12], -v[89:90]
	v_fma_f64 v[91:92], v[25:26], v[11:12], v[91:92]
	v_fma_f64 v[107:108], v[23:24], v[15:16], -v[111:112]
	v_fma_f64 v[109:110], v[25:26], v[15:16], v[113:114]
	;; [unrolled: 2-line block ×4, first 2 shown]
	ds_load_b128 v[11:14], v31 offset:96
	v_add_f64 v[69:70], v[69:70], v[85:86]
	v_add_f64 v[71:72], v[71:72], v[93:94]
	;; [unrolled: 1-line block ×8, first 2 shown]
	s_waitcnt lgkmcnt(1)
	v_mul_f64 v[99:100], v[41:42], v[3:4]
	v_mul_f64 v[101:102], v[41:42], v[37:38]
	v_fma_f64 v[77:78], v[45:46], v[53:54], -v[77:78]
	v_fma_f64 v[79:80], v[47:48], v[53:54], v[79:80]
	v_fma_f64 v[45:46], v[45:46], v[57:58], -v[81:82]
	v_fma_f64 v[47:48], v[47:48], v[57:58], v[83:84]
	;; [unrolled: 2-line block ×4, first 2 shown]
	s_waitcnt lgkmcnt(0)
	v_mul_f64 v[67:68], v[13:14], v[3:4]
	v_mul_f64 v[93:94], v[11:12], v[3:4]
	v_mul_f64 v[95:96], v[13:14], v[37:38]
	v_mul_f64 v[97:98], v[11:12], v[37:38]
	v_mul_f64 v[3:4], v[39:40], v[3:4]
	v_mul_f64 v[37:38], v[39:40], v[37:38]
	ds_load_b128 v[15:18], v31 offset:112
	ds_load_b128 v[19:22], v31 offset:2160
	;; [unrolled: 1-line block ×4, first 2 shown]
	s_waitcnt lgkmcnt(0)
	s_barrier
	buffer_gl0_inv
	v_add_f64 v[55:56], v[69:70], v[89:90]
	v_add_f64 v[57:58], v[71:72], v[91:92]
	v_add_f64 v[69:70], v[73:74], v[107:108]
	v_add_f64 v[71:72], v[75:76], v[109:110]
	v_add_f64 v[73:74], v[85:86], v[111:112]
	v_add_f64 v[63:64], v[63:64], v[113:114]
	v_add_f64 v[65:66], v[65:66], v[115:116]
	v_add_f64 v[43:44], v[43:44], v[117:118]
	v_mul_f64 v[75:76], v[17:18], v[25:26]
	v_mul_f64 v[83:84], v[15:16], v[25:26]
	;; [unrolled: 1-line block ×8, first 2 shown]
	v_fma_f64 v[67:68], v[11:12], v[1:2], -v[67:68]
	v_fma_f64 v[93:94], v[13:14], v[1:2], v[93:94]
	v_fma_f64 v[11:12], v[11:12], v[35:36], -v[95:96]
	v_fma_f64 v[13:14], v[13:14], v[35:36], v[97:98]
	;; [unrolled: 2-line block ×4, first 2 shown]
	v_add_f64 v[37:38], v[55:56], v[77:78]
	v_add_f64 v[39:40], v[57:58], v[79:80]
	;; [unrolled: 1-line block ×8, first 2 shown]
	v_fma_f64 v[51:52], v[15:16], v[23:24], -v[75:76]
	v_fma_f64 v[55:56], v[17:18], v[23:24], v[83:84]
	v_fma_f64 v[15:16], v[15:16], v[59:60], -v[85:86]
	v_fma_f64 v[17:18], v[17:18], v[59:60], v[87:88]
	;; [unrolled: 2-line block ×4, first 2 shown]
	v_add_f64 v[19:20], v[37:38], v[67:68]
	v_add_f64 v[21:22], v[39:40], v[93:94]
	;; [unrolled: 1-line block ×16, first 2 shown]
	s_cbranch_vccnz .LBB1227_9
.LBB1227_3:                             ; =>This Inner Loop Header: Depth=1
	v_add_co_u32 v1, s4, v32, s2
	s_delay_alu instid0(VALU_DEP_1) | instskip(SKIP_1) | instid1(VALU_DEP_2)
	v_add_co_ci_u32_e64 v2, null, 0, s3, s4
	v_dual_mov_b32 v3, v5 :: v_dual_mov_b32 v4, v6
	v_cmp_gt_i64_e32 vcc_lo, s[16:17], v[1:2]
	v_dual_mov_b32 v1, v5 :: v_dual_mov_b32 v2, v6
	s_and_b32 s5, s0, vcc_lo
	s_delay_alu instid0(SALU_CYCLE_1)
	s_and_saveexec_b32 s4, s5
	s_cbranch_execz .LBB1227_5
; %bb.4:                                ;   in Loop: Header=BB1227_3 Depth=1
	global_load_b128 v[1:4], v[7:8], off offset:-8
.LBB1227_5:                             ;   in Loop: Header=BB1227_3 Depth=1
	s_or_b32 exec_lo, exec_lo, s4
	v_add_co_u32 v35, s4, v29, s2
	s_delay_alu instid0(VALU_DEP_1) | instskip(SKIP_4) | instid1(SALU_CYCLE_1)
	v_add_co_ci_u32_e64 v36, null, 0, s3, s4
	s_waitcnt vmcnt(0)
	ds_store_b128 v33, v[1:4]
	v_cmp_le_i64_e32 vcc_lo, s[16:17], v[35:36]
	s_or_b32 s4, vcc_lo, s1
	s_and_saveexec_b32 s5, s4
	s_delay_alu instid0(SALU_CYCLE_1)
	s_xor_b32 s4, exec_lo, s5
	s_cbranch_execz .LBB1227_7
; %bb.6:                                ;   in Loop: Header=BB1227_3 Depth=1
	v_mov_b32_e32 v1, v0
	v_mov_b32_e32 v2, v0
	;; [unrolled: 1-line block ×3, first 2 shown]
	ds_store_b128 v34, v[0:3]
.LBB1227_7:                             ;   in Loop: Header=BB1227_3 Depth=1
	s_and_not1_saveexec_b32 s4, s4
	s_cbranch_execz .LBB1227_2
; %bb.8:                                ;   in Loop: Header=BB1227_3 Depth=1
	global_load_b128 v[1:4], v[9:10], off
	s_waitcnt vmcnt(0)
	ds_store_2addr_b64 v34, v[1:2], v[3:4] offset1:1
	s_branch .LBB1227_2
.LBB1227_9:
	v_add_nc_u32_e32 v4, s14, v28
	s_mul_i32 s1, s15, s39
	s_mul_hi_u32 s2, s15, s38
	s_mul_i32 s0, s15, s38
	s_add_i32 s1, s2, s1
	v_ashrrev_i32_e32 v0, 31, v4
	v_mul_lo_u32 v3, v4, s37
	v_mad_u64_u32 v[1:2], null, v4, s36, 0
	s_lshl_b64 s[2:3], s[0:1], 4
	s_delay_alu instid0(VALU_DEP_3) | instskip(SKIP_3) | instid1(VALU_DEP_2)
	v_mul_lo_u32 v0, v0, s36
	s_add_u32 s2, s10, s2
	v_cmp_gt_i32_e32 vcc_lo, s12, v4
	s_addc_u32 s3, s11, s3
	v_add3_u32 v2, v2, v3, v0
	v_add_nc_u32_e32 v0, s13, v27
	s_delay_alu instid0(VALU_DEP_2) | instskip(NEXT) | instid1(VALU_DEP_2)
	v_lshlrev_b64 v[1:2], 4, v[1:2]
	v_cmp_le_i32_e64 s0, v0, v4
	s_delay_alu instid0(VALU_DEP_1) | instskip(NEXT) | instid1(VALU_DEP_2)
	s_and_b32 s0, vcc_lo, s0
	v_add_co_u32 v5, s1, s2, v1
	s_delay_alu instid0(VALU_DEP_1)
	v_add_co_ci_u32_e64 v6, s1, s3, v2, s1
	s_and_saveexec_b32 s1, s0
	s_cbranch_execz .LBB1227_11
; %bb.10:
	v_ashrrev_i32_e32 v1, 31, v0
	v_mul_f64 v[27:28], s[20:21], v[25:26]
	v_mul_f64 v[25:26], s[18:19], v[25:26]
	s_delay_alu instid0(VALU_DEP_3) | instskip(NEXT) | instid1(VALU_DEP_1)
	v_lshlrev_b64 v[1:2], 4, v[0:1]
	v_add_co_u32 v1, s0, v5, v1
	s_delay_alu instid0(VALU_DEP_1)
	v_add_co_ci_u32_e64 v2, s0, v6, v2, s0
	global_load_b128 v[7:10], v[1:2], off
	v_fma_f64 v[27:28], s[18:19], v[23:24], -v[27:28]
	v_fma_f64 v[23:24], s[20:21], v[23:24], v[25:26]
	s_waitcnt vmcnt(0)
	v_mul_f64 v[29:30], s[8:9], v[9:10]
	v_mul_f64 v[9:10], s[6:7], v[9:10]
	s_delay_alu instid0(VALU_DEP_2) | instskip(NEXT) | instid1(VALU_DEP_2)
	v_fma_f64 v[25:26], s[6:7], v[7:8], -v[29:30]
	v_fma_f64 v[9:10], s[8:9], v[7:8], v[9:10]
	s_delay_alu instid0(VALU_DEP_2) | instskip(NEXT) | instid1(VALU_DEP_2)
	v_add_f64 v[7:8], v[27:28], v[25:26]
	v_add_f64 v[9:10], v[23:24], v[9:10]
	global_store_b128 v[1:2], v[7:10], off
.LBB1227_11:
	s_or_b32 exec_lo, exec_lo, s1
	v_add_nc_u32_e32 v2, 16, v0
	s_delay_alu instid0(VALU_DEP_1) | instskip(NEXT) | instid1(VALU_DEP_1)
	v_cmp_le_i32_e64 s0, v2, v4
	s_and_b32 s1, vcc_lo, s0
	s_delay_alu instid0(SALU_CYCLE_1)
	s_and_saveexec_b32 s0, s1
	s_cbranch_execz .LBB1227_13
; %bb.12:
	v_ashrrev_i32_e32 v3, 31, v2
	v_mul_f64 v[23:24], s[20:21], v[21:22]
	v_mul_f64 v[21:22], s[18:19], v[21:22]
	s_delay_alu instid0(VALU_DEP_3) | instskip(NEXT) | instid1(VALU_DEP_1)
	v_lshlrev_b64 v[7:8], 4, v[2:3]
	v_add_co_u32 v9, vcc_lo, v5, v7
	s_delay_alu instid0(VALU_DEP_2)
	v_add_co_ci_u32_e32 v10, vcc_lo, v6, v8, vcc_lo
	global_load_b128 v[5:8], v[9:10], off
	v_fma_f64 v[23:24], s[18:19], v[19:20], -v[23:24]
	v_fma_f64 v[19:20], s[20:21], v[19:20], v[21:22]
	s_waitcnt vmcnt(0)
	v_mul_f64 v[25:26], s[8:9], v[7:8]
	v_mul_f64 v[7:8], s[6:7], v[7:8]
	s_delay_alu instid0(VALU_DEP_2) | instskip(NEXT) | instid1(VALU_DEP_2)
	v_fma_f64 v[21:22], s[6:7], v[5:6], -v[25:26]
	v_fma_f64 v[7:8], s[8:9], v[5:6], v[7:8]
	s_delay_alu instid0(VALU_DEP_2) | instskip(NEXT) | instid1(VALU_DEP_2)
	v_add_f64 v[5:6], v[23:24], v[21:22]
	v_add_f64 v[7:8], v[19:20], v[7:8]
	global_store_b128 v[9:10], v[5:8], off
.LBB1227_13:
	s_or_b32 exec_lo, exec_lo, s0
	v_add_nc_u32_e32 v3, 16, v4
	s_delay_alu instid0(VALU_DEP_1) | instskip(SKIP_3) | instid1(VALU_DEP_4)
	v_ashrrev_i32_e32 v1, 31, v3
	v_mul_lo_u32 v6, v3, s37
	v_mad_u64_u32 v[4:5], null, v3, s36, 0
	v_cmp_gt_i32_e32 vcc_lo, s12, v3
	v_mul_lo_u32 v1, v1, s36
	v_cmp_le_i32_e64 s0, v0, v3
	s_delay_alu instid0(VALU_DEP_1) | instskip(NEXT) | instid1(VALU_DEP_2)
	s_and_b32 s0, vcc_lo, s0
	v_add3_u32 v5, v5, v6, v1
	s_delay_alu instid0(VALU_DEP_1) | instskip(NEXT) | instid1(VALU_DEP_1)
	v_lshlrev_b64 v[4:5], 4, v[4:5]
	v_add_co_u32 v4, s1, s2, v4
	s_delay_alu instid0(VALU_DEP_1)
	v_add_co_ci_u32_e64 v5, s1, s3, v5, s1
	s_and_saveexec_b32 s1, s0
	s_cbranch_execz .LBB1227_15
; %bb.14:
	v_ashrrev_i32_e32 v1, 31, v0
	v_mul_f64 v[19:20], s[20:21], v[17:18]
	v_mul_f64 v[17:18], s[18:19], v[17:18]
	s_delay_alu instid0(VALU_DEP_3) | instskip(NEXT) | instid1(VALU_DEP_1)
	v_lshlrev_b64 v[0:1], 4, v[0:1]
	v_add_co_u32 v0, s0, v4, v0
	s_delay_alu instid0(VALU_DEP_1)
	v_add_co_ci_u32_e64 v1, s0, v5, v1, s0
	global_load_b128 v[6:9], v[0:1], off
	v_fma_f64 v[19:20], s[18:19], v[15:16], -v[19:20]
	v_fma_f64 v[15:16], s[20:21], v[15:16], v[17:18]
	s_waitcnt vmcnt(0)
	v_mul_f64 v[21:22], s[8:9], v[8:9]
	v_mul_f64 v[8:9], s[6:7], v[8:9]
	s_delay_alu instid0(VALU_DEP_2) | instskip(NEXT) | instid1(VALU_DEP_2)
	v_fma_f64 v[17:18], s[6:7], v[6:7], -v[21:22]
	v_fma_f64 v[8:9], s[8:9], v[6:7], v[8:9]
	s_delay_alu instid0(VALU_DEP_2) | instskip(NEXT) | instid1(VALU_DEP_2)
	v_add_f64 v[6:7], v[19:20], v[17:18]
	v_add_f64 v[8:9], v[15:16], v[8:9]
	global_store_b128 v[0:1], v[6:9], off
.LBB1227_15:
	s_or_b32 exec_lo, exec_lo, s1
	v_cmp_le_i32_e64 s0, v2, v3
	s_delay_alu instid0(VALU_DEP_1) | instskip(NEXT) | instid1(SALU_CYCLE_1)
	s_and_b32 s0, vcc_lo, s0
	s_and_saveexec_b32 s1, s0
	s_cbranch_execz .LBB1227_17
; %bb.16:
	v_ashrrev_i32_e32 v3, 31, v2
	v_mul_f64 v[6:7], s[20:21], v[13:14]
	v_mul_f64 v[8:9], s[18:19], v[13:14]
	s_delay_alu instid0(VALU_DEP_3) | instskip(NEXT) | instid1(VALU_DEP_1)
	v_lshlrev_b64 v[0:1], 4, v[2:3]
	v_add_co_u32 v4, vcc_lo, v4, v0
	s_delay_alu instid0(VALU_DEP_2)
	v_add_co_ci_u32_e32 v5, vcc_lo, v5, v1, vcc_lo
	global_load_b128 v[0:3], v[4:5], off
	v_fma_f64 v[6:7], s[18:19], v[11:12], -v[6:7]
	v_fma_f64 v[8:9], s[20:21], v[11:12], v[8:9]
	s_waitcnt vmcnt(0)
	v_mul_f64 v[13:14], s[8:9], v[2:3]
	v_mul_f64 v[2:3], s[6:7], v[2:3]
	s_delay_alu instid0(VALU_DEP_2) | instskip(NEXT) | instid1(VALU_DEP_2)
	v_fma_f64 v[10:11], s[6:7], v[0:1], -v[13:14]
	v_fma_f64 v[2:3], s[8:9], v[0:1], v[2:3]
	s_delay_alu instid0(VALU_DEP_2) | instskip(NEXT) | instid1(VALU_DEP_2)
	v_add_f64 v[0:1], v[6:7], v[10:11]
	v_add_f64 v[2:3], v[8:9], v[2:3]
	global_store_b128 v[4:5], v[0:3], off
.LBB1227_17:
	s_nop 0
	s_sendmsg sendmsg(MSG_DEALLOC_VGPRS)
	s_endpgm
	.section	.rodata,"a",@progbits
	.p2align	6, 0x0
	.amdhsa_kernel _ZL34rocblas_syrkx_herkx_general_kernelIl19rocblas_complex_numIdELi16ELi32ELi8ELb0ELb0ELc67ELc85EKS1_S1_EviT_T0_PT8_S3_lS6_S3_lS4_PT9_S3_li
		.amdhsa_group_segment_fixed_size 8192
		.amdhsa_private_segment_fixed_size 0
		.amdhsa_kernarg_size 124
		.amdhsa_user_sgpr_count 13
		.amdhsa_user_sgpr_dispatch_ptr 0
		.amdhsa_user_sgpr_queue_ptr 0
		.amdhsa_user_sgpr_kernarg_segment_ptr 1
		.amdhsa_user_sgpr_dispatch_id 0
		.amdhsa_user_sgpr_private_segment_size 0
		.amdhsa_wavefront_size32 1
		.amdhsa_uses_dynamic_stack 0
		.amdhsa_enable_private_segment 0
		.amdhsa_system_sgpr_workgroup_id_x 1
		.amdhsa_system_sgpr_workgroup_id_y 1
		.amdhsa_system_sgpr_workgroup_id_z 1
		.amdhsa_system_sgpr_workgroup_info 0
		.amdhsa_system_vgpr_workitem_id 1
		.amdhsa_next_free_vgpr 121
		.amdhsa_next_free_sgpr 40
		.amdhsa_reserve_vcc 1
		.amdhsa_float_round_mode_32 0
		.amdhsa_float_round_mode_16_64 0
		.amdhsa_float_denorm_mode_32 3
		.amdhsa_float_denorm_mode_16_64 3
		.amdhsa_dx10_clamp 1
		.amdhsa_ieee_mode 1
		.amdhsa_fp16_overflow 0
		.amdhsa_workgroup_processor_mode 1
		.amdhsa_memory_ordered 1
		.amdhsa_forward_progress 0
		.amdhsa_shared_vgpr_count 0
		.amdhsa_exception_fp_ieee_invalid_op 0
		.amdhsa_exception_fp_denorm_src 0
		.amdhsa_exception_fp_ieee_div_zero 0
		.amdhsa_exception_fp_ieee_overflow 0
		.amdhsa_exception_fp_ieee_underflow 0
		.amdhsa_exception_fp_ieee_inexact 0
		.amdhsa_exception_int_div_zero 0
	.end_amdhsa_kernel
	.section	.text._ZL34rocblas_syrkx_herkx_general_kernelIl19rocblas_complex_numIdELi16ELi32ELi8ELb0ELb0ELc67ELc85EKS1_S1_EviT_T0_PT8_S3_lS6_S3_lS4_PT9_S3_li,"axG",@progbits,_ZL34rocblas_syrkx_herkx_general_kernelIl19rocblas_complex_numIdELi16ELi32ELi8ELb0ELb0ELc67ELc85EKS1_S1_EviT_T0_PT8_S3_lS6_S3_lS4_PT9_S3_li,comdat
.Lfunc_end1227:
	.size	_ZL34rocblas_syrkx_herkx_general_kernelIl19rocblas_complex_numIdELi16ELi32ELi8ELb0ELb0ELc67ELc85EKS1_S1_EviT_T0_PT8_S3_lS6_S3_lS4_PT9_S3_li, .Lfunc_end1227-_ZL34rocblas_syrkx_herkx_general_kernelIl19rocblas_complex_numIdELi16ELi32ELi8ELb0ELb0ELc67ELc85EKS1_S1_EviT_T0_PT8_S3_lS6_S3_lS4_PT9_S3_li
                                        ; -- End function
	.section	.AMDGPU.csdata,"",@progbits
; Kernel info:
; codeLenInByte = 3608
; NumSgprs: 42
; NumVgprs: 121
; ScratchSize: 0
; MemoryBound: 1
; FloatMode: 240
; IeeeMode: 1
; LDSByteSize: 8192 bytes/workgroup (compile time only)
; SGPRBlocks: 5
; VGPRBlocks: 15
; NumSGPRsForWavesPerEU: 42
; NumVGPRsForWavesPerEU: 121
; Occupancy: 10
; WaveLimiterHint : 0
; COMPUTE_PGM_RSRC2:SCRATCH_EN: 0
; COMPUTE_PGM_RSRC2:USER_SGPR: 13
; COMPUTE_PGM_RSRC2:TRAP_HANDLER: 0
; COMPUTE_PGM_RSRC2:TGID_X_EN: 1
; COMPUTE_PGM_RSRC2:TGID_Y_EN: 1
; COMPUTE_PGM_RSRC2:TGID_Z_EN: 1
; COMPUTE_PGM_RSRC2:TIDIG_COMP_CNT: 1
	.section	.text._ZL34rocblas_syrkx_herkx_general_kernelIl19rocblas_complex_numIdELi16ELi32ELi8ELb0ELb0ELc78ELc85EKS1_S1_EviT_T0_PT8_S3_lS6_S3_lS4_PT9_S3_li,"axG",@progbits,_ZL34rocblas_syrkx_herkx_general_kernelIl19rocblas_complex_numIdELi16ELi32ELi8ELb0ELb0ELc78ELc85EKS1_S1_EviT_T0_PT8_S3_lS6_S3_lS4_PT9_S3_li,comdat
	.globl	_ZL34rocblas_syrkx_herkx_general_kernelIl19rocblas_complex_numIdELi16ELi32ELi8ELb0ELb0ELc78ELc85EKS1_S1_EviT_T0_PT8_S3_lS6_S3_lS4_PT9_S3_li ; -- Begin function _ZL34rocblas_syrkx_herkx_general_kernelIl19rocblas_complex_numIdELi16ELi32ELi8ELb0ELb0ELc78ELc85EKS1_S1_EviT_T0_PT8_S3_lS6_S3_lS4_PT9_S3_li
	.p2align	8
	.type	_ZL34rocblas_syrkx_herkx_general_kernelIl19rocblas_complex_numIdELi16ELi32ELi8ELb0ELb0ELc78ELc85EKS1_S1_EviT_T0_PT8_S3_lS6_S3_lS4_PT9_S3_li,@function
_ZL34rocblas_syrkx_herkx_general_kernelIl19rocblas_complex_numIdELi16ELi32ELi8ELb0ELb0ELc78ELc85EKS1_S1_EviT_T0_PT8_S3_lS6_S3_lS4_PT9_S3_li: ; @_ZL34rocblas_syrkx_herkx_general_kernelIl19rocblas_complex_numIdELi16ELi32ELi8ELb0ELb0ELc78ELc85EKS1_S1_EviT_T0_PT8_S3_lS6_S3_lS4_PT9_S3_li
; %bb.0:
	s_clause 0x3
	s_load_b512 s[16:31], s[0:1], 0x8
	s_load_b32 s33, s[0:1], 0x0
	s_load_b128 s[36:39], s[0:1], 0x68
	s_load_b256 s[4:11], s[0:1], 0x48
	v_mov_b32_e32 v21, 0
	v_dual_mov_b32 v22, 0 :: v_dual_and_b32 v25, 0x3ff, v0
	v_bfe_u32 v26, v0, 10, 10
	s_delay_alu instid0(VALU_DEP_3) | instskip(NEXT) | instid1(VALU_DEP_3)
	v_mov_b32_e32 v17, v21
	v_dual_mov_b32 v19, v21 :: v_dual_mov_b32 v20, v22
	v_dual_mov_b32 v24, v22 :: v_dual_mov_b32 v23, v21
	;; [unrolled: 1-line block ×5, first 2 shown]
	v_mov_b32_e32 v10, v22
	s_waitcnt lgkmcnt(0)
	v_cmp_lt_i64_e64 s0, s[16:17], 1
	v_dual_mov_b32 v11, v21 :: v_dual_mov_b32 v12, v22
	s_lshl_b32 s34, s13, 5
	s_lshl_b32 s14, s14, 5
	s_mov_b64 s[2:3], 0
	s_delay_alu instid0(VALU_DEP_2)
	s_and_b32 vcc_lo, exec_lo, s0
	s_cbranch_vccnz .LBB1228_9
; %bb.1:
	v_lshl_add_u32 v5, v26, 4, v25
	v_dual_mov_b32 v0, 0 :: v_dual_and_b32 v27, 7, v25
	s_mul_i32 s1, s27, s15
	s_mul_hi_u32 s12, s26, s15
	s_delay_alu instid0(VALU_DEP_2) | instskip(NEXT) | instid1(VALU_DEP_2)
	v_lshrrev_b32_e32 v28, 5, v5
	v_mad_u64_u32 v[3:4], null, s30, v27, 0
	v_and_b32_e32 v10, 31, v5
	v_lshrrev_b32_e32 v7, 3, v5
	s_delay_alu instid0(VALU_DEP_4) | instskip(SKIP_1) | instid1(VALU_DEP_3)
	v_mad_u64_u32 v[1:2], null, s24, v28, 0
	s_mul_i32 s0, s26, s15
	v_or_b32_e32 v11, s34, v10
	v_lshlrev_b32_e32 v12, 4, v10
	s_add_i32 s1, s12, s1
	s_mul_i32 s5, s5, s15
	s_lshl_b64 s[12:13], s[0:1], 4
	s_delay_alu instid0(VALU_DEP_3)
	v_mad_u64_u32 v[5:6], null, s25, v28, v[2:3]
	v_cmp_gt_i32_e32 vcc_lo, s33, v11
	v_lshl_or_b32 v31, v28, 9, v12
	v_mov_b32_e32 v11, 0
	v_mov_b32_e32 v12, 0
	v_lshlrev_b32_e32 v2, 4, v27
	v_lshlrev_b32_e32 v29, 4, v25
	v_add_nc_u32_e32 v6, s14, v7
	v_mad_u64_u32 v[8:9], null, s31, v27, v[4:5]
	s_delay_alu instid0(VALU_DEP_4) | instskip(SKIP_3) | instid1(VALU_DEP_3)
	v_lshl_or_b32 v7, v7, 7, v2
	v_dual_mov_b32 v2, v5 :: v_dual_add_nc_u32 v9, s34, v10
	v_mov_b32_e32 v16, v12
	s_mul_hi_u32 s26, s4, s15
	v_add_nc_u32_e32 v32, 0x1000, v7
	s_delay_alu instid0(VALU_DEP_3) | instskip(SKIP_4) | instid1(VALU_DEP_3)
	v_lshlrev_b64 v[1:2], 4, v[1:2]
	v_dual_mov_b32 v4, v8 :: v_dual_mov_b32 v15, v11
	v_ashrrev_i32_e32 v7, 31, v6
	s_add_i32 s5, s26, s5
	s_mul_i32 s4, s4, s15
	v_add_co_u32 v5, s1, v1, s12
	s_delay_alu instid0(VALU_DEP_1)
	v_add_co_ci_u32_e64 v8, s1, s13, v2, s1
	v_lshlrev_b64 v[1:2], 4, v[3:4]
	v_ashrrev_i32_e32 v10, 31, v9
	s_lshl_b64 s[4:5], s[4:5], 4
	v_lshlrev_b64 v[3:4], 4, v[6:7]
	v_cmp_gt_i32_e64 s0, s33, v6
	v_mov_b32_e32 v14, v12
	v_add_co_u32 v6, s1, s4, v1
	s_delay_alu instid0(VALU_DEP_1) | instskip(SKIP_1) | instid1(VALU_DEP_3)
	v_add_co_ci_u32_e64 v7, s1, s5, v2, s1
	v_lshlrev_b64 v[1:2], 4, v[9:10]
	v_add_co_u32 v3, s1, v6, v3
	s_delay_alu instid0(VALU_DEP_1) | instskip(SKIP_1) | instid1(VALU_DEP_4)
	v_add_co_ci_u32_e64 v4, s1, v7, v4, s1
	v_mov_b32_e32 v9, v11
	v_add_co_u32 v1, s1, v5, v1
	s_delay_alu instid0(VALU_DEP_1) | instskip(SKIP_1) | instid1(VALU_DEP_1)
	v_add_co_ci_u32_e64 v2, s1, v8, v2, s1
	v_add_co_u32 v3, s1, v3, s28
	v_add_co_ci_u32_e64 v4, s1, s29, v4, s1
	s_delay_alu instid0(VALU_DEP_4) | instskip(NEXT) | instid1(VALU_DEP_1)
	v_add_co_u32 v5, s1, s22, v1
	v_add_co_ci_u32_e64 v6, s1, s23, v2, s1
	s_delay_alu instid0(VALU_DEP_4)
	v_add_co_u32 v7, s1, v3, 8
	v_mov_b32_e32 v20, v12
	v_mov_b32_e32 v18, v12
	;; [unrolled: 1-line block ×3, first 2 shown]
	v_dual_mov_b32 v22, v12 :: v_dual_mov_b32 v21, v11
	v_lshl_add_u32 v30, v26, 7, 0x1000
	v_add_co_ci_u32_e64 v8, s1, 0, v4, s1
	v_dual_mov_b32 v10, v12 :: v_dual_mov_b32 v19, v11
	v_mov_b32_e32 v13, v11
	v_mov_b32_e32 v17, v11
	;; [unrolled: 1-line block ×3, first 2 shown]
	s_lshl_b64 s[4:5], s[24:25], 7
	s_lshl_b64 s[12:13], s[30:31], 7
	s_xor_b32 s1, vcc_lo, -1
	s_branch .LBB1228_3
.LBB1228_2:                             ;   in Loop: Header=BB1228_3 Depth=1
	s_or_b32 exec_lo, exec_lo, s22
	s_waitcnt vmcnt(0)
	ds_store_b128 v32, v[1:4]
	s_waitcnt lgkmcnt(0)
	s_barrier
	buffer_gl0_inv
	ds_load_b128 v[1:4], v30
	ds_load_b128 v[33:36], v29
	ds_load_b128 v[37:40], v29 offset:256
	ds_load_b128 v[41:44], v30 offset:2048
	;; [unrolled: 1-line block ×9, first 2 shown]
	s_add_u32 s2, s2, 8
	s_addc_u32 s3, s3, 0
	v_add_co_u32 v5, vcc_lo, v5, s4
	v_cmp_ge_i64_e64 s22, s[2:3], s[16:17]
	v_add_co_ci_u32_e32 v6, vcc_lo, s5, v6, vcc_lo
	v_add_co_u32 v7, vcc_lo, v7, s12
	v_add_co_ci_u32_e32 v8, vcc_lo, s13, v8, vcc_lo
	s_delay_alu instid0(VALU_DEP_4)
	s_and_b32 vcc_lo, exec_lo, s22
	s_waitcnt lgkmcnt(9)
	v_mul_f64 v[73:74], v[3:4], v[35:36]
	v_mul_f64 v[75:76], v[1:2], v[35:36]
	s_waitcnt lgkmcnt(8)
	v_mul_f64 v[77:78], v[3:4], v[39:40]
	v_mul_f64 v[79:80], v[1:2], v[39:40]
	s_waitcnt lgkmcnt(7)
	v_mul_f64 v[81:82], v[43:44], v[35:36]
	v_mul_f64 v[35:36], v[41:42], v[35:36]
	v_mul_f64 v[83:84], v[43:44], v[39:40]
	v_mul_f64 v[39:40], v[41:42], v[39:40]
	s_waitcnt lgkmcnt(4)
	v_mul_f64 v[85:86], v[47:48], v[55:56]
	v_mul_f64 v[87:88], v[45:46], v[55:56]
	s_waitcnt lgkmcnt(3)
	v_mul_f64 v[89:90], v[47:48], v[59:60]
	v_mul_f64 v[91:92], v[45:46], v[59:60]
	;; [unrolled: 1-line block ×6, first 2 shown]
	v_fma_f64 v[97:98], v[1:2], v[33:34], -v[73:74]
	v_fma_f64 v[99:100], v[3:4], v[33:34], v[75:76]
	ds_load_b128 v[73:76], v30 offset:32
	v_fma_f64 v[77:78], v[1:2], v[37:38], -v[77:78]
	v_fma_f64 v[79:80], v[3:4], v[37:38], v[79:80]
	v_fma_f64 v[81:82], v[41:42], v[33:34], -v[81:82]
	v_fma_f64 v[101:102], v[43:44], v[33:34], v[35:36]
	;; [unrolled: 2-line block ×3, first 2 shown]
	s_waitcnt lgkmcnt(1)
	v_mul_f64 v[113:114], v[71:72], v[63:64]
	v_fma_f64 v[85:86], v[45:46], v[53:54], -v[85:86]
	v_fma_f64 v[87:88], v[47:48], v[53:54], v[87:88]
	v_fma_f64 v[45:46], v[45:46], v[57:58], -v[89:90]
	v_fma_f64 v[47:48], v[47:48], v[57:58], v[91:92]
	v_mul_f64 v[89:90], v[71:72], v[67:68]
	v_fma_f64 v[91:92], v[49:50], v[53:54], -v[93:94]
	v_fma_f64 v[53:54], v[51:52], v[53:54], v[55:56]
	v_fma_f64 v[49:50], v[49:50], v[57:58], -v[95:96]
	v_fma_f64 v[51:52], v[51:52], v[57:58], v[59:60]
	ds_load_b128 v[1:4], v30 offset:48
	ds_load_b128 v[33:36], v30 offset:2096
	;; [unrolled: 1-line block ×4, first 2 shown]
	s_waitcnt lgkmcnt(4)
	v_mul_f64 v[105:106], v[75:76], v[63:64]
	v_mul_f64 v[107:108], v[73:74], v[63:64]
	;; [unrolled: 1-line block ×6, first 2 shown]
	s_waitcnt lgkmcnt(1)
	v_mul_f64 v[93:94], v[1:2], v[39:40]
	v_add_f64 v[21:22], v[21:22], v[97:98]
	v_add_f64 v[23:24], v[23:24], v[99:100]
	;; [unrolled: 1-line block ×8, first 2 shown]
	v_mul_f64 v[83:84], v[3:4], v[39:40]
	s_waitcnt lgkmcnt(0)
	v_mul_f64 v[95:96], v[3:4], v[43:44]
	v_mul_f64 v[97:98], v[1:2], v[43:44]
	;; [unrolled: 1-line block ×6, first 2 shown]
	ds_load_b128 v[9:12], v29 offset:2048
	ds_load_b128 v[13:16], v29 offset:2304
	;; [unrolled: 1-line block ×3, first 2 shown]
	v_fma_f64 v[105:106], v[73:74], v[61:62], -v[105:106]
	v_fma_f64 v[107:108], v[75:76], v[61:62], v[107:108]
	v_fma_f64 v[73:74], v[73:74], v[65:66], -v[109:110]
	v_fma_f64 v[75:76], v[75:76], v[65:66], v[111:112]
	;; [unrolled: 2-line block ×4, first 2 shown]
	s_waitcnt lgkmcnt(0)
	v_mul_f64 v[113:114], v[19:20], v[11:12]
	v_mul_f64 v[115:116], v[19:20], v[15:16]
	v_fma_f64 v[93:94], v[3:4], v[37:38], v[93:94]
	v_add_f64 v[67:68], v[21:22], v[85:86]
	v_add_f64 v[69:70], v[23:24], v[87:88]
	;; [unrolled: 1-line block ×8, first 2 shown]
	ds_load_b128 v[21:24], v30 offset:64
	v_fma_f64 v[83:84], v[1:2], v[37:38], -v[83:84]
	v_fma_f64 v[95:96], v[1:2], v[41:42], -v[95:96]
	v_fma_f64 v[97:98], v[3:4], v[41:42], v[97:98]
	v_fma_f64 v[99:100], v[33:34], v[37:38], -v[99:100]
	v_fma_f64 v[117:118], v[35:36], v[37:38], v[39:40]
	v_fma_f64 v[101:102], v[33:34], v[41:42], -v[101:102]
	v_fma_f64 v[41:42], v[35:36], v[41:42], v[103:104]
	ds_load_b128 v[43:46], v30 offset:80
	ds_load_b128 v[47:50], v30 offset:2128
	;; [unrolled: 1-line block ×7, first 2 shown]
	s_waitcnt lgkmcnt(7)
	v_mul_f64 v[87:88], v[23:24], v[11:12]
	v_mul_f64 v[89:90], v[21:22], v[11:12]
	;; [unrolled: 1-line block ×6, first 2 shown]
	s_waitcnt lgkmcnt(3)
	v_mul_f64 v[103:104], v[49:50], v[57:58]
	v_add_f64 v[67:68], v[67:68], v[105:106]
	v_add_f64 v[69:70], v[69:70], v[107:108]
	;; [unrolled: 1-line block ×8, first 2 shown]
	v_mul_f64 v[75:76], v[45:46], v[53:54]
	v_mul_f64 v[77:78], v[43:44], v[53:54]
	;; [unrolled: 1-line block ×7, first 2 shown]
	v_fma_f64 v[109:110], v[17:18], v[9:10], -v[113:114]
	v_fma_f64 v[113:114], v[17:18], v[13:14], -v[115:116]
	v_fma_f64 v[87:88], v[21:22], v[9:10], -v[87:88]
	v_fma_f64 v[89:90], v[23:24], v[9:10], v[89:90]
	v_fma_f64 v[91:92], v[21:22], v[13:14], -v[91:92]
	v_fma_f64 v[107:108], v[23:24], v[13:14], v[111:112]
	v_fma_f64 v[111:112], v[19:20], v[9:10], v[11:12]
	;; [unrolled: 1-line block ×3, first 2 shown]
	ds_load_b128 v[9:12], v30 offset:96
	v_add_f64 v[67:68], v[67:68], v[83:84]
	v_add_f64 v[69:70], v[69:70], v[93:94]
	;; [unrolled: 1-line block ×8, first 2 shown]
	s_waitcnt lgkmcnt(1)
	v_mul_f64 v[99:100], v[39:40], v[3:4]
	v_fma_f64 v[75:76], v[43:44], v[51:52], -v[75:76]
	v_fma_f64 v[77:78], v[45:46], v[51:52], v[77:78]
	v_fma_f64 v[43:44], v[43:44], v[55:56], -v[79:80]
	v_fma_f64 v[45:46], v[45:46], v[55:56], v[81:82]
	v_mul_f64 v[79:80], v[39:40], v[35:36]
	v_fma_f64 v[81:82], v[47:48], v[51:52], -v[85:86]
	v_fma_f64 v[51:52], v[49:50], v[51:52], v[53:54]
	s_waitcnt lgkmcnt(0)
	v_mul_f64 v[65:66], v[11:12], v[3:4]
	v_mul_f64 v[93:94], v[9:10], v[3:4]
	v_mul_f64 v[95:96], v[11:12], v[35:36]
	v_mul_f64 v[97:98], v[9:10], v[35:36]
	v_mul_f64 v[3:4], v[37:38], v[3:4]
	v_mul_f64 v[35:36], v[37:38], v[35:36]
	v_fma_f64 v[47:48], v[47:48], v[55:56], -v[103:104]
	v_fma_f64 v[49:50], v[49:50], v[55:56], v[105:106]
	ds_load_b128 v[13:16], v30 offset:112
	ds_load_b128 v[17:20], v30 offset:2160
	;; [unrolled: 1-line block ×4, first 2 shown]
	s_waitcnt lgkmcnt(0)
	s_barrier
	buffer_gl0_inv
	v_add_f64 v[53:54], v[67:68], v[87:88]
	v_add_f64 v[55:56], v[69:70], v[89:90]
	;; [unrolled: 1-line block ×8, first 2 shown]
	v_mul_f64 v[73:74], v[15:16], v[23:24]
	v_mul_f64 v[83:84], v[13:14], v[23:24]
	v_mul_f64 v[85:86], v[15:16], v[59:60]
	v_mul_f64 v[87:88], v[13:14], v[59:60]
	v_mul_f64 v[89:90], v[19:20], v[23:24]
	v_mul_f64 v[23:24], v[17:18], v[23:24]
	v_mul_f64 v[91:92], v[19:20], v[59:60]
	v_mul_f64 v[59:60], v[17:18], v[59:60]
	v_fma_f64 v[65:66], v[9:10], v[1:2], -v[65:66]
	v_fma_f64 v[93:94], v[11:12], v[1:2], v[93:94]
	v_fma_f64 v[9:10], v[9:10], v[33:34], -v[95:96]
	v_fma_f64 v[11:12], v[11:12], v[33:34], v[97:98]
	;; [unrolled: 2-line block ×4, first 2 shown]
	v_add_f64 v[35:36], v[53:54], v[75:76]
	v_add_f64 v[37:38], v[55:56], v[77:78]
	;; [unrolled: 1-line block ×8, first 2 shown]
	v_fma_f64 v[49:50], v[13:14], v[21:22], -v[73:74]
	v_fma_f64 v[53:54], v[15:16], v[21:22], v[83:84]
	v_fma_f64 v[13:14], v[13:14], v[57:58], -v[85:86]
	v_fma_f64 v[15:16], v[15:16], v[57:58], v[87:88]
	;; [unrolled: 2-line block ×4, first 2 shown]
	v_add_f64 v[17:18], v[35:36], v[65:66]
	v_add_f64 v[19:20], v[37:38], v[93:94]
	;; [unrolled: 1-line block ×16, first 2 shown]
	s_cbranch_vccnz .LBB1228_9
.LBB1228_3:                             ; =>This Inner Loop Header: Depth=1
	v_add_co_u32 v1, s22, v28, s2
	s_delay_alu instid0(VALU_DEP_1) | instskip(NEXT) | instid1(VALU_DEP_1)
	v_add_co_ci_u32_e64 v2, null, 0, s3, s22
	v_cmp_le_i64_e32 vcc_lo, s[16:17], v[1:2]
	s_or_b32 s22, s1, vcc_lo
	s_delay_alu instid0(SALU_CYCLE_1) | instskip(NEXT) | instid1(SALU_CYCLE_1)
	s_and_saveexec_b32 s23, s22
	s_xor_b32 s22, exec_lo, s23
	s_cbranch_execz .LBB1228_5
; %bb.4:                                ;   in Loop: Header=BB1228_3 Depth=1
	v_mov_b32_e32 v1, v0
	v_mov_b32_e32 v2, v0
	;; [unrolled: 1-line block ×3, first 2 shown]
	ds_store_b128 v31, v[0:3]
.LBB1228_5:                             ;   in Loop: Header=BB1228_3 Depth=1
	s_and_not1_saveexec_b32 s22, s22
	s_cbranch_execz .LBB1228_7
; %bb.6:                                ;   in Loop: Header=BB1228_3 Depth=1
	global_load_b128 v[1:4], v[5:6], off
	s_waitcnt vmcnt(0)
	ds_store_2addr_b64 v31, v[1:2], v[3:4] offset1:1
.LBB1228_7:                             ;   in Loop: Header=BB1228_3 Depth=1
	s_or_b32 exec_lo, exec_lo, s22
	v_add_co_u32 v3, s22, v27, s2
	s_delay_alu instid0(VALU_DEP_1) | instskip(SKIP_2) | instid1(VALU_DEP_3)
	v_add_co_ci_u32_e64 v4, null, 0, s3, s22
	v_mov_b32_e32 v1, 0
	v_mov_b32_e32 v2, 0
	v_cmp_gt_i64_e32 vcc_lo, s[16:17], v[3:4]
	s_delay_alu instid0(VALU_DEP_2) | instskip(SKIP_1) | instid1(SALU_CYCLE_1)
	v_dual_mov_b32 v4, v2 :: v_dual_mov_b32 v3, v1
	s_and_b32 s23, vcc_lo, s0
	s_and_saveexec_b32 s22, s23
	s_cbranch_execz .LBB1228_2
; %bb.8:                                ;   in Loop: Header=BB1228_3 Depth=1
	global_load_b128 v[1:4], v[7:8], off offset:-8
	s_branch .LBB1228_2
.LBB1228_9:
	v_add_nc_u32_e32 v4, s14, v26
	s_mul_i32 s1, s15, s39
	s_mul_hi_u32 s2, s15, s38
	s_mul_i32 s0, s15, s38
	s_add_i32 s1, s2, s1
	v_ashrrev_i32_e32 v0, 31, v4
	v_mul_lo_u32 v3, v4, s37
	v_mad_u64_u32 v[1:2], null, v4, s36, 0
	s_lshl_b64 s[2:3], s[0:1], 4
	s_delay_alu instid0(VALU_DEP_3) | instskip(SKIP_3) | instid1(VALU_DEP_2)
	v_mul_lo_u32 v0, v0, s36
	s_add_u32 s2, s10, s2
	v_cmp_gt_i32_e32 vcc_lo, s33, v4
	s_addc_u32 s3, s11, s3
	v_add3_u32 v2, v2, v3, v0
	v_add_nc_u32_e32 v0, s34, v25
	s_delay_alu instid0(VALU_DEP_2) | instskip(NEXT) | instid1(VALU_DEP_2)
	v_lshlrev_b64 v[1:2], 4, v[1:2]
	v_cmp_le_i32_e64 s0, v0, v4
	s_delay_alu instid0(VALU_DEP_1) | instskip(NEXT) | instid1(VALU_DEP_2)
	s_and_b32 s0, vcc_lo, s0
	v_add_co_u32 v5, s1, s2, v1
	s_delay_alu instid0(VALU_DEP_1)
	v_add_co_ci_u32_e64 v6, s1, s3, v2, s1
	s_and_saveexec_b32 s1, s0
	s_cbranch_execz .LBB1228_11
; %bb.10:
	v_ashrrev_i32_e32 v1, 31, v0
	v_mul_f64 v[7:8], s[20:21], v[23:24]
	v_mul_f64 v[23:24], s[18:19], v[23:24]
	s_delay_alu instid0(VALU_DEP_3) | instskip(NEXT) | instid1(VALU_DEP_1)
	v_lshlrev_b64 v[1:2], 4, v[0:1]
	v_add_co_u32 v1, s0, v5, v1
	s_delay_alu instid0(VALU_DEP_1)
	v_add_co_ci_u32_e64 v2, s0, v6, v2, s0
	global_load_b128 v[25:28], v[1:2], off
	v_fma_f64 v[7:8], s[18:19], v[21:22], -v[7:8]
	v_fma_f64 v[23:24], s[20:21], v[21:22], v[23:24]
	s_waitcnt vmcnt(0)
	v_mul_f64 v[29:30], s[8:9], v[27:28]
	v_mul_f64 v[27:28], s[6:7], v[27:28]
	s_delay_alu instid0(VALU_DEP_2) | instskip(NEXT) | instid1(VALU_DEP_2)
	v_fma_f64 v[21:22], s[6:7], v[25:26], -v[29:30]
	v_fma_f64 v[25:26], s[8:9], v[25:26], v[27:28]
	s_delay_alu instid0(VALU_DEP_2) | instskip(NEXT) | instid1(VALU_DEP_2)
	v_add_f64 v[21:22], v[7:8], v[21:22]
	v_add_f64 v[23:24], v[23:24], v[25:26]
	global_store_b128 v[1:2], v[21:24], off
.LBB1228_11:
	s_or_b32 exec_lo, exec_lo, s1
	v_add_nc_u32_e32 v2, 16, v0
	s_delay_alu instid0(VALU_DEP_1) | instskip(NEXT) | instid1(VALU_DEP_1)
	v_cmp_le_i32_e64 s0, v2, v4
	s_and_b32 s1, vcc_lo, s0
	s_delay_alu instid0(SALU_CYCLE_1)
	s_and_saveexec_b32 s0, s1
	s_cbranch_execz .LBB1228_13
; %bb.12:
	v_ashrrev_i32_e32 v3, 31, v2
	v_mul_f64 v[23:24], s[20:21], v[19:20]
	v_mul_f64 v[19:20], s[18:19], v[19:20]
	s_delay_alu instid0(VALU_DEP_3) | instskip(NEXT) | instid1(VALU_DEP_1)
	v_lshlrev_b64 v[7:8], 4, v[2:3]
	v_add_co_u32 v21, vcc_lo, v5, v7
	s_delay_alu instid0(VALU_DEP_2)
	v_add_co_ci_u32_e32 v22, vcc_lo, v6, v8, vcc_lo
	global_load_b128 v[5:8], v[21:22], off
	v_fma_f64 v[23:24], s[18:19], v[17:18], -v[23:24]
	v_fma_f64 v[17:18], s[20:21], v[17:18], v[19:20]
	s_waitcnt vmcnt(0)
	v_mul_f64 v[25:26], s[8:9], v[7:8]
	v_mul_f64 v[7:8], s[6:7], v[7:8]
	s_delay_alu instid0(VALU_DEP_2) | instskip(NEXT) | instid1(VALU_DEP_2)
	v_fma_f64 v[19:20], s[6:7], v[5:6], -v[25:26]
	v_fma_f64 v[7:8], s[8:9], v[5:6], v[7:8]
	s_delay_alu instid0(VALU_DEP_2) | instskip(NEXT) | instid1(VALU_DEP_2)
	v_add_f64 v[5:6], v[23:24], v[19:20]
	v_add_f64 v[7:8], v[17:18], v[7:8]
	global_store_b128 v[21:22], v[5:8], off
.LBB1228_13:
	s_or_b32 exec_lo, exec_lo, s0
	v_add_nc_u32_e32 v3, 16, v4
	s_delay_alu instid0(VALU_DEP_1) | instskip(SKIP_3) | instid1(VALU_DEP_4)
	v_ashrrev_i32_e32 v1, 31, v3
	v_mul_lo_u32 v6, v3, s37
	v_mad_u64_u32 v[4:5], null, v3, s36, 0
	v_cmp_gt_i32_e32 vcc_lo, s33, v3
	v_mul_lo_u32 v1, v1, s36
	v_cmp_le_i32_e64 s0, v0, v3
	s_delay_alu instid0(VALU_DEP_1) | instskip(NEXT) | instid1(VALU_DEP_2)
	s_and_b32 s0, vcc_lo, s0
	v_add3_u32 v5, v5, v6, v1
	s_delay_alu instid0(VALU_DEP_1) | instskip(NEXT) | instid1(VALU_DEP_1)
	v_lshlrev_b64 v[4:5], 4, v[4:5]
	v_add_co_u32 v4, s1, s2, v4
	s_delay_alu instid0(VALU_DEP_1)
	v_add_co_ci_u32_e64 v5, s1, s3, v5, s1
	s_and_saveexec_b32 s1, s0
	s_cbranch_execz .LBB1228_15
; %bb.14:
	v_ashrrev_i32_e32 v1, 31, v0
	v_mul_f64 v[6:7], s[20:21], v[15:16]
	v_mul_f64 v[15:16], s[18:19], v[15:16]
	s_delay_alu instid0(VALU_DEP_3) | instskip(NEXT) | instid1(VALU_DEP_1)
	v_lshlrev_b64 v[0:1], 4, v[0:1]
	v_add_co_u32 v0, s0, v4, v0
	s_delay_alu instid0(VALU_DEP_1)
	v_add_co_ci_u32_e64 v1, s0, v5, v1, s0
	global_load_b128 v[17:20], v[0:1], off
	v_fma_f64 v[6:7], s[18:19], v[13:14], -v[6:7]
	v_fma_f64 v[15:16], s[20:21], v[13:14], v[15:16]
	s_waitcnt vmcnt(0)
	v_mul_f64 v[21:22], s[8:9], v[19:20]
	v_mul_f64 v[19:20], s[6:7], v[19:20]
	s_delay_alu instid0(VALU_DEP_2) | instskip(NEXT) | instid1(VALU_DEP_2)
	v_fma_f64 v[13:14], s[6:7], v[17:18], -v[21:22]
	v_fma_f64 v[17:18], s[8:9], v[17:18], v[19:20]
	s_delay_alu instid0(VALU_DEP_2) | instskip(NEXT) | instid1(VALU_DEP_2)
	v_add_f64 v[13:14], v[6:7], v[13:14]
	v_add_f64 v[15:16], v[15:16], v[17:18]
	global_store_b128 v[0:1], v[13:16], off
.LBB1228_15:
	s_or_b32 exec_lo, exec_lo, s1
	v_cmp_le_i32_e64 s0, v2, v3
	s_delay_alu instid0(VALU_DEP_1) | instskip(NEXT) | instid1(SALU_CYCLE_1)
	s_and_b32 s0, vcc_lo, s0
	s_and_saveexec_b32 s1, s0
	s_cbranch_execz .LBB1228_17
; %bb.16:
	v_ashrrev_i32_e32 v3, 31, v2
	v_mul_f64 v[6:7], s[20:21], v[11:12]
	v_mul_f64 v[11:12], s[18:19], v[11:12]
	s_delay_alu instid0(VALU_DEP_3) | instskip(NEXT) | instid1(VALU_DEP_1)
	v_lshlrev_b64 v[0:1], 4, v[2:3]
	v_add_co_u32 v4, vcc_lo, v4, v0
	s_delay_alu instid0(VALU_DEP_2)
	v_add_co_ci_u32_e32 v5, vcc_lo, v5, v1, vcc_lo
	global_load_b128 v[0:3], v[4:5], off
	v_fma_f64 v[6:7], s[18:19], v[9:10], -v[6:7]
	v_fma_f64 v[8:9], s[20:21], v[9:10], v[11:12]
	s_waitcnt vmcnt(0)
	v_mul_f64 v[13:14], s[8:9], v[2:3]
	v_mul_f64 v[2:3], s[6:7], v[2:3]
	s_delay_alu instid0(VALU_DEP_2) | instskip(NEXT) | instid1(VALU_DEP_2)
	v_fma_f64 v[10:11], s[6:7], v[0:1], -v[13:14]
	v_fma_f64 v[2:3], s[8:9], v[0:1], v[2:3]
	s_delay_alu instid0(VALU_DEP_2) | instskip(NEXT) | instid1(VALU_DEP_2)
	v_add_f64 v[0:1], v[6:7], v[10:11]
	v_add_f64 v[2:3], v[8:9], v[2:3]
	global_store_b128 v[4:5], v[0:3], off
.LBB1228_17:
	s_nop 0
	s_sendmsg sendmsg(MSG_DEALLOC_VGPRS)
	s_endpgm
	.section	.rodata,"a",@progbits
	.p2align	6, 0x0
	.amdhsa_kernel _ZL34rocblas_syrkx_herkx_general_kernelIl19rocblas_complex_numIdELi16ELi32ELi8ELb0ELb0ELc78ELc85EKS1_S1_EviT_T0_PT8_S3_lS6_S3_lS4_PT9_S3_li
		.amdhsa_group_segment_fixed_size 8192
		.amdhsa_private_segment_fixed_size 0
		.amdhsa_kernarg_size 124
		.amdhsa_user_sgpr_count 13
		.amdhsa_user_sgpr_dispatch_ptr 0
		.amdhsa_user_sgpr_queue_ptr 0
		.amdhsa_user_sgpr_kernarg_segment_ptr 1
		.amdhsa_user_sgpr_dispatch_id 0
		.amdhsa_user_sgpr_private_segment_size 0
		.amdhsa_wavefront_size32 1
		.amdhsa_uses_dynamic_stack 0
		.amdhsa_enable_private_segment 0
		.amdhsa_system_sgpr_workgroup_id_x 1
		.amdhsa_system_sgpr_workgroup_id_y 1
		.amdhsa_system_sgpr_workgroup_id_z 1
		.amdhsa_system_sgpr_workgroup_info 0
		.amdhsa_system_vgpr_workitem_id 1
		.amdhsa_next_free_vgpr 119
		.amdhsa_next_free_sgpr 40
		.amdhsa_reserve_vcc 1
		.amdhsa_float_round_mode_32 0
		.amdhsa_float_round_mode_16_64 0
		.amdhsa_float_denorm_mode_32 3
		.amdhsa_float_denorm_mode_16_64 3
		.amdhsa_dx10_clamp 1
		.amdhsa_ieee_mode 1
		.amdhsa_fp16_overflow 0
		.amdhsa_workgroup_processor_mode 1
		.amdhsa_memory_ordered 1
		.amdhsa_forward_progress 0
		.amdhsa_shared_vgpr_count 0
		.amdhsa_exception_fp_ieee_invalid_op 0
		.amdhsa_exception_fp_denorm_src 0
		.amdhsa_exception_fp_ieee_div_zero 0
		.amdhsa_exception_fp_ieee_overflow 0
		.amdhsa_exception_fp_ieee_underflow 0
		.amdhsa_exception_fp_ieee_inexact 0
		.amdhsa_exception_int_div_zero 0
	.end_amdhsa_kernel
	.section	.text._ZL34rocblas_syrkx_herkx_general_kernelIl19rocblas_complex_numIdELi16ELi32ELi8ELb0ELb0ELc78ELc85EKS1_S1_EviT_T0_PT8_S3_lS6_S3_lS4_PT9_S3_li,"axG",@progbits,_ZL34rocblas_syrkx_herkx_general_kernelIl19rocblas_complex_numIdELi16ELi32ELi8ELb0ELb0ELc78ELc85EKS1_S1_EviT_T0_PT8_S3_lS6_S3_lS4_PT9_S3_li,comdat
.Lfunc_end1228:
	.size	_ZL34rocblas_syrkx_herkx_general_kernelIl19rocblas_complex_numIdELi16ELi32ELi8ELb0ELb0ELc78ELc85EKS1_S1_EviT_T0_PT8_S3_lS6_S3_lS4_PT9_S3_li, .Lfunc_end1228-_ZL34rocblas_syrkx_herkx_general_kernelIl19rocblas_complex_numIdELi16ELi32ELi8ELb0ELb0ELc78ELc85EKS1_S1_EviT_T0_PT8_S3_lS6_S3_lS4_PT9_S3_li
                                        ; -- End function
	.section	.AMDGPU.csdata,"",@progbits
; Kernel info:
; codeLenInByte = 3612
; NumSgprs: 42
; NumVgprs: 119
; ScratchSize: 0
; MemoryBound: 1
; FloatMode: 240
; IeeeMode: 1
; LDSByteSize: 8192 bytes/workgroup (compile time only)
; SGPRBlocks: 5
; VGPRBlocks: 14
; NumSGPRsForWavesPerEU: 42
; NumVGPRsForWavesPerEU: 119
; Occupancy: 12
; WaveLimiterHint : 0
; COMPUTE_PGM_RSRC2:SCRATCH_EN: 0
; COMPUTE_PGM_RSRC2:USER_SGPR: 13
; COMPUTE_PGM_RSRC2:TRAP_HANDLER: 0
; COMPUTE_PGM_RSRC2:TGID_X_EN: 1
; COMPUTE_PGM_RSRC2:TGID_Y_EN: 1
; COMPUTE_PGM_RSRC2:TGID_Z_EN: 1
; COMPUTE_PGM_RSRC2:TIDIG_COMP_CNT: 1
	.section	.text._ZL26rocblas_syr2k_scale_kernelIlLi128ELi8ELb0E19rocblas_complex_numIdES1_PS1_EvbiT_T3_T4_T5_S3_li,"axG",@progbits,_ZL26rocblas_syr2k_scale_kernelIlLi128ELi8ELb0E19rocblas_complex_numIdES1_PS1_EvbiT_T3_T4_T5_S3_li,comdat
	.globl	_ZL26rocblas_syr2k_scale_kernelIlLi128ELi8ELb0E19rocblas_complex_numIdES1_PS1_EvbiT_T3_T4_T5_S3_li ; -- Begin function _ZL26rocblas_syr2k_scale_kernelIlLi128ELi8ELb0E19rocblas_complex_numIdES1_PS1_EvbiT_T3_T4_T5_S3_li
	.p2align	8
	.type	_ZL26rocblas_syr2k_scale_kernelIlLi128ELi8ELb0E19rocblas_complex_numIdES1_PS1_EvbiT_T3_T4_T5_S3_li,@function
_ZL26rocblas_syr2k_scale_kernelIlLi128ELi8ELb0E19rocblas_complex_numIdES1_PS1_EvbiT_T3_T4_T5_S3_li: ; @_ZL26rocblas_syr2k_scale_kernelIlLi128ELi8ELb0E19rocblas_complex_numIdES1_PS1_EvbiT_T3_T4_T5_S3_li
; %bb.0:
	s_load_b256 s[4:11], s[0:1], 0x20
	s_waitcnt lgkmcnt(0)
	v_cmp_eq_f64_e64 s2, s[4:5], 1.0
	v_cmp_eq_f64_e64 s3, s[6:7], 0
	s_delay_alu instid0(VALU_DEP_1) | instskip(NEXT) | instid1(SALU_CYCLE_1)
	s_and_b32 s2, s2, s3
	s_and_b32 vcc_lo, exec_lo, s2
	s_cbranch_vccnz .LBB1229_5
; %bb.1:
	s_clause 0x1
	s_load_b64 s[2:3], s[0:1], 0x0
	s_load_b32 s12, s[0:1], 0x5c
	v_and_b32_e32 v2, 0x3ff, v0
	v_bfe_u32 v3, v0, 10, 10
	s_waitcnt lgkmcnt(0)
	s_bitcmp1_b32 s2, 0
	s_cselect_b32 vcc_lo, -1, 0
	s_lshr_b32 s2, s12, 16
	s_and_b32 s12, s12, 0xffff
	s_delay_alu instid0(SALU_CYCLE_1) | instskip(SKIP_1) | instid1(VALU_DEP_1)
	v_mad_u64_u32 v[0:1], null, s13, s12, v[2:3]
	v_mad_u64_u32 v[1:2], null, s14, s2, v[3:4]
	v_cndmask_b32_e32 v2, v1, v0, vcc_lo
	v_max_u32_e32 v3, v0, v1
	v_cndmask_b32_e32 v4, v0, v1, vcc_lo
	s_delay_alu instid0(VALU_DEP_2) | instskip(NEXT) | instid1(VALU_DEP_2)
	v_cmp_gt_u32_e32 vcc_lo, s3, v3
	v_cmp_le_i32_e64 s2, v2, v4
	s_delay_alu instid0(VALU_DEP_1) | instskip(NEXT) | instid1(SALU_CYCLE_1)
	s_and_b32 s2, vcc_lo, s2
	s_and_saveexec_b32 s3, s2
	s_cbranch_execz .LBB1229_5
; %bb.2:
	v_cmp_neq_f64_e64 s2, s[4:5], 0
	v_cmp_neq_f64_e64 s3, s[6:7], 0
	s_load_b64 s[0:1], s[0:1], 0x40
	v_mad_u64_u32 v[4:5], null, v1, s10, 0
	s_delay_alu instid0(VALU_DEP_1) | instskip(NEXT) | instid1(VALU_DEP_1)
	v_mov_b32_e32 v2, v5
	v_mad_u64_u32 v[5:6], null, v1, s11, v[2:3]
	v_dual_mov_b32 v1, 0 :: v_dual_mov_b32 v2, 0
	v_mov_b32_e32 v3, 0
	s_waitcnt lgkmcnt(0)
	s_mul_i32 s1, s15, s1
	s_mul_hi_u32 s10, s15, s0
	s_mul_i32 s0, s15, s0
	s_add_i32 s1, s10, s1
	v_lshlrev_b64 v[4:5], 4, v[4:5]
	s_lshl_b64 s[0:1], s[0:1], 4
	v_lshlrev_b64 v[0:1], 4, v[0:1]
	s_add_u32 s0, s8, s0
	s_addc_u32 s1, s9, s1
	s_delay_alu instid0(VALU_DEP_2) | instskip(SKIP_1) | instid1(VALU_DEP_2)
	v_add_co_u32 v4, vcc_lo, s0, v4
	v_add_co_ci_u32_e32 v5, vcc_lo, s1, v5, vcc_lo
	v_add_co_u32 v4, vcc_lo, v4, v0
	s_delay_alu instid0(VALU_DEP_2) | instskip(SKIP_2) | instid1(SALU_CYCLE_1)
	v_add_co_ci_u32_e32 v5, vcc_lo, v5, v1, vcc_lo
	v_dual_mov_b32 v0, v2 :: v_dual_mov_b32 v1, v3
	s_or_b32 s2, s2, s3
	s_and_not1_b32 vcc_lo, exec_lo, s2
	s_cbranch_vccnz .LBB1229_4
; %bb.3:
	global_load_b128 v[6:9], v[4:5], off
	s_waitcnt vmcnt(0)
	v_mul_f64 v[0:1], s[6:7], v[8:9]
	v_mul_f64 v[2:3], s[4:5], v[8:9]
	s_delay_alu instid0(VALU_DEP_2) | instskip(NEXT) | instid1(VALU_DEP_2)
	v_fma_f64 v[0:1], s[4:5], v[6:7], -v[0:1]
	v_fma_f64 v[2:3], s[6:7], v[6:7], v[2:3]
.LBB1229_4:
	global_store_b128 v[4:5], v[0:3], off
.LBB1229_5:
	s_nop 0
	s_sendmsg sendmsg(MSG_DEALLOC_VGPRS)
	s_endpgm
	.section	.rodata,"a",@progbits
	.p2align	6, 0x0
	.amdhsa_kernel _ZL26rocblas_syr2k_scale_kernelIlLi128ELi8ELb0E19rocblas_complex_numIdES1_PS1_EvbiT_T3_T4_T5_S3_li
		.amdhsa_group_segment_fixed_size 0
		.amdhsa_private_segment_fixed_size 0
		.amdhsa_kernarg_size 336
		.amdhsa_user_sgpr_count 13
		.amdhsa_user_sgpr_dispatch_ptr 0
		.amdhsa_user_sgpr_queue_ptr 0
		.amdhsa_user_sgpr_kernarg_segment_ptr 1
		.amdhsa_user_sgpr_dispatch_id 0
		.amdhsa_user_sgpr_private_segment_size 0
		.amdhsa_wavefront_size32 1
		.amdhsa_uses_dynamic_stack 0
		.amdhsa_enable_private_segment 0
		.amdhsa_system_sgpr_workgroup_id_x 1
		.amdhsa_system_sgpr_workgroup_id_y 1
		.amdhsa_system_sgpr_workgroup_id_z 1
		.amdhsa_system_sgpr_workgroup_info 0
		.amdhsa_system_vgpr_workitem_id 1
		.amdhsa_next_free_vgpr 10
		.amdhsa_next_free_sgpr 16
		.amdhsa_reserve_vcc 1
		.amdhsa_float_round_mode_32 0
		.amdhsa_float_round_mode_16_64 0
		.amdhsa_float_denorm_mode_32 3
		.amdhsa_float_denorm_mode_16_64 3
		.amdhsa_dx10_clamp 1
		.amdhsa_ieee_mode 1
		.amdhsa_fp16_overflow 0
		.amdhsa_workgroup_processor_mode 1
		.amdhsa_memory_ordered 1
		.amdhsa_forward_progress 0
		.amdhsa_shared_vgpr_count 0
		.amdhsa_exception_fp_ieee_invalid_op 0
		.amdhsa_exception_fp_denorm_src 0
		.amdhsa_exception_fp_ieee_div_zero 0
		.amdhsa_exception_fp_ieee_overflow 0
		.amdhsa_exception_fp_ieee_underflow 0
		.amdhsa_exception_fp_ieee_inexact 0
		.amdhsa_exception_int_div_zero 0
	.end_amdhsa_kernel
	.section	.text._ZL26rocblas_syr2k_scale_kernelIlLi128ELi8ELb0E19rocblas_complex_numIdES1_PS1_EvbiT_T3_T4_T5_S3_li,"axG",@progbits,_ZL26rocblas_syr2k_scale_kernelIlLi128ELi8ELb0E19rocblas_complex_numIdES1_PS1_EvbiT_T3_T4_T5_S3_li,comdat
.Lfunc_end1229:
	.size	_ZL26rocblas_syr2k_scale_kernelIlLi128ELi8ELb0E19rocblas_complex_numIdES1_PS1_EvbiT_T3_T4_T5_S3_li, .Lfunc_end1229-_ZL26rocblas_syr2k_scale_kernelIlLi128ELi8ELb0E19rocblas_complex_numIdES1_PS1_EvbiT_T3_T4_T5_S3_li
                                        ; -- End function
	.section	.AMDGPU.csdata,"",@progbits
; Kernel info:
; codeLenInByte = 396
; NumSgprs: 18
; NumVgprs: 10
; ScratchSize: 0
; MemoryBound: 0
; FloatMode: 240
; IeeeMode: 1
; LDSByteSize: 0 bytes/workgroup (compile time only)
; SGPRBlocks: 2
; VGPRBlocks: 1
; NumSGPRsForWavesPerEU: 18
; NumVGPRsForWavesPerEU: 10
; Occupancy: 16
; WaveLimiterHint : 0
; COMPUTE_PGM_RSRC2:SCRATCH_EN: 0
; COMPUTE_PGM_RSRC2:USER_SGPR: 13
; COMPUTE_PGM_RSRC2:TRAP_HANDLER: 0
; COMPUTE_PGM_RSRC2:TGID_X_EN: 1
; COMPUTE_PGM_RSRC2:TGID_Y_EN: 1
; COMPUTE_PGM_RSRC2:TGID_Z_EN: 1
; COMPUTE_PGM_RSRC2:TIDIG_COMP_CNT: 1
	.section	.text._ZL26rocblas_syr2k_her2k_kernelIlLb0ELb0ELb0ELi32EPK19rocblas_complex_numIdES3_PS1_EvbiT_T4_T5_S5_lS7_S5_lT6_S5_li,"axG",@progbits,_ZL26rocblas_syr2k_her2k_kernelIlLb0ELb0ELb0ELi32EPK19rocblas_complex_numIdES3_PS1_EvbiT_T4_T5_S5_lS7_S5_lT6_S5_li,comdat
	.globl	_ZL26rocblas_syr2k_her2k_kernelIlLb0ELb0ELb0ELi32EPK19rocblas_complex_numIdES3_PS1_EvbiT_T4_T5_S5_lS7_S5_lT6_S5_li ; -- Begin function _ZL26rocblas_syr2k_her2k_kernelIlLb0ELb0ELb0ELi32EPK19rocblas_complex_numIdES3_PS1_EvbiT_T4_T5_S5_lS7_S5_lT6_S5_li
	.p2align	8
	.type	_ZL26rocblas_syr2k_her2k_kernelIlLb0ELb0ELb0ELi32EPK19rocblas_complex_numIdES3_PS1_EvbiT_T4_T5_S5_lS7_S5_lT6_S5_li,@function
_ZL26rocblas_syr2k_her2k_kernelIlLb0ELb0ELb0ELi32EPK19rocblas_complex_numIdES3_PS1_EvbiT_T4_T5_S5_lS7_S5_lT6_S5_li: ; @_ZL26rocblas_syr2k_her2k_kernelIlLb0ELb0ELb0ELi32EPK19rocblas_complex_numIdES3_PS1_EvbiT_T4_T5_S5_lS7_S5_lT6_S5_li
; %bb.0:
	s_load_b512 s[16:31], s[0:1], 0x8
	s_waitcnt lgkmcnt(0)
	s_load_b128 s[4:7], s[18:19], 0x0
	s_waitcnt lgkmcnt(0)
	v_cmp_eq_f64_e64 s2, s[4:5], 0
	v_cmp_eq_f64_e64 s3, s[6:7], 0
	s_delay_alu instid0(VALU_DEP_1) | instskip(NEXT) | instid1(SALU_CYCLE_1)
	s_and_b32 s2, s2, s3
	s_and_b32 vcc_lo, exec_lo, s2
	s_cbranch_vccnz .LBB1230_11
; %bb.1:
	s_load_b64 s[2:3], s[0:1], 0x0
	s_lshl_b32 s12, s14, 5
	s_lshl_b32 s13, s13, 5
	s_waitcnt lgkmcnt(0)
	s_and_b32 s2, 1, s2
	s_delay_alu instid0(SALU_CYCLE_1) | instskip(SKIP_1) | instid1(SALU_CYCLE_1)
	s_cmp_eq_u32 s2, 1
	s_cselect_b32 s2, -1, 0
	s_and_b32 s8, s2, exec_lo
	s_cselect_b32 s8, s13, s12
	s_cselect_b32 s9, s12, s13
	s_delay_alu instid0(SALU_CYCLE_1)
	s_cmp_gt_i32 s8, s9
	s_cbranch_scc1 .LBB1230_11
; %bb.2:
	v_cmp_lt_i64_e64 s8, s[16:17], 1
	s_delay_alu instid0(VALU_DEP_1)
	s_and_b32 vcc_lo, exec_lo, s8
	s_cbranch_vccnz .LBB1230_11
; %bb.3:
	s_clause 0x1
	s_load_b64 s[18:19], s[0:1], 0x58
	s_load_b128 s[8:11], s[0:1], 0x48
	v_bfe_u32 v14, v0, 10, 10
	v_and_b32_e32 v15, 0x3ff, v0
	s_delay_alu instid0(VALU_DEP_2) | instskip(NEXT) | instid1(VALU_DEP_1)
	v_dual_mov_b32 v1, 0 :: v_dual_add_nc_u32 v2, s12, v14
	v_dual_mov_b32 v3, v1 :: v_dual_add_nc_u32 v0, s13, v15
	v_lshlrev_b32_e32 v8, 4, v14
	v_lshlrev_b32_e32 v16, 9, v15
	s_delay_alu instid0(VALU_DEP_4) | instskip(NEXT) | instid1(VALU_DEP_4)
	v_ashrrev_i32_e32 v5, 31, v2
	v_max_i32_e32 v4, v0, v2
	v_cndmask_b32_e64 v6, v0, v2, s2
	v_cndmask_b32_e64 v7, v2, v0, s2
	v_or_b32_e32 v17, 0x4000, v8
	v_add_nc_u32_e32 v18, v16, v8
	v_cmp_gt_i32_e32 vcc_lo, s3, v4
	v_mov_b32_e32 v8, v0
	s_waitcnt lgkmcnt(0)
	s_mul_i32 s1, s15, s19
	v_mul_lo_u32 v9, v5, s10
	v_mul_lo_u32 v10, v2, s11
	v_mad_u64_u32 v[4:5], null, v2, s10, 0
	s_mul_hi_u32 s2, s15, s18
	s_mul_i32 s0, s15, s18
	s_add_i32 s1, s2, s1
	v_cmp_le_i32_e64 s2, v7, v6
	v_mad_u64_u32 v[6:7], null, s28, v15, 0
	s_delay_alu instid0(VALU_DEP_3) | instskip(SKIP_3) | instid1(VALU_DEP_3)
	v_add3_u32 v5, v5, v10, v9
	v_mad_u64_u32 v[10:11], null, s22, v14, 0
	s_lshl_b64 s[0:1], s[0:1], 4
	v_ashrrev_i32_e32 v9, 31, v0
	v_lshlrev_b64 v[4:5], 4, v[4:5]
	v_mad_u64_u32 v[12:13], null, s29, v15, v[7:8]
	s_add_u32 s8, s8, s0
	s_mov_b32 s12, s3
	s_addc_u32 s9, s9, s1
	s_ashr_i32 s13, s3, 31
	v_add_nc_u32_e32 v19, v17, v16
	v_cmp_gt_i64_e64 s0, s[12:13], v[0:1]
	v_cmp_gt_i64_e64 s1, s[12:13], v[2:3]
	s_and_b32 s12, s2, vcc_lo
	v_add_co_u32 v13, vcc_lo, s8, v4
	v_add_co_ci_u32_e32 v20, vcc_lo, s9, v5, vcc_lo
	v_lshlrev_b64 v[4:5], 4, v[8:9]
	v_dual_mov_b32 v8, v11 :: v_dual_mov_b32 v7, v12
	s_mul_i32 s2, s31, s15
	s_mul_hi_u32 s3, s30, s15
	v_lshlrev_b64 v[2:3], 4, v[2:3]
	s_delay_alu instid0(VALU_DEP_2)
	v_mad_u64_u32 v[11:12], null, s23, v14, v[8:9]
	v_lshlrev_b64 v[6:7], 4, v[6:7]
	s_add_i32 s3, s3, s2
	s_mul_i32 s2, s30, s15
	v_add_co_u32 v8, vcc_lo, v13, v4
	s_lshl_b64 s[2:3], s[2:3], 4
	v_add_co_ci_u32_e32 v9, vcc_lo, v20, v5, vcc_lo
	v_add_co_u32 v6, vcc_lo, s2, v6
	v_add_co_ci_u32_e32 v7, vcc_lo, s3, v7, vcc_lo
	s_mul_i32 s2, s25, s15
	s_mul_hi_u32 s3, s24, s15
	v_lshlrev_b64 v[4:5], 4, v[10:11]
	s_add_i32 s3, s3, s2
	s_mul_i32 s2, s24, s15
	v_lshlrev_b64 v[0:1], 4, v[0:1]
	s_lshl_b64 s[2:3], s[2:3], 4
	s_lshl_b64 s[8:9], s[22:23], 9
	v_add_co_u32 v4, vcc_lo, s2, v4
	v_add_co_ci_u32_e32 v5, vcc_lo, s3, v5, vcc_lo
	v_add_co_u32 v2, vcc_lo, v6, v2
	v_add_co_ci_u32_e32 v3, vcc_lo, v7, v3, vcc_lo
	s_delay_alu instid0(VALU_DEP_4) | instskip(NEXT) | instid1(VALU_DEP_4)
	v_add_co_u32 v0, vcc_lo, v4, v0
	v_add_co_ci_u32_e32 v1, vcc_lo, v5, v1, vcc_lo
	s_delay_alu instid0(VALU_DEP_4) | instskip(NEXT) | instid1(VALU_DEP_4)
	;; [unrolled: 3-line block ×5, first 2 shown]
	v_add_co_u32 v12, vcc_lo, v0, 8
	v_add_co_ci_u32_e32 v13, vcc_lo, 0, v1, vcc_lo
	s_lshl_b64 s[2:3], s[28:29], 9
	s_mov_b64 s[10:11], 0
	s_branch .LBB1230_5
.LBB1230_4:                             ;   in Loop: Header=BB1230_5 Depth=1
	s_or_b32 exec_lo, exec_lo, s13
	s_add_u32 s10, s10, 32
	s_addc_u32 s11, s11, 0
	v_add_co_u32 v10, vcc_lo, v10, s2
	v_cmp_lt_i64_e64 s13, s[10:11], s[16:17]
	v_add_co_ci_u32_e32 v11, vcc_lo, s3, v11, vcc_lo
	v_add_co_u32 v12, vcc_lo, v12, s8
	v_add_co_ci_u32_e32 v13, vcc_lo, s9, v13, vcc_lo
	s_delay_alu instid0(VALU_DEP_4)
	s_and_b32 vcc_lo, exec_lo, s13
	s_waitcnt_vscnt null, 0x0
	s_barrier
	buffer_gl0_inv
	s_cbranch_vccz .LBB1230_11
.LBB1230_5:                             ; =>This Inner Loop Header: Depth=1
	v_add_co_u32 v2, s13, v14, s10
	s_delay_alu instid0(VALU_DEP_1) | instskip(SKIP_2) | instid1(VALU_DEP_3)
	v_add_co_ci_u32_e64 v3, null, 0, s11, s13
	v_mov_b32_e32 v0, 0
	v_mov_b32_e32 v1, 0
	v_cmp_gt_i64_e32 vcc_lo, s[16:17], v[2:3]
	s_delay_alu instid0(VALU_DEP_2) | instskip(SKIP_2) | instid1(SALU_CYCLE_1)
	v_dual_mov_b32 v5, v1 :: v_dual_mov_b32 v4, v0
	v_dual_mov_b32 v7, v1 :: v_dual_mov_b32 v6, v0
	s_and_b32 s14, s0, vcc_lo
	s_and_saveexec_b32 s13, s14
	s_cbranch_execz .LBB1230_7
; %bb.6:                                ;   in Loop: Header=BB1230_5 Depth=1
	global_load_b128 v[4:7], v[12:13], off offset:-8
.LBB1230_7:                             ;   in Loop: Header=BB1230_5 Depth=1
	s_or_b32 exec_lo, exec_lo, s13
	v_add_co_u32 v2, s13, v15, s10
	s_delay_alu instid0(VALU_DEP_1)
	v_add_co_ci_u32_e64 v3, null, 0, s11, s13
	s_waitcnt vmcnt(0)
	ds_store_b128 v18, v[4:7]
	v_cmp_gt_i64_e32 vcc_lo, s[16:17], v[2:3]
	v_dual_mov_b32 v3, v1 :: v_dual_mov_b32 v2, v0
	s_and_b32 s14, s1, vcc_lo
	s_delay_alu instid0(SALU_CYCLE_1)
	s_and_saveexec_b32 s13, s14
	s_cbranch_execz .LBB1230_9
; %bb.8:                                ;   in Loop: Header=BB1230_5 Depth=1
	global_load_b128 v[0:3], v[10:11], off offset:-8
.LBB1230_9:                             ;   in Loop: Header=BB1230_5 Depth=1
	s_or_b32 exec_lo, exec_lo, s13
	s_waitcnt vmcnt(0)
	ds_store_b128 v19, v[0:3]
	s_waitcnt lgkmcnt(0)
	s_barrier
	buffer_gl0_inv
	s_and_saveexec_b32 s13, s12
	s_cbranch_execz .LBB1230_4
; %bb.10:                               ;   in Loop: Header=BB1230_5 Depth=1
	ds_load_b128 v[0:3], v17
	ds_load_b128 v[4:7], v16
	ds_load_b128 v[20:23], v16 offset:16
	ds_load_b128 v[24:27], v17 offset:512
	s_waitcnt lgkmcnt(2)
	v_mul_f64 v[28:29], v[0:1], v[6:7]
	v_mul_f64 v[6:7], v[2:3], v[6:7]
	s_waitcnt lgkmcnt(0)
	v_mul_f64 v[36:37], v[26:27], v[22:23]
	v_mul_f64 v[22:23], v[24:25], v[22:23]
	s_delay_alu instid0(VALU_DEP_4) | instskip(NEXT) | instid1(VALU_DEP_4)
	v_fma_f64 v[38:39], v[2:3], v[4:5], v[28:29]
	v_fma_f64 v[40:41], v[0:1], v[4:5], -v[6:7]
	ds_load_b128 v[0:3], v17 offset:1024
	ds_load_b128 v[4:7], v16 offset:32
	;; [unrolled: 1-line block ×4, first 2 shown]
	v_fma_f64 v[24:25], v[24:25], v[20:21], -v[36:37]
	v_fma_f64 v[20:21], v[26:27], v[20:21], v[22:23]
	s_waitcnt lgkmcnt(2)
	v_mul_f64 v[42:43], v[2:3], v[6:7]
	v_mul_f64 v[6:7], v[0:1], v[6:7]
	s_waitcnt lgkmcnt(0)
	v_mul_f64 v[36:37], v[34:35], v[30:31]
	v_mul_f64 v[30:31], v[32:33], v[30:31]
	v_add_f64 v[22:23], v[38:39], 0
	v_add_f64 v[26:27], v[40:41], 0
	v_fma_f64 v[38:39], v[0:1], v[4:5], -v[42:43]
	v_fma_f64 v[40:41], v[2:3], v[4:5], v[6:7]
	v_fma_f64 v[32:33], v[32:33], v[28:29], -v[36:37]
	v_fma_f64 v[28:29], v[34:35], v[28:29], v[30:31]
	v_add_f64 v[42:43], v[22:23], v[20:21]
	v_add_f64 v[44:45], v[26:27], v[24:25]
	ds_load_b128 v[0:3], v16 offset:64
	ds_load_b128 v[4:7], v17 offset:2048
	ds_load_b128 v[20:23], v17 offset:2560
	ds_load_b128 v[24:27], v16 offset:80
	s_waitcnt lgkmcnt(2)
	v_mul_f64 v[46:47], v[6:7], v[2:3]
	v_mul_f64 v[2:3], v[4:5], v[2:3]
	s_waitcnt lgkmcnt(0)
	v_mul_f64 v[36:37], v[22:23], v[26:27]
	v_add_f64 v[30:31], v[42:43], v[40:41]
	v_add_f64 v[34:35], v[44:45], v[38:39]
	v_mul_f64 v[38:39], v[20:21], v[26:27]
	v_fma_f64 v[40:41], v[4:5], v[0:1], -v[46:47]
	v_fma_f64 v[42:43], v[6:7], v[0:1], v[2:3]
	v_fma_f64 v[20:21], v[20:21], v[24:25], -v[36:37]
	v_add_f64 v[44:45], v[30:31], v[28:29]
	v_add_f64 v[34:35], v[34:35], v[32:33]
	ds_load_b128 v[0:3], v16 offset:96
	ds_load_b128 v[4:7], v17 offset:3072
	ds_load_b128 v[26:29], v17 offset:3584
	ds_load_b128 v[30:33], v16 offset:112
	v_fma_f64 v[22:23], v[22:23], v[24:25], v[38:39]
	s_waitcnt lgkmcnt(2)
	v_mul_f64 v[46:47], v[6:7], v[2:3]
	v_mul_f64 v[2:3], v[4:5], v[2:3]
	s_waitcnt lgkmcnt(0)
	v_mul_f64 v[36:37], v[28:29], v[32:33]
	v_mul_f64 v[38:39], v[26:27], v[32:33]
	v_add_f64 v[24:25], v[44:45], v[42:43]
	v_add_f64 v[34:35], v[34:35], v[40:41]
	v_fma_f64 v[40:41], v[4:5], v[0:1], -v[46:47]
	v_fma_f64 v[42:43], v[6:7], v[0:1], v[2:3]
	v_fma_f64 v[26:27], v[26:27], v[30:31], -v[36:37]
	v_fma_f64 v[28:29], v[28:29], v[30:31], v[38:39]
	v_add_f64 v[24:25], v[24:25], v[22:23]
	v_add_f64 v[44:45], v[34:35], v[20:21]
	ds_load_b128 v[0:3], v16 offset:128
	ds_load_b128 v[4:7], v17 offset:4096
	ds_load_b128 v[20:23], v17 offset:4608
	ds_load_b128 v[32:35], v16 offset:144
	s_waitcnt lgkmcnt(2)
	v_mul_f64 v[46:47], v[6:7], v[2:3]
	v_mul_f64 v[2:3], v[4:5], v[2:3]
	s_waitcnt lgkmcnt(0)
	v_mul_f64 v[36:37], v[22:23], v[34:35]
	v_mul_f64 v[34:35], v[20:21], v[34:35]
	v_add_f64 v[24:25], v[24:25], v[42:43]
	v_add_f64 v[30:31], v[44:45], v[40:41]
	v_fma_f64 v[38:39], v[4:5], v[0:1], -v[46:47]
	v_fma_f64 v[40:41], v[6:7], v[0:1], v[2:3]
	v_fma_f64 v[20:21], v[20:21], v[32:33], -v[36:37]
	v_fma_f64 v[22:23], v[22:23], v[32:33], v[34:35]
	v_add_f64 v[42:43], v[24:25], v[28:29]
	v_add_f64 v[44:45], v[30:31], v[26:27]
	ds_load_b128 v[0:3], v16 offset:160
	ds_load_b128 v[4:7], v17 offset:5120
	ds_load_b128 v[24:27], v17 offset:5632
	ds_load_b128 v[28:31], v16 offset:176
	s_waitcnt lgkmcnt(2)
	v_mul_f64 v[46:47], v[6:7], v[2:3]
	v_mul_f64 v[2:3], v[4:5], v[2:3]
	s_waitcnt lgkmcnt(0)
	v_mul_f64 v[36:37], v[26:27], v[30:31]
	v_add_f64 v[32:33], v[42:43], v[40:41]
	v_add_f64 v[34:35], v[44:45], v[38:39]
	v_mul_f64 v[38:39], v[24:25], v[30:31]
	v_fma_f64 v[40:41], v[4:5], v[0:1], -v[46:47]
	v_fma_f64 v[42:43], v[6:7], v[0:1], v[2:3]
	v_fma_f64 v[24:25], v[24:25], v[28:29], -v[36:37]
	v_add_f64 v[44:45], v[32:33], v[22:23]
	v_add_f64 v[34:35], v[34:35], v[20:21]
	ds_load_b128 v[0:3], v16 offset:192
	ds_load_b128 v[4:7], v17 offset:6144
	ds_load_b128 v[20:23], v17 offset:6656
	ds_load_b128 v[30:33], v16 offset:208
	v_fma_f64 v[26:27], v[26:27], v[28:29], v[38:39]
	s_waitcnt lgkmcnt(2)
	v_mul_f64 v[46:47], v[6:7], v[2:3]
	v_mul_f64 v[2:3], v[4:5], v[2:3]
	s_waitcnt lgkmcnt(0)
	v_mul_f64 v[36:37], v[22:23], v[32:33]
	v_mul_f64 v[38:39], v[20:21], v[32:33]
	v_add_f64 v[28:29], v[44:45], v[42:43]
	v_add_f64 v[34:35], v[34:35], v[40:41]
	v_fma_f64 v[40:41], v[4:5], v[0:1], -v[46:47]
	v_fma_f64 v[42:43], v[6:7], v[0:1], v[2:3]
	v_fma_f64 v[20:21], v[20:21], v[30:31], -v[36:37]
	v_fma_f64 v[22:23], v[22:23], v[30:31], v[38:39]
	v_add_f64 v[28:29], v[28:29], v[26:27]
	v_add_f64 v[44:45], v[34:35], v[24:25]
	ds_load_b128 v[0:3], v16 offset:224
	ds_load_b128 v[4:7], v17 offset:7168
	ds_load_b128 v[24:27], v17 offset:7680
	ds_load_b128 v[32:35], v16 offset:240
	;; [unrolled: 54-line block ×4, first 2 shown]
	s_waitcnt lgkmcnt(2)
	v_mul_f64 v[46:47], v[6:7], v[2:3]
	v_mul_f64 v[2:3], v[4:5], v[2:3]
	s_waitcnt lgkmcnt(0)
	v_mul_f64 v[38:39], v[26:27], v[34:35]
	v_add_f64 v[28:29], v[28:29], v[42:43]
	v_add_f64 v[30:31], v[44:45], v[40:41]
	v_mul_f64 v[40:41], v[24:25], v[34:35]
	v_fma_f64 v[42:43], v[4:5], v[0:1], -v[46:47]
	v_fma_f64 v[44:45], v[6:7], v[0:1], v[2:3]
	ds_load_b128 v[0:3], v16 offset:448
	ds_load_b128 v[4:7], v17 offset:14336
	v_fma_f64 v[24:25], v[24:25], v[32:33], -v[38:39]
	v_add_f64 v[46:47], v[28:29], v[22:23]
	v_add_f64 v[48:49], v[30:31], v[20:21]
	global_load_b128 v[20:23], v[8:9], off
	v_fma_f64 v[26:27], v[26:27], v[32:33], v[40:41]
	s_waitcnt lgkmcnt(0)
	v_mul_f64 v[50:51], v[6:7], v[2:3]
	v_mul_f64 v[2:3], v[4:5], v[2:3]
	ds_load_b128 v[28:31], v17 offset:14848
	ds_load_b128 v[34:37], v16 offset:464
	s_waitcnt lgkmcnt(0)
	v_mul_f64 v[40:41], v[30:31], v[36:37]
	v_add_f64 v[32:33], v[46:47], v[44:45]
	v_add_f64 v[38:39], v[48:49], v[42:43]
	v_mul_f64 v[42:43], v[28:29], v[36:37]
	v_fma_f64 v[44:45], v[4:5], v[0:1], -v[50:51]
	v_fma_f64 v[46:47], v[6:7], v[0:1], v[2:3]
	v_fma_f64 v[28:29], v[28:29], v[34:35], -v[40:41]
	v_add_f64 v[32:33], v[32:33], v[26:27]
	v_add_f64 v[48:49], v[38:39], v[24:25]
	ds_load_b128 v[0:3], v16 offset:480
	ds_load_b128 v[4:7], v17 offset:15360
	;; [unrolled: 1-line block ×4, first 2 shown]
	v_fma_f64 v[30:31], v[30:31], v[34:35], v[42:43]
	s_waitcnt lgkmcnt(2)
	v_mul_f64 v[50:51], v[6:7], v[2:3]
	v_mul_f64 v[2:3], v[4:5], v[2:3]
	s_waitcnt lgkmcnt(0)
	v_mul_f64 v[40:41], v[26:27], v[38:39]
	v_mul_f64 v[38:39], v[24:25], v[38:39]
	v_add_f64 v[32:33], v[32:33], v[46:47]
	v_add_f64 v[34:35], v[48:49], v[44:45]
	v_fma_f64 v[4:5], v[4:5], v[0:1], -v[50:51]
	v_fma_f64 v[0:1], v[6:7], v[0:1], v[2:3]
	v_fma_f64 v[24:25], v[24:25], v[36:37], -v[40:41]
	v_fma_f64 v[26:27], v[26:27], v[36:37], v[38:39]
	v_add_f64 v[2:3], v[32:33], v[30:31]
	v_add_f64 v[6:7], v[34:35], v[28:29]
	s_delay_alu instid0(VALU_DEP_2) | instskip(NEXT) | instid1(VALU_DEP_2)
	v_add_f64 v[0:1], v[2:3], v[0:1]
	v_add_f64 v[2:3], v[6:7], v[4:5]
	s_delay_alu instid0(VALU_DEP_2) | instskip(NEXT) | instid1(VALU_DEP_2)
	;; [unrolled: 3-line block ×3, first 2 shown]
	v_mul_f64 v[4:5], s[6:7], v[0:1]
	v_mul_f64 v[6:7], s[6:7], v[2:3]
	s_delay_alu instid0(VALU_DEP_2) | instskip(NEXT) | instid1(VALU_DEP_2)
	v_fma_f64 v[2:3], s[4:5], v[2:3], -v[4:5]
	v_fma_f64 v[4:5], s[4:5], v[0:1], v[6:7]
	s_waitcnt vmcnt(0)
	s_delay_alu instid0(VALU_DEP_2) | instskip(NEXT) | instid1(VALU_DEP_2)
	v_add_f64 v[0:1], v[20:21], v[2:3]
	v_add_f64 v[2:3], v[22:23], v[4:5]
	global_store_b128 v[8:9], v[0:3], off
	s_branch .LBB1230_4
.LBB1230_11:
	s_endpgm
	.section	.rodata,"a",@progbits
	.p2align	6, 0x0
	.amdhsa_kernel _ZL26rocblas_syr2k_her2k_kernelIlLb0ELb0ELb0ELi32EPK19rocblas_complex_numIdES3_PS1_EvbiT_T4_T5_S5_lS7_S5_lT6_S5_li
		.amdhsa_group_segment_fixed_size 32768
		.amdhsa_private_segment_fixed_size 0
		.amdhsa_kernarg_size 100
		.amdhsa_user_sgpr_count 13
		.amdhsa_user_sgpr_dispatch_ptr 0
		.amdhsa_user_sgpr_queue_ptr 0
		.amdhsa_user_sgpr_kernarg_segment_ptr 1
		.amdhsa_user_sgpr_dispatch_id 0
		.amdhsa_user_sgpr_private_segment_size 0
		.amdhsa_wavefront_size32 1
		.amdhsa_uses_dynamic_stack 0
		.amdhsa_enable_private_segment 0
		.amdhsa_system_sgpr_workgroup_id_x 1
		.amdhsa_system_sgpr_workgroup_id_y 1
		.amdhsa_system_sgpr_workgroup_id_z 1
		.amdhsa_system_sgpr_workgroup_info 0
		.amdhsa_system_vgpr_workitem_id 1
		.amdhsa_next_free_vgpr 52
		.amdhsa_next_free_sgpr 32
		.amdhsa_reserve_vcc 1
		.amdhsa_float_round_mode_32 0
		.amdhsa_float_round_mode_16_64 0
		.amdhsa_float_denorm_mode_32 3
		.amdhsa_float_denorm_mode_16_64 3
		.amdhsa_dx10_clamp 1
		.amdhsa_ieee_mode 1
		.amdhsa_fp16_overflow 0
		.amdhsa_workgroup_processor_mode 1
		.amdhsa_memory_ordered 1
		.amdhsa_forward_progress 0
		.amdhsa_shared_vgpr_count 0
		.amdhsa_exception_fp_ieee_invalid_op 0
		.amdhsa_exception_fp_denorm_src 0
		.amdhsa_exception_fp_ieee_div_zero 0
		.amdhsa_exception_fp_ieee_overflow 0
		.amdhsa_exception_fp_ieee_underflow 0
		.amdhsa_exception_fp_ieee_inexact 0
		.amdhsa_exception_int_div_zero 0
	.end_amdhsa_kernel
	.section	.text._ZL26rocblas_syr2k_her2k_kernelIlLb0ELb0ELb0ELi32EPK19rocblas_complex_numIdES3_PS1_EvbiT_T4_T5_S5_lS7_S5_lT6_S5_li,"axG",@progbits,_ZL26rocblas_syr2k_her2k_kernelIlLb0ELb0ELb0ELi32EPK19rocblas_complex_numIdES3_PS1_EvbiT_T4_T5_S5_lS7_S5_lT6_S5_li,comdat
.Lfunc_end1230:
	.size	_ZL26rocblas_syr2k_her2k_kernelIlLb0ELb0ELb0ELi32EPK19rocblas_complex_numIdES3_PS1_EvbiT_T4_T5_S5_lS7_S5_lT6_S5_li, .Lfunc_end1230-_ZL26rocblas_syr2k_her2k_kernelIlLb0ELb0ELb0ELi32EPK19rocblas_complex_numIdES3_PS1_EvbiT_T4_T5_S5_lS7_S5_lT6_S5_li
                                        ; -- End function
	.section	.AMDGPU.csdata,"",@progbits
; Kernel info:
; codeLenInByte = 3180
; NumSgprs: 34
; NumVgprs: 52
; ScratchSize: 0
; MemoryBound: 1
; FloatMode: 240
; IeeeMode: 1
; LDSByteSize: 32768 bytes/workgroup (compile time only)
; SGPRBlocks: 4
; VGPRBlocks: 6
; NumSGPRsForWavesPerEU: 34
; NumVGPRsForWavesPerEU: 52
; Occupancy: 16
; WaveLimiterHint : 0
; COMPUTE_PGM_RSRC2:SCRATCH_EN: 0
; COMPUTE_PGM_RSRC2:USER_SGPR: 13
; COMPUTE_PGM_RSRC2:TRAP_HANDLER: 0
; COMPUTE_PGM_RSRC2:TGID_X_EN: 1
; COMPUTE_PGM_RSRC2:TGID_Y_EN: 1
; COMPUTE_PGM_RSRC2:TGID_Z_EN: 1
; COMPUTE_PGM_RSRC2:TIDIG_COMP_CNT: 1
	.section	.text._ZL26rocblas_syr2k_her2k_kernelIlLb0ELb0ELb1ELi32EPK19rocblas_complex_numIdES3_PS1_EvbiT_T4_T5_S5_lS7_S5_lT6_S5_li,"axG",@progbits,_ZL26rocblas_syr2k_her2k_kernelIlLb0ELb0ELb1ELi32EPK19rocblas_complex_numIdES3_PS1_EvbiT_T4_T5_S5_lS7_S5_lT6_S5_li,comdat
	.globl	_ZL26rocblas_syr2k_her2k_kernelIlLb0ELb0ELb1ELi32EPK19rocblas_complex_numIdES3_PS1_EvbiT_T4_T5_S5_lS7_S5_lT6_S5_li ; -- Begin function _ZL26rocblas_syr2k_her2k_kernelIlLb0ELb0ELb1ELi32EPK19rocblas_complex_numIdES3_PS1_EvbiT_T4_T5_S5_lS7_S5_lT6_S5_li
	.p2align	8
	.type	_ZL26rocblas_syr2k_her2k_kernelIlLb0ELb0ELb1ELi32EPK19rocblas_complex_numIdES3_PS1_EvbiT_T4_T5_S5_lS7_S5_lT6_S5_li,@function
_ZL26rocblas_syr2k_her2k_kernelIlLb0ELb0ELb1ELi32EPK19rocblas_complex_numIdES3_PS1_EvbiT_T4_T5_S5_lS7_S5_lT6_S5_li: ; @_ZL26rocblas_syr2k_her2k_kernelIlLb0ELb0ELb1ELi32EPK19rocblas_complex_numIdES3_PS1_EvbiT_T4_T5_S5_lS7_S5_lT6_S5_li
; %bb.0:
	s_load_b512 s[16:31], s[0:1], 0x8
	s_waitcnt lgkmcnt(0)
	s_load_b128 s[4:7], s[18:19], 0x0
	s_waitcnt lgkmcnt(0)
	v_cmp_eq_f64_e64 s2, s[4:5], 0
	v_cmp_eq_f64_e64 s3, s[6:7], 0
	s_delay_alu instid0(VALU_DEP_1) | instskip(NEXT) | instid1(SALU_CYCLE_1)
	s_and_b32 s2, s2, s3
	s_and_b32 vcc_lo, exec_lo, s2
	s_cbranch_vccnz .LBB1231_11
; %bb.1:
	s_load_b64 s[2:3], s[0:1], 0x0
	s_lshl_b32 s12, s14, 5
	s_lshl_b32 s13, s13, 5
	s_waitcnt lgkmcnt(0)
	s_and_b32 s2, 1, s2
	s_delay_alu instid0(SALU_CYCLE_1) | instskip(SKIP_1) | instid1(SALU_CYCLE_1)
	s_cmp_eq_u32 s2, 1
	s_cselect_b32 s2, -1, 0
	s_and_b32 s8, s2, exec_lo
	s_cselect_b32 s8, s13, s12
	s_cselect_b32 s9, s12, s13
	s_delay_alu instid0(SALU_CYCLE_1)
	s_cmp_gt_i32 s8, s9
	s_cbranch_scc1 .LBB1231_11
; %bb.2:
	v_cmp_lt_i64_e64 s8, s[16:17], 1
	s_delay_alu instid0(VALU_DEP_1)
	s_and_b32 vcc_lo, exec_lo, s8
	s_cbranch_vccnz .LBB1231_11
; %bb.3:
	s_clause 0x1
	s_load_b64 s[18:19], s[0:1], 0x58
	s_load_b128 s[8:11], s[0:1], 0x48
	v_bfe_u32 v14, v0, 10, 10
	v_mov_b32_e32 v1, 0
	v_and_b32_e32 v15, 0x3ff, v0
	s_delay_alu instid0(VALU_DEP_2) | instskip(NEXT) | instid1(VALU_DEP_2)
	v_dual_mov_b32 v3, v1 :: v_dual_add_nc_u32 v2, s12, v14
	v_add_nc_u32_e32 v0, s13, v15
	s_mov_b32 s12, s3
	s_delay_alu instid0(VALU_DEP_2) | instskip(SKIP_1) | instid1(VALU_DEP_3)
	v_ashrrev_i32_e32 v4, 31, v2
	v_mad_u64_u32 v[6:7], null, s28, v2, 0
	v_cndmask_b32_e64 v8, v0, v2, s2
	v_cndmask_b32_e64 v9, v2, v0, s2
	v_lshlrev_b32_e32 v12, 4, v14
	v_max_i32_e32 v13, v0, v2
	s_waitcnt lgkmcnt(0)
	s_mul_i32 s1, s15, s19
	v_mul_lo_u32 v10, v4, s10
	v_mul_lo_u32 v11, v2, s11
	v_mad_u64_u32 v[4:5], null, v2, s10, 0
	s_mul_hi_u32 s2, s15, s18
	s_mul_i32 s0, s15, s18
	s_add_i32 s1, s2, s1
	v_cmp_le_i32_e64 s2, v9, v8
	s_lshl_b64 s[0:1], s[0:1], 4
	v_cmp_gt_i32_e32 vcc_lo, s3, v13
	s_delay_alu instid0(VALU_DEP_3)
	v_add3_u32 v5, v5, v11, v10
	s_add_u32 s8, s8, s0
	v_mad_u64_u32 v[10:11], null, s22, v0, 0
	s_addc_u32 s9, s9, s1
	s_ashr_i32 s13, s3, 31
	v_lshlrev_b64 v[4:5], 4, v[4:5]
	v_cmp_gt_i64_e64 s1, s[12:13], v[2:3]
	v_dual_mov_b32 v3, v7 :: v_dual_lshlrev_b32 v16, 9, v15
	v_cmp_gt_i64_e64 s0, s[12:13], v[0:1]
	v_ashrrev_i32_e32 v1, 31, v0
	v_or_b32_e32 v17, 0x4000, v12
	s_delay_alu instid0(VALU_DEP_4) | instskip(SKIP_2) | instid1(VALU_DEP_1)
	v_mad_u64_u32 v[7:8], null, s29, v2, v[3:4]
	v_mov_b32_e32 v3, v11
	v_add_co_u32 v8, s3, s8, v4
	v_add_co_ci_u32_e64 v9, s3, s9, v5, s3
	s_delay_alu instid0(VALU_DEP_3)
	v_mad_u64_u32 v[4:5], null, s23, v0, v[3:4]
	v_lshlrev_b64 v[1:2], 4, v[0:1]
	s_mul_i32 s3, s31, s15
	s_mul_hi_u32 s8, s30, s15
	v_lshlrev_b64 v[5:6], 4, v[6:7]
	s_add_i32 s9, s8, s3
	s_mul_i32 s8, s30, s15
	v_add_co_u32 v8, s3, v8, v1
	s_lshl_b64 s[8:9], s[8:9], 4
	v_dual_mov_b32 v11, v4 :: v_dual_lshlrev_b32 v4, 4, v15
	v_add_co_ci_u32_e64 v9, s3, v9, v2, s3
	v_add_co_u32 v2, s3, s8, v5
	s_delay_alu instid0(VALU_DEP_1)
	v_add_co_ci_u32_e64 v3, s3, s9, v6, s3
	s_mul_i32 s3, s25, s15
	s_mul_hi_u32 s8, s24, s15
	v_lshlrev_b64 v[0:1], 4, v[10:11]
	s_add_i32 s9, s8, s3
	s_mul_i32 s8, s24, s15
	v_add_nc_u32_e32 v18, v16, v12
	s_lshl_b64 s[8:9], s[8:9], 4
	v_add_nc_u32_e32 v19, v17, v16
	v_add_co_u32 v0, s3, s8, v0
	s_delay_alu instid0(VALU_DEP_1) | instskip(SKIP_1) | instid1(VALU_DEP_1)
	v_add_co_ci_u32_e64 v1, s3, s9, v1, s3
	v_add_co_u32 v2, s3, v2, v4
	v_add_co_ci_u32_e64 v3, s3, 0, v3, s3
	s_delay_alu instid0(VALU_DEP_4) | instskip(NEXT) | instid1(VALU_DEP_1)
	v_add_co_u32 v0, s3, v0, v12
	v_add_co_ci_u32_e64 v1, s3, 0, v1, s3
	s_delay_alu instid0(VALU_DEP_4) | instskip(NEXT) | instid1(VALU_DEP_1)
	;; [unrolled: 3-line block ×5, first 2 shown]
	v_add_co_u32 v12, s3, v0, 8
	v_add_co_ci_u32_e64 v13, s3, 0, v1, s3
	s_and_b32 s8, s2, vcc_lo
	s_mov_b64 s[2:3], 0
	s_branch .LBB1231_5
.LBB1231_4:                             ;   in Loop: Header=BB1231_5 Depth=1
	s_or_b32 exec_lo, exec_lo, s9
	s_add_u32 s2, s2, 32
	s_addc_u32 s3, s3, 0
	v_add_co_u32 v10, vcc_lo, 0x200, v10
	v_cmp_lt_i64_e64 s9, s[2:3], s[16:17]
	v_add_co_ci_u32_e32 v11, vcc_lo, 0, v11, vcc_lo
	v_add_co_u32 v12, vcc_lo, 0x200, v12
	v_add_co_ci_u32_e32 v13, vcc_lo, 0, v13, vcc_lo
	s_delay_alu instid0(VALU_DEP_4)
	s_and_b32 vcc_lo, exec_lo, s9
	s_waitcnt_vscnt null, 0x0
	s_barrier
	buffer_gl0_inv
	s_cbranch_vccz .LBB1231_11
.LBB1231_5:                             ; =>This Inner Loop Header: Depth=1
	v_add_co_u32 v2, s9, v14, s2
	s_delay_alu instid0(VALU_DEP_1) | instskip(SKIP_2) | instid1(VALU_DEP_3)
	v_add_co_ci_u32_e64 v3, null, 0, s3, s9
	v_mov_b32_e32 v0, 0
	v_mov_b32_e32 v1, 0
	v_cmp_gt_i64_e32 vcc_lo, s[16:17], v[2:3]
	s_delay_alu instid0(VALU_DEP_2) | instskip(SKIP_2) | instid1(SALU_CYCLE_1)
	v_dual_mov_b32 v5, v1 :: v_dual_mov_b32 v4, v0
	v_dual_mov_b32 v7, v1 :: v_dual_mov_b32 v6, v0
	s_and_b32 s10, s0, vcc_lo
	s_and_saveexec_b32 s9, s10
	s_cbranch_execz .LBB1231_7
; %bb.6:                                ;   in Loop: Header=BB1231_5 Depth=1
	global_load_b128 v[4:7], v[12:13], off offset:-8
.LBB1231_7:                             ;   in Loop: Header=BB1231_5 Depth=1
	s_or_b32 exec_lo, exec_lo, s9
	v_add_co_u32 v2, s9, v15, s2
	s_delay_alu instid0(VALU_DEP_1)
	v_add_co_ci_u32_e64 v3, null, 0, s3, s9
	s_waitcnt vmcnt(0)
	ds_store_b128 v18, v[4:7]
	v_cmp_gt_i64_e32 vcc_lo, s[16:17], v[2:3]
	v_dual_mov_b32 v3, v1 :: v_dual_mov_b32 v2, v0
	s_and_b32 s10, s1, vcc_lo
	s_delay_alu instid0(SALU_CYCLE_1)
	s_and_saveexec_b32 s9, s10
	s_cbranch_execz .LBB1231_9
; %bb.8:                                ;   in Loop: Header=BB1231_5 Depth=1
	global_load_b128 v[0:3], v[10:11], off offset:-8
.LBB1231_9:                             ;   in Loop: Header=BB1231_5 Depth=1
	s_or_b32 exec_lo, exec_lo, s9
	s_waitcnt vmcnt(0)
	ds_store_b128 v19, v[0:3]
	s_waitcnt lgkmcnt(0)
	s_barrier
	buffer_gl0_inv
	s_and_saveexec_b32 s9, s8
	s_cbranch_execz .LBB1231_4
; %bb.10:                               ;   in Loop: Header=BB1231_5 Depth=1
	ds_load_b128 v[0:3], v17
	ds_load_b128 v[4:7], v16
	ds_load_b128 v[20:23], v16 offset:16
	ds_load_b128 v[24:27], v17 offset:512
	s_waitcnt lgkmcnt(2)
	v_mul_f64 v[28:29], v[0:1], v[6:7]
	v_mul_f64 v[6:7], v[2:3], v[6:7]
	s_waitcnt lgkmcnt(0)
	v_mul_f64 v[36:37], v[26:27], v[22:23]
	v_mul_f64 v[22:23], v[24:25], v[22:23]
	s_delay_alu instid0(VALU_DEP_4) | instskip(NEXT) | instid1(VALU_DEP_4)
	v_fma_f64 v[38:39], v[2:3], v[4:5], v[28:29]
	v_fma_f64 v[40:41], v[0:1], v[4:5], -v[6:7]
	ds_load_b128 v[0:3], v17 offset:1024
	ds_load_b128 v[4:7], v16 offset:32
	;; [unrolled: 1-line block ×4, first 2 shown]
	v_fma_f64 v[24:25], v[24:25], v[20:21], -v[36:37]
	v_fma_f64 v[20:21], v[26:27], v[20:21], v[22:23]
	s_waitcnt lgkmcnt(2)
	v_mul_f64 v[42:43], v[2:3], v[6:7]
	v_mul_f64 v[6:7], v[0:1], v[6:7]
	s_waitcnt lgkmcnt(0)
	v_mul_f64 v[36:37], v[34:35], v[30:31]
	v_mul_f64 v[30:31], v[32:33], v[30:31]
	v_add_f64 v[22:23], v[38:39], 0
	v_add_f64 v[26:27], v[40:41], 0
	v_fma_f64 v[38:39], v[0:1], v[4:5], -v[42:43]
	v_fma_f64 v[40:41], v[2:3], v[4:5], v[6:7]
	v_fma_f64 v[32:33], v[32:33], v[28:29], -v[36:37]
	v_fma_f64 v[28:29], v[34:35], v[28:29], v[30:31]
	v_add_f64 v[42:43], v[22:23], v[20:21]
	v_add_f64 v[44:45], v[26:27], v[24:25]
	ds_load_b128 v[0:3], v16 offset:64
	ds_load_b128 v[4:7], v17 offset:2048
	ds_load_b128 v[20:23], v17 offset:2560
	ds_load_b128 v[24:27], v16 offset:80
	s_waitcnt lgkmcnt(2)
	v_mul_f64 v[46:47], v[6:7], v[2:3]
	v_mul_f64 v[2:3], v[4:5], v[2:3]
	s_waitcnt lgkmcnt(0)
	v_mul_f64 v[36:37], v[22:23], v[26:27]
	v_add_f64 v[30:31], v[42:43], v[40:41]
	v_add_f64 v[34:35], v[44:45], v[38:39]
	v_mul_f64 v[38:39], v[20:21], v[26:27]
	v_fma_f64 v[40:41], v[4:5], v[0:1], -v[46:47]
	v_fma_f64 v[42:43], v[6:7], v[0:1], v[2:3]
	v_fma_f64 v[20:21], v[20:21], v[24:25], -v[36:37]
	v_add_f64 v[44:45], v[30:31], v[28:29]
	v_add_f64 v[34:35], v[34:35], v[32:33]
	ds_load_b128 v[0:3], v16 offset:96
	ds_load_b128 v[4:7], v17 offset:3072
	ds_load_b128 v[26:29], v17 offset:3584
	ds_load_b128 v[30:33], v16 offset:112
	v_fma_f64 v[22:23], v[22:23], v[24:25], v[38:39]
	s_waitcnt lgkmcnt(2)
	v_mul_f64 v[46:47], v[6:7], v[2:3]
	v_mul_f64 v[2:3], v[4:5], v[2:3]
	s_waitcnt lgkmcnt(0)
	v_mul_f64 v[36:37], v[28:29], v[32:33]
	v_mul_f64 v[38:39], v[26:27], v[32:33]
	v_add_f64 v[24:25], v[44:45], v[42:43]
	v_add_f64 v[34:35], v[34:35], v[40:41]
	v_fma_f64 v[40:41], v[4:5], v[0:1], -v[46:47]
	v_fma_f64 v[42:43], v[6:7], v[0:1], v[2:3]
	v_fma_f64 v[26:27], v[26:27], v[30:31], -v[36:37]
	v_fma_f64 v[28:29], v[28:29], v[30:31], v[38:39]
	v_add_f64 v[24:25], v[24:25], v[22:23]
	v_add_f64 v[44:45], v[34:35], v[20:21]
	ds_load_b128 v[0:3], v16 offset:128
	ds_load_b128 v[4:7], v17 offset:4096
	ds_load_b128 v[20:23], v17 offset:4608
	ds_load_b128 v[32:35], v16 offset:144
	s_waitcnt lgkmcnt(2)
	v_mul_f64 v[46:47], v[6:7], v[2:3]
	v_mul_f64 v[2:3], v[4:5], v[2:3]
	s_waitcnt lgkmcnt(0)
	v_mul_f64 v[36:37], v[22:23], v[34:35]
	v_mul_f64 v[34:35], v[20:21], v[34:35]
	v_add_f64 v[24:25], v[24:25], v[42:43]
	v_add_f64 v[30:31], v[44:45], v[40:41]
	v_fma_f64 v[38:39], v[4:5], v[0:1], -v[46:47]
	v_fma_f64 v[40:41], v[6:7], v[0:1], v[2:3]
	v_fma_f64 v[20:21], v[20:21], v[32:33], -v[36:37]
	v_fma_f64 v[22:23], v[22:23], v[32:33], v[34:35]
	v_add_f64 v[42:43], v[24:25], v[28:29]
	v_add_f64 v[44:45], v[30:31], v[26:27]
	ds_load_b128 v[0:3], v16 offset:160
	ds_load_b128 v[4:7], v17 offset:5120
	ds_load_b128 v[24:27], v17 offset:5632
	ds_load_b128 v[28:31], v16 offset:176
	s_waitcnt lgkmcnt(2)
	v_mul_f64 v[46:47], v[6:7], v[2:3]
	v_mul_f64 v[2:3], v[4:5], v[2:3]
	s_waitcnt lgkmcnt(0)
	v_mul_f64 v[36:37], v[26:27], v[30:31]
	v_add_f64 v[32:33], v[42:43], v[40:41]
	v_add_f64 v[34:35], v[44:45], v[38:39]
	v_mul_f64 v[38:39], v[24:25], v[30:31]
	v_fma_f64 v[40:41], v[4:5], v[0:1], -v[46:47]
	v_fma_f64 v[42:43], v[6:7], v[0:1], v[2:3]
	v_fma_f64 v[24:25], v[24:25], v[28:29], -v[36:37]
	v_add_f64 v[44:45], v[32:33], v[22:23]
	v_add_f64 v[34:35], v[34:35], v[20:21]
	ds_load_b128 v[0:3], v16 offset:192
	ds_load_b128 v[4:7], v17 offset:6144
	ds_load_b128 v[20:23], v17 offset:6656
	ds_load_b128 v[30:33], v16 offset:208
	v_fma_f64 v[26:27], v[26:27], v[28:29], v[38:39]
	s_waitcnt lgkmcnt(2)
	v_mul_f64 v[46:47], v[6:7], v[2:3]
	v_mul_f64 v[2:3], v[4:5], v[2:3]
	s_waitcnt lgkmcnt(0)
	v_mul_f64 v[36:37], v[22:23], v[32:33]
	v_mul_f64 v[38:39], v[20:21], v[32:33]
	v_add_f64 v[28:29], v[44:45], v[42:43]
	v_add_f64 v[34:35], v[34:35], v[40:41]
	v_fma_f64 v[40:41], v[4:5], v[0:1], -v[46:47]
	v_fma_f64 v[42:43], v[6:7], v[0:1], v[2:3]
	v_fma_f64 v[20:21], v[20:21], v[30:31], -v[36:37]
	v_fma_f64 v[22:23], v[22:23], v[30:31], v[38:39]
	v_add_f64 v[28:29], v[28:29], v[26:27]
	v_add_f64 v[44:45], v[34:35], v[24:25]
	ds_load_b128 v[0:3], v16 offset:224
	ds_load_b128 v[4:7], v17 offset:7168
	ds_load_b128 v[24:27], v17 offset:7680
	ds_load_b128 v[32:35], v16 offset:240
	;; [unrolled: 54-line block ×4, first 2 shown]
	s_waitcnt lgkmcnt(2)
	v_mul_f64 v[46:47], v[6:7], v[2:3]
	v_mul_f64 v[2:3], v[4:5], v[2:3]
	s_waitcnt lgkmcnt(0)
	v_mul_f64 v[38:39], v[26:27], v[34:35]
	v_add_f64 v[28:29], v[28:29], v[42:43]
	v_add_f64 v[30:31], v[44:45], v[40:41]
	v_mul_f64 v[40:41], v[24:25], v[34:35]
	v_fma_f64 v[42:43], v[4:5], v[0:1], -v[46:47]
	v_fma_f64 v[44:45], v[6:7], v[0:1], v[2:3]
	ds_load_b128 v[0:3], v16 offset:448
	ds_load_b128 v[4:7], v17 offset:14336
	v_fma_f64 v[24:25], v[24:25], v[32:33], -v[38:39]
	v_add_f64 v[46:47], v[28:29], v[22:23]
	v_add_f64 v[48:49], v[30:31], v[20:21]
	global_load_b128 v[20:23], v[8:9], off
	v_fma_f64 v[26:27], v[26:27], v[32:33], v[40:41]
	s_waitcnt lgkmcnt(0)
	v_mul_f64 v[50:51], v[6:7], v[2:3]
	v_mul_f64 v[2:3], v[4:5], v[2:3]
	ds_load_b128 v[28:31], v17 offset:14848
	ds_load_b128 v[34:37], v16 offset:464
	s_waitcnt lgkmcnt(0)
	v_mul_f64 v[40:41], v[30:31], v[36:37]
	v_add_f64 v[32:33], v[46:47], v[44:45]
	v_add_f64 v[38:39], v[48:49], v[42:43]
	v_mul_f64 v[42:43], v[28:29], v[36:37]
	v_fma_f64 v[44:45], v[4:5], v[0:1], -v[50:51]
	v_fma_f64 v[46:47], v[6:7], v[0:1], v[2:3]
	v_fma_f64 v[28:29], v[28:29], v[34:35], -v[40:41]
	v_add_f64 v[32:33], v[32:33], v[26:27]
	v_add_f64 v[48:49], v[38:39], v[24:25]
	ds_load_b128 v[0:3], v16 offset:480
	ds_load_b128 v[4:7], v17 offset:15360
	;; [unrolled: 1-line block ×4, first 2 shown]
	v_fma_f64 v[30:31], v[30:31], v[34:35], v[42:43]
	s_waitcnt lgkmcnt(2)
	v_mul_f64 v[50:51], v[6:7], v[2:3]
	v_mul_f64 v[2:3], v[4:5], v[2:3]
	s_waitcnt lgkmcnt(0)
	v_mul_f64 v[40:41], v[26:27], v[38:39]
	v_mul_f64 v[38:39], v[24:25], v[38:39]
	v_add_f64 v[32:33], v[32:33], v[46:47]
	v_add_f64 v[34:35], v[48:49], v[44:45]
	v_fma_f64 v[4:5], v[4:5], v[0:1], -v[50:51]
	v_fma_f64 v[0:1], v[6:7], v[0:1], v[2:3]
	v_fma_f64 v[24:25], v[24:25], v[36:37], -v[40:41]
	v_fma_f64 v[26:27], v[26:27], v[36:37], v[38:39]
	v_add_f64 v[2:3], v[32:33], v[30:31]
	v_add_f64 v[6:7], v[34:35], v[28:29]
	s_delay_alu instid0(VALU_DEP_2) | instskip(NEXT) | instid1(VALU_DEP_2)
	v_add_f64 v[0:1], v[2:3], v[0:1]
	v_add_f64 v[2:3], v[6:7], v[4:5]
	s_delay_alu instid0(VALU_DEP_2) | instskip(NEXT) | instid1(VALU_DEP_2)
	;; [unrolled: 3-line block ×3, first 2 shown]
	v_mul_f64 v[4:5], s[6:7], v[0:1]
	v_mul_f64 v[6:7], s[6:7], v[2:3]
	s_delay_alu instid0(VALU_DEP_2) | instskip(NEXT) | instid1(VALU_DEP_2)
	v_fma_f64 v[2:3], s[4:5], v[2:3], -v[4:5]
	v_fma_f64 v[4:5], s[4:5], v[0:1], v[6:7]
	s_waitcnt vmcnt(0)
	s_delay_alu instid0(VALU_DEP_2) | instskip(NEXT) | instid1(VALU_DEP_2)
	v_add_f64 v[0:1], v[20:21], v[2:3]
	v_add_f64 v[2:3], v[22:23], v[4:5]
	global_store_b128 v[8:9], v[0:3], off
	s_branch .LBB1231_4
.LBB1231_11:
	s_endpgm
	.section	.rodata,"a",@progbits
	.p2align	6, 0x0
	.amdhsa_kernel _ZL26rocblas_syr2k_her2k_kernelIlLb0ELb0ELb1ELi32EPK19rocblas_complex_numIdES3_PS1_EvbiT_T4_T5_S5_lS7_S5_lT6_S5_li
		.amdhsa_group_segment_fixed_size 32768
		.amdhsa_private_segment_fixed_size 0
		.amdhsa_kernarg_size 100
		.amdhsa_user_sgpr_count 13
		.amdhsa_user_sgpr_dispatch_ptr 0
		.amdhsa_user_sgpr_queue_ptr 0
		.amdhsa_user_sgpr_kernarg_segment_ptr 1
		.amdhsa_user_sgpr_dispatch_id 0
		.amdhsa_user_sgpr_private_segment_size 0
		.amdhsa_wavefront_size32 1
		.amdhsa_uses_dynamic_stack 0
		.amdhsa_enable_private_segment 0
		.amdhsa_system_sgpr_workgroup_id_x 1
		.amdhsa_system_sgpr_workgroup_id_y 1
		.amdhsa_system_sgpr_workgroup_id_z 1
		.amdhsa_system_sgpr_workgroup_info 0
		.amdhsa_system_vgpr_workitem_id 1
		.amdhsa_next_free_vgpr 52
		.amdhsa_next_free_sgpr 32
		.amdhsa_reserve_vcc 1
		.amdhsa_float_round_mode_32 0
		.amdhsa_float_round_mode_16_64 0
		.amdhsa_float_denorm_mode_32 3
		.amdhsa_float_denorm_mode_16_64 3
		.amdhsa_dx10_clamp 1
		.amdhsa_ieee_mode 1
		.amdhsa_fp16_overflow 0
		.amdhsa_workgroup_processor_mode 1
		.amdhsa_memory_ordered 1
		.amdhsa_forward_progress 0
		.amdhsa_shared_vgpr_count 0
		.amdhsa_exception_fp_ieee_invalid_op 0
		.amdhsa_exception_fp_denorm_src 0
		.amdhsa_exception_fp_ieee_div_zero 0
		.amdhsa_exception_fp_ieee_overflow 0
		.amdhsa_exception_fp_ieee_underflow 0
		.amdhsa_exception_fp_ieee_inexact 0
		.amdhsa_exception_int_div_zero 0
	.end_amdhsa_kernel
	.section	.text._ZL26rocblas_syr2k_her2k_kernelIlLb0ELb0ELb1ELi32EPK19rocblas_complex_numIdES3_PS1_EvbiT_T4_T5_S5_lS7_S5_lT6_S5_li,"axG",@progbits,_ZL26rocblas_syr2k_her2k_kernelIlLb0ELb0ELb1ELi32EPK19rocblas_complex_numIdES3_PS1_EvbiT_T4_T5_S5_lS7_S5_lT6_S5_li,comdat
.Lfunc_end1231:
	.size	_ZL26rocblas_syr2k_her2k_kernelIlLb0ELb0ELb1ELi32EPK19rocblas_complex_numIdES3_PS1_EvbiT_T4_T5_S5_lS7_S5_lT6_S5_li, .Lfunc_end1231-_ZL26rocblas_syr2k_her2k_kernelIlLb0ELb0ELb1ELi32EPK19rocblas_complex_numIdES3_PS1_EvbiT_T4_T5_S5_lS7_S5_lT6_S5_li
                                        ; -- End function
	.section	.AMDGPU.csdata,"",@progbits
; Kernel info:
; codeLenInByte = 3220
; NumSgprs: 34
; NumVgprs: 52
; ScratchSize: 0
; MemoryBound: 1
; FloatMode: 240
; IeeeMode: 1
; LDSByteSize: 32768 bytes/workgroup (compile time only)
; SGPRBlocks: 4
; VGPRBlocks: 6
; NumSGPRsForWavesPerEU: 34
; NumVGPRsForWavesPerEU: 52
; Occupancy: 16
; WaveLimiterHint : 0
; COMPUTE_PGM_RSRC2:SCRATCH_EN: 0
; COMPUTE_PGM_RSRC2:USER_SGPR: 13
; COMPUTE_PGM_RSRC2:TRAP_HANDLER: 0
; COMPUTE_PGM_RSRC2:TGID_X_EN: 1
; COMPUTE_PGM_RSRC2:TGID_Y_EN: 1
; COMPUTE_PGM_RSRC2:TGID_Z_EN: 1
; COMPUTE_PGM_RSRC2:TIDIG_COMP_CNT: 1
	.section	.text._ZL26rocblas_syr2k_her2k_kernelIlLb0ELb1ELb0ELi32E19rocblas_complex_numIfEPKS1_PS1_EvbiT_T4_T5_S5_lS7_S5_lT6_S5_li,"axG",@progbits,_ZL26rocblas_syr2k_her2k_kernelIlLb0ELb1ELb0ELi32E19rocblas_complex_numIfEPKS1_PS1_EvbiT_T4_T5_S5_lS7_S5_lT6_S5_li,comdat
	.globl	_ZL26rocblas_syr2k_her2k_kernelIlLb0ELb1ELb0ELi32E19rocblas_complex_numIfEPKS1_PS1_EvbiT_T4_T5_S5_lS7_S5_lT6_S5_li ; -- Begin function _ZL26rocblas_syr2k_her2k_kernelIlLb0ELb1ELb0ELi32E19rocblas_complex_numIfEPKS1_PS1_EvbiT_T4_T5_S5_lS7_S5_lT6_S5_li
	.p2align	8
	.type	_ZL26rocblas_syr2k_her2k_kernelIlLb0ELb1ELb0ELi32E19rocblas_complex_numIfEPKS1_PS1_EvbiT_T4_T5_S5_lS7_S5_lT6_S5_li,@function
_ZL26rocblas_syr2k_her2k_kernelIlLb0ELb1ELb0ELi32E19rocblas_complex_numIfEPKS1_PS1_EvbiT_T4_T5_S5_lS7_S5_lT6_S5_li: ; @_ZL26rocblas_syr2k_her2k_kernelIlLb0ELb1ELb0ELi32E19rocblas_complex_numIfEPKS1_PS1_EvbiT_T4_T5_S5_lS7_S5_lT6_S5_li
; %bb.0:
	s_load_b64 s[4:5], s[0:1], 0x10
	s_waitcnt lgkmcnt(0)
	v_cmp_eq_f32_e64 s2, s4, 0
	v_cmp_eq_f32_e64 s3, s5, 0
	s_delay_alu instid0(VALU_DEP_1) | instskip(NEXT) | instid1(SALU_CYCLE_1)
	s_and_b32 s2, s2, s3
	s_and_b32 vcc_lo, exec_lo, s2
	s_cbranch_vccnz .LBB1232_13
; %bb.1:
	s_load_b64 s[2:3], s[0:1], 0x0
	s_lshl_b32 s8, s14, 5
	s_lshl_b32 s9, s13, 5
	s_waitcnt lgkmcnt(0)
	s_and_b32 s2, 1, s2
	s_delay_alu instid0(SALU_CYCLE_1) | instskip(SKIP_1) | instid1(SALU_CYCLE_1)
	s_cmp_eq_u32 s2, 1
	s_cselect_b32 s2, -1, 0
	s_and_b32 s6, s2, exec_lo
	s_cselect_b32 s6, s9, s8
	s_cselect_b32 s7, s8, s9
	s_delay_alu instid0(SALU_CYCLE_1)
	s_cmp_gt_i32 s6, s7
	s_cbranch_scc1 .LBB1232_13
; %bb.2:
	s_clause 0x2
	s_load_b64 s[10:11], s[0:1], 0x58
	s_load_b64 s[6:7], s[0:1], 0x8
	s_load_b512 s[16:31], s[0:1], 0x18
	v_and_b32_e32 v14, 0x3ff, v0
	v_bfe_u32 v15, v0, 10, 10
	s_delay_alu instid0(VALU_DEP_2) | instskip(NEXT) | instid1(VALU_DEP_2)
	v_add_nc_u32_e32 v0, s9, v14
	v_add_nc_u32_e32 v4, s8, v15
	s_delay_alu instid0(VALU_DEP_2)
	v_ashrrev_i32_e32 v3, 31, v0
	s_waitcnt lgkmcnt(0)
	s_mul_i32 s1, s15, s11
	s_mul_hi_u32 s11, s15, s10
	s_mul_i32 s0, s15, s10
	v_cmp_lt_i64_e64 s10, s[6:7], 1
	s_add_i32 s1, s11, s1
	s_delay_alu instid0(SALU_CYCLE_1) | instskip(NEXT) | instid1(SALU_CYCLE_1)
	s_lshl_b64 s[0:1], s[0:1], 3
	s_add_u32 s14, s28, s0
	s_addc_u32 s28, s29, s1
	s_delay_alu instid0(VALU_DEP_1)
	s_and_b32 vcc_lo, exec_lo, s10
	s_cbranch_vccnz .LBB1232_11
; %bb.3:
	v_ashrrev_i32_e32 v6, 31, v4
	v_mul_lo_u32 v12, v4, s31
	v_dual_mov_b32 v1, 0 :: v_dual_lshlrev_b32 v16, 8, v14
	v_cndmask_b32_e64 v2, v0, v4, s2
	s_delay_alu instid0(VALU_DEP_4)
	v_mul_lo_u32 v13, v6, s30
	v_mad_u64_u32 v[6:7], null, v4, s30, 0
	v_cndmask_b32_e64 v10, v4, v0, s2
	v_lshlrev_b32_e32 v11, 3, v15
	v_max_i32_e32 v8, v0, v4
	s_ashr_i32 s9, s3, 31
	s_mov_b32 s8, s3
	v_cmp_le_i32_e64 s2, v10, v2
	v_dual_mov_b32 v2, v0 :: v_dual_mov_b32 v5, v1
	v_add_nc_u32_e32 v18, v16, v11
	v_or_b32_e32 v17, 0x2000, v11
	v_cmp_gt_i32_e32 vcc_lo, s3, v8
	v_mad_u64_u32 v[8:9], null, s24, v14, 0
	v_add3_u32 v7, v7, v12, v13
	v_mad_u64_u32 v[10:11], null, s18, v15, 0
	s_and_b32 s2, s2, vcc_lo
	v_add_nc_u32_e32 v19, v17, v16
	s_delay_alu instid0(VALU_DEP_3) | instskip(SKIP_4) | instid1(VALU_DEP_4)
	v_lshlrev_b64 v[6:7], 3, v[6:7]
	v_cmp_gt_i64_e64 s0, s[8:9], v[0:1]
	v_cmp_gt_i64_e64 s1, s[8:9], v[4:5]
	s_mul_i32 s8, s27, s15
	v_mad_u64_u32 v[12:13], null, s25, v14, v[9:10]
	v_add_co_u32 v13, vcc_lo, s14, v6
	v_add_co_ci_u32_e32 v20, vcc_lo, s28, v7, vcc_lo
	v_lshlrev_b64 v[6:7], 3, v[2:3]
	s_delay_alu instid0(VALU_DEP_4) | instskip(SKIP_3) | instid1(VALU_DEP_3)
	v_dual_mov_b32 v2, v11 :: v_dual_mov_b32 v9, v12
	s_mul_hi_u32 s9, s26, s15
	v_add_nc_u32_e32 v21, 0x1800, v17
	s_add_i32 s9, s9, s8
	v_add_co_u32 v6, vcc_lo, v13, v6
	v_mad_u64_u32 v[11:12], null, s19, v15, v[2:3]
	v_add_co_ci_u32_e32 v7, vcc_lo, v20, v7, vcc_lo
	v_add_nc_u32_e32 v20, 0x1000, v17
	v_lshlrev_b64 v[8:9], 3, v[8:9]
	s_mul_i32 s8, s26, s15
	v_lshlrev_b64 v[1:2], 3, v[0:1]
	s_lshl_b64 s[8:9], s[8:9], 3
	s_lshl_b64 s[10:11], s[18:19], 8
	s_mov_b64 s[12:13], 0
	v_add_co_u32 v12, vcc_lo, s8, v8
	v_add_co_ci_u32_e32 v13, vcc_lo, s9, v9, vcc_lo
	s_mul_i32 s8, s21, s15
	s_mul_hi_u32 s9, s20, s15
	v_lshlrev_b64 v[8:9], 3, v[10:11]
	s_add_i32 s9, s9, s8
	s_mul_i32 s8, s20, s15
	v_lshlrev_b64 v[10:11], 3, v[4:5]
	s_lshl_b64 s[8:9], s[8:9], 3
	s_delay_alu instid0(VALU_DEP_2) | instid1(SALU_CYCLE_1)
	v_add_co_u32 v5, vcc_lo, s8, v8
	v_add_co_ci_u32_e32 v8, vcc_lo, s9, v9, vcc_lo
	s_delay_alu instid0(VALU_DEP_3) | instskip(NEXT) | instid1(VALU_DEP_4)
	v_add_co_u32 v9, vcc_lo, v12, v10
	v_add_co_ci_u32_e32 v10, vcc_lo, v13, v11, vcc_lo
	s_delay_alu instid0(VALU_DEP_4) | instskip(NEXT) | instid1(VALU_DEP_4)
	v_add_co_u32 v1, vcc_lo, v5, v1
	v_add_co_ci_u32_e32 v2, vcc_lo, v8, v2, vcc_lo
	s_delay_alu instid0(VALU_DEP_4) | instskip(NEXT) | instid1(VALU_DEP_4)
	v_add_co_u32 v5, vcc_lo, v9, s22
	v_add_co_ci_u32_e32 v8, vcc_lo, s23, v10, vcc_lo
	s_delay_alu instid0(VALU_DEP_4) | instskip(NEXT) | instid1(VALU_DEP_4)
	v_add_co_u32 v9, vcc_lo, v1, s16
	v_add_co_ci_u32_e32 v10, vcc_lo, s17, v2, vcc_lo
	s_delay_alu instid0(VALU_DEP_4) | instskip(NEXT) | instid1(VALU_DEP_4)
	v_add_co_u32 v1, vcc_lo, v5, 4
	v_add_co_ci_u32_e32 v2, vcc_lo, 0, v8, vcc_lo
	s_delay_alu instid0(VALU_DEP_4) | instskip(NEXT) | instid1(VALU_DEP_4)
	v_add_co_u32 v8, vcc_lo, v9, 4
	v_add_co_ci_u32_e32 v9, vcc_lo, 0, v10, vcc_lo
	v_add_nc_u32_e32 v5, 0x800, v17
	s_lshl_b64 s[8:9], s[24:25], 8
	s_branch .LBB1232_5
.LBB1232_4:                             ;   in Loop: Header=BB1232_5 Depth=1
	s_or_b32 exec_lo, exec_lo, s15
	s_add_u32 s12, s12, 32
	s_addc_u32 s13, s13, 0
	v_add_co_u32 v1, vcc_lo, v1, s8
	v_cmp_ge_i64_e64 s15, s[12:13], s[6:7]
	v_add_co_ci_u32_e32 v2, vcc_lo, s9, v2, vcc_lo
	v_add_co_u32 v8, vcc_lo, v8, s10
	v_add_co_ci_u32_e32 v9, vcc_lo, s11, v9, vcc_lo
	s_delay_alu instid0(VALU_DEP_4)
	s_and_b32 vcc_lo, exec_lo, s15
	s_waitcnt_vscnt null, 0x0
	s_barrier
	buffer_gl0_inv
	s_cbranch_vccnz .LBB1232_11
.LBB1232_5:                             ; =>This Inner Loop Header: Depth=1
	v_add_co_u32 v10, s15, v15, s12
	s_delay_alu instid0(VALU_DEP_1) | instskip(NEXT) | instid1(VALU_DEP_1)
	v_add_co_ci_u32_e64 v11, null, 0, s13, s15
	v_cmp_gt_i64_e32 vcc_lo, s[6:7], v[10:11]
	v_dual_mov_b32 v10, 0 :: v_dual_mov_b32 v11, 0
	s_and_b32 s16, s0, vcc_lo
	s_delay_alu instid0(SALU_CYCLE_1)
	s_and_saveexec_b32 s15, s16
	s_cbranch_execz .LBB1232_7
; %bb.6:                                ;   in Loop: Header=BB1232_5 Depth=1
	global_load_b64 v[10:11], v[8:9], off offset:-4
.LBB1232_7:                             ;   in Loop: Header=BB1232_5 Depth=1
	s_or_b32 exec_lo, exec_lo, s15
	v_add_co_u32 v12, s15, v14, s12
	s_delay_alu instid0(VALU_DEP_1)
	v_add_co_ci_u32_e64 v13, null, 0, s13, s15
	s_waitcnt vmcnt(0)
	ds_store_b64 v18, v[10:11]
	v_cmp_gt_i64_e32 vcc_lo, s[6:7], v[12:13]
	v_dual_mov_b32 v12, 0 :: v_dual_mov_b32 v13, 0
	s_and_b32 s16, s1, vcc_lo
	s_delay_alu instid0(SALU_CYCLE_1)
	s_and_saveexec_b32 s15, s16
	s_cbranch_execz .LBB1232_9
; %bb.8:                                ;   in Loop: Header=BB1232_5 Depth=1
	global_load_b64 v[12:13], v[1:2], off offset:-4
	s_waitcnt vmcnt(0)
	v_xor_b32_e32 v13, 0x80000000, v13
.LBB1232_9:                             ;   in Loop: Header=BB1232_5 Depth=1
	s_or_b32 exec_lo, exec_lo, s15
	ds_store_b64 v19, v[12:13]
	s_waitcnt lgkmcnt(0)
	s_barrier
	buffer_gl0_inv
	s_and_saveexec_b32 s15, s2
	s_cbranch_execz .LBB1232_4
; %bb.10:                               ;   in Loop: Header=BB1232_5 Depth=1
	global_load_b64 v[10:11], v[6:7], off
	ds_load_2addr_b64 v[22:25], v17 offset1:32
	ds_load_b128 v[26:29], v16
	ds_load_b128 v[30:33], v16 offset:16
	ds_load_b128 v[34:37], v16 offset:32
	;; [unrolled: 1-line block ×3, first 2 shown]
	ds_load_2addr_b64 v[42:45], v17 offset0:64 offset1:96
	ds_load_2addr_b64 v[46:49], v17 offset0:128 offset1:160
	;; [unrolled: 1-line block ×3, first 2 shown]
	ds_load_2addr_b64 v[54:57], v5 offset1:32
	ds_load_b128 v[58:61], v16 offset:64
	ds_load_b128 v[62:65], v16 offset:80
	ds_load_2addr_b64 v[66:69], v5 offset0:64 offset1:96
	ds_load_2addr_b64 v[70:73], v5 offset0:128 offset1:160
	ds_load_b128 v[74:77], v16 offset:96
	ds_load_b128 v[78:81], v16 offset:112
	ds_load_2addr_b64 v[82:85], v5 offset0:192 offset1:224
	ds_load_2addr_b64 v[86:89], v20 offset1:32
	ds_load_b128 v[90:93], v16 offset:128
	ds_load_b128 v[94:97], v16 offset:144
	s_waitcnt lgkmcnt(17)
	v_mul_f32_e32 v12, v23, v27
	v_dual_mul_f32 v13, v22, v27 :: v_dual_mul_f32 v98, v24, v29
	s_waitcnt lgkmcnt(13)
	v_dual_mul_f32 v27, v25, v29 :: v_dual_mul_f32 v100, v42, v31
	v_mul_f32_e32 v101, v44, v33
	v_fma_f32 v12, v22, v26, -v12
	v_dual_fmac_f32 v13, v23, v26 :: v_dual_fmac_f32 v98, v25, v28
	s_delay_alu instid0(VALU_DEP_4)
	v_fma_f32 v99, v24, v28, -v27
	v_dual_mul_f32 v26, v43, v31 :: v_dual_mul_f32 v27, v45, v33
	s_waitcnt lgkmcnt(12)
	v_dual_mul_f32 v102, v46, v35 :: v_dual_mul_f32 v33, v49, v37
	v_mul_f32_e32 v105, v48, v37
	v_dual_add_f32 v13, 0, v13 :: v_dual_add_f32 v12, 0, v12
	v_mul_f32_e32 v31, v47, v35
	v_fma_f32 v103, v42, v30, -v26
	s_delay_alu instid0(VALU_DEP_4)
	v_dual_fmac_f32 v102, v47, v34 :: v_dual_fmac_f32 v105, v49, v36
	s_waitcnt lgkmcnt(11)
	v_dual_mul_f32 v42, v51, v39 :: v_dual_add_f32 v13, v13, v98
	v_dual_mul_f32 v98, v52, v41 :: v_dual_mul_f32 v107, v50, v39
	v_dual_mul_f32 v39, v53, v41 :: v_dual_add_f32 v12, v12, v99
	v_dual_fmac_f32 v100, v43, v30 :: v_dual_fmac_f32 v101, v45, v32
	v_fma_f32 v104, v44, v32, -v27
	v_fma_f32 v46, v46, v34, -v31
	s_delay_alu instid0(VALU_DEP_3) | instskip(SKIP_3) | instid1(VALU_DEP_3)
	v_dual_add_f32 v12, v12, v103 :: v_dual_add_f32 v13, v13, v100
	s_waitcnt lgkmcnt(9)
	v_dual_mul_f32 v100, v56, v61 :: v_dual_mul_f32 v47, v55, v59
	v_fma_f32 v106, v48, v36, -v33
	v_dual_add_f32 v12, v12, v104 :: v_dual_add_f32 v13, v13, v101
	v_fma_f32 v108, v50, v38, -v42
	s_delay_alu instid0(VALU_DEP_4) | instskip(SKIP_1) | instid1(VALU_DEP_3)
	v_dual_mul_f32 v99, v54, v59 :: v_dual_fmac_f32 v100, v57, v60
	s_waitcnt lgkmcnt(7)
	v_dual_add_f32 v12, v12, v46 :: v_dual_mul_f32 v101, v66, v63
	v_fma_f32 v109, v52, v40, -v39
	v_mul_f32_e32 v59, v67, v63
	v_add_f32_e32 v13, v13, v102
	s_delay_alu instid0(VALU_DEP_4) | instskip(SKIP_2) | instid1(VALU_DEP_3)
	v_add_f32_e32 v12, v12, v106
	v_dual_fmac_f32 v99, v55, v58 :: v_dual_fmac_f32 v98, v53, v40
	v_dual_fmac_f32 v107, v51, v38 :: v_dual_mul_f32 v48, v57, v61
	v_add_f32_e32 v12, v12, v108
	v_fma_f32 v63, v54, v58, -v47
	v_mul_f32_e32 v54, v69, v65
	v_fma_f32 v104, v66, v62, -v59
	v_fmac_f32_e32 v101, v67, v62
	s_waitcnt lgkmcnt(5)
	v_mul_f32_e32 v62, v71, v75
	v_dual_mul_f32 v75, v70, v75 :: v_dual_add_f32 v12, v12, v109
	v_add_f32_e32 v13, v13, v105
	v_fma_f32 v102, v56, v60, -v48
	v_mul_f32_e32 v103, v68, v65
	v_fma_f32 v105, v68, v64, -v54
	v_add_f32_e32 v12, v12, v63
	v_add_f32_e32 v13, v13, v107
	v_fmac_f32_e32 v75, v71, v74
	ds_load_2addr_b64 v[22:25], v20 offset0:64 offset1:96
	ds_load_2addr_b64 v[26:29], v20 offset0:128 offset1:160
	v_add_f32_e32 v12, v12, v102
	s_waitcnt lgkmcnt(5)
	v_dual_add_f32 v13, v13, v98 :: v_dual_mul_f32 v98, v83, v79
	v_fmac_f32_e32 v103, v69, v64
	v_mul_f32_e32 v64, v73, v77
	v_mul_f32_e32 v77, v72, v77
	s_delay_alu instid0(VALU_DEP_4) | instskip(SKIP_1) | instid1(VALU_DEP_4)
	v_dual_add_f32 v13, v13, v99 :: v_dual_add_f32 v12, v12, v104
	v_fma_f32 v99, v70, v74, -v62
	v_fma_f32 v74, v72, v76, -v64
	s_delay_alu instid0(VALU_DEP_4)
	v_fmac_f32_e32 v77, v73, v76
	v_dual_mul_f32 v79, v82, v79 :: v_dual_mul_f32 v70, v85, v81
	v_dual_add_f32 v12, v12, v105 :: v_dual_add_f32 v13, v13, v100
	v_mul_f32_e32 v76, v84, v81
	v_fma_f32 v81, v82, v78, -v98
	ds_load_b128 v[30:33], v16 offset:160
	ds_load_b128 v[34:37], v16 offset:176
	v_dual_add_f32 v12, v12, v99 :: v_dual_add_f32 v13, v13, v101
	ds_load_2addr_b64 v[38:41], v20 offset0:192 offset1:224
	v_fmac_f32_e32 v79, v83, v78
	v_fma_f32 v78, v84, v80, -v70
	s_waitcnt lgkmcnt(6)
	v_mul_f32_e32 v84, v89, v93
	v_dual_add_f32 v12, v12, v74 :: v_dual_add_f32 v13, v13, v103
	v_mul_f32_e32 v82, v86, v91
	ds_load_2addr_b64 v[42:45], v21 offset1:32
	v_fmac_f32_e32 v76, v85, v80
	v_dual_add_f32 v12, v12, v81 :: v_dual_add_f32 v13, v13, v75
	v_mul_f32_e32 v80, v87, v91
	ds_load_b128 v[46:49], v16 offset:192
	ds_load_b128 v[50:53], v16 offset:208
	s_waitcnt lgkmcnt(7)
	v_dual_mul_f32 v85, v23, v95 :: v_dual_add_f32 v12, v12, v78
	v_add_f32_e32 v13, v13, v77
	ds_load_2addr_b64 v[54:57], v21 offset0:64 offset1:96
	v_dual_mul_f32 v91, v22, v95 :: v_dual_fmac_f32 v82, v87, v90
	v_mul_f32_e32 v75, v25, v97
	v_add_f32_e32 v13, v13, v79
	v_fma_f32 v79, v86, v90, -v80
	v_fma_f32 v80, v88, v92, -v84
	ds_load_2addr_b64 v[58:61], v21 offset0:128 offset1:160
	s_waitcnt lgkmcnt(5)
	v_dual_mul_f32 v83, v88, v93 :: v_dual_mul_f32 v74, v39, v35
	v_add_f32_e32 v12, v12, v79
	v_mul_f32_e32 v95, v27, v31
	v_add_f32_e32 v13, v13, v76
	v_mul_f32_e32 v76, v41, v37
	v_fma_f32 v22, v22, v94, -v85
	v_add_f32_e32 v12, v12, v80
	v_mul_f32_e32 v93, v24, v97
	v_mul_f32_e32 v31, v26, v31
	s_waitcnt lgkmcnt(3)
	v_mul_f32_e32 v78, v43, v47
	v_fma_f32 v24, v24, v96, -v75
	v_add_f32_e32 v12, v12, v22
	ds_load_b128 v[62:65], v16 offset:224
	ds_load_b128 v[66:69], v16 offset:240
	v_mul_f32_e32 v77, v29, v33
	v_fma_f32 v26, v26, v30, -v95
	ds_load_2addr_b64 v[70:73], v21 offset0:192 offset1:224
	v_dual_add_f32 v12, v12, v24 :: v_dual_fmac_f32 v31, v27, v30
	v_fma_f32 v27, v28, v32, -v77
	v_mul_f32_e32 v33, v28, v33
	v_fma_f32 v28, v38, v34, -v74
	s_delay_alu instid0(VALU_DEP_4) | instskip(SKIP_3) | instid1(VALU_DEP_3)
	v_add_f32_e32 v12, v12, v26
	s_waitcnt lgkmcnt(4)
	v_dual_mul_f32 v26, v56, v53 :: v_dual_add_f32 v13, v13, v82
	v_dual_mul_f32 v35, v38, v35 :: v_dual_mul_f32 v24, v57, v53
	v_add_f32_e32 v12, v12, v27
	v_mul_f32_e32 v47, v42, v47
	v_fma_f32 v30, v42, v46, -v78
	v_dual_fmac_f32 v91, v23, v94 :: v_dual_fmac_f32 v26, v57, v52
	s_delay_alu instid0(VALU_DEP_4)
	v_add_f32_e32 v12, v12, v28
	s_waitcnt lgkmcnt(2)
	v_dual_mul_f32 v28, v58, v63 :: v_dual_fmac_f32 v33, v29, v32
	v_fma_f32 v29, v40, v36, -v76
	v_dual_fmac_f32 v83, v89, v92 :: v_dual_mul_f32 v22, v54, v51
	v_fma_f32 v24, v56, v52, -v24
	s_delay_alu instid0(VALU_DEP_4) | instskip(NEXT) | instid1(VALU_DEP_4)
	v_fmac_f32_e32 v28, v59, v62
	v_add_f32_e32 v12, v12, v29
	v_mul_f32_e32 v81, v45, v49
	v_add_f32_e32 v13, v13, v83
	v_dual_mul_f32 v37, v40, v37 :: v_dual_fmac_f32 v22, v55, v50
	s_delay_alu instid0(VALU_DEP_4) | instskip(SKIP_1) | instid1(VALU_DEP_3)
	v_dual_add_f32 v12, v12, v30 :: v_dual_fmac_f32 v93, v25, v96
	v_mul_f32_e32 v25, v55, v51
	v_fmac_f32_e32 v37, v41, v36
	v_mul_f32_e32 v23, v44, v49
	v_fmac_f32_e32 v47, v43, v46
	v_mul_f32_e32 v27, v59, v63
	v_fma_f32 v25, v54, v50, -v25
	v_add_f32_e32 v13, v13, v91
	v_fmac_f32_e32 v23, v45, v48
	v_mul_f32_e32 v29, v61, v65
	s_delay_alu instid0(VALU_DEP_3) | instskip(NEXT) | instid1(VALU_DEP_1)
	v_add_f32_e32 v13, v13, v93
	v_add_f32_e32 v13, v13, v31
	v_fma_f32 v31, v44, v48, -v81
	s_delay_alu instid0(VALU_DEP_1) | instskip(SKIP_1) | instid1(VALU_DEP_1)
	v_dual_add_f32 v13, v13, v33 :: v_dual_add_f32 v12, v12, v31
	s_waitcnt lgkmcnt(0)
	v_dual_add_f32 v12, v12, v25 :: v_dual_mul_f32 v25, v70, v67
	s_delay_alu instid0(VALU_DEP_1) | instskip(SKIP_1) | instid1(VALU_DEP_1)
	v_add_f32_e32 v12, v12, v24
	v_dual_mul_f32 v24, v72, v69 :: v_dual_fmac_f32 v35, v39, v34
	v_dual_fmac_f32 v25, v71, v66 :: v_dual_fmac_f32 v24, v73, v68
	s_delay_alu instid0(VALU_DEP_2) | instskip(NEXT) | instid1(VALU_DEP_1)
	v_add_f32_e32 v13, v13, v35
	v_add_f32_e32 v13, v13, v37
	s_delay_alu instid0(VALU_DEP_1) | instskip(NEXT) | instid1(VALU_DEP_1)
	v_add_f32_e32 v13, v13, v47
	v_add_f32_e32 v13, v13, v23
	v_mul_f32_e32 v23, v60, v65
	s_delay_alu instid0(VALU_DEP_2) | instskip(NEXT) | instid1(VALU_DEP_2)
	v_add_f32_e32 v13, v13, v22
	v_dual_fmac_f32 v23, v61, v64 :: v_dual_mul_f32 v22, v71, v67
	s_delay_alu instid0(VALU_DEP_2) | instskip(SKIP_2) | instid1(VALU_DEP_4)
	v_add_f32_e32 v13, v13, v26
	v_fma_f32 v26, v58, v62, -v27
	v_fma_f32 v27, v60, v64, -v29
	;; [unrolled: 1-line block ×3, first 2 shown]
	s_delay_alu instid0(VALU_DEP_3) | instskip(NEXT) | instid1(VALU_DEP_1)
	v_dual_add_f32 v13, v13, v28 :: v_dual_add_f32 v12, v12, v26
	v_add_f32_e32 v13, v13, v23
	s_delay_alu instid0(VALU_DEP_2) | instskip(NEXT) | instid1(VALU_DEP_2)
	v_dual_mul_f32 v23, v73, v69 :: v_dual_add_f32 v12, v12, v27
	v_add_f32_e32 v13, v13, v25
	s_delay_alu instid0(VALU_DEP_2) | instskip(NEXT) | instid1(VALU_DEP_2)
	v_fma_f32 v23, v72, v68, -v23
	v_dual_add_f32 v12, v12, v22 :: v_dual_add_f32 v13, v13, v24
	s_delay_alu instid0(VALU_DEP_1) | instskip(NEXT) | instid1(VALU_DEP_2)
	v_add_f32_e32 v12, v12, v23
	v_mul_f32_e32 v22, s5, v13
	v_mul_f32_e32 v13, s4, v13
	s_delay_alu instid0(VALU_DEP_2) | instskip(SKIP_1) | instid1(VALU_DEP_1)
	v_fma_f32 v22, s4, v12, -v22
	s_waitcnt vmcnt(0)
	v_dual_fmac_f32 v13, s5, v12 :: v_dual_add_f32 v10, v10, v22
	s_delay_alu instid0(VALU_DEP_1)
	v_add_f32_e32 v11, v11, v13
	global_store_b64 v[6:7], v[10:11], off
	s_branch .LBB1232_4
.LBB1232_11:
	v_cmp_eq_u32_e32 vcc_lo, v0, v4
	v_cmp_gt_i32_e64 s0, s3, v0
	s_delay_alu instid0(VALU_DEP_1) | instskip(NEXT) | instid1(SALU_CYCLE_1)
	s_and_b32 s0, vcc_lo, s0
	s_and_saveexec_b32 s1, s0
	s_cbranch_execz .LBB1232_13
; %bb.12:
	v_mul_lo_u32 v1, v0, s31
	v_mul_lo_u32 v2, v3, s30
	v_mad_u64_u32 v[4:5], null, v0, s30, 0
	s_delay_alu instid0(VALU_DEP_1) | instskip(SKIP_1) | instid1(VALU_DEP_2)
	v_add3_u32 v5, v5, v1, v2
	v_mov_b32_e32 v1, v3
	v_lshlrev_b64 v[2:3], 3, v[4:5]
	s_delay_alu instid0(VALU_DEP_2) | instskip(NEXT) | instid1(VALU_DEP_2)
	v_lshlrev_b64 v[0:1], 3, v[0:1]
	v_add_co_u32 v2, vcc_lo, s14, v2
	s_delay_alu instid0(VALU_DEP_3) | instskip(NEXT) | instid1(VALU_DEP_2)
	v_add_co_ci_u32_e32 v3, vcc_lo, s28, v3, vcc_lo
	v_add_co_u32 v0, vcc_lo, v2, v0
	v_mov_b32_e32 v2, 0
	s_delay_alu instid0(VALU_DEP_3)
	v_add_co_ci_u32_e32 v1, vcc_lo, v3, v1, vcc_lo
	global_store_b32 v[0:1], v2, off offset:4
.LBB1232_13:
	s_nop 0
	s_sendmsg sendmsg(MSG_DEALLOC_VGPRS)
	s_endpgm
	.section	.rodata,"a",@progbits
	.p2align	6, 0x0
	.amdhsa_kernel _ZL26rocblas_syr2k_her2k_kernelIlLb0ELb1ELb0ELi32E19rocblas_complex_numIfEPKS1_PS1_EvbiT_T4_T5_S5_lS7_S5_lT6_S5_li
		.amdhsa_group_segment_fixed_size 16384
		.amdhsa_private_segment_fixed_size 0
		.amdhsa_kernarg_size 100
		.amdhsa_user_sgpr_count 13
		.amdhsa_user_sgpr_dispatch_ptr 0
		.amdhsa_user_sgpr_queue_ptr 0
		.amdhsa_user_sgpr_kernarg_segment_ptr 1
		.amdhsa_user_sgpr_dispatch_id 0
		.amdhsa_user_sgpr_private_segment_size 0
		.amdhsa_wavefront_size32 1
		.amdhsa_uses_dynamic_stack 0
		.amdhsa_enable_private_segment 0
		.amdhsa_system_sgpr_workgroup_id_x 1
		.amdhsa_system_sgpr_workgroup_id_y 1
		.amdhsa_system_sgpr_workgroup_id_z 1
		.amdhsa_system_sgpr_workgroup_info 0
		.amdhsa_system_vgpr_workitem_id 1
		.amdhsa_next_free_vgpr 110
		.amdhsa_next_free_sgpr 32
		.amdhsa_reserve_vcc 1
		.amdhsa_float_round_mode_32 0
		.amdhsa_float_round_mode_16_64 0
		.amdhsa_float_denorm_mode_32 3
		.amdhsa_float_denorm_mode_16_64 3
		.amdhsa_dx10_clamp 1
		.amdhsa_ieee_mode 1
		.amdhsa_fp16_overflow 0
		.amdhsa_workgroup_processor_mode 1
		.amdhsa_memory_ordered 1
		.amdhsa_forward_progress 0
		.amdhsa_shared_vgpr_count 0
		.amdhsa_exception_fp_ieee_invalid_op 0
		.amdhsa_exception_fp_denorm_src 0
		.amdhsa_exception_fp_ieee_div_zero 0
		.amdhsa_exception_fp_ieee_overflow 0
		.amdhsa_exception_fp_ieee_underflow 0
		.amdhsa_exception_fp_ieee_inexact 0
		.amdhsa_exception_int_div_zero 0
	.end_amdhsa_kernel
	.section	.text._ZL26rocblas_syr2k_her2k_kernelIlLb0ELb1ELb0ELi32E19rocblas_complex_numIfEPKS1_PS1_EvbiT_T4_T5_S5_lS7_S5_lT6_S5_li,"axG",@progbits,_ZL26rocblas_syr2k_her2k_kernelIlLb0ELb1ELb0ELi32E19rocblas_complex_numIfEPKS1_PS1_EvbiT_T4_T5_S5_lS7_S5_lT6_S5_li,comdat
.Lfunc_end1232:
	.size	_ZL26rocblas_syr2k_her2k_kernelIlLb0ELb1ELb0ELi32E19rocblas_complex_numIfEPKS1_PS1_EvbiT_T4_T5_S5_lS7_S5_lT6_S5_li, .Lfunc_end1232-_ZL26rocblas_syr2k_her2k_kernelIlLb0ELb1ELb0ELi32E19rocblas_complex_numIfEPKS1_PS1_EvbiT_T4_T5_S5_lS7_S5_lT6_S5_li
                                        ; -- End function
	.section	.AMDGPU.csdata,"",@progbits
; Kernel info:
; codeLenInByte = 2436
; NumSgprs: 34
; NumVgprs: 110
; ScratchSize: 0
; MemoryBound: 0
; FloatMode: 240
; IeeeMode: 1
; LDSByteSize: 16384 bytes/workgroup (compile time only)
; SGPRBlocks: 4
; VGPRBlocks: 13
; NumSGPRsForWavesPerEU: 34
; NumVGPRsForWavesPerEU: 110
; Occupancy: 12
; WaveLimiterHint : 1
; COMPUTE_PGM_RSRC2:SCRATCH_EN: 0
; COMPUTE_PGM_RSRC2:USER_SGPR: 13
; COMPUTE_PGM_RSRC2:TRAP_HANDLER: 0
; COMPUTE_PGM_RSRC2:TGID_X_EN: 1
; COMPUTE_PGM_RSRC2:TGID_Y_EN: 1
; COMPUTE_PGM_RSRC2:TGID_Z_EN: 1
; COMPUTE_PGM_RSRC2:TIDIG_COMP_CNT: 1
	.section	.text._ZL26rocblas_syr2k_her2k_kernelIlLb0ELb1ELb1ELi32E19rocblas_complex_numIfEPKS1_PS1_EvbiT_T4_T5_S5_lS7_S5_lT6_S5_li,"axG",@progbits,_ZL26rocblas_syr2k_her2k_kernelIlLb0ELb1ELb1ELi32E19rocblas_complex_numIfEPKS1_PS1_EvbiT_T4_T5_S5_lS7_S5_lT6_S5_li,comdat
	.globl	_ZL26rocblas_syr2k_her2k_kernelIlLb0ELb1ELb1ELi32E19rocblas_complex_numIfEPKS1_PS1_EvbiT_T4_T5_S5_lS7_S5_lT6_S5_li ; -- Begin function _ZL26rocblas_syr2k_her2k_kernelIlLb0ELb1ELb1ELi32E19rocblas_complex_numIfEPKS1_PS1_EvbiT_T4_T5_S5_lS7_S5_lT6_S5_li
	.p2align	8
	.type	_ZL26rocblas_syr2k_her2k_kernelIlLb0ELb1ELb1ELi32E19rocblas_complex_numIfEPKS1_PS1_EvbiT_T4_T5_S5_lS7_S5_lT6_S5_li,@function
_ZL26rocblas_syr2k_her2k_kernelIlLb0ELb1ELb1ELi32E19rocblas_complex_numIfEPKS1_PS1_EvbiT_T4_T5_S5_lS7_S5_lT6_S5_li: ; @_ZL26rocblas_syr2k_her2k_kernelIlLb0ELb1ELb1ELi32E19rocblas_complex_numIfEPKS1_PS1_EvbiT_T4_T5_S5_lS7_S5_lT6_S5_li
; %bb.0:
	s_load_b64 s[4:5], s[0:1], 0x10
	s_waitcnt lgkmcnt(0)
	v_cmp_eq_f32_e64 s2, s4, 0
	v_cmp_eq_f32_e64 s3, s5, 0
	s_delay_alu instid0(VALU_DEP_1) | instskip(NEXT) | instid1(SALU_CYCLE_1)
	s_and_b32 s2, s2, s3
	s_and_b32 vcc_lo, exec_lo, s2
	s_cbranch_vccnz .LBB1233_13
; %bb.1:
	s_load_b64 s[6:7], s[0:1], 0x0
	s_lshl_b32 s3, s14, 5
	s_waitcnt lgkmcnt(0)
	s_and_b32 s2, 1, s6
	s_lshl_b32 s6, s13, 5
	s_cmp_eq_u32 s2, 1
	s_cselect_b32 s2, -1, 0
	s_delay_alu instid0(SALU_CYCLE_1) | instskip(SKIP_2) | instid1(SALU_CYCLE_1)
	s_and_b32 s8, s2, exec_lo
	s_cselect_b32 s8, s6, s3
	s_cselect_b32 s9, s3, s6
	s_cmp_gt_i32 s8, s9
	s_cbranch_scc1 .LBB1233_13
; %bb.2:
	s_clause 0x2
	s_load_b64 s[10:11], s[0:1], 0x58
	s_load_b64 s[8:9], s[0:1], 0x8
	s_load_b512 s[16:31], s[0:1], 0x18
	v_and_b32_e32 v14, 0x3ff, v0
	v_bfe_u32 v15, v0, 10, 10
	s_delay_alu instid0(VALU_DEP_2) | instskip(NEXT) | instid1(VALU_DEP_2)
	v_add_nc_u32_e32 v0, s6, v14
	v_add_nc_u32_e32 v2, s3, v15
	s_delay_alu instid0(VALU_DEP_2)
	v_ashrrev_i32_e32 v13, 31, v0
	s_waitcnt lgkmcnt(0)
	s_mul_i32 s1, s15, s11
	s_mul_hi_u32 s11, s15, s10
	v_cmp_lt_i64_e64 s12, s[8:9], 1
	s_mul_i32 s0, s15, s10
	s_add_i32 s1, s11, s1
	s_delay_alu instid0(SALU_CYCLE_1) | instskip(NEXT) | instid1(SALU_CYCLE_1)
	s_lshl_b64 s[0:1], s[0:1], 3
	s_add_u32 s6, s28, s0
	s_addc_u32 s10, s29, s1
	s_and_b32 vcc_lo, exec_lo, s12
	s_cbranch_vccnz .LBB1233_11
; %bb.3:
	v_dual_mov_b32 v1, 0 :: v_dual_lshlrev_b32 v12, 3, v15
	v_ashrrev_i32_e32 v4, 31, v2
	s_ashr_i32 s13, s7, 31
	s_mov_b32 s12, s7
	s_delay_alu instid0(VALU_DEP_2)
	v_dual_mov_b32 v3, v1 :: v_dual_lshlrev_b32 v16, 8, v14
	v_cmp_gt_i64_e64 s0, s[12:13], v[0:1]
	v_mul_lo_u32 v1, v2, s31
	v_mul_lo_u32 v10, v4, s30
	v_mad_u64_u32 v[4:5], null, v2, s30, 0
	v_mad_u64_u32 v[6:7], null, s24, v2, 0
	v_max_i32_e32 v11, v0, v2
	v_cmp_gt_i64_e64 s1, s[12:13], v[2:3]
	v_cndmask_b32_e64 v8, v0, v2, s2
	v_cndmask_b32_e64 v9, v2, v0, s2
	v_add3_u32 v5, v5, v1, v10
	v_cmp_gt_i32_e32 vcc_lo, s7, v11
	v_dual_mov_b32 v3, v7 :: v_dual_add_nc_u32 v18, v16, v12
	v_mov_b32_e32 v1, v13
	s_delay_alu instid0(VALU_DEP_4) | instskip(SKIP_4) | instid1(VALU_DEP_4)
	v_lshlrev_b64 v[4:5], 3, v[4:5]
	v_cmp_le_i32_e64 s2, v9, v8
	v_mad_u64_u32 v[8:9], null, s18, v0, 0
	v_or_b32_e32 v17, 0x2000, v12
	s_mul_hi_u32 s11, s26, s15
	v_mad_u64_u32 v[10:11], null, s25, v2, v[3:4]
	v_add_co_u32 v11, s3, s6, v4
	v_lshlrev_b64 v[3:4], 3, v[0:1]
	v_add_co_ci_u32_e64 v20, s3, s10, v5, s3
	v_mov_b32_e32 v1, v9
	v_mov_b32_e32 v7, v10
	s_mul_i32 s3, s27, s15
	s_mul_i32 s12, s26, s15
	s_add_i32 s13, s11, s3
	v_add_co_u32 v3, s3, v11, v3
	v_lshlrev_b64 v[5:6], 3, v[6:7]
	v_add_co_ci_u32_e64 v4, s3, v20, v4, s3
	v_add_nc_u32_e32 v20, 0x1000, v17
	v_mad_u64_u32 v[9:10], null, s19, v0, v[1:2]
	s_lshl_b64 s[12:13], s[12:13], 3
	s_mul_hi_u32 s11, s20, s15
	v_add_co_u32 v1, s3, s12, v5
	s_delay_alu instid0(VALU_DEP_1) | instskip(SKIP_1) | instid1(VALU_DEP_3)
	v_add_co_ci_u32_e64 v7, s3, s13, v6, s3
	s_mul_i32 s3, s21, s15
	v_lshlrev_b64 v[5:6], 3, v[8:9]
	s_add_i32 s13, s11, s3
	s_mul_i32 s12, s20, s15
	v_lshlrev_b32_e32 v8, 3, v14
	s_lshl_b64 s[12:13], s[12:13], 3
	v_add_nc_u32_e32 v19, v17, v16
	v_add_co_u32 v5, s3, s12, v5
	s_delay_alu instid0(VALU_DEP_1) | instskip(SKIP_1) | instid1(VALU_DEP_1)
	v_add_co_ci_u32_e64 v6, s3, s13, v6, s3
	v_add_co_u32 v1, s3, v1, v8
	v_add_co_ci_u32_e64 v7, s3, 0, v7, s3
	s_delay_alu instid0(VALU_DEP_4) | instskip(NEXT) | instid1(VALU_DEP_1)
	v_add_co_u32 v5, s3, v5, v12
	v_add_co_ci_u32_e64 v6, s3, 0, v6, s3
	s_delay_alu instid0(VALU_DEP_4) | instskip(NEXT) | instid1(VALU_DEP_1)
	;; [unrolled: 3-line block ×5, first 2 shown]
	v_add_co_u32 v7, s3, v8, 4
	v_add_co_ci_u32_e64 v8, s3, 0, v9, s3
	v_add_nc_u32_e32 v1, 0x800, v17
	v_add_nc_u32_e32 v21, 0x1800, v17
	s_and_b32 s11, s2, vcc_lo
	s_mov_b64 s[2:3], 0
	s_branch .LBB1233_5
.LBB1233_4:                             ;   in Loop: Header=BB1233_5 Depth=1
	s_or_b32 exec_lo, exec_lo, s12
	s_add_u32 s2, s2, 32
	s_addc_u32 s3, s3, 0
	v_add_co_u32 v5, vcc_lo, 0x100, v5
	v_cmp_ge_i64_e64 s12, s[2:3], s[8:9]
	v_add_co_ci_u32_e32 v6, vcc_lo, 0, v6, vcc_lo
	v_add_co_u32 v7, vcc_lo, 0x100, v7
	v_add_co_ci_u32_e32 v8, vcc_lo, 0, v8, vcc_lo
	s_delay_alu instid0(VALU_DEP_4)
	s_and_b32 vcc_lo, exec_lo, s12
	s_waitcnt_vscnt null, 0x0
	s_barrier
	buffer_gl0_inv
	s_cbranch_vccnz .LBB1233_11
.LBB1233_5:                             ; =>This Inner Loop Header: Depth=1
	v_add_co_u32 v9, s12, v15, s2
	s_delay_alu instid0(VALU_DEP_1) | instskip(NEXT) | instid1(VALU_DEP_1)
	v_add_co_ci_u32_e64 v10, null, 0, s3, s12
	v_cmp_gt_i64_e32 vcc_lo, s[8:9], v[9:10]
	v_dual_mov_b32 v9, 0 :: v_dual_mov_b32 v10, 0
	s_and_b32 s13, s0, vcc_lo
	s_delay_alu instid0(SALU_CYCLE_1)
	s_and_saveexec_b32 s12, s13
	s_cbranch_execz .LBB1233_7
; %bb.6:                                ;   in Loop: Header=BB1233_5 Depth=1
	global_load_b64 v[9:10], v[7:8], off offset:-4
	s_waitcnt vmcnt(0)
	v_xor_b32_e32 v10, 0x80000000, v10
.LBB1233_7:                             ;   in Loop: Header=BB1233_5 Depth=1
	s_or_b32 exec_lo, exec_lo, s12
	v_add_co_u32 v11, s12, v14, s2
	s_delay_alu instid0(VALU_DEP_1) | instskip(SKIP_4) | instid1(SALU_CYCLE_1)
	v_add_co_ci_u32_e64 v12, null, 0, s3, s12
	ds_store_b64 v18, v[9:10]
	v_cmp_gt_i64_e32 vcc_lo, s[8:9], v[11:12]
	v_dual_mov_b32 v11, 0 :: v_dual_mov_b32 v12, 0
	s_and_b32 s13, s1, vcc_lo
	s_and_saveexec_b32 s12, s13
	s_cbranch_execz .LBB1233_9
; %bb.8:                                ;   in Loop: Header=BB1233_5 Depth=1
	global_load_b64 v[11:12], v[5:6], off offset:-4
.LBB1233_9:                             ;   in Loop: Header=BB1233_5 Depth=1
	s_or_b32 exec_lo, exec_lo, s12
	s_waitcnt vmcnt(0)
	ds_store_b64 v19, v[11:12]
	s_waitcnt lgkmcnt(0)
	s_barrier
	buffer_gl0_inv
	s_and_saveexec_b32 s12, s11
	s_cbranch_execz .LBB1233_4
; %bb.10:                               ;   in Loop: Header=BB1233_5 Depth=1
	global_load_b64 v[9:10], v[3:4], off
	ds_load_2addr_b64 v[22:25], v17 offset1:32
	ds_load_b128 v[26:29], v16
	ds_load_b128 v[30:33], v16 offset:16
	ds_load_b128 v[34:37], v16 offset:32
	;; [unrolled: 1-line block ×3, first 2 shown]
	ds_load_2addr_b64 v[42:45], v17 offset0:64 offset1:96
	ds_load_2addr_b64 v[46:49], v17 offset0:128 offset1:160
	;; [unrolled: 1-line block ×3, first 2 shown]
	ds_load_2addr_b64 v[54:57], v1 offset1:32
	ds_load_b128 v[58:61], v16 offset:64
	ds_load_b128 v[62:65], v16 offset:80
	ds_load_2addr_b64 v[66:69], v1 offset0:64 offset1:96
	ds_load_2addr_b64 v[70:73], v1 offset0:128 offset1:160
	ds_load_b128 v[74:77], v16 offset:96
	ds_load_b128 v[78:81], v16 offset:112
	ds_load_2addr_b64 v[82:85], v1 offset0:192 offset1:224
	ds_load_2addr_b64 v[86:89], v20 offset1:32
	ds_load_b128 v[90:93], v16 offset:128
	ds_load_b128 v[94:97], v16 offset:144
	s_waitcnt lgkmcnt(17)
	v_mul_f32_e32 v12, v22, v27
	v_dual_mul_f32 v11, v23, v27 :: v_dual_mul_f32 v98, v24, v29
	v_mul_f32_e32 v27, v25, v29
	s_waitcnt lgkmcnt(13)
	s_delay_alu instid0(VALU_DEP_3) | instskip(NEXT) | instid1(VALU_DEP_3)
	v_dual_mul_f32 v101, v44, v33 :: v_dual_fmac_f32 v12, v23, v26
	v_fma_f32 v11, v22, v26, -v11
	v_fmac_f32_e32 v98, v25, v28
	v_fma_f32 v99, v24, v28, -v27
	v_mul_f32_e32 v26, v43, v31
	v_dual_mul_f32 v100, v42, v31 :: v_dual_fmac_f32 v101, v45, v32
	v_mul_f32_e32 v27, v45, v33
	s_waitcnt lgkmcnt(12)
	v_dual_mul_f32 v31, v47, v35 :: v_dual_add_f32 v12, 0, v12
	v_dual_mul_f32 v102, v46, v35 :: v_dual_mul_f32 v105, v48, v37
	s_waitcnt lgkmcnt(11)
	v_dual_fmac_f32 v100, v43, v30 :: v_dual_mul_f32 v107, v50, v39
	s_delay_alu instid0(VALU_DEP_3) | instskip(NEXT) | instid1(VALU_DEP_3)
	v_dual_add_f32 v12, v12, v98 :: v_dual_add_f32 v11, 0, v11
	v_fmac_f32_e32 v102, v47, v34
	s_delay_alu instid0(VALU_DEP_3) | instskip(SKIP_3) | instid1(VALU_DEP_4)
	v_dual_mul_f32 v98, v52, v41 :: v_dual_fmac_f32 v107, v51, v38
	v_mul_f32_e32 v33, v49, v37
	v_fma_f32 v103, v42, v30, -v26
	v_fmac_f32_e32 v105, v49, v36
	v_dual_fmac_f32 v98, v53, v40 :: v_dual_add_f32 v11, v11, v99
	s_waitcnt lgkmcnt(9)
	v_dual_add_f32 v12, v12, v100 :: v_dual_mul_f32 v47, v55, v59
	v_fma_f32 v104, v44, v32, -v27
	v_fma_f32 v46, v46, v34, -v31
	s_delay_alu instid0(VALU_DEP_3) | instskip(SKIP_3) | instid1(VALU_DEP_3)
	v_dual_add_f32 v11, v11, v103 :: v_dual_add_f32 v12, v12, v101
	v_dual_mul_f32 v99, v54, v59 :: v_dual_mul_f32 v100, v56, v61
	s_waitcnt lgkmcnt(7)
	v_mul_f32_e32 v59, v67, v63
	v_dual_add_f32 v11, v11, v104 :: v_dual_add_f32 v12, v12, v102
	s_delay_alu instid0(VALU_DEP_3) | instskip(SKIP_1) | instid1(VALU_DEP_3)
	v_dual_mul_f32 v101, v66, v63 :: v_dual_fmac_f32 v100, v57, v60
	v_fma_f32 v106, v48, v36, -v33
	v_dual_add_f32 v11, v11, v46 :: v_dual_add_f32 v12, v12, v105
	v_dual_mul_f32 v42, v51, v39 :: v_dual_mul_f32 v39, v53, v41
	v_mul_f32_e32 v103, v68, v65
	s_delay_alu instid0(VALU_DEP_3) | instskip(NEXT) | instid1(VALU_DEP_3)
	v_dual_fmac_f32 v101, v67, v62 :: v_dual_add_f32 v12, v12, v107
	v_fma_f32 v108, v50, v38, -v42
	v_mul_f32_e32 v48, v57, v61
	v_fma_f32 v63, v54, v58, -v47
	v_dual_fmac_f32 v99, v55, v58 :: v_dual_mul_f32 v54, v69, v65
	v_fma_f32 v104, v66, v62, -v59
	v_add_f32_e32 v11, v11, v106
	s_waitcnt lgkmcnt(5)
	v_dual_mul_f32 v62, v71, v75 :: v_dual_fmac_f32 v103, v69, v64
	v_add_f32_e32 v12, v12, v98
	v_fma_f32 v109, v52, v40, -v39
	v_fma_f32 v105, v68, v64, -v54
	v_dual_mul_f32 v64, v73, v77 :: v_dual_add_f32 v11, v11, v108
	s_delay_alu instid0(VALU_DEP_4)
	v_add_f32_e32 v12, v12, v99
	ds_load_2addr_b64 v[22:25], v20 offset0:64 offset1:96
	s_waitcnt lgkmcnt(4)
	v_dual_mul_f32 v77, v72, v77 :: v_dual_mul_f32 v98, v83, v79
	v_dual_add_f32 v11, v11, v109 :: v_dual_add_f32 v12, v12, v100
	v_fma_f32 v102, v56, v60, -v48
	v_mul_f32_e32 v75, v70, v75
	v_mul_f32_e32 v79, v82, v79
	v_fma_f32 v99, v70, v74, -v62
	v_dual_fmac_f32 v77, v73, v76 :: v_dual_add_f32 v12, v12, v101
	v_dual_mul_f32 v70, v85, v81 :: v_dual_add_f32 v11, v11, v63
	v_fmac_f32_e32 v75, v71, v74
	v_fma_f32 v74, v72, v76, -v64
	v_mul_f32_e32 v76, v84, v81
	v_fma_f32 v81, v82, v78, -v98
	s_waitcnt lgkmcnt(2)
	v_dual_fmac_f32 v79, v83, v78 :: v_dual_mul_f32 v82, v86, v91
	v_fma_f32 v78, v84, v80, -v70
	v_add_f32_e32 v12, v12, v103
	v_dual_mul_f32 v84, v89, v93 :: v_dual_add_f32 v11, v11, v102
	ds_load_2addr_b64 v[26:29], v20 offset0:128 offset1:160
	v_fmac_f32_e32 v76, v85, v80
	v_add_f32_e32 v12, v12, v75
	ds_load_b128 v[30:33], v16 offset:160
	ds_load_b128 v[34:37], v16 offset:176
	v_add_f32_e32 v11, v11, v104
	s_waitcnt lgkmcnt(3)
	v_mul_f32_e32 v85, v23, v95
	v_dual_mul_f32 v80, v87, v91 :: v_dual_mul_f32 v83, v88, v93
	v_add_f32_e32 v12, v12, v77
	v_add_f32_e32 v11, v11, v105
	v_dual_mul_f32 v91, v22, v95 :: v_dual_fmac_f32 v82, v87, v90
	ds_load_2addr_b64 v[38:41], v20 offset0:192 offset1:224
	v_add_f32_e32 v12, v12, v79
	v_add_f32_e32 v11, v11, v99
	ds_load_2addr_b64 v[42:45], v21 offset1:32
	ds_load_b128 v[46:49], v16 offset:192
	ds_load_b128 v[50:53], v16 offset:208
	ds_load_2addr_b64 v[54:57], v21 offset0:64 offset1:96
	v_add_f32_e32 v12, v12, v76
	v_fmac_f32_e32 v83, v89, v92
	v_fmac_f32_e32 v91, v23, v94
	v_fma_f32 v79, v86, v90, -v80
	s_waitcnt lgkmcnt(6)
	v_mul_f32_e32 v95, v27, v31
	v_dual_mul_f32 v31, v26, v31 :: v_dual_add_f32 v12, v12, v82
	v_mul_f32_e32 v77, v29, v33
	v_fma_f32 v80, v88, v92, -v84
	v_mul_f32_e32 v75, v25, v97
	s_delay_alu instid0(VALU_DEP_4)
	v_dual_fmac_f32 v31, v27, v30 :: v_dual_add_f32 v12, v12, v83
	v_add_f32_e32 v11, v11, v74
	v_mul_f32_e32 v93, v24, v97
	v_fma_f32 v22, v22, v94, -v85
	ds_load_2addr_b64 v[58:61], v21 offset0:128 offset1:160
	v_dual_add_f32 v12, v12, v91 :: v_dual_add_f32 v11, v11, v81
	ds_load_b128 v[62:65], v16 offset:224
	ds_load_b128 v[66:69], v16 offset:240
	ds_load_2addr_b64 v[70:73], v21 offset0:192 offset1:224
	s_waitcnt lgkmcnt(8)
	v_mul_f32_e32 v74, v39, v35
	v_fma_f32 v24, v24, v96, -v75
	v_add_f32_e32 v11, v11, v78
	s_waitcnt lgkmcnt(6)
	v_dual_mul_f32 v78, v43, v47 :: v_dual_fmac_f32 v93, v25, v96
	v_mul_f32_e32 v33, v28, v33
	v_mul_f32_e32 v35, v38, v35
	v_dual_add_f32 v11, v11, v79 :: v_dual_mul_f32 v76, v41, v37
	s_delay_alu instid0(VALU_DEP_4) | instskip(SKIP_2) | instid1(VALU_DEP_4)
	v_add_f32_e32 v12, v12, v93
	v_fma_f32 v26, v26, v30, -v95
	v_fma_f32 v27, v28, v32, -v77
	v_add_f32_e32 v11, v11, v80
	v_mul_f32_e32 v37, v40, v37
	v_dual_add_f32 v12, v12, v31 :: v_dual_fmac_f32 v35, v39, v34
	v_fma_f32 v28, v38, v34, -v74
	s_waitcnt lgkmcnt(4)
	v_dual_add_f32 v11, v11, v22 :: v_dual_mul_f32 v22, v54, v51
	v_fmac_f32_e32 v33, v29, v32
	v_mul_f32_e32 v47, v42, v47
	v_mul_f32_e32 v23, v44, v49
	s_delay_alu instid0(VALU_DEP_4)
	v_add_f32_e32 v11, v11, v24
	v_fma_f32 v29, v40, v36, -v76
	v_add_f32_e32 v12, v12, v33
	v_mul_f32_e32 v81, v45, v49
	v_fmac_f32_e32 v47, v43, v46
	v_add_f32_e32 v11, v11, v26
	v_fmac_f32_e32 v22, v55, v50
	v_dual_add_f32 v12, v12, v35 :: v_dual_fmac_f32 v23, v45, v48
	s_delay_alu instid0(VALU_DEP_3) | instskip(SKIP_3) | instid1(VALU_DEP_4)
	v_dual_mul_f32 v26, v56, v53 :: v_dual_add_f32 v11, v11, v27
	v_fma_f32 v30, v42, v46, -v78
	v_fma_f32 v31, v44, v48, -v81
	v_mul_f32_e32 v24, v57, v53
	v_fmac_f32_e32 v26, v57, v52
	s_waitcnt lgkmcnt(2)
	v_dual_add_f32 v11, v11, v28 :: v_dual_mul_f32 v28, v58, v63
	v_fmac_f32_e32 v37, v41, v36
	v_fma_f32 v24, v56, v52, -v24
	s_delay_alu instid0(VALU_DEP_3) | instskip(NEXT) | instid1(VALU_DEP_4)
	v_add_f32_e32 v11, v11, v29
	v_fmac_f32_e32 v28, v59, v62
	s_delay_alu instid0(VALU_DEP_4) | instskip(SKIP_1) | instid1(VALU_DEP_2)
	v_add_f32_e32 v12, v12, v37
	v_mul_f32_e32 v29, v61, v65
	v_dual_add_f32 v11, v11, v30 :: v_dual_add_f32 v12, v12, v47
	s_delay_alu instid0(VALU_DEP_1) | instskip(NEXT) | instid1(VALU_DEP_2)
	v_add_f32_e32 v11, v11, v31
	v_add_f32_e32 v12, v12, v23
	v_mul_f32_e32 v25, v55, v51
	v_mul_f32_e32 v23, v60, v65
	s_delay_alu instid0(VALU_DEP_3) | instskip(NEXT) | instid1(VALU_DEP_3)
	v_add_f32_e32 v12, v12, v22
	v_fma_f32 v25, v54, v50, -v25
	s_waitcnt lgkmcnt(0)
	s_delay_alu instid0(VALU_DEP_3) | instskip(NEXT) | instid1(VALU_DEP_2)
	v_dual_fmac_f32 v23, v61, v64 :: v_dual_mul_f32 v22, v71, v67
	v_dual_add_f32 v12, v12, v26 :: v_dual_add_f32 v11, v11, v25
	v_mul_f32_e32 v25, v70, v67
	s_delay_alu instid0(VALU_DEP_3) | instskip(NEXT) | instid1(VALU_DEP_3)
	v_fma_f32 v22, v70, v66, -v22
	v_add_f32_e32 v12, v12, v28
	s_delay_alu instid0(VALU_DEP_4) | instskip(NEXT) | instid1(VALU_DEP_2)
	v_dual_add_f32 v11, v11, v24 :: v_dual_mul_f32 v24, v72, v69
	v_dual_fmac_f32 v25, v71, v66 :: v_dual_add_f32 v12, v12, v23
	v_mul_f32_e32 v23, v73, v69
	s_delay_alu instid0(VALU_DEP_3) | instskip(NEXT) | instid1(VALU_DEP_3)
	v_fmac_f32_e32 v24, v73, v68
	v_dual_add_f32 v12, v12, v25 :: v_dual_mul_f32 v27, v59, v63
	s_delay_alu instid0(VALU_DEP_3) | instskip(NEXT) | instid1(VALU_DEP_2)
	v_fma_f32 v23, v72, v68, -v23
	v_add_f32_e32 v12, v12, v24
	s_delay_alu instid0(VALU_DEP_3) | instskip(SKIP_1) | instid1(VALU_DEP_2)
	v_fma_f32 v26, v58, v62, -v27
	v_fma_f32 v27, v60, v64, -v29
	v_add_f32_e32 v11, v11, v26
	s_delay_alu instid0(VALU_DEP_1) | instskip(NEXT) | instid1(VALU_DEP_1)
	v_add_f32_e32 v11, v11, v27
	v_dual_add_f32 v11, v11, v22 :: v_dual_mul_f32 v22, s5, v12
	s_delay_alu instid0(VALU_DEP_1) | instskip(NEXT) | instid1(VALU_DEP_1)
	v_dual_mul_f32 v12, s4, v12 :: v_dual_add_f32 v11, v11, v23
	v_fma_f32 v22, s4, v11, -v22
	s_waitcnt vmcnt(0)
	s_delay_alu instid0(VALU_DEP_1) | instskip(NEXT) | instid1(VALU_DEP_1)
	v_dual_fmac_f32 v12, s5, v11 :: v_dual_add_f32 v9, v9, v22
	v_add_f32_e32 v10, v10, v12
	global_store_b64 v[3:4], v[9:10], off
	s_branch .LBB1233_4
.LBB1233_11:
	v_cmp_eq_u32_e32 vcc_lo, v0, v2
	v_cmp_gt_i32_e64 s0, s7, v0
	s_delay_alu instid0(VALU_DEP_1) | instskip(NEXT) | instid1(SALU_CYCLE_1)
	s_and_b32 s0, vcc_lo, s0
	s_and_saveexec_b32 s1, s0
	s_cbranch_execz .LBB1233_13
; %bb.12:
	v_mul_lo_u32 v1, v0, s31
	v_mul_lo_u32 v4, v13, s30
	v_mad_u64_u32 v[2:3], null, v0, s30, 0
	s_delay_alu instid0(VALU_DEP_1) | instskip(SKIP_1) | instid1(VALU_DEP_2)
	v_add3_u32 v3, v3, v1, v4
	v_mov_b32_e32 v1, v13
	v_lshlrev_b64 v[2:3], 3, v[2:3]
	s_delay_alu instid0(VALU_DEP_2) | instskip(NEXT) | instid1(VALU_DEP_2)
	v_lshlrev_b64 v[0:1], 3, v[0:1]
	v_add_co_u32 v2, vcc_lo, s6, v2
	s_delay_alu instid0(VALU_DEP_3) | instskip(NEXT) | instid1(VALU_DEP_2)
	v_add_co_ci_u32_e32 v3, vcc_lo, s10, v3, vcc_lo
	v_add_co_u32 v0, vcc_lo, v2, v0
	v_mov_b32_e32 v2, 0
	s_delay_alu instid0(VALU_DEP_3)
	v_add_co_ci_u32_e32 v1, vcc_lo, v3, v1, vcc_lo
	global_store_b32 v[0:1], v2, off offset:4
.LBB1233_13:
	s_nop 0
	s_sendmsg sendmsg(MSG_DEALLOC_VGPRS)
	s_endpgm
	.section	.rodata,"a",@progbits
	.p2align	6, 0x0
	.amdhsa_kernel _ZL26rocblas_syr2k_her2k_kernelIlLb0ELb1ELb1ELi32E19rocblas_complex_numIfEPKS1_PS1_EvbiT_T4_T5_S5_lS7_S5_lT6_S5_li
		.amdhsa_group_segment_fixed_size 16384
		.amdhsa_private_segment_fixed_size 0
		.amdhsa_kernarg_size 100
		.amdhsa_user_sgpr_count 13
		.amdhsa_user_sgpr_dispatch_ptr 0
		.amdhsa_user_sgpr_queue_ptr 0
		.amdhsa_user_sgpr_kernarg_segment_ptr 1
		.amdhsa_user_sgpr_dispatch_id 0
		.amdhsa_user_sgpr_private_segment_size 0
		.amdhsa_wavefront_size32 1
		.amdhsa_uses_dynamic_stack 0
		.amdhsa_enable_private_segment 0
		.amdhsa_system_sgpr_workgroup_id_x 1
		.amdhsa_system_sgpr_workgroup_id_y 1
		.amdhsa_system_sgpr_workgroup_id_z 1
		.amdhsa_system_sgpr_workgroup_info 0
		.amdhsa_system_vgpr_workitem_id 1
		.amdhsa_next_free_vgpr 110
		.amdhsa_next_free_sgpr 32
		.amdhsa_reserve_vcc 1
		.amdhsa_float_round_mode_32 0
		.amdhsa_float_round_mode_16_64 0
		.amdhsa_float_denorm_mode_32 3
		.amdhsa_float_denorm_mode_16_64 3
		.amdhsa_dx10_clamp 1
		.amdhsa_ieee_mode 1
		.amdhsa_fp16_overflow 0
		.amdhsa_workgroup_processor_mode 1
		.amdhsa_memory_ordered 1
		.amdhsa_forward_progress 0
		.amdhsa_shared_vgpr_count 0
		.amdhsa_exception_fp_ieee_invalid_op 0
		.amdhsa_exception_fp_denorm_src 0
		.amdhsa_exception_fp_ieee_div_zero 0
		.amdhsa_exception_fp_ieee_overflow 0
		.amdhsa_exception_fp_ieee_underflow 0
		.amdhsa_exception_fp_ieee_inexact 0
		.amdhsa_exception_int_div_zero 0
	.end_amdhsa_kernel
	.section	.text._ZL26rocblas_syr2k_her2k_kernelIlLb0ELb1ELb1ELi32E19rocblas_complex_numIfEPKS1_PS1_EvbiT_T4_T5_S5_lS7_S5_lT6_S5_li,"axG",@progbits,_ZL26rocblas_syr2k_her2k_kernelIlLb0ELb1ELb1ELi32E19rocblas_complex_numIfEPKS1_PS1_EvbiT_T4_T5_S5_lS7_S5_lT6_S5_li,comdat
.Lfunc_end1233:
	.size	_ZL26rocblas_syr2k_her2k_kernelIlLb0ELb1ELb1ELi32E19rocblas_complex_numIfEPKS1_PS1_EvbiT_T4_T5_S5_lS7_S5_lT6_S5_li, .Lfunc_end1233-_ZL26rocblas_syr2k_her2k_kernelIlLb0ELb1ELb1ELi32E19rocblas_complex_numIfEPKS1_PS1_EvbiT_T4_T5_S5_lS7_S5_lT6_S5_li
                                        ; -- End function
	.section	.AMDGPU.csdata,"",@progbits
; Kernel info:
; codeLenInByte = 2456
; NumSgprs: 34
; NumVgprs: 110
; ScratchSize: 0
; MemoryBound: 0
; FloatMode: 240
; IeeeMode: 1
; LDSByteSize: 16384 bytes/workgroup (compile time only)
; SGPRBlocks: 4
; VGPRBlocks: 13
; NumSGPRsForWavesPerEU: 34
; NumVGPRsForWavesPerEU: 110
; Occupancy: 12
; WaveLimiterHint : 1
; COMPUTE_PGM_RSRC2:SCRATCH_EN: 0
; COMPUTE_PGM_RSRC2:USER_SGPR: 13
; COMPUTE_PGM_RSRC2:TRAP_HANDLER: 0
; COMPUTE_PGM_RSRC2:TGID_X_EN: 1
; COMPUTE_PGM_RSRC2:TGID_Y_EN: 1
; COMPUTE_PGM_RSRC2:TGID_Z_EN: 1
; COMPUTE_PGM_RSRC2:TIDIG_COMP_CNT: 1
	.section	.text._ZL37rocblas_syrkx_herkx_restricted_kernelIl19rocblas_complex_numIfELi16ELi32ELi8ELi1ELi1ELb1ELc84ELc76EKS1_S1_EviT_PT9_S3_lS5_S3_lPT10_S3_li,"axG",@progbits,_ZL37rocblas_syrkx_herkx_restricted_kernelIl19rocblas_complex_numIfELi16ELi32ELi8ELi1ELi1ELb1ELc84ELc76EKS1_S1_EviT_PT9_S3_lS5_S3_lPT10_S3_li,comdat
	.globl	_ZL37rocblas_syrkx_herkx_restricted_kernelIl19rocblas_complex_numIfELi16ELi32ELi8ELi1ELi1ELb1ELc84ELc76EKS1_S1_EviT_PT9_S3_lS5_S3_lPT10_S3_li ; -- Begin function _ZL37rocblas_syrkx_herkx_restricted_kernelIl19rocblas_complex_numIfELi16ELi32ELi8ELi1ELi1ELb1ELc84ELc76EKS1_S1_EviT_PT9_S3_lS5_S3_lPT10_S3_li
	.p2align	8
	.type	_ZL37rocblas_syrkx_herkx_restricted_kernelIl19rocblas_complex_numIfELi16ELi32ELi8ELi1ELi1ELb1ELc84ELc76EKS1_S1_EviT_PT9_S3_lS5_S3_lPT10_S3_li,@function
_ZL37rocblas_syrkx_herkx_restricted_kernelIl19rocblas_complex_numIfELi16ELi32ELi8ELi1ELi1ELb1ELc84ELc76EKS1_S1_EviT_PT9_S3_lS5_S3_lPT10_S3_li: ; @_ZL37rocblas_syrkx_herkx_restricted_kernelIl19rocblas_complex_numIfELi16ELi32ELi8ELi1ELi1ELb1ELc84ELc76EKS1_S1_EviT_PT9_S3_lS5_S3_lPT10_S3_li
; %bb.0:
	s_load_b512 s[16:31], s[0:1], 0x8
	v_dual_mov_b32 v15, 0 :: v_dual_mov_b32 v16, 0
	v_dual_mov_b32 v13, 0 :: v_dual_mov_b32 v12, 0
	;; [unrolled: 1-line block ×3, first 2 shown]
	v_dual_mov_b32 v7, 0 :: v_dual_and_b32 v6, 0x3ff, v0
	v_bfe_u32 v8, v0, 10, 10
	v_mov_b32_e32 v1, 0
	s_lshl_b32 s8, s13, 5
	s_lshl_b32 s9, s14, 5
	s_waitcnt lgkmcnt(0)
	v_cmp_lt_i64_e64 s2, s[16:17], 1
	s_delay_alu instid0(VALU_DEP_1)
	s_and_b32 vcc_lo, exec_lo, s2
	s_cbranch_vccnz .LBB1234_3
; %bb.1:
	v_lshl_add_u32 v2, v8, 4, v6
	v_dual_mov_b32 v1, 0 :: v_dual_and_b32 v0, 7, v6
	s_mul_i32 s3, s23, s15
	s_mul_hi_u32 s4, s22, s15
	s_delay_alu instid0(VALU_DEP_2) | instskip(SKIP_3) | instid1(VALU_DEP_4)
	v_and_b32_e32 v7, 31, v2
	v_lshrrev_b32_e32 v12, 3, v2
	v_lshrrev_b32_e32 v2, 5, v2
	v_dual_mov_b32 v3, v1 :: v_dual_lshlrev_b32 v14, 3, v0
	v_add_nc_u32_e32 v9, s8, v7
	s_delay_alu instid0(VALU_DEP_4)
	v_add_nc_u32_e32 v13, s9, v12
	s_mul_i32 s2, s22, s15
	s_add_i32 s3, s4, s3
	s_mul_hi_u32 s5, s28, s15
	v_ashrrev_i32_e32 v10, 31, v9
	v_ashrrev_i32_e32 v15, 31, v13
	v_mad_u64_u32 v[4:5], null, s20, v9, v[2:3]
	v_mul_lo_u32 v3, s21, v9
	s_delay_alu instid0(VALU_DEP_4)
	v_mul_lo_u32 v16, s20, v10
	v_mul_lo_u32 v17, v13, s27
	v_mad_u64_u32 v[9:10], null, v13, s26, v[0:1]
	v_mul_lo_u32 v13, v15, s26
	v_lshlrev_b32_e32 v0, 3, v7
	v_lshl_or_b32 v7, v12, 6, v14
	s_lshl_b64 s[2:3], s[2:3], 3
	v_add3_u32 v5, v3, v5, v16
	s_add_u32 s4, s18, s2
	s_mul_i32 s2, s29, s15
	v_add_nc_u32_e32 v14, 0x800, v7
	v_add3_u32 v10, v13, v10, v17
	v_mov_b32_e32 v7, v1
	v_lshl_or_b32 v0, v2, 8, v0
	v_lshlrev_b64 v[2:3], 3, v[4:5]
	s_addc_u32 s6, s19, s3
	s_add_i32 s3, s5, s2
	s_mul_i32 s2, s28, s15
	v_lshlrev_b64 v[4:5], 3, v[9:10]
	v_mov_b32_e32 v9, v1
	s_lshl_b64 s[2:3], s[2:3], 3
	v_add_co_u32 v2, vcc_lo, s4, v2
	s_add_u32 s2, s24, s2
	v_add_co_ci_u32_e32 v3, vcc_lo, s6, v3, vcc_lo
	s_addc_u32 s3, s25, s3
	v_add_co_u32 v4, vcc_lo, s2, v4
	v_add_co_ci_u32_e32 v5, vcc_lo, s3, v5, vcc_lo
	v_add_co_u32 v2, vcc_lo, v2, 4
	v_add_co_ci_u32_e32 v3, vcc_lo, 0, v3, vcc_lo
	s_delay_alu instid0(VALU_DEP_4)
	v_add_co_u32 v4, vcc_lo, v4, 4
	v_dual_mov_b32 v10, v1 :: v_dual_lshlrev_b32 v11, 3, v6
	v_lshl_add_u32 v17, v8, 6, 0x800
	v_add_co_ci_u32_e32 v5, vcc_lo, 0, v5, vcc_lo
	v_mov_b32_e32 v12, v1
	v_mov_b32_e32 v13, v1
	;; [unrolled: 1-line block ×4, first 2 shown]
	s_mov_b64 s[2:3], 0
.LBB1234_2:                             ; =>This Inner Loop Header: Depth=1
	global_load_b64 v[18:19], v[2:3], off offset:-4
	global_load_b64 v[20:21], v[4:5], off offset:-4
	s_add_u32 s2, s2, 8
	v_add_co_u32 v2, vcc_lo, v2, 64
	s_addc_u32 s3, s3, 0
	v_add_co_ci_u32_e32 v3, vcc_lo, 0, v3, vcc_lo
	v_cmp_ge_u64_e64 s4, s[2:3], s[16:17]
	v_add_co_u32 v4, vcc_lo, v4, 64
	v_add_co_ci_u32_e32 v5, vcc_lo, 0, v5, vcc_lo
	s_waitcnt vmcnt(1)
	ds_store_b64 v0, v[18:19]
	s_waitcnt vmcnt(0)
	ds_store_b64 v14, v[20:21]
	s_waitcnt lgkmcnt(0)
	s_barrier
	buffer_gl0_inv
	ds_load_2addr_b64 v[18:21], v11 offset1:16
	ds_load_b128 v[22:25], v17
	ds_load_b128 v[26:29], v17 offset:1024
	ds_load_b128 v[30:33], v17 offset:16
	ds_load_b128 v[34:37], v17 offset:32
	ds_load_b128 v[38:41], v17 offset:48
	ds_load_2addr_b64 v[42:45], v11 offset0:32 offset1:48
	ds_load_2addr_b64 v[46:49], v11 offset0:64 offset1:80
	ds_load_b128 v[50:53], v17 offset:1040
	ds_load_2addr_b64 v[54:57], v11 offset0:96 offset1:112
	ds_load_2addr_b64 v[58:61], v11 offset0:128 offset1:144
	;; [unrolled: 1-line block ×4, first 2 shown]
	ds_load_b128 v[70:73], v17 offset:1056
	ds_load_b128 v[74:77], v17 offset:1072
	ds_load_2addr_b64 v[78:81], v11 offset0:224 offset1:240
	s_and_b32 vcc_lo, exec_lo, s4
	s_waitcnt lgkmcnt(0)
	s_barrier
	buffer_gl0_inv
	v_dual_mul_f32 v82, v23, v19 :: v_dual_mul_f32 v85, v22, v21
	v_dual_mul_f32 v83, v22, v19 :: v_dual_mul_f32 v84, v23, v21
	v_mul_f32_e32 v86, v27, v19
	v_dual_mul_f32 v19, v26, v19 :: v_dual_mul_f32 v90, v25, v45
	v_dual_mul_f32 v87, v27, v21 :: v_dual_mul_f32 v88, v25, v43
	v_mul_f32_e32 v21, v26, v21
	v_fma_f32 v82, v22, v18, -v82
	v_fmac_f32_e32 v83, v23, v18
	v_fma_f32 v22, v22, v20, -v84
	v_fmac_f32_e32 v85, v23, v20
	v_fma_f32 v23, v26, v18, -v86
	v_dual_fmac_f32 v19, v27, v18 :: v_dual_mul_f32 v86, v30, v47
	v_fma_f32 v18, v26, v20, -v87
	v_dual_fmac_f32 v21, v27, v20 :: v_dual_mul_f32 v20, v24, v45
	v_mul_f32_e32 v89, v24, v43
	v_mul_f32_e32 v26, v29, v43
	;; [unrolled: 1-line block ×4, first 2 shown]
	v_fmac_f32_e32 v20, v25, v44
	v_fmac_f32_e32 v89, v25, v42
	v_dual_mul_f32 v25, v28, v45 :: v_dual_fmac_f32 v86, v31, v46
	v_fma_f32 v84, v24, v42, -v88
	v_fma_f32 v24, v24, v44, -v90
	v_dual_mul_f32 v45, v31, v47 :: v_dual_mul_f32 v90, v33, v57
	v_fma_f32 v26, v28, v42, -v26
	v_fma_f32 v28, v28, v44, -v43
	v_fmac_f32_e32 v25, v29, v44
	v_dual_mul_f32 v43, v50, v47 :: v_dual_mul_f32 v44, v51, v49
	v_dual_fmac_f32 v27, v29, v42 :: v_dual_mul_f32 v42, v51, v47
	v_dual_mul_f32 v88, v32, v55 :: v_dual_mul_f32 v29, v30, v49
	v_mul_f32_e32 v87, v31, v49
	v_fma_f32 v45, v30, v46, -v45
	v_add_f32_e32 v16, v16, v83
	s_delay_alu instid0(VALU_DEP_4)
	v_dual_fmac_f32 v88, v33, v54 :: v_dual_fmac_f32 v29, v31, v48
	v_fma_f32 v31, v50, v46, -v42
	v_fma_f32 v42, v50, v48, -v44
	v_mul_f32_e32 v44, v32, v57
	v_mul_f32_e32 v47, v50, v49
	v_dual_mul_f32 v50, v53, v57 :: v_dual_fmac_f32 v43, v51, v46
	v_mul_f32_e32 v46, v53, v55
	v_mul_f32_e32 v49, v33, v55
	v_fma_f32 v30, v30, v48, -v87
	v_fmac_f32_e32 v44, v33, v56
	v_dual_fmac_f32 v47, v51, v48 :: v_dual_mul_f32 v48, v52, v55
	v_mul_f32_e32 v33, v52, v57
	v_fma_f32 v46, v52, v54, -v46
	v_fma_f32 v50, v52, v56, -v50
	v_mul_f32_e32 v52, v34, v61
	v_fma_f32 v49, v32, v54, -v49
	v_fma_f32 v32, v32, v56, -v90
	v_dual_mul_f32 v51, v35, v59 :: v_dual_fmac_f32 v48, v53, v54
	v_mul_f32_e32 v54, v70, v59
	v_dual_mul_f32 v55, v34, v59 :: v_dual_fmac_f32 v52, v35, v60
	v_fmac_f32_e32 v33, v53, v56
	v_mul_f32_e32 v53, v71, v59
	v_mul_f32_e32 v56, v71, v61
	;; [unrolled: 1-line block ×3, first 2 shown]
	v_fmac_f32_e32 v54, v71, v58
	v_fmac_f32_e32 v55, v35, v58
	v_fma_f32 v35, v70, v58, -v53
	v_fma_f32 v53, v70, v60, -v56
	v_mul_f32_e32 v56, v36, v65
	v_mul_f32_e32 v59, v70, v61
	v_fma_f32 v51, v34, v58, -v51
	v_mul_f32_e32 v58, v72, v63
	v_mul_f32_e32 v87, v36, v63
	;; [unrolled: 1-line block ×4, first 2 shown]
	v_fma_f32 v34, v34, v60, -v57
	v_mul_f32_e32 v57, v73, v63
	v_fmac_f32_e32 v56, v37, v64
	v_dual_fmac_f32 v59, v71, v60 :: v_dual_mul_f32 v60, v73, v65
	v_mul_f32_e32 v63, v39, v67
	v_mul_f32_e32 v70, v39, v69
	v_fmac_f32_e32 v58, v73, v62
	v_fmac_f32_e32 v87, v37, v62
	v_mul_f32_e32 v37, v72, v65
	v_fma_f32 v61, v36, v62, -v61
	v_fma_f32 v36, v36, v64, -v90
	v_mul_f32_e32 v65, v38, v67
	v_fma_f32 v57, v72, v62, -v57
	v_fma_f32 v60, v72, v64, -v60
	v_dual_fmac_f32 v37, v73, v64 :: v_dual_mul_f32 v62, v38, v69
	v_mul_f32_e32 v64, v75, v67
	v_fma_f32 v63, v38, v66, -v63
	v_fma_f32 v38, v38, v68, -v70
	v_mul_f32_e32 v70, v76, v79
	v_mul_f32_e32 v67, v74, v67
	v_dual_mul_f32 v71, v75, v69 :: v_dual_add_f32 v10, v10, v19
	v_dual_fmac_f32 v65, v39, v66 :: v_dual_add_f32 v12, v12, v85
	s_delay_alu instid0(VALU_DEP_4) | instskip(NEXT) | instid1(VALU_DEP_4)
	v_fmac_f32_e32 v70, v77, v78
	v_fmac_f32_e32 v67, v75, v66
	;; [unrolled: 1-line block ×3, first 2 shown]
	v_fma_f32 v39, v74, v66, -v64
	v_fma_f32 v64, v74, v68, -v71
	v_dual_mul_f32 v71, v77, v81 :: v_dual_add_f32 v10, v10, v27
	v_dual_mul_f32 v69, v74, v69 :: v_dual_add_f32 v12, v12, v20
	;; [unrolled: 1-line block ×3, first 2 shown]
	s_delay_alu instid0(VALU_DEP_3)
	v_add_f32_e32 v10, v10, v43
	v_mul_f32_e32 v73, v40, v79
	v_mul_f32_e32 v72, v41, v79
	v_dual_mul_f32 v90, v41, v81 :: v_dual_fmac_f32 v69, v75, v68
	v_add_f32_e32 v16, v16, v89
	v_fmac_f32_e32 v66, v41, v80
	v_dual_add_f32 v10, v10, v48 :: v_dual_fmac_f32 v73, v41, v78
	v_add_f32_e32 v12, v12, v29
	v_mul_f32_e32 v41, v76, v81
	v_add_f32_e32 v16, v16, v86
	s_delay_alu instid0(VALU_DEP_4) | instskip(SKIP_4) | instid1(VALU_DEP_3)
	v_add_f32_e32 v10, v10, v54
	v_add_f32_e32 v13, v13, v22
	v_dual_add_f32 v9, v9, v23 :: v_dual_add_f32 v12, v12, v44
	v_fmac_f32_e32 v41, v77, v80
	v_dual_add_f32 v16, v16, v88 :: v_dual_add_f32 v7, v7, v18
	v_dual_add_f32 v1, v1, v21 :: v_dual_add_f32 v12, v12, v52
	v_dual_add_f32 v13, v13, v24 :: v_dual_add_f32 v10, v10, v58
	s_delay_alu instid0(VALU_DEP_3) | instskip(NEXT) | instid1(VALU_DEP_3)
	v_dual_add_f32 v16, v16, v55 :: v_dual_add_f32 v15, v15, v84
	v_dual_add_f32 v9, v9, v26 :: v_dual_add_f32 v12, v12, v56
	s_delay_alu instid0(VALU_DEP_2) | instskip(SKIP_1) | instid1(VALU_DEP_4)
	v_dual_add_f32 v1, v1, v25 :: v_dual_add_f32 v16, v16, v87
	v_add_f32_e32 v7, v7, v28
	v_dual_add_f32 v15, v15, v45 :: v_dual_add_f32 v10, v10, v67
	s_delay_alu instid0(VALU_DEP_4) | instskip(NEXT) | instid1(VALU_DEP_4)
	v_dual_add_f32 v12, v12, v62 :: v_dual_add_f32 v9, v9, v31
	v_dual_add_f32 v1, v1, v47 :: v_dual_add_f32 v16, v16, v65
	s_delay_alu instid0(VALU_DEP_3)
	v_add_f32_e32 v10, v10, v70
	v_add_f32_e32 v13, v13, v30
	v_add_f32_e32 v7, v7, v42
	v_add_f32_e32 v15, v15, v49
	v_add_f32_e32 v16, v16, v73
	v_add_f32_e32 v1, v1, v33
	v_add_f32_e32 v13, v13, v32
	v_add_f32_e32 v7, v7, v50
	v_add_f32_e32 v12, v12, v66
	v_add_f32_e32 v9, v9, v46
	v_add_f32_e32 v15, v15, v51
	v_add_f32_e32 v13, v13, v34
	v_add_f32_e32 v7, v7, v53
	v_add_f32_e32 v1, v1, v59
	v_add_f32_e32 v9, v9, v35
	v_dual_mul_f32 v68, v77, v79 :: v_dual_add_f32 v15, v15, v61
	v_add_f32_e32 v13, v13, v36
	v_add_f32_e32 v7, v7, v60
	s_delay_alu instid0(VALU_DEP_4)
	v_add_f32_e32 v9, v9, v57
	v_add_f32_e32 v1, v1, v37
	v_fma_f32 v72, v40, v78, -v72
	v_fma_f32 v40, v40, v80, -v90
	;; [unrolled: 1-line block ×4, first 2 shown]
	v_add_f32_e32 v15, v15, v63
	v_add_f32_e32 v13, v13, v38
	;; [unrolled: 1-line block ×10, first 2 shown]
	s_cbranch_vccz .LBB1234_2
.LBB1234_3:
	s_load_b128 s[4:7], s[0:1], 0x48
	v_add_nc_u32_e32 v0, s9, v8
	s_load_b32 s9, s[0:1], 0x0
	s_delay_alu instid0(VALU_DEP_1) | instskip(SKIP_1) | instid1(VALU_DEP_1)
	v_ashrrev_i32_e32 v2, 31, v0
	s_waitcnt lgkmcnt(0)
	v_mul_lo_u32 v5, v2, s4
	v_mul_lo_u32 v8, v0, s5
	v_mad_u64_u32 v[3:4], null, v0, s4, 0
	s_mul_i32 s1, s15, s7
	s_mul_hi_u32 s3, s15, s6
	s_mul_i32 s2, s15, s6
	s_add_i32 s3, s3, s1
	v_add_nc_u32_e32 v2, s8, v6
	s_lshl_b64 s[2:3], s[2:3], 3
	s_delay_alu instid0(VALU_DEP_2)
	v_add3_u32 v4, v4, v8, v5
	s_add_u32 s2, s30, s2
	s_addc_u32 s3, s31, s3
	v_cmp_le_i32_e64 s0, v0, v2
	v_cmp_gt_i32_e32 vcc_lo, s9, v2
	v_lshlrev_b64 v[3:4], 3, v[3:4]
	s_delay_alu instid0(VALU_DEP_3) | instskip(NEXT) | instid1(VALU_DEP_1)
	s_and_b32 s0, s0, vcc_lo
	v_add_co_u32 v6, s1, s2, v3
	s_delay_alu instid0(VALU_DEP_1)
	v_add_co_ci_u32_e64 v8, s1, s3, v4, s1
	s_and_saveexec_b32 s1, s0
	s_cbranch_execz .LBB1234_6
; %bb.4:
	v_ashrrev_i32_e32 v3, 31, v2
	s_delay_alu instid0(VALU_DEP_1) | instskip(NEXT) | instid1(VALU_DEP_1)
	v_lshlrev_b64 v[3:4], 3, v[2:3]
	v_add_co_u32 v3, s0, v6, v3
	s_delay_alu instid0(VALU_DEP_1)
	v_add_co_ci_u32_e64 v4, s0, v8, v4, s0
	v_cmp_eq_u32_e64 s0, v0, v2
	global_load_b64 v[17:18], v[3:4], off
	s_waitcnt vmcnt(0)
	v_dual_add_f32 v14, v15, v17 :: v_dual_add_f32 v15, v16, v18
	global_store_b64 v[3:4], v[14:15], off
	s_and_b32 exec_lo, exec_lo, s0
	s_cbranch_execz .LBB1234_6
; %bb.5:
	v_mov_b32_e32 v5, 0
	global_store_b32 v[3:4], v5, off offset:4
.LBB1234_6:
	s_or_b32 exec_lo, exec_lo, s1
	v_add_nc_u32_e32 v4, 16, v2
	s_delay_alu instid0(VALU_DEP_1) | instskip(SKIP_1) | instid1(VALU_DEP_1)
	v_cmp_le_i32_e64 s1, v0, v4
	v_cmp_gt_i32_e64 s0, s9, v4
	s_and_b32 s1, s1, s0
	s_delay_alu instid0(SALU_CYCLE_1)
	s_and_saveexec_b32 s6, s1
	s_cbranch_execz .LBB1234_9
; %bb.7:
	v_ashrrev_i32_e32 v5, 31, v4
	s_delay_alu instid0(VALU_DEP_1) | instskip(NEXT) | instid1(VALU_DEP_1)
	v_lshlrev_b64 v[14:15], 3, v[4:5]
	v_add_co_u32 v5, s1, v6, v14
	s_delay_alu instid0(VALU_DEP_1)
	v_add_co_ci_u32_e64 v6, s1, v8, v15, s1
	v_cmp_eq_u32_e64 s1, v0, v4
	global_load_b64 v[14:15], v[5:6], off
	s_waitcnt vmcnt(0)
	v_dual_add_f32 v11, v13, v14 :: v_dual_add_f32 v12, v12, v15
	global_store_b64 v[5:6], v[11:12], off
	s_and_b32 exec_lo, exec_lo, s1
	s_cbranch_execz .LBB1234_9
; %bb.8:
	v_mov_b32_e32 v3, 0
	global_store_b32 v[5:6], v3, off offset:4
.LBB1234_9:
	s_or_b32 exec_lo, exec_lo, s6
	v_add_nc_u32_e32 v8, 16, v0
	s_delay_alu instid0(VALU_DEP_1) | instskip(SKIP_3) | instid1(VALU_DEP_4)
	v_ashrrev_i32_e32 v3, 31, v8
	v_mul_lo_u32 v11, v8, s5
	v_mad_u64_u32 v[5:6], null, v8, s4, 0
	v_cmp_le_i32_e64 s1, v8, v2
	v_mul_lo_u32 v3, v3, s4
	s_delay_alu instid0(VALU_DEP_1) | instskip(NEXT) | instid1(VALU_DEP_1)
	v_add3_u32 v6, v6, v11, v3
	v_lshlrev_b64 v[5:6], 3, v[5:6]
	s_delay_alu instid0(VALU_DEP_1) | instskip(NEXT) | instid1(VALU_DEP_1)
	v_add_co_u32 v11, s2, s2, v5
	v_add_co_ci_u32_e64 v12, s2, s3, v6, s2
	s_and_b32 s2, s1, vcc_lo
	s_delay_alu instid0(SALU_CYCLE_1)
	s_and_saveexec_b32 s1, s2
	s_cbranch_execz .LBB1234_12
; %bb.10:
	v_ashrrev_i32_e32 v3, 31, v2
	s_delay_alu instid0(VALU_DEP_1) | instskip(NEXT) | instid1(VALU_DEP_1)
	v_lshlrev_b64 v[5:6], 3, v[2:3]
	v_add_co_u32 v5, vcc_lo, v11, v5
	s_delay_alu instid0(VALU_DEP_2)
	v_add_co_ci_u32_e32 v6, vcc_lo, v12, v6, vcc_lo
	v_cmp_eq_u32_e32 vcc_lo, v8, v2
	global_load_b64 v[13:14], v[5:6], off
	s_waitcnt vmcnt(0)
	v_dual_add_f32 v9, v9, v13 :: v_dual_add_f32 v10, v10, v14
	global_store_b64 v[5:6], v[9:10], off
	s_and_b32 exec_lo, exec_lo, vcc_lo
	s_cbranch_execz .LBB1234_12
; %bb.11:
	v_mov_b32_e32 v3, 0
	global_store_b32 v[5:6], v3, off offset:4
.LBB1234_12:
	s_or_b32 exec_lo, exec_lo, s1
	v_cmp_le_i32_e32 vcc_lo, v8, v4
	s_and_b32 s0, vcc_lo, s0
	s_delay_alu instid0(SALU_CYCLE_1)
	s_and_saveexec_b32 s1, s0
	s_cbranch_execz .LBB1234_15
; %bb.13:
	v_ashrrev_i32_e32 v5, 31, v4
	s_delay_alu instid0(VALU_DEP_1) | instskip(NEXT) | instid1(VALU_DEP_1)
	v_lshlrev_b64 v[3:4], 3, v[4:5]
	v_add_co_u32 v3, vcc_lo, v11, v3
	s_delay_alu instid0(VALU_DEP_2)
	v_add_co_ci_u32_e32 v4, vcc_lo, v12, v4, vcc_lo
	v_cmp_eq_u32_e32 vcc_lo, v0, v2
	global_load_b64 v[5:6], v[3:4], off
	s_waitcnt vmcnt(0)
	v_dual_add_f32 v5, v7, v5 :: v_dual_add_f32 v6, v1, v6
	global_store_b64 v[3:4], v[5:6], off
	s_and_b32 exec_lo, exec_lo, vcc_lo
	s_cbranch_execz .LBB1234_15
; %bb.14:
	v_mov_b32_e32 v0, 0
	global_store_b32 v[3:4], v0, off offset:4
.LBB1234_15:
	s_nop 0
	s_sendmsg sendmsg(MSG_DEALLOC_VGPRS)
	s_endpgm
	.section	.rodata,"a",@progbits
	.p2align	6, 0x0
	.amdhsa_kernel _ZL37rocblas_syrkx_herkx_restricted_kernelIl19rocblas_complex_numIfELi16ELi32ELi8ELi1ELi1ELb1ELc84ELc76EKS1_S1_EviT_PT9_S3_lS5_S3_lPT10_S3_li
		.amdhsa_group_segment_fixed_size 4096
		.amdhsa_private_segment_fixed_size 0
		.amdhsa_kernarg_size 92
		.amdhsa_user_sgpr_count 13
		.amdhsa_user_sgpr_dispatch_ptr 0
		.amdhsa_user_sgpr_queue_ptr 0
		.amdhsa_user_sgpr_kernarg_segment_ptr 1
		.amdhsa_user_sgpr_dispatch_id 0
		.amdhsa_user_sgpr_private_segment_size 0
		.amdhsa_wavefront_size32 1
		.amdhsa_uses_dynamic_stack 0
		.amdhsa_enable_private_segment 0
		.amdhsa_system_sgpr_workgroup_id_x 1
		.amdhsa_system_sgpr_workgroup_id_y 1
		.amdhsa_system_sgpr_workgroup_id_z 1
		.amdhsa_system_sgpr_workgroup_info 0
		.amdhsa_system_vgpr_workitem_id 1
		.amdhsa_next_free_vgpr 91
		.amdhsa_next_free_sgpr 32
		.amdhsa_reserve_vcc 1
		.amdhsa_float_round_mode_32 0
		.amdhsa_float_round_mode_16_64 0
		.amdhsa_float_denorm_mode_32 3
		.amdhsa_float_denorm_mode_16_64 3
		.amdhsa_dx10_clamp 1
		.amdhsa_ieee_mode 1
		.amdhsa_fp16_overflow 0
		.amdhsa_workgroup_processor_mode 1
		.amdhsa_memory_ordered 1
		.amdhsa_forward_progress 0
		.amdhsa_shared_vgpr_count 0
		.amdhsa_exception_fp_ieee_invalid_op 0
		.amdhsa_exception_fp_denorm_src 0
		.amdhsa_exception_fp_ieee_div_zero 0
		.amdhsa_exception_fp_ieee_overflow 0
		.amdhsa_exception_fp_ieee_underflow 0
		.amdhsa_exception_fp_ieee_inexact 0
		.amdhsa_exception_int_div_zero 0
	.end_amdhsa_kernel
	.section	.text._ZL37rocblas_syrkx_herkx_restricted_kernelIl19rocblas_complex_numIfELi16ELi32ELi8ELi1ELi1ELb1ELc84ELc76EKS1_S1_EviT_PT9_S3_lS5_S3_lPT10_S3_li,"axG",@progbits,_ZL37rocblas_syrkx_herkx_restricted_kernelIl19rocblas_complex_numIfELi16ELi32ELi8ELi1ELi1ELb1ELc84ELc76EKS1_S1_EviT_PT9_S3_lS5_S3_lPT10_S3_li,comdat
.Lfunc_end1234:
	.size	_ZL37rocblas_syrkx_herkx_restricted_kernelIl19rocblas_complex_numIfELi16ELi32ELi8ELi1ELi1ELb1ELc84ELc76EKS1_S1_EviT_PT9_S3_lS5_S3_lPT10_S3_li, .Lfunc_end1234-_ZL37rocblas_syrkx_herkx_restricted_kernelIl19rocblas_complex_numIfELi16ELi32ELi8ELi1ELi1ELb1ELc84ELc76EKS1_S1_EviT_PT9_S3_lS5_S3_lPT10_S3_li
                                        ; -- End function
	.section	.AMDGPU.csdata,"",@progbits
; Kernel info:
; codeLenInByte = 2288
; NumSgprs: 34
; NumVgprs: 91
; ScratchSize: 0
; MemoryBound: 0
; FloatMode: 240
; IeeeMode: 1
; LDSByteSize: 4096 bytes/workgroup (compile time only)
; SGPRBlocks: 4
; VGPRBlocks: 11
; NumSGPRsForWavesPerEU: 34
; NumVGPRsForWavesPerEU: 91
; Occupancy: 16
; WaveLimiterHint : 1
; COMPUTE_PGM_RSRC2:SCRATCH_EN: 0
; COMPUTE_PGM_RSRC2:USER_SGPR: 13
; COMPUTE_PGM_RSRC2:TRAP_HANDLER: 0
; COMPUTE_PGM_RSRC2:TGID_X_EN: 1
; COMPUTE_PGM_RSRC2:TGID_Y_EN: 1
; COMPUTE_PGM_RSRC2:TGID_Z_EN: 1
; COMPUTE_PGM_RSRC2:TIDIG_COMP_CNT: 1
	.section	.text._ZL37rocblas_syrkx_herkx_restricted_kernelIl19rocblas_complex_numIfELi16ELi32ELi8ELi1ELi1ELb1ELc67ELc76EKS1_S1_EviT_PT9_S3_lS5_S3_lPT10_S3_li,"axG",@progbits,_ZL37rocblas_syrkx_herkx_restricted_kernelIl19rocblas_complex_numIfELi16ELi32ELi8ELi1ELi1ELb1ELc67ELc76EKS1_S1_EviT_PT9_S3_lS5_S3_lPT10_S3_li,comdat
	.globl	_ZL37rocblas_syrkx_herkx_restricted_kernelIl19rocblas_complex_numIfELi16ELi32ELi8ELi1ELi1ELb1ELc67ELc76EKS1_S1_EviT_PT9_S3_lS5_S3_lPT10_S3_li ; -- Begin function _ZL37rocblas_syrkx_herkx_restricted_kernelIl19rocblas_complex_numIfELi16ELi32ELi8ELi1ELi1ELb1ELc67ELc76EKS1_S1_EviT_PT9_S3_lS5_S3_lPT10_S3_li
	.p2align	8
	.type	_ZL37rocblas_syrkx_herkx_restricted_kernelIl19rocblas_complex_numIfELi16ELi32ELi8ELi1ELi1ELb1ELc67ELc76EKS1_S1_EviT_PT9_S3_lS5_S3_lPT10_S3_li,@function
_ZL37rocblas_syrkx_herkx_restricted_kernelIl19rocblas_complex_numIfELi16ELi32ELi8ELi1ELi1ELb1ELc67ELc76EKS1_S1_EviT_PT9_S3_lS5_S3_lPT10_S3_li: ; @_ZL37rocblas_syrkx_herkx_restricted_kernelIl19rocblas_complex_numIfELi16ELi32ELi8ELi1ELi1ELb1ELc67ELc76EKS1_S1_EviT_PT9_S3_lS5_S3_lPT10_S3_li
; %bb.0:
	s_load_b512 s[16:31], s[0:1], 0x8
	v_dual_mov_b32 v15, 0 :: v_dual_mov_b32 v16, 0
	v_dual_mov_b32 v13, 0 :: v_dual_mov_b32 v12, 0
	;; [unrolled: 1-line block ×3, first 2 shown]
	v_dual_mov_b32 v7, 0 :: v_dual_and_b32 v6, 0x3ff, v0
	v_bfe_u32 v8, v0, 10, 10
	v_mov_b32_e32 v1, 0
	s_lshl_b32 s8, s13, 5
	s_lshl_b32 s9, s14, 5
	s_waitcnt lgkmcnt(0)
	v_cmp_lt_i64_e64 s2, s[16:17], 1
	s_delay_alu instid0(VALU_DEP_1)
	s_and_b32 vcc_lo, exec_lo, s2
	s_cbranch_vccnz .LBB1235_3
; %bb.1:
	v_lshl_add_u32 v2, v8, 4, v6
	v_dual_mov_b32 v1, 0 :: v_dual_and_b32 v0, 7, v6
	s_mul_i32 s3, s23, s15
	s_mul_hi_u32 s4, s22, s15
	s_delay_alu instid0(VALU_DEP_2) | instskip(SKIP_3) | instid1(VALU_DEP_4)
	v_and_b32_e32 v7, 31, v2
	v_lshrrev_b32_e32 v12, 3, v2
	v_lshrrev_b32_e32 v2, 5, v2
	v_dual_mov_b32 v3, v1 :: v_dual_lshlrev_b32 v14, 3, v0
	v_add_nc_u32_e32 v9, s8, v7
	s_delay_alu instid0(VALU_DEP_4)
	v_add_nc_u32_e32 v13, s9, v12
	s_mul_i32 s2, s22, s15
	s_add_i32 s3, s4, s3
	s_mul_hi_u32 s5, s28, s15
	v_ashrrev_i32_e32 v10, 31, v9
	v_ashrrev_i32_e32 v15, 31, v13
	v_mad_u64_u32 v[4:5], null, s20, v9, v[2:3]
	v_mul_lo_u32 v3, s21, v9
	s_delay_alu instid0(VALU_DEP_4)
	v_mul_lo_u32 v16, s20, v10
	v_mul_lo_u32 v17, v13, s27
	v_mad_u64_u32 v[9:10], null, v13, s26, v[0:1]
	v_mul_lo_u32 v13, v15, s26
	v_lshlrev_b32_e32 v0, 3, v7
	v_lshl_or_b32 v7, v12, 6, v14
	s_lshl_b64 s[2:3], s[2:3], 3
	v_add3_u32 v5, v3, v5, v16
	s_add_u32 s4, s18, s2
	s_mul_i32 s2, s29, s15
	v_add_nc_u32_e32 v14, 0x800, v7
	v_add3_u32 v10, v13, v10, v17
	v_mov_b32_e32 v7, v1
	v_lshl_or_b32 v0, v2, 8, v0
	v_lshlrev_b64 v[2:3], 3, v[4:5]
	s_addc_u32 s6, s19, s3
	s_add_i32 s3, s5, s2
	s_mul_i32 s2, s28, s15
	v_lshlrev_b64 v[4:5], 3, v[9:10]
	v_mov_b32_e32 v9, v1
	s_lshl_b64 s[2:3], s[2:3], 3
	v_add_co_u32 v2, vcc_lo, s4, v2
	s_add_u32 s2, s24, s2
	v_add_co_ci_u32_e32 v3, vcc_lo, s6, v3, vcc_lo
	s_addc_u32 s3, s25, s3
	v_add_co_u32 v4, vcc_lo, s2, v4
	v_add_co_ci_u32_e32 v5, vcc_lo, s3, v5, vcc_lo
	v_add_co_u32 v2, vcc_lo, v2, 4
	v_add_co_ci_u32_e32 v3, vcc_lo, 0, v3, vcc_lo
	s_delay_alu instid0(VALU_DEP_4)
	v_add_co_u32 v4, vcc_lo, v4, 4
	v_dual_mov_b32 v10, v1 :: v_dual_lshlrev_b32 v11, 3, v6
	v_lshl_add_u32 v17, v8, 6, 0x800
	v_add_co_ci_u32_e32 v5, vcc_lo, 0, v5, vcc_lo
	v_mov_b32_e32 v12, v1
	v_mov_b32_e32 v13, v1
	v_mov_b32_e32 v16, v1
	v_mov_b32_e32 v15, v1
	s_mov_b64 s[2:3], 0
.LBB1235_2:                             ; =>This Inner Loop Header: Depth=1
	global_load_b64 v[18:19], v[2:3], off offset:-4
	global_load_b64 v[20:21], v[4:5], off offset:-4
	s_add_u32 s2, s2, 8
	v_add_co_u32 v2, vcc_lo, v2, 64
	s_addc_u32 s3, s3, 0
	v_add_co_ci_u32_e32 v3, vcc_lo, 0, v3, vcc_lo
	v_cmp_ge_u64_e64 s4, s[2:3], s[16:17]
	v_add_co_u32 v4, vcc_lo, v4, 64
	v_add_co_ci_u32_e32 v5, vcc_lo, 0, v5, vcc_lo
	s_delay_alu instid0(VALU_DEP_3)
	s_and_b32 vcc_lo, exec_lo, s4
	s_waitcnt vmcnt(1)
	v_xor_b32_e32 v19, 0x80000000, v19
	ds_store_b64 v0, v[18:19]
	s_waitcnt vmcnt(0)
	ds_store_b64 v14, v[20:21]
	s_waitcnt lgkmcnt(0)
	s_barrier
	buffer_gl0_inv
	ds_load_2addr_b64 v[18:21], v11 offset1:16
	ds_load_b128 v[22:25], v17
	ds_load_b128 v[26:29], v17 offset:1024
	ds_load_b128 v[30:33], v17 offset:16
	ds_load_b128 v[34:37], v17 offset:32
	ds_load_b128 v[38:41], v17 offset:48
	ds_load_2addr_b64 v[42:45], v11 offset0:32 offset1:48
	ds_load_2addr_b64 v[46:49], v11 offset0:64 offset1:80
	ds_load_b128 v[50:53], v17 offset:1040
	ds_load_2addr_b64 v[54:57], v11 offset0:96 offset1:112
	ds_load_2addr_b64 v[58:61], v11 offset0:128 offset1:144
	;; [unrolled: 1-line block ×4, first 2 shown]
	ds_load_b128 v[70:73], v17 offset:1056
	ds_load_b128 v[74:77], v17 offset:1072
	ds_load_2addr_b64 v[78:81], v11 offset0:224 offset1:240
	s_waitcnt lgkmcnt(0)
	s_barrier
	buffer_gl0_inv
	v_dual_mul_f32 v82, v23, v19 :: v_dual_mul_f32 v85, v22, v21
	v_dual_mul_f32 v83, v22, v19 :: v_dual_mul_f32 v84, v23, v21
	v_mul_f32_e32 v86, v27, v19
	v_dual_mul_f32 v19, v26, v19 :: v_dual_mul_f32 v90, v25, v45
	v_dual_mul_f32 v87, v27, v21 :: v_dual_mul_f32 v88, v25, v43
	v_mul_f32_e32 v21, v26, v21
	v_fma_f32 v82, v22, v18, -v82
	v_fmac_f32_e32 v83, v23, v18
	v_fma_f32 v22, v22, v20, -v84
	v_fmac_f32_e32 v85, v23, v20
	v_fma_f32 v23, v26, v18, -v86
	v_dual_fmac_f32 v19, v27, v18 :: v_dual_mul_f32 v86, v30, v47
	v_fma_f32 v18, v26, v20, -v87
	v_dual_fmac_f32 v21, v27, v20 :: v_dual_mul_f32 v20, v24, v45
	v_mul_f32_e32 v89, v24, v43
	v_mul_f32_e32 v26, v29, v43
	;; [unrolled: 1-line block ×4, first 2 shown]
	v_fmac_f32_e32 v20, v25, v44
	v_fmac_f32_e32 v89, v25, v42
	v_dual_mul_f32 v25, v28, v45 :: v_dual_fmac_f32 v86, v31, v46
	v_fma_f32 v84, v24, v42, -v88
	v_fma_f32 v24, v24, v44, -v90
	v_dual_mul_f32 v45, v31, v47 :: v_dual_mul_f32 v90, v33, v57
	v_fma_f32 v26, v28, v42, -v26
	v_fma_f32 v28, v28, v44, -v43
	v_fmac_f32_e32 v25, v29, v44
	v_dual_mul_f32 v43, v50, v47 :: v_dual_mul_f32 v44, v51, v49
	v_dual_fmac_f32 v27, v29, v42 :: v_dual_mul_f32 v42, v51, v47
	v_dual_mul_f32 v88, v32, v55 :: v_dual_mul_f32 v29, v30, v49
	v_mul_f32_e32 v87, v31, v49
	v_fma_f32 v45, v30, v46, -v45
	v_add_f32_e32 v16, v16, v83
	s_delay_alu instid0(VALU_DEP_4)
	v_dual_fmac_f32 v88, v33, v54 :: v_dual_fmac_f32 v29, v31, v48
	v_fma_f32 v31, v50, v46, -v42
	v_fma_f32 v42, v50, v48, -v44
	v_mul_f32_e32 v44, v32, v57
	v_mul_f32_e32 v47, v50, v49
	v_dual_mul_f32 v50, v53, v57 :: v_dual_fmac_f32 v43, v51, v46
	v_mul_f32_e32 v46, v53, v55
	v_mul_f32_e32 v49, v33, v55
	v_fma_f32 v30, v30, v48, -v87
	v_fmac_f32_e32 v44, v33, v56
	v_dual_fmac_f32 v47, v51, v48 :: v_dual_mul_f32 v48, v52, v55
	v_mul_f32_e32 v33, v52, v57
	v_fma_f32 v46, v52, v54, -v46
	v_fma_f32 v50, v52, v56, -v50
	v_mul_f32_e32 v52, v34, v61
	v_fma_f32 v49, v32, v54, -v49
	v_fma_f32 v32, v32, v56, -v90
	v_dual_mul_f32 v51, v35, v59 :: v_dual_fmac_f32 v48, v53, v54
	v_mul_f32_e32 v54, v70, v59
	v_dual_mul_f32 v55, v34, v59 :: v_dual_fmac_f32 v52, v35, v60
	v_fmac_f32_e32 v33, v53, v56
	v_mul_f32_e32 v53, v71, v59
	v_mul_f32_e32 v56, v71, v61
	;; [unrolled: 1-line block ×3, first 2 shown]
	v_fmac_f32_e32 v54, v71, v58
	v_fmac_f32_e32 v55, v35, v58
	v_fma_f32 v35, v70, v58, -v53
	v_fma_f32 v53, v70, v60, -v56
	v_mul_f32_e32 v56, v36, v65
	v_mul_f32_e32 v59, v70, v61
	v_fma_f32 v51, v34, v58, -v51
	v_mul_f32_e32 v58, v72, v63
	v_mul_f32_e32 v87, v36, v63
	;; [unrolled: 1-line block ×4, first 2 shown]
	v_fma_f32 v34, v34, v60, -v57
	v_mul_f32_e32 v57, v73, v63
	v_fmac_f32_e32 v56, v37, v64
	v_dual_fmac_f32 v59, v71, v60 :: v_dual_mul_f32 v60, v73, v65
	v_mul_f32_e32 v63, v39, v67
	v_mul_f32_e32 v70, v39, v69
	v_fmac_f32_e32 v58, v73, v62
	v_fmac_f32_e32 v87, v37, v62
	v_mul_f32_e32 v37, v72, v65
	v_fma_f32 v61, v36, v62, -v61
	v_fma_f32 v36, v36, v64, -v90
	v_mul_f32_e32 v65, v38, v67
	v_fma_f32 v57, v72, v62, -v57
	v_fma_f32 v60, v72, v64, -v60
	v_dual_fmac_f32 v37, v73, v64 :: v_dual_mul_f32 v62, v38, v69
	v_mul_f32_e32 v64, v75, v67
	v_fma_f32 v63, v38, v66, -v63
	v_fma_f32 v38, v38, v68, -v70
	v_mul_f32_e32 v70, v76, v79
	v_mul_f32_e32 v67, v74, v67
	v_dual_mul_f32 v71, v75, v69 :: v_dual_add_f32 v10, v10, v19
	v_dual_fmac_f32 v65, v39, v66 :: v_dual_add_f32 v12, v12, v85
	s_delay_alu instid0(VALU_DEP_4) | instskip(NEXT) | instid1(VALU_DEP_4)
	v_fmac_f32_e32 v70, v77, v78
	v_fmac_f32_e32 v67, v75, v66
	;; [unrolled: 1-line block ×3, first 2 shown]
	v_fma_f32 v39, v74, v66, -v64
	v_fma_f32 v64, v74, v68, -v71
	v_dual_mul_f32 v71, v77, v81 :: v_dual_add_f32 v10, v10, v27
	v_dual_mul_f32 v69, v74, v69 :: v_dual_add_f32 v12, v12, v20
	;; [unrolled: 1-line block ×3, first 2 shown]
	s_delay_alu instid0(VALU_DEP_3)
	v_add_f32_e32 v10, v10, v43
	v_mul_f32_e32 v73, v40, v79
	v_mul_f32_e32 v72, v41, v79
	v_dual_mul_f32 v90, v41, v81 :: v_dual_fmac_f32 v69, v75, v68
	v_add_f32_e32 v16, v16, v89
	v_fmac_f32_e32 v66, v41, v80
	v_dual_add_f32 v10, v10, v48 :: v_dual_fmac_f32 v73, v41, v78
	v_add_f32_e32 v12, v12, v29
	v_mul_f32_e32 v41, v76, v81
	v_add_f32_e32 v16, v16, v86
	s_delay_alu instid0(VALU_DEP_4) | instskip(SKIP_4) | instid1(VALU_DEP_3)
	v_add_f32_e32 v10, v10, v54
	v_add_f32_e32 v13, v13, v22
	v_dual_add_f32 v9, v9, v23 :: v_dual_add_f32 v12, v12, v44
	v_fmac_f32_e32 v41, v77, v80
	v_dual_add_f32 v16, v16, v88 :: v_dual_add_f32 v7, v7, v18
	v_dual_add_f32 v1, v1, v21 :: v_dual_add_f32 v12, v12, v52
	;; [unrolled: 1-line block ×3, first 2 shown]
	s_delay_alu instid0(VALU_DEP_3) | instskip(NEXT) | instid1(VALU_DEP_3)
	v_dual_add_f32 v16, v16, v55 :: v_dual_add_f32 v15, v15, v84
	v_dual_add_f32 v9, v9, v26 :: v_dual_add_f32 v12, v12, v56
	s_delay_alu instid0(VALU_DEP_2) | instskip(SKIP_1) | instid1(VALU_DEP_4)
	v_dual_add_f32 v1, v1, v25 :: v_dual_add_f32 v16, v16, v87
	v_add_f32_e32 v7, v7, v28
	v_dual_add_f32 v15, v15, v45 :: v_dual_add_f32 v10, v10, v67
	s_delay_alu instid0(VALU_DEP_4) | instskip(NEXT) | instid1(VALU_DEP_4)
	v_dual_add_f32 v12, v12, v62 :: v_dual_add_f32 v9, v9, v31
	v_dual_add_f32 v1, v1, v47 :: v_dual_add_f32 v16, v16, v65
	s_delay_alu instid0(VALU_DEP_3)
	v_add_f32_e32 v10, v10, v70
	v_add_f32_e32 v13, v13, v30
	;; [unrolled: 1-line block ×15, first 2 shown]
	v_dual_mul_f32 v68, v77, v79 :: v_dual_add_f32 v15, v15, v61
	v_add_f32_e32 v13, v13, v36
	v_add_f32_e32 v7, v7, v60
	s_delay_alu instid0(VALU_DEP_4)
	v_add_f32_e32 v9, v9, v57
	v_add_f32_e32 v1, v1, v37
	v_fma_f32 v72, v40, v78, -v72
	v_fma_f32 v40, v40, v80, -v90
	;; [unrolled: 1-line block ×4, first 2 shown]
	v_add_f32_e32 v15, v15, v63
	v_add_f32_e32 v13, v13, v38
	;; [unrolled: 1-line block ×10, first 2 shown]
	s_cbranch_vccz .LBB1235_2
.LBB1235_3:
	s_load_b128 s[4:7], s[0:1], 0x48
	v_add_nc_u32_e32 v0, s9, v8
	s_load_b32 s9, s[0:1], 0x0
	s_delay_alu instid0(VALU_DEP_1) | instskip(SKIP_1) | instid1(VALU_DEP_1)
	v_ashrrev_i32_e32 v2, 31, v0
	s_waitcnt lgkmcnt(0)
	v_mul_lo_u32 v5, v2, s4
	v_mul_lo_u32 v8, v0, s5
	v_mad_u64_u32 v[3:4], null, v0, s4, 0
	s_mul_i32 s1, s15, s7
	s_mul_hi_u32 s3, s15, s6
	s_mul_i32 s2, s15, s6
	s_add_i32 s3, s3, s1
	v_add_nc_u32_e32 v2, s8, v6
	s_lshl_b64 s[2:3], s[2:3], 3
	s_delay_alu instid0(VALU_DEP_2)
	v_add3_u32 v4, v4, v8, v5
	s_add_u32 s2, s30, s2
	s_addc_u32 s3, s31, s3
	v_cmp_le_i32_e64 s0, v0, v2
	v_cmp_gt_i32_e32 vcc_lo, s9, v2
	v_lshlrev_b64 v[3:4], 3, v[3:4]
	s_delay_alu instid0(VALU_DEP_3) | instskip(NEXT) | instid1(VALU_DEP_1)
	s_and_b32 s0, s0, vcc_lo
	v_add_co_u32 v6, s1, s2, v3
	s_delay_alu instid0(VALU_DEP_1)
	v_add_co_ci_u32_e64 v8, s1, s3, v4, s1
	s_and_saveexec_b32 s1, s0
	s_cbranch_execz .LBB1235_6
; %bb.4:
	v_ashrrev_i32_e32 v3, 31, v2
	s_delay_alu instid0(VALU_DEP_1) | instskip(NEXT) | instid1(VALU_DEP_1)
	v_lshlrev_b64 v[3:4], 3, v[2:3]
	v_add_co_u32 v3, s0, v6, v3
	s_delay_alu instid0(VALU_DEP_1)
	v_add_co_ci_u32_e64 v4, s0, v8, v4, s0
	v_cmp_eq_u32_e64 s0, v0, v2
	global_load_b64 v[17:18], v[3:4], off
	s_waitcnt vmcnt(0)
	v_dual_add_f32 v14, v15, v17 :: v_dual_add_f32 v15, v16, v18
	global_store_b64 v[3:4], v[14:15], off
	s_and_b32 exec_lo, exec_lo, s0
	s_cbranch_execz .LBB1235_6
; %bb.5:
	v_mov_b32_e32 v5, 0
	global_store_b32 v[3:4], v5, off offset:4
.LBB1235_6:
	s_or_b32 exec_lo, exec_lo, s1
	v_add_nc_u32_e32 v4, 16, v2
	s_delay_alu instid0(VALU_DEP_1) | instskip(SKIP_1) | instid1(VALU_DEP_1)
	v_cmp_le_i32_e64 s1, v0, v4
	v_cmp_gt_i32_e64 s0, s9, v4
	s_and_b32 s1, s1, s0
	s_delay_alu instid0(SALU_CYCLE_1)
	s_and_saveexec_b32 s6, s1
	s_cbranch_execz .LBB1235_9
; %bb.7:
	v_ashrrev_i32_e32 v5, 31, v4
	s_delay_alu instid0(VALU_DEP_1) | instskip(NEXT) | instid1(VALU_DEP_1)
	v_lshlrev_b64 v[14:15], 3, v[4:5]
	v_add_co_u32 v5, s1, v6, v14
	s_delay_alu instid0(VALU_DEP_1)
	v_add_co_ci_u32_e64 v6, s1, v8, v15, s1
	v_cmp_eq_u32_e64 s1, v0, v4
	global_load_b64 v[14:15], v[5:6], off
	s_waitcnt vmcnt(0)
	v_dual_add_f32 v11, v13, v14 :: v_dual_add_f32 v12, v12, v15
	global_store_b64 v[5:6], v[11:12], off
	s_and_b32 exec_lo, exec_lo, s1
	s_cbranch_execz .LBB1235_9
; %bb.8:
	v_mov_b32_e32 v3, 0
	global_store_b32 v[5:6], v3, off offset:4
.LBB1235_9:
	s_or_b32 exec_lo, exec_lo, s6
	v_add_nc_u32_e32 v8, 16, v0
	s_delay_alu instid0(VALU_DEP_1) | instskip(SKIP_3) | instid1(VALU_DEP_4)
	v_ashrrev_i32_e32 v3, 31, v8
	v_mul_lo_u32 v11, v8, s5
	v_mad_u64_u32 v[5:6], null, v8, s4, 0
	v_cmp_le_i32_e64 s1, v8, v2
	v_mul_lo_u32 v3, v3, s4
	s_delay_alu instid0(VALU_DEP_1) | instskip(NEXT) | instid1(VALU_DEP_1)
	v_add3_u32 v6, v6, v11, v3
	v_lshlrev_b64 v[5:6], 3, v[5:6]
	s_delay_alu instid0(VALU_DEP_1) | instskip(NEXT) | instid1(VALU_DEP_1)
	v_add_co_u32 v11, s2, s2, v5
	v_add_co_ci_u32_e64 v12, s2, s3, v6, s2
	s_and_b32 s2, s1, vcc_lo
	s_delay_alu instid0(SALU_CYCLE_1)
	s_and_saveexec_b32 s1, s2
	s_cbranch_execz .LBB1235_12
; %bb.10:
	v_ashrrev_i32_e32 v3, 31, v2
	s_delay_alu instid0(VALU_DEP_1) | instskip(NEXT) | instid1(VALU_DEP_1)
	v_lshlrev_b64 v[5:6], 3, v[2:3]
	v_add_co_u32 v5, vcc_lo, v11, v5
	s_delay_alu instid0(VALU_DEP_2)
	v_add_co_ci_u32_e32 v6, vcc_lo, v12, v6, vcc_lo
	v_cmp_eq_u32_e32 vcc_lo, v8, v2
	global_load_b64 v[13:14], v[5:6], off
	s_waitcnt vmcnt(0)
	v_dual_add_f32 v9, v9, v13 :: v_dual_add_f32 v10, v10, v14
	global_store_b64 v[5:6], v[9:10], off
	s_and_b32 exec_lo, exec_lo, vcc_lo
	s_cbranch_execz .LBB1235_12
; %bb.11:
	v_mov_b32_e32 v3, 0
	global_store_b32 v[5:6], v3, off offset:4
.LBB1235_12:
	s_or_b32 exec_lo, exec_lo, s1
	v_cmp_le_i32_e32 vcc_lo, v8, v4
	s_and_b32 s0, vcc_lo, s0
	s_delay_alu instid0(SALU_CYCLE_1)
	s_and_saveexec_b32 s1, s0
	s_cbranch_execz .LBB1235_15
; %bb.13:
	v_ashrrev_i32_e32 v5, 31, v4
	s_delay_alu instid0(VALU_DEP_1) | instskip(NEXT) | instid1(VALU_DEP_1)
	v_lshlrev_b64 v[3:4], 3, v[4:5]
	v_add_co_u32 v3, vcc_lo, v11, v3
	s_delay_alu instid0(VALU_DEP_2)
	v_add_co_ci_u32_e32 v4, vcc_lo, v12, v4, vcc_lo
	v_cmp_eq_u32_e32 vcc_lo, v0, v2
	global_load_b64 v[5:6], v[3:4], off
	s_waitcnt vmcnt(0)
	v_dual_add_f32 v5, v7, v5 :: v_dual_add_f32 v6, v1, v6
	global_store_b64 v[3:4], v[5:6], off
	s_and_b32 exec_lo, exec_lo, vcc_lo
	s_cbranch_execz .LBB1235_15
; %bb.14:
	v_mov_b32_e32 v0, 0
	global_store_b32 v[3:4], v0, off offset:4
.LBB1235_15:
	s_nop 0
	s_sendmsg sendmsg(MSG_DEALLOC_VGPRS)
	s_endpgm
	.section	.rodata,"a",@progbits
	.p2align	6, 0x0
	.amdhsa_kernel _ZL37rocblas_syrkx_herkx_restricted_kernelIl19rocblas_complex_numIfELi16ELi32ELi8ELi1ELi1ELb1ELc67ELc76EKS1_S1_EviT_PT9_S3_lS5_S3_lPT10_S3_li
		.amdhsa_group_segment_fixed_size 4096
		.amdhsa_private_segment_fixed_size 0
		.amdhsa_kernarg_size 92
		.amdhsa_user_sgpr_count 13
		.amdhsa_user_sgpr_dispatch_ptr 0
		.amdhsa_user_sgpr_queue_ptr 0
		.amdhsa_user_sgpr_kernarg_segment_ptr 1
		.amdhsa_user_sgpr_dispatch_id 0
		.amdhsa_user_sgpr_private_segment_size 0
		.amdhsa_wavefront_size32 1
		.amdhsa_uses_dynamic_stack 0
		.amdhsa_enable_private_segment 0
		.amdhsa_system_sgpr_workgroup_id_x 1
		.amdhsa_system_sgpr_workgroup_id_y 1
		.amdhsa_system_sgpr_workgroup_id_z 1
		.amdhsa_system_sgpr_workgroup_info 0
		.amdhsa_system_vgpr_workitem_id 1
		.amdhsa_next_free_vgpr 91
		.amdhsa_next_free_sgpr 32
		.amdhsa_reserve_vcc 1
		.amdhsa_float_round_mode_32 0
		.amdhsa_float_round_mode_16_64 0
		.amdhsa_float_denorm_mode_32 3
		.amdhsa_float_denorm_mode_16_64 3
		.amdhsa_dx10_clamp 1
		.amdhsa_ieee_mode 1
		.amdhsa_fp16_overflow 0
		.amdhsa_workgroup_processor_mode 1
		.amdhsa_memory_ordered 1
		.amdhsa_forward_progress 0
		.amdhsa_shared_vgpr_count 0
		.amdhsa_exception_fp_ieee_invalid_op 0
		.amdhsa_exception_fp_denorm_src 0
		.amdhsa_exception_fp_ieee_div_zero 0
		.amdhsa_exception_fp_ieee_overflow 0
		.amdhsa_exception_fp_ieee_underflow 0
		.amdhsa_exception_fp_ieee_inexact 0
		.amdhsa_exception_int_div_zero 0
	.end_amdhsa_kernel
	.section	.text._ZL37rocblas_syrkx_herkx_restricted_kernelIl19rocblas_complex_numIfELi16ELi32ELi8ELi1ELi1ELb1ELc67ELc76EKS1_S1_EviT_PT9_S3_lS5_S3_lPT10_S3_li,"axG",@progbits,_ZL37rocblas_syrkx_herkx_restricted_kernelIl19rocblas_complex_numIfELi16ELi32ELi8ELi1ELi1ELb1ELc67ELc76EKS1_S1_EviT_PT9_S3_lS5_S3_lPT10_S3_li,comdat
.Lfunc_end1235:
	.size	_ZL37rocblas_syrkx_herkx_restricted_kernelIl19rocblas_complex_numIfELi16ELi32ELi8ELi1ELi1ELb1ELc67ELc76EKS1_S1_EviT_PT9_S3_lS5_S3_lPT10_S3_li, .Lfunc_end1235-_ZL37rocblas_syrkx_herkx_restricted_kernelIl19rocblas_complex_numIfELi16ELi32ELi8ELi1ELi1ELb1ELc67ELc76EKS1_S1_EviT_PT9_S3_lS5_S3_lPT10_S3_li
                                        ; -- End function
	.section	.AMDGPU.csdata,"",@progbits
; Kernel info:
; codeLenInByte = 2300
; NumSgprs: 34
; NumVgprs: 91
; ScratchSize: 0
; MemoryBound: 0
; FloatMode: 240
; IeeeMode: 1
; LDSByteSize: 4096 bytes/workgroup (compile time only)
; SGPRBlocks: 4
; VGPRBlocks: 11
; NumSGPRsForWavesPerEU: 34
; NumVGPRsForWavesPerEU: 91
; Occupancy: 16
; WaveLimiterHint : 1
; COMPUTE_PGM_RSRC2:SCRATCH_EN: 0
; COMPUTE_PGM_RSRC2:USER_SGPR: 13
; COMPUTE_PGM_RSRC2:TRAP_HANDLER: 0
; COMPUTE_PGM_RSRC2:TGID_X_EN: 1
; COMPUTE_PGM_RSRC2:TGID_Y_EN: 1
; COMPUTE_PGM_RSRC2:TGID_Z_EN: 1
; COMPUTE_PGM_RSRC2:TIDIG_COMP_CNT: 1
	.section	.text._ZL37rocblas_syrkx_herkx_restricted_kernelIl19rocblas_complex_numIfELi16ELi32ELi8ELi1ELi1ELb1ELc78ELc76EKS1_S1_EviT_PT9_S3_lS5_S3_lPT10_S3_li,"axG",@progbits,_ZL37rocblas_syrkx_herkx_restricted_kernelIl19rocblas_complex_numIfELi16ELi32ELi8ELi1ELi1ELb1ELc78ELc76EKS1_S1_EviT_PT9_S3_lS5_S3_lPT10_S3_li,comdat
	.globl	_ZL37rocblas_syrkx_herkx_restricted_kernelIl19rocblas_complex_numIfELi16ELi32ELi8ELi1ELi1ELb1ELc78ELc76EKS1_S1_EviT_PT9_S3_lS5_S3_lPT10_S3_li ; -- Begin function _ZL37rocblas_syrkx_herkx_restricted_kernelIl19rocblas_complex_numIfELi16ELi32ELi8ELi1ELi1ELb1ELc78ELc76EKS1_S1_EviT_PT9_S3_lS5_S3_lPT10_S3_li
	.p2align	8
	.type	_ZL37rocblas_syrkx_herkx_restricted_kernelIl19rocblas_complex_numIfELi16ELi32ELi8ELi1ELi1ELb1ELc78ELc76EKS1_S1_EviT_PT9_S3_lS5_S3_lPT10_S3_li,@function
_ZL37rocblas_syrkx_herkx_restricted_kernelIl19rocblas_complex_numIfELi16ELi32ELi8ELi1ELi1ELb1ELc78ELc76EKS1_S1_EviT_PT9_S3_lS5_S3_lPT10_S3_li: ; @_ZL37rocblas_syrkx_herkx_restricted_kernelIl19rocblas_complex_numIfELi16ELi32ELi8ELi1ELi1ELb1ELc78ELc76EKS1_S1_EviT_PT9_S3_lS5_S3_lPT10_S3_li
; %bb.0:
	s_load_b512 s[16:31], s[0:1], 0x8
	v_dual_mov_b32 v14, 0 :: v_dual_mov_b32 v15, 0
	v_dual_mov_b32 v13, 0 :: v_dual_mov_b32 v12, 0
	;; [unrolled: 1-line block ×3, first 2 shown]
	v_dual_mov_b32 v7, 0 :: v_dual_and_b32 v4, 0x3ff, v0
	v_bfe_u32 v5, v0, 10, 10
	v_mov_b32_e32 v6, 0
	s_lshl_b32 s8, s13, 5
	s_lshl_b32 s9, s14, 5
	s_waitcnt lgkmcnt(0)
	v_cmp_lt_i64_e64 s2, s[16:17], 1
	s_delay_alu instid0(VALU_DEP_1)
	s_and_b32 vcc_lo, exec_lo, s2
	s_cbranch_vccnz .LBB1236_3
; %bb.1:
	v_lshl_add_u32 v1, v5, 4, v4
	v_and_b32_e32 v13, 7, v4
	s_mul_i32 s3, s23, s15
	s_mul_hi_u32 s5, s22, s15
	s_mul_i32 s2, s22, s15
	v_and_b32_e32 v9, 31, v1
	v_lshrrev_b32_e32 v12, 3, v1
	v_lshrrev_b32_e32 v14, 5, v1
	s_add_i32 s3, s5, s3
	s_mul_i32 s6, s29, s15
	v_add_nc_u32_e32 v0, s8, v9
	v_add_nc_u32_e32 v2, s9, v12
	s_lshl_b64 s[2:3], s[2:3], 3
	s_mul_hi_u32 s7, s28, s15
	s_add_u32 s10, s18, s2
	v_ashrrev_i32_e32 v1, 31, v0
	v_ashrrev_i32_e32 v3, 31, v2
	s_mul_i32 s4, s28, s15
	s_addc_u32 s11, s19, s3
	s_add_i32 s5, s7, s6
	v_mad_u64_u32 v[6:7], null, v14, s20, v[0:1]
	v_mad_u64_u32 v[0:1], null, v13, s26, v[2:3]
	s_lshl_b64 s[4:5], s[4:5], 3
	s_lshl_b64 s[2:3], s[20:21], 6
	s_add_u32 s4, s24, s4
	s_addc_u32 s5, s25, s5
	s_delay_alu instid0(VALU_DEP_2) | instskip(SKIP_3) | instid1(VALU_DEP_3)
	v_mov_b32_e32 v2, v7
	v_lshlrev_b32_e32 v10, 3, v4
	v_lshl_add_u32 v11, v5, 6, 0x800
	s_mov_b64 s[6:7], 0
	v_mad_u64_u32 v[7:8], null, v14, s21, v[2:3]
	v_mad_u64_u32 v[2:3], null, v13, s27, v[1:2]
	s_delay_alu instid0(VALU_DEP_1) | instskip(NEXT) | instid1(VALU_DEP_3)
	v_dual_mov_b32 v1, v2 :: v_dual_lshlrev_b32 v8, 3, v9
	v_lshlrev_b64 v[2:3], 3, v[6:7]
	s_delay_alu instid0(VALU_DEP_2) | instskip(NEXT) | instid1(VALU_DEP_2)
	v_lshlrev_b64 v[0:1], 3, v[0:1]
	v_add_co_u32 v2, vcc_lo, s10, v2
	s_delay_alu instid0(VALU_DEP_3) | instskip(NEXT) | instid1(VALU_DEP_3)
	v_add_co_ci_u32_e32 v3, vcc_lo, s11, v3, vcc_lo
	v_add_co_u32 v6, vcc_lo, s4, v0
	s_delay_alu instid0(VALU_DEP_4) | instskip(NEXT) | instid1(VALU_DEP_4)
	v_add_co_ci_u32_e32 v7, vcc_lo, s5, v1, vcc_lo
	v_add_co_u32 v0, vcc_lo, v2, 4
	s_delay_alu instid0(VALU_DEP_4) | instskip(NEXT) | instid1(VALU_DEP_4)
	v_add_co_ci_u32_e32 v1, vcc_lo, 0, v3, vcc_lo
	v_add_co_u32 v2, vcc_lo, v6, 4
	v_dual_mov_b32 v6, 0 :: v_dual_lshlrev_b32 v15, 3, v13
	v_mov_b32_e32 v13, 0
	v_lshl_or_b32 v16, v14, 8, v8
	v_mov_b32_e32 v8, 0
	v_add_co_ci_u32_e32 v3, vcc_lo, 0, v7, vcc_lo
	v_lshl_or_b32 v9, v12, 6, v15
	v_dual_mov_b32 v7, 0 :: v_dual_mov_b32 v12, 0
	v_dual_mov_b32 v15, 0 :: v_dual_mov_b32 v14, 0
	s_delay_alu instid0(VALU_DEP_3)
	v_add_nc_u32_e32 v17, 0x800, v9
	v_mov_b32_e32 v9, 0
	s_lshl_b64 s[4:5], s[26:27], 6
.LBB1236_2:                             ; =>This Inner Loop Header: Depth=1
	global_load_b64 v[18:19], v[2:3], off offset:-4
	global_load_b64 v[20:21], v[0:1], off offset:-4
	s_add_u32 s6, s6, 8
	v_add_co_u32 v0, vcc_lo, v0, s2
	s_addc_u32 s7, s7, 0
	v_add_co_ci_u32_e32 v1, vcc_lo, s3, v1, vcc_lo
	v_cmp_ge_u64_e64 s10, s[6:7], s[16:17]
	v_add_co_u32 v2, vcc_lo, v2, s4
	v_add_co_ci_u32_e32 v3, vcc_lo, s5, v3, vcc_lo
	s_delay_alu instid0(VALU_DEP_3)
	s_and_b32 vcc_lo, exec_lo, s10
	s_waitcnt vmcnt(1)
	v_xor_b32_e32 v19, 0x80000000, v19
	s_waitcnt vmcnt(0)
	ds_store_b64 v16, v[20:21]
	ds_store_b64 v17, v[18:19]
	s_waitcnt lgkmcnt(0)
	s_barrier
	buffer_gl0_inv
	ds_load_2addr_b64 v[18:21], v10 offset1:16
	ds_load_b128 v[22:25], v11
	ds_load_b128 v[26:29], v11 offset:1024
	ds_load_b128 v[30:33], v11 offset:16
	;; [unrolled: 1-line block ×4, first 2 shown]
	ds_load_2addr_b64 v[42:45], v10 offset0:32 offset1:48
	ds_load_2addr_b64 v[46:49], v10 offset0:64 offset1:80
	ds_load_b128 v[50:53], v11 offset:1040
	ds_load_2addr_b64 v[54:57], v10 offset0:96 offset1:112
	ds_load_2addr_b64 v[58:61], v10 offset0:128 offset1:144
	;; [unrolled: 1-line block ×4, first 2 shown]
	ds_load_b128 v[70:73], v11 offset:1056
	ds_load_b128 v[74:77], v11 offset:1072
	ds_load_2addr_b64 v[78:81], v10 offset0:224 offset1:240
	s_waitcnt lgkmcnt(0)
	s_barrier
	buffer_gl0_inv
	v_dual_mul_f32 v82, v23, v19 :: v_dual_mul_f32 v85, v22, v21
	v_dual_mul_f32 v83, v22, v19 :: v_dual_mul_f32 v84, v23, v21
	v_mul_f32_e32 v86, v27, v19
	v_dual_mul_f32 v19, v26, v19 :: v_dual_mul_f32 v90, v25, v45
	v_dual_mul_f32 v87, v27, v21 :: v_dual_mul_f32 v88, v25, v43
	v_mul_f32_e32 v21, v26, v21
	v_mul_f32_e32 v89, v24, v43
	;; [unrolled: 1-line block ×3, first 2 shown]
	v_fma_f32 v82, v22, v18, -v82
	v_fmac_f32_e32 v83, v23, v18
	v_fma_f32 v22, v22, v20, -v84
	v_dual_fmac_f32 v85, v23, v20 :: v_dual_mul_f32 v84, v30, v47
	v_fma_f32 v23, v26, v18, -v86
	v_fmac_f32_e32 v19, v27, v18
	v_fma_f32 v18, v26, v20, -v87
	v_dual_mul_f32 v26, v28, v43 :: v_dual_fmac_f32 v21, v27, v20
	v_mul_f32_e32 v20, v29, v43
	v_mul_f32_e32 v27, v29, v45
	v_dual_mul_f32 v43, v28, v45 :: v_dual_fmac_f32 v84, v31, v46
	v_fma_f32 v45, v24, v42, -v88
	v_fma_f32 v24, v24, v44, -v90
	v_dual_fmac_f32 v91, v25, v44 :: v_dual_mul_f32 v90, v32, v57
	v_dual_mul_f32 v86, v31, v49 :: v_dual_fmac_f32 v89, v25, v42
	v_dual_mul_f32 v25, v31, v47 :: v_dual_mul_f32 v88, v33, v57
	v_fma_f32 v20, v28, v42, -v20
	v_fmac_f32_e32 v26, v29, v42
	v_fma_f32 v27, v28, v44, -v27
	v_dual_fmac_f32 v43, v29, v44 :: v_dual_mul_f32 v28, v51, v47
	v_dual_mul_f32 v29, v50, v47 :: v_dual_mul_f32 v42, v51, v49
	v_mul_f32_e32 v44, v50, v49
	v_mul_f32_e32 v87, v30, v49
	;; [unrolled: 1-line block ×3, first 2 shown]
	v_dual_mul_f32 v49, v32, v55 :: v_dual_fmac_f32 v90, v33, v56
	v_fma_f32 v25, v30, v46, -v25
	v_fma_f32 v30, v30, v48, -v86
	;; [unrolled: 1-line block ×3, first 2 shown]
	v_fmac_f32_e32 v44, v51, v48
	v_fmac_f32_e32 v87, v31, v48
	v_fma_f32 v31, v50, v48, -v42
	v_mul_f32_e32 v42, v53, v55
	v_mul_f32_e32 v48, v53, v57
	v_dual_mul_f32 v50, v52, v57 :: v_dual_fmac_f32 v29, v51, v46
	v_mul_f32_e32 v46, v52, v55
	v_fma_f32 v47, v32, v54, -v47
	v_fmac_f32_e32 v49, v33, v54
	v_fma_f32 v32, v32, v56, -v88
	s_delay_alu instid0(VALU_DEP_4)
	v_dual_mul_f32 v33, v35, v59 :: v_dual_fmac_f32 v46, v53, v54
	v_mul_f32_e32 v51, v34, v59
	v_mul_f32_e32 v55, v35, v61
	v_fma_f32 v42, v52, v54, -v42
	v_fma_f32 v48, v52, v56, -v48
	v_fmac_f32_e32 v50, v53, v56
	v_mul_f32_e32 v52, v71, v59
	v_dual_mul_f32 v53, v70, v59 :: v_dual_mul_f32 v86, v37, v65
	v_mul_f32_e32 v54, v71, v61
	v_dual_mul_f32 v56, v70, v61 :: v_dual_mul_f32 v59, v37, v63
	v_mul_f32_e32 v57, v34, v61
	v_mul_f32_e32 v61, v36, v63
	v_dual_mul_f32 v88, v36, v65 :: v_dual_fmac_f32 v51, v35, v58
	v_fma_f32 v33, v34, v58, -v33
	v_fmac_f32_e32 v53, v71, v58
	v_fmac_f32_e32 v56, v71, v60
	s_delay_alu instid0(VALU_DEP_4)
	v_fmac_f32_e32 v88, v37, v64
	v_fmac_f32_e32 v57, v35, v60
	v_fma_f32 v35, v70, v58, -v52
	v_fma_f32 v52, v70, v60, -v54
	v_mul_f32_e32 v54, v73, v63
	v_fma_f32 v34, v34, v60, -v55
	v_mul_f32_e32 v60, v72, v65
	v_dual_mul_f32 v55, v72, v63 :: v_dual_mul_f32 v70, v38, v69
	v_mul_f32_e32 v58, v73, v65
	v_fma_f32 v59, v36, v62, -v59
	v_fmac_f32_e32 v61, v37, v62
	v_fma_f32 v36, v36, v64, -v86
	v_dual_mul_f32 v37, v39, v67 :: v_dual_fmac_f32 v60, v73, v64
	v_dual_mul_f32 v63, v38, v67 :: v_dual_mul_f32 v86, v40, v81
	v_mul_f32_e32 v65, v39, v69
	v_fma_f32 v54, v72, v62, -v54
	v_fmac_f32_e32 v55, v73, v62
	v_fma_f32 v58, v72, v64, -v58
	v_mul_f32_e32 v72, v40, v79
	v_mul_f32_e32 v62, v75, v67
	v_dual_mul_f32 v64, v74, v67 :: v_dual_mul_f32 v67, v75, v69
	v_dual_mul_f32 v69, v74, v69 :: v_dual_fmac_f32 v70, v39, v68
	s_delay_alu instid0(VALU_DEP_2)
	v_dual_mul_f32 v71, v41, v79 :: v_dual_fmac_f32 v64, v75, v66
	v_fma_f32 v37, v38, v66, -v37
	v_fmac_f32_e32 v63, v39, v66
	v_fma_f32 v38, v38, v68, -v65
	v_fma_f32 v39, v74, v66, -v62
	v_dual_fmac_f32 v69, v75, v68 :: v_dual_fmac_f32 v72, v41, v78
	v_mul_f32_e32 v66, v76, v79
	v_fma_f32 v62, v74, v68, -v67
	v_mul_f32_e32 v68, v76, v81
	v_dual_mul_f32 v73, v41, v81 :: v_dual_add_f32 v14, v14, v82
	v_dual_mul_f32 v65, v77, v79 :: v_dual_add_f32 v12, v12, v85
	;; [unrolled: 1-line block ×3, first 2 shown]
	v_dual_fmac_f32 v86, v41, v80 :: v_dual_add_f32 v15, v15, v83
	v_dual_fmac_f32 v68, v77, v80 :: v_dual_add_f32 v7, v7, v18
	v_dual_add_f32 v13, v13, v22 :: v_dual_add_f32 v6, v6, v21
	v_dual_add_f32 v9, v9, v19 :: v_dual_add_f32 v14, v14, v45
	s_delay_alu instid0(VALU_DEP_4) | instskip(NEXT) | instid1(VALU_DEP_3)
	v_dual_fmac_f32 v66, v77, v78 :: v_dual_add_f32 v15, v15, v89
	v_dual_add_f32 v13, v13, v24 :: v_dual_add_f32 v12, v12, v91
	s_delay_alu instid0(VALU_DEP_3) | instskip(NEXT) | instid1(VALU_DEP_4)
	v_dual_add_f32 v8, v8, v20 :: v_dual_add_f32 v9, v9, v26
	v_dual_add_f32 v7, v7, v27 :: v_dual_add_f32 v14, v14, v25
	s_delay_alu instid0(VALU_DEP_4) | instskip(NEXT) | instid1(VALU_DEP_4)
	v_dual_add_f32 v6, v6, v43 :: v_dual_add_f32 v15, v15, v84
	v_dual_add_f32 v13, v13, v30 :: v_dual_add_f32 v12, v12, v87
	s_delay_alu instid0(VALU_DEP_4) | instskip(NEXT) | instid1(VALU_DEP_3)
	v_dual_add_f32 v8, v8, v28 :: v_dual_add_f32 v9, v9, v29
	v_dual_add_f32 v7, v7, v31 :: v_dual_add_f32 v6, v6, v44
	s_delay_alu instid0(VALU_DEP_4) | instskip(NEXT) | instid1(VALU_DEP_4)
	v_dual_add_f32 v14, v14, v47 :: v_dual_add_f32 v15, v15, v49
	v_dual_add_f32 v13, v13, v32 :: v_dual_add_f32 v12, v12, v90
	s_delay_alu instid0(VALU_DEP_3) | instskip(NEXT) | instid1(VALU_DEP_3)
	v_dual_add_f32 v8, v8, v42 :: v_dual_add_f32 v7, v7, v48
	v_dual_add_f32 v9, v9, v46 :: v_dual_add_f32 v14, v14, v33
	s_delay_alu instid0(VALU_DEP_4) | instskip(NEXT) | instid1(VALU_DEP_4)
	v_dual_add_f32 v6, v6, v50 :: v_dual_add_f32 v15, v15, v51
	v_dual_add_f32 v13, v13, v34 :: v_dual_add_f32 v12, v12, v57
	s_delay_alu instid0(VALU_DEP_3) | instskip(NEXT) | instid1(VALU_DEP_4)
	v_dual_add_f32 v8, v8, v35 :: v_dual_add_f32 v9, v9, v53
	v_dual_add_f32 v7, v7, v52 :: v_dual_add_f32 v14, v14, v59
	s_delay_alu instid0(VALU_DEP_4) | instskip(NEXT) | instid1(VALU_DEP_3)
	v_dual_add_f32 v6, v6, v56 :: v_dual_add_f32 v15, v15, v61
	v_dual_add_f32 v13, v13, v36 :: v_dual_add_f32 v8, v8, v54
	s_delay_alu instid0(VALU_DEP_4) | instskip(NEXT) | instid1(VALU_DEP_3)
	v_dual_add_f32 v12, v12, v88 :: v_dual_add_f32 v9, v9, v55
	v_dual_add_f32 v7, v7, v58 :: v_dual_add_f32 v6, v6, v60
	v_fma_f32 v71, v40, v78, -v71
	v_fma_f32 v40, v40, v80, -v73
	;; [unrolled: 1-line block ×4, first 2 shown]
	v_dual_add_f32 v14, v14, v37 :: v_dual_add_f32 v15, v15, v63
	v_dual_add_f32 v13, v13, v38 :: v_dual_add_f32 v8, v8, v39
	;; [unrolled: 1-line block ×4, first 2 shown]
	s_delay_alu instid0(VALU_DEP_4) | instskip(NEXT) | instid1(VALU_DEP_3)
	v_dual_add_f32 v14, v14, v71 :: v_dual_add_f32 v15, v15, v72
	v_dual_add_f32 v13, v13, v40 :: v_dual_add_f32 v12, v12, v86
	s_delay_alu instid0(VALU_DEP_4) | instskip(NEXT) | instid1(VALU_DEP_4)
	v_dual_add_f32 v8, v8, v41 :: v_dual_add_f32 v9, v9, v66
	v_dual_add_f32 v7, v7, v65 :: v_dual_add_f32 v6, v6, v68
	s_cbranch_vccz .LBB1236_2
.LBB1236_3:
	s_load_b128 s[4:7], s[0:1], 0x48
	v_add_nc_u32_e32 v5, s9, v5
	s_load_b32 s9, s[0:1], 0x0
	s_delay_alu instid0(VALU_DEP_1) | instskip(SKIP_1) | instid1(VALU_DEP_1)
	v_ashrrev_i32_e32 v0, 31, v5
	s_waitcnt lgkmcnt(0)
	v_mul_lo_u32 v3, v0, s4
	v_mul_lo_u32 v10, v5, s5
	v_mad_u64_u32 v[1:2], null, v5, s4, 0
	s_mul_i32 s1, s15, s7
	s_mul_hi_u32 s3, s15, s6
	s_mul_i32 s2, s15, s6
	s_add_i32 s3, s3, s1
	v_add_nc_u32_e32 v0, s8, v4
	s_lshl_b64 s[2:3], s[2:3], 3
	s_delay_alu instid0(VALU_DEP_2)
	v_add3_u32 v2, v2, v10, v3
	s_add_u32 s2, s30, s2
	s_addc_u32 s3, s31, s3
	v_cmp_le_i32_e64 s0, v5, v0
	v_cmp_gt_i32_e32 vcc_lo, s9, v0
	v_lshlrev_b64 v[1:2], 3, v[1:2]
	s_delay_alu instid0(VALU_DEP_3) | instskip(NEXT) | instid1(VALU_DEP_1)
	s_and_b32 s0, s0, vcc_lo
	v_add_co_u32 v4, s1, s2, v1
	s_delay_alu instid0(VALU_DEP_1)
	v_add_co_ci_u32_e64 v10, s1, s3, v2, s1
	s_and_saveexec_b32 s1, s0
	s_cbranch_execz .LBB1236_6
; %bb.4:
	v_ashrrev_i32_e32 v1, 31, v0
	s_delay_alu instid0(VALU_DEP_1) | instskip(NEXT) | instid1(VALU_DEP_1)
	v_lshlrev_b64 v[1:2], 3, v[0:1]
	v_add_co_u32 v1, s0, v4, v1
	s_delay_alu instid0(VALU_DEP_1)
	v_add_co_ci_u32_e64 v2, s0, v10, v2, s0
	v_cmp_eq_u32_e64 s0, v5, v0
	global_load_b64 v[16:17], v[1:2], off
	s_waitcnt vmcnt(0)
	v_dual_add_f32 v14, v14, v16 :: v_dual_add_f32 v15, v15, v17
	global_store_b64 v[1:2], v[14:15], off
	s_and_b32 exec_lo, exec_lo, s0
	s_cbranch_execz .LBB1236_6
; %bb.5:
	v_mov_b32_e32 v3, 0
	global_store_b32 v[1:2], v3, off offset:4
.LBB1236_6:
	s_or_b32 exec_lo, exec_lo, s1
	v_add_nc_u32_e32 v2, 16, v0
	s_delay_alu instid0(VALU_DEP_1) | instskip(SKIP_1) | instid1(VALU_DEP_1)
	v_cmp_le_i32_e64 s1, v5, v2
	v_cmp_gt_i32_e64 s0, s9, v2
	s_and_b32 s1, s1, s0
	s_delay_alu instid0(SALU_CYCLE_1)
	s_and_saveexec_b32 s6, s1
	s_cbranch_execz .LBB1236_9
; %bb.7:
	v_ashrrev_i32_e32 v3, 31, v2
	s_delay_alu instid0(VALU_DEP_1) | instskip(NEXT) | instid1(VALU_DEP_1)
	v_lshlrev_b64 v[14:15], 3, v[2:3]
	v_add_co_u32 v3, s1, v4, v14
	s_delay_alu instid0(VALU_DEP_1)
	v_add_co_ci_u32_e64 v4, s1, v10, v15, s1
	v_cmp_eq_u32_e64 s1, v5, v2
	global_load_b64 v[10:11], v[3:4], off
	s_waitcnt vmcnt(0)
	v_dual_add_f32 v10, v13, v10 :: v_dual_add_f32 v11, v12, v11
	global_store_b64 v[3:4], v[10:11], off
	s_and_b32 exec_lo, exec_lo, s1
	s_cbranch_execz .LBB1236_9
; %bb.8:
	v_mov_b32_e32 v1, 0
	global_store_b32 v[3:4], v1, off offset:4
.LBB1236_9:
	s_or_b32 exec_lo, exec_lo, s6
	v_add_nc_u32_e32 v10, 16, v5
	s_delay_alu instid0(VALU_DEP_1) | instskip(SKIP_3) | instid1(VALU_DEP_4)
	v_ashrrev_i32_e32 v1, 31, v10
	v_mul_lo_u32 v11, v10, s5
	v_mad_u64_u32 v[3:4], null, v10, s4, 0
	v_cmp_le_i32_e64 s1, v10, v0
	v_mul_lo_u32 v1, v1, s4
	s_delay_alu instid0(VALU_DEP_1) | instskip(NEXT) | instid1(VALU_DEP_1)
	v_add3_u32 v4, v4, v11, v1
	v_lshlrev_b64 v[3:4], 3, v[3:4]
	s_delay_alu instid0(VALU_DEP_1) | instskip(NEXT) | instid1(VALU_DEP_1)
	v_add_co_u32 v11, s2, s2, v3
	v_add_co_ci_u32_e64 v12, s2, s3, v4, s2
	s_and_b32 s2, s1, vcc_lo
	s_delay_alu instid0(SALU_CYCLE_1)
	s_and_saveexec_b32 s1, s2
	s_cbranch_execz .LBB1236_12
; %bb.10:
	v_ashrrev_i32_e32 v1, 31, v0
	s_delay_alu instid0(VALU_DEP_1) | instskip(NEXT) | instid1(VALU_DEP_1)
	v_lshlrev_b64 v[3:4], 3, v[0:1]
	v_add_co_u32 v3, vcc_lo, v11, v3
	s_delay_alu instid0(VALU_DEP_2)
	v_add_co_ci_u32_e32 v4, vcc_lo, v12, v4, vcc_lo
	v_cmp_eq_u32_e32 vcc_lo, v10, v0
	global_load_b64 v[13:14], v[3:4], off
	s_waitcnt vmcnt(0)
	v_dual_add_f32 v8, v8, v13 :: v_dual_add_f32 v9, v9, v14
	global_store_b64 v[3:4], v[8:9], off
	s_and_b32 exec_lo, exec_lo, vcc_lo
	s_cbranch_execz .LBB1236_12
; %bb.11:
	v_mov_b32_e32 v1, 0
	global_store_b32 v[3:4], v1, off offset:4
.LBB1236_12:
	s_or_b32 exec_lo, exec_lo, s1
	v_cmp_le_i32_e32 vcc_lo, v10, v2
	s_and_b32 s0, vcc_lo, s0
	s_delay_alu instid0(SALU_CYCLE_1)
	s_and_saveexec_b32 s1, s0
	s_cbranch_execz .LBB1236_15
; %bb.13:
	v_ashrrev_i32_e32 v3, 31, v2
	s_delay_alu instid0(VALU_DEP_1) | instskip(NEXT) | instid1(VALU_DEP_1)
	v_lshlrev_b64 v[1:2], 3, v[2:3]
	v_add_co_u32 v1, vcc_lo, v11, v1
	s_delay_alu instid0(VALU_DEP_2)
	v_add_co_ci_u32_e32 v2, vcc_lo, v12, v2, vcc_lo
	v_cmp_eq_u32_e32 vcc_lo, v5, v0
	global_load_b64 v[3:4], v[1:2], off
	s_waitcnt vmcnt(0)
	v_dual_add_f32 v3, v7, v3 :: v_dual_add_f32 v4, v6, v4
	global_store_b64 v[1:2], v[3:4], off
	s_and_b32 exec_lo, exec_lo, vcc_lo
	s_cbranch_execz .LBB1236_15
; %bb.14:
	v_mov_b32_e32 v0, 0
	global_store_b32 v[1:2], v0, off offset:4
.LBB1236_15:
	s_nop 0
	s_sendmsg sendmsg(MSG_DEALLOC_VGPRS)
	s_endpgm
	.section	.rodata,"a",@progbits
	.p2align	6, 0x0
	.amdhsa_kernel _ZL37rocblas_syrkx_herkx_restricted_kernelIl19rocblas_complex_numIfELi16ELi32ELi8ELi1ELi1ELb1ELc78ELc76EKS1_S1_EviT_PT9_S3_lS5_S3_lPT10_S3_li
		.amdhsa_group_segment_fixed_size 4096
		.amdhsa_private_segment_fixed_size 0
		.amdhsa_kernarg_size 92
		.amdhsa_user_sgpr_count 13
		.amdhsa_user_sgpr_dispatch_ptr 0
		.amdhsa_user_sgpr_queue_ptr 0
		.amdhsa_user_sgpr_kernarg_segment_ptr 1
		.amdhsa_user_sgpr_dispatch_id 0
		.amdhsa_user_sgpr_private_segment_size 0
		.amdhsa_wavefront_size32 1
		.amdhsa_uses_dynamic_stack 0
		.amdhsa_enable_private_segment 0
		.amdhsa_system_sgpr_workgroup_id_x 1
		.amdhsa_system_sgpr_workgroup_id_y 1
		.amdhsa_system_sgpr_workgroup_id_z 1
		.amdhsa_system_sgpr_workgroup_info 0
		.amdhsa_system_vgpr_workitem_id 1
		.amdhsa_next_free_vgpr 92
		.amdhsa_next_free_sgpr 32
		.amdhsa_reserve_vcc 1
		.amdhsa_float_round_mode_32 0
		.amdhsa_float_round_mode_16_64 0
		.amdhsa_float_denorm_mode_32 3
		.amdhsa_float_denorm_mode_16_64 3
		.amdhsa_dx10_clamp 1
		.amdhsa_ieee_mode 1
		.amdhsa_fp16_overflow 0
		.amdhsa_workgroup_processor_mode 1
		.amdhsa_memory_ordered 1
		.amdhsa_forward_progress 0
		.amdhsa_shared_vgpr_count 0
		.amdhsa_exception_fp_ieee_invalid_op 0
		.amdhsa_exception_fp_denorm_src 0
		.amdhsa_exception_fp_ieee_div_zero 0
		.amdhsa_exception_fp_ieee_overflow 0
		.amdhsa_exception_fp_ieee_underflow 0
		.amdhsa_exception_fp_ieee_inexact 0
		.amdhsa_exception_int_div_zero 0
	.end_amdhsa_kernel
	.section	.text._ZL37rocblas_syrkx_herkx_restricted_kernelIl19rocblas_complex_numIfELi16ELi32ELi8ELi1ELi1ELb1ELc78ELc76EKS1_S1_EviT_PT9_S3_lS5_S3_lPT10_S3_li,"axG",@progbits,_ZL37rocblas_syrkx_herkx_restricted_kernelIl19rocblas_complex_numIfELi16ELi32ELi8ELi1ELi1ELb1ELc78ELc76EKS1_S1_EviT_PT9_S3_lS5_S3_lPT10_S3_li,comdat
.Lfunc_end1236:
	.size	_ZL37rocblas_syrkx_herkx_restricted_kernelIl19rocblas_complex_numIfELi16ELi32ELi8ELi1ELi1ELb1ELc78ELc76EKS1_S1_EviT_PT9_S3_lS5_S3_lPT10_S3_li, .Lfunc_end1236-_ZL37rocblas_syrkx_herkx_restricted_kernelIl19rocblas_complex_numIfELi16ELi32ELi8ELi1ELi1ELb1ELc78ELc76EKS1_S1_EviT_PT9_S3_lS5_S3_lPT10_S3_li
                                        ; -- End function
	.section	.AMDGPU.csdata,"",@progbits
; Kernel info:
; codeLenInByte = 2316
; NumSgprs: 34
; NumVgprs: 92
; ScratchSize: 0
; MemoryBound: 0
; FloatMode: 240
; IeeeMode: 1
; LDSByteSize: 4096 bytes/workgroup (compile time only)
; SGPRBlocks: 4
; VGPRBlocks: 11
; NumSGPRsForWavesPerEU: 34
; NumVGPRsForWavesPerEU: 92
; Occupancy: 16
; WaveLimiterHint : 1
; COMPUTE_PGM_RSRC2:SCRATCH_EN: 0
; COMPUTE_PGM_RSRC2:USER_SGPR: 13
; COMPUTE_PGM_RSRC2:TRAP_HANDLER: 0
; COMPUTE_PGM_RSRC2:TGID_X_EN: 1
; COMPUTE_PGM_RSRC2:TGID_Y_EN: 1
; COMPUTE_PGM_RSRC2:TGID_Z_EN: 1
; COMPUTE_PGM_RSRC2:TIDIG_COMP_CNT: 1
	.section	.text._ZL37rocblas_syrkx_herkx_restricted_kernelIl19rocblas_complex_numIfELi16ELi32ELi8ELi1ELi1ELb1ELc84ELc85EKS1_S1_EviT_PT9_S3_lS5_S3_lPT10_S3_li,"axG",@progbits,_ZL37rocblas_syrkx_herkx_restricted_kernelIl19rocblas_complex_numIfELi16ELi32ELi8ELi1ELi1ELb1ELc84ELc85EKS1_S1_EviT_PT9_S3_lS5_S3_lPT10_S3_li,comdat
	.globl	_ZL37rocblas_syrkx_herkx_restricted_kernelIl19rocblas_complex_numIfELi16ELi32ELi8ELi1ELi1ELb1ELc84ELc85EKS1_S1_EviT_PT9_S3_lS5_S3_lPT10_S3_li ; -- Begin function _ZL37rocblas_syrkx_herkx_restricted_kernelIl19rocblas_complex_numIfELi16ELi32ELi8ELi1ELi1ELb1ELc84ELc85EKS1_S1_EviT_PT9_S3_lS5_S3_lPT10_S3_li
	.p2align	8
	.type	_ZL37rocblas_syrkx_herkx_restricted_kernelIl19rocblas_complex_numIfELi16ELi32ELi8ELi1ELi1ELb1ELc84ELc85EKS1_S1_EviT_PT9_S3_lS5_S3_lPT10_S3_li,@function
_ZL37rocblas_syrkx_herkx_restricted_kernelIl19rocblas_complex_numIfELi16ELi32ELi8ELi1ELi1ELb1ELc84ELc85EKS1_S1_EviT_PT9_S3_lS5_S3_lPT10_S3_li: ; @_ZL37rocblas_syrkx_herkx_restricted_kernelIl19rocblas_complex_numIfELi16ELi32ELi8ELi1ELi1ELb1ELc84ELc85EKS1_S1_EviT_PT9_S3_lS5_S3_lPT10_S3_li
; %bb.0:
	s_load_b512 s[16:31], s[0:1], 0x8
	v_dual_mov_b32 v15, 0 :: v_dual_mov_b32 v16, 0
	v_dual_mov_b32 v13, 0 :: v_dual_mov_b32 v12, 0
	;; [unrolled: 1-line block ×3, first 2 shown]
	v_dual_mov_b32 v7, 0 :: v_dual_and_b32 v6, 0x3ff, v0
	v_bfe_u32 v8, v0, 10, 10
	v_mov_b32_e32 v1, 0
	s_lshl_b32 s8, s13, 5
	s_lshl_b32 s9, s14, 5
	s_waitcnt lgkmcnt(0)
	v_cmp_lt_i64_e64 s2, s[16:17], 1
	s_delay_alu instid0(VALU_DEP_1)
	s_and_b32 vcc_lo, exec_lo, s2
	s_cbranch_vccnz .LBB1237_3
; %bb.1:
	v_lshl_add_u32 v2, v8, 4, v6
	v_dual_mov_b32 v1, 0 :: v_dual_and_b32 v0, 7, v6
	s_mul_i32 s3, s23, s15
	s_mul_hi_u32 s4, s22, s15
	s_delay_alu instid0(VALU_DEP_2) | instskip(SKIP_3) | instid1(VALU_DEP_4)
	v_and_b32_e32 v7, 31, v2
	v_lshrrev_b32_e32 v12, 3, v2
	v_lshrrev_b32_e32 v2, 5, v2
	v_dual_mov_b32 v3, v1 :: v_dual_lshlrev_b32 v14, 3, v0
	v_add_nc_u32_e32 v9, s8, v7
	s_delay_alu instid0(VALU_DEP_4)
	v_add_nc_u32_e32 v13, s9, v12
	s_mul_i32 s2, s22, s15
	s_add_i32 s3, s4, s3
	s_mul_hi_u32 s5, s28, s15
	v_ashrrev_i32_e32 v10, 31, v9
	v_ashrrev_i32_e32 v15, 31, v13
	v_mad_u64_u32 v[4:5], null, s20, v9, v[2:3]
	v_mul_lo_u32 v3, s21, v9
	s_delay_alu instid0(VALU_DEP_4)
	v_mul_lo_u32 v16, s20, v10
	v_mul_lo_u32 v17, v13, s27
	v_mad_u64_u32 v[9:10], null, v13, s26, v[0:1]
	v_mul_lo_u32 v13, v15, s26
	v_lshlrev_b32_e32 v0, 3, v7
	v_lshl_or_b32 v7, v12, 6, v14
	s_lshl_b64 s[2:3], s[2:3], 3
	v_add3_u32 v5, v3, v5, v16
	s_add_u32 s4, s18, s2
	s_mul_i32 s2, s29, s15
	v_add_nc_u32_e32 v14, 0x800, v7
	v_add3_u32 v10, v13, v10, v17
	v_mov_b32_e32 v7, v1
	v_lshl_or_b32 v0, v2, 8, v0
	v_lshlrev_b64 v[2:3], 3, v[4:5]
	s_addc_u32 s6, s19, s3
	s_add_i32 s3, s5, s2
	s_mul_i32 s2, s28, s15
	v_lshlrev_b64 v[4:5], 3, v[9:10]
	v_mov_b32_e32 v9, v1
	s_lshl_b64 s[2:3], s[2:3], 3
	v_add_co_u32 v2, vcc_lo, s4, v2
	s_add_u32 s2, s24, s2
	v_add_co_ci_u32_e32 v3, vcc_lo, s6, v3, vcc_lo
	s_addc_u32 s3, s25, s3
	v_add_co_u32 v4, vcc_lo, s2, v4
	v_add_co_ci_u32_e32 v5, vcc_lo, s3, v5, vcc_lo
	v_add_co_u32 v2, vcc_lo, v2, 4
	v_add_co_ci_u32_e32 v3, vcc_lo, 0, v3, vcc_lo
	s_delay_alu instid0(VALU_DEP_4)
	v_add_co_u32 v4, vcc_lo, v4, 4
	v_dual_mov_b32 v10, v1 :: v_dual_lshlrev_b32 v11, 3, v6
	v_lshl_add_u32 v17, v8, 6, 0x800
	v_add_co_ci_u32_e32 v5, vcc_lo, 0, v5, vcc_lo
	v_mov_b32_e32 v12, v1
	v_mov_b32_e32 v13, v1
	;; [unrolled: 1-line block ×4, first 2 shown]
	s_mov_b64 s[2:3], 0
.LBB1237_2:                             ; =>This Inner Loop Header: Depth=1
	global_load_b64 v[18:19], v[2:3], off offset:-4
	global_load_b64 v[20:21], v[4:5], off offset:-4
	s_add_u32 s2, s2, 8
	v_add_co_u32 v2, vcc_lo, v2, 64
	s_addc_u32 s3, s3, 0
	v_add_co_ci_u32_e32 v3, vcc_lo, 0, v3, vcc_lo
	v_cmp_ge_u64_e64 s4, s[2:3], s[16:17]
	v_add_co_u32 v4, vcc_lo, v4, 64
	v_add_co_ci_u32_e32 v5, vcc_lo, 0, v5, vcc_lo
	s_waitcnt vmcnt(1)
	ds_store_b64 v0, v[18:19]
	s_waitcnt vmcnt(0)
	ds_store_b64 v14, v[20:21]
	s_waitcnt lgkmcnt(0)
	s_barrier
	buffer_gl0_inv
	ds_load_2addr_b64 v[18:21], v11 offset1:16
	ds_load_b128 v[22:25], v17
	ds_load_b128 v[26:29], v17 offset:1024
	ds_load_b128 v[30:33], v17 offset:16
	;; [unrolled: 1-line block ×4, first 2 shown]
	ds_load_2addr_b64 v[42:45], v11 offset0:32 offset1:48
	ds_load_2addr_b64 v[46:49], v11 offset0:64 offset1:80
	ds_load_b128 v[50:53], v17 offset:1040
	ds_load_2addr_b64 v[54:57], v11 offset0:96 offset1:112
	ds_load_2addr_b64 v[58:61], v11 offset0:128 offset1:144
	;; [unrolled: 1-line block ×4, first 2 shown]
	ds_load_b128 v[70:73], v17 offset:1056
	ds_load_b128 v[74:77], v17 offset:1072
	ds_load_2addr_b64 v[78:81], v11 offset0:224 offset1:240
	s_and_b32 vcc_lo, exec_lo, s4
	s_waitcnt lgkmcnt(0)
	s_barrier
	buffer_gl0_inv
	v_dual_mul_f32 v82, v23, v19 :: v_dual_mul_f32 v85, v22, v21
	v_dual_mul_f32 v83, v22, v19 :: v_dual_mul_f32 v84, v23, v21
	v_mul_f32_e32 v86, v27, v19
	v_dual_mul_f32 v19, v26, v19 :: v_dual_mul_f32 v90, v25, v45
	v_dual_mul_f32 v87, v27, v21 :: v_dual_mul_f32 v88, v25, v43
	v_mul_f32_e32 v21, v26, v21
	v_fma_f32 v82, v22, v18, -v82
	v_fmac_f32_e32 v83, v23, v18
	v_fma_f32 v22, v22, v20, -v84
	v_fmac_f32_e32 v85, v23, v20
	v_fma_f32 v23, v26, v18, -v86
	v_dual_fmac_f32 v19, v27, v18 :: v_dual_mul_f32 v86, v30, v47
	v_fma_f32 v18, v26, v20, -v87
	v_dual_fmac_f32 v21, v27, v20 :: v_dual_mul_f32 v20, v24, v45
	v_mul_f32_e32 v89, v24, v43
	v_mul_f32_e32 v26, v29, v43
	;; [unrolled: 1-line block ×4, first 2 shown]
	v_fmac_f32_e32 v20, v25, v44
	v_fmac_f32_e32 v89, v25, v42
	v_dual_mul_f32 v25, v28, v45 :: v_dual_fmac_f32 v86, v31, v46
	v_fma_f32 v84, v24, v42, -v88
	v_fma_f32 v24, v24, v44, -v90
	v_dual_mul_f32 v45, v31, v47 :: v_dual_mul_f32 v90, v33, v57
	v_fma_f32 v26, v28, v42, -v26
	v_fma_f32 v28, v28, v44, -v43
	v_fmac_f32_e32 v25, v29, v44
	v_dual_mul_f32 v43, v50, v47 :: v_dual_mul_f32 v44, v51, v49
	v_dual_fmac_f32 v27, v29, v42 :: v_dual_mul_f32 v42, v51, v47
	v_dual_mul_f32 v88, v32, v55 :: v_dual_mul_f32 v29, v30, v49
	v_mul_f32_e32 v87, v31, v49
	v_fma_f32 v45, v30, v46, -v45
	v_add_f32_e32 v16, v16, v83
	s_delay_alu instid0(VALU_DEP_4)
	v_dual_fmac_f32 v88, v33, v54 :: v_dual_fmac_f32 v29, v31, v48
	v_fma_f32 v31, v50, v46, -v42
	v_fma_f32 v42, v50, v48, -v44
	v_mul_f32_e32 v44, v32, v57
	v_mul_f32_e32 v47, v50, v49
	v_dual_mul_f32 v50, v53, v57 :: v_dual_fmac_f32 v43, v51, v46
	v_mul_f32_e32 v46, v53, v55
	v_mul_f32_e32 v49, v33, v55
	v_fma_f32 v30, v30, v48, -v87
	v_fmac_f32_e32 v44, v33, v56
	v_dual_fmac_f32 v47, v51, v48 :: v_dual_mul_f32 v48, v52, v55
	v_mul_f32_e32 v33, v52, v57
	v_fma_f32 v46, v52, v54, -v46
	v_fma_f32 v50, v52, v56, -v50
	v_mul_f32_e32 v52, v34, v61
	v_fma_f32 v49, v32, v54, -v49
	v_fma_f32 v32, v32, v56, -v90
	v_dual_mul_f32 v51, v35, v59 :: v_dual_fmac_f32 v48, v53, v54
	v_mul_f32_e32 v54, v70, v59
	v_dual_mul_f32 v55, v34, v59 :: v_dual_fmac_f32 v52, v35, v60
	v_fmac_f32_e32 v33, v53, v56
	v_mul_f32_e32 v53, v71, v59
	v_mul_f32_e32 v56, v71, v61
	;; [unrolled: 1-line block ×3, first 2 shown]
	v_fmac_f32_e32 v54, v71, v58
	v_fmac_f32_e32 v55, v35, v58
	v_fma_f32 v35, v70, v58, -v53
	v_fma_f32 v53, v70, v60, -v56
	v_mul_f32_e32 v56, v36, v65
	v_mul_f32_e32 v59, v70, v61
	v_fma_f32 v51, v34, v58, -v51
	v_mul_f32_e32 v58, v72, v63
	v_mul_f32_e32 v87, v36, v63
	;; [unrolled: 1-line block ×4, first 2 shown]
	v_fma_f32 v34, v34, v60, -v57
	v_mul_f32_e32 v57, v73, v63
	v_fmac_f32_e32 v56, v37, v64
	v_dual_fmac_f32 v59, v71, v60 :: v_dual_mul_f32 v60, v73, v65
	v_mul_f32_e32 v63, v39, v67
	v_mul_f32_e32 v70, v39, v69
	v_fmac_f32_e32 v58, v73, v62
	v_fmac_f32_e32 v87, v37, v62
	v_mul_f32_e32 v37, v72, v65
	v_fma_f32 v61, v36, v62, -v61
	v_fma_f32 v36, v36, v64, -v90
	v_mul_f32_e32 v65, v38, v67
	v_fma_f32 v57, v72, v62, -v57
	v_fma_f32 v60, v72, v64, -v60
	v_dual_fmac_f32 v37, v73, v64 :: v_dual_mul_f32 v62, v38, v69
	v_mul_f32_e32 v64, v75, v67
	v_fma_f32 v63, v38, v66, -v63
	v_fma_f32 v38, v38, v68, -v70
	v_mul_f32_e32 v70, v76, v79
	v_mul_f32_e32 v67, v74, v67
	v_dual_mul_f32 v71, v75, v69 :: v_dual_add_f32 v10, v10, v19
	v_dual_fmac_f32 v65, v39, v66 :: v_dual_add_f32 v12, v12, v85
	s_delay_alu instid0(VALU_DEP_4) | instskip(NEXT) | instid1(VALU_DEP_4)
	v_fmac_f32_e32 v70, v77, v78
	v_fmac_f32_e32 v67, v75, v66
	v_fmac_f32_e32 v62, v39, v68
	v_fma_f32 v39, v74, v66, -v64
	v_fma_f32 v64, v74, v68, -v71
	v_dual_mul_f32 v71, v77, v81 :: v_dual_add_f32 v10, v10, v27
	v_dual_mul_f32 v69, v74, v69 :: v_dual_add_f32 v12, v12, v20
	;; [unrolled: 1-line block ×3, first 2 shown]
	s_delay_alu instid0(VALU_DEP_3)
	v_add_f32_e32 v10, v10, v43
	v_mul_f32_e32 v73, v40, v79
	v_mul_f32_e32 v72, v41, v79
	v_dual_mul_f32 v90, v41, v81 :: v_dual_fmac_f32 v69, v75, v68
	v_add_f32_e32 v16, v16, v89
	v_fmac_f32_e32 v66, v41, v80
	v_dual_add_f32 v10, v10, v48 :: v_dual_fmac_f32 v73, v41, v78
	v_add_f32_e32 v12, v12, v29
	v_mul_f32_e32 v41, v76, v81
	v_add_f32_e32 v16, v16, v86
	s_delay_alu instid0(VALU_DEP_4) | instskip(SKIP_4) | instid1(VALU_DEP_3)
	v_add_f32_e32 v10, v10, v54
	v_add_f32_e32 v13, v13, v22
	v_dual_add_f32 v9, v9, v23 :: v_dual_add_f32 v12, v12, v44
	v_fmac_f32_e32 v41, v77, v80
	v_dual_add_f32 v16, v16, v88 :: v_dual_add_f32 v7, v7, v18
	v_dual_add_f32 v1, v1, v21 :: v_dual_add_f32 v12, v12, v52
	;; [unrolled: 1-line block ×3, first 2 shown]
	s_delay_alu instid0(VALU_DEP_3) | instskip(NEXT) | instid1(VALU_DEP_3)
	v_dual_add_f32 v16, v16, v55 :: v_dual_add_f32 v15, v15, v84
	v_dual_add_f32 v9, v9, v26 :: v_dual_add_f32 v12, v12, v56
	s_delay_alu instid0(VALU_DEP_2) | instskip(SKIP_1) | instid1(VALU_DEP_4)
	v_dual_add_f32 v1, v1, v25 :: v_dual_add_f32 v16, v16, v87
	v_add_f32_e32 v7, v7, v28
	v_dual_add_f32 v15, v15, v45 :: v_dual_add_f32 v10, v10, v67
	s_delay_alu instid0(VALU_DEP_4) | instskip(NEXT) | instid1(VALU_DEP_4)
	v_dual_add_f32 v12, v12, v62 :: v_dual_add_f32 v9, v9, v31
	v_dual_add_f32 v1, v1, v47 :: v_dual_add_f32 v16, v16, v65
	s_delay_alu instid0(VALU_DEP_3)
	v_add_f32_e32 v10, v10, v70
	v_add_f32_e32 v13, v13, v30
	;; [unrolled: 1-line block ×15, first 2 shown]
	v_dual_mul_f32 v68, v77, v79 :: v_dual_add_f32 v15, v15, v61
	v_add_f32_e32 v13, v13, v36
	v_add_f32_e32 v7, v7, v60
	s_delay_alu instid0(VALU_DEP_4)
	v_add_f32_e32 v9, v9, v57
	v_add_f32_e32 v1, v1, v37
	v_fma_f32 v72, v40, v78, -v72
	v_fma_f32 v40, v40, v80, -v90
	;; [unrolled: 1-line block ×4, first 2 shown]
	v_add_f32_e32 v15, v15, v63
	v_add_f32_e32 v13, v13, v38
	v_add_f32_e32 v9, v9, v39
	v_add_f32_e32 v7, v7, v64
	v_add_f32_e32 v1, v1, v69
	v_add_f32_e32 v15, v15, v72
	v_add_f32_e32 v13, v13, v40
	v_add_f32_e32 v9, v9, v68
	v_add_f32_e32 v7, v7, v71
	v_add_f32_e32 v1, v1, v41
	s_cbranch_vccz .LBB1237_2
.LBB1237_3:
	s_clause 0x1
	s_load_b128 s[4:7], s[0:1], 0x48
	s_load_b32 s2, s[0:1], 0x0
	v_add_nc_u32_e32 v0, s9, v8
	s_delay_alu instid0(VALU_DEP_1) | instskip(SKIP_1) | instid1(VALU_DEP_1)
	v_ashrrev_i32_e32 v2, 31, v0
	s_waitcnt lgkmcnt(0)
	v_mul_lo_u32 v5, v2, s4
	v_mul_lo_u32 v8, v0, s5
	v_mad_u64_u32 v[3:4], null, v0, s4, 0
	s_mul_i32 s1, s15, s7
	s_mul_hi_u32 s3, s15, s6
	s_mul_i32 s6, s15, s6
	s_add_i32 s7, s3, s1
	v_add_nc_u32_e32 v2, s8, v6
	s_lshl_b64 s[6:7], s[6:7], 3
	s_delay_alu instid0(VALU_DEP_2)
	v_add3_u32 v4, v4, v8, v5
	s_add_u32 s3, s30, s6
	v_cmp_gt_i32_e32 vcc_lo, s2, v0
	v_cmp_le_i32_e64 s0, v2, v0
	s_addc_u32 s6, s31, s7
	v_lshlrev_b64 v[3:4], 3, v[3:4]
	s_delay_alu instid0(VALU_DEP_2) | instskip(NEXT) | instid1(VALU_DEP_1)
	s_and_b32 s0, vcc_lo, s0
	v_add_co_u32 v6, s1, s3, v3
	s_delay_alu instid0(VALU_DEP_1)
	v_add_co_ci_u32_e64 v8, s1, s6, v4, s1
	s_and_saveexec_b32 s1, s0
	s_cbranch_execz .LBB1237_6
; %bb.4:
	v_ashrrev_i32_e32 v3, 31, v2
	s_delay_alu instid0(VALU_DEP_1) | instskip(NEXT) | instid1(VALU_DEP_1)
	v_lshlrev_b64 v[3:4], 3, v[2:3]
	v_add_co_u32 v3, s0, v6, v3
	s_delay_alu instid0(VALU_DEP_1)
	v_add_co_ci_u32_e64 v4, s0, v8, v4, s0
	v_cmp_eq_u32_e64 s0, v0, v2
	global_load_b64 v[17:18], v[3:4], off
	s_waitcnt vmcnt(0)
	v_dual_add_f32 v14, v15, v17 :: v_dual_add_f32 v15, v16, v18
	global_store_b64 v[3:4], v[14:15], off
	s_and_b32 exec_lo, exec_lo, s0
	s_cbranch_execz .LBB1237_6
; %bb.5:
	v_mov_b32_e32 v5, 0
	global_store_b32 v[3:4], v5, off offset:4
.LBB1237_6:
	s_or_b32 exec_lo, exec_lo, s1
	v_add_nc_u32_e32 v4, 16, v2
	s_delay_alu instid0(VALU_DEP_1) | instskip(NEXT) | instid1(VALU_DEP_1)
	v_cmp_le_i32_e64 s0, v4, v0
	s_and_b32 s1, vcc_lo, s0
	s_delay_alu instid0(SALU_CYCLE_1)
	s_and_saveexec_b32 s0, s1
	s_cbranch_execz .LBB1237_9
; %bb.7:
	v_ashrrev_i32_e32 v5, 31, v4
	s_delay_alu instid0(VALU_DEP_1) | instskip(NEXT) | instid1(VALU_DEP_1)
	v_lshlrev_b64 v[14:15], 3, v[4:5]
	v_add_co_u32 v5, vcc_lo, v6, v14
	s_delay_alu instid0(VALU_DEP_2)
	v_add_co_ci_u32_e32 v6, vcc_lo, v8, v15, vcc_lo
	v_cmp_eq_u32_e32 vcc_lo, v0, v4
	global_load_b64 v[14:15], v[5:6], off
	s_waitcnt vmcnt(0)
	v_dual_add_f32 v11, v13, v14 :: v_dual_add_f32 v12, v12, v15
	global_store_b64 v[5:6], v[11:12], off
	s_and_b32 exec_lo, exec_lo, vcc_lo
	s_cbranch_execz .LBB1237_9
; %bb.8:
	v_mov_b32_e32 v3, 0
	global_store_b32 v[5:6], v3, off offset:4
.LBB1237_9:
	s_or_b32 exec_lo, exec_lo, s0
	v_add_nc_u32_e32 v8, 16, v0
	s_delay_alu instid0(VALU_DEP_1) | instskip(SKIP_3) | instid1(VALU_DEP_4)
	v_ashrrev_i32_e32 v3, 31, v8
	v_mul_lo_u32 v11, v8, s5
	v_mad_u64_u32 v[5:6], null, v8, s4, 0
	v_cmp_gt_i32_e32 vcc_lo, s2, v8
	v_mul_lo_u32 v3, v3, s4
	v_cmp_le_i32_e64 s0, v2, v8
	s_delay_alu instid0(VALU_DEP_1) | instskip(NEXT) | instid1(VALU_DEP_2)
	s_and_b32 s0, vcc_lo, s0
	v_add3_u32 v6, v6, v11, v3
	s_delay_alu instid0(VALU_DEP_1) | instskip(NEXT) | instid1(VALU_DEP_1)
	v_lshlrev_b64 v[5:6], 3, v[5:6]
	v_add_co_u32 v11, s1, s3, v5
	s_delay_alu instid0(VALU_DEP_1)
	v_add_co_ci_u32_e64 v12, s1, s6, v6, s1
	s_and_saveexec_b32 s1, s0
	s_cbranch_execz .LBB1237_12
; %bb.10:
	v_ashrrev_i32_e32 v3, 31, v2
	s_delay_alu instid0(VALU_DEP_1) | instskip(NEXT) | instid1(VALU_DEP_1)
	v_lshlrev_b64 v[5:6], 3, v[2:3]
	v_add_co_u32 v5, s0, v11, v5
	s_delay_alu instid0(VALU_DEP_1)
	v_add_co_ci_u32_e64 v6, s0, v12, v6, s0
	v_cmp_eq_u32_e64 s0, v8, v2
	global_load_b64 v[13:14], v[5:6], off
	s_waitcnt vmcnt(0)
	v_dual_add_f32 v9, v9, v13 :: v_dual_add_f32 v10, v10, v14
	global_store_b64 v[5:6], v[9:10], off
	s_and_b32 exec_lo, exec_lo, s0
	s_cbranch_execz .LBB1237_12
; %bb.11:
	v_mov_b32_e32 v3, 0
	global_store_b32 v[5:6], v3, off offset:4
.LBB1237_12:
	s_or_b32 exec_lo, exec_lo, s1
	v_cmp_le_i32_e64 s0, v4, v8
	s_delay_alu instid0(VALU_DEP_1) | instskip(NEXT) | instid1(SALU_CYCLE_1)
	s_and_b32 s0, vcc_lo, s0
	s_and_saveexec_b32 s1, s0
	s_cbranch_execz .LBB1237_15
; %bb.13:
	v_ashrrev_i32_e32 v5, 31, v4
	s_delay_alu instid0(VALU_DEP_1) | instskip(NEXT) | instid1(VALU_DEP_1)
	v_lshlrev_b64 v[3:4], 3, v[4:5]
	v_add_co_u32 v3, vcc_lo, v11, v3
	s_delay_alu instid0(VALU_DEP_2)
	v_add_co_ci_u32_e32 v4, vcc_lo, v12, v4, vcc_lo
	v_cmp_eq_u32_e32 vcc_lo, v0, v2
	global_load_b64 v[5:6], v[3:4], off
	s_waitcnt vmcnt(0)
	v_dual_add_f32 v5, v7, v5 :: v_dual_add_f32 v6, v1, v6
	global_store_b64 v[3:4], v[5:6], off
	s_and_b32 exec_lo, exec_lo, vcc_lo
	s_cbranch_execz .LBB1237_15
; %bb.14:
	v_mov_b32_e32 v0, 0
	global_store_b32 v[3:4], v0, off offset:4
.LBB1237_15:
	s_nop 0
	s_sendmsg sendmsg(MSG_DEALLOC_VGPRS)
	s_endpgm
	.section	.rodata,"a",@progbits
	.p2align	6, 0x0
	.amdhsa_kernel _ZL37rocblas_syrkx_herkx_restricted_kernelIl19rocblas_complex_numIfELi16ELi32ELi8ELi1ELi1ELb1ELc84ELc85EKS1_S1_EviT_PT9_S3_lS5_S3_lPT10_S3_li
		.amdhsa_group_segment_fixed_size 4096
		.amdhsa_private_segment_fixed_size 0
		.amdhsa_kernarg_size 92
		.amdhsa_user_sgpr_count 13
		.amdhsa_user_sgpr_dispatch_ptr 0
		.amdhsa_user_sgpr_queue_ptr 0
		.amdhsa_user_sgpr_kernarg_segment_ptr 1
		.amdhsa_user_sgpr_dispatch_id 0
		.amdhsa_user_sgpr_private_segment_size 0
		.amdhsa_wavefront_size32 1
		.amdhsa_uses_dynamic_stack 0
		.amdhsa_enable_private_segment 0
		.amdhsa_system_sgpr_workgroup_id_x 1
		.amdhsa_system_sgpr_workgroup_id_y 1
		.amdhsa_system_sgpr_workgroup_id_z 1
		.amdhsa_system_sgpr_workgroup_info 0
		.amdhsa_system_vgpr_workitem_id 1
		.amdhsa_next_free_vgpr 91
		.amdhsa_next_free_sgpr 32
		.amdhsa_reserve_vcc 1
		.amdhsa_float_round_mode_32 0
		.amdhsa_float_round_mode_16_64 0
		.amdhsa_float_denorm_mode_32 3
		.amdhsa_float_denorm_mode_16_64 3
		.amdhsa_dx10_clamp 1
		.amdhsa_ieee_mode 1
		.amdhsa_fp16_overflow 0
		.amdhsa_workgroup_processor_mode 1
		.amdhsa_memory_ordered 1
		.amdhsa_forward_progress 0
		.amdhsa_shared_vgpr_count 0
		.amdhsa_exception_fp_ieee_invalid_op 0
		.amdhsa_exception_fp_denorm_src 0
		.amdhsa_exception_fp_ieee_div_zero 0
		.amdhsa_exception_fp_ieee_overflow 0
		.amdhsa_exception_fp_ieee_underflow 0
		.amdhsa_exception_fp_ieee_inexact 0
		.amdhsa_exception_int_div_zero 0
	.end_amdhsa_kernel
	.section	.text._ZL37rocblas_syrkx_herkx_restricted_kernelIl19rocblas_complex_numIfELi16ELi32ELi8ELi1ELi1ELb1ELc84ELc85EKS1_S1_EviT_PT9_S3_lS5_S3_lPT10_S3_li,"axG",@progbits,_ZL37rocblas_syrkx_herkx_restricted_kernelIl19rocblas_complex_numIfELi16ELi32ELi8ELi1ELi1ELb1ELc84ELc85EKS1_S1_EviT_PT9_S3_lS5_S3_lPT10_S3_li,comdat
.Lfunc_end1237:
	.size	_ZL37rocblas_syrkx_herkx_restricted_kernelIl19rocblas_complex_numIfELi16ELi32ELi8ELi1ELi1ELb1ELc84ELc85EKS1_S1_EviT_PT9_S3_lS5_S3_lPT10_S3_li, .Lfunc_end1237-_ZL37rocblas_syrkx_herkx_restricted_kernelIl19rocblas_complex_numIfELi16ELi32ELi8ELi1ELi1ELb1ELc84ELc85EKS1_S1_EviT_PT9_S3_lS5_S3_lPT10_S3_li
                                        ; -- End function
	.section	.AMDGPU.csdata,"",@progbits
; Kernel info:
; codeLenInByte = 2292
; NumSgprs: 34
; NumVgprs: 91
; ScratchSize: 0
; MemoryBound: 0
; FloatMode: 240
; IeeeMode: 1
; LDSByteSize: 4096 bytes/workgroup (compile time only)
; SGPRBlocks: 4
; VGPRBlocks: 11
; NumSGPRsForWavesPerEU: 34
; NumVGPRsForWavesPerEU: 91
; Occupancy: 16
; WaveLimiterHint : 1
; COMPUTE_PGM_RSRC2:SCRATCH_EN: 0
; COMPUTE_PGM_RSRC2:USER_SGPR: 13
; COMPUTE_PGM_RSRC2:TRAP_HANDLER: 0
; COMPUTE_PGM_RSRC2:TGID_X_EN: 1
; COMPUTE_PGM_RSRC2:TGID_Y_EN: 1
; COMPUTE_PGM_RSRC2:TGID_Z_EN: 1
; COMPUTE_PGM_RSRC2:TIDIG_COMP_CNT: 1
	.section	.text._ZL37rocblas_syrkx_herkx_restricted_kernelIl19rocblas_complex_numIfELi16ELi32ELi8ELi1ELi1ELb1ELc67ELc85EKS1_S1_EviT_PT9_S3_lS5_S3_lPT10_S3_li,"axG",@progbits,_ZL37rocblas_syrkx_herkx_restricted_kernelIl19rocblas_complex_numIfELi16ELi32ELi8ELi1ELi1ELb1ELc67ELc85EKS1_S1_EviT_PT9_S3_lS5_S3_lPT10_S3_li,comdat
	.globl	_ZL37rocblas_syrkx_herkx_restricted_kernelIl19rocblas_complex_numIfELi16ELi32ELi8ELi1ELi1ELb1ELc67ELc85EKS1_S1_EviT_PT9_S3_lS5_S3_lPT10_S3_li ; -- Begin function _ZL37rocblas_syrkx_herkx_restricted_kernelIl19rocblas_complex_numIfELi16ELi32ELi8ELi1ELi1ELb1ELc67ELc85EKS1_S1_EviT_PT9_S3_lS5_S3_lPT10_S3_li
	.p2align	8
	.type	_ZL37rocblas_syrkx_herkx_restricted_kernelIl19rocblas_complex_numIfELi16ELi32ELi8ELi1ELi1ELb1ELc67ELc85EKS1_S1_EviT_PT9_S3_lS5_S3_lPT10_S3_li,@function
_ZL37rocblas_syrkx_herkx_restricted_kernelIl19rocblas_complex_numIfELi16ELi32ELi8ELi1ELi1ELb1ELc67ELc85EKS1_S1_EviT_PT9_S3_lS5_S3_lPT10_S3_li: ; @_ZL37rocblas_syrkx_herkx_restricted_kernelIl19rocblas_complex_numIfELi16ELi32ELi8ELi1ELi1ELb1ELc67ELc85EKS1_S1_EviT_PT9_S3_lS5_S3_lPT10_S3_li
; %bb.0:
	s_load_b512 s[16:31], s[0:1], 0x8
	v_dual_mov_b32 v15, 0 :: v_dual_mov_b32 v16, 0
	v_dual_mov_b32 v13, 0 :: v_dual_mov_b32 v12, 0
	v_dual_mov_b32 v9, 0 :: v_dual_mov_b32 v10, 0
	v_dual_mov_b32 v7, 0 :: v_dual_and_b32 v6, 0x3ff, v0
	v_bfe_u32 v8, v0, 10, 10
	v_mov_b32_e32 v1, 0
	s_lshl_b32 s8, s13, 5
	s_lshl_b32 s9, s14, 5
	s_waitcnt lgkmcnt(0)
	v_cmp_lt_i64_e64 s2, s[16:17], 1
	s_delay_alu instid0(VALU_DEP_1)
	s_and_b32 vcc_lo, exec_lo, s2
	s_cbranch_vccnz .LBB1238_3
; %bb.1:
	v_lshl_add_u32 v2, v8, 4, v6
	v_dual_mov_b32 v1, 0 :: v_dual_and_b32 v0, 7, v6
	s_mul_i32 s3, s23, s15
	s_mul_hi_u32 s4, s22, s15
	s_delay_alu instid0(VALU_DEP_2) | instskip(SKIP_3) | instid1(VALU_DEP_4)
	v_and_b32_e32 v7, 31, v2
	v_lshrrev_b32_e32 v12, 3, v2
	v_lshrrev_b32_e32 v2, 5, v2
	v_dual_mov_b32 v3, v1 :: v_dual_lshlrev_b32 v14, 3, v0
	v_add_nc_u32_e32 v9, s8, v7
	s_delay_alu instid0(VALU_DEP_4)
	v_add_nc_u32_e32 v13, s9, v12
	s_mul_i32 s2, s22, s15
	s_add_i32 s3, s4, s3
	s_mul_hi_u32 s5, s28, s15
	v_ashrrev_i32_e32 v10, 31, v9
	v_ashrrev_i32_e32 v15, 31, v13
	v_mad_u64_u32 v[4:5], null, s20, v9, v[2:3]
	v_mul_lo_u32 v3, s21, v9
	s_delay_alu instid0(VALU_DEP_4)
	v_mul_lo_u32 v16, s20, v10
	v_mul_lo_u32 v17, v13, s27
	v_mad_u64_u32 v[9:10], null, v13, s26, v[0:1]
	v_mul_lo_u32 v13, v15, s26
	v_lshlrev_b32_e32 v0, 3, v7
	v_lshl_or_b32 v7, v12, 6, v14
	s_lshl_b64 s[2:3], s[2:3], 3
	v_add3_u32 v5, v3, v5, v16
	s_add_u32 s4, s18, s2
	s_mul_i32 s2, s29, s15
	v_add_nc_u32_e32 v14, 0x800, v7
	v_add3_u32 v10, v13, v10, v17
	v_mov_b32_e32 v7, v1
	v_lshl_or_b32 v0, v2, 8, v0
	v_lshlrev_b64 v[2:3], 3, v[4:5]
	s_addc_u32 s6, s19, s3
	s_add_i32 s3, s5, s2
	s_mul_i32 s2, s28, s15
	v_lshlrev_b64 v[4:5], 3, v[9:10]
	v_mov_b32_e32 v9, v1
	s_lshl_b64 s[2:3], s[2:3], 3
	v_add_co_u32 v2, vcc_lo, s4, v2
	s_add_u32 s2, s24, s2
	v_add_co_ci_u32_e32 v3, vcc_lo, s6, v3, vcc_lo
	s_addc_u32 s3, s25, s3
	v_add_co_u32 v4, vcc_lo, s2, v4
	v_add_co_ci_u32_e32 v5, vcc_lo, s3, v5, vcc_lo
	v_add_co_u32 v2, vcc_lo, v2, 4
	v_add_co_ci_u32_e32 v3, vcc_lo, 0, v3, vcc_lo
	s_delay_alu instid0(VALU_DEP_4)
	v_add_co_u32 v4, vcc_lo, v4, 4
	v_dual_mov_b32 v10, v1 :: v_dual_lshlrev_b32 v11, 3, v6
	v_lshl_add_u32 v17, v8, 6, 0x800
	v_add_co_ci_u32_e32 v5, vcc_lo, 0, v5, vcc_lo
	v_mov_b32_e32 v12, v1
	v_mov_b32_e32 v13, v1
	;; [unrolled: 1-line block ×4, first 2 shown]
	s_mov_b64 s[2:3], 0
.LBB1238_2:                             ; =>This Inner Loop Header: Depth=1
	global_load_b64 v[18:19], v[2:3], off offset:-4
	global_load_b64 v[20:21], v[4:5], off offset:-4
	s_add_u32 s2, s2, 8
	v_add_co_u32 v2, vcc_lo, v2, 64
	s_addc_u32 s3, s3, 0
	v_add_co_ci_u32_e32 v3, vcc_lo, 0, v3, vcc_lo
	v_cmp_ge_u64_e64 s4, s[2:3], s[16:17]
	v_add_co_u32 v4, vcc_lo, v4, 64
	v_add_co_ci_u32_e32 v5, vcc_lo, 0, v5, vcc_lo
	s_delay_alu instid0(VALU_DEP_3)
	s_and_b32 vcc_lo, exec_lo, s4
	s_waitcnt vmcnt(1)
	v_xor_b32_e32 v19, 0x80000000, v19
	ds_store_b64 v0, v[18:19]
	s_waitcnt vmcnt(0)
	ds_store_b64 v14, v[20:21]
	s_waitcnt lgkmcnt(0)
	s_barrier
	buffer_gl0_inv
	ds_load_2addr_b64 v[18:21], v11 offset1:16
	ds_load_b128 v[22:25], v17
	ds_load_b128 v[26:29], v17 offset:1024
	ds_load_b128 v[30:33], v17 offset:16
	;; [unrolled: 1-line block ×4, first 2 shown]
	ds_load_2addr_b64 v[42:45], v11 offset0:32 offset1:48
	ds_load_2addr_b64 v[46:49], v11 offset0:64 offset1:80
	ds_load_b128 v[50:53], v17 offset:1040
	ds_load_2addr_b64 v[54:57], v11 offset0:96 offset1:112
	ds_load_2addr_b64 v[58:61], v11 offset0:128 offset1:144
	;; [unrolled: 1-line block ×4, first 2 shown]
	ds_load_b128 v[70:73], v17 offset:1056
	ds_load_b128 v[74:77], v17 offset:1072
	ds_load_2addr_b64 v[78:81], v11 offset0:224 offset1:240
	s_waitcnt lgkmcnt(0)
	s_barrier
	buffer_gl0_inv
	v_dual_mul_f32 v82, v23, v19 :: v_dual_mul_f32 v85, v22, v21
	v_dual_mul_f32 v83, v22, v19 :: v_dual_mul_f32 v84, v23, v21
	v_mul_f32_e32 v86, v27, v19
	v_dual_mul_f32 v19, v26, v19 :: v_dual_mul_f32 v90, v25, v45
	v_dual_mul_f32 v87, v27, v21 :: v_dual_mul_f32 v88, v25, v43
	v_mul_f32_e32 v21, v26, v21
	v_fma_f32 v82, v22, v18, -v82
	v_fmac_f32_e32 v83, v23, v18
	v_fma_f32 v22, v22, v20, -v84
	v_fmac_f32_e32 v85, v23, v20
	v_fma_f32 v23, v26, v18, -v86
	v_dual_fmac_f32 v19, v27, v18 :: v_dual_mul_f32 v86, v30, v47
	v_fma_f32 v18, v26, v20, -v87
	v_dual_fmac_f32 v21, v27, v20 :: v_dual_mul_f32 v20, v24, v45
	v_mul_f32_e32 v89, v24, v43
	v_mul_f32_e32 v26, v29, v43
	;; [unrolled: 1-line block ×4, first 2 shown]
	v_fmac_f32_e32 v20, v25, v44
	v_fmac_f32_e32 v89, v25, v42
	v_dual_mul_f32 v25, v28, v45 :: v_dual_fmac_f32 v86, v31, v46
	v_fma_f32 v84, v24, v42, -v88
	v_fma_f32 v24, v24, v44, -v90
	v_dual_mul_f32 v45, v31, v47 :: v_dual_mul_f32 v90, v33, v57
	v_fma_f32 v26, v28, v42, -v26
	v_fma_f32 v28, v28, v44, -v43
	v_fmac_f32_e32 v25, v29, v44
	v_dual_mul_f32 v43, v50, v47 :: v_dual_mul_f32 v44, v51, v49
	v_dual_fmac_f32 v27, v29, v42 :: v_dual_mul_f32 v42, v51, v47
	v_dual_mul_f32 v88, v32, v55 :: v_dual_mul_f32 v29, v30, v49
	v_mul_f32_e32 v87, v31, v49
	v_fma_f32 v45, v30, v46, -v45
	v_add_f32_e32 v16, v16, v83
	s_delay_alu instid0(VALU_DEP_4)
	v_dual_fmac_f32 v88, v33, v54 :: v_dual_fmac_f32 v29, v31, v48
	v_fma_f32 v31, v50, v46, -v42
	v_fma_f32 v42, v50, v48, -v44
	v_mul_f32_e32 v44, v32, v57
	v_mul_f32_e32 v47, v50, v49
	v_dual_mul_f32 v50, v53, v57 :: v_dual_fmac_f32 v43, v51, v46
	v_mul_f32_e32 v46, v53, v55
	v_mul_f32_e32 v49, v33, v55
	v_fma_f32 v30, v30, v48, -v87
	v_fmac_f32_e32 v44, v33, v56
	v_dual_fmac_f32 v47, v51, v48 :: v_dual_mul_f32 v48, v52, v55
	v_mul_f32_e32 v33, v52, v57
	v_fma_f32 v46, v52, v54, -v46
	v_fma_f32 v50, v52, v56, -v50
	v_mul_f32_e32 v52, v34, v61
	v_fma_f32 v49, v32, v54, -v49
	v_fma_f32 v32, v32, v56, -v90
	v_dual_mul_f32 v51, v35, v59 :: v_dual_fmac_f32 v48, v53, v54
	v_mul_f32_e32 v54, v70, v59
	v_dual_mul_f32 v55, v34, v59 :: v_dual_fmac_f32 v52, v35, v60
	v_fmac_f32_e32 v33, v53, v56
	v_mul_f32_e32 v53, v71, v59
	v_mul_f32_e32 v56, v71, v61
	;; [unrolled: 1-line block ×3, first 2 shown]
	v_fmac_f32_e32 v54, v71, v58
	v_fmac_f32_e32 v55, v35, v58
	v_fma_f32 v35, v70, v58, -v53
	v_fma_f32 v53, v70, v60, -v56
	v_mul_f32_e32 v56, v36, v65
	v_mul_f32_e32 v59, v70, v61
	v_fma_f32 v51, v34, v58, -v51
	v_mul_f32_e32 v58, v72, v63
	v_mul_f32_e32 v87, v36, v63
	;; [unrolled: 1-line block ×4, first 2 shown]
	v_fma_f32 v34, v34, v60, -v57
	v_mul_f32_e32 v57, v73, v63
	v_fmac_f32_e32 v56, v37, v64
	v_dual_fmac_f32 v59, v71, v60 :: v_dual_mul_f32 v60, v73, v65
	v_mul_f32_e32 v63, v39, v67
	v_mul_f32_e32 v70, v39, v69
	v_fmac_f32_e32 v58, v73, v62
	v_fmac_f32_e32 v87, v37, v62
	v_mul_f32_e32 v37, v72, v65
	v_fma_f32 v61, v36, v62, -v61
	v_fma_f32 v36, v36, v64, -v90
	v_mul_f32_e32 v65, v38, v67
	v_fma_f32 v57, v72, v62, -v57
	v_fma_f32 v60, v72, v64, -v60
	v_dual_fmac_f32 v37, v73, v64 :: v_dual_mul_f32 v62, v38, v69
	v_mul_f32_e32 v64, v75, v67
	v_fma_f32 v63, v38, v66, -v63
	v_fma_f32 v38, v38, v68, -v70
	v_mul_f32_e32 v70, v76, v79
	v_mul_f32_e32 v67, v74, v67
	v_dual_mul_f32 v71, v75, v69 :: v_dual_add_f32 v10, v10, v19
	v_dual_fmac_f32 v65, v39, v66 :: v_dual_add_f32 v12, v12, v85
	s_delay_alu instid0(VALU_DEP_4) | instskip(NEXT) | instid1(VALU_DEP_4)
	v_fmac_f32_e32 v70, v77, v78
	v_fmac_f32_e32 v67, v75, v66
	;; [unrolled: 1-line block ×3, first 2 shown]
	v_fma_f32 v39, v74, v66, -v64
	v_fma_f32 v64, v74, v68, -v71
	v_dual_mul_f32 v71, v77, v81 :: v_dual_add_f32 v10, v10, v27
	v_dual_mul_f32 v69, v74, v69 :: v_dual_add_f32 v12, v12, v20
	v_dual_mul_f32 v66, v40, v81 :: v_dual_add_f32 v15, v15, v82
	s_delay_alu instid0(VALU_DEP_3)
	v_add_f32_e32 v10, v10, v43
	v_mul_f32_e32 v73, v40, v79
	v_mul_f32_e32 v72, v41, v79
	v_dual_mul_f32 v90, v41, v81 :: v_dual_fmac_f32 v69, v75, v68
	v_add_f32_e32 v16, v16, v89
	v_fmac_f32_e32 v66, v41, v80
	v_dual_add_f32 v10, v10, v48 :: v_dual_fmac_f32 v73, v41, v78
	v_add_f32_e32 v12, v12, v29
	v_mul_f32_e32 v41, v76, v81
	v_add_f32_e32 v16, v16, v86
	s_delay_alu instid0(VALU_DEP_4) | instskip(SKIP_4) | instid1(VALU_DEP_3)
	v_add_f32_e32 v10, v10, v54
	v_add_f32_e32 v13, v13, v22
	v_dual_add_f32 v9, v9, v23 :: v_dual_add_f32 v12, v12, v44
	v_fmac_f32_e32 v41, v77, v80
	v_dual_add_f32 v16, v16, v88 :: v_dual_add_f32 v7, v7, v18
	v_dual_add_f32 v1, v1, v21 :: v_dual_add_f32 v12, v12, v52
	;; [unrolled: 1-line block ×3, first 2 shown]
	s_delay_alu instid0(VALU_DEP_3) | instskip(NEXT) | instid1(VALU_DEP_3)
	v_dual_add_f32 v16, v16, v55 :: v_dual_add_f32 v15, v15, v84
	v_dual_add_f32 v9, v9, v26 :: v_dual_add_f32 v12, v12, v56
	s_delay_alu instid0(VALU_DEP_2) | instskip(SKIP_1) | instid1(VALU_DEP_4)
	v_dual_add_f32 v1, v1, v25 :: v_dual_add_f32 v16, v16, v87
	v_add_f32_e32 v7, v7, v28
	v_dual_add_f32 v15, v15, v45 :: v_dual_add_f32 v10, v10, v67
	s_delay_alu instid0(VALU_DEP_4) | instskip(NEXT) | instid1(VALU_DEP_4)
	v_dual_add_f32 v12, v12, v62 :: v_dual_add_f32 v9, v9, v31
	v_dual_add_f32 v1, v1, v47 :: v_dual_add_f32 v16, v16, v65
	s_delay_alu instid0(VALU_DEP_3)
	v_add_f32_e32 v10, v10, v70
	v_add_f32_e32 v13, v13, v30
	;; [unrolled: 1-line block ×15, first 2 shown]
	v_dual_mul_f32 v68, v77, v79 :: v_dual_add_f32 v15, v15, v61
	v_add_f32_e32 v13, v13, v36
	v_add_f32_e32 v7, v7, v60
	s_delay_alu instid0(VALU_DEP_4)
	v_add_f32_e32 v9, v9, v57
	v_add_f32_e32 v1, v1, v37
	v_fma_f32 v72, v40, v78, -v72
	v_fma_f32 v40, v40, v80, -v90
	;; [unrolled: 1-line block ×4, first 2 shown]
	v_add_f32_e32 v15, v15, v63
	v_add_f32_e32 v13, v13, v38
	;; [unrolled: 1-line block ×10, first 2 shown]
	s_cbranch_vccz .LBB1238_2
.LBB1238_3:
	s_clause 0x1
	s_load_b128 s[4:7], s[0:1], 0x48
	s_load_b32 s2, s[0:1], 0x0
	v_add_nc_u32_e32 v0, s9, v8
	s_delay_alu instid0(VALU_DEP_1) | instskip(SKIP_1) | instid1(VALU_DEP_1)
	v_ashrrev_i32_e32 v2, 31, v0
	s_waitcnt lgkmcnt(0)
	v_mul_lo_u32 v5, v2, s4
	v_mul_lo_u32 v8, v0, s5
	v_mad_u64_u32 v[3:4], null, v0, s4, 0
	s_mul_i32 s1, s15, s7
	s_mul_hi_u32 s3, s15, s6
	s_mul_i32 s6, s15, s6
	s_add_i32 s7, s3, s1
	v_add_nc_u32_e32 v2, s8, v6
	s_lshl_b64 s[6:7], s[6:7], 3
	s_delay_alu instid0(VALU_DEP_2)
	v_add3_u32 v4, v4, v8, v5
	s_add_u32 s3, s30, s6
	v_cmp_gt_i32_e32 vcc_lo, s2, v0
	v_cmp_le_i32_e64 s0, v2, v0
	s_addc_u32 s6, s31, s7
	v_lshlrev_b64 v[3:4], 3, v[3:4]
	s_delay_alu instid0(VALU_DEP_2) | instskip(NEXT) | instid1(VALU_DEP_1)
	s_and_b32 s0, vcc_lo, s0
	v_add_co_u32 v6, s1, s3, v3
	s_delay_alu instid0(VALU_DEP_1)
	v_add_co_ci_u32_e64 v8, s1, s6, v4, s1
	s_and_saveexec_b32 s1, s0
	s_cbranch_execz .LBB1238_6
; %bb.4:
	v_ashrrev_i32_e32 v3, 31, v2
	s_delay_alu instid0(VALU_DEP_1) | instskip(NEXT) | instid1(VALU_DEP_1)
	v_lshlrev_b64 v[3:4], 3, v[2:3]
	v_add_co_u32 v3, s0, v6, v3
	s_delay_alu instid0(VALU_DEP_1)
	v_add_co_ci_u32_e64 v4, s0, v8, v4, s0
	v_cmp_eq_u32_e64 s0, v0, v2
	global_load_b64 v[17:18], v[3:4], off
	s_waitcnt vmcnt(0)
	v_dual_add_f32 v14, v15, v17 :: v_dual_add_f32 v15, v16, v18
	global_store_b64 v[3:4], v[14:15], off
	s_and_b32 exec_lo, exec_lo, s0
	s_cbranch_execz .LBB1238_6
; %bb.5:
	v_mov_b32_e32 v5, 0
	global_store_b32 v[3:4], v5, off offset:4
.LBB1238_6:
	s_or_b32 exec_lo, exec_lo, s1
	v_add_nc_u32_e32 v4, 16, v2
	s_delay_alu instid0(VALU_DEP_1) | instskip(NEXT) | instid1(VALU_DEP_1)
	v_cmp_le_i32_e64 s0, v4, v0
	s_and_b32 s1, vcc_lo, s0
	s_delay_alu instid0(SALU_CYCLE_1)
	s_and_saveexec_b32 s0, s1
	s_cbranch_execz .LBB1238_9
; %bb.7:
	v_ashrrev_i32_e32 v5, 31, v4
	s_delay_alu instid0(VALU_DEP_1) | instskip(NEXT) | instid1(VALU_DEP_1)
	v_lshlrev_b64 v[14:15], 3, v[4:5]
	v_add_co_u32 v5, vcc_lo, v6, v14
	s_delay_alu instid0(VALU_DEP_2)
	v_add_co_ci_u32_e32 v6, vcc_lo, v8, v15, vcc_lo
	v_cmp_eq_u32_e32 vcc_lo, v0, v4
	global_load_b64 v[14:15], v[5:6], off
	s_waitcnt vmcnt(0)
	v_dual_add_f32 v11, v13, v14 :: v_dual_add_f32 v12, v12, v15
	global_store_b64 v[5:6], v[11:12], off
	s_and_b32 exec_lo, exec_lo, vcc_lo
	s_cbranch_execz .LBB1238_9
; %bb.8:
	v_mov_b32_e32 v3, 0
	global_store_b32 v[5:6], v3, off offset:4
.LBB1238_9:
	s_or_b32 exec_lo, exec_lo, s0
	v_add_nc_u32_e32 v8, 16, v0
	s_delay_alu instid0(VALU_DEP_1) | instskip(SKIP_3) | instid1(VALU_DEP_4)
	v_ashrrev_i32_e32 v3, 31, v8
	v_mul_lo_u32 v11, v8, s5
	v_mad_u64_u32 v[5:6], null, v8, s4, 0
	v_cmp_gt_i32_e32 vcc_lo, s2, v8
	v_mul_lo_u32 v3, v3, s4
	v_cmp_le_i32_e64 s0, v2, v8
	s_delay_alu instid0(VALU_DEP_1) | instskip(NEXT) | instid1(VALU_DEP_2)
	s_and_b32 s0, vcc_lo, s0
	v_add3_u32 v6, v6, v11, v3
	s_delay_alu instid0(VALU_DEP_1) | instskip(NEXT) | instid1(VALU_DEP_1)
	v_lshlrev_b64 v[5:6], 3, v[5:6]
	v_add_co_u32 v11, s1, s3, v5
	s_delay_alu instid0(VALU_DEP_1)
	v_add_co_ci_u32_e64 v12, s1, s6, v6, s1
	s_and_saveexec_b32 s1, s0
	s_cbranch_execz .LBB1238_12
; %bb.10:
	v_ashrrev_i32_e32 v3, 31, v2
	s_delay_alu instid0(VALU_DEP_1) | instskip(NEXT) | instid1(VALU_DEP_1)
	v_lshlrev_b64 v[5:6], 3, v[2:3]
	v_add_co_u32 v5, s0, v11, v5
	s_delay_alu instid0(VALU_DEP_1)
	v_add_co_ci_u32_e64 v6, s0, v12, v6, s0
	v_cmp_eq_u32_e64 s0, v8, v2
	global_load_b64 v[13:14], v[5:6], off
	s_waitcnt vmcnt(0)
	v_dual_add_f32 v9, v9, v13 :: v_dual_add_f32 v10, v10, v14
	global_store_b64 v[5:6], v[9:10], off
	s_and_b32 exec_lo, exec_lo, s0
	s_cbranch_execz .LBB1238_12
; %bb.11:
	v_mov_b32_e32 v3, 0
	global_store_b32 v[5:6], v3, off offset:4
.LBB1238_12:
	s_or_b32 exec_lo, exec_lo, s1
	v_cmp_le_i32_e64 s0, v4, v8
	s_delay_alu instid0(VALU_DEP_1) | instskip(NEXT) | instid1(SALU_CYCLE_1)
	s_and_b32 s0, vcc_lo, s0
	s_and_saveexec_b32 s1, s0
	s_cbranch_execz .LBB1238_15
; %bb.13:
	v_ashrrev_i32_e32 v5, 31, v4
	s_delay_alu instid0(VALU_DEP_1) | instskip(NEXT) | instid1(VALU_DEP_1)
	v_lshlrev_b64 v[3:4], 3, v[4:5]
	v_add_co_u32 v3, vcc_lo, v11, v3
	s_delay_alu instid0(VALU_DEP_2)
	v_add_co_ci_u32_e32 v4, vcc_lo, v12, v4, vcc_lo
	v_cmp_eq_u32_e32 vcc_lo, v0, v2
	global_load_b64 v[5:6], v[3:4], off
	s_waitcnt vmcnt(0)
	v_dual_add_f32 v5, v7, v5 :: v_dual_add_f32 v6, v1, v6
	global_store_b64 v[3:4], v[5:6], off
	s_and_b32 exec_lo, exec_lo, vcc_lo
	s_cbranch_execz .LBB1238_15
; %bb.14:
	v_mov_b32_e32 v0, 0
	global_store_b32 v[3:4], v0, off offset:4
.LBB1238_15:
	s_nop 0
	s_sendmsg sendmsg(MSG_DEALLOC_VGPRS)
	s_endpgm
	.section	.rodata,"a",@progbits
	.p2align	6, 0x0
	.amdhsa_kernel _ZL37rocblas_syrkx_herkx_restricted_kernelIl19rocblas_complex_numIfELi16ELi32ELi8ELi1ELi1ELb1ELc67ELc85EKS1_S1_EviT_PT9_S3_lS5_S3_lPT10_S3_li
		.amdhsa_group_segment_fixed_size 4096
		.amdhsa_private_segment_fixed_size 0
		.amdhsa_kernarg_size 92
		.amdhsa_user_sgpr_count 13
		.amdhsa_user_sgpr_dispatch_ptr 0
		.amdhsa_user_sgpr_queue_ptr 0
		.amdhsa_user_sgpr_kernarg_segment_ptr 1
		.amdhsa_user_sgpr_dispatch_id 0
		.amdhsa_user_sgpr_private_segment_size 0
		.amdhsa_wavefront_size32 1
		.amdhsa_uses_dynamic_stack 0
		.amdhsa_enable_private_segment 0
		.amdhsa_system_sgpr_workgroup_id_x 1
		.amdhsa_system_sgpr_workgroup_id_y 1
		.amdhsa_system_sgpr_workgroup_id_z 1
		.amdhsa_system_sgpr_workgroup_info 0
		.amdhsa_system_vgpr_workitem_id 1
		.amdhsa_next_free_vgpr 91
		.amdhsa_next_free_sgpr 32
		.amdhsa_reserve_vcc 1
		.amdhsa_float_round_mode_32 0
		.amdhsa_float_round_mode_16_64 0
		.amdhsa_float_denorm_mode_32 3
		.amdhsa_float_denorm_mode_16_64 3
		.amdhsa_dx10_clamp 1
		.amdhsa_ieee_mode 1
		.amdhsa_fp16_overflow 0
		.amdhsa_workgroup_processor_mode 1
		.amdhsa_memory_ordered 1
		.amdhsa_forward_progress 0
		.amdhsa_shared_vgpr_count 0
		.amdhsa_exception_fp_ieee_invalid_op 0
		.amdhsa_exception_fp_denorm_src 0
		.amdhsa_exception_fp_ieee_div_zero 0
		.amdhsa_exception_fp_ieee_overflow 0
		.amdhsa_exception_fp_ieee_underflow 0
		.amdhsa_exception_fp_ieee_inexact 0
		.amdhsa_exception_int_div_zero 0
	.end_amdhsa_kernel
	.section	.text._ZL37rocblas_syrkx_herkx_restricted_kernelIl19rocblas_complex_numIfELi16ELi32ELi8ELi1ELi1ELb1ELc67ELc85EKS1_S1_EviT_PT9_S3_lS5_S3_lPT10_S3_li,"axG",@progbits,_ZL37rocblas_syrkx_herkx_restricted_kernelIl19rocblas_complex_numIfELi16ELi32ELi8ELi1ELi1ELb1ELc67ELc85EKS1_S1_EviT_PT9_S3_lS5_S3_lPT10_S3_li,comdat
.Lfunc_end1238:
	.size	_ZL37rocblas_syrkx_herkx_restricted_kernelIl19rocblas_complex_numIfELi16ELi32ELi8ELi1ELi1ELb1ELc67ELc85EKS1_S1_EviT_PT9_S3_lS5_S3_lPT10_S3_li, .Lfunc_end1238-_ZL37rocblas_syrkx_herkx_restricted_kernelIl19rocblas_complex_numIfELi16ELi32ELi8ELi1ELi1ELb1ELc67ELc85EKS1_S1_EviT_PT9_S3_lS5_S3_lPT10_S3_li
                                        ; -- End function
	.section	.AMDGPU.csdata,"",@progbits
; Kernel info:
; codeLenInByte = 2304
; NumSgprs: 34
; NumVgprs: 91
; ScratchSize: 0
; MemoryBound: 0
; FloatMode: 240
; IeeeMode: 1
; LDSByteSize: 4096 bytes/workgroup (compile time only)
; SGPRBlocks: 4
; VGPRBlocks: 11
; NumSGPRsForWavesPerEU: 34
; NumVGPRsForWavesPerEU: 91
; Occupancy: 16
; WaveLimiterHint : 1
; COMPUTE_PGM_RSRC2:SCRATCH_EN: 0
; COMPUTE_PGM_RSRC2:USER_SGPR: 13
; COMPUTE_PGM_RSRC2:TRAP_HANDLER: 0
; COMPUTE_PGM_RSRC2:TGID_X_EN: 1
; COMPUTE_PGM_RSRC2:TGID_Y_EN: 1
; COMPUTE_PGM_RSRC2:TGID_Z_EN: 1
; COMPUTE_PGM_RSRC2:TIDIG_COMP_CNT: 1
	.section	.text._ZL37rocblas_syrkx_herkx_restricted_kernelIl19rocblas_complex_numIfELi16ELi32ELi8ELi1ELi1ELb1ELc78ELc85EKS1_S1_EviT_PT9_S3_lS5_S3_lPT10_S3_li,"axG",@progbits,_ZL37rocblas_syrkx_herkx_restricted_kernelIl19rocblas_complex_numIfELi16ELi32ELi8ELi1ELi1ELb1ELc78ELc85EKS1_S1_EviT_PT9_S3_lS5_S3_lPT10_S3_li,comdat
	.globl	_ZL37rocblas_syrkx_herkx_restricted_kernelIl19rocblas_complex_numIfELi16ELi32ELi8ELi1ELi1ELb1ELc78ELc85EKS1_S1_EviT_PT9_S3_lS5_S3_lPT10_S3_li ; -- Begin function _ZL37rocblas_syrkx_herkx_restricted_kernelIl19rocblas_complex_numIfELi16ELi32ELi8ELi1ELi1ELb1ELc78ELc85EKS1_S1_EviT_PT9_S3_lS5_S3_lPT10_S3_li
	.p2align	8
	.type	_ZL37rocblas_syrkx_herkx_restricted_kernelIl19rocblas_complex_numIfELi16ELi32ELi8ELi1ELi1ELb1ELc78ELc85EKS1_S1_EviT_PT9_S3_lS5_S3_lPT10_S3_li,@function
_ZL37rocblas_syrkx_herkx_restricted_kernelIl19rocblas_complex_numIfELi16ELi32ELi8ELi1ELi1ELb1ELc78ELc85EKS1_S1_EviT_PT9_S3_lS5_S3_lPT10_S3_li: ; @_ZL37rocblas_syrkx_herkx_restricted_kernelIl19rocblas_complex_numIfELi16ELi32ELi8ELi1ELi1ELb1ELc78ELc85EKS1_S1_EviT_PT9_S3_lS5_S3_lPT10_S3_li
; %bb.0:
	s_load_b512 s[16:31], s[0:1], 0x8
	v_dual_mov_b32 v14, 0 :: v_dual_mov_b32 v15, 0
	v_dual_mov_b32 v13, 0 :: v_dual_mov_b32 v12, 0
	;; [unrolled: 1-line block ×3, first 2 shown]
	v_dual_mov_b32 v7, 0 :: v_dual_and_b32 v4, 0x3ff, v0
	v_bfe_u32 v5, v0, 10, 10
	v_mov_b32_e32 v6, 0
	s_lshl_b32 s8, s13, 5
	s_lshl_b32 s9, s14, 5
	s_waitcnt lgkmcnt(0)
	v_cmp_lt_i64_e64 s2, s[16:17], 1
	s_delay_alu instid0(VALU_DEP_1)
	s_and_b32 vcc_lo, exec_lo, s2
	s_cbranch_vccnz .LBB1239_3
; %bb.1:
	v_lshl_add_u32 v1, v5, 4, v4
	v_and_b32_e32 v13, 7, v4
	s_mul_i32 s3, s23, s15
	s_mul_hi_u32 s5, s22, s15
	s_mul_i32 s2, s22, s15
	v_and_b32_e32 v9, 31, v1
	v_lshrrev_b32_e32 v12, 3, v1
	v_lshrrev_b32_e32 v14, 5, v1
	s_add_i32 s3, s5, s3
	s_mul_i32 s6, s29, s15
	v_add_nc_u32_e32 v0, s8, v9
	v_add_nc_u32_e32 v2, s9, v12
	s_lshl_b64 s[2:3], s[2:3], 3
	s_mul_hi_u32 s7, s28, s15
	s_add_u32 s10, s18, s2
	v_ashrrev_i32_e32 v1, 31, v0
	v_ashrrev_i32_e32 v3, 31, v2
	s_mul_i32 s4, s28, s15
	s_addc_u32 s11, s19, s3
	s_add_i32 s5, s7, s6
	v_mad_u64_u32 v[6:7], null, v14, s20, v[0:1]
	v_mad_u64_u32 v[0:1], null, v13, s26, v[2:3]
	s_lshl_b64 s[4:5], s[4:5], 3
	s_lshl_b64 s[2:3], s[20:21], 6
	s_add_u32 s4, s24, s4
	s_addc_u32 s5, s25, s5
	s_delay_alu instid0(VALU_DEP_2) | instskip(SKIP_3) | instid1(VALU_DEP_3)
	v_mov_b32_e32 v2, v7
	v_lshlrev_b32_e32 v10, 3, v4
	v_lshl_add_u32 v11, v5, 6, 0x800
	s_mov_b64 s[6:7], 0
	v_mad_u64_u32 v[7:8], null, v14, s21, v[2:3]
	v_mad_u64_u32 v[2:3], null, v13, s27, v[1:2]
	s_delay_alu instid0(VALU_DEP_1) | instskip(NEXT) | instid1(VALU_DEP_3)
	v_dual_mov_b32 v1, v2 :: v_dual_lshlrev_b32 v8, 3, v9
	v_lshlrev_b64 v[2:3], 3, v[6:7]
	s_delay_alu instid0(VALU_DEP_2) | instskip(NEXT) | instid1(VALU_DEP_2)
	v_lshlrev_b64 v[0:1], 3, v[0:1]
	v_add_co_u32 v2, vcc_lo, s10, v2
	s_delay_alu instid0(VALU_DEP_3) | instskip(NEXT) | instid1(VALU_DEP_3)
	v_add_co_ci_u32_e32 v3, vcc_lo, s11, v3, vcc_lo
	v_add_co_u32 v6, vcc_lo, s4, v0
	s_delay_alu instid0(VALU_DEP_4) | instskip(NEXT) | instid1(VALU_DEP_4)
	v_add_co_ci_u32_e32 v7, vcc_lo, s5, v1, vcc_lo
	v_add_co_u32 v0, vcc_lo, v2, 4
	s_delay_alu instid0(VALU_DEP_4) | instskip(NEXT) | instid1(VALU_DEP_4)
	v_add_co_ci_u32_e32 v1, vcc_lo, 0, v3, vcc_lo
	v_add_co_u32 v2, vcc_lo, v6, 4
	v_dual_mov_b32 v6, 0 :: v_dual_lshlrev_b32 v15, 3, v13
	v_mov_b32_e32 v13, 0
	v_lshl_or_b32 v16, v14, 8, v8
	v_mov_b32_e32 v8, 0
	v_add_co_ci_u32_e32 v3, vcc_lo, 0, v7, vcc_lo
	v_lshl_or_b32 v9, v12, 6, v15
	v_dual_mov_b32 v7, 0 :: v_dual_mov_b32 v12, 0
	v_dual_mov_b32 v15, 0 :: v_dual_mov_b32 v14, 0
	s_delay_alu instid0(VALU_DEP_3)
	v_add_nc_u32_e32 v17, 0x800, v9
	v_mov_b32_e32 v9, 0
	s_lshl_b64 s[4:5], s[26:27], 6
.LBB1239_2:                             ; =>This Inner Loop Header: Depth=1
	global_load_b64 v[18:19], v[2:3], off offset:-4
	global_load_b64 v[20:21], v[0:1], off offset:-4
	s_add_u32 s6, s6, 8
	v_add_co_u32 v0, vcc_lo, v0, s2
	s_addc_u32 s7, s7, 0
	v_add_co_ci_u32_e32 v1, vcc_lo, s3, v1, vcc_lo
	v_cmp_ge_u64_e64 s10, s[6:7], s[16:17]
	v_add_co_u32 v2, vcc_lo, v2, s4
	v_add_co_ci_u32_e32 v3, vcc_lo, s5, v3, vcc_lo
	s_delay_alu instid0(VALU_DEP_3)
	s_and_b32 vcc_lo, exec_lo, s10
	s_waitcnt vmcnt(1)
	v_xor_b32_e32 v19, 0x80000000, v19
	s_waitcnt vmcnt(0)
	ds_store_b64 v16, v[20:21]
	ds_store_b64 v17, v[18:19]
	s_waitcnt lgkmcnt(0)
	s_barrier
	buffer_gl0_inv
	ds_load_2addr_b64 v[18:21], v10 offset1:16
	ds_load_b128 v[22:25], v11
	ds_load_b128 v[26:29], v11 offset:1024
	ds_load_b128 v[30:33], v11 offset:16
	ds_load_b128 v[34:37], v11 offset:32
	ds_load_b128 v[38:41], v11 offset:48
	ds_load_2addr_b64 v[42:45], v10 offset0:32 offset1:48
	ds_load_2addr_b64 v[46:49], v10 offset0:64 offset1:80
	ds_load_b128 v[50:53], v11 offset:1040
	ds_load_2addr_b64 v[54:57], v10 offset0:96 offset1:112
	ds_load_2addr_b64 v[58:61], v10 offset0:128 offset1:144
	;; [unrolled: 1-line block ×4, first 2 shown]
	ds_load_b128 v[70:73], v11 offset:1056
	ds_load_b128 v[74:77], v11 offset:1072
	ds_load_2addr_b64 v[78:81], v10 offset0:224 offset1:240
	s_waitcnt lgkmcnt(0)
	s_barrier
	buffer_gl0_inv
	v_dual_mul_f32 v82, v23, v19 :: v_dual_mul_f32 v85, v22, v21
	v_dual_mul_f32 v83, v22, v19 :: v_dual_mul_f32 v84, v23, v21
	v_mul_f32_e32 v86, v27, v19
	v_dual_mul_f32 v19, v26, v19 :: v_dual_mul_f32 v90, v25, v45
	v_dual_mul_f32 v87, v27, v21 :: v_dual_mul_f32 v88, v25, v43
	v_mul_f32_e32 v21, v26, v21
	v_mul_f32_e32 v89, v24, v43
	;; [unrolled: 1-line block ×3, first 2 shown]
	v_fma_f32 v82, v22, v18, -v82
	v_fmac_f32_e32 v83, v23, v18
	v_fma_f32 v22, v22, v20, -v84
	v_dual_fmac_f32 v85, v23, v20 :: v_dual_mul_f32 v84, v30, v47
	v_fma_f32 v23, v26, v18, -v86
	v_fmac_f32_e32 v19, v27, v18
	v_fma_f32 v18, v26, v20, -v87
	v_dual_mul_f32 v26, v28, v43 :: v_dual_fmac_f32 v21, v27, v20
	v_mul_f32_e32 v20, v29, v43
	v_mul_f32_e32 v27, v29, v45
	v_dual_mul_f32 v43, v28, v45 :: v_dual_fmac_f32 v84, v31, v46
	v_fma_f32 v45, v24, v42, -v88
	v_fma_f32 v24, v24, v44, -v90
	v_dual_fmac_f32 v91, v25, v44 :: v_dual_mul_f32 v90, v32, v57
	v_dual_mul_f32 v86, v31, v49 :: v_dual_fmac_f32 v89, v25, v42
	v_dual_mul_f32 v25, v31, v47 :: v_dual_mul_f32 v88, v33, v57
	v_fma_f32 v20, v28, v42, -v20
	v_fmac_f32_e32 v26, v29, v42
	v_fma_f32 v27, v28, v44, -v27
	v_dual_fmac_f32 v43, v29, v44 :: v_dual_mul_f32 v28, v51, v47
	v_dual_mul_f32 v29, v50, v47 :: v_dual_mul_f32 v42, v51, v49
	v_mul_f32_e32 v44, v50, v49
	v_mul_f32_e32 v87, v30, v49
	;; [unrolled: 1-line block ×3, first 2 shown]
	v_dual_mul_f32 v49, v32, v55 :: v_dual_fmac_f32 v90, v33, v56
	v_fma_f32 v25, v30, v46, -v25
	v_fma_f32 v30, v30, v48, -v86
	;; [unrolled: 1-line block ×3, first 2 shown]
	v_fmac_f32_e32 v44, v51, v48
	v_fmac_f32_e32 v87, v31, v48
	v_fma_f32 v31, v50, v48, -v42
	v_mul_f32_e32 v42, v53, v55
	v_mul_f32_e32 v48, v53, v57
	v_dual_mul_f32 v50, v52, v57 :: v_dual_fmac_f32 v29, v51, v46
	v_mul_f32_e32 v46, v52, v55
	v_fma_f32 v47, v32, v54, -v47
	v_fmac_f32_e32 v49, v33, v54
	v_fma_f32 v32, v32, v56, -v88
	s_delay_alu instid0(VALU_DEP_4)
	v_dual_mul_f32 v33, v35, v59 :: v_dual_fmac_f32 v46, v53, v54
	v_mul_f32_e32 v51, v34, v59
	v_mul_f32_e32 v55, v35, v61
	v_fma_f32 v42, v52, v54, -v42
	v_fma_f32 v48, v52, v56, -v48
	v_fmac_f32_e32 v50, v53, v56
	v_mul_f32_e32 v52, v71, v59
	v_dual_mul_f32 v53, v70, v59 :: v_dual_mul_f32 v86, v37, v65
	v_mul_f32_e32 v54, v71, v61
	v_dual_mul_f32 v56, v70, v61 :: v_dual_mul_f32 v59, v37, v63
	v_mul_f32_e32 v57, v34, v61
	v_mul_f32_e32 v61, v36, v63
	v_dual_mul_f32 v88, v36, v65 :: v_dual_fmac_f32 v51, v35, v58
	v_fma_f32 v33, v34, v58, -v33
	v_fmac_f32_e32 v53, v71, v58
	v_fmac_f32_e32 v56, v71, v60
	s_delay_alu instid0(VALU_DEP_4)
	v_fmac_f32_e32 v88, v37, v64
	v_fmac_f32_e32 v57, v35, v60
	v_fma_f32 v35, v70, v58, -v52
	v_fma_f32 v52, v70, v60, -v54
	v_mul_f32_e32 v54, v73, v63
	v_fma_f32 v34, v34, v60, -v55
	v_mul_f32_e32 v60, v72, v65
	v_dual_mul_f32 v55, v72, v63 :: v_dual_mul_f32 v70, v38, v69
	v_mul_f32_e32 v58, v73, v65
	v_fma_f32 v59, v36, v62, -v59
	v_fmac_f32_e32 v61, v37, v62
	v_fma_f32 v36, v36, v64, -v86
	v_dual_mul_f32 v37, v39, v67 :: v_dual_fmac_f32 v60, v73, v64
	v_dual_mul_f32 v63, v38, v67 :: v_dual_mul_f32 v86, v40, v81
	v_mul_f32_e32 v65, v39, v69
	v_fma_f32 v54, v72, v62, -v54
	v_fmac_f32_e32 v55, v73, v62
	v_fma_f32 v58, v72, v64, -v58
	v_mul_f32_e32 v72, v40, v79
	v_mul_f32_e32 v62, v75, v67
	v_dual_mul_f32 v64, v74, v67 :: v_dual_mul_f32 v67, v75, v69
	v_dual_mul_f32 v69, v74, v69 :: v_dual_fmac_f32 v70, v39, v68
	s_delay_alu instid0(VALU_DEP_2)
	v_dual_mul_f32 v71, v41, v79 :: v_dual_fmac_f32 v64, v75, v66
	v_fma_f32 v37, v38, v66, -v37
	v_fmac_f32_e32 v63, v39, v66
	v_fma_f32 v38, v38, v68, -v65
	v_fma_f32 v39, v74, v66, -v62
	v_dual_fmac_f32 v69, v75, v68 :: v_dual_fmac_f32 v72, v41, v78
	v_mul_f32_e32 v66, v76, v79
	v_fma_f32 v62, v74, v68, -v67
	v_mul_f32_e32 v68, v76, v81
	v_dual_mul_f32 v73, v41, v81 :: v_dual_add_f32 v14, v14, v82
	v_dual_mul_f32 v65, v77, v79 :: v_dual_add_f32 v12, v12, v85
	;; [unrolled: 1-line block ×3, first 2 shown]
	v_dual_fmac_f32 v86, v41, v80 :: v_dual_add_f32 v15, v15, v83
	v_dual_fmac_f32 v68, v77, v80 :: v_dual_add_f32 v7, v7, v18
	v_dual_add_f32 v13, v13, v22 :: v_dual_add_f32 v6, v6, v21
	v_dual_add_f32 v9, v9, v19 :: v_dual_add_f32 v14, v14, v45
	s_delay_alu instid0(VALU_DEP_4) | instskip(NEXT) | instid1(VALU_DEP_3)
	v_dual_fmac_f32 v66, v77, v78 :: v_dual_add_f32 v15, v15, v89
	v_dual_add_f32 v13, v13, v24 :: v_dual_add_f32 v12, v12, v91
	s_delay_alu instid0(VALU_DEP_3) | instskip(NEXT) | instid1(VALU_DEP_4)
	v_dual_add_f32 v8, v8, v20 :: v_dual_add_f32 v9, v9, v26
	v_dual_add_f32 v7, v7, v27 :: v_dual_add_f32 v14, v14, v25
	s_delay_alu instid0(VALU_DEP_4) | instskip(NEXT) | instid1(VALU_DEP_4)
	v_dual_add_f32 v6, v6, v43 :: v_dual_add_f32 v15, v15, v84
	v_dual_add_f32 v13, v13, v30 :: v_dual_add_f32 v12, v12, v87
	s_delay_alu instid0(VALU_DEP_4) | instskip(NEXT) | instid1(VALU_DEP_3)
	v_dual_add_f32 v8, v8, v28 :: v_dual_add_f32 v9, v9, v29
	v_dual_add_f32 v7, v7, v31 :: v_dual_add_f32 v6, v6, v44
	s_delay_alu instid0(VALU_DEP_4) | instskip(NEXT) | instid1(VALU_DEP_4)
	v_dual_add_f32 v14, v14, v47 :: v_dual_add_f32 v15, v15, v49
	v_dual_add_f32 v13, v13, v32 :: v_dual_add_f32 v12, v12, v90
	s_delay_alu instid0(VALU_DEP_3) | instskip(NEXT) | instid1(VALU_DEP_3)
	v_dual_add_f32 v8, v8, v42 :: v_dual_add_f32 v7, v7, v48
	v_dual_add_f32 v9, v9, v46 :: v_dual_add_f32 v14, v14, v33
	s_delay_alu instid0(VALU_DEP_4) | instskip(NEXT) | instid1(VALU_DEP_4)
	v_dual_add_f32 v6, v6, v50 :: v_dual_add_f32 v15, v15, v51
	v_dual_add_f32 v13, v13, v34 :: v_dual_add_f32 v12, v12, v57
	s_delay_alu instid0(VALU_DEP_3) | instskip(NEXT) | instid1(VALU_DEP_4)
	v_dual_add_f32 v8, v8, v35 :: v_dual_add_f32 v9, v9, v53
	v_dual_add_f32 v7, v7, v52 :: v_dual_add_f32 v14, v14, v59
	s_delay_alu instid0(VALU_DEP_4) | instskip(NEXT) | instid1(VALU_DEP_3)
	v_dual_add_f32 v6, v6, v56 :: v_dual_add_f32 v15, v15, v61
	v_dual_add_f32 v13, v13, v36 :: v_dual_add_f32 v8, v8, v54
	s_delay_alu instid0(VALU_DEP_4) | instskip(NEXT) | instid1(VALU_DEP_3)
	v_dual_add_f32 v12, v12, v88 :: v_dual_add_f32 v9, v9, v55
	v_dual_add_f32 v7, v7, v58 :: v_dual_add_f32 v6, v6, v60
	v_fma_f32 v71, v40, v78, -v71
	v_fma_f32 v40, v40, v80, -v73
	;; [unrolled: 1-line block ×4, first 2 shown]
	v_dual_add_f32 v14, v14, v37 :: v_dual_add_f32 v15, v15, v63
	v_dual_add_f32 v13, v13, v38 :: v_dual_add_f32 v8, v8, v39
	;; [unrolled: 1-line block ×4, first 2 shown]
	s_delay_alu instid0(VALU_DEP_4) | instskip(NEXT) | instid1(VALU_DEP_3)
	v_dual_add_f32 v14, v14, v71 :: v_dual_add_f32 v15, v15, v72
	v_dual_add_f32 v13, v13, v40 :: v_dual_add_f32 v12, v12, v86
	s_delay_alu instid0(VALU_DEP_4) | instskip(NEXT) | instid1(VALU_DEP_4)
	v_dual_add_f32 v8, v8, v41 :: v_dual_add_f32 v9, v9, v66
	v_dual_add_f32 v7, v7, v65 :: v_dual_add_f32 v6, v6, v68
	s_cbranch_vccz .LBB1239_2
.LBB1239_3:
	s_clause 0x1
	s_load_b128 s[4:7], s[0:1], 0x48
	s_load_b32 s2, s[0:1], 0x0
	v_add_nc_u32_e32 v5, s9, v5
	s_delay_alu instid0(VALU_DEP_1) | instskip(SKIP_1) | instid1(VALU_DEP_1)
	v_ashrrev_i32_e32 v0, 31, v5
	s_waitcnt lgkmcnt(0)
	v_mul_lo_u32 v3, v0, s4
	v_mul_lo_u32 v10, v5, s5
	v_mad_u64_u32 v[1:2], null, v5, s4, 0
	s_mul_i32 s1, s15, s7
	s_mul_hi_u32 s3, s15, s6
	s_mul_i32 s6, s15, s6
	s_add_i32 s7, s3, s1
	v_add_nc_u32_e32 v0, s8, v4
	s_lshl_b64 s[6:7], s[6:7], 3
	s_delay_alu instid0(VALU_DEP_2)
	v_add3_u32 v2, v2, v10, v3
	s_add_u32 s3, s30, s6
	v_cmp_gt_i32_e32 vcc_lo, s2, v5
	v_cmp_le_i32_e64 s0, v0, v5
	s_addc_u32 s6, s31, s7
	v_lshlrev_b64 v[1:2], 3, v[1:2]
	s_delay_alu instid0(VALU_DEP_2) | instskip(NEXT) | instid1(VALU_DEP_1)
	s_and_b32 s0, vcc_lo, s0
	v_add_co_u32 v4, s1, s3, v1
	s_delay_alu instid0(VALU_DEP_1)
	v_add_co_ci_u32_e64 v10, s1, s6, v2, s1
	s_and_saveexec_b32 s1, s0
	s_cbranch_execz .LBB1239_6
; %bb.4:
	v_ashrrev_i32_e32 v1, 31, v0
	s_delay_alu instid0(VALU_DEP_1) | instskip(NEXT) | instid1(VALU_DEP_1)
	v_lshlrev_b64 v[1:2], 3, v[0:1]
	v_add_co_u32 v1, s0, v4, v1
	s_delay_alu instid0(VALU_DEP_1)
	v_add_co_ci_u32_e64 v2, s0, v10, v2, s0
	v_cmp_eq_u32_e64 s0, v5, v0
	global_load_b64 v[16:17], v[1:2], off
	s_waitcnt vmcnt(0)
	v_dual_add_f32 v14, v14, v16 :: v_dual_add_f32 v15, v15, v17
	global_store_b64 v[1:2], v[14:15], off
	s_and_b32 exec_lo, exec_lo, s0
	s_cbranch_execz .LBB1239_6
; %bb.5:
	v_mov_b32_e32 v3, 0
	global_store_b32 v[1:2], v3, off offset:4
.LBB1239_6:
	s_or_b32 exec_lo, exec_lo, s1
	v_add_nc_u32_e32 v2, 16, v0
	s_delay_alu instid0(VALU_DEP_1) | instskip(NEXT) | instid1(VALU_DEP_1)
	v_cmp_le_i32_e64 s0, v2, v5
	s_and_b32 s1, vcc_lo, s0
	s_delay_alu instid0(SALU_CYCLE_1)
	s_and_saveexec_b32 s0, s1
	s_cbranch_execz .LBB1239_9
; %bb.7:
	v_ashrrev_i32_e32 v3, 31, v2
	s_delay_alu instid0(VALU_DEP_1) | instskip(NEXT) | instid1(VALU_DEP_1)
	v_lshlrev_b64 v[14:15], 3, v[2:3]
	v_add_co_u32 v3, vcc_lo, v4, v14
	s_delay_alu instid0(VALU_DEP_2)
	v_add_co_ci_u32_e32 v4, vcc_lo, v10, v15, vcc_lo
	v_cmp_eq_u32_e32 vcc_lo, v5, v2
	global_load_b64 v[10:11], v[3:4], off
	s_waitcnt vmcnt(0)
	v_dual_add_f32 v10, v13, v10 :: v_dual_add_f32 v11, v12, v11
	global_store_b64 v[3:4], v[10:11], off
	s_and_b32 exec_lo, exec_lo, vcc_lo
	s_cbranch_execz .LBB1239_9
; %bb.8:
	v_mov_b32_e32 v1, 0
	global_store_b32 v[3:4], v1, off offset:4
.LBB1239_9:
	s_or_b32 exec_lo, exec_lo, s0
	v_add_nc_u32_e32 v10, 16, v5
	s_delay_alu instid0(VALU_DEP_1) | instskip(SKIP_3) | instid1(VALU_DEP_4)
	v_ashrrev_i32_e32 v1, 31, v10
	v_mul_lo_u32 v11, v10, s5
	v_mad_u64_u32 v[3:4], null, v10, s4, 0
	v_cmp_gt_i32_e32 vcc_lo, s2, v10
	v_mul_lo_u32 v1, v1, s4
	v_cmp_le_i32_e64 s0, v0, v10
	s_delay_alu instid0(VALU_DEP_1) | instskip(NEXT) | instid1(VALU_DEP_2)
	s_and_b32 s0, vcc_lo, s0
	v_add3_u32 v4, v4, v11, v1
	s_delay_alu instid0(VALU_DEP_1) | instskip(NEXT) | instid1(VALU_DEP_1)
	v_lshlrev_b64 v[3:4], 3, v[3:4]
	v_add_co_u32 v11, s1, s3, v3
	s_delay_alu instid0(VALU_DEP_1)
	v_add_co_ci_u32_e64 v12, s1, s6, v4, s1
	s_and_saveexec_b32 s1, s0
	s_cbranch_execz .LBB1239_12
; %bb.10:
	v_ashrrev_i32_e32 v1, 31, v0
	s_delay_alu instid0(VALU_DEP_1) | instskip(NEXT) | instid1(VALU_DEP_1)
	v_lshlrev_b64 v[3:4], 3, v[0:1]
	v_add_co_u32 v3, s0, v11, v3
	s_delay_alu instid0(VALU_DEP_1)
	v_add_co_ci_u32_e64 v4, s0, v12, v4, s0
	v_cmp_eq_u32_e64 s0, v10, v0
	global_load_b64 v[13:14], v[3:4], off
	s_waitcnt vmcnt(0)
	v_dual_add_f32 v8, v8, v13 :: v_dual_add_f32 v9, v9, v14
	global_store_b64 v[3:4], v[8:9], off
	s_and_b32 exec_lo, exec_lo, s0
	s_cbranch_execz .LBB1239_12
; %bb.11:
	v_mov_b32_e32 v1, 0
	global_store_b32 v[3:4], v1, off offset:4
.LBB1239_12:
	s_or_b32 exec_lo, exec_lo, s1
	v_cmp_le_i32_e64 s0, v2, v10
	s_delay_alu instid0(VALU_DEP_1) | instskip(NEXT) | instid1(SALU_CYCLE_1)
	s_and_b32 s0, vcc_lo, s0
	s_and_saveexec_b32 s1, s0
	s_cbranch_execz .LBB1239_15
; %bb.13:
	v_ashrrev_i32_e32 v3, 31, v2
	s_delay_alu instid0(VALU_DEP_1) | instskip(NEXT) | instid1(VALU_DEP_1)
	v_lshlrev_b64 v[1:2], 3, v[2:3]
	v_add_co_u32 v1, vcc_lo, v11, v1
	s_delay_alu instid0(VALU_DEP_2)
	v_add_co_ci_u32_e32 v2, vcc_lo, v12, v2, vcc_lo
	v_cmp_eq_u32_e32 vcc_lo, v5, v0
	global_load_b64 v[3:4], v[1:2], off
	s_waitcnt vmcnt(0)
	v_dual_add_f32 v3, v7, v3 :: v_dual_add_f32 v4, v6, v4
	global_store_b64 v[1:2], v[3:4], off
	s_and_b32 exec_lo, exec_lo, vcc_lo
	s_cbranch_execz .LBB1239_15
; %bb.14:
	v_mov_b32_e32 v0, 0
	global_store_b32 v[1:2], v0, off offset:4
.LBB1239_15:
	s_nop 0
	s_sendmsg sendmsg(MSG_DEALLOC_VGPRS)
	s_endpgm
	.section	.rodata,"a",@progbits
	.p2align	6, 0x0
	.amdhsa_kernel _ZL37rocblas_syrkx_herkx_restricted_kernelIl19rocblas_complex_numIfELi16ELi32ELi8ELi1ELi1ELb1ELc78ELc85EKS1_S1_EviT_PT9_S3_lS5_S3_lPT10_S3_li
		.amdhsa_group_segment_fixed_size 4096
		.amdhsa_private_segment_fixed_size 0
		.amdhsa_kernarg_size 92
		.amdhsa_user_sgpr_count 13
		.amdhsa_user_sgpr_dispatch_ptr 0
		.amdhsa_user_sgpr_queue_ptr 0
		.amdhsa_user_sgpr_kernarg_segment_ptr 1
		.amdhsa_user_sgpr_dispatch_id 0
		.amdhsa_user_sgpr_private_segment_size 0
		.amdhsa_wavefront_size32 1
		.amdhsa_uses_dynamic_stack 0
		.amdhsa_enable_private_segment 0
		.amdhsa_system_sgpr_workgroup_id_x 1
		.amdhsa_system_sgpr_workgroup_id_y 1
		.amdhsa_system_sgpr_workgroup_id_z 1
		.amdhsa_system_sgpr_workgroup_info 0
		.amdhsa_system_vgpr_workitem_id 1
		.amdhsa_next_free_vgpr 92
		.amdhsa_next_free_sgpr 32
		.amdhsa_reserve_vcc 1
		.amdhsa_float_round_mode_32 0
		.amdhsa_float_round_mode_16_64 0
		.amdhsa_float_denorm_mode_32 3
		.amdhsa_float_denorm_mode_16_64 3
		.amdhsa_dx10_clamp 1
		.amdhsa_ieee_mode 1
		.amdhsa_fp16_overflow 0
		.amdhsa_workgroup_processor_mode 1
		.amdhsa_memory_ordered 1
		.amdhsa_forward_progress 0
		.amdhsa_shared_vgpr_count 0
		.amdhsa_exception_fp_ieee_invalid_op 0
		.amdhsa_exception_fp_denorm_src 0
		.amdhsa_exception_fp_ieee_div_zero 0
		.amdhsa_exception_fp_ieee_overflow 0
		.amdhsa_exception_fp_ieee_underflow 0
		.amdhsa_exception_fp_ieee_inexact 0
		.amdhsa_exception_int_div_zero 0
	.end_amdhsa_kernel
	.section	.text._ZL37rocblas_syrkx_herkx_restricted_kernelIl19rocblas_complex_numIfELi16ELi32ELi8ELi1ELi1ELb1ELc78ELc85EKS1_S1_EviT_PT9_S3_lS5_S3_lPT10_S3_li,"axG",@progbits,_ZL37rocblas_syrkx_herkx_restricted_kernelIl19rocblas_complex_numIfELi16ELi32ELi8ELi1ELi1ELb1ELc78ELc85EKS1_S1_EviT_PT9_S3_lS5_S3_lPT10_S3_li,comdat
.Lfunc_end1239:
	.size	_ZL37rocblas_syrkx_herkx_restricted_kernelIl19rocblas_complex_numIfELi16ELi32ELi8ELi1ELi1ELb1ELc78ELc85EKS1_S1_EviT_PT9_S3_lS5_S3_lPT10_S3_li, .Lfunc_end1239-_ZL37rocblas_syrkx_herkx_restricted_kernelIl19rocblas_complex_numIfELi16ELi32ELi8ELi1ELi1ELb1ELc78ELc85EKS1_S1_EviT_PT9_S3_lS5_S3_lPT10_S3_li
                                        ; -- End function
	.section	.AMDGPU.csdata,"",@progbits
; Kernel info:
; codeLenInByte = 2320
; NumSgprs: 34
; NumVgprs: 92
; ScratchSize: 0
; MemoryBound: 0
; FloatMode: 240
; IeeeMode: 1
; LDSByteSize: 4096 bytes/workgroup (compile time only)
; SGPRBlocks: 4
; VGPRBlocks: 11
; NumSGPRsForWavesPerEU: 34
; NumVGPRsForWavesPerEU: 92
; Occupancy: 16
; WaveLimiterHint : 1
; COMPUTE_PGM_RSRC2:SCRATCH_EN: 0
; COMPUTE_PGM_RSRC2:USER_SGPR: 13
; COMPUTE_PGM_RSRC2:TRAP_HANDLER: 0
; COMPUTE_PGM_RSRC2:TGID_X_EN: 1
; COMPUTE_PGM_RSRC2:TGID_Y_EN: 1
; COMPUTE_PGM_RSRC2:TGID_Z_EN: 1
; COMPUTE_PGM_RSRC2:TIDIG_COMP_CNT: 1
	.section	.text._ZL37rocblas_syrkx_herkx_restricted_kernelIl19rocblas_complex_numIfELi16ELi32ELi8ELi1ELin1ELb1ELc84ELc76EKS1_S1_EviT_PT9_S3_lS5_S3_lPT10_S3_li,"axG",@progbits,_ZL37rocblas_syrkx_herkx_restricted_kernelIl19rocblas_complex_numIfELi16ELi32ELi8ELi1ELin1ELb1ELc84ELc76EKS1_S1_EviT_PT9_S3_lS5_S3_lPT10_S3_li,comdat
	.globl	_ZL37rocblas_syrkx_herkx_restricted_kernelIl19rocblas_complex_numIfELi16ELi32ELi8ELi1ELin1ELb1ELc84ELc76EKS1_S1_EviT_PT9_S3_lS5_S3_lPT10_S3_li ; -- Begin function _ZL37rocblas_syrkx_herkx_restricted_kernelIl19rocblas_complex_numIfELi16ELi32ELi8ELi1ELin1ELb1ELc84ELc76EKS1_S1_EviT_PT9_S3_lS5_S3_lPT10_S3_li
	.p2align	8
	.type	_ZL37rocblas_syrkx_herkx_restricted_kernelIl19rocblas_complex_numIfELi16ELi32ELi8ELi1ELin1ELb1ELc84ELc76EKS1_S1_EviT_PT9_S3_lS5_S3_lPT10_S3_li,@function
_ZL37rocblas_syrkx_herkx_restricted_kernelIl19rocblas_complex_numIfELi16ELi32ELi8ELi1ELin1ELb1ELc84ELc76EKS1_S1_EviT_PT9_S3_lS5_S3_lPT10_S3_li: ; @_ZL37rocblas_syrkx_herkx_restricted_kernelIl19rocblas_complex_numIfELi16ELi32ELi8ELi1ELin1ELb1ELc84ELc76EKS1_S1_EviT_PT9_S3_lS5_S3_lPT10_S3_li
; %bb.0:
	s_load_b512 s[16:31], s[0:1], 0x8
	v_dual_mov_b32 v15, 0 :: v_dual_mov_b32 v16, 0
	v_dual_mov_b32 v13, 0 :: v_dual_mov_b32 v12, 0
	;; [unrolled: 1-line block ×3, first 2 shown]
	v_dual_mov_b32 v7, 0 :: v_dual_and_b32 v6, 0x3ff, v0
	v_bfe_u32 v8, v0, 10, 10
	v_mov_b32_e32 v1, 0
	s_lshl_b32 s8, s13, 5
	s_lshl_b32 s9, s14, 5
	s_waitcnt lgkmcnt(0)
	v_cmp_lt_i64_e64 s2, s[16:17], 1
	s_delay_alu instid0(VALU_DEP_1)
	s_and_b32 vcc_lo, exec_lo, s2
	s_cbranch_vccnz .LBB1240_3
; %bb.1:
	v_lshl_add_u32 v2, v8, 4, v6
	v_dual_mov_b32 v1, 0 :: v_dual_and_b32 v0, 7, v6
	s_mul_i32 s3, s23, s15
	s_mul_hi_u32 s4, s22, s15
	s_delay_alu instid0(VALU_DEP_2) | instskip(SKIP_3) | instid1(VALU_DEP_4)
	v_and_b32_e32 v7, 31, v2
	v_lshrrev_b32_e32 v12, 3, v2
	v_lshrrev_b32_e32 v2, 5, v2
	v_dual_mov_b32 v3, v1 :: v_dual_lshlrev_b32 v14, 3, v0
	v_add_nc_u32_e32 v9, s8, v7
	s_delay_alu instid0(VALU_DEP_4)
	v_add_nc_u32_e32 v13, s9, v12
	s_mul_i32 s2, s22, s15
	s_add_i32 s3, s4, s3
	s_mul_hi_u32 s5, s28, s15
	v_ashrrev_i32_e32 v10, 31, v9
	v_ashrrev_i32_e32 v15, 31, v13
	v_mad_u64_u32 v[4:5], null, s20, v9, v[2:3]
	v_mul_lo_u32 v3, s21, v9
	s_delay_alu instid0(VALU_DEP_4)
	v_mul_lo_u32 v16, s20, v10
	v_mul_lo_u32 v17, v13, s27
	v_mad_u64_u32 v[9:10], null, v13, s26, v[0:1]
	v_mul_lo_u32 v13, v15, s26
	v_lshlrev_b32_e32 v0, 3, v7
	v_lshl_or_b32 v7, v12, 6, v14
	s_lshl_b64 s[2:3], s[2:3], 3
	v_add3_u32 v5, v3, v5, v16
	s_add_u32 s4, s18, s2
	s_mul_i32 s2, s29, s15
	v_add_nc_u32_e32 v14, 0x800, v7
	v_add3_u32 v10, v13, v10, v17
	v_mov_b32_e32 v7, v1
	v_lshl_or_b32 v0, v2, 8, v0
	v_lshlrev_b64 v[2:3], 3, v[4:5]
	s_addc_u32 s6, s19, s3
	s_add_i32 s3, s5, s2
	s_mul_i32 s2, s28, s15
	v_lshlrev_b64 v[4:5], 3, v[9:10]
	v_mov_b32_e32 v9, v1
	s_lshl_b64 s[2:3], s[2:3], 3
	v_add_co_u32 v2, vcc_lo, s4, v2
	s_add_u32 s2, s24, s2
	v_add_co_ci_u32_e32 v3, vcc_lo, s6, v3, vcc_lo
	s_addc_u32 s3, s25, s3
	v_add_co_u32 v4, vcc_lo, s2, v4
	v_add_co_ci_u32_e32 v5, vcc_lo, s3, v5, vcc_lo
	v_add_co_u32 v2, vcc_lo, v2, 4
	v_add_co_ci_u32_e32 v3, vcc_lo, 0, v3, vcc_lo
	s_delay_alu instid0(VALU_DEP_4)
	v_add_co_u32 v4, vcc_lo, v4, 4
	v_dual_mov_b32 v10, v1 :: v_dual_lshlrev_b32 v11, 3, v6
	v_lshl_add_u32 v17, v8, 6, 0x800
	v_add_co_ci_u32_e32 v5, vcc_lo, 0, v5, vcc_lo
	v_mov_b32_e32 v12, v1
	v_mov_b32_e32 v13, v1
	;; [unrolled: 1-line block ×4, first 2 shown]
	s_mov_b64 s[2:3], 0
.LBB1240_2:                             ; =>This Inner Loop Header: Depth=1
	global_load_b64 v[18:19], v[2:3], off offset:-4
	global_load_b64 v[20:21], v[4:5], off offset:-4
	s_add_u32 s2, s2, 8
	v_add_co_u32 v2, vcc_lo, v2, 64
	s_addc_u32 s3, s3, 0
	v_add_co_ci_u32_e32 v3, vcc_lo, 0, v3, vcc_lo
	v_cmp_ge_u64_e64 s4, s[2:3], s[16:17]
	v_add_co_u32 v4, vcc_lo, v4, 64
	v_add_co_ci_u32_e32 v5, vcc_lo, 0, v5, vcc_lo
	s_waitcnt vmcnt(1)
	ds_store_b64 v0, v[18:19]
	s_waitcnt vmcnt(0)
	ds_store_b64 v14, v[20:21]
	s_waitcnt lgkmcnt(0)
	s_barrier
	buffer_gl0_inv
	ds_load_2addr_b64 v[18:21], v11 offset1:16
	ds_load_b128 v[22:25], v17
	ds_load_b128 v[26:29], v17 offset:1024
	ds_load_b128 v[30:33], v17 offset:16
	;; [unrolled: 1-line block ×4, first 2 shown]
	ds_load_2addr_b64 v[42:45], v11 offset0:32 offset1:48
	ds_load_2addr_b64 v[46:49], v11 offset0:64 offset1:80
	ds_load_b128 v[50:53], v17 offset:1040
	ds_load_2addr_b64 v[54:57], v11 offset0:96 offset1:112
	ds_load_2addr_b64 v[58:61], v11 offset0:128 offset1:144
	;; [unrolled: 1-line block ×4, first 2 shown]
	ds_load_b128 v[70:73], v17 offset:1056
	ds_load_b128 v[74:77], v17 offset:1072
	ds_load_2addr_b64 v[78:81], v11 offset0:224 offset1:240
	s_and_b32 vcc_lo, exec_lo, s4
	s_waitcnt lgkmcnt(0)
	s_barrier
	buffer_gl0_inv
	v_dual_mul_f32 v82, v23, v19 :: v_dual_mul_f32 v85, v22, v21
	v_dual_mul_f32 v83, v22, v19 :: v_dual_mul_f32 v84, v23, v21
	v_mul_f32_e32 v86, v27, v19
	v_dual_mul_f32 v19, v26, v19 :: v_dual_mul_f32 v90, v25, v45
	v_dual_mul_f32 v87, v27, v21 :: v_dual_mul_f32 v88, v25, v43
	v_mul_f32_e32 v21, v26, v21
	v_fma_f32 v82, v22, v18, -v82
	v_fmac_f32_e32 v83, v23, v18
	v_fma_f32 v22, v22, v20, -v84
	v_fmac_f32_e32 v85, v23, v20
	v_fma_f32 v23, v26, v18, -v86
	v_dual_fmac_f32 v19, v27, v18 :: v_dual_mul_f32 v86, v30, v47
	v_fma_f32 v18, v26, v20, -v87
	v_dual_fmac_f32 v21, v27, v20 :: v_dual_mul_f32 v20, v24, v45
	v_mul_f32_e32 v89, v24, v43
	v_mul_f32_e32 v26, v29, v43
	;; [unrolled: 1-line block ×4, first 2 shown]
	v_fmac_f32_e32 v20, v25, v44
	v_fmac_f32_e32 v89, v25, v42
	v_dual_mul_f32 v25, v28, v45 :: v_dual_fmac_f32 v86, v31, v46
	v_fma_f32 v84, v24, v42, -v88
	v_fma_f32 v24, v24, v44, -v90
	v_dual_mul_f32 v45, v31, v47 :: v_dual_mul_f32 v90, v33, v57
	v_fma_f32 v26, v28, v42, -v26
	v_fma_f32 v28, v28, v44, -v43
	v_fmac_f32_e32 v25, v29, v44
	v_dual_mul_f32 v43, v50, v47 :: v_dual_mul_f32 v44, v51, v49
	v_dual_fmac_f32 v27, v29, v42 :: v_dual_mul_f32 v42, v51, v47
	v_dual_mul_f32 v88, v32, v55 :: v_dual_mul_f32 v29, v30, v49
	v_mul_f32_e32 v87, v31, v49
	v_fma_f32 v45, v30, v46, -v45
	v_add_f32_e32 v16, v16, v83
	s_delay_alu instid0(VALU_DEP_4)
	v_dual_fmac_f32 v88, v33, v54 :: v_dual_fmac_f32 v29, v31, v48
	v_fma_f32 v31, v50, v46, -v42
	v_fma_f32 v42, v50, v48, -v44
	v_mul_f32_e32 v44, v32, v57
	v_mul_f32_e32 v47, v50, v49
	v_dual_mul_f32 v50, v53, v57 :: v_dual_fmac_f32 v43, v51, v46
	v_mul_f32_e32 v46, v53, v55
	v_mul_f32_e32 v49, v33, v55
	v_fma_f32 v30, v30, v48, -v87
	v_fmac_f32_e32 v44, v33, v56
	v_dual_fmac_f32 v47, v51, v48 :: v_dual_mul_f32 v48, v52, v55
	v_mul_f32_e32 v33, v52, v57
	v_fma_f32 v46, v52, v54, -v46
	v_fma_f32 v50, v52, v56, -v50
	v_mul_f32_e32 v52, v34, v61
	v_fma_f32 v49, v32, v54, -v49
	v_fma_f32 v32, v32, v56, -v90
	v_dual_mul_f32 v51, v35, v59 :: v_dual_fmac_f32 v48, v53, v54
	v_mul_f32_e32 v54, v70, v59
	v_dual_mul_f32 v55, v34, v59 :: v_dual_fmac_f32 v52, v35, v60
	v_fmac_f32_e32 v33, v53, v56
	v_mul_f32_e32 v53, v71, v59
	v_mul_f32_e32 v56, v71, v61
	v_mul_f32_e32 v57, v35, v61
	v_fmac_f32_e32 v54, v71, v58
	v_fmac_f32_e32 v55, v35, v58
	v_fma_f32 v35, v70, v58, -v53
	v_fma_f32 v53, v70, v60, -v56
	v_mul_f32_e32 v56, v36, v65
	v_mul_f32_e32 v59, v70, v61
	v_fma_f32 v51, v34, v58, -v51
	v_mul_f32_e32 v58, v72, v63
	v_mul_f32_e32 v87, v36, v63
	;; [unrolled: 1-line block ×4, first 2 shown]
	v_fma_f32 v34, v34, v60, -v57
	v_mul_f32_e32 v57, v73, v63
	v_fmac_f32_e32 v56, v37, v64
	v_dual_fmac_f32 v59, v71, v60 :: v_dual_mul_f32 v60, v73, v65
	v_mul_f32_e32 v63, v39, v67
	v_mul_f32_e32 v70, v39, v69
	v_fmac_f32_e32 v58, v73, v62
	v_fmac_f32_e32 v87, v37, v62
	v_mul_f32_e32 v37, v72, v65
	v_fma_f32 v61, v36, v62, -v61
	v_fma_f32 v36, v36, v64, -v90
	v_mul_f32_e32 v65, v38, v67
	v_fma_f32 v57, v72, v62, -v57
	v_fma_f32 v60, v72, v64, -v60
	v_dual_fmac_f32 v37, v73, v64 :: v_dual_mul_f32 v62, v38, v69
	v_mul_f32_e32 v64, v75, v67
	v_fma_f32 v63, v38, v66, -v63
	v_fma_f32 v38, v38, v68, -v70
	v_mul_f32_e32 v70, v76, v79
	v_mul_f32_e32 v67, v74, v67
	v_dual_mul_f32 v71, v75, v69 :: v_dual_add_f32 v10, v10, v19
	v_dual_fmac_f32 v65, v39, v66 :: v_dual_add_f32 v12, v12, v85
	s_delay_alu instid0(VALU_DEP_4) | instskip(NEXT) | instid1(VALU_DEP_4)
	v_fmac_f32_e32 v70, v77, v78
	v_fmac_f32_e32 v67, v75, v66
	v_fmac_f32_e32 v62, v39, v68
	v_fma_f32 v39, v74, v66, -v64
	v_fma_f32 v64, v74, v68, -v71
	v_dual_mul_f32 v71, v77, v81 :: v_dual_add_f32 v10, v10, v27
	v_dual_mul_f32 v69, v74, v69 :: v_dual_add_f32 v12, v12, v20
	;; [unrolled: 1-line block ×3, first 2 shown]
	s_delay_alu instid0(VALU_DEP_3)
	v_add_f32_e32 v10, v10, v43
	v_mul_f32_e32 v73, v40, v79
	v_mul_f32_e32 v72, v41, v79
	v_dual_mul_f32 v90, v41, v81 :: v_dual_fmac_f32 v69, v75, v68
	v_add_f32_e32 v16, v16, v89
	v_fmac_f32_e32 v66, v41, v80
	v_dual_add_f32 v10, v10, v48 :: v_dual_fmac_f32 v73, v41, v78
	v_add_f32_e32 v12, v12, v29
	v_mul_f32_e32 v41, v76, v81
	v_add_f32_e32 v16, v16, v86
	s_delay_alu instid0(VALU_DEP_4) | instskip(SKIP_4) | instid1(VALU_DEP_3)
	v_add_f32_e32 v10, v10, v54
	v_add_f32_e32 v13, v13, v22
	v_dual_add_f32 v9, v9, v23 :: v_dual_add_f32 v12, v12, v44
	v_fmac_f32_e32 v41, v77, v80
	v_dual_add_f32 v16, v16, v88 :: v_dual_add_f32 v7, v7, v18
	v_dual_add_f32 v1, v1, v21 :: v_dual_add_f32 v12, v12, v52
	;; [unrolled: 1-line block ×3, first 2 shown]
	s_delay_alu instid0(VALU_DEP_3) | instskip(NEXT) | instid1(VALU_DEP_3)
	v_dual_add_f32 v16, v16, v55 :: v_dual_add_f32 v15, v15, v84
	v_dual_add_f32 v9, v9, v26 :: v_dual_add_f32 v12, v12, v56
	s_delay_alu instid0(VALU_DEP_2) | instskip(SKIP_1) | instid1(VALU_DEP_4)
	v_dual_add_f32 v1, v1, v25 :: v_dual_add_f32 v16, v16, v87
	v_add_f32_e32 v7, v7, v28
	v_dual_add_f32 v15, v15, v45 :: v_dual_add_f32 v10, v10, v67
	s_delay_alu instid0(VALU_DEP_4) | instskip(NEXT) | instid1(VALU_DEP_4)
	v_dual_add_f32 v12, v12, v62 :: v_dual_add_f32 v9, v9, v31
	v_dual_add_f32 v1, v1, v47 :: v_dual_add_f32 v16, v16, v65
	s_delay_alu instid0(VALU_DEP_3)
	v_add_f32_e32 v10, v10, v70
	v_add_f32_e32 v13, v13, v30
	v_add_f32_e32 v7, v7, v42
	v_add_f32_e32 v15, v15, v49
	v_add_f32_e32 v16, v16, v73
	v_add_f32_e32 v1, v1, v33
	v_add_f32_e32 v13, v13, v32
	v_add_f32_e32 v7, v7, v50
	v_add_f32_e32 v12, v12, v66
	v_add_f32_e32 v9, v9, v46
	v_add_f32_e32 v15, v15, v51
	v_add_f32_e32 v13, v13, v34
	v_add_f32_e32 v7, v7, v53
	v_add_f32_e32 v1, v1, v59
	v_add_f32_e32 v9, v9, v35
	v_dual_mul_f32 v68, v77, v79 :: v_dual_add_f32 v15, v15, v61
	v_add_f32_e32 v13, v13, v36
	v_add_f32_e32 v7, v7, v60
	s_delay_alu instid0(VALU_DEP_4)
	v_add_f32_e32 v9, v9, v57
	v_add_f32_e32 v1, v1, v37
	v_fma_f32 v72, v40, v78, -v72
	v_fma_f32 v40, v40, v80, -v90
	v_fma_f32 v68, v76, v78, -v68
	v_fma_f32 v71, v76, v80, -v71
	v_add_f32_e32 v15, v15, v63
	v_add_f32_e32 v13, v13, v38
	;; [unrolled: 1-line block ×10, first 2 shown]
	s_cbranch_vccz .LBB1240_2
.LBB1240_3:
	s_load_b128 s[4:7], s[0:1], 0x48
	v_add_nc_u32_e32 v0, s9, v8
	s_load_b32 s9, s[0:1], 0x0
	s_delay_alu instid0(VALU_DEP_1) | instskip(SKIP_1) | instid1(VALU_DEP_1)
	v_ashrrev_i32_e32 v2, 31, v0
	s_waitcnt lgkmcnt(0)
	v_mul_lo_u32 v5, v2, s4
	v_mul_lo_u32 v8, v0, s5
	v_mad_u64_u32 v[3:4], null, v0, s4, 0
	s_mul_i32 s1, s15, s7
	s_mul_hi_u32 s3, s15, s6
	s_mul_i32 s2, s15, s6
	s_add_i32 s3, s3, s1
	v_add_nc_u32_e32 v2, s8, v6
	s_lshl_b64 s[2:3], s[2:3], 3
	s_delay_alu instid0(VALU_DEP_2)
	v_add3_u32 v4, v4, v8, v5
	s_add_u32 s2, s30, s2
	s_addc_u32 s3, s31, s3
	v_cmp_le_i32_e64 s0, v0, v2
	v_cmp_gt_i32_e32 vcc_lo, s9, v2
	v_lshlrev_b64 v[3:4], 3, v[3:4]
	s_delay_alu instid0(VALU_DEP_3) | instskip(NEXT) | instid1(VALU_DEP_1)
	s_and_b32 s0, s0, vcc_lo
	v_add_co_u32 v6, s1, s2, v3
	s_delay_alu instid0(VALU_DEP_1)
	v_add_co_ci_u32_e64 v8, s1, s3, v4, s1
	s_and_saveexec_b32 s1, s0
	s_cbranch_execz .LBB1240_6
; %bb.4:
	v_ashrrev_i32_e32 v3, 31, v2
	s_delay_alu instid0(VALU_DEP_1) | instskip(NEXT) | instid1(VALU_DEP_1)
	v_lshlrev_b64 v[3:4], 3, v[2:3]
	v_add_co_u32 v3, s0, v6, v3
	s_delay_alu instid0(VALU_DEP_1)
	v_add_co_ci_u32_e64 v4, s0, v8, v4, s0
	v_cmp_eq_u32_e64 s0, v0, v2
	global_load_b64 v[17:18], v[3:4], off
	s_waitcnt vmcnt(0)
	v_dual_sub_f32 v14, v15, v17 :: v_dual_sub_f32 v15, v16, v18
	global_store_b64 v[3:4], v[14:15], off
	s_and_b32 exec_lo, exec_lo, s0
	s_cbranch_execz .LBB1240_6
; %bb.5:
	v_mov_b32_e32 v5, 0
	global_store_b32 v[3:4], v5, off offset:4
.LBB1240_6:
	s_or_b32 exec_lo, exec_lo, s1
	v_add_nc_u32_e32 v4, 16, v2
	s_delay_alu instid0(VALU_DEP_1) | instskip(SKIP_1) | instid1(VALU_DEP_1)
	v_cmp_le_i32_e64 s1, v0, v4
	v_cmp_gt_i32_e64 s0, s9, v4
	s_and_b32 s1, s1, s0
	s_delay_alu instid0(SALU_CYCLE_1)
	s_and_saveexec_b32 s6, s1
	s_cbranch_execz .LBB1240_9
; %bb.7:
	v_ashrrev_i32_e32 v5, 31, v4
	s_delay_alu instid0(VALU_DEP_1) | instskip(NEXT) | instid1(VALU_DEP_1)
	v_lshlrev_b64 v[14:15], 3, v[4:5]
	v_add_co_u32 v5, s1, v6, v14
	s_delay_alu instid0(VALU_DEP_1)
	v_add_co_ci_u32_e64 v6, s1, v8, v15, s1
	v_cmp_eq_u32_e64 s1, v0, v4
	global_load_b64 v[14:15], v[5:6], off
	s_waitcnt vmcnt(0)
	v_dual_sub_f32 v11, v13, v14 :: v_dual_sub_f32 v12, v12, v15
	global_store_b64 v[5:6], v[11:12], off
	s_and_b32 exec_lo, exec_lo, s1
	s_cbranch_execz .LBB1240_9
; %bb.8:
	v_mov_b32_e32 v3, 0
	global_store_b32 v[5:6], v3, off offset:4
.LBB1240_9:
	s_or_b32 exec_lo, exec_lo, s6
	v_add_nc_u32_e32 v8, 16, v0
	s_delay_alu instid0(VALU_DEP_1) | instskip(SKIP_3) | instid1(VALU_DEP_4)
	v_ashrrev_i32_e32 v3, 31, v8
	v_mul_lo_u32 v11, v8, s5
	v_mad_u64_u32 v[5:6], null, v8, s4, 0
	v_cmp_le_i32_e64 s1, v8, v2
	v_mul_lo_u32 v3, v3, s4
	s_delay_alu instid0(VALU_DEP_1) | instskip(NEXT) | instid1(VALU_DEP_1)
	v_add3_u32 v6, v6, v11, v3
	v_lshlrev_b64 v[5:6], 3, v[5:6]
	s_delay_alu instid0(VALU_DEP_1) | instskip(NEXT) | instid1(VALU_DEP_1)
	v_add_co_u32 v11, s2, s2, v5
	v_add_co_ci_u32_e64 v12, s2, s3, v6, s2
	s_and_b32 s2, s1, vcc_lo
	s_delay_alu instid0(SALU_CYCLE_1)
	s_and_saveexec_b32 s1, s2
	s_cbranch_execz .LBB1240_12
; %bb.10:
	v_ashrrev_i32_e32 v3, 31, v2
	s_delay_alu instid0(VALU_DEP_1) | instskip(NEXT) | instid1(VALU_DEP_1)
	v_lshlrev_b64 v[5:6], 3, v[2:3]
	v_add_co_u32 v5, vcc_lo, v11, v5
	s_delay_alu instid0(VALU_DEP_2)
	v_add_co_ci_u32_e32 v6, vcc_lo, v12, v6, vcc_lo
	v_cmp_eq_u32_e32 vcc_lo, v8, v2
	global_load_b64 v[13:14], v[5:6], off
	s_waitcnt vmcnt(0)
	v_dual_sub_f32 v9, v9, v13 :: v_dual_sub_f32 v10, v10, v14
	global_store_b64 v[5:6], v[9:10], off
	s_and_b32 exec_lo, exec_lo, vcc_lo
	s_cbranch_execz .LBB1240_12
; %bb.11:
	v_mov_b32_e32 v3, 0
	global_store_b32 v[5:6], v3, off offset:4
.LBB1240_12:
	s_or_b32 exec_lo, exec_lo, s1
	v_cmp_le_i32_e32 vcc_lo, v8, v4
	s_and_b32 s0, vcc_lo, s0
	s_delay_alu instid0(SALU_CYCLE_1)
	s_and_saveexec_b32 s1, s0
	s_cbranch_execz .LBB1240_15
; %bb.13:
	v_ashrrev_i32_e32 v5, 31, v4
	s_delay_alu instid0(VALU_DEP_1) | instskip(NEXT) | instid1(VALU_DEP_1)
	v_lshlrev_b64 v[3:4], 3, v[4:5]
	v_add_co_u32 v3, vcc_lo, v11, v3
	s_delay_alu instid0(VALU_DEP_2)
	v_add_co_ci_u32_e32 v4, vcc_lo, v12, v4, vcc_lo
	v_cmp_eq_u32_e32 vcc_lo, v0, v2
	global_load_b64 v[5:6], v[3:4], off
	s_waitcnt vmcnt(0)
	v_dual_sub_f32 v5, v7, v5 :: v_dual_sub_f32 v6, v1, v6
	global_store_b64 v[3:4], v[5:6], off
	s_and_b32 exec_lo, exec_lo, vcc_lo
	s_cbranch_execz .LBB1240_15
; %bb.14:
	v_mov_b32_e32 v0, 0
	global_store_b32 v[3:4], v0, off offset:4
.LBB1240_15:
	s_nop 0
	s_sendmsg sendmsg(MSG_DEALLOC_VGPRS)
	s_endpgm
	.section	.rodata,"a",@progbits
	.p2align	6, 0x0
	.amdhsa_kernel _ZL37rocblas_syrkx_herkx_restricted_kernelIl19rocblas_complex_numIfELi16ELi32ELi8ELi1ELin1ELb1ELc84ELc76EKS1_S1_EviT_PT9_S3_lS5_S3_lPT10_S3_li
		.amdhsa_group_segment_fixed_size 4096
		.amdhsa_private_segment_fixed_size 0
		.amdhsa_kernarg_size 92
		.amdhsa_user_sgpr_count 13
		.amdhsa_user_sgpr_dispatch_ptr 0
		.amdhsa_user_sgpr_queue_ptr 0
		.amdhsa_user_sgpr_kernarg_segment_ptr 1
		.amdhsa_user_sgpr_dispatch_id 0
		.amdhsa_user_sgpr_private_segment_size 0
		.amdhsa_wavefront_size32 1
		.amdhsa_uses_dynamic_stack 0
		.amdhsa_enable_private_segment 0
		.amdhsa_system_sgpr_workgroup_id_x 1
		.amdhsa_system_sgpr_workgroup_id_y 1
		.amdhsa_system_sgpr_workgroup_id_z 1
		.amdhsa_system_sgpr_workgroup_info 0
		.amdhsa_system_vgpr_workitem_id 1
		.amdhsa_next_free_vgpr 91
		.amdhsa_next_free_sgpr 32
		.amdhsa_reserve_vcc 1
		.amdhsa_float_round_mode_32 0
		.amdhsa_float_round_mode_16_64 0
		.amdhsa_float_denorm_mode_32 3
		.amdhsa_float_denorm_mode_16_64 3
		.amdhsa_dx10_clamp 1
		.amdhsa_ieee_mode 1
		.amdhsa_fp16_overflow 0
		.amdhsa_workgroup_processor_mode 1
		.amdhsa_memory_ordered 1
		.amdhsa_forward_progress 0
		.amdhsa_shared_vgpr_count 0
		.amdhsa_exception_fp_ieee_invalid_op 0
		.amdhsa_exception_fp_denorm_src 0
		.amdhsa_exception_fp_ieee_div_zero 0
		.amdhsa_exception_fp_ieee_overflow 0
		.amdhsa_exception_fp_ieee_underflow 0
		.amdhsa_exception_fp_ieee_inexact 0
		.amdhsa_exception_int_div_zero 0
	.end_amdhsa_kernel
	.section	.text._ZL37rocblas_syrkx_herkx_restricted_kernelIl19rocblas_complex_numIfELi16ELi32ELi8ELi1ELin1ELb1ELc84ELc76EKS1_S1_EviT_PT9_S3_lS5_S3_lPT10_S3_li,"axG",@progbits,_ZL37rocblas_syrkx_herkx_restricted_kernelIl19rocblas_complex_numIfELi16ELi32ELi8ELi1ELin1ELb1ELc84ELc76EKS1_S1_EviT_PT9_S3_lS5_S3_lPT10_S3_li,comdat
.Lfunc_end1240:
	.size	_ZL37rocblas_syrkx_herkx_restricted_kernelIl19rocblas_complex_numIfELi16ELi32ELi8ELi1ELin1ELb1ELc84ELc76EKS1_S1_EviT_PT9_S3_lS5_S3_lPT10_S3_li, .Lfunc_end1240-_ZL37rocblas_syrkx_herkx_restricted_kernelIl19rocblas_complex_numIfELi16ELi32ELi8ELi1ELin1ELb1ELc84ELc76EKS1_S1_EviT_PT9_S3_lS5_S3_lPT10_S3_li
                                        ; -- End function
	.section	.AMDGPU.csdata,"",@progbits
; Kernel info:
; codeLenInByte = 2288
; NumSgprs: 34
; NumVgprs: 91
; ScratchSize: 0
; MemoryBound: 0
; FloatMode: 240
; IeeeMode: 1
; LDSByteSize: 4096 bytes/workgroup (compile time only)
; SGPRBlocks: 4
; VGPRBlocks: 11
; NumSGPRsForWavesPerEU: 34
; NumVGPRsForWavesPerEU: 91
; Occupancy: 16
; WaveLimiterHint : 1
; COMPUTE_PGM_RSRC2:SCRATCH_EN: 0
; COMPUTE_PGM_RSRC2:USER_SGPR: 13
; COMPUTE_PGM_RSRC2:TRAP_HANDLER: 0
; COMPUTE_PGM_RSRC2:TGID_X_EN: 1
; COMPUTE_PGM_RSRC2:TGID_Y_EN: 1
; COMPUTE_PGM_RSRC2:TGID_Z_EN: 1
; COMPUTE_PGM_RSRC2:TIDIG_COMP_CNT: 1
	.section	.text._ZL37rocblas_syrkx_herkx_restricted_kernelIl19rocblas_complex_numIfELi16ELi32ELi8ELi1ELin1ELb1ELc67ELc76EKS1_S1_EviT_PT9_S3_lS5_S3_lPT10_S3_li,"axG",@progbits,_ZL37rocblas_syrkx_herkx_restricted_kernelIl19rocblas_complex_numIfELi16ELi32ELi8ELi1ELin1ELb1ELc67ELc76EKS1_S1_EviT_PT9_S3_lS5_S3_lPT10_S3_li,comdat
	.globl	_ZL37rocblas_syrkx_herkx_restricted_kernelIl19rocblas_complex_numIfELi16ELi32ELi8ELi1ELin1ELb1ELc67ELc76EKS1_S1_EviT_PT9_S3_lS5_S3_lPT10_S3_li ; -- Begin function _ZL37rocblas_syrkx_herkx_restricted_kernelIl19rocblas_complex_numIfELi16ELi32ELi8ELi1ELin1ELb1ELc67ELc76EKS1_S1_EviT_PT9_S3_lS5_S3_lPT10_S3_li
	.p2align	8
	.type	_ZL37rocblas_syrkx_herkx_restricted_kernelIl19rocblas_complex_numIfELi16ELi32ELi8ELi1ELin1ELb1ELc67ELc76EKS1_S1_EviT_PT9_S3_lS5_S3_lPT10_S3_li,@function
_ZL37rocblas_syrkx_herkx_restricted_kernelIl19rocblas_complex_numIfELi16ELi32ELi8ELi1ELin1ELb1ELc67ELc76EKS1_S1_EviT_PT9_S3_lS5_S3_lPT10_S3_li: ; @_ZL37rocblas_syrkx_herkx_restricted_kernelIl19rocblas_complex_numIfELi16ELi32ELi8ELi1ELin1ELb1ELc67ELc76EKS1_S1_EviT_PT9_S3_lS5_S3_lPT10_S3_li
; %bb.0:
	s_load_b512 s[16:31], s[0:1], 0x8
	v_dual_mov_b32 v15, 0 :: v_dual_mov_b32 v16, 0
	v_dual_mov_b32 v13, 0 :: v_dual_mov_b32 v12, 0
	;; [unrolled: 1-line block ×3, first 2 shown]
	v_dual_mov_b32 v7, 0 :: v_dual_and_b32 v6, 0x3ff, v0
	v_bfe_u32 v8, v0, 10, 10
	v_mov_b32_e32 v1, 0
	s_lshl_b32 s8, s13, 5
	s_lshl_b32 s9, s14, 5
	s_waitcnt lgkmcnt(0)
	v_cmp_lt_i64_e64 s2, s[16:17], 1
	s_delay_alu instid0(VALU_DEP_1)
	s_and_b32 vcc_lo, exec_lo, s2
	s_cbranch_vccnz .LBB1241_3
; %bb.1:
	v_lshl_add_u32 v2, v8, 4, v6
	v_dual_mov_b32 v1, 0 :: v_dual_and_b32 v0, 7, v6
	s_mul_i32 s3, s23, s15
	s_mul_hi_u32 s4, s22, s15
	s_delay_alu instid0(VALU_DEP_2) | instskip(SKIP_3) | instid1(VALU_DEP_4)
	v_and_b32_e32 v7, 31, v2
	v_lshrrev_b32_e32 v12, 3, v2
	v_lshrrev_b32_e32 v2, 5, v2
	v_dual_mov_b32 v3, v1 :: v_dual_lshlrev_b32 v14, 3, v0
	v_add_nc_u32_e32 v9, s8, v7
	s_delay_alu instid0(VALU_DEP_4)
	v_add_nc_u32_e32 v13, s9, v12
	s_mul_i32 s2, s22, s15
	s_add_i32 s3, s4, s3
	s_mul_hi_u32 s5, s28, s15
	v_ashrrev_i32_e32 v10, 31, v9
	v_ashrrev_i32_e32 v15, 31, v13
	v_mad_u64_u32 v[4:5], null, s20, v9, v[2:3]
	v_mul_lo_u32 v3, s21, v9
	s_delay_alu instid0(VALU_DEP_4)
	v_mul_lo_u32 v16, s20, v10
	v_mul_lo_u32 v17, v13, s27
	v_mad_u64_u32 v[9:10], null, v13, s26, v[0:1]
	v_mul_lo_u32 v13, v15, s26
	v_lshlrev_b32_e32 v0, 3, v7
	v_lshl_or_b32 v7, v12, 6, v14
	s_lshl_b64 s[2:3], s[2:3], 3
	v_add3_u32 v5, v3, v5, v16
	s_add_u32 s4, s18, s2
	s_mul_i32 s2, s29, s15
	v_add_nc_u32_e32 v14, 0x800, v7
	v_add3_u32 v10, v13, v10, v17
	v_mov_b32_e32 v7, v1
	v_lshl_or_b32 v0, v2, 8, v0
	v_lshlrev_b64 v[2:3], 3, v[4:5]
	s_addc_u32 s6, s19, s3
	s_add_i32 s3, s5, s2
	s_mul_i32 s2, s28, s15
	v_lshlrev_b64 v[4:5], 3, v[9:10]
	v_mov_b32_e32 v9, v1
	s_lshl_b64 s[2:3], s[2:3], 3
	v_add_co_u32 v2, vcc_lo, s4, v2
	s_add_u32 s2, s24, s2
	v_add_co_ci_u32_e32 v3, vcc_lo, s6, v3, vcc_lo
	s_addc_u32 s3, s25, s3
	v_add_co_u32 v4, vcc_lo, s2, v4
	v_add_co_ci_u32_e32 v5, vcc_lo, s3, v5, vcc_lo
	v_add_co_u32 v2, vcc_lo, v2, 4
	v_add_co_ci_u32_e32 v3, vcc_lo, 0, v3, vcc_lo
	s_delay_alu instid0(VALU_DEP_4)
	v_add_co_u32 v4, vcc_lo, v4, 4
	v_dual_mov_b32 v10, v1 :: v_dual_lshlrev_b32 v11, 3, v6
	v_lshl_add_u32 v17, v8, 6, 0x800
	v_add_co_ci_u32_e32 v5, vcc_lo, 0, v5, vcc_lo
	v_mov_b32_e32 v12, v1
	v_mov_b32_e32 v13, v1
	;; [unrolled: 1-line block ×4, first 2 shown]
	s_mov_b64 s[2:3], 0
.LBB1241_2:                             ; =>This Inner Loop Header: Depth=1
	global_load_b64 v[18:19], v[2:3], off offset:-4
	global_load_b64 v[20:21], v[4:5], off offset:-4
	s_add_u32 s2, s2, 8
	v_add_co_u32 v2, vcc_lo, v2, 64
	s_addc_u32 s3, s3, 0
	v_add_co_ci_u32_e32 v3, vcc_lo, 0, v3, vcc_lo
	v_cmp_ge_u64_e64 s4, s[2:3], s[16:17]
	v_add_co_u32 v4, vcc_lo, v4, 64
	v_add_co_ci_u32_e32 v5, vcc_lo, 0, v5, vcc_lo
	s_delay_alu instid0(VALU_DEP_3)
	s_and_b32 vcc_lo, exec_lo, s4
	s_waitcnt vmcnt(1)
	v_xor_b32_e32 v19, 0x80000000, v19
	ds_store_b64 v0, v[18:19]
	s_waitcnt vmcnt(0)
	ds_store_b64 v14, v[20:21]
	s_waitcnt lgkmcnt(0)
	s_barrier
	buffer_gl0_inv
	ds_load_2addr_b64 v[18:21], v11 offset1:16
	ds_load_b128 v[22:25], v17
	ds_load_b128 v[26:29], v17 offset:1024
	ds_load_b128 v[30:33], v17 offset:16
	;; [unrolled: 1-line block ×4, first 2 shown]
	ds_load_2addr_b64 v[42:45], v11 offset0:32 offset1:48
	ds_load_2addr_b64 v[46:49], v11 offset0:64 offset1:80
	ds_load_b128 v[50:53], v17 offset:1040
	ds_load_2addr_b64 v[54:57], v11 offset0:96 offset1:112
	ds_load_2addr_b64 v[58:61], v11 offset0:128 offset1:144
	;; [unrolled: 1-line block ×4, first 2 shown]
	ds_load_b128 v[70:73], v17 offset:1056
	ds_load_b128 v[74:77], v17 offset:1072
	ds_load_2addr_b64 v[78:81], v11 offset0:224 offset1:240
	s_waitcnt lgkmcnt(0)
	s_barrier
	buffer_gl0_inv
	v_dual_mul_f32 v82, v23, v19 :: v_dual_mul_f32 v85, v22, v21
	v_dual_mul_f32 v83, v22, v19 :: v_dual_mul_f32 v84, v23, v21
	v_mul_f32_e32 v86, v27, v19
	v_dual_mul_f32 v19, v26, v19 :: v_dual_mul_f32 v90, v25, v45
	v_dual_mul_f32 v87, v27, v21 :: v_dual_mul_f32 v88, v25, v43
	v_mul_f32_e32 v21, v26, v21
	v_fma_f32 v82, v22, v18, -v82
	v_fmac_f32_e32 v83, v23, v18
	v_fma_f32 v22, v22, v20, -v84
	v_fmac_f32_e32 v85, v23, v20
	v_fma_f32 v23, v26, v18, -v86
	v_dual_fmac_f32 v19, v27, v18 :: v_dual_mul_f32 v86, v30, v47
	v_fma_f32 v18, v26, v20, -v87
	v_dual_fmac_f32 v21, v27, v20 :: v_dual_mul_f32 v20, v24, v45
	v_mul_f32_e32 v89, v24, v43
	v_mul_f32_e32 v26, v29, v43
	;; [unrolled: 1-line block ×4, first 2 shown]
	v_fmac_f32_e32 v20, v25, v44
	v_fmac_f32_e32 v89, v25, v42
	v_dual_mul_f32 v25, v28, v45 :: v_dual_fmac_f32 v86, v31, v46
	v_fma_f32 v84, v24, v42, -v88
	v_fma_f32 v24, v24, v44, -v90
	v_dual_mul_f32 v45, v31, v47 :: v_dual_mul_f32 v90, v33, v57
	v_fma_f32 v26, v28, v42, -v26
	v_fma_f32 v28, v28, v44, -v43
	v_fmac_f32_e32 v25, v29, v44
	v_dual_mul_f32 v43, v50, v47 :: v_dual_mul_f32 v44, v51, v49
	v_dual_fmac_f32 v27, v29, v42 :: v_dual_mul_f32 v42, v51, v47
	v_dual_mul_f32 v88, v32, v55 :: v_dual_mul_f32 v29, v30, v49
	v_mul_f32_e32 v87, v31, v49
	v_fma_f32 v45, v30, v46, -v45
	v_add_f32_e32 v16, v16, v83
	s_delay_alu instid0(VALU_DEP_4)
	v_dual_fmac_f32 v88, v33, v54 :: v_dual_fmac_f32 v29, v31, v48
	v_fma_f32 v31, v50, v46, -v42
	v_fma_f32 v42, v50, v48, -v44
	v_mul_f32_e32 v44, v32, v57
	v_mul_f32_e32 v47, v50, v49
	v_dual_mul_f32 v50, v53, v57 :: v_dual_fmac_f32 v43, v51, v46
	v_mul_f32_e32 v46, v53, v55
	v_mul_f32_e32 v49, v33, v55
	v_fma_f32 v30, v30, v48, -v87
	v_fmac_f32_e32 v44, v33, v56
	v_dual_fmac_f32 v47, v51, v48 :: v_dual_mul_f32 v48, v52, v55
	v_mul_f32_e32 v33, v52, v57
	v_fma_f32 v46, v52, v54, -v46
	v_fma_f32 v50, v52, v56, -v50
	v_mul_f32_e32 v52, v34, v61
	v_fma_f32 v49, v32, v54, -v49
	v_fma_f32 v32, v32, v56, -v90
	v_dual_mul_f32 v51, v35, v59 :: v_dual_fmac_f32 v48, v53, v54
	v_mul_f32_e32 v54, v70, v59
	v_dual_mul_f32 v55, v34, v59 :: v_dual_fmac_f32 v52, v35, v60
	v_fmac_f32_e32 v33, v53, v56
	v_mul_f32_e32 v53, v71, v59
	v_mul_f32_e32 v56, v71, v61
	;; [unrolled: 1-line block ×3, first 2 shown]
	v_fmac_f32_e32 v54, v71, v58
	v_fmac_f32_e32 v55, v35, v58
	v_fma_f32 v35, v70, v58, -v53
	v_fma_f32 v53, v70, v60, -v56
	v_mul_f32_e32 v56, v36, v65
	v_mul_f32_e32 v59, v70, v61
	v_fma_f32 v51, v34, v58, -v51
	v_mul_f32_e32 v58, v72, v63
	v_mul_f32_e32 v87, v36, v63
	;; [unrolled: 1-line block ×4, first 2 shown]
	v_fma_f32 v34, v34, v60, -v57
	v_mul_f32_e32 v57, v73, v63
	v_fmac_f32_e32 v56, v37, v64
	v_dual_fmac_f32 v59, v71, v60 :: v_dual_mul_f32 v60, v73, v65
	v_mul_f32_e32 v63, v39, v67
	v_mul_f32_e32 v70, v39, v69
	v_fmac_f32_e32 v58, v73, v62
	v_fmac_f32_e32 v87, v37, v62
	v_mul_f32_e32 v37, v72, v65
	v_fma_f32 v61, v36, v62, -v61
	v_fma_f32 v36, v36, v64, -v90
	v_mul_f32_e32 v65, v38, v67
	v_fma_f32 v57, v72, v62, -v57
	v_fma_f32 v60, v72, v64, -v60
	v_dual_fmac_f32 v37, v73, v64 :: v_dual_mul_f32 v62, v38, v69
	v_mul_f32_e32 v64, v75, v67
	v_fma_f32 v63, v38, v66, -v63
	v_fma_f32 v38, v38, v68, -v70
	v_mul_f32_e32 v70, v76, v79
	v_mul_f32_e32 v67, v74, v67
	v_dual_mul_f32 v71, v75, v69 :: v_dual_add_f32 v10, v10, v19
	v_dual_fmac_f32 v65, v39, v66 :: v_dual_add_f32 v12, v12, v85
	s_delay_alu instid0(VALU_DEP_4) | instskip(NEXT) | instid1(VALU_DEP_4)
	v_fmac_f32_e32 v70, v77, v78
	v_fmac_f32_e32 v67, v75, v66
	;; [unrolled: 1-line block ×3, first 2 shown]
	v_fma_f32 v39, v74, v66, -v64
	v_fma_f32 v64, v74, v68, -v71
	v_dual_mul_f32 v71, v77, v81 :: v_dual_add_f32 v10, v10, v27
	v_dual_mul_f32 v69, v74, v69 :: v_dual_add_f32 v12, v12, v20
	v_dual_mul_f32 v66, v40, v81 :: v_dual_add_f32 v15, v15, v82
	s_delay_alu instid0(VALU_DEP_3)
	v_add_f32_e32 v10, v10, v43
	v_mul_f32_e32 v73, v40, v79
	v_mul_f32_e32 v72, v41, v79
	v_dual_mul_f32 v90, v41, v81 :: v_dual_fmac_f32 v69, v75, v68
	v_add_f32_e32 v16, v16, v89
	v_fmac_f32_e32 v66, v41, v80
	v_dual_add_f32 v10, v10, v48 :: v_dual_fmac_f32 v73, v41, v78
	v_add_f32_e32 v12, v12, v29
	v_mul_f32_e32 v41, v76, v81
	v_add_f32_e32 v16, v16, v86
	s_delay_alu instid0(VALU_DEP_4) | instskip(SKIP_4) | instid1(VALU_DEP_3)
	v_add_f32_e32 v10, v10, v54
	v_add_f32_e32 v13, v13, v22
	v_dual_add_f32 v9, v9, v23 :: v_dual_add_f32 v12, v12, v44
	v_fmac_f32_e32 v41, v77, v80
	v_dual_add_f32 v16, v16, v88 :: v_dual_add_f32 v7, v7, v18
	v_dual_add_f32 v1, v1, v21 :: v_dual_add_f32 v12, v12, v52
	;; [unrolled: 1-line block ×3, first 2 shown]
	s_delay_alu instid0(VALU_DEP_3) | instskip(NEXT) | instid1(VALU_DEP_3)
	v_dual_add_f32 v16, v16, v55 :: v_dual_add_f32 v15, v15, v84
	v_dual_add_f32 v9, v9, v26 :: v_dual_add_f32 v12, v12, v56
	s_delay_alu instid0(VALU_DEP_2) | instskip(SKIP_1) | instid1(VALU_DEP_4)
	v_dual_add_f32 v1, v1, v25 :: v_dual_add_f32 v16, v16, v87
	v_add_f32_e32 v7, v7, v28
	v_dual_add_f32 v15, v15, v45 :: v_dual_add_f32 v10, v10, v67
	s_delay_alu instid0(VALU_DEP_4) | instskip(NEXT) | instid1(VALU_DEP_4)
	v_dual_add_f32 v12, v12, v62 :: v_dual_add_f32 v9, v9, v31
	v_dual_add_f32 v1, v1, v47 :: v_dual_add_f32 v16, v16, v65
	s_delay_alu instid0(VALU_DEP_3)
	v_add_f32_e32 v10, v10, v70
	v_add_f32_e32 v13, v13, v30
	;; [unrolled: 1-line block ×15, first 2 shown]
	v_dual_mul_f32 v68, v77, v79 :: v_dual_add_f32 v15, v15, v61
	v_add_f32_e32 v13, v13, v36
	v_add_f32_e32 v7, v7, v60
	s_delay_alu instid0(VALU_DEP_4)
	v_add_f32_e32 v9, v9, v57
	v_add_f32_e32 v1, v1, v37
	v_fma_f32 v72, v40, v78, -v72
	v_fma_f32 v40, v40, v80, -v90
	;; [unrolled: 1-line block ×4, first 2 shown]
	v_add_f32_e32 v15, v15, v63
	v_add_f32_e32 v13, v13, v38
	;; [unrolled: 1-line block ×10, first 2 shown]
	s_cbranch_vccz .LBB1241_2
.LBB1241_3:
	s_load_b128 s[4:7], s[0:1], 0x48
	v_add_nc_u32_e32 v0, s9, v8
	s_load_b32 s9, s[0:1], 0x0
	s_delay_alu instid0(VALU_DEP_1) | instskip(SKIP_1) | instid1(VALU_DEP_1)
	v_ashrrev_i32_e32 v2, 31, v0
	s_waitcnt lgkmcnt(0)
	v_mul_lo_u32 v5, v2, s4
	v_mul_lo_u32 v8, v0, s5
	v_mad_u64_u32 v[3:4], null, v0, s4, 0
	s_mul_i32 s1, s15, s7
	s_mul_hi_u32 s3, s15, s6
	s_mul_i32 s2, s15, s6
	s_add_i32 s3, s3, s1
	v_add_nc_u32_e32 v2, s8, v6
	s_lshl_b64 s[2:3], s[2:3], 3
	s_delay_alu instid0(VALU_DEP_2)
	v_add3_u32 v4, v4, v8, v5
	s_add_u32 s2, s30, s2
	s_addc_u32 s3, s31, s3
	v_cmp_le_i32_e64 s0, v0, v2
	v_cmp_gt_i32_e32 vcc_lo, s9, v2
	v_lshlrev_b64 v[3:4], 3, v[3:4]
	s_delay_alu instid0(VALU_DEP_3) | instskip(NEXT) | instid1(VALU_DEP_1)
	s_and_b32 s0, s0, vcc_lo
	v_add_co_u32 v6, s1, s2, v3
	s_delay_alu instid0(VALU_DEP_1)
	v_add_co_ci_u32_e64 v8, s1, s3, v4, s1
	s_and_saveexec_b32 s1, s0
	s_cbranch_execz .LBB1241_6
; %bb.4:
	v_ashrrev_i32_e32 v3, 31, v2
	s_delay_alu instid0(VALU_DEP_1) | instskip(NEXT) | instid1(VALU_DEP_1)
	v_lshlrev_b64 v[3:4], 3, v[2:3]
	v_add_co_u32 v3, s0, v6, v3
	s_delay_alu instid0(VALU_DEP_1)
	v_add_co_ci_u32_e64 v4, s0, v8, v4, s0
	v_cmp_eq_u32_e64 s0, v0, v2
	global_load_b64 v[17:18], v[3:4], off
	s_waitcnt vmcnt(0)
	v_dual_sub_f32 v14, v15, v17 :: v_dual_sub_f32 v15, v16, v18
	global_store_b64 v[3:4], v[14:15], off
	s_and_b32 exec_lo, exec_lo, s0
	s_cbranch_execz .LBB1241_6
; %bb.5:
	v_mov_b32_e32 v5, 0
	global_store_b32 v[3:4], v5, off offset:4
.LBB1241_6:
	s_or_b32 exec_lo, exec_lo, s1
	v_add_nc_u32_e32 v4, 16, v2
	s_delay_alu instid0(VALU_DEP_1) | instskip(SKIP_1) | instid1(VALU_DEP_1)
	v_cmp_le_i32_e64 s1, v0, v4
	v_cmp_gt_i32_e64 s0, s9, v4
	s_and_b32 s1, s1, s0
	s_delay_alu instid0(SALU_CYCLE_1)
	s_and_saveexec_b32 s6, s1
	s_cbranch_execz .LBB1241_9
; %bb.7:
	v_ashrrev_i32_e32 v5, 31, v4
	s_delay_alu instid0(VALU_DEP_1) | instskip(NEXT) | instid1(VALU_DEP_1)
	v_lshlrev_b64 v[14:15], 3, v[4:5]
	v_add_co_u32 v5, s1, v6, v14
	s_delay_alu instid0(VALU_DEP_1)
	v_add_co_ci_u32_e64 v6, s1, v8, v15, s1
	v_cmp_eq_u32_e64 s1, v0, v4
	global_load_b64 v[14:15], v[5:6], off
	s_waitcnt vmcnt(0)
	v_dual_sub_f32 v11, v13, v14 :: v_dual_sub_f32 v12, v12, v15
	global_store_b64 v[5:6], v[11:12], off
	s_and_b32 exec_lo, exec_lo, s1
	s_cbranch_execz .LBB1241_9
; %bb.8:
	v_mov_b32_e32 v3, 0
	global_store_b32 v[5:6], v3, off offset:4
.LBB1241_9:
	s_or_b32 exec_lo, exec_lo, s6
	v_add_nc_u32_e32 v8, 16, v0
	s_delay_alu instid0(VALU_DEP_1) | instskip(SKIP_3) | instid1(VALU_DEP_4)
	v_ashrrev_i32_e32 v3, 31, v8
	v_mul_lo_u32 v11, v8, s5
	v_mad_u64_u32 v[5:6], null, v8, s4, 0
	v_cmp_le_i32_e64 s1, v8, v2
	v_mul_lo_u32 v3, v3, s4
	s_delay_alu instid0(VALU_DEP_1) | instskip(NEXT) | instid1(VALU_DEP_1)
	v_add3_u32 v6, v6, v11, v3
	v_lshlrev_b64 v[5:6], 3, v[5:6]
	s_delay_alu instid0(VALU_DEP_1) | instskip(NEXT) | instid1(VALU_DEP_1)
	v_add_co_u32 v11, s2, s2, v5
	v_add_co_ci_u32_e64 v12, s2, s3, v6, s2
	s_and_b32 s2, s1, vcc_lo
	s_delay_alu instid0(SALU_CYCLE_1)
	s_and_saveexec_b32 s1, s2
	s_cbranch_execz .LBB1241_12
; %bb.10:
	v_ashrrev_i32_e32 v3, 31, v2
	s_delay_alu instid0(VALU_DEP_1) | instskip(NEXT) | instid1(VALU_DEP_1)
	v_lshlrev_b64 v[5:6], 3, v[2:3]
	v_add_co_u32 v5, vcc_lo, v11, v5
	s_delay_alu instid0(VALU_DEP_2)
	v_add_co_ci_u32_e32 v6, vcc_lo, v12, v6, vcc_lo
	v_cmp_eq_u32_e32 vcc_lo, v8, v2
	global_load_b64 v[13:14], v[5:6], off
	s_waitcnt vmcnt(0)
	v_dual_sub_f32 v9, v9, v13 :: v_dual_sub_f32 v10, v10, v14
	global_store_b64 v[5:6], v[9:10], off
	s_and_b32 exec_lo, exec_lo, vcc_lo
	s_cbranch_execz .LBB1241_12
; %bb.11:
	v_mov_b32_e32 v3, 0
	global_store_b32 v[5:6], v3, off offset:4
.LBB1241_12:
	s_or_b32 exec_lo, exec_lo, s1
	v_cmp_le_i32_e32 vcc_lo, v8, v4
	s_and_b32 s0, vcc_lo, s0
	s_delay_alu instid0(SALU_CYCLE_1)
	s_and_saveexec_b32 s1, s0
	s_cbranch_execz .LBB1241_15
; %bb.13:
	v_ashrrev_i32_e32 v5, 31, v4
	s_delay_alu instid0(VALU_DEP_1) | instskip(NEXT) | instid1(VALU_DEP_1)
	v_lshlrev_b64 v[3:4], 3, v[4:5]
	v_add_co_u32 v3, vcc_lo, v11, v3
	s_delay_alu instid0(VALU_DEP_2)
	v_add_co_ci_u32_e32 v4, vcc_lo, v12, v4, vcc_lo
	v_cmp_eq_u32_e32 vcc_lo, v0, v2
	global_load_b64 v[5:6], v[3:4], off
	s_waitcnt vmcnt(0)
	v_dual_sub_f32 v5, v7, v5 :: v_dual_sub_f32 v6, v1, v6
	global_store_b64 v[3:4], v[5:6], off
	s_and_b32 exec_lo, exec_lo, vcc_lo
	s_cbranch_execz .LBB1241_15
; %bb.14:
	v_mov_b32_e32 v0, 0
	global_store_b32 v[3:4], v0, off offset:4
.LBB1241_15:
	s_nop 0
	s_sendmsg sendmsg(MSG_DEALLOC_VGPRS)
	s_endpgm
	.section	.rodata,"a",@progbits
	.p2align	6, 0x0
	.amdhsa_kernel _ZL37rocblas_syrkx_herkx_restricted_kernelIl19rocblas_complex_numIfELi16ELi32ELi8ELi1ELin1ELb1ELc67ELc76EKS1_S1_EviT_PT9_S3_lS5_S3_lPT10_S3_li
		.amdhsa_group_segment_fixed_size 4096
		.amdhsa_private_segment_fixed_size 0
		.amdhsa_kernarg_size 92
		.amdhsa_user_sgpr_count 13
		.amdhsa_user_sgpr_dispatch_ptr 0
		.amdhsa_user_sgpr_queue_ptr 0
		.amdhsa_user_sgpr_kernarg_segment_ptr 1
		.amdhsa_user_sgpr_dispatch_id 0
		.amdhsa_user_sgpr_private_segment_size 0
		.amdhsa_wavefront_size32 1
		.amdhsa_uses_dynamic_stack 0
		.amdhsa_enable_private_segment 0
		.amdhsa_system_sgpr_workgroup_id_x 1
		.amdhsa_system_sgpr_workgroup_id_y 1
		.amdhsa_system_sgpr_workgroup_id_z 1
		.amdhsa_system_sgpr_workgroup_info 0
		.amdhsa_system_vgpr_workitem_id 1
		.amdhsa_next_free_vgpr 91
		.amdhsa_next_free_sgpr 32
		.amdhsa_reserve_vcc 1
		.amdhsa_float_round_mode_32 0
		.amdhsa_float_round_mode_16_64 0
		.amdhsa_float_denorm_mode_32 3
		.amdhsa_float_denorm_mode_16_64 3
		.amdhsa_dx10_clamp 1
		.amdhsa_ieee_mode 1
		.amdhsa_fp16_overflow 0
		.amdhsa_workgroup_processor_mode 1
		.amdhsa_memory_ordered 1
		.amdhsa_forward_progress 0
		.amdhsa_shared_vgpr_count 0
		.amdhsa_exception_fp_ieee_invalid_op 0
		.amdhsa_exception_fp_denorm_src 0
		.amdhsa_exception_fp_ieee_div_zero 0
		.amdhsa_exception_fp_ieee_overflow 0
		.amdhsa_exception_fp_ieee_underflow 0
		.amdhsa_exception_fp_ieee_inexact 0
		.amdhsa_exception_int_div_zero 0
	.end_amdhsa_kernel
	.section	.text._ZL37rocblas_syrkx_herkx_restricted_kernelIl19rocblas_complex_numIfELi16ELi32ELi8ELi1ELin1ELb1ELc67ELc76EKS1_S1_EviT_PT9_S3_lS5_S3_lPT10_S3_li,"axG",@progbits,_ZL37rocblas_syrkx_herkx_restricted_kernelIl19rocblas_complex_numIfELi16ELi32ELi8ELi1ELin1ELb1ELc67ELc76EKS1_S1_EviT_PT9_S3_lS5_S3_lPT10_S3_li,comdat
.Lfunc_end1241:
	.size	_ZL37rocblas_syrkx_herkx_restricted_kernelIl19rocblas_complex_numIfELi16ELi32ELi8ELi1ELin1ELb1ELc67ELc76EKS1_S1_EviT_PT9_S3_lS5_S3_lPT10_S3_li, .Lfunc_end1241-_ZL37rocblas_syrkx_herkx_restricted_kernelIl19rocblas_complex_numIfELi16ELi32ELi8ELi1ELin1ELb1ELc67ELc76EKS1_S1_EviT_PT9_S3_lS5_S3_lPT10_S3_li
                                        ; -- End function
	.section	.AMDGPU.csdata,"",@progbits
; Kernel info:
; codeLenInByte = 2300
; NumSgprs: 34
; NumVgprs: 91
; ScratchSize: 0
; MemoryBound: 0
; FloatMode: 240
; IeeeMode: 1
; LDSByteSize: 4096 bytes/workgroup (compile time only)
; SGPRBlocks: 4
; VGPRBlocks: 11
; NumSGPRsForWavesPerEU: 34
; NumVGPRsForWavesPerEU: 91
; Occupancy: 16
; WaveLimiterHint : 1
; COMPUTE_PGM_RSRC2:SCRATCH_EN: 0
; COMPUTE_PGM_RSRC2:USER_SGPR: 13
; COMPUTE_PGM_RSRC2:TRAP_HANDLER: 0
; COMPUTE_PGM_RSRC2:TGID_X_EN: 1
; COMPUTE_PGM_RSRC2:TGID_Y_EN: 1
; COMPUTE_PGM_RSRC2:TGID_Z_EN: 1
; COMPUTE_PGM_RSRC2:TIDIG_COMP_CNT: 1
	.section	.text._ZL37rocblas_syrkx_herkx_restricted_kernelIl19rocblas_complex_numIfELi16ELi32ELi8ELi1ELin1ELb1ELc78ELc76EKS1_S1_EviT_PT9_S3_lS5_S3_lPT10_S3_li,"axG",@progbits,_ZL37rocblas_syrkx_herkx_restricted_kernelIl19rocblas_complex_numIfELi16ELi32ELi8ELi1ELin1ELb1ELc78ELc76EKS1_S1_EviT_PT9_S3_lS5_S3_lPT10_S3_li,comdat
	.globl	_ZL37rocblas_syrkx_herkx_restricted_kernelIl19rocblas_complex_numIfELi16ELi32ELi8ELi1ELin1ELb1ELc78ELc76EKS1_S1_EviT_PT9_S3_lS5_S3_lPT10_S3_li ; -- Begin function _ZL37rocblas_syrkx_herkx_restricted_kernelIl19rocblas_complex_numIfELi16ELi32ELi8ELi1ELin1ELb1ELc78ELc76EKS1_S1_EviT_PT9_S3_lS5_S3_lPT10_S3_li
	.p2align	8
	.type	_ZL37rocblas_syrkx_herkx_restricted_kernelIl19rocblas_complex_numIfELi16ELi32ELi8ELi1ELin1ELb1ELc78ELc76EKS1_S1_EviT_PT9_S3_lS5_S3_lPT10_S3_li,@function
_ZL37rocblas_syrkx_herkx_restricted_kernelIl19rocblas_complex_numIfELi16ELi32ELi8ELi1ELin1ELb1ELc78ELc76EKS1_S1_EviT_PT9_S3_lS5_S3_lPT10_S3_li: ; @_ZL37rocblas_syrkx_herkx_restricted_kernelIl19rocblas_complex_numIfELi16ELi32ELi8ELi1ELin1ELb1ELc78ELc76EKS1_S1_EviT_PT9_S3_lS5_S3_lPT10_S3_li
; %bb.0:
	s_load_b512 s[16:31], s[0:1], 0x8
	v_dual_mov_b32 v14, 0 :: v_dual_mov_b32 v15, 0
	v_dual_mov_b32 v13, 0 :: v_dual_mov_b32 v12, 0
	;; [unrolled: 1-line block ×3, first 2 shown]
	v_dual_mov_b32 v7, 0 :: v_dual_and_b32 v4, 0x3ff, v0
	v_bfe_u32 v5, v0, 10, 10
	v_mov_b32_e32 v6, 0
	s_lshl_b32 s8, s13, 5
	s_lshl_b32 s9, s14, 5
	s_waitcnt lgkmcnt(0)
	v_cmp_lt_i64_e64 s2, s[16:17], 1
	s_delay_alu instid0(VALU_DEP_1)
	s_and_b32 vcc_lo, exec_lo, s2
	s_cbranch_vccnz .LBB1242_3
; %bb.1:
	v_lshl_add_u32 v1, v5, 4, v4
	v_and_b32_e32 v13, 7, v4
	s_mul_i32 s3, s23, s15
	s_mul_hi_u32 s5, s22, s15
	s_mul_i32 s2, s22, s15
	v_and_b32_e32 v9, 31, v1
	v_lshrrev_b32_e32 v12, 3, v1
	v_lshrrev_b32_e32 v14, 5, v1
	s_add_i32 s3, s5, s3
	s_mul_i32 s6, s29, s15
	v_add_nc_u32_e32 v0, s8, v9
	v_add_nc_u32_e32 v2, s9, v12
	s_lshl_b64 s[2:3], s[2:3], 3
	s_mul_hi_u32 s7, s28, s15
	s_add_u32 s10, s18, s2
	v_ashrrev_i32_e32 v1, 31, v0
	v_ashrrev_i32_e32 v3, 31, v2
	s_mul_i32 s4, s28, s15
	s_addc_u32 s11, s19, s3
	s_add_i32 s5, s7, s6
	v_mad_u64_u32 v[6:7], null, v14, s20, v[0:1]
	v_mad_u64_u32 v[0:1], null, v13, s26, v[2:3]
	s_lshl_b64 s[4:5], s[4:5], 3
	s_lshl_b64 s[2:3], s[20:21], 6
	s_add_u32 s4, s24, s4
	s_addc_u32 s5, s25, s5
	s_delay_alu instid0(VALU_DEP_2) | instskip(SKIP_3) | instid1(VALU_DEP_3)
	v_mov_b32_e32 v2, v7
	v_lshlrev_b32_e32 v10, 3, v4
	v_lshl_add_u32 v11, v5, 6, 0x800
	s_mov_b64 s[6:7], 0
	v_mad_u64_u32 v[7:8], null, v14, s21, v[2:3]
	v_mad_u64_u32 v[2:3], null, v13, s27, v[1:2]
	s_delay_alu instid0(VALU_DEP_1) | instskip(NEXT) | instid1(VALU_DEP_3)
	v_dual_mov_b32 v1, v2 :: v_dual_lshlrev_b32 v8, 3, v9
	v_lshlrev_b64 v[2:3], 3, v[6:7]
	s_delay_alu instid0(VALU_DEP_2) | instskip(NEXT) | instid1(VALU_DEP_2)
	v_lshlrev_b64 v[0:1], 3, v[0:1]
	v_add_co_u32 v2, vcc_lo, s10, v2
	s_delay_alu instid0(VALU_DEP_3) | instskip(NEXT) | instid1(VALU_DEP_3)
	v_add_co_ci_u32_e32 v3, vcc_lo, s11, v3, vcc_lo
	v_add_co_u32 v6, vcc_lo, s4, v0
	s_delay_alu instid0(VALU_DEP_4) | instskip(NEXT) | instid1(VALU_DEP_4)
	v_add_co_ci_u32_e32 v7, vcc_lo, s5, v1, vcc_lo
	v_add_co_u32 v0, vcc_lo, v2, 4
	s_delay_alu instid0(VALU_DEP_4) | instskip(NEXT) | instid1(VALU_DEP_4)
	v_add_co_ci_u32_e32 v1, vcc_lo, 0, v3, vcc_lo
	v_add_co_u32 v2, vcc_lo, v6, 4
	v_dual_mov_b32 v6, 0 :: v_dual_lshlrev_b32 v15, 3, v13
	v_mov_b32_e32 v13, 0
	v_lshl_or_b32 v16, v14, 8, v8
	v_mov_b32_e32 v8, 0
	v_add_co_ci_u32_e32 v3, vcc_lo, 0, v7, vcc_lo
	v_lshl_or_b32 v9, v12, 6, v15
	v_dual_mov_b32 v7, 0 :: v_dual_mov_b32 v12, 0
	v_dual_mov_b32 v15, 0 :: v_dual_mov_b32 v14, 0
	s_delay_alu instid0(VALU_DEP_3)
	v_add_nc_u32_e32 v17, 0x800, v9
	v_mov_b32_e32 v9, 0
	s_lshl_b64 s[4:5], s[26:27], 6
.LBB1242_2:                             ; =>This Inner Loop Header: Depth=1
	global_load_b64 v[18:19], v[2:3], off offset:-4
	global_load_b64 v[20:21], v[0:1], off offset:-4
	s_add_u32 s6, s6, 8
	v_add_co_u32 v0, vcc_lo, v0, s2
	s_addc_u32 s7, s7, 0
	v_add_co_ci_u32_e32 v1, vcc_lo, s3, v1, vcc_lo
	v_cmp_ge_u64_e64 s10, s[6:7], s[16:17]
	v_add_co_u32 v2, vcc_lo, v2, s4
	v_add_co_ci_u32_e32 v3, vcc_lo, s5, v3, vcc_lo
	s_delay_alu instid0(VALU_DEP_3)
	s_and_b32 vcc_lo, exec_lo, s10
	s_waitcnt vmcnt(1)
	v_xor_b32_e32 v19, 0x80000000, v19
	s_waitcnt vmcnt(0)
	ds_store_b64 v16, v[20:21]
	ds_store_b64 v17, v[18:19]
	s_waitcnt lgkmcnt(0)
	s_barrier
	buffer_gl0_inv
	ds_load_2addr_b64 v[18:21], v10 offset1:16
	ds_load_b128 v[22:25], v11
	ds_load_b128 v[26:29], v11 offset:1024
	ds_load_b128 v[30:33], v11 offset:16
	;; [unrolled: 1-line block ×4, first 2 shown]
	ds_load_2addr_b64 v[42:45], v10 offset0:32 offset1:48
	ds_load_2addr_b64 v[46:49], v10 offset0:64 offset1:80
	ds_load_b128 v[50:53], v11 offset:1040
	ds_load_2addr_b64 v[54:57], v10 offset0:96 offset1:112
	ds_load_2addr_b64 v[58:61], v10 offset0:128 offset1:144
	;; [unrolled: 1-line block ×4, first 2 shown]
	ds_load_b128 v[70:73], v11 offset:1056
	ds_load_b128 v[74:77], v11 offset:1072
	ds_load_2addr_b64 v[78:81], v10 offset0:224 offset1:240
	s_waitcnt lgkmcnt(0)
	s_barrier
	buffer_gl0_inv
	v_dual_mul_f32 v82, v23, v19 :: v_dual_mul_f32 v85, v22, v21
	v_dual_mul_f32 v83, v22, v19 :: v_dual_mul_f32 v84, v23, v21
	v_mul_f32_e32 v86, v27, v19
	v_dual_mul_f32 v19, v26, v19 :: v_dual_mul_f32 v90, v25, v45
	v_dual_mul_f32 v87, v27, v21 :: v_dual_mul_f32 v88, v25, v43
	v_mul_f32_e32 v21, v26, v21
	v_mul_f32_e32 v89, v24, v43
	;; [unrolled: 1-line block ×3, first 2 shown]
	v_fma_f32 v82, v22, v18, -v82
	v_fmac_f32_e32 v83, v23, v18
	v_fma_f32 v22, v22, v20, -v84
	v_dual_fmac_f32 v85, v23, v20 :: v_dual_mul_f32 v84, v30, v47
	v_fma_f32 v23, v26, v18, -v86
	v_fmac_f32_e32 v19, v27, v18
	v_fma_f32 v18, v26, v20, -v87
	v_dual_mul_f32 v26, v28, v43 :: v_dual_fmac_f32 v21, v27, v20
	v_mul_f32_e32 v20, v29, v43
	v_mul_f32_e32 v27, v29, v45
	v_dual_mul_f32 v43, v28, v45 :: v_dual_fmac_f32 v84, v31, v46
	v_fma_f32 v45, v24, v42, -v88
	v_fma_f32 v24, v24, v44, -v90
	v_dual_fmac_f32 v91, v25, v44 :: v_dual_mul_f32 v90, v32, v57
	v_dual_mul_f32 v86, v31, v49 :: v_dual_fmac_f32 v89, v25, v42
	v_dual_mul_f32 v25, v31, v47 :: v_dual_mul_f32 v88, v33, v57
	v_fma_f32 v20, v28, v42, -v20
	v_fmac_f32_e32 v26, v29, v42
	v_fma_f32 v27, v28, v44, -v27
	v_dual_fmac_f32 v43, v29, v44 :: v_dual_mul_f32 v28, v51, v47
	v_dual_mul_f32 v29, v50, v47 :: v_dual_mul_f32 v42, v51, v49
	v_mul_f32_e32 v44, v50, v49
	v_mul_f32_e32 v87, v30, v49
	;; [unrolled: 1-line block ×3, first 2 shown]
	v_dual_mul_f32 v49, v32, v55 :: v_dual_fmac_f32 v90, v33, v56
	v_fma_f32 v25, v30, v46, -v25
	v_fma_f32 v30, v30, v48, -v86
	;; [unrolled: 1-line block ×3, first 2 shown]
	v_fmac_f32_e32 v44, v51, v48
	v_fmac_f32_e32 v87, v31, v48
	v_fma_f32 v31, v50, v48, -v42
	v_mul_f32_e32 v42, v53, v55
	v_mul_f32_e32 v48, v53, v57
	v_dual_mul_f32 v50, v52, v57 :: v_dual_fmac_f32 v29, v51, v46
	v_mul_f32_e32 v46, v52, v55
	v_fma_f32 v47, v32, v54, -v47
	v_fmac_f32_e32 v49, v33, v54
	v_fma_f32 v32, v32, v56, -v88
	s_delay_alu instid0(VALU_DEP_4)
	v_dual_mul_f32 v33, v35, v59 :: v_dual_fmac_f32 v46, v53, v54
	v_mul_f32_e32 v51, v34, v59
	v_mul_f32_e32 v55, v35, v61
	v_fma_f32 v42, v52, v54, -v42
	v_fma_f32 v48, v52, v56, -v48
	v_fmac_f32_e32 v50, v53, v56
	v_mul_f32_e32 v52, v71, v59
	v_dual_mul_f32 v53, v70, v59 :: v_dual_mul_f32 v86, v37, v65
	v_mul_f32_e32 v54, v71, v61
	v_dual_mul_f32 v56, v70, v61 :: v_dual_mul_f32 v59, v37, v63
	v_mul_f32_e32 v57, v34, v61
	v_mul_f32_e32 v61, v36, v63
	v_dual_mul_f32 v88, v36, v65 :: v_dual_fmac_f32 v51, v35, v58
	v_fma_f32 v33, v34, v58, -v33
	v_fmac_f32_e32 v53, v71, v58
	v_fmac_f32_e32 v56, v71, v60
	s_delay_alu instid0(VALU_DEP_4)
	v_fmac_f32_e32 v88, v37, v64
	v_fmac_f32_e32 v57, v35, v60
	v_fma_f32 v35, v70, v58, -v52
	v_fma_f32 v52, v70, v60, -v54
	v_mul_f32_e32 v54, v73, v63
	v_fma_f32 v34, v34, v60, -v55
	v_mul_f32_e32 v60, v72, v65
	v_dual_mul_f32 v55, v72, v63 :: v_dual_mul_f32 v70, v38, v69
	v_mul_f32_e32 v58, v73, v65
	v_fma_f32 v59, v36, v62, -v59
	v_fmac_f32_e32 v61, v37, v62
	v_fma_f32 v36, v36, v64, -v86
	v_dual_mul_f32 v37, v39, v67 :: v_dual_fmac_f32 v60, v73, v64
	v_dual_mul_f32 v63, v38, v67 :: v_dual_mul_f32 v86, v40, v81
	v_mul_f32_e32 v65, v39, v69
	v_fma_f32 v54, v72, v62, -v54
	v_fmac_f32_e32 v55, v73, v62
	v_fma_f32 v58, v72, v64, -v58
	v_mul_f32_e32 v72, v40, v79
	v_mul_f32_e32 v62, v75, v67
	v_dual_mul_f32 v64, v74, v67 :: v_dual_mul_f32 v67, v75, v69
	v_dual_mul_f32 v69, v74, v69 :: v_dual_fmac_f32 v70, v39, v68
	s_delay_alu instid0(VALU_DEP_2)
	v_dual_mul_f32 v71, v41, v79 :: v_dual_fmac_f32 v64, v75, v66
	v_fma_f32 v37, v38, v66, -v37
	v_fmac_f32_e32 v63, v39, v66
	v_fma_f32 v38, v38, v68, -v65
	v_fma_f32 v39, v74, v66, -v62
	v_dual_fmac_f32 v69, v75, v68 :: v_dual_fmac_f32 v72, v41, v78
	v_mul_f32_e32 v66, v76, v79
	v_fma_f32 v62, v74, v68, -v67
	v_mul_f32_e32 v68, v76, v81
	v_dual_mul_f32 v73, v41, v81 :: v_dual_add_f32 v14, v14, v82
	v_dual_mul_f32 v65, v77, v79 :: v_dual_add_f32 v12, v12, v85
	;; [unrolled: 1-line block ×3, first 2 shown]
	v_dual_fmac_f32 v86, v41, v80 :: v_dual_add_f32 v15, v15, v83
	v_dual_fmac_f32 v68, v77, v80 :: v_dual_add_f32 v7, v7, v18
	v_dual_add_f32 v13, v13, v22 :: v_dual_add_f32 v6, v6, v21
	v_dual_add_f32 v9, v9, v19 :: v_dual_add_f32 v14, v14, v45
	s_delay_alu instid0(VALU_DEP_4) | instskip(NEXT) | instid1(VALU_DEP_3)
	v_dual_fmac_f32 v66, v77, v78 :: v_dual_add_f32 v15, v15, v89
	v_dual_add_f32 v13, v13, v24 :: v_dual_add_f32 v12, v12, v91
	s_delay_alu instid0(VALU_DEP_3) | instskip(NEXT) | instid1(VALU_DEP_4)
	v_dual_add_f32 v8, v8, v20 :: v_dual_add_f32 v9, v9, v26
	v_dual_add_f32 v7, v7, v27 :: v_dual_add_f32 v14, v14, v25
	s_delay_alu instid0(VALU_DEP_4) | instskip(NEXT) | instid1(VALU_DEP_4)
	v_dual_add_f32 v6, v6, v43 :: v_dual_add_f32 v15, v15, v84
	v_dual_add_f32 v13, v13, v30 :: v_dual_add_f32 v12, v12, v87
	s_delay_alu instid0(VALU_DEP_4) | instskip(NEXT) | instid1(VALU_DEP_3)
	v_dual_add_f32 v8, v8, v28 :: v_dual_add_f32 v9, v9, v29
	v_dual_add_f32 v7, v7, v31 :: v_dual_add_f32 v6, v6, v44
	s_delay_alu instid0(VALU_DEP_4) | instskip(NEXT) | instid1(VALU_DEP_4)
	v_dual_add_f32 v14, v14, v47 :: v_dual_add_f32 v15, v15, v49
	v_dual_add_f32 v13, v13, v32 :: v_dual_add_f32 v12, v12, v90
	s_delay_alu instid0(VALU_DEP_3) | instskip(NEXT) | instid1(VALU_DEP_3)
	v_dual_add_f32 v8, v8, v42 :: v_dual_add_f32 v7, v7, v48
	v_dual_add_f32 v9, v9, v46 :: v_dual_add_f32 v14, v14, v33
	s_delay_alu instid0(VALU_DEP_4) | instskip(NEXT) | instid1(VALU_DEP_4)
	v_dual_add_f32 v6, v6, v50 :: v_dual_add_f32 v15, v15, v51
	v_dual_add_f32 v13, v13, v34 :: v_dual_add_f32 v12, v12, v57
	s_delay_alu instid0(VALU_DEP_3) | instskip(NEXT) | instid1(VALU_DEP_4)
	v_dual_add_f32 v8, v8, v35 :: v_dual_add_f32 v9, v9, v53
	v_dual_add_f32 v7, v7, v52 :: v_dual_add_f32 v14, v14, v59
	s_delay_alu instid0(VALU_DEP_4) | instskip(NEXT) | instid1(VALU_DEP_3)
	v_dual_add_f32 v6, v6, v56 :: v_dual_add_f32 v15, v15, v61
	v_dual_add_f32 v13, v13, v36 :: v_dual_add_f32 v8, v8, v54
	s_delay_alu instid0(VALU_DEP_4) | instskip(NEXT) | instid1(VALU_DEP_3)
	v_dual_add_f32 v12, v12, v88 :: v_dual_add_f32 v9, v9, v55
	v_dual_add_f32 v7, v7, v58 :: v_dual_add_f32 v6, v6, v60
	v_fma_f32 v71, v40, v78, -v71
	v_fma_f32 v40, v40, v80, -v73
	;; [unrolled: 1-line block ×4, first 2 shown]
	v_dual_add_f32 v14, v14, v37 :: v_dual_add_f32 v15, v15, v63
	v_dual_add_f32 v13, v13, v38 :: v_dual_add_f32 v8, v8, v39
	;; [unrolled: 1-line block ×4, first 2 shown]
	s_delay_alu instid0(VALU_DEP_4) | instskip(NEXT) | instid1(VALU_DEP_3)
	v_dual_add_f32 v14, v14, v71 :: v_dual_add_f32 v15, v15, v72
	v_dual_add_f32 v13, v13, v40 :: v_dual_add_f32 v12, v12, v86
	s_delay_alu instid0(VALU_DEP_4) | instskip(NEXT) | instid1(VALU_DEP_4)
	v_dual_add_f32 v8, v8, v41 :: v_dual_add_f32 v9, v9, v66
	v_dual_add_f32 v7, v7, v65 :: v_dual_add_f32 v6, v6, v68
	s_cbranch_vccz .LBB1242_2
.LBB1242_3:
	s_load_b128 s[4:7], s[0:1], 0x48
	v_add_nc_u32_e32 v5, s9, v5
	s_load_b32 s9, s[0:1], 0x0
	s_delay_alu instid0(VALU_DEP_1) | instskip(SKIP_1) | instid1(VALU_DEP_1)
	v_ashrrev_i32_e32 v0, 31, v5
	s_waitcnt lgkmcnt(0)
	v_mul_lo_u32 v3, v0, s4
	v_mul_lo_u32 v10, v5, s5
	v_mad_u64_u32 v[1:2], null, v5, s4, 0
	s_mul_i32 s1, s15, s7
	s_mul_hi_u32 s3, s15, s6
	s_mul_i32 s2, s15, s6
	s_add_i32 s3, s3, s1
	v_add_nc_u32_e32 v0, s8, v4
	s_lshl_b64 s[2:3], s[2:3], 3
	s_delay_alu instid0(VALU_DEP_2)
	v_add3_u32 v2, v2, v10, v3
	s_add_u32 s2, s30, s2
	s_addc_u32 s3, s31, s3
	v_cmp_le_i32_e64 s0, v5, v0
	v_cmp_gt_i32_e32 vcc_lo, s9, v0
	v_lshlrev_b64 v[1:2], 3, v[1:2]
	s_delay_alu instid0(VALU_DEP_3) | instskip(NEXT) | instid1(VALU_DEP_1)
	s_and_b32 s0, s0, vcc_lo
	v_add_co_u32 v4, s1, s2, v1
	s_delay_alu instid0(VALU_DEP_1)
	v_add_co_ci_u32_e64 v10, s1, s3, v2, s1
	s_and_saveexec_b32 s1, s0
	s_cbranch_execz .LBB1242_6
; %bb.4:
	v_ashrrev_i32_e32 v1, 31, v0
	s_delay_alu instid0(VALU_DEP_1) | instskip(NEXT) | instid1(VALU_DEP_1)
	v_lshlrev_b64 v[1:2], 3, v[0:1]
	v_add_co_u32 v1, s0, v4, v1
	s_delay_alu instid0(VALU_DEP_1)
	v_add_co_ci_u32_e64 v2, s0, v10, v2, s0
	v_cmp_eq_u32_e64 s0, v5, v0
	global_load_b64 v[16:17], v[1:2], off
	s_waitcnt vmcnt(0)
	v_dual_sub_f32 v14, v14, v16 :: v_dual_sub_f32 v15, v15, v17
	global_store_b64 v[1:2], v[14:15], off
	s_and_b32 exec_lo, exec_lo, s0
	s_cbranch_execz .LBB1242_6
; %bb.5:
	v_mov_b32_e32 v3, 0
	global_store_b32 v[1:2], v3, off offset:4
.LBB1242_6:
	s_or_b32 exec_lo, exec_lo, s1
	v_add_nc_u32_e32 v2, 16, v0
	s_delay_alu instid0(VALU_DEP_1) | instskip(SKIP_1) | instid1(VALU_DEP_1)
	v_cmp_le_i32_e64 s1, v5, v2
	v_cmp_gt_i32_e64 s0, s9, v2
	s_and_b32 s1, s1, s0
	s_delay_alu instid0(SALU_CYCLE_1)
	s_and_saveexec_b32 s6, s1
	s_cbranch_execz .LBB1242_9
; %bb.7:
	v_ashrrev_i32_e32 v3, 31, v2
	s_delay_alu instid0(VALU_DEP_1) | instskip(NEXT) | instid1(VALU_DEP_1)
	v_lshlrev_b64 v[14:15], 3, v[2:3]
	v_add_co_u32 v3, s1, v4, v14
	s_delay_alu instid0(VALU_DEP_1)
	v_add_co_ci_u32_e64 v4, s1, v10, v15, s1
	v_cmp_eq_u32_e64 s1, v5, v2
	global_load_b64 v[10:11], v[3:4], off
	s_waitcnt vmcnt(0)
	v_dual_sub_f32 v10, v13, v10 :: v_dual_sub_f32 v11, v12, v11
	global_store_b64 v[3:4], v[10:11], off
	s_and_b32 exec_lo, exec_lo, s1
	s_cbranch_execz .LBB1242_9
; %bb.8:
	v_mov_b32_e32 v1, 0
	global_store_b32 v[3:4], v1, off offset:4
.LBB1242_9:
	s_or_b32 exec_lo, exec_lo, s6
	v_add_nc_u32_e32 v10, 16, v5
	s_delay_alu instid0(VALU_DEP_1) | instskip(SKIP_3) | instid1(VALU_DEP_4)
	v_ashrrev_i32_e32 v1, 31, v10
	v_mul_lo_u32 v11, v10, s5
	v_mad_u64_u32 v[3:4], null, v10, s4, 0
	v_cmp_le_i32_e64 s1, v10, v0
	v_mul_lo_u32 v1, v1, s4
	s_delay_alu instid0(VALU_DEP_1) | instskip(NEXT) | instid1(VALU_DEP_1)
	v_add3_u32 v4, v4, v11, v1
	v_lshlrev_b64 v[3:4], 3, v[3:4]
	s_delay_alu instid0(VALU_DEP_1) | instskip(NEXT) | instid1(VALU_DEP_1)
	v_add_co_u32 v11, s2, s2, v3
	v_add_co_ci_u32_e64 v12, s2, s3, v4, s2
	s_and_b32 s2, s1, vcc_lo
	s_delay_alu instid0(SALU_CYCLE_1)
	s_and_saveexec_b32 s1, s2
	s_cbranch_execz .LBB1242_12
; %bb.10:
	v_ashrrev_i32_e32 v1, 31, v0
	s_delay_alu instid0(VALU_DEP_1) | instskip(NEXT) | instid1(VALU_DEP_1)
	v_lshlrev_b64 v[3:4], 3, v[0:1]
	v_add_co_u32 v3, vcc_lo, v11, v3
	s_delay_alu instid0(VALU_DEP_2)
	v_add_co_ci_u32_e32 v4, vcc_lo, v12, v4, vcc_lo
	v_cmp_eq_u32_e32 vcc_lo, v10, v0
	global_load_b64 v[13:14], v[3:4], off
	s_waitcnt vmcnt(0)
	v_dual_sub_f32 v8, v8, v13 :: v_dual_sub_f32 v9, v9, v14
	global_store_b64 v[3:4], v[8:9], off
	s_and_b32 exec_lo, exec_lo, vcc_lo
	s_cbranch_execz .LBB1242_12
; %bb.11:
	v_mov_b32_e32 v1, 0
	global_store_b32 v[3:4], v1, off offset:4
.LBB1242_12:
	s_or_b32 exec_lo, exec_lo, s1
	v_cmp_le_i32_e32 vcc_lo, v10, v2
	s_and_b32 s0, vcc_lo, s0
	s_delay_alu instid0(SALU_CYCLE_1)
	s_and_saveexec_b32 s1, s0
	s_cbranch_execz .LBB1242_15
; %bb.13:
	v_ashrrev_i32_e32 v3, 31, v2
	s_delay_alu instid0(VALU_DEP_1) | instskip(NEXT) | instid1(VALU_DEP_1)
	v_lshlrev_b64 v[1:2], 3, v[2:3]
	v_add_co_u32 v1, vcc_lo, v11, v1
	s_delay_alu instid0(VALU_DEP_2)
	v_add_co_ci_u32_e32 v2, vcc_lo, v12, v2, vcc_lo
	v_cmp_eq_u32_e32 vcc_lo, v5, v0
	global_load_b64 v[3:4], v[1:2], off
	s_waitcnt vmcnt(0)
	v_dual_sub_f32 v3, v7, v3 :: v_dual_sub_f32 v4, v6, v4
	global_store_b64 v[1:2], v[3:4], off
	s_and_b32 exec_lo, exec_lo, vcc_lo
	s_cbranch_execz .LBB1242_15
; %bb.14:
	v_mov_b32_e32 v0, 0
	global_store_b32 v[1:2], v0, off offset:4
.LBB1242_15:
	s_nop 0
	s_sendmsg sendmsg(MSG_DEALLOC_VGPRS)
	s_endpgm
	.section	.rodata,"a",@progbits
	.p2align	6, 0x0
	.amdhsa_kernel _ZL37rocblas_syrkx_herkx_restricted_kernelIl19rocblas_complex_numIfELi16ELi32ELi8ELi1ELin1ELb1ELc78ELc76EKS1_S1_EviT_PT9_S3_lS5_S3_lPT10_S3_li
		.amdhsa_group_segment_fixed_size 4096
		.amdhsa_private_segment_fixed_size 0
		.amdhsa_kernarg_size 92
		.amdhsa_user_sgpr_count 13
		.amdhsa_user_sgpr_dispatch_ptr 0
		.amdhsa_user_sgpr_queue_ptr 0
		.amdhsa_user_sgpr_kernarg_segment_ptr 1
		.amdhsa_user_sgpr_dispatch_id 0
		.amdhsa_user_sgpr_private_segment_size 0
		.amdhsa_wavefront_size32 1
		.amdhsa_uses_dynamic_stack 0
		.amdhsa_enable_private_segment 0
		.amdhsa_system_sgpr_workgroup_id_x 1
		.amdhsa_system_sgpr_workgroup_id_y 1
		.amdhsa_system_sgpr_workgroup_id_z 1
		.amdhsa_system_sgpr_workgroup_info 0
		.amdhsa_system_vgpr_workitem_id 1
		.amdhsa_next_free_vgpr 92
		.amdhsa_next_free_sgpr 32
		.amdhsa_reserve_vcc 1
		.amdhsa_float_round_mode_32 0
		.amdhsa_float_round_mode_16_64 0
		.amdhsa_float_denorm_mode_32 3
		.amdhsa_float_denorm_mode_16_64 3
		.amdhsa_dx10_clamp 1
		.amdhsa_ieee_mode 1
		.amdhsa_fp16_overflow 0
		.amdhsa_workgroup_processor_mode 1
		.amdhsa_memory_ordered 1
		.amdhsa_forward_progress 0
		.amdhsa_shared_vgpr_count 0
		.amdhsa_exception_fp_ieee_invalid_op 0
		.amdhsa_exception_fp_denorm_src 0
		.amdhsa_exception_fp_ieee_div_zero 0
		.amdhsa_exception_fp_ieee_overflow 0
		.amdhsa_exception_fp_ieee_underflow 0
		.amdhsa_exception_fp_ieee_inexact 0
		.amdhsa_exception_int_div_zero 0
	.end_amdhsa_kernel
	.section	.text._ZL37rocblas_syrkx_herkx_restricted_kernelIl19rocblas_complex_numIfELi16ELi32ELi8ELi1ELin1ELb1ELc78ELc76EKS1_S1_EviT_PT9_S3_lS5_S3_lPT10_S3_li,"axG",@progbits,_ZL37rocblas_syrkx_herkx_restricted_kernelIl19rocblas_complex_numIfELi16ELi32ELi8ELi1ELin1ELb1ELc78ELc76EKS1_S1_EviT_PT9_S3_lS5_S3_lPT10_S3_li,comdat
.Lfunc_end1242:
	.size	_ZL37rocblas_syrkx_herkx_restricted_kernelIl19rocblas_complex_numIfELi16ELi32ELi8ELi1ELin1ELb1ELc78ELc76EKS1_S1_EviT_PT9_S3_lS5_S3_lPT10_S3_li, .Lfunc_end1242-_ZL37rocblas_syrkx_herkx_restricted_kernelIl19rocblas_complex_numIfELi16ELi32ELi8ELi1ELin1ELb1ELc78ELc76EKS1_S1_EviT_PT9_S3_lS5_S3_lPT10_S3_li
                                        ; -- End function
	.section	.AMDGPU.csdata,"",@progbits
; Kernel info:
; codeLenInByte = 2316
; NumSgprs: 34
; NumVgprs: 92
; ScratchSize: 0
; MemoryBound: 0
; FloatMode: 240
; IeeeMode: 1
; LDSByteSize: 4096 bytes/workgroup (compile time only)
; SGPRBlocks: 4
; VGPRBlocks: 11
; NumSGPRsForWavesPerEU: 34
; NumVGPRsForWavesPerEU: 92
; Occupancy: 16
; WaveLimiterHint : 1
; COMPUTE_PGM_RSRC2:SCRATCH_EN: 0
; COMPUTE_PGM_RSRC2:USER_SGPR: 13
; COMPUTE_PGM_RSRC2:TRAP_HANDLER: 0
; COMPUTE_PGM_RSRC2:TGID_X_EN: 1
; COMPUTE_PGM_RSRC2:TGID_Y_EN: 1
; COMPUTE_PGM_RSRC2:TGID_Z_EN: 1
; COMPUTE_PGM_RSRC2:TIDIG_COMP_CNT: 1
	.section	.text._ZL37rocblas_syrkx_herkx_restricted_kernelIl19rocblas_complex_numIfELi16ELi32ELi8ELi1ELin1ELb1ELc84ELc85EKS1_S1_EviT_PT9_S3_lS5_S3_lPT10_S3_li,"axG",@progbits,_ZL37rocblas_syrkx_herkx_restricted_kernelIl19rocblas_complex_numIfELi16ELi32ELi8ELi1ELin1ELb1ELc84ELc85EKS1_S1_EviT_PT9_S3_lS5_S3_lPT10_S3_li,comdat
	.globl	_ZL37rocblas_syrkx_herkx_restricted_kernelIl19rocblas_complex_numIfELi16ELi32ELi8ELi1ELin1ELb1ELc84ELc85EKS1_S1_EviT_PT9_S3_lS5_S3_lPT10_S3_li ; -- Begin function _ZL37rocblas_syrkx_herkx_restricted_kernelIl19rocblas_complex_numIfELi16ELi32ELi8ELi1ELin1ELb1ELc84ELc85EKS1_S1_EviT_PT9_S3_lS5_S3_lPT10_S3_li
	.p2align	8
	.type	_ZL37rocblas_syrkx_herkx_restricted_kernelIl19rocblas_complex_numIfELi16ELi32ELi8ELi1ELin1ELb1ELc84ELc85EKS1_S1_EviT_PT9_S3_lS5_S3_lPT10_S3_li,@function
_ZL37rocblas_syrkx_herkx_restricted_kernelIl19rocblas_complex_numIfELi16ELi32ELi8ELi1ELin1ELb1ELc84ELc85EKS1_S1_EviT_PT9_S3_lS5_S3_lPT10_S3_li: ; @_ZL37rocblas_syrkx_herkx_restricted_kernelIl19rocblas_complex_numIfELi16ELi32ELi8ELi1ELin1ELb1ELc84ELc85EKS1_S1_EviT_PT9_S3_lS5_S3_lPT10_S3_li
; %bb.0:
	s_load_b512 s[16:31], s[0:1], 0x8
	v_dual_mov_b32 v15, 0 :: v_dual_mov_b32 v16, 0
	v_dual_mov_b32 v13, 0 :: v_dual_mov_b32 v12, 0
	;; [unrolled: 1-line block ×3, first 2 shown]
	v_dual_mov_b32 v7, 0 :: v_dual_and_b32 v6, 0x3ff, v0
	v_bfe_u32 v8, v0, 10, 10
	v_mov_b32_e32 v1, 0
	s_lshl_b32 s8, s13, 5
	s_lshl_b32 s9, s14, 5
	s_waitcnt lgkmcnt(0)
	v_cmp_lt_i64_e64 s2, s[16:17], 1
	s_delay_alu instid0(VALU_DEP_1)
	s_and_b32 vcc_lo, exec_lo, s2
	s_cbranch_vccnz .LBB1243_3
; %bb.1:
	v_lshl_add_u32 v2, v8, 4, v6
	v_dual_mov_b32 v1, 0 :: v_dual_and_b32 v0, 7, v6
	s_mul_i32 s3, s23, s15
	s_mul_hi_u32 s4, s22, s15
	s_delay_alu instid0(VALU_DEP_2) | instskip(SKIP_3) | instid1(VALU_DEP_4)
	v_and_b32_e32 v7, 31, v2
	v_lshrrev_b32_e32 v12, 3, v2
	v_lshrrev_b32_e32 v2, 5, v2
	v_dual_mov_b32 v3, v1 :: v_dual_lshlrev_b32 v14, 3, v0
	v_add_nc_u32_e32 v9, s8, v7
	s_delay_alu instid0(VALU_DEP_4)
	v_add_nc_u32_e32 v13, s9, v12
	s_mul_i32 s2, s22, s15
	s_add_i32 s3, s4, s3
	s_mul_hi_u32 s5, s28, s15
	v_ashrrev_i32_e32 v10, 31, v9
	v_ashrrev_i32_e32 v15, 31, v13
	v_mad_u64_u32 v[4:5], null, s20, v9, v[2:3]
	v_mul_lo_u32 v3, s21, v9
	s_delay_alu instid0(VALU_DEP_4)
	v_mul_lo_u32 v16, s20, v10
	v_mul_lo_u32 v17, v13, s27
	v_mad_u64_u32 v[9:10], null, v13, s26, v[0:1]
	v_mul_lo_u32 v13, v15, s26
	v_lshlrev_b32_e32 v0, 3, v7
	v_lshl_or_b32 v7, v12, 6, v14
	s_lshl_b64 s[2:3], s[2:3], 3
	v_add3_u32 v5, v3, v5, v16
	s_add_u32 s4, s18, s2
	s_mul_i32 s2, s29, s15
	v_add_nc_u32_e32 v14, 0x800, v7
	v_add3_u32 v10, v13, v10, v17
	v_mov_b32_e32 v7, v1
	v_lshl_or_b32 v0, v2, 8, v0
	v_lshlrev_b64 v[2:3], 3, v[4:5]
	s_addc_u32 s6, s19, s3
	s_add_i32 s3, s5, s2
	s_mul_i32 s2, s28, s15
	v_lshlrev_b64 v[4:5], 3, v[9:10]
	v_mov_b32_e32 v9, v1
	s_lshl_b64 s[2:3], s[2:3], 3
	v_add_co_u32 v2, vcc_lo, s4, v2
	s_add_u32 s2, s24, s2
	v_add_co_ci_u32_e32 v3, vcc_lo, s6, v3, vcc_lo
	s_addc_u32 s3, s25, s3
	v_add_co_u32 v4, vcc_lo, s2, v4
	v_add_co_ci_u32_e32 v5, vcc_lo, s3, v5, vcc_lo
	v_add_co_u32 v2, vcc_lo, v2, 4
	v_add_co_ci_u32_e32 v3, vcc_lo, 0, v3, vcc_lo
	s_delay_alu instid0(VALU_DEP_4)
	v_add_co_u32 v4, vcc_lo, v4, 4
	v_dual_mov_b32 v10, v1 :: v_dual_lshlrev_b32 v11, 3, v6
	v_lshl_add_u32 v17, v8, 6, 0x800
	v_add_co_ci_u32_e32 v5, vcc_lo, 0, v5, vcc_lo
	v_mov_b32_e32 v12, v1
	v_mov_b32_e32 v13, v1
	;; [unrolled: 1-line block ×4, first 2 shown]
	s_mov_b64 s[2:3], 0
.LBB1243_2:                             ; =>This Inner Loop Header: Depth=1
	global_load_b64 v[18:19], v[2:3], off offset:-4
	global_load_b64 v[20:21], v[4:5], off offset:-4
	s_add_u32 s2, s2, 8
	v_add_co_u32 v2, vcc_lo, v2, 64
	s_addc_u32 s3, s3, 0
	v_add_co_ci_u32_e32 v3, vcc_lo, 0, v3, vcc_lo
	v_cmp_ge_u64_e64 s4, s[2:3], s[16:17]
	v_add_co_u32 v4, vcc_lo, v4, 64
	v_add_co_ci_u32_e32 v5, vcc_lo, 0, v5, vcc_lo
	s_waitcnt vmcnt(1)
	ds_store_b64 v0, v[18:19]
	s_waitcnt vmcnt(0)
	ds_store_b64 v14, v[20:21]
	s_waitcnt lgkmcnt(0)
	s_barrier
	buffer_gl0_inv
	ds_load_2addr_b64 v[18:21], v11 offset1:16
	ds_load_b128 v[22:25], v17
	ds_load_b128 v[26:29], v17 offset:1024
	ds_load_b128 v[30:33], v17 offset:16
	;; [unrolled: 1-line block ×4, first 2 shown]
	ds_load_2addr_b64 v[42:45], v11 offset0:32 offset1:48
	ds_load_2addr_b64 v[46:49], v11 offset0:64 offset1:80
	ds_load_b128 v[50:53], v17 offset:1040
	ds_load_2addr_b64 v[54:57], v11 offset0:96 offset1:112
	ds_load_2addr_b64 v[58:61], v11 offset0:128 offset1:144
	;; [unrolled: 1-line block ×4, first 2 shown]
	ds_load_b128 v[70:73], v17 offset:1056
	ds_load_b128 v[74:77], v17 offset:1072
	ds_load_2addr_b64 v[78:81], v11 offset0:224 offset1:240
	s_and_b32 vcc_lo, exec_lo, s4
	s_waitcnt lgkmcnt(0)
	s_barrier
	buffer_gl0_inv
	v_dual_mul_f32 v82, v23, v19 :: v_dual_mul_f32 v85, v22, v21
	v_dual_mul_f32 v83, v22, v19 :: v_dual_mul_f32 v84, v23, v21
	v_mul_f32_e32 v86, v27, v19
	v_dual_mul_f32 v19, v26, v19 :: v_dual_mul_f32 v90, v25, v45
	v_dual_mul_f32 v87, v27, v21 :: v_dual_mul_f32 v88, v25, v43
	v_mul_f32_e32 v21, v26, v21
	v_fma_f32 v82, v22, v18, -v82
	v_fmac_f32_e32 v83, v23, v18
	v_fma_f32 v22, v22, v20, -v84
	v_fmac_f32_e32 v85, v23, v20
	v_fma_f32 v23, v26, v18, -v86
	v_dual_fmac_f32 v19, v27, v18 :: v_dual_mul_f32 v86, v30, v47
	v_fma_f32 v18, v26, v20, -v87
	v_dual_fmac_f32 v21, v27, v20 :: v_dual_mul_f32 v20, v24, v45
	v_mul_f32_e32 v89, v24, v43
	v_mul_f32_e32 v26, v29, v43
	;; [unrolled: 1-line block ×4, first 2 shown]
	v_fmac_f32_e32 v20, v25, v44
	v_fmac_f32_e32 v89, v25, v42
	v_dual_mul_f32 v25, v28, v45 :: v_dual_fmac_f32 v86, v31, v46
	v_fma_f32 v84, v24, v42, -v88
	v_fma_f32 v24, v24, v44, -v90
	v_dual_mul_f32 v45, v31, v47 :: v_dual_mul_f32 v90, v33, v57
	v_fma_f32 v26, v28, v42, -v26
	v_fma_f32 v28, v28, v44, -v43
	v_fmac_f32_e32 v25, v29, v44
	v_dual_mul_f32 v43, v50, v47 :: v_dual_mul_f32 v44, v51, v49
	v_dual_fmac_f32 v27, v29, v42 :: v_dual_mul_f32 v42, v51, v47
	v_dual_mul_f32 v88, v32, v55 :: v_dual_mul_f32 v29, v30, v49
	v_mul_f32_e32 v87, v31, v49
	v_fma_f32 v45, v30, v46, -v45
	v_add_f32_e32 v16, v16, v83
	s_delay_alu instid0(VALU_DEP_4)
	v_dual_fmac_f32 v88, v33, v54 :: v_dual_fmac_f32 v29, v31, v48
	v_fma_f32 v31, v50, v46, -v42
	v_fma_f32 v42, v50, v48, -v44
	v_mul_f32_e32 v44, v32, v57
	v_mul_f32_e32 v47, v50, v49
	v_dual_mul_f32 v50, v53, v57 :: v_dual_fmac_f32 v43, v51, v46
	v_mul_f32_e32 v46, v53, v55
	v_mul_f32_e32 v49, v33, v55
	v_fma_f32 v30, v30, v48, -v87
	v_fmac_f32_e32 v44, v33, v56
	v_dual_fmac_f32 v47, v51, v48 :: v_dual_mul_f32 v48, v52, v55
	v_mul_f32_e32 v33, v52, v57
	v_fma_f32 v46, v52, v54, -v46
	v_fma_f32 v50, v52, v56, -v50
	v_mul_f32_e32 v52, v34, v61
	v_fma_f32 v49, v32, v54, -v49
	v_fma_f32 v32, v32, v56, -v90
	v_dual_mul_f32 v51, v35, v59 :: v_dual_fmac_f32 v48, v53, v54
	v_mul_f32_e32 v54, v70, v59
	v_dual_mul_f32 v55, v34, v59 :: v_dual_fmac_f32 v52, v35, v60
	v_fmac_f32_e32 v33, v53, v56
	v_mul_f32_e32 v53, v71, v59
	v_mul_f32_e32 v56, v71, v61
	;; [unrolled: 1-line block ×3, first 2 shown]
	v_fmac_f32_e32 v54, v71, v58
	v_fmac_f32_e32 v55, v35, v58
	v_fma_f32 v35, v70, v58, -v53
	v_fma_f32 v53, v70, v60, -v56
	v_mul_f32_e32 v56, v36, v65
	v_mul_f32_e32 v59, v70, v61
	v_fma_f32 v51, v34, v58, -v51
	v_mul_f32_e32 v58, v72, v63
	v_mul_f32_e32 v87, v36, v63
	v_mul_f32_e32 v61, v37, v63
	v_mul_f32_e32 v90, v37, v65
	v_fma_f32 v34, v34, v60, -v57
	v_mul_f32_e32 v57, v73, v63
	v_fmac_f32_e32 v56, v37, v64
	v_dual_fmac_f32 v59, v71, v60 :: v_dual_mul_f32 v60, v73, v65
	v_mul_f32_e32 v63, v39, v67
	v_mul_f32_e32 v70, v39, v69
	v_fmac_f32_e32 v58, v73, v62
	v_fmac_f32_e32 v87, v37, v62
	v_mul_f32_e32 v37, v72, v65
	v_fma_f32 v61, v36, v62, -v61
	v_fma_f32 v36, v36, v64, -v90
	v_mul_f32_e32 v65, v38, v67
	v_fma_f32 v57, v72, v62, -v57
	v_fma_f32 v60, v72, v64, -v60
	v_dual_fmac_f32 v37, v73, v64 :: v_dual_mul_f32 v62, v38, v69
	v_mul_f32_e32 v64, v75, v67
	v_fma_f32 v63, v38, v66, -v63
	v_fma_f32 v38, v38, v68, -v70
	v_mul_f32_e32 v70, v76, v79
	v_mul_f32_e32 v67, v74, v67
	v_dual_mul_f32 v71, v75, v69 :: v_dual_add_f32 v10, v10, v19
	v_dual_fmac_f32 v65, v39, v66 :: v_dual_add_f32 v12, v12, v85
	s_delay_alu instid0(VALU_DEP_4) | instskip(NEXT) | instid1(VALU_DEP_4)
	v_fmac_f32_e32 v70, v77, v78
	v_fmac_f32_e32 v67, v75, v66
	;; [unrolled: 1-line block ×3, first 2 shown]
	v_fma_f32 v39, v74, v66, -v64
	v_fma_f32 v64, v74, v68, -v71
	v_dual_mul_f32 v71, v77, v81 :: v_dual_add_f32 v10, v10, v27
	v_dual_mul_f32 v69, v74, v69 :: v_dual_add_f32 v12, v12, v20
	;; [unrolled: 1-line block ×3, first 2 shown]
	s_delay_alu instid0(VALU_DEP_3)
	v_add_f32_e32 v10, v10, v43
	v_mul_f32_e32 v73, v40, v79
	v_mul_f32_e32 v72, v41, v79
	v_dual_mul_f32 v90, v41, v81 :: v_dual_fmac_f32 v69, v75, v68
	v_add_f32_e32 v16, v16, v89
	v_fmac_f32_e32 v66, v41, v80
	v_dual_add_f32 v10, v10, v48 :: v_dual_fmac_f32 v73, v41, v78
	v_add_f32_e32 v12, v12, v29
	v_mul_f32_e32 v41, v76, v81
	v_add_f32_e32 v16, v16, v86
	s_delay_alu instid0(VALU_DEP_4) | instskip(SKIP_4) | instid1(VALU_DEP_3)
	v_add_f32_e32 v10, v10, v54
	v_add_f32_e32 v13, v13, v22
	v_dual_add_f32 v9, v9, v23 :: v_dual_add_f32 v12, v12, v44
	v_fmac_f32_e32 v41, v77, v80
	v_dual_add_f32 v16, v16, v88 :: v_dual_add_f32 v7, v7, v18
	v_dual_add_f32 v1, v1, v21 :: v_dual_add_f32 v12, v12, v52
	;; [unrolled: 1-line block ×3, first 2 shown]
	s_delay_alu instid0(VALU_DEP_3) | instskip(NEXT) | instid1(VALU_DEP_3)
	v_dual_add_f32 v16, v16, v55 :: v_dual_add_f32 v15, v15, v84
	v_dual_add_f32 v9, v9, v26 :: v_dual_add_f32 v12, v12, v56
	s_delay_alu instid0(VALU_DEP_2) | instskip(SKIP_1) | instid1(VALU_DEP_4)
	v_dual_add_f32 v1, v1, v25 :: v_dual_add_f32 v16, v16, v87
	v_add_f32_e32 v7, v7, v28
	v_dual_add_f32 v15, v15, v45 :: v_dual_add_f32 v10, v10, v67
	s_delay_alu instid0(VALU_DEP_4) | instskip(NEXT) | instid1(VALU_DEP_4)
	v_dual_add_f32 v12, v12, v62 :: v_dual_add_f32 v9, v9, v31
	v_dual_add_f32 v1, v1, v47 :: v_dual_add_f32 v16, v16, v65
	s_delay_alu instid0(VALU_DEP_3)
	v_add_f32_e32 v10, v10, v70
	v_add_f32_e32 v13, v13, v30
	;; [unrolled: 1-line block ×15, first 2 shown]
	v_dual_mul_f32 v68, v77, v79 :: v_dual_add_f32 v15, v15, v61
	v_add_f32_e32 v13, v13, v36
	v_add_f32_e32 v7, v7, v60
	s_delay_alu instid0(VALU_DEP_4)
	v_add_f32_e32 v9, v9, v57
	v_add_f32_e32 v1, v1, v37
	v_fma_f32 v72, v40, v78, -v72
	v_fma_f32 v40, v40, v80, -v90
	;; [unrolled: 1-line block ×4, first 2 shown]
	v_add_f32_e32 v15, v15, v63
	v_add_f32_e32 v13, v13, v38
	;; [unrolled: 1-line block ×10, first 2 shown]
	s_cbranch_vccz .LBB1243_2
.LBB1243_3:
	s_clause 0x1
	s_load_b128 s[4:7], s[0:1], 0x48
	s_load_b32 s2, s[0:1], 0x0
	v_add_nc_u32_e32 v0, s9, v8
	s_delay_alu instid0(VALU_DEP_1) | instskip(SKIP_1) | instid1(VALU_DEP_1)
	v_ashrrev_i32_e32 v2, 31, v0
	s_waitcnt lgkmcnt(0)
	v_mul_lo_u32 v5, v2, s4
	v_mul_lo_u32 v8, v0, s5
	v_mad_u64_u32 v[3:4], null, v0, s4, 0
	s_mul_i32 s1, s15, s7
	s_mul_hi_u32 s3, s15, s6
	s_mul_i32 s6, s15, s6
	s_add_i32 s7, s3, s1
	v_add_nc_u32_e32 v2, s8, v6
	s_lshl_b64 s[6:7], s[6:7], 3
	s_delay_alu instid0(VALU_DEP_2)
	v_add3_u32 v4, v4, v8, v5
	s_add_u32 s3, s30, s6
	v_cmp_gt_i32_e32 vcc_lo, s2, v0
	v_cmp_le_i32_e64 s0, v2, v0
	s_addc_u32 s6, s31, s7
	v_lshlrev_b64 v[3:4], 3, v[3:4]
	s_delay_alu instid0(VALU_DEP_2) | instskip(NEXT) | instid1(VALU_DEP_1)
	s_and_b32 s0, vcc_lo, s0
	v_add_co_u32 v6, s1, s3, v3
	s_delay_alu instid0(VALU_DEP_1)
	v_add_co_ci_u32_e64 v8, s1, s6, v4, s1
	s_and_saveexec_b32 s1, s0
	s_cbranch_execz .LBB1243_6
; %bb.4:
	v_ashrrev_i32_e32 v3, 31, v2
	s_delay_alu instid0(VALU_DEP_1) | instskip(NEXT) | instid1(VALU_DEP_1)
	v_lshlrev_b64 v[3:4], 3, v[2:3]
	v_add_co_u32 v3, s0, v6, v3
	s_delay_alu instid0(VALU_DEP_1)
	v_add_co_ci_u32_e64 v4, s0, v8, v4, s0
	v_cmp_eq_u32_e64 s0, v0, v2
	global_load_b64 v[17:18], v[3:4], off
	s_waitcnt vmcnt(0)
	v_dual_sub_f32 v14, v15, v17 :: v_dual_sub_f32 v15, v16, v18
	global_store_b64 v[3:4], v[14:15], off
	s_and_b32 exec_lo, exec_lo, s0
	s_cbranch_execz .LBB1243_6
; %bb.5:
	v_mov_b32_e32 v5, 0
	global_store_b32 v[3:4], v5, off offset:4
.LBB1243_6:
	s_or_b32 exec_lo, exec_lo, s1
	v_add_nc_u32_e32 v4, 16, v2
	s_delay_alu instid0(VALU_DEP_1) | instskip(NEXT) | instid1(VALU_DEP_1)
	v_cmp_le_i32_e64 s0, v4, v0
	s_and_b32 s1, vcc_lo, s0
	s_delay_alu instid0(SALU_CYCLE_1)
	s_and_saveexec_b32 s0, s1
	s_cbranch_execz .LBB1243_9
; %bb.7:
	v_ashrrev_i32_e32 v5, 31, v4
	s_delay_alu instid0(VALU_DEP_1) | instskip(NEXT) | instid1(VALU_DEP_1)
	v_lshlrev_b64 v[14:15], 3, v[4:5]
	v_add_co_u32 v5, vcc_lo, v6, v14
	s_delay_alu instid0(VALU_DEP_2)
	v_add_co_ci_u32_e32 v6, vcc_lo, v8, v15, vcc_lo
	v_cmp_eq_u32_e32 vcc_lo, v0, v4
	global_load_b64 v[14:15], v[5:6], off
	s_waitcnt vmcnt(0)
	v_dual_sub_f32 v11, v13, v14 :: v_dual_sub_f32 v12, v12, v15
	global_store_b64 v[5:6], v[11:12], off
	s_and_b32 exec_lo, exec_lo, vcc_lo
	s_cbranch_execz .LBB1243_9
; %bb.8:
	v_mov_b32_e32 v3, 0
	global_store_b32 v[5:6], v3, off offset:4
.LBB1243_9:
	s_or_b32 exec_lo, exec_lo, s0
	v_add_nc_u32_e32 v8, 16, v0
	s_delay_alu instid0(VALU_DEP_1) | instskip(SKIP_3) | instid1(VALU_DEP_4)
	v_ashrrev_i32_e32 v3, 31, v8
	v_mul_lo_u32 v11, v8, s5
	v_mad_u64_u32 v[5:6], null, v8, s4, 0
	v_cmp_gt_i32_e32 vcc_lo, s2, v8
	v_mul_lo_u32 v3, v3, s4
	v_cmp_le_i32_e64 s0, v2, v8
	s_delay_alu instid0(VALU_DEP_1) | instskip(NEXT) | instid1(VALU_DEP_2)
	s_and_b32 s0, vcc_lo, s0
	v_add3_u32 v6, v6, v11, v3
	s_delay_alu instid0(VALU_DEP_1) | instskip(NEXT) | instid1(VALU_DEP_1)
	v_lshlrev_b64 v[5:6], 3, v[5:6]
	v_add_co_u32 v11, s1, s3, v5
	s_delay_alu instid0(VALU_DEP_1)
	v_add_co_ci_u32_e64 v12, s1, s6, v6, s1
	s_and_saveexec_b32 s1, s0
	s_cbranch_execz .LBB1243_12
; %bb.10:
	v_ashrrev_i32_e32 v3, 31, v2
	s_delay_alu instid0(VALU_DEP_1) | instskip(NEXT) | instid1(VALU_DEP_1)
	v_lshlrev_b64 v[5:6], 3, v[2:3]
	v_add_co_u32 v5, s0, v11, v5
	s_delay_alu instid0(VALU_DEP_1)
	v_add_co_ci_u32_e64 v6, s0, v12, v6, s0
	v_cmp_eq_u32_e64 s0, v8, v2
	global_load_b64 v[13:14], v[5:6], off
	s_waitcnt vmcnt(0)
	v_dual_sub_f32 v9, v9, v13 :: v_dual_sub_f32 v10, v10, v14
	global_store_b64 v[5:6], v[9:10], off
	s_and_b32 exec_lo, exec_lo, s0
	s_cbranch_execz .LBB1243_12
; %bb.11:
	v_mov_b32_e32 v3, 0
	global_store_b32 v[5:6], v3, off offset:4
.LBB1243_12:
	s_or_b32 exec_lo, exec_lo, s1
	v_cmp_le_i32_e64 s0, v4, v8
	s_delay_alu instid0(VALU_DEP_1) | instskip(NEXT) | instid1(SALU_CYCLE_1)
	s_and_b32 s0, vcc_lo, s0
	s_and_saveexec_b32 s1, s0
	s_cbranch_execz .LBB1243_15
; %bb.13:
	v_ashrrev_i32_e32 v5, 31, v4
	s_delay_alu instid0(VALU_DEP_1) | instskip(NEXT) | instid1(VALU_DEP_1)
	v_lshlrev_b64 v[3:4], 3, v[4:5]
	v_add_co_u32 v3, vcc_lo, v11, v3
	s_delay_alu instid0(VALU_DEP_2)
	v_add_co_ci_u32_e32 v4, vcc_lo, v12, v4, vcc_lo
	v_cmp_eq_u32_e32 vcc_lo, v0, v2
	global_load_b64 v[5:6], v[3:4], off
	s_waitcnt vmcnt(0)
	v_dual_sub_f32 v5, v7, v5 :: v_dual_sub_f32 v6, v1, v6
	global_store_b64 v[3:4], v[5:6], off
	s_and_b32 exec_lo, exec_lo, vcc_lo
	s_cbranch_execz .LBB1243_15
; %bb.14:
	v_mov_b32_e32 v0, 0
	global_store_b32 v[3:4], v0, off offset:4
.LBB1243_15:
	s_nop 0
	s_sendmsg sendmsg(MSG_DEALLOC_VGPRS)
	s_endpgm
	.section	.rodata,"a",@progbits
	.p2align	6, 0x0
	.amdhsa_kernel _ZL37rocblas_syrkx_herkx_restricted_kernelIl19rocblas_complex_numIfELi16ELi32ELi8ELi1ELin1ELb1ELc84ELc85EKS1_S1_EviT_PT9_S3_lS5_S3_lPT10_S3_li
		.amdhsa_group_segment_fixed_size 4096
		.amdhsa_private_segment_fixed_size 0
		.amdhsa_kernarg_size 92
		.amdhsa_user_sgpr_count 13
		.amdhsa_user_sgpr_dispatch_ptr 0
		.amdhsa_user_sgpr_queue_ptr 0
		.amdhsa_user_sgpr_kernarg_segment_ptr 1
		.amdhsa_user_sgpr_dispatch_id 0
		.amdhsa_user_sgpr_private_segment_size 0
		.amdhsa_wavefront_size32 1
		.amdhsa_uses_dynamic_stack 0
		.amdhsa_enable_private_segment 0
		.amdhsa_system_sgpr_workgroup_id_x 1
		.amdhsa_system_sgpr_workgroup_id_y 1
		.amdhsa_system_sgpr_workgroup_id_z 1
		.amdhsa_system_sgpr_workgroup_info 0
		.amdhsa_system_vgpr_workitem_id 1
		.amdhsa_next_free_vgpr 91
		.amdhsa_next_free_sgpr 32
		.amdhsa_reserve_vcc 1
		.amdhsa_float_round_mode_32 0
		.amdhsa_float_round_mode_16_64 0
		.amdhsa_float_denorm_mode_32 3
		.amdhsa_float_denorm_mode_16_64 3
		.amdhsa_dx10_clamp 1
		.amdhsa_ieee_mode 1
		.amdhsa_fp16_overflow 0
		.amdhsa_workgroup_processor_mode 1
		.amdhsa_memory_ordered 1
		.amdhsa_forward_progress 0
		.amdhsa_shared_vgpr_count 0
		.amdhsa_exception_fp_ieee_invalid_op 0
		.amdhsa_exception_fp_denorm_src 0
		.amdhsa_exception_fp_ieee_div_zero 0
		.amdhsa_exception_fp_ieee_overflow 0
		.amdhsa_exception_fp_ieee_underflow 0
		.amdhsa_exception_fp_ieee_inexact 0
		.amdhsa_exception_int_div_zero 0
	.end_amdhsa_kernel
	.section	.text._ZL37rocblas_syrkx_herkx_restricted_kernelIl19rocblas_complex_numIfELi16ELi32ELi8ELi1ELin1ELb1ELc84ELc85EKS1_S1_EviT_PT9_S3_lS5_S3_lPT10_S3_li,"axG",@progbits,_ZL37rocblas_syrkx_herkx_restricted_kernelIl19rocblas_complex_numIfELi16ELi32ELi8ELi1ELin1ELb1ELc84ELc85EKS1_S1_EviT_PT9_S3_lS5_S3_lPT10_S3_li,comdat
.Lfunc_end1243:
	.size	_ZL37rocblas_syrkx_herkx_restricted_kernelIl19rocblas_complex_numIfELi16ELi32ELi8ELi1ELin1ELb1ELc84ELc85EKS1_S1_EviT_PT9_S3_lS5_S3_lPT10_S3_li, .Lfunc_end1243-_ZL37rocblas_syrkx_herkx_restricted_kernelIl19rocblas_complex_numIfELi16ELi32ELi8ELi1ELin1ELb1ELc84ELc85EKS1_S1_EviT_PT9_S3_lS5_S3_lPT10_S3_li
                                        ; -- End function
	.section	.AMDGPU.csdata,"",@progbits
; Kernel info:
; codeLenInByte = 2292
; NumSgprs: 34
; NumVgprs: 91
; ScratchSize: 0
; MemoryBound: 0
; FloatMode: 240
; IeeeMode: 1
; LDSByteSize: 4096 bytes/workgroup (compile time only)
; SGPRBlocks: 4
; VGPRBlocks: 11
; NumSGPRsForWavesPerEU: 34
; NumVGPRsForWavesPerEU: 91
; Occupancy: 16
; WaveLimiterHint : 1
; COMPUTE_PGM_RSRC2:SCRATCH_EN: 0
; COMPUTE_PGM_RSRC2:USER_SGPR: 13
; COMPUTE_PGM_RSRC2:TRAP_HANDLER: 0
; COMPUTE_PGM_RSRC2:TGID_X_EN: 1
; COMPUTE_PGM_RSRC2:TGID_Y_EN: 1
; COMPUTE_PGM_RSRC2:TGID_Z_EN: 1
; COMPUTE_PGM_RSRC2:TIDIG_COMP_CNT: 1
	.section	.text._ZL37rocblas_syrkx_herkx_restricted_kernelIl19rocblas_complex_numIfELi16ELi32ELi8ELi1ELin1ELb1ELc67ELc85EKS1_S1_EviT_PT9_S3_lS5_S3_lPT10_S3_li,"axG",@progbits,_ZL37rocblas_syrkx_herkx_restricted_kernelIl19rocblas_complex_numIfELi16ELi32ELi8ELi1ELin1ELb1ELc67ELc85EKS1_S1_EviT_PT9_S3_lS5_S3_lPT10_S3_li,comdat
	.globl	_ZL37rocblas_syrkx_herkx_restricted_kernelIl19rocblas_complex_numIfELi16ELi32ELi8ELi1ELin1ELb1ELc67ELc85EKS1_S1_EviT_PT9_S3_lS5_S3_lPT10_S3_li ; -- Begin function _ZL37rocblas_syrkx_herkx_restricted_kernelIl19rocblas_complex_numIfELi16ELi32ELi8ELi1ELin1ELb1ELc67ELc85EKS1_S1_EviT_PT9_S3_lS5_S3_lPT10_S3_li
	.p2align	8
	.type	_ZL37rocblas_syrkx_herkx_restricted_kernelIl19rocblas_complex_numIfELi16ELi32ELi8ELi1ELin1ELb1ELc67ELc85EKS1_S1_EviT_PT9_S3_lS5_S3_lPT10_S3_li,@function
_ZL37rocblas_syrkx_herkx_restricted_kernelIl19rocblas_complex_numIfELi16ELi32ELi8ELi1ELin1ELb1ELc67ELc85EKS1_S1_EviT_PT9_S3_lS5_S3_lPT10_S3_li: ; @_ZL37rocblas_syrkx_herkx_restricted_kernelIl19rocblas_complex_numIfELi16ELi32ELi8ELi1ELin1ELb1ELc67ELc85EKS1_S1_EviT_PT9_S3_lS5_S3_lPT10_S3_li
; %bb.0:
	s_load_b512 s[16:31], s[0:1], 0x8
	v_dual_mov_b32 v15, 0 :: v_dual_mov_b32 v16, 0
	v_dual_mov_b32 v13, 0 :: v_dual_mov_b32 v12, 0
	v_dual_mov_b32 v9, 0 :: v_dual_mov_b32 v10, 0
	v_dual_mov_b32 v7, 0 :: v_dual_and_b32 v6, 0x3ff, v0
	v_bfe_u32 v8, v0, 10, 10
	v_mov_b32_e32 v1, 0
	s_lshl_b32 s8, s13, 5
	s_lshl_b32 s9, s14, 5
	s_waitcnt lgkmcnt(0)
	v_cmp_lt_i64_e64 s2, s[16:17], 1
	s_delay_alu instid0(VALU_DEP_1)
	s_and_b32 vcc_lo, exec_lo, s2
	s_cbranch_vccnz .LBB1244_3
; %bb.1:
	v_lshl_add_u32 v2, v8, 4, v6
	v_dual_mov_b32 v1, 0 :: v_dual_and_b32 v0, 7, v6
	s_mul_i32 s3, s23, s15
	s_mul_hi_u32 s4, s22, s15
	s_delay_alu instid0(VALU_DEP_2) | instskip(SKIP_3) | instid1(VALU_DEP_4)
	v_and_b32_e32 v7, 31, v2
	v_lshrrev_b32_e32 v12, 3, v2
	v_lshrrev_b32_e32 v2, 5, v2
	v_dual_mov_b32 v3, v1 :: v_dual_lshlrev_b32 v14, 3, v0
	v_add_nc_u32_e32 v9, s8, v7
	s_delay_alu instid0(VALU_DEP_4)
	v_add_nc_u32_e32 v13, s9, v12
	s_mul_i32 s2, s22, s15
	s_add_i32 s3, s4, s3
	s_mul_hi_u32 s5, s28, s15
	v_ashrrev_i32_e32 v10, 31, v9
	v_ashrrev_i32_e32 v15, 31, v13
	v_mad_u64_u32 v[4:5], null, s20, v9, v[2:3]
	v_mul_lo_u32 v3, s21, v9
	s_delay_alu instid0(VALU_DEP_4)
	v_mul_lo_u32 v16, s20, v10
	v_mul_lo_u32 v17, v13, s27
	v_mad_u64_u32 v[9:10], null, v13, s26, v[0:1]
	v_mul_lo_u32 v13, v15, s26
	v_lshlrev_b32_e32 v0, 3, v7
	v_lshl_or_b32 v7, v12, 6, v14
	s_lshl_b64 s[2:3], s[2:3], 3
	v_add3_u32 v5, v3, v5, v16
	s_add_u32 s4, s18, s2
	s_mul_i32 s2, s29, s15
	v_add_nc_u32_e32 v14, 0x800, v7
	v_add3_u32 v10, v13, v10, v17
	v_mov_b32_e32 v7, v1
	v_lshl_or_b32 v0, v2, 8, v0
	v_lshlrev_b64 v[2:3], 3, v[4:5]
	s_addc_u32 s6, s19, s3
	s_add_i32 s3, s5, s2
	s_mul_i32 s2, s28, s15
	v_lshlrev_b64 v[4:5], 3, v[9:10]
	v_mov_b32_e32 v9, v1
	s_lshl_b64 s[2:3], s[2:3], 3
	v_add_co_u32 v2, vcc_lo, s4, v2
	s_add_u32 s2, s24, s2
	v_add_co_ci_u32_e32 v3, vcc_lo, s6, v3, vcc_lo
	s_addc_u32 s3, s25, s3
	v_add_co_u32 v4, vcc_lo, s2, v4
	v_add_co_ci_u32_e32 v5, vcc_lo, s3, v5, vcc_lo
	v_add_co_u32 v2, vcc_lo, v2, 4
	v_add_co_ci_u32_e32 v3, vcc_lo, 0, v3, vcc_lo
	s_delay_alu instid0(VALU_DEP_4)
	v_add_co_u32 v4, vcc_lo, v4, 4
	v_dual_mov_b32 v10, v1 :: v_dual_lshlrev_b32 v11, 3, v6
	v_lshl_add_u32 v17, v8, 6, 0x800
	v_add_co_ci_u32_e32 v5, vcc_lo, 0, v5, vcc_lo
	v_mov_b32_e32 v12, v1
	v_mov_b32_e32 v13, v1
	;; [unrolled: 1-line block ×4, first 2 shown]
	s_mov_b64 s[2:3], 0
.LBB1244_2:                             ; =>This Inner Loop Header: Depth=1
	global_load_b64 v[18:19], v[2:3], off offset:-4
	global_load_b64 v[20:21], v[4:5], off offset:-4
	s_add_u32 s2, s2, 8
	v_add_co_u32 v2, vcc_lo, v2, 64
	s_addc_u32 s3, s3, 0
	v_add_co_ci_u32_e32 v3, vcc_lo, 0, v3, vcc_lo
	v_cmp_ge_u64_e64 s4, s[2:3], s[16:17]
	v_add_co_u32 v4, vcc_lo, v4, 64
	v_add_co_ci_u32_e32 v5, vcc_lo, 0, v5, vcc_lo
	s_delay_alu instid0(VALU_DEP_3)
	s_and_b32 vcc_lo, exec_lo, s4
	s_waitcnt vmcnt(1)
	v_xor_b32_e32 v19, 0x80000000, v19
	ds_store_b64 v0, v[18:19]
	s_waitcnt vmcnt(0)
	ds_store_b64 v14, v[20:21]
	s_waitcnt lgkmcnt(0)
	s_barrier
	buffer_gl0_inv
	ds_load_2addr_b64 v[18:21], v11 offset1:16
	ds_load_b128 v[22:25], v17
	ds_load_b128 v[26:29], v17 offset:1024
	ds_load_b128 v[30:33], v17 offset:16
	;; [unrolled: 1-line block ×4, first 2 shown]
	ds_load_2addr_b64 v[42:45], v11 offset0:32 offset1:48
	ds_load_2addr_b64 v[46:49], v11 offset0:64 offset1:80
	ds_load_b128 v[50:53], v17 offset:1040
	ds_load_2addr_b64 v[54:57], v11 offset0:96 offset1:112
	ds_load_2addr_b64 v[58:61], v11 offset0:128 offset1:144
	;; [unrolled: 1-line block ×4, first 2 shown]
	ds_load_b128 v[70:73], v17 offset:1056
	ds_load_b128 v[74:77], v17 offset:1072
	ds_load_2addr_b64 v[78:81], v11 offset0:224 offset1:240
	s_waitcnt lgkmcnt(0)
	s_barrier
	buffer_gl0_inv
	v_dual_mul_f32 v82, v23, v19 :: v_dual_mul_f32 v85, v22, v21
	v_dual_mul_f32 v83, v22, v19 :: v_dual_mul_f32 v84, v23, v21
	v_mul_f32_e32 v86, v27, v19
	v_dual_mul_f32 v19, v26, v19 :: v_dual_mul_f32 v90, v25, v45
	v_dual_mul_f32 v87, v27, v21 :: v_dual_mul_f32 v88, v25, v43
	v_mul_f32_e32 v21, v26, v21
	v_fma_f32 v82, v22, v18, -v82
	v_fmac_f32_e32 v83, v23, v18
	v_fma_f32 v22, v22, v20, -v84
	v_fmac_f32_e32 v85, v23, v20
	v_fma_f32 v23, v26, v18, -v86
	v_dual_fmac_f32 v19, v27, v18 :: v_dual_mul_f32 v86, v30, v47
	v_fma_f32 v18, v26, v20, -v87
	v_dual_fmac_f32 v21, v27, v20 :: v_dual_mul_f32 v20, v24, v45
	v_mul_f32_e32 v89, v24, v43
	v_mul_f32_e32 v26, v29, v43
	;; [unrolled: 1-line block ×4, first 2 shown]
	v_fmac_f32_e32 v20, v25, v44
	v_fmac_f32_e32 v89, v25, v42
	v_dual_mul_f32 v25, v28, v45 :: v_dual_fmac_f32 v86, v31, v46
	v_fma_f32 v84, v24, v42, -v88
	v_fma_f32 v24, v24, v44, -v90
	v_dual_mul_f32 v45, v31, v47 :: v_dual_mul_f32 v90, v33, v57
	v_fma_f32 v26, v28, v42, -v26
	v_fma_f32 v28, v28, v44, -v43
	v_fmac_f32_e32 v25, v29, v44
	v_dual_mul_f32 v43, v50, v47 :: v_dual_mul_f32 v44, v51, v49
	v_dual_fmac_f32 v27, v29, v42 :: v_dual_mul_f32 v42, v51, v47
	v_dual_mul_f32 v88, v32, v55 :: v_dual_mul_f32 v29, v30, v49
	v_mul_f32_e32 v87, v31, v49
	v_fma_f32 v45, v30, v46, -v45
	v_add_f32_e32 v16, v16, v83
	s_delay_alu instid0(VALU_DEP_4)
	v_dual_fmac_f32 v88, v33, v54 :: v_dual_fmac_f32 v29, v31, v48
	v_fma_f32 v31, v50, v46, -v42
	v_fma_f32 v42, v50, v48, -v44
	v_mul_f32_e32 v44, v32, v57
	v_mul_f32_e32 v47, v50, v49
	v_dual_mul_f32 v50, v53, v57 :: v_dual_fmac_f32 v43, v51, v46
	v_mul_f32_e32 v46, v53, v55
	v_mul_f32_e32 v49, v33, v55
	v_fma_f32 v30, v30, v48, -v87
	v_fmac_f32_e32 v44, v33, v56
	v_dual_fmac_f32 v47, v51, v48 :: v_dual_mul_f32 v48, v52, v55
	v_mul_f32_e32 v33, v52, v57
	v_fma_f32 v46, v52, v54, -v46
	v_fma_f32 v50, v52, v56, -v50
	v_mul_f32_e32 v52, v34, v61
	v_fma_f32 v49, v32, v54, -v49
	v_fma_f32 v32, v32, v56, -v90
	v_dual_mul_f32 v51, v35, v59 :: v_dual_fmac_f32 v48, v53, v54
	v_mul_f32_e32 v54, v70, v59
	v_dual_mul_f32 v55, v34, v59 :: v_dual_fmac_f32 v52, v35, v60
	v_fmac_f32_e32 v33, v53, v56
	v_mul_f32_e32 v53, v71, v59
	v_mul_f32_e32 v56, v71, v61
	;; [unrolled: 1-line block ×3, first 2 shown]
	v_fmac_f32_e32 v54, v71, v58
	v_fmac_f32_e32 v55, v35, v58
	v_fma_f32 v35, v70, v58, -v53
	v_fma_f32 v53, v70, v60, -v56
	v_mul_f32_e32 v56, v36, v65
	v_mul_f32_e32 v59, v70, v61
	v_fma_f32 v51, v34, v58, -v51
	v_mul_f32_e32 v58, v72, v63
	v_mul_f32_e32 v87, v36, v63
	;; [unrolled: 1-line block ×4, first 2 shown]
	v_fma_f32 v34, v34, v60, -v57
	v_mul_f32_e32 v57, v73, v63
	v_fmac_f32_e32 v56, v37, v64
	v_dual_fmac_f32 v59, v71, v60 :: v_dual_mul_f32 v60, v73, v65
	v_mul_f32_e32 v63, v39, v67
	v_mul_f32_e32 v70, v39, v69
	v_fmac_f32_e32 v58, v73, v62
	v_fmac_f32_e32 v87, v37, v62
	v_mul_f32_e32 v37, v72, v65
	v_fma_f32 v61, v36, v62, -v61
	v_fma_f32 v36, v36, v64, -v90
	v_mul_f32_e32 v65, v38, v67
	v_fma_f32 v57, v72, v62, -v57
	v_fma_f32 v60, v72, v64, -v60
	v_dual_fmac_f32 v37, v73, v64 :: v_dual_mul_f32 v62, v38, v69
	v_mul_f32_e32 v64, v75, v67
	v_fma_f32 v63, v38, v66, -v63
	v_fma_f32 v38, v38, v68, -v70
	v_mul_f32_e32 v70, v76, v79
	v_mul_f32_e32 v67, v74, v67
	v_dual_mul_f32 v71, v75, v69 :: v_dual_add_f32 v10, v10, v19
	v_dual_fmac_f32 v65, v39, v66 :: v_dual_add_f32 v12, v12, v85
	s_delay_alu instid0(VALU_DEP_4) | instskip(NEXT) | instid1(VALU_DEP_4)
	v_fmac_f32_e32 v70, v77, v78
	v_fmac_f32_e32 v67, v75, v66
	;; [unrolled: 1-line block ×3, first 2 shown]
	v_fma_f32 v39, v74, v66, -v64
	v_fma_f32 v64, v74, v68, -v71
	v_dual_mul_f32 v71, v77, v81 :: v_dual_add_f32 v10, v10, v27
	v_dual_mul_f32 v69, v74, v69 :: v_dual_add_f32 v12, v12, v20
	;; [unrolled: 1-line block ×3, first 2 shown]
	s_delay_alu instid0(VALU_DEP_3)
	v_add_f32_e32 v10, v10, v43
	v_mul_f32_e32 v73, v40, v79
	v_mul_f32_e32 v72, v41, v79
	v_dual_mul_f32 v90, v41, v81 :: v_dual_fmac_f32 v69, v75, v68
	v_add_f32_e32 v16, v16, v89
	v_fmac_f32_e32 v66, v41, v80
	v_dual_add_f32 v10, v10, v48 :: v_dual_fmac_f32 v73, v41, v78
	v_add_f32_e32 v12, v12, v29
	v_mul_f32_e32 v41, v76, v81
	v_add_f32_e32 v16, v16, v86
	s_delay_alu instid0(VALU_DEP_4) | instskip(SKIP_4) | instid1(VALU_DEP_3)
	v_add_f32_e32 v10, v10, v54
	v_add_f32_e32 v13, v13, v22
	v_dual_add_f32 v9, v9, v23 :: v_dual_add_f32 v12, v12, v44
	v_fmac_f32_e32 v41, v77, v80
	v_dual_add_f32 v16, v16, v88 :: v_dual_add_f32 v7, v7, v18
	v_dual_add_f32 v1, v1, v21 :: v_dual_add_f32 v12, v12, v52
	;; [unrolled: 1-line block ×3, first 2 shown]
	s_delay_alu instid0(VALU_DEP_3) | instskip(NEXT) | instid1(VALU_DEP_3)
	v_dual_add_f32 v16, v16, v55 :: v_dual_add_f32 v15, v15, v84
	v_dual_add_f32 v9, v9, v26 :: v_dual_add_f32 v12, v12, v56
	s_delay_alu instid0(VALU_DEP_2) | instskip(SKIP_1) | instid1(VALU_DEP_4)
	v_dual_add_f32 v1, v1, v25 :: v_dual_add_f32 v16, v16, v87
	v_add_f32_e32 v7, v7, v28
	v_dual_add_f32 v15, v15, v45 :: v_dual_add_f32 v10, v10, v67
	s_delay_alu instid0(VALU_DEP_4) | instskip(NEXT) | instid1(VALU_DEP_4)
	v_dual_add_f32 v12, v12, v62 :: v_dual_add_f32 v9, v9, v31
	v_dual_add_f32 v1, v1, v47 :: v_dual_add_f32 v16, v16, v65
	s_delay_alu instid0(VALU_DEP_3)
	v_add_f32_e32 v10, v10, v70
	v_add_f32_e32 v13, v13, v30
	;; [unrolled: 1-line block ×15, first 2 shown]
	v_dual_mul_f32 v68, v77, v79 :: v_dual_add_f32 v15, v15, v61
	v_add_f32_e32 v13, v13, v36
	v_add_f32_e32 v7, v7, v60
	s_delay_alu instid0(VALU_DEP_4)
	v_add_f32_e32 v9, v9, v57
	v_add_f32_e32 v1, v1, v37
	v_fma_f32 v72, v40, v78, -v72
	v_fma_f32 v40, v40, v80, -v90
	v_fma_f32 v68, v76, v78, -v68
	v_fma_f32 v71, v76, v80, -v71
	v_add_f32_e32 v15, v15, v63
	v_add_f32_e32 v13, v13, v38
	;; [unrolled: 1-line block ×10, first 2 shown]
	s_cbranch_vccz .LBB1244_2
.LBB1244_3:
	s_clause 0x1
	s_load_b128 s[4:7], s[0:1], 0x48
	s_load_b32 s2, s[0:1], 0x0
	v_add_nc_u32_e32 v0, s9, v8
	s_delay_alu instid0(VALU_DEP_1) | instskip(SKIP_1) | instid1(VALU_DEP_1)
	v_ashrrev_i32_e32 v2, 31, v0
	s_waitcnt lgkmcnt(0)
	v_mul_lo_u32 v5, v2, s4
	v_mul_lo_u32 v8, v0, s5
	v_mad_u64_u32 v[3:4], null, v0, s4, 0
	s_mul_i32 s1, s15, s7
	s_mul_hi_u32 s3, s15, s6
	s_mul_i32 s6, s15, s6
	s_add_i32 s7, s3, s1
	v_add_nc_u32_e32 v2, s8, v6
	s_lshl_b64 s[6:7], s[6:7], 3
	s_delay_alu instid0(VALU_DEP_2)
	v_add3_u32 v4, v4, v8, v5
	s_add_u32 s3, s30, s6
	v_cmp_gt_i32_e32 vcc_lo, s2, v0
	v_cmp_le_i32_e64 s0, v2, v0
	s_addc_u32 s6, s31, s7
	v_lshlrev_b64 v[3:4], 3, v[3:4]
	s_delay_alu instid0(VALU_DEP_2) | instskip(NEXT) | instid1(VALU_DEP_1)
	s_and_b32 s0, vcc_lo, s0
	v_add_co_u32 v6, s1, s3, v3
	s_delay_alu instid0(VALU_DEP_1)
	v_add_co_ci_u32_e64 v8, s1, s6, v4, s1
	s_and_saveexec_b32 s1, s0
	s_cbranch_execz .LBB1244_6
; %bb.4:
	v_ashrrev_i32_e32 v3, 31, v2
	s_delay_alu instid0(VALU_DEP_1) | instskip(NEXT) | instid1(VALU_DEP_1)
	v_lshlrev_b64 v[3:4], 3, v[2:3]
	v_add_co_u32 v3, s0, v6, v3
	s_delay_alu instid0(VALU_DEP_1)
	v_add_co_ci_u32_e64 v4, s0, v8, v4, s0
	v_cmp_eq_u32_e64 s0, v0, v2
	global_load_b64 v[17:18], v[3:4], off
	s_waitcnt vmcnt(0)
	v_dual_sub_f32 v14, v15, v17 :: v_dual_sub_f32 v15, v16, v18
	global_store_b64 v[3:4], v[14:15], off
	s_and_b32 exec_lo, exec_lo, s0
	s_cbranch_execz .LBB1244_6
; %bb.5:
	v_mov_b32_e32 v5, 0
	global_store_b32 v[3:4], v5, off offset:4
.LBB1244_6:
	s_or_b32 exec_lo, exec_lo, s1
	v_add_nc_u32_e32 v4, 16, v2
	s_delay_alu instid0(VALU_DEP_1) | instskip(NEXT) | instid1(VALU_DEP_1)
	v_cmp_le_i32_e64 s0, v4, v0
	s_and_b32 s1, vcc_lo, s0
	s_delay_alu instid0(SALU_CYCLE_1)
	s_and_saveexec_b32 s0, s1
	s_cbranch_execz .LBB1244_9
; %bb.7:
	v_ashrrev_i32_e32 v5, 31, v4
	s_delay_alu instid0(VALU_DEP_1) | instskip(NEXT) | instid1(VALU_DEP_1)
	v_lshlrev_b64 v[14:15], 3, v[4:5]
	v_add_co_u32 v5, vcc_lo, v6, v14
	s_delay_alu instid0(VALU_DEP_2)
	v_add_co_ci_u32_e32 v6, vcc_lo, v8, v15, vcc_lo
	v_cmp_eq_u32_e32 vcc_lo, v0, v4
	global_load_b64 v[14:15], v[5:6], off
	s_waitcnt vmcnt(0)
	v_dual_sub_f32 v11, v13, v14 :: v_dual_sub_f32 v12, v12, v15
	global_store_b64 v[5:6], v[11:12], off
	s_and_b32 exec_lo, exec_lo, vcc_lo
	s_cbranch_execz .LBB1244_9
; %bb.8:
	v_mov_b32_e32 v3, 0
	global_store_b32 v[5:6], v3, off offset:4
.LBB1244_9:
	s_or_b32 exec_lo, exec_lo, s0
	v_add_nc_u32_e32 v8, 16, v0
	s_delay_alu instid0(VALU_DEP_1) | instskip(SKIP_3) | instid1(VALU_DEP_4)
	v_ashrrev_i32_e32 v3, 31, v8
	v_mul_lo_u32 v11, v8, s5
	v_mad_u64_u32 v[5:6], null, v8, s4, 0
	v_cmp_gt_i32_e32 vcc_lo, s2, v8
	v_mul_lo_u32 v3, v3, s4
	v_cmp_le_i32_e64 s0, v2, v8
	s_delay_alu instid0(VALU_DEP_1) | instskip(NEXT) | instid1(VALU_DEP_2)
	s_and_b32 s0, vcc_lo, s0
	v_add3_u32 v6, v6, v11, v3
	s_delay_alu instid0(VALU_DEP_1) | instskip(NEXT) | instid1(VALU_DEP_1)
	v_lshlrev_b64 v[5:6], 3, v[5:6]
	v_add_co_u32 v11, s1, s3, v5
	s_delay_alu instid0(VALU_DEP_1)
	v_add_co_ci_u32_e64 v12, s1, s6, v6, s1
	s_and_saveexec_b32 s1, s0
	s_cbranch_execz .LBB1244_12
; %bb.10:
	v_ashrrev_i32_e32 v3, 31, v2
	s_delay_alu instid0(VALU_DEP_1) | instskip(NEXT) | instid1(VALU_DEP_1)
	v_lshlrev_b64 v[5:6], 3, v[2:3]
	v_add_co_u32 v5, s0, v11, v5
	s_delay_alu instid0(VALU_DEP_1)
	v_add_co_ci_u32_e64 v6, s0, v12, v6, s0
	v_cmp_eq_u32_e64 s0, v8, v2
	global_load_b64 v[13:14], v[5:6], off
	s_waitcnt vmcnt(0)
	v_dual_sub_f32 v9, v9, v13 :: v_dual_sub_f32 v10, v10, v14
	global_store_b64 v[5:6], v[9:10], off
	s_and_b32 exec_lo, exec_lo, s0
	s_cbranch_execz .LBB1244_12
; %bb.11:
	v_mov_b32_e32 v3, 0
	global_store_b32 v[5:6], v3, off offset:4
.LBB1244_12:
	s_or_b32 exec_lo, exec_lo, s1
	v_cmp_le_i32_e64 s0, v4, v8
	s_delay_alu instid0(VALU_DEP_1) | instskip(NEXT) | instid1(SALU_CYCLE_1)
	s_and_b32 s0, vcc_lo, s0
	s_and_saveexec_b32 s1, s0
	s_cbranch_execz .LBB1244_15
; %bb.13:
	v_ashrrev_i32_e32 v5, 31, v4
	s_delay_alu instid0(VALU_DEP_1) | instskip(NEXT) | instid1(VALU_DEP_1)
	v_lshlrev_b64 v[3:4], 3, v[4:5]
	v_add_co_u32 v3, vcc_lo, v11, v3
	s_delay_alu instid0(VALU_DEP_2)
	v_add_co_ci_u32_e32 v4, vcc_lo, v12, v4, vcc_lo
	v_cmp_eq_u32_e32 vcc_lo, v0, v2
	global_load_b64 v[5:6], v[3:4], off
	s_waitcnt vmcnt(0)
	v_dual_sub_f32 v5, v7, v5 :: v_dual_sub_f32 v6, v1, v6
	global_store_b64 v[3:4], v[5:6], off
	s_and_b32 exec_lo, exec_lo, vcc_lo
	s_cbranch_execz .LBB1244_15
; %bb.14:
	v_mov_b32_e32 v0, 0
	global_store_b32 v[3:4], v0, off offset:4
.LBB1244_15:
	s_nop 0
	s_sendmsg sendmsg(MSG_DEALLOC_VGPRS)
	s_endpgm
	.section	.rodata,"a",@progbits
	.p2align	6, 0x0
	.amdhsa_kernel _ZL37rocblas_syrkx_herkx_restricted_kernelIl19rocblas_complex_numIfELi16ELi32ELi8ELi1ELin1ELb1ELc67ELc85EKS1_S1_EviT_PT9_S3_lS5_S3_lPT10_S3_li
		.amdhsa_group_segment_fixed_size 4096
		.amdhsa_private_segment_fixed_size 0
		.amdhsa_kernarg_size 92
		.amdhsa_user_sgpr_count 13
		.amdhsa_user_sgpr_dispatch_ptr 0
		.amdhsa_user_sgpr_queue_ptr 0
		.amdhsa_user_sgpr_kernarg_segment_ptr 1
		.amdhsa_user_sgpr_dispatch_id 0
		.amdhsa_user_sgpr_private_segment_size 0
		.amdhsa_wavefront_size32 1
		.amdhsa_uses_dynamic_stack 0
		.amdhsa_enable_private_segment 0
		.amdhsa_system_sgpr_workgroup_id_x 1
		.amdhsa_system_sgpr_workgroup_id_y 1
		.amdhsa_system_sgpr_workgroup_id_z 1
		.amdhsa_system_sgpr_workgroup_info 0
		.amdhsa_system_vgpr_workitem_id 1
		.amdhsa_next_free_vgpr 91
		.amdhsa_next_free_sgpr 32
		.amdhsa_reserve_vcc 1
		.amdhsa_float_round_mode_32 0
		.amdhsa_float_round_mode_16_64 0
		.amdhsa_float_denorm_mode_32 3
		.amdhsa_float_denorm_mode_16_64 3
		.amdhsa_dx10_clamp 1
		.amdhsa_ieee_mode 1
		.amdhsa_fp16_overflow 0
		.amdhsa_workgroup_processor_mode 1
		.amdhsa_memory_ordered 1
		.amdhsa_forward_progress 0
		.amdhsa_shared_vgpr_count 0
		.amdhsa_exception_fp_ieee_invalid_op 0
		.amdhsa_exception_fp_denorm_src 0
		.amdhsa_exception_fp_ieee_div_zero 0
		.amdhsa_exception_fp_ieee_overflow 0
		.amdhsa_exception_fp_ieee_underflow 0
		.amdhsa_exception_fp_ieee_inexact 0
		.amdhsa_exception_int_div_zero 0
	.end_amdhsa_kernel
	.section	.text._ZL37rocblas_syrkx_herkx_restricted_kernelIl19rocblas_complex_numIfELi16ELi32ELi8ELi1ELin1ELb1ELc67ELc85EKS1_S1_EviT_PT9_S3_lS5_S3_lPT10_S3_li,"axG",@progbits,_ZL37rocblas_syrkx_herkx_restricted_kernelIl19rocblas_complex_numIfELi16ELi32ELi8ELi1ELin1ELb1ELc67ELc85EKS1_S1_EviT_PT9_S3_lS5_S3_lPT10_S3_li,comdat
.Lfunc_end1244:
	.size	_ZL37rocblas_syrkx_herkx_restricted_kernelIl19rocblas_complex_numIfELi16ELi32ELi8ELi1ELin1ELb1ELc67ELc85EKS1_S1_EviT_PT9_S3_lS5_S3_lPT10_S3_li, .Lfunc_end1244-_ZL37rocblas_syrkx_herkx_restricted_kernelIl19rocblas_complex_numIfELi16ELi32ELi8ELi1ELin1ELb1ELc67ELc85EKS1_S1_EviT_PT9_S3_lS5_S3_lPT10_S3_li
                                        ; -- End function
	.section	.AMDGPU.csdata,"",@progbits
; Kernel info:
; codeLenInByte = 2304
; NumSgprs: 34
; NumVgprs: 91
; ScratchSize: 0
; MemoryBound: 0
; FloatMode: 240
; IeeeMode: 1
; LDSByteSize: 4096 bytes/workgroup (compile time only)
; SGPRBlocks: 4
; VGPRBlocks: 11
; NumSGPRsForWavesPerEU: 34
; NumVGPRsForWavesPerEU: 91
; Occupancy: 16
; WaveLimiterHint : 1
; COMPUTE_PGM_RSRC2:SCRATCH_EN: 0
; COMPUTE_PGM_RSRC2:USER_SGPR: 13
; COMPUTE_PGM_RSRC2:TRAP_HANDLER: 0
; COMPUTE_PGM_RSRC2:TGID_X_EN: 1
; COMPUTE_PGM_RSRC2:TGID_Y_EN: 1
; COMPUTE_PGM_RSRC2:TGID_Z_EN: 1
; COMPUTE_PGM_RSRC2:TIDIG_COMP_CNT: 1
	.section	.text._ZL37rocblas_syrkx_herkx_restricted_kernelIl19rocblas_complex_numIfELi16ELi32ELi8ELi1ELin1ELb1ELc78ELc85EKS1_S1_EviT_PT9_S3_lS5_S3_lPT10_S3_li,"axG",@progbits,_ZL37rocblas_syrkx_herkx_restricted_kernelIl19rocblas_complex_numIfELi16ELi32ELi8ELi1ELin1ELb1ELc78ELc85EKS1_S1_EviT_PT9_S3_lS5_S3_lPT10_S3_li,comdat
	.globl	_ZL37rocblas_syrkx_herkx_restricted_kernelIl19rocblas_complex_numIfELi16ELi32ELi8ELi1ELin1ELb1ELc78ELc85EKS1_S1_EviT_PT9_S3_lS5_S3_lPT10_S3_li ; -- Begin function _ZL37rocblas_syrkx_herkx_restricted_kernelIl19rocblas_complex_numIfELi16ELi32ELi8ELi1ELin1ELb1ELc78ELc85EKS1_S1_EviT_PT9_S3_lS5_S3_lPT10_S3_li
	.p2align	8
	.type	_ZL37rocblas_syrkx_herkx_restricted_kernelIl19rocblas_complex_numIfELi16ELi32ELi8ELi1ELin1ELb1ELc78ELc85EKS1_S1_EviT_PT9_S3_lS5_S3_lPT10_S3_li,@function
_ZL37rocblas_syrkx_herkx_restricted_kernelIl19rocblas_complex_numIfELi16ELi32ELi8ELi1ELin1ELb1ELc78ELc85EKS1_S1_EviT_PT9_S3_lS5_S3_lPT10_S3_li: ; @_ZL37rocblas_syrkx_herkx_restricted_kernelIl19rocblas_complex_numIfELi16ELi32ELi8ELi1ELin1ELb1ELc78ELc85EKS1_S1_EviT_PT9_S3_lS5_S3_lPT10_S3_li
; %bb.0:
	s_load_b512 s[16:31], s[0:1], 0x8
	v_dual_mov_b32 v14, 0 :: v_dual_mov_b32 v15, 0
	v_dual_mov_b32 v13, 0 :: v_dual_mov_b32 v12, 0
	;; [unrolled: 1-line block ×3, first 2 shown]
	v_dual_mov_b32 v7, 0 :: v_dual_and_b32 v4, 0x3ff, v0
	v_bfe_u32 v5, v0, 10, 10
	v_mov_b32_e32 v6, 0
	s_lshl_b32 s8, s13, 5
	s_lshl_b32 s9, s14, 5
	s_waitcnt lgkmcnt(0)
	v_cmp_lt_i64_e64 s2, s[16:17], 1
	s_delay_alu instid0(VALU_DEP_1)
	s_and_b32 vcc_lo, exec_lo, s2
	s_cbranch_vccnz .LBB1245_3
; %bb.1:
	v_lshl_add_u32 v1, v5, 4, v4
	v_and_b32_e32 v13, 7, v4
	s_mul_i32 s3, s23, s15
	s_mul_hi_u32 s5, s22, s15
	s_mul_i32 s2, s22, s15
	v_and_b32_e32 v9, 31, v1
	v_lshrrev_b32_e32 v12, 3, v1
	v_lshrrev_b32_e32 v14, 5, v1
	s_add_i32 s3, s5, s3
	s_mul_i32 s6, s29, s15
	v_add_nc_u32_e32 v0, s8, v9
	v_add_nc_u32_e32 v2, s9, v12
	s_lshl_b64 s[2:3], s[2:3], 3
	s_mul_hi_u32 s7, s28, s15
	s_add_u32 s10, s18, s2
	v_ashrrev_i32_e32 v1, 31, v0
	v_ashrrev_i32_e32 v3, 31, v2
	s_mul_i32 s4, s28, s15
	s_addc_u32 s11, s19, s3
	s_add_i32 s5, s7, s6
	v_mad_u64_u32 v[6:7], null, v14, s20, v[0:1]
	v_mad_u64_u32 v[0:1], null, v13, s26, v[2:3]
	s_lshl_b64 s[4:5], s[4:5], 3
	s_lshl_b64 s[2:3], s[20:21], 6
	s_add_u32 s4, s24, s4
	s_addc_u32 s5, s25, s5
	s_delay_alu instid0(VALU_DEP_2) | instskip(SKIP_3) | instid1(VALU_DEP_3)
	v_mov_b32_e32 v2, v7
	v_lshlrev_b32_e32 v10, 3, v4
	v_lshl_add_u32 v11, v5, 6, 0x800
	s_mov_b64 s[6:7], 0
	v_mad_u64_u32 v[7:8], null, v14, s21, v[2:3]
	v_mad_u64_u32 v[2:3], null, v13, s27, v[1:2]
	s_delay_alu instid0(VALU_DEP_1) | instskip(NEXT) | instid1(VALU_DEP_3)
	v_dual_mov_b32 v1, v2 :: v_dual_lshlrev_b32 v8, 3, v9
	v_lshlrev_b64 v[2:3], 3, v[6:7]
	s_delay_alu instid0(VALU_DEP_2) | instskip(NEXT) | instid1(VALU_DEP_2)
	v_lshlrev_b64 v[0:1], 3, v[0:1]
	v_add_co_u32 v2, vcc_lo, s10, v2
	s_delay_alu instid0(VALU_DEP_3) | instskip(NEXT) | instid1(VALU_DEP_3)
	v_add_co_ci_u32_e32 v3, vcc_lo, s11, v3, vcc_lo
	v_add_co_u32 v6, vcc_lo, s4, v0
	s_delay_alu instid0(VALU_DEP_4) | instskip(NEXT) | instid1(VALU_DEP_4)
	v_add_co_ci_u32_e32 v7, vcc_lo, s5, v1, vcc_lo
	v_add_co_u32 v0, vcc_lo, v2, 4
	s_delay_alu instid0(VALU_DEP_4) | instskip(NEXT) | instid1(VALU_DEP_4)
	v_add_co_ci_u32_e32 v1, vcc_lo, 0, v3, vcc_lo
	v_add_co_u32 v2, vcc_lo, v6, 4
	v_dual_mov_b32 v6, 0 :: v_dual_lshlrev_b32 v15, 3, v13
	v_mov_b32_e32 v13, 0
	v_lshl_or_b32 v16, v14, 8, v8
	v_mov_b32_e32 v8, 0
	v_add_co_ci_u32_e32 v3, vcc_lo, 0, v7, vcc_lo
	v_lshl_or_b32 v9, v12, 6, v15
	v_dual_mov_b32 v7, 0 :: v_dual_mov_b32 v12, 0
	v_dual_mov_b32 v15, 0 :: v_dual_mov_b32 v14, 0
	s_delay_alu instid0(VALU_DEP_3)
	v_add_nc_u32_e32 v17, 0x800, v9
	v_mov_b32_e32 v9, 0
	s_lshl_b64 s[4:5], s[26:27], 6
.LBB1245_2:                             ; =>This Inner Loop Header: Depth=1
	global_load_b64 v[18:19], v[2:3], off offset:-4
	global_load_b64 v[20:21], v[0:1], off offset:-4
	s_add_u32 s6, s6, 8
	v_add_co_u32 v0, vcc_lo, v0, s2
	s_addc_u32 s7, s7, 0
	v_add_co_ci_u32_e32 v1, vcc_lo, s3, v1, vcc_lo
	v_cmp_ge_u64_e64 s10, s[6:7], s[16:17]
	v_add_co_u32 v2, vcc_lo, v2, s4
	v_add_co_ci_u32_e32 v3, vcc_lo, s5, v3, vcc_lo
	s_delay_alu instid0(VALU_DEP_3)
	s_and_b32 vcc_lo, exec_lo, s10
	s_waitcnt vmcnt(1)
	v_xor_b32_e32 v19, 0x80000000, v19
	s_waitcnt vmcnt(0)
	ds_store_b64 v16, v[20:21]
	ds_store_b64 v17, v[18:19]
	s_waitcnt lgkmcnt(0)
	s_barrier
	buffer_gl0_inv
	ds_load_2addr_b64 v[18:21], v10 offset1:16
	ds_load_b128 v[22:25], v11
	ds_load_b128 v[26:29], v11 offset:1024
	ds_load_b128 v[30:33], v11 offset:16
	;; [unrolled: 1-line block ×4, first 2 shown]
	ds_load_2addr_b64 v[42:45], v10 offset0:32 offset1:48
	ds_load_2addr_b64 v[46:49], v10 offset0:64 offset1:80
	ds_load_b128 v[50:53], v11 offset:1040
	ds_load_2addr_b64 v[54:57], v10 offset0:96 offset1:112
	ds_load_2addr_b64 v[58:61], v10 offset0:128 offset1:144
	;; [unrolled: 1-line block ×4, first 2 shown]
	ds_load_b128 v[70:73], v11 offset:1056
	ds_load_b128 v[74:77], v11 offset:1072
	ds_load_2addr_b64 v[78:81], v10 offset0:224 offset1:240
	s_waitcnt lgkmcnt(0)
	s_barrier
	buffer_gl0_inv
	v_dual_mul_f32 v82, v23, v19 :: v_dual_mul_f32 v85, v22, v21
	v_dual_mul_f32 v83, v22, v19 :: v_dual_mul_f32 v84, v23, v21
	v_mul_f32_e32 v86, v27, v19
	v_dual_mul_f32 v19, v26, v19 :: v_dual_mul_f32 v90, v25, v45
	v_dual_mul_f32 v87, v27, v21 :: v_dual_mul_f32 v88, v25, v43
	v_mul_f32_e32 v21, v26, v21
	v_mul_f32_e32 v89, v24, v43
	;; [unrolled: 1-line block ×3, first 2 shown]
	v_fma_f32 v82, v22, v18, -v82
	v_fmac_f32_e32 v83, v23, v18
	v_fma_f32 v22, v22, v20, -v84
	v_dual_fmac_f32 v85, v23, v20 :: v_dual_mul_f32 v84, v30, v47
	v_fma_f32 v23, v26, v18, -v86
	v_fmac_f32_e32 v19, v27, v18
	v_fma_f32 v18, v26, v20, -v87
	v_dual_mul_f32 v26, v28, v43 :: v_dual_fmac_f32 v21, v27, v20
	v_mul_f32_e32 v20, v29, v43
	v_mul_f32_e32 v27, v29, v45
	v_dual_mul_f32 v43, v28, v45 :: v_dual_fmac_f32 v84, v31, v46
	v_fma_f32 v45, v24, v42, -v88
	v_fma_f32 v24, v24, v44, -v90
	v_dual_fmac_f32 v91, v25, v44 :: v_dual_mul_f32 v90, v32, v57
	v_dual_mul_f32 v86, v31, v49 :: v_dual_fmac_f32 v89, v25, v42
	v_dual_mul_f32 v25, v31, v47 :: v_dual_mul_f32 v88, v33, v57
	v_fma_f32 v20, v28, v42, -v20
	v_fmac_f32_e32 v26, v29, v42
	v_fma_f32 v27, v28, v44, -v27
	v_dual_fmac_f32 v43, v29, v44 :: v_dual_mul_f32 v28, v51, v47
	v_dual_mul_f32 v29, v50, v47 :: v_dual_mul_f32 v42, v51, v49
	v_mul_f32_e32 v44, v50, v49
	v_mul_f32_e32 v87, v30, v49
	;; [unrolled: 1-line block ×3, first 2 shown]
	v_dual_mul_f32 v49, v32, v55 :: v_dual_fmac_f32 v90, v33, v56
	v_fma_f32 v25, v30, v46, -v25
	v_fma_f32 v30, v30, v48, -v86
	;; [unrolled: 1-line block ×3, first 2 shown]
	v_fmac_f32_e32 v44, v51, v48
	v_fmac_f32_e32 v87, v31, v48
	v_fma_f32 v31, v50, v48, -v42
	v_mul_f32_e32 v42, v53, v55
	v_mul_f32_e32 v48, v53, v57
	v_dual_mul_f32 v50, v52, v57 :: v_dual_fmac_f32 v29, v51, v46
	v_mul_f32_e32 v46, v52, v55
	v_fma_f32 v47, v32, v54, -v47
	v_fmac_f32_e32 v49, v33, v54
	v_fma_f32 v32, v32, v56, -v88
	s_delay_alu instid0(VALU_DEP_4)
	v_dual_mul_f32 v33, v35, v59 :: v_dual_fmac_f32 v46, v53, v54
	v_mul_f32_e32 v51, v34, v59
	v_mul_f32_e32 v55, v35, v61
	v_fma_f32 v42, v52, v54, -v42
	v_fma_f32 v48, v52, v56, -v48
	v_fmac_f32_e32 v50, v53, v56
	v_mul_f32_e32 v52, v71, v59
	v_dual_mul_f32 v53, v70, v59 :: v_dual_mul_f32 v86, v37, v65
	v_mul_f32_e32 v54, v71, v61
	v_dual_mul_f32 v56, v70, v61 :: v_dual_mul_f32 v59, v37, v63
	v_mul_f32_e32 v57, v34, v61
	v_mul_f32_e32 v61, v36, v63
	v_dual_mul_f32 v88, v36, v65 :: v_dual_fmac_f32 v51, v35, v58
	v_fma_f32 v33, v34, v58, -v33
	v_fmac_f32_e32 v53, v71, v58
	v_fmac_f32_e32 v56, v71, v60
	s_delay_alu instid0(VALU_DEP_4)
	v_fmac_f32_e32 v88, v37, v64
	v_fmac_f32_e32 v57, v35, v60
	v_fma_f32 v35, v70, v58, -v52
	v_fma_f32 v52, v70, v60, -v54
	v_mul_f32_e32 v54, v73, v63
	v_fma_f32 v34, v34, v60, -v55
	v_mul_f32_e32 v60, v72, v65
	v_dual_mul_f32 v55, v72, v63 :: v_dual_mul_f32 v70, v38, v69
	v_mul_f32_e32 v58, v73, v65
	v_fma_f32 v59, v36, v62, -v59
	v_fmac_f32_e32 v61, v37, v62
	v_fma_f32 v36, v36, v64, -v86
	v_dual_mul_f32 v37, v39, v67 :: v_dual_fmac_f32 v60, v73, v64
	v_dual_mul_f32 v63, v38, v67 :: v_dual_mul_f32 v86, v40, v81
	v_mul_f32_e32 v65, v39, v69
	v_fma_f32 v54, v72, v62, -v54
	v_fmac_f32_e32 v55, v73, v62
	v_fma_f32 v58, v72, v64, -v58
	v_mul_f32_e32 v72, v40, v79
	v_mul_f32_e32 v62, v75, v67
	v_dual_mul_f32 v64, v74, v67 :: v_dual_mul_f32 v67, v75, v69
	v_dual_mul_f32 v69, v74, v69 :: v_dual_fmac_f32 v70, v39, v68
	s_delay_alu instid0(VALU_DEP_2)
	v_dual_mul_f32 v71, v41, v79 :: v_dual_fmac_f32 v64, v75, v66
	v_fma_f32 v37, v38, v66, -v37
	v_fmac_f32_e32 v63, v39, v66
	v_fma_f32 v38, v38, v68, -v65
	v_fma_f32 v39, v74, v66, -v62
	v_dual_fmac_f32 v69, v75, v68 :: v_dual_fmac_f32 v72, v41, v78
	v_mul_f32_e32 v66, v76, v79
	v_fma_f32 v62, v74, v68, -v67
	v_mul_f32_e32 v68, v76, v81
	v_dual_mul_f32 v73, v41, v81 :: v_dual_add_f32 v14, v14, v82
	v_dual_mul_f32 v65, v77, v79 :: v_dual_add_f32 v12, v12, v85
	;; [unrolled: 1-line block ×3, first 2 shown]
	v_dual_fmac_f32 v86, v41, v80 :: v_dual_add_f32 v15, v15, v83
	v_dual_fmac_f32 v68, v77, v80 :: v_dual_add_f32 v7, v7, v18
	v_dual_add_f32 v13, v13, v22 :: v_dual_add_f32 v6, v6, v21
	v_dual_add_f32 v9, v9, v19 :: v_dual_add_f32 v14, v14, v45
	s_delay_alu instid0(VALU_DEP_4) | instskip(NEXT) | instid1(VALU_DEP_3)
	v_dual_fmac_f32 v66, v77, v78 :: v_dual_add_f32 v15, v15, v89
	v_dual_add_f32 v13, v13, v24 :: v_dual_add_f32 v12, v12, v91
	s_delay_alu instid0(VALU_DEP_3) | instskip(NEXT) | instid1(VALU_DEP_4)
	v_dual_add_f32 v8, v8, v20 :: v_dual_add_f32 v9, v9, v26
	v_dual_add_f32 v7, v7, v27 :: v_dual_add_f32 v14, v14, v25
	s_delay_alu instid0(VALU_DEP_4) | instskip(NEXT) | instid1(VALU_DEP_4)
	v_dual_add_f32 v6, v6, v43 :: v_dual_add_f32 v15, v15, v84
	v_dual_add_f32 v13, v13, v30 :: v_dual_add_f32 v12, v12, v87
	s_delay_alu instid0(VALU_DEP_4) | instskip(NEXT) | instid1(VALU_DEP_3)
	v_dual_add_f32 v8, v8, v28 :: v_dual_add_f32 v9, v9, v29
	v_dual_add_f32 v7, v7, v31 :: v_dual_add_f32 v6, v6, v44
	s_delay_alu instid0(VALU_DEP_4) | instskip(NEXT) | instid1(VALU_DEP_4)
	v_dual_add_f32 v14, v14, v47 :: v_dual_add_f32 v15, v15, v49
	v_dual_add_f32 v13, v13, v32 :: v_dual_add_f32 v12, v12, v90
	s_delay_alu instid0(VALU_DEP_3) | instskip(NEXT) | instid1(VALU_DEP_3)
	v_dual_add_f32 v8, v8, v42 :: v_dual_add_f32 v7, v7, v48
	v_dual_add_f32 v9, v9, v46 :: v_dual_add_f32 v14, v14, v33
	s_delay_alu instid0(VALU_DEP_4) | instskip(NEXT) | instid1(VALU_DEP_4)
	v_dual_add_f32 v6, v6, v50 :: v_dual_add_f32 v15, v15, v51
	v_dual_add_f32 v13, v13, v34 :: v_dual_add_f32 v12, v12, v57
	s_delay_alu instid0(VALU_DEP_3) | instskip(NEXT) | instid1(VALU_DEP_4)
	v_dual_add_f32 v8, v8, v35 :: v_dual_add_f32 v9, v9, v53
	v_dual_add_f32 v7, v7, v52 :: v_dual_add_f32 v14, v14, v59
	s_delay_alu instid0(VALU_DEP_4) | instskip(NEXT) | instid1(VALU_DEP_3)
	v_dual_add_f32 v6, v6, v56 :: v_dual_add_f32 v15, v15, v61
	v_dual_add_f32 v13, v13, v36 :: v_dual_add_f32 v8, v8, v54
	s_delay_alu instid0(VALU_DEP_4) | instskip(NEXT) | instid1(VALU_DEP_3)
	v_dual_add_f32 v12, v12, v88 :: v_dual_add_f32 v9, v9, v55
	v_dual_add_f32 v7, v7, v58 :: v_dual_add_f32 v6, v6, v60
	v_fma_f32 v71, v40, v78, -v71
	v_fma_f32 v40, v40, v80, -v73
	;; [unrolled: 1-line block ×4, first 2 shown]
	v_dual_add_f32 v14, v14, v37 :: v_dual_add_f32 v15, v15, v63
	v_dual_add_f32 v13, v13, v38 :: v_dual_add_f32 v8, v8, v39
	;; [unrolled: 1-line block ×4, first 2 shown]
	s_delay_alu instid0(VALU_DEP_4) | instskip(NEXT) | instid1(VALU_DEP_3)
	v_dual_add_f32 v14, v14, v71 :: v_dual_add_f32 v15, v15, v72
	v_dual_add_f32 v13, v13, v40 :: v_dual_add_f32 v12, v12, v86
	s_delay_alu instid0(VALU_DEP_4) | instskip(NEXT) | instid1(VALU_DEP_4)
	v_dual_add_f32 v8, v8, v41 :: v_dual_add_f32 v9, v9, v66
	v_dual_add_f32 v7, v7, v65 :: v_dual_add_f32 v6, v6, v68
	s_cbranch_vccz .LBB1245_2
.LBB1245_3:
	s_clause 0x1
	s_load_b128 s[4:7], s[0:1], 0x48
	s_load_b32 s2, s[0:1], 0x0
	v_add_nc_u32_e32 v5, s9, v5
	s_delay_alu instid0(VALU_DEP_1) | instskip(SKIP_1) | instid1(VALU_DEP_1)
	v_ashrrev_i32_e32 v0, 31, v5
	s_waitcnt lgkmcnt(0)
	v_mul_lo_u32 v3, v0, s4
	v_mul_lo_u32 v10, v5, s5
	v_mad_u64_u32 v[1:2], null, v5, s4, 0
	s_mul_i32 s1, s15, s7
	s_mul_hi_u32 s3, s15, s6
	s_mul_i32 s6, s15, s6
	s_add_i32 s7, s3, s1
	v_add_nc_u32_e32 v0, s8, v4
	s_lshl_b64 s[6:7], s[6:7], 3
	s_delay_alu instid0(VALU_DEP_2)
	v_add3_u32 v2, v2, v10, v3
	s_add_u32 s3, s30, s6
	v_cmp_gt_i32_e32 vcc_lo, s2, v5
	v_cmp_le_i32_e64 s0, v0, v5
	s_addc_u32 s6, s31, s7
	v_lshlrev_b64 v[1:2], 3, v[1:2]
	s_delay_alu instid0(VALU_DEP_2) | instskip(NEXT) | instid1(VALU_DEP_1)
	s_and_b32 s0, vcc_lo, s0
	v_add_co_u32 v4, s1, s3, v1
	s_delay_alu instid0(VALU_DEP_1)
	v_add_co_ci_u32_e64 v10, s1, s6, v2, s1
	s_and_saveexec_b32 s1, s0
	s_cbranch_execz .LBB1245_6
; %bb.4:
	v_ashrrev_i32_e32 v1, 31, v0
	s_delay_alu instid0(VALU_DEP_1) | instskip(NEXT) | instid1(VALU_DEP_1)
	v_lshlrev_b64 v[1:2], 3, v[0:1]
	v_add_co_u32 v1, s0, v4, v1
	s_delay_alu instid0(VALU_DEP_1)
	v_add_co_ci_u32_e64 v2, s0, v10, v2, s0
	v_cmp_eq_u32_e64 s0, v5, v0
	global_load_b64 v[16:17], v[1:2], off
	s_waitcnt vmcnt(0)
	v_dual_sub_f32 v14, v14, v16 :: v_dual_sub_f32 v15, v15, v17
	global_store_b64 v[1:2], v[14:15], off
	s_and_b32 exec_lo, exec_lo, s0
	s_cbranch_execz .LBB1245_6
; %bb.5:
	v_mov_b32_e32 v3, 0
	global_store_b32 v[1:2], v3, off offset:4
.LBB1245_6:
	s_or_b32 exec_lo, exec_lo, s1
	v_add_nc_u32_e32 v2, 16, v0
	s_delay_alu instid0(VALU_DEP_1) | instskip(NEXT) | instid1(VALU_DEP_1)
	v_cmp_le_i32_e64 s0, v2, v5
	s_and_b32 s1, vcc_lo, s0
	s_delay_alu instid0(SALU_CYCLE_1)
	s_and_saveexec_b32 s0, s1
	s_cbranch_execz .LBB1245_9
; %bb.7:
	v_ashrrev_i32_e32 v3, 31, v2
	s_delay_alu instid0(VALU_DEP_1) | instskip(NEXT) | instid1(VALU_DEP_1)
	v_lshlrev_b64 v[14:15], 3, v[2:3]
	v_add_co_u32 v3, vcc_lo, v4, v14
	s_delay_alu instid0(VALU_DEP_2)
	v_add_co_ci_u32_e32 v4, vcc_lo, v10, v15, vcc_lo
	v_cmp_eq_u32_e32 vcc_lo, v5, v2
	global_load_b64 v[10:11], v[3:4], off
	s_waitcnt vmcnt(0)
	v_dual_sub_f32 v10, v13, v10 :: v_dual_sub_f32 v11, v12, v11
	global_store_b64 v[3:4], v[10:11], off
	s_and_b32 exec_lo, exec_lo, vcc_lo
	s_cbranch_execz .LBB1245_9
; %bb.8:
	v_mov_b32_e32 v1, 0
	global_store_b32 v[3:4], v1, off offset:4
.LBB1245_9:
	s_or_b32 exec_lo, exec_lo, s0
	v_add_nc_u32_e32 v10, 16, v5
	s_delay_alu instid0(VALU_DEP_1) | instskip(SKIP_3) | instid1(VALU_DEP_4)
	v_ashrrev_i32_e32 v1, 31, v10
	v_mul_lo_u32 v11, v10, s5
	v_mad_u64_u32 v[3:4], null, v10, s4, 0
	v_cmp_gt_i32_e32 vcc_lo, s2, v10
	v_mul_lo_u32 v1, v1, s4
	v_cmp_le_i32_e64 s0, v0, v10
	s_delay_alu instid0(VALU_DEP_1) | instskip(NEXT) | instid1(VALU_DEP_2)
	s_and_b32 s0, vcc_lo, s0
	v_add3_u32 v4, v4, v11, v1
	s_delay_alu instid0(VALU_DEP_1) | instskip(NEXT) | instid1(VALU_DEP_1)
	v_lshlrev_b64 v[3:4], 3, v[3:4]
	v_add_co_u32 v11, s1, s3, v3
	s_delay_alu instid0(VALU_DEP_1)
	v_add_co_ci_u32_e64 v12, s1, s6, v4, s1
	s_and_saveexec_b32 s1, s0
	s_cbranch_execz .LBB1245_12
; %bb.10:
	v_ashrrev_i32_e32 v1, 31, v0
	s_delay_alu instid0(VALU_DEP_1) | instskip(NEXT) | instid1(VALU_DEP_1)
	v_lshlrev_b64 v[3:4], 3, v[0:1]
	v_add_co_u32 v3, s0, v11, v3
	s_delay_alu instid0(VALU_DEP_1)
	v_add_co_ci_u32_e64 v4, s0, v12, v4, s0
	v_cmp_eq_u32_e64 s0, v10, v0
	global_load_b64 v[13:14], v[3:4], off
	s_waitcnt vmcnt(0)
	v_dual_sub_f32 v8, v8, v13 :: v_dual_sub_f32 v9, v9, v14
	global_store_b64 v[3:4], v[8:9], off
	s_and_b32 exec_lo, exec_lo, s0
	s_cbranch_execz .LBB1245_12
; %bb.11:
	v_mov_b32_e32 v1, 0
	global_store_b32 v[3:4], v1, off offset:4
.LBB1245_12:
	s_or_b32 exec_lo, exec_lo, s1
	v_cmp_le_i32_e64 s0, v2, v10
	s_delay_alu instid0(VALU_DEP_1) | instskip(NEXT) | instid1(SALU_CYCLE_1)
	s_and_b32 s0, vcc_lo, s0
	s_and_saveexec_b32 s1, s0
	s_cbranch_execz .LBB1245_15
; %bb.13:
	v_ashrrev_i32_e32 v3, 31, v2
	s_delay_alu instid0(VALU_DEP_1) | instskip(NEXT) | instid1(VALU_DEP_1)
	v_lshlrev_b64 v[1:2], 3, v[2:3]
	v_add_co_u32 v1, vcc_lo, v11, v1
	s_delay_alu instid0(VALU_DEP_2)
	v_add_co_ci_u32_e32 v2, vcc_lo, v12, v2, vcc_lo
	v_cmp_eq_u32_e32 vcc_lo, v5, v0
	global_load_b64 v[3:4], v[1:2], off
	s_waitcnt vmcnt(0)
	v_dual_sub_f32 v3, v7, v3 :: v_dual_sub_f32 v4, v6, v4
	global_store_b64 v[1:2], v[3:4], off
	s_and_b32 exec_lo, exec_lo, vcc_lo
	s_cbranch_execz .LBB1245_15
; %bb.14:
	v_mov_b32_e32 v0, 0
	global_store_b32 v[1:2], v0, off offset:4
.LBB1245_15:
	s_nop 0
	s_sendmsg sendmsg(MSG_DEALLOC_VGPRS)
	s_endpgm
	.section	.rodata,"a",@progbits
	.p2align	6, 0x0
	.amdhsa_kernel _ZL37rocblas_syrkx_herkx_restricted_kernelIl19rocblas_complex_numIfELi16ELi32ELi8ELi1ELin1ELb1ELc78ELc85EKS1_S1_EviT_PT9_S3_lS5_S3_lPT10_S3_li
		.amdhsa_group_segment_fixed_size 4096
		.amdhsa_private_segment_fixed_size 0
		.amdhsa_kernarg_size 92
		.amdhsa_user_sgpr_count 13
		.amdhsa_user_sgpr_dispatch_ptr 0
		.amdhsa_user_sgpr_queue_ptr 0
		.amdhsa_user_sgpr_kernarg_segment_ptr 1
		.amdhsa_user_sgpr_dispatch_id 0
		.amdhsa_user_sgpr_private_segment_size 0
		.amdhsa_wavefront_size32 1
		.amdhsa_uses_dynamic_stack 0
		.amdhsa_enable_private_segment 0
		.amdhsa_system_sgpr_workgroup_id_x 1
		.amdhsa_system_sgpr_workgroup_id_y 1
		.amdhsa_system_sgpr_workgroup_id_z 1
		.amdhsa_system_sgpr_workgroup_info 0
		.amdhsa_system_vgpr_workitem_id 1
		.amdhsa_next_free_vgpr 92
		.amdhsa_next_free_sgpr 32
		.amdhsa_reserve_vcc 1
		.amdhsa_float_round_mode_32 0
		.amdhsa_float_round_mode_16_64 0
		.amdhsa_float_denorm_mode_32 3
		.amdhsa_float_denorm_mode_16_64 3
		.amdhsa_dx10_clamp 1
		.amdhsa_ieee_mode 1
		.amdhsa_fp16_overflow 0
		.amdhsa_workgroup_processor_mode 1
		.amdhsa_memory_ordered 1
		.amdhsa_forward_progress 0
		.amdhsa_shared_vgpr_count 0
		.amdhsa_exception_fp_ieee_invalid_op 0
		.amdhsa_exception_fp_denorm_src 0
		.amdhsa_exception_fp_ieee_div_zero 0
		.amdhsa_exception_fp_ieee_overflow 0
		.amdhsa_exception_fp_ieee_underflow 0
		.amdhsa_exception_fp_ieee_inexact 0
		.amdhsa_exception_int_div_zero 0
	.end_amdhsa_kernel
	.section	.text._ZL37rocblas_syrkx_herkx_restricted_kernelIl19rocblas_complex_numIfELi16ELi32ELi8ELi1ELin1ELb1ELc78ELc85EKS1_S1_EviT_PT9_S3_lS5_S3_lPT10_S3_li,"axG",@progbits,_ZL37rocblas_syrkx_herkx_restricted_kernelIl19rocblas_complex_numIfELi16ELi32ELi8ELi1ELin1ELb1ELc78ELc85EKS1_S1_EviT_PT9_S3_lS5_S3_lPT10_S3_li,comdat
.Lfunc_end1245:
	.size	_ZL37rocblas_syrkx_herkx_restricted_kernelIl19rocblas_complex_numIfELi16ELi32ELi8ELi1ELin1ELb1ELc78ELc85EKS1_S1_EviT_PT9_S3_lS5_S3_lPT10_S3_li, .Lfunc_end1245-_ZL37rocblas_syrkx_herkx_restricted_kernelIl19rocblas_complex_numIfELi16ELi32ELi8ELi1ELin1ELb1ELc78ELc85EKS1_S1_EviT_PT9_S3_lS5_S3_lPT10_S3_li
                                        ; -- End function
	.section	.AMDGPU.csdata,"",@progbits
; Kernel info:
; codeLenInByte = 2320
; NumSgprs: 34
; NumVgprs: 92
; ScratchSize: 0
; MemoryBound: 0
; FloatMode: 240
; IeeeMode: 1
; LDSByteSize: 4096 bytes/workgroup (compile time only)
; SGPRBlocks: 4
; VGPRBlocks: 11
; NumSGPRsForWavesPerEU: 34
; NumVGPRsForWavesPerEU: 92
; Occupancy: 16
; WaveLimiterHint : 1
; COMPUTE_PGM_RSRC2:SCRATCH_EN: 0
; COMPUTE_PGM_RSRC2:USER_SGPR: 13
; COMPUTE_PGM_RSRC2:TRAP_HANDLER: 0
; COMPUTE_PGM_RSRC2:TGID_X_EN: 1
; COMPUTE_PGM_RSRC2:TGID_Y_EN: 1
; COMPUTE_PGM_RSRC2:TGID_Z_EN: 1
; COMPUTE_PGM_RSRC2:TIDIG_COMP_CNT: 1
	.section	.text._ZL37rocblas_syrkx_herkx_restricted_kernelIl19rocblas_complex_numIfELi16ELi32ELi8ELi1ELi0ELb1ELc84ELc76EKS1_S1_EviT_PT9_S3_lS5_S3_lPT10_S3_li,"axG",@progbits,_ZL37rocblas_syrkx_herkx_restricted_kernelIl19rocblas_complex_numIfELi16ELi32ELi8ELi1ELi0ELb1ELc84ELc76EKS1_S1_EviT_PT9_S3_lS5_S3_lPT10_S3_li,comdat
	.globl	_ZL37rocblas_syrkx_herkx_restricted_kernelIl19rocblas_complex_numIfELi16ELi32ELi8ELi1ELi0ELb1ELc84ELc76EKS1_S1_EviT_PT9_S3_lS5_S3_lPT10_S3_li ; -- Begin function _ZL37rocblas_syrkx_herkx_restricted_kernelIl19rocblas_complex_numIfELi16ELi32ELi8ELi1ELi0ELb1ELc84ELc76EKS1_S1_EviT_PT9_S3_lS5_S3_lPT10_S3_li
	.p2align	8
	.type	_ZL37rocblas_syrkx_herkx_restricted_kernelIl19rocblas_complex_numIfELi16ELi32ELi8ELi1ELi0ELb1ELc84ELc76EKS1_S1_EviT_PT9_S3_lS5_S3_lPT10_S3_li,@function
_ZL37rocblas_syrkx_herkx_restricted_kernelIl19rocblas_complex_numIfELi16ELi32ELi8ELi1ELi0ELb1ELc84ELc76EKS1_S1_EviT_PT9_S3_lS5_S3_lPT10_S3_li: ; @_ZL37rocblas_syrkx_herkx_restricted_kernelIl19rocblas_complex_numIfELi16ELi32ELi8ELi1ELi0ELb1ELc84ELc76EKS1_S1_EviT_PT9_S3_lS5_S3_lPT10_S3_li
; %bb.0:
	s_load_b512 s[16:31], s[0:1], 0x8
	v_dual_mov_b32 v5, 0 :: v_dual_mov_b32 v16, 0
	v_dual_mov_b32 v4, 0 :: v_dual_mov_b32 v3, 0
	;; [unrolled: 1-line block ×3, first 2 shown]
	v_mov_b32_e32 v12, 0
	v_mov_b32_e32 v2, 0
	v_and_b32_e32 v10, 0x3ff, v0
	v_bfe_u32 v11, v0, 10, 10
	s_lshl_b32 s8, s13, 5
	s_lshl_b32 s9, s14, 5
	s_waitcnt lgkmcnt(0)
	v_cmp_lt_i64_e64 s2, s[16:17], 1
	s_delay_alu instid0(VALU_DEP_1)
	s_and_b32 vcc_lo, exec_lo, s2
	s_cbranch_vccnz .LBB1246_3
; %bb.1:
	v_lshl_add_u32 v2, v11, 4, v10
	v_dual_mov_b32 v1, 0 :: v_dual_and_b32 v0, 7, v10
	s_mul_i32 s3, s23, s15
	s_mul_hi_u32 s4, s22, s15
	s_delay_alu instid0(VALU_DEP_2)
	v_and_b32_e32 v8, 31, v2
	v_lshrrev_b32_e32 v9, 3, v2
	v_mov_b32_e32 v3, v1
	v_lshrrev_b32_e32 v2, 5, v2
	v_lshlrev_b32_e32 v14, 3, v0
	v_add_nc_u32_e32 v6, s8, v8
	v_add_nc_u32_e32 v12, s9, v9
	s_mul_i32 s2, s22, s15
	s_add_i32 s3, s4, s3
	s_mul_hi_u32 s5, s28, s15
	v_ashrrev_i32_e32 v7, 31, v6
	v_ashrrev_i32_e32 v15, 31, v12
	v_mad_u64_u32 v[4:5], null, s20, v6, v[2:3]
	v_mul_lo_u32 v3, s21, v6
	s_delay_alu instid0(VALU_DEP_4)
	v_mul_lo_u32 v16, s20, v7
	v_mul_lo_u32 v17, v12, s27
	v_mad_u64_u32 v[6:7], null, v12, s26, v[0:1]
	v_mul_lo_u32 v12, v15, s26
	v_lshlrev_b32_e32 v0, 3, v8
	s_lshl_b64 s[2:3], s[2:3], 3
	v_lshl_or_b32 v8, v9, 6, v14
	v_add3_u32 v5, v3, v5, v16
	s_add_u32 s4, s18, s2
	v_lshl_or_b32 v0, v2, 8, v0
	s_mul_i32 s2, s29, s15
	v_add3_u32 v7, v12, v7, v17
	v_lshlrev_b64 v[2:3], 3, v[4:5]
	s_addc_u32 s6, s19, s3
	s_add_i32 s3, s5, s2
	s_mul_i32 s2, s28, s15
	v_lshlrev_b64 v[4:5], 3, v[6:7]
	s_lshl_b64 s[2:3], s[2:3], 3
	v_add_co_u32 v2, vcc_lo, s4, v2
	s_add_u32 s2, s24, s2
	v_add_co_ci_u32_e32 v3, vcc_lo, s6, v3, vcc_lo
	s_addc_u32 s3, s25, s3
	v_add_co_u32 v4, vcc_lo, s2, v4
	v_add_co_ci_u32_e32 v5, vcc_lo, s3, v5, vcc_lo
	v_add_co_u32 v6, vcc_lo, v2, 4
	v_add_co_ci_u32_e32 v7, vcc_lo, 0, v3, vcc_lo
	v_dual_mov_b32 v12, v1 :: v_dual_add_nc_u32 v15, 0x800, v8
	v_add_co_u32 v8, vcc_lo, v4, 4
	v_dual_mov_b32 v2, v1 :: v_dual_lshlrev_b32 v13, 3, v10
	v_lshl_add_u32 v17, v11, 6, 0x800
	v_add_co_ci_u32_e32 v9, vcc_lo, 0, v5, vcc_lo
	v_mov_b32_e32 v3, v1
	v_mov_b32_e32 v14, v1
	;; [unrolled: 1-line block ×5, first 2 shown]
	s_mov_b64 s[2:3], 0
.LBB1246_2:                             ; =>This Inner Loop Header: Depth=1
	global_load_b64 v[18:19], v[6:7], off offset:-4
	global_load_b64 v[20:21], v[8:9], off offset:-4
	s_add_u32 s2, s2, 8
	v_add_co_u32 v6, vcc_lo, v6, 64
	s_addc_u32 s3, s3, 0
	v_add_co_ci_u32_e32 v7, vcc_lo, 0, v7, vcc_lo
	v_cmp_ge_u64_e64 s4, s[2:3], s[16:17]
	v_add_co_u32 v8, vcc_lo, v8, 64
	v_add_co_ci_u32_e32 v9, vcc_lo, 0, v9, vcc_lo
	s_waitcnt vmcnt(1)
	ds_store_b64 v0, v[18:19]
	s_waitcnt vmcnt(0)
	ds_store_b64 v15, v[20:21]
	s_waitcnt lgkmcnt(0)
	s_barrier
	buffer_gl0_inv
	ds_load_2addr_b64 v[18:21], v13 offset1:16
	ds_load_b128 v[22:25], v17
	ds_load_b128 v[26:29], v17 offset:1024
	ds_load_2addr_b64 v[30:33], v13 offset0:32 offset1:48
	ds_load_b128 v[34:37], v17 offset:16
	ds_load_b128 v[38:41], v17 offset:32
	;; [unrolled: 1-line block ×3, first 2 shown]
	ds_load_2addr_b64 v[46:49], v13 offset0:64 offset1:80
	ds_load_b128 v[50:53], v17 offset:1040
	ds_load_2addr_b64 v[54:57], v13 offset0:96 offset1:112
	ds_load_2addr_b64 v[58:61], v13 offset0:128 offset1:144
	;; [unrolled: 1-line block ×4, first 2 shown]
	ds_load_b128 v[70:73], v17 offset:1056
	ds_load_b128 v[74:77], v17 offset:1072
	s_and_b32 vcc_lo, exec_lo, s4
	s_waitcnt lgkmcnt(13)
	v_dual_mul_f32 v78, v23, v19 :: v_dual_mul_f32 v81, v22, v21
	s_waitcnt lgkmcnt(11)
	v_dual_mul_f32 v83, v26, v19 :: v_dual_mul_f32 v86, v25, v33
	v_mul_f32_e32 v84, v26, v21
	v_dual_mul_f32 v79, v22, v19 :: v_dual_mul_f32 v80, v23, v21
	v_mul_f32_e32 v82, v27, v19
	v_mul_f32_e32 v19, v27, v21
	;; [unrolled: 1-line block ×3, first 2 shown]
	v_dual_mul_f32 v85, v24, v31 :: v_dual_fmac_f32 v84, v27, v20
	v_fmac_f32_e32 v83, v27, v18
	v_mul_f32_e32 v27, v24, v33
	v_fma_f32 v78, v22, v18, -v78
	v_fmac_f32_e32 v79, v23, v18
	v_fmac_f32_e32 v81, v23, v20
	v_fma_f32 v23, v26, v18, -v82
	v_mul_f32_e32 v18, v29, v31
	v_fma_f32 v26, v26, v20, -v19
	v_mul_f32_e32 v31, v28, v31
	v_mul_f32_e32 v19, v29, v33
	v_fmac_f32_e32 v85, v25, v30
	v_fmac_f32_e32 v27, v25, v32
	v_mul_f32_e32 v25, v28, v33
	v_fma_f32 v22, v22, v20, -v80
	v_fma_f32 v80, v24, v30, -v21
	;; [unrolled: 1-line block ×3, first 2 shown]
	s_waitcnt lgkmcnt(7)
	v_mul_f32_e32 v20, v35, v47
	v_mul_f32_e32 v33, v34, v47
	;; [unrolled: 1-line block ×3, first 2 shown]
	v_fma_f32 v82, v28, v30, -v18
	v_fmac_f32_e32 v31, v29, v30
	v_fma_f32 v28, v28, v32, -v19
	v_fmac_f32_e32 v25, v29, v32
	s_waitcnt lgkmcnt(6)
	v_dual_mul_f32 v29, v34, v49 :: v_dual_mul_f32 v18, v51, v47
	v_dual_mul_f32 v30, v50, v47 :: v_dual_mul_f32 v19, v51, v49
	s_waitcnt lgkmcnt(5)
	v_dual_mul_f32 v32, v50, v49 :: v_dual_mul_f32 v49, v36, v55
	v_fma_f32 v87, v34, v46, -v20
	v_fmac_f32_e32 v33, v35, v46
	v_fmac_f32_e32 v29, v35, v48
	v_fma_f32 v35, v50, v46, -v18
	v_fmac_f32_e32 v30, v51, v46
	v_fma_f32 v46, v50, v48, -v19
	v_fmac_f32_e32 v32, v51, v48
	v_mul_f32_e32 v18, v53, v55
	v_fma_f32 v34, v34, v48, -v21
	v_dual_mul_f32 v48, v36, v57 :: v_dual_mul_f32 v47, v37, v55
	v_mul_f32_e32 v86, v37, v57
	v_dual_mul_f32 v50, v52, v55 :: v_dual_mul_f32 v19, v53, v57
	v_fmac_f32_e32 v49, v37, v54
	s_delay_alu instid0(VALU_DEP_4)
	v_dual_fmac_f32 v48, v37, v56 :: v_dual_mul_f32 v37, v52, v57
	v_fma_f32 v47, v36, v54, -v47
	v_fma_f32 v36, v36, v56, -v86
	s_waitcnt lgkmcnt(4)
	v_mul_f32_e32 v20, v39, v59
	v_mul_f32_e32 v51, v38, v59
	v_mul_f32_e32 v21, v39, v61
	v_fma_f32 v55, v52, v54, -v18
	v_fmac_f32_e32 v50, v53, v54
	v_fmac_f32_e32 v37, v53, v56
	s_waitcnt lgkmcnt(1)
	v_dual_mul_f32 v53, v38, v61 :: v_dual_mul_f32 v18, v71, v59
	v_fma_f32 v52, v52, v56, -v19
	v_dual_mul_f32 v54, v70, v59 :: v_dual_mul_f32 v19, v71, v61
	v_dual_mul_f32 v56, v70, v61 :: v_dual_mul_f32 v59, v40, v63
	v_fma_f32 v86, v38, v58, -v20
	v_fmac_f32_e32 v51, v39, v58
	v_fma_f32 v38, v38, v60, -v21
	v_dual_fmac_f32 v53, v39, v60 :: v_dual_add_f32 v4, v4, v22
	v_fma_f32 v39, v70, v58, -v18
	v_fmac_f32_e32 v54, v71, v58
	v_fma_f32 v58, v70, v60, -v19
	v_fmac_f32_e32 v56, v71, v60
	v_dual_mul_f32 v60, v40, v65 :: v_dual_mul_f32 v57, v41, v63
	v_dual_mul_f32 v61, v41, v65 :: v_dual_add_f32 v16, v16, v79
	v_mul_f32_e32 v18, v73, v63
	v_dual_mul_f32 v63, v72, v63 :: v_dual_add_f32 v14, v14, v81
	v_dual_mul_f32 v19, v73, v65 :: v_dual_add_f32 v12, v12, v83
	s_delay_alu instid0(VALU_DEP_4)
	v_dual_fmac_f32 v59, v41, v62 :: v_dual_add_f32 v16, v16, v85
	v_dual_fmac_f32 v60, v41, v64 :: v_dual_mul_f32 v41, v72, v65
	v_add_f32_e32 v2, v2, v26
	v_fma_f32 v57, v40, v62, -v57
	v_fma_f32 v40, v40, v64, -v61
	v_mul_f32_e32 v20, v43, v67
	v_dual_mul_f32 v61, v42, v67 :: v_dual_add_f32 v4, v4, v24
	v_dual_mul_f32 v21, v43, v69 :: v_dual_add_f32 v14, v14, v27
	v_fma_f32 v65, v72, v62, -v18
	v_dual_fmac_f32 v63, v73, v62 :: v_dual_add_f32 v12, v12, v31
	v_fma_f32 v62, v72, v64, -v19
	v_dual_fmac_f32 v41, v73, v64 :: v_dual_add_f32 v16, v16, v33
	v_mul_f32_e32 v64, v42, v69
	s_waitcnt lgkmcnt(0)
	v_mul_f32_e32 v18, v75, v67
	v_dual_mul_f32 v67, v74, v67 :: v_dual_add_f32 v4, v4, v34
	v_dual_mul_f32 v19, v75, v69 :: v_dual_add_f32 v2, v2, v28
	v_fma_f32 v70, v42, v66, -v20
	v_dual_fmac_f32 v61, v43, v66 :: v_dual_add_f32 v14, v14, v29
	v_fma_f32 v42, v42, v68, -v21
	v_fmac_f32_e32 v64, v43, v68
	v_fma_f32 v43, v74, v66, -v18
	v_dual_fmac_f32 v67, v75, v66 :: v_dual_add_f32 v16, v16, v49
	v_fma_f32 v66, v74, v68, -v19
	ds_load_2addr_b64 v[18:21], v13 offset0:224 offset1:240
	v_dual_mul_f32 v69, v74, v69 :: v_dual_add_f32 v12, v12, v30
	v_add_f32_e32 v2, v2, v46
	v_add_f32_e32 v14, v14, v48
	;; [unrolled: 1-line block ×3, first 2 shown]
	s_delay_alu instid0(VALU_DEP_4) | instskip(NEXT) | instid1(VALU_DEP_4)
	v_dual_fmac_f32 v69, v75, v68 :: v_dual_add_f32 v12, v12, v50
	v_dual_add_f32 v3, v3, v23 :: v_dual_add_f32 v2, v2, v52
	s_delay_alu instid0(VALU_DEP_3) | instskip(SKIP_1) | instid1(VALU_DEP_4)
	v_add_f32_e32 v4, v4, v38
	v_add_f32_e32 v14, v14, v53
	v_dual_add_f32 v12, v12, v54 :: v_dual_add_f32 v1, v1, v84
	s_delay_alu instid0(VALU_DEP_3) | instskip(SKIP_1) | instid1(VALU_DEP_3)
	v_dual_add_f32 v3, v3, v82 :: v_dual_add_f32 v4, v4, v40
	v_add_f32_e32 v2, v2, v58
	v_dual_add_f32 v12, v12, v63 :: v_dual_add_f32 v1, v1, v25
	v_add_f32_e32 v14, v14, v60
	s_waitcnt lgkmcnt(0)
	v_mul_f32_e32 v68, v45, v19
	v_dual_mul_f32 v72, v45, v21 :: v_dual_mul_f32 v71, v44, v19
	v_dual_add_f32 v3, v3, v35 :: v_dual_add_f32 v4, v4, v42
	s_delay_alu instid0(VALU_DEP_3) | instskip(NEXT) | instid1(VALU_DEP_3)
	v_fma_f32 v68, v44, v18, -v68
	v_fma_f32 v72, v44, v20, -v72
	s_delay_alu instid0(VALU_DEP_4) | instskip(SKIP_1) | instid1(VALU_DEP_2)
	v_dual_mul_f32 v44, v44, v21 :: v_dual_fmac_f32 v71, v45, v18
	v_dual_mul_f32 v73, v77, v21 :: v_dual_add_f32 v16, v16, v51
	v_dual_mul_f32 v21, v76, v21 :: v_dual_fmac_f32 v44, v45, v20
	v_mul_f32_e32 v45, v77, v19
	v_mul_f32_e32 v19, v76, v19
	s_delay_alu instid0(VALU_DEP_4) | instskip(NEXT) | instid1(VALU_DEP_4)
	v_dual_add_f32 v5, v5, v78 :: v_dual_add_f32 v16, v16, v59
	v_fmac_f32_e32 v21, v77, v20
	v_dual_add_f32 v1, v1, v32 :: v_dual_add_f32 v12, v12, v67
	s_delay_alu instid0(VALU_DEP_4) | instskip(NEXT) | instid1(VALU_DEP_4)
	v_fmac_f32_e32 v19, v77, v18
	v_dual_add_f32 v5, v5, v80 :: v_dual_add_f32 v2, v2, v62
	v_dual_add_f32 v3, v3, v55 :: v_dual_add_f32 v16, v16, v61
	s_delay_alu instid0(VALU_DEP_4) | instskip(NEXT) | instid1(VALU_DEP_3)
	v_add_f32_e32 v1, v1, v37
	v_dual_add_f32 v5, v5, v87 :: v_dual_add_f32 v14, v14, v64
	s_delay_alu instid0(VALU_DEP_3) | instskip(NEXT) | instid1(VALU_DEP_4)
	v_dual_add_f32 v2, v2, v66 :: v_dual_add_f32 v3, v3, v39
	v_add_f32_e32 v16, v16, v71
	s_delay_alu instid0(VALU_DEP_3) | instskip(SKIP_3) | instid1(VALU_DEP_4)
	v_add_f32_e32 v5, v5, v47
	v_dual_add_f32 v1, v1, v56 :: v_dual_add_f32 v12, v12, v19
	v_fma_f32 v45, v76, v18, -v45
	v_fma_f32 v18, v76, v20, -v73
	v_dual_add_f32 v5, v5, v86 :: v_dual_add_f32 v4, v4, v72
	s_delay_alu instid0(VALU_DEP_4) | instskip(SKIP_1) | instid1(VALU_DEP_3)
	v_dual_add_f32 v1, v1, v41 :: v_dual_add_f32 v14, v14, v44
	v_add_f32_e32 v3, v3, v65
	v_dual_add_f32 v5, v5, v57 :: v_dual_add_f32 v2, v2, v18
	s_delay_alu instid0(VALU_DEP_3) | instskip(NEXT) | instid1(VALU_DEP_3)
	v_add_f32_e32 v1, v1, v69
	v_add_f32_e32 v3, v3, v43
	s_delay_alu instid0(VALU_DEP_3) | instskip(SKIP_1) | instid1(VALU_DEP_3)
	v_add_f32_e32 v5, v5, v70
	s_barrier
	v_add_f32_e32 v1, v1, v21
	buffer_gl0_inv
	v_add_f32_e32 v3, v3, v45
	v_add_f32_e32 v5, v5, v68
	s_cbranch_vccz .LBB1246_2
.LBB1246_3:
	s_load_b128 s[4:7], s[0:1], 0x48
	v_add_nc_u32_e32 v0, s9, v11
	s_load_b32 s9, s[0:1], 0x0
	v_add_nc_u32_e32 v7, s8, v10
	s_delay_alu instid0(VALU_DEP_2) | instskip(NEXT) | instid1(VALU_DEP_2)
	v_ashrrev_i32_e32 v6, 31, v0
	v_cmp_le_i32_e64 s0, v0, v7
	s_waitcnt lgkmcnt(0)
	s_delay_alu instid0(VALU_DEP_2)
	v_mul_lo_u32 v6, v6, s4
	v_mul_lo_u32 v11, v0, s5
	v_mad_u64_u32 v[8:9], null, v0, s4, 0
	s_mul_i32 s1, s15, s7
	s_mul_hi_u32 s3, s15, s6
	s_mul_i32 s2, s15, s6
	s_add_i32 s3, s3, s1
	v_cmp_gt_i32_e32 vcc_lo, s9, v7
	s_lshl_b64 s[2:3], s[2:3], 3
	s_delay_alu instid0(VALU_DEP_2) | instskip(SKIP_3) | instid1(VALU_DEP_1)
	v_add3_u32 v9, v9, v11, v6
	s_add_u32 s2, s30, s2
	s_addc_u32 s3, s31, s3
	s_and_b32 s0, s0, vcc_lo
	v_lshlrev_b64 v[8:9], 3, v[8:9]
	s_delay_alu instid0(VALU_DEP_1) | instskip(NEXT) | instid1(VALU_DEP_1)
	v_add_co_u32 v11, s1, s2, v8
	v_add_co_ci_u32_e64 v13, s1, s3, v9, s1
	s_and_saveexec_b32 s1, s0
	s_cbranch_execz .LBB1246_5
; %bb.4:
	v_ashrrev_i32_e32 v8, 31, v7
	s_delay_alu instid0(VALU_DEP_1) | instskip(NEXT) | instid1(VALU_DEP_1)
	v_lshlrev_b64 v[8:9], 3, v[7:8]
	v_add_co_u32 v8, s0, v11, v8
	s_delay_alu instid0(VALU_DEP_1) | instskip(SKIP_1) | instid1(VALU_DEP_1)
	v_add_co_ci_u32_e64 v9, s0, v13, v9, s0
	v_cmp_ne_u32_e64 s0, v0, v7
	v_cndmask_b32_e64 v6, 0, v16, s0
	global_store_b64 v[8:9], v[5:6], off
.LBB1246_5:
	s_or_b32 exec_lo, exec_lo, s1
	v_add_nc_u32_e32 v9, 16, v7
	s_delay_alu instid0(VALU_DEP_1) | instskip(SKIP_1) | instid1(VALU_DEP_1)
	v_cmp_le_i32_e64 s1, v0, v9
	v_cmp_gt_i32_e64 s0, s9, v9
	s_and_b32 s1, s1, s0
	s_delay_alu instid0(SALU_CYCLE_1)
	s_and_saveexec_b32 s6, s1
	s_cbranch_execz .LBB1246_7
; %bb.6:
	v_ashrrev_i32_e32 v10, 31, v9
	s_delay_alu instid0(VALU_DEP_1) | instskip(NEXT) | instid1(VALU_DEP_1)
	v_lshlrev_b64 v[5:6], 3, v[9:10]
	v_add_co_u32 v10, s1, v11, v5
	s_delay_alu instid0(VALU_DEP_1) | instskip(SKIP_1) | instid1(VALU_DEP_1)
	v_add_co_ci_u32_e64 v11, s1, v13, v6, s1
	v_cmp_ne_u32_e64 s1, v0, v9
	v_cndmask_b32_e64 v5, 0, v14, s1
	global_store_b64 v[10:11], v[4:5], off
.LBB1246_7:
	s_or_b32 exec_lo, exec_lo, s6
	v_add_nc_u32_e32 v5, 16, v0
	s_delay_alu instid0(VALU_DEP_1) | instskip(SKIP_3) | instid1(VALU_DEP_4)
	v_ashrrev_i32_e32 v4, 31, v5
	v_mul_lo_u32 v6, v5, s5
	v_mad_u64_u32 v[10:11], null, v5, s4, 0
	v_cmp_le_i32_e64 s1, v5, v7
	v_mul_lo_u32 v4, v4, s4
	s_delay_alu instid0(VALU_DEP_1) | instskip(NEXT) | instid1(VALU_DEP_1)
	v_add3_u32 v11, v11, v6, v4
	v_lshlrev_b64 v[10:11], 3, v[10:11]
	s_delay_alu instid0(VALU_DEP_1) | instskip(NEXT) | instid1(VALU_DEP_1)
	v_add_co_u32 v6, s2, s2, v10
	v_add_co_ci_u32_e64 v11, s2, s3, v11, s2
	s_and_b32 s2, s1, vcc_lo
	s_delay_alu instid0(SALU_CYCLE_1)
	s_and_saveexec_b32 s1, s2
	s_cbranch_execz .LBB1246_9
; %bb.8:
	v_ashrrev_i32_e32 v8, 31, v7
	s_delay_alu instid0(VALU_DEP_1) | instskip(NEXT) | instid1(VALU_DEP_1)
	v_lshlrev_b64 v[13:14], 3, v[7:8]
	v_add_co_u32 v13, vcc_lo, v6, v13
	s_delay_alu instid0(VALU_DEP_2)
	v_add_co_ci_u32_e32 v14, vcc_lo, v11, v14, vcc_lo
	v_cmp_ne_u32_e32 vcc_lo, v5, v7
	v_cndmask_b32_e32 v4, 0, v12, vcc_lo
	global_store_b64 v[13:14], v[3:4], off
.LBB1246_9:
	s_or_b32 exec_lo, exec_lo, s1
	v_cmp_le_i32_e32 vcc_lo, v5, v9
	s_and_b32 s0, vcc_lo, s0
	s_delay_alu instid0(SALU_CYCLE_1)
	s_and_saveexec_b32 s1, s0
	s_cbranch_execz .LBB1246_11
; %bb.10:
	v_ashrrev_i32_e32 v10, 31, v9
	s_delay_alu instid0(VALU_DEP_1) | instskip(NEXT) | instid1(VALU_DEP_1)
	v_lshlrev_b64 v[3:4], 3, v[9:10]
	v_add_co_u32 v5, vcc_lo, v6, v3
	s_delay_alu instid0(VALU_DEP_2)
	v_add_co_ci_u32_e32 v6, vcc_lo, v11, v4, vcc_lo
	v_cmp_ne_u32_e32 vcc_lo, v0, v7
	v_cndmask_b32_e32 v3, 0, v1, vcc_lo
	global_store_b64 v[5:6], v[2:3], off
.LBB1246_11:
	s_nop 0
	s_sendmsg sendmsg(MSG_DEALLOC_VGPRS)
	s_endpgm
	.section	.rodata,"a",@progbits
	.p2align	6, 0x0
	.amdhsa_kernel _ZL37rocblas_syrkx_herkx_restricted_kernelIl19rocblas_complex_numIfELi16ELi32ELi8ELi1ELi0ELb1ELc84ELc76EKS1_S1_EviT_PT9_S3_lS5_S3_lPT10_S3_li
		.amdhsa_group_segment_fixed_size 4096
		.amdhsa_private_segment_fixed_size 0
		.amdhsa_kernarg_size 92
		.amdhsa_user_sgpr_count 13
		.amdhsa_user_sgpr_dispatch_ptr 0
		.amdhsa_user_sgpr_queue_ptr 0
		.amdhsa_user_sgpr_kernarg_segment_ptr 1
		.amdhsa_user_sgpr_dispatch_id 0
		.amdhsa_user_sgpr_private_segment_size 0
		.amdhsa_wavefront_size32 1
		.amdhsa_uses_dynamic_stack 0
		.amdhsa_enable_private_segment 0
		.amdhsa_system_sgpr_workgroup_id_x 1
		.amdhsa_system_sgpr_workgroup_id_y 1
		.amdhsa_system_sgpr_workgroup_id_z 1
		.amdhsa_system_sgpr_workgroup_info 0
		.amdhsa_system_vgpr_workitem_id 1
		.amdhsa_next_free_vgpr 88
		.amdhsa_next_free_sgpr 32
		.amdhsa_reserve_vcc 1
		.amdhsa_float_round_mode_32 0
		.amdhsa_float_round_mode_16_64 0
		.amdhsa_float_denorm_mode_32 3
		.amdhsa_float_denorm_mode_16_64 3
		.amdhsa_dx10_clamp 1
		.amdhsa_ieee_mode 1
		.amdhsa_fp16_overflow 0
		.amdhsa_workgroup_processor_mode 1
		.amdhsa_memory_ordered 1
		.amdhsa_forward_progress 0
		.amdhsa_shared_vgpr_count 0
		.amdhsa_exception_fp_ieee_invalid_op 0
		.amdhsa_exception_fp_denorm_src 0
		.amdhsa_exception_fp_ieee_div_zero 0
		.amdhsa_exception_fp_ieee_overflow 0
		.amdhsa_exception_fp_ieee_underflow 0
		.amdhsa_exception_fp_ieee_inexact 0
		.amdhsa_exception_int_div_zero 0
	.end_amdhsa_kernel
	.section	.text._ZL37rocblas_syrkx_herkx_restricted_kernelIl19rocblas_complex_numIfELi16ELi32ELi8ELi1ELi0ELb1ELc84ELc76EKS1_S1_EviT_PT9_S3_lS5_S3_lPT10_S3_li,"axG",@progbits,_ZL37rocblas_syrkx_herkx_restricted_kernelIl19rocblas_complex_numIfELi16ELi32ELi8ELi1ELi0ELb1ELc84ELc76EKS1_S1_EviT_PT9_S3_lS5_S3_lPT10_S3_li,comdat
.Lfunc_end1246:
	.size	_ZL37rocblas_syrkx_herkx_restricted_kernelIl19rocblas_complex_numIfELi16ELi32ELi8ELi1ELi0ELb1ELc84ELc76EKS1_S1_EviT_PT9_S3_lS5_S3_lPT10_S3_li, .Lfunc_end1246-_ZL37rocblas_syrkx_herkx_restricted_kernelIl19rocblas_complex_numIfELi16ELi32ELi8ELi1ELi0ELb1ELc84ELc76EKS1_S1_EviT_PT9_S3_lS5_S3_lPT10_S3_li
                                        ; -- End function
	.section	.AMDGPU.csdata,"",@progbits
; Kernel info:
; codeLenInByte = 2200
; NumSgprs: 34
; NumVgprs: 88
; ScratchSize: 0
; MemoryBound: 0
; FloatMode: 240
; IeeeMode: 1
; LDSByteSize: 4096 bytes/workgroup (compile time only)
; SGPRBlocks: 4
; VGPRBlocks: 10
; NumSGPRsForWavesPerEU: 34
; NumVGPRsForWavesPerEU: 88
; Occupancy: 16
; WaveLimiterHint : 1
; COMPUTE_PGM_RSRC2:SCRATCH_EN: 0
; COMPUTE_PGM_RSRC2:USER_SGPR: 13
; COMPUTE_PGM_RSRC2:TRAP_HANDLER: 0
; COMPUTE_PGM_RSRC2:TGID_X_EN: 1
; COMPUTE_PGM_RSRC2:TGID_Y_EN: 1
; COMPUTE_PGM_RSRC2:TGID_Z_EN: 1
; COMPUTE_PGM_RSRC2:TIDIG_COMP_CNT: 1
	.section	.text._ZL37rocblas_syrkx_herkx_restricted_kernelIl19rocblas_complex_numIfELi16ELi32ELi8ELi1ELi0ELb1ELc67ELc76EKS1_S1_EviT_PT9_S3_lS5_S3_lPT10_S3_li,"axG",@progbits,_ZL37rocblas_syrkx_herkx_restricted_kernelIl19rocblas_complex_numIfELi16ELi32ELi8ELi1ELi0ELb1ELc67ELc76EKS1_S1_EviT_PT9_S3_lS5_S3_lPT10_S3_li,comdat
	.globl	_ZL37rocblas_syrkx_herkx_restricted_kernelIl19rocblas_complex_numIfELi16ELi32ELi8ELi1ELi0ELb1ELc67ELc76EKS1_S1_EviT_PT9_S3_lS5_S3_lPT10_S3_li ; -- Begin function _ZL37rocblas_syrkx_herkx_restricted_kernelIl19rocblas_complex_numIfELi16ELi32ELi8ELi1ELi0ELb1ELc67ELc76EKS1_S1_EviT_PT9_S3_lS5_S3_lPT10_S3_li
	.p2align	8
	.type	_ZL37rocblas_syrkx_herkx_restricted_kernelIl19rocblas_complex_numIfELi16ELi32ELi8ELi1ELi0ELb1ELc67ELc76EKS1_S1_EviT_PT9_S3_lS5_S3_lPT10_S3_li,@function
_ZL37rocblas_syrkx_herkx_restricted_kernelIl19rocblas_complex_numIfELi16ELi32ELi8ELi1ELi0ELb1ELc67ELc76EKS1_S1_EviT_PT9_S3_lS5_S3_lPT10_S3_li: ; @_ZL37rocblas_syrkx_herkx_restricted_kernelIl19rocblas_complex_numIfELi16ELi32ELi8ELi1ELi0ELb1ELc67ELc76EKS1_S1_EviT_PT9_S3_lS5_S3_lPT10_S3_li
; %bb.0:
	s_load_b512 s[16:31], s[0:1], 0x8
	v_dual_mov_b32 v5, 0 :: v_dual_mov_b32 v16, 0
	v_dual_mov_b32 v4, 0 :: v_dual_mov_b32 v3, 0
	;; [unrolled: 1-line block ×3, first 2 shown]
	v_mov_b32_e32 v12, 0
	v_mov_b32_e32 v2, 0
	v_and_b32_e32 v10, 0x3ff, v0
	v_bfe_u32 v11, v0, 10, 10
	s_lshl_b32 s8, s13, 5
	s_lshl_b32 s9, s14, 5
	s_waitcnt lgkmcnt(0)
	v_cmp_lt_i64_e64 s2, s[16:17], 1
	s_delay_alu instid0(VALU_DEP_1)
	s_and_b32 vcc_lo, exec_lo, s2
	s_cbranch_vccnz .LBB1247_3
; %bb.1:
	v_lshl_add_u32 v2, v11, 4, v10
	v_dual_mov_b32 v1, 0 :: v_dual_and_b32 v0, 7, v10
	s_mul_i32 s3, s23, s15
	s_mul_hi_u32 s4, s22, s15
	s_delay_alu instid0(VALU_DEP_2)
	v_and_b32_e32 v8, 31, v2
	v_lshrrev_b32_e32 v9, 3, v2
	v_mov_b32_e32 v3, v1
	v_lshrrev_b32_e32 v2, 5, v2
	v_lshlrev_b32_e32 v14, 3, v0
	v_add_nc_u32_e32 v6, s8, v8
	v_add_nc_u32_e32 v12, s9, v9
	s_mul_i32 s2, s22, s15
	s_add_i32 s3, s4, s3
	s_mul_hi_u32 s5, s28, s15
	v_ashrrev_i32_e32 v7, 31, v6
	v_ashrrev_i32_e32 v15, 31, v12
	v_mad_u64_u32 v[4:5], null, s20, v6, v[2:3]
	v_mul_lo_u32 v3, s21, v6
	s_delay_alu instid0(VALU_DEP_4)
	v_mul_lo_u32 v16, s20, v7
	v_mul_lo_u32 v17, v12, s27
	v_mad_u64_u32 v[6:7], null, v12, s26, v[0:1]
	v_mul_lo_u32 v12, v15, s26
	v_lshlrev_b32_e32 v0, 3, v8
	s_lshl_b64 s[2:3], s[2:3], 3
	v_lshl_or_b32 v8, v9, 6, v14
	v_add3_u32 v5, v3, v5, v16
	s_add_u32 s4, s18, s2
	v_lshl_or_b32 v0, v2, 8, v0
	s_mul_i32 s2, s29, s15
	v_add3_u32 v7, v12, v7, v17
	v_lshlrev_b64 v[2:3], 3, v[4:5]
	s_addc_u32 s6, s19, s3
	s_add_i32 s3, s5, s2
	s_mul_i32 s2, s28, s15
	v_lshlrev_b64 v[4:5], 3, v[6:7]
	s_lshl_b64 s[2:3], s[2:3], 3
	v_add_co_u32 v2, vcc_lo, s4, v2
	s_add_u32 s2, s24, s2
	v_add_co_ci_u32_e32 v3, vcc_lo, s6, v3, vcc_lo
	s_addc_u32 s3, s25, s3
	v_add_co_u32 v4, vcc_lo, s2, v4
	v_add_co_ci_u32_e32 v5, vcc_lo, s3, v5, vcc_lo
	v_add_co_u32 v6, vcc_lo, v2, 4
	v_add_co_ci_u32_e32 v7, vcc_lo, 0, v3, vcc_lo
	v_dual_mov_b32 v12, v1 :: v_dual_add_nc_u32 v15, 0x800, v8
	v_add_co_u32 v8, vcc_lo, v4, 4
	v_dual_mov_b32 v2, v1 :: v_dual_lshlrev_b32 v13, 3, v10
	v_lshl_add_u32 v17, v11, 6, 0x800
	v_add_co_ci_u32_e32 v9, vcc_lo, 0, v5, vcc_lo
	v_mov_b32_e32 v3, v1
	v_mov_b32_e32 v14, v1
	;; [unrolled: 1-line block ×5, first 2 shown]
	s_mov_b64 s[2:3], 0
.LBB1247_2:                             ; =>This Inner Loop Header: Depth=1
	global_load_b64 v[18:19], v[6:7], off offset:-4
	global_load_b64 v[20:21], v[8:9], off offset:-4
	s_add_u32 s2, s2, 8
	v_add_co_u32 v6, vcc_lo, v6, 64
	s_addc_u32 s3, s3, 0
	v_add_co_ci_u32_e32 v7, vcc_lo, 0, v7, vcc_lo
	v_cmp_ge_u64_e64 s4, s[2:3], s[16:17]
	v_add_co_u32 v8, vcc_lo, v8, 64
	v_add_co_ci_u32_e32 v9, vcc_lo, 0, v9, vcc_lo
	s_delay_alu instid0(VALU_DEP_3)
	s_and_b32 vcc_lo, exec_lo, s4
	s_waitcnt vmcnt(1)
	v_xor_b32_e32 v19, 0x80000000, v19
	ds_store_b64 v0, v[18:19]
	s_waitcnt vmcnt(0)
	ds_store_b64 v15, v[20:21]
	s_waitcnt lgkmcnt(0)
	s_barrier
	buffer_gl0_inv
	ds_load_2addr_b64 v[18:21], v13 offset1:16
	ds_load_b128 v[22:25], v17
	ds_load_b128 v[26:29], v17 offset:1024
	ds_load_2addr_b64 v[30:33], v13 offset0:32 offset1:48
	ds_load_b128 v[34:37], v17 offset:16
	ds_load_b128 v[38:41], v17 offset:32
	;; [unrolled: 1-line block ×3, first 2 shown]
	ds_load_2addr_b64 v[46:49], v13 offset0:64 offset1:80
	ds_load_b128 v[50:53], v17 offset:1040
	ds_load_2addr_b64 v[54:57], v13 offset0:96 offset1:112
	ds_load_2addr_b64 v[58:61], v13 offset0:128 offset1:144
	;; [unrolled: 1-line block ×4, first 2 shown]
	ds_load_b128 v[70:73], v17 offset:1056
	ds_load_b128 v[74:77], v17 offset:1072
	s_waitcnt lgkmcnt(13)
	v_dual_mul_f32 v78, v23, v19 :: v_dual_mul_f32 v81, v22, v21
	s_waitcnt lgkmcnt(11)
	v_dual_mul_f32 v83, v26, v19 :: v_dual_mul_f32 v86, v25, v33
	v_mul_f32_e32 v84, v26, v21
	v_dual_mul_f32 v79, v22, v19 :: v_dual_mul_f32 v80, v23, v21
	v_mul_f32_e32 v82, v27, v19
	v_mul_f32_e32 v19, v27, v21
	;; [unrolled: 1-line block ×3, first 2 shown]
	v_dual_mul_f32 v85, v24, v31 :: v_dual_fmac_f32 v84, v27, v20
	v_fmac_f32_e32 v83, v27, v18
	v_mul_f32_e32 v27, v24, v33
	v_fma_f32 v78, v22, v18, -v78
	v_fmac_f32_e32 v79, v23, v18
	v_fmac_f32_e32 v81, v23, v20
	v_fma_f32 v23, v26, v18, -v82
	v_mul_f32_e32 v18, v29, v31
	v_fma_f32 v26, v26, v20, -v19
	v_mul_f32_e32 v31, v28, v31
	v_mul_f32_e32 v19, v29, v33
	v_fmac_f32_e32 v85, v25, v30
	v_fmac_f32_e32 v27, v25, v32
	v_mul_f32_e32 v25, v28, v33
	v_fma_f32 v22, v22, v20, -v80
	v_fma_f32 v80, v24, v30, -v21
	;; [unrolled: 1-line block ×3, first 2 shown]
	s_waitcnt lgkmcnt(7)
	v_mul_f32_e32 v20, v35, v47
	v_mul_f32_e32 v33, v34, v47
	;; [unrolled: 1-line block ×3, first 2 shown]
	v_fma_f32 v82, v28, v30, -v18
	v_fmac_f32_e32 v31, v29, v30
	v_fma_f32 v28, v28, v32, -v19
	v_fmac_f32_e32 v25, v29, v32
	s_waitcnt lgkmcnt(6)
	v_dual_mul_f32 v29, v34, v49 :: v_dual_mul_f32 v18, v51, v47
	v_dual_mul_f32 v30, v50, v47 :: v_dual_mul_f32 v19, v51, v49
	s_waitcnt lgkmcnt(5)
	v_dual_mul_f32 v32, v50, v49 :: v_dual_mul_f32 v49, v36, v55
	v_fma_f32 v87, v34, v46, -v20
	v_fmac_f32_e32 v33, v35, v46
	v_fmac_f32_e32 v29, v35, v48
	v_fma_f32 v35, v50, v46, -v18
	v_fmac_f32_e32 v30, v51, v46
	v_fma_f32 v46, v50, v48, -v19
	v_fmac_f32_e32 v32, v51, v48
	v_mul_f32_e32 v18, v53, v55
	v_fma_f32 v34, v34, v48, -v21
	v_dual_mul_f32 v48, v36, v57 :: v_dual_mul_f32 v47, v37, v55
	v_mul_f32_e32 v86, v37, v57
	v_dual_mul_f32 v50, v52, v55 :: v_dual_mul_f32 v19, v53, v57
	v_fmac_f32_e32 v49, v37, v54
	s_delay_alu instid0(VALU_DEP_4)
	v_dual_fmac_f32 v48, v37, v56 :: v_dual_mul_f32 v37, v52, v57
	v_fma_f32 v47, v36, v54, -v47
	v_fma_f32 v36, v36, v56, -v86
	s_waitcnt lgkmcnt(4)
	v_mul_f32_e32 v20, v39, v59
	v_mul_f32_e32 v51, v38, v59
	;; [unrolled: 1-line block ×3, first 2 shown]
	v_fma_f32 v55, v52, v54, -v18
	v_fmac_f32_e32 v50, v53, v54
	v_fmac_f32_e32 v37, v53, v56
	s_waitcnt lgkmcnt(1)
	v_dual_mul_f32 v53, v38, v61 :: v_dual_mul_f32 v18, v71, v59
	v_fma_f32 v52, v52, v56, -v19
	v_dual_mul_f32 v54, v70, v59 :: v_dual_mul_f32 v19, v71, v61
	v_dual_mul_f32 v56, v70, v61 :: v_dual_mul_f32 v59, v40, v63
	v_fma_f32 v86, v38, v58, -v20
	v_fmac_f32_e32 v51, v39, v58
	v_fma_f32 v38, v38, v60, -v21
	v_dual_fmac_f32 v53, v39, v60 :: v_dual_add_f32 v4, v4, v22
	v_fma_f32 v39, v70, v58, -v18
	v_fmac_f32_e32 v54, v71, v58
	v_fma_f32 v58, v70, v60, -v19
	v_fmac_f32_e32 v56, v71, v60
	v_dual_mul_f32 v60, v40, v65 :: v_dual_mul_f32 v57, v41, v63
	v_dual_mul_f32 v61, v41, v65 :: v_dual_add_f32 v16, v16, v79
	v_mul_f32_e32 v18, v73, v63
	v_dual_mul_f32 v63, v72, v63 :: v_dual_add_f32 v14, v14, v81
	v_dual_mul_f32 v19, v73, v65 :: v_dual_add_f32 v12, v12, v83
	s_delay_alu instid0(VALU_DEP_4)
	v_dual_fmac_f32 v59, v41, v62 :: v_dual_add_f32 v16, v16, v85
	v_dual_fmac_f32 v60, v41, v64 :: v_dual_mul_f32 v41, v72, v65
	v_add_f32_e32 v2, v2, v26
	v_fma_f32 v57, v40, v62, -v57
	v_fma_f32 v40, v40, v64, -v61
	v_mul_f32_e32 v20, v43, v67
	v_dual_mul_f32 v61, v42, v67 :: v_dual_add_f32 v4, v4, v24
	v_dual_mul_f32 v21, v43, v69 :: v_dual_add_f32 v14, v14, v27
	v_fma_f32 v65, v72, v62, -v18
	v_dual_fmac_f32 v63, v73, v62 :: v_dual_add_f32 v12, v12, v31
	v_fma_f32 v62, v72, v64, -v19
	v_dual_fmac_f32 v41, v73, v64 :: v_dual_add_f32 v16, v16, v33
	v_mul_f32_e32 v64, v42, v69
	s_waitcnt lgkmcnt(0)
	v_mul_f32_e32 v18, v75, v67
	v_dual_mul_f32 v67, v74, v67 :: v_dual_add_f32 v4, v4, v34
	v_dual_mul_f32 v19, v75, v69 :: v_dual_add_f32 v2, v2, v28
	v_fma_f32 v70, v42, v66, -v20
	v_dual_fmac_f32 v61, v43, v66 :: v_dual_add_f32 v14, v14, v29
	v_fma_f32 v42, v42, v68, -v21
	v_fmac_f32_e32 v64, v43, v68
	v_fma_f32 v43, v74, v66, -v18
	v_dual_fmac_f32 v67, v75, v66 :: v_dual_add_f32 v16, v16, v49
	v_fma_f32 v66, v74, v68, -v19
	ds_load_2addr_b64 v[18:21], v13 offset0:224 offset1:240
	v_dual_mul_f32 v69, v74, v69 :: v_dual_add_f32 v12, v12, v30
	v_add_f32_e32 v2, v2, v46
	v_add_f32_e32 v14, v14, v48
	;; [unrolled: 1-line block ×3, first 2 shown]
	s_delay_alu instid0(VALU_DEP_4) | instskip(NEXT) | instid1(VALU_DEP_4)
	v_dual_fmac_f32 v69, v75, v68 :: v_dual_add_f32 v12, v12, v50
	v_dual_add_f32 v3, v3, v23 :: v_dual_add_f32 v2, v2, v52
	s_delay_alu instid0(VALU_DEP_3) | instskip(SKIP_1) | instid1(VALU_DEP_4)
	v_add_f32_e32 v4, v4, v38
	v_add_f32_e32 v14, v14, v53
	v_dual_add_f32 v12, v12, v54 :: v_dual_add_f32 v1, v1, v84
	s_delay_alu instid0(VALU_DEP_3) | instskip(SKIP_1) | instid1(VALU_DEP_3)
	v_dual_add_f32 v3, v3, v82 :: v_dual_add_f32 v4, v4, v40
	v_add_f32_e32 v2, v2, v58
	v_dual_add_f32 v12, v12, v63 :: v_dual_add_f32 v1, v1, v25
	v_add_f32_e32 v14, v14, v60
	s_waitcnt lgkmcnt(0)
	v_mul_f32_e32 v68, v45, v19
	v_dual_mul_f32 v72, v45, v21 :: v_dual_mul_f32 v71, v44, v19
	v_dual_add_f32 v3, v3, v35 :: v_dual_add_f32 v4, v4, v42
	s_delay_alu instid0(VALU_DEP_3) | instskip(NEXT) | instid1(VALU_DEP_3)
	v_fma_f32 v68, v44, v18, -v68
	v_fma_f32 v72, v44, v20, -v72
	s_delay_alu instid0(VALU_DEP_4) | instskip(SKIP_1) | instid1(VALU_DEP_2)
	v_dual_mul_f32 v44, v44, v21 :: v_dual_fmac_f32 v71, v45, v18
	v_dual_mul_f32 v73, v77, v21 :: v_dual_add_f32 v16, v16, v51
	v_dual_mul_f32 v21, v76, v21 :: v_dual_fmac_f32 v44, v45, v20
	v_mul_f32_e32 v45, v77, v19
	v_mul_f32_e32 v19, v76, v19
	s_delay_alu instid0(VALU_DEP_4) | instskip(NEXT) | instid1(VALU_DEP_4)
	v_dual_add_f32 v5, v5, v78 :: v_dual_add_f32 v16, v16, v59
	v_fmac_f32_e32 v21, v77, v20
	v_dual_add_f32 v1, v1, v32 :: v_dual_add_f32 v12, v12, v67
	s_delay_alu instid0(VALU_DEP_4) | instskip(NEXT) | instid1(VALU_DEP_4)
	v_fmac_f32_e32 v19, v77, v18
	v_dual_add_f32 v5, v5, v80 :: v_dual_add_f32 v2, v2, v62
	v_dual_add_f32 v3, v3, v55 :: v_dual_add_f32 v16, v16, v61
	s_delay_alu instid0(VALU_DEP_4) | instskip(NEXT) | instid1(VALU_DEP_3)
	v_add_f32_e32 v1, v1, v37
	v_dual_add_f32 v5, v5, v87 :: v_dual_add_f32 v14, v14, v64
	s_delay_alu instid0(VALU_DEP_3) | instskip(NEXT) | instid1(VALU_DEP_4)
	v_dual_add_f32 v2, v2, v66 :: v_dual_add_f32 v3, v3, v39
	v_add_f32_e32 v16, v16, v71
	s_delay_alu instid0(VALU_DEP_3) | instskip(SKIP_3) | instid1(VALU_DEP_4)
	v_add_f32_e32 v5, v5, v47
	v_dual_add_f32 v1, v1, v56 :: v_dual_add_f32 v12, v12, v19
	v_fma_f32 v45, v76, v18, -v45
	v_fma_f32 v18, v76, v20, -v73
	v_dual_add_f32 v5, v5, v86 :: v_dual_add_f32 v4, v4, v72
	s_delay_alu instid0(VALU_DEP_4) | instskip(SKIP_1) | instid1(VALU_DEP_3)
	v_dual_add_f32 v1, v1, v41 :: v_dual_add_f32 v14, v14, v44
	v_add_f32_e32 v3, v3, v65
	v_dual_add_f32 v5, v5, v57 :: v_dual_add_f32 v2, v2, v18
	s_delay_alu instid0(VALU_DEP_3) | instskip(NEXT) | instid1(VALU_DEP_3)
	v_add_f32_e32 v1, v1, v69
	v_add_f32_e32 v3, v3, v43
	s_delay_alu instid0(VALU_DEP_3) | instskip(SKIP_1) | instid1(VALU_DEP_3)
	v_add_f32_e32 v5, v5, v70
	s_barrier
	v_add_f32_e32 v1, v1, v21
	buffer_gl0_inv
	v_add_f32_e32 v3, v3, v45
	v_add_f32_e32 v5, v5, v68
	s_cbranch_vccz .LBB1247_2
.LBB1247_3:
	s_load_b128 s[4:7], s[0:1], 0x48
	v_add_nc_u32_e32 v0, s9, v11
	s_load_b32 s9, s[0:1], 0x0
	v_add_nc_u32_e32 v7, s8, v10
	s_delay_alu instid0(VALU_DEP_2) | instskip(NEXT) | instid1(VALU_DEP_2)
	v_ashrrev_i32_e32 v6, 31, v0
	v_cmp_le_i32_e64 s0, v0, v7
	s_waitcnt lgkmcnt(0)
	s_delay_alu instid0(VALU_DEP_2)
	v_mul_lo_u32 v6, v6, s4
	v_mul_lo_u32 v11, v0, s5
	v_mad_u64_u32 v[8:9], null, v0, s4, 0
	s_mul_i32 s1, s15, s7
	s_mul_hi_u32 s3, s15, s6
	s_mul_i32 s2, s15, s6
	s_add_i32 s3, s3, s1
	v_cmp_gt_i32_e32 vcc_lo, s9, v7
	s_lshl_b64 s[2:3], s[2:3], 3
	s_delay_alu instid0(VALU_DEP_2) | instskip(SKIP_3) | instid1(VALU_DEP_1)
	v_add3_u32 v9, v9, v11, v6
	s_add_u32 s2, s30, s2
	s_addc_u32 s3, s31, s3
	s_and_b32 s0, s0, vcc_lo
	v_lshlrev_b64 v[8:9], 3, v[8:9]
	s_delay_alu instid0(VALU_DEP_1) | instskip(NEXT) | instid1(VALU_DEP_1)
	v_add_co_u32 v11, s1, s2, v8
	v_add_co_ci_u32_e64 v13, s1, s3, v9, s1
	s_and_saveexec_b32 s1, s0
	s_cbranch_execz .LBB1247_5
; %bb.4:
	v_ashrrev_i32_e32 v8, 31, v7
	s_delay_alu instid0(VALU_DEP_1) | instskip(NEXT) | instid1(VALU_DEP_1)
	v_lshlrev_b64 v[8:9], 3, v[7:8]
	v_add_co_u32 v8, s0, v11, v8
	s_delay_alu instid0(VALU_DEP_1) | instskip(SKIP_1) | instid1(VALU_DEP_1)
	v_add_co_ci_u32_e64 v9, s0, v13, v9, s0
	v_cmp_ne_u32_e64 s0, v0, v7
	v_cndmask_b32_e64 v6, 0, v16, s0
	global_store_b64 v[8:9], v[5:6], off
.LBB1247_5:
	s_or_b32 exec_lo, exec_lo, s1
	v_add_nc_u32_e32 v9, 16, v7
	s_delay_alu instid0(VALU_DEP_1) | instskip(SKIP_1) | instid1(VALU_DEP_1)
	v_cmp_le_i32_e64 s1, v0, v9
	v_cmp_gt_i32_e64 s0, s9, v9
	s_and_b32 s1, s1, s0
	s_delay_alu instid0(SALU_CYCLE_1)
	s_and_saveexec_b32 s6, s1
	s_cbranch_execz .LBB1247_7
; %bb.6:
	v_ashrrev_i32_e32 v10, 31, v9
	s_delay_alu instid0(VALU_DEP_1) | instskip(NEXT) | instid1(VALU_DEP_1)
	v_lshlrev_b64 v[5:6], 3, v[9:10]
	v_add_co_u32 v10, s1, v11, v5
	s_delay_alu instid0(VALU_DEP_1) | instskip(SKIP_1) | instid1(VALU_DEP_1)
	v_add_co_ci_u32_e64 v11, s1, v13, v6, s1
	v_cmp_ne_u32_e64 s1, v0, v9
	v_cndmask_b32_e64 v5, 0, v14, s1
	global_store_b64 v[10:11], v[4:5], off
.LBB1247_7:
	s_or_b32 exec_lo, exec_lo, s6
	v_add_nc_u32_e32 v5, 16, v0
	s_delay_alu instid0(VALU_DEP_1) | instskip(SKIP_3) | instid1(VALU_DEP_4)
	v_ashrrev_i32_e32 v4, 31, v5
	v_mul_lo_u32 v6, v5, s5
	v_mad_u64_u32 v[10:11], null, v5, s4, 0
	v_cmp_le_i32_e64 s1, v5, v7
	v_mul_lo_u32 v4, v4, s4
	s_delay_alu instid0(VALU_DEP_1) | instskip(NEXT) | instid1(VALU_DEP_1)
	v_add3_u32 v11, v11, v6, v4
	v_lshlrev_b64 v[10:11], 3, v[10:11]
	s_delay_alu instid0(VALU_DEP_1) | instskip(NEXT) | instid1(VALU_DEP_1)
	v_add_co_u32 v6, s2, s2, v10
	v_add_co_ci_u32_e64 v11, s2, s3, v11, s2
	s_and_b32 s2, s1, vcc_lo
	s_delay_alu instid0(SALU_CYCLE_1)
	s_and_saveexec_b32 s1, s2
	s_cbranch_execz .LBB1247_9
; %bb.8:
	v_ashrrev_i32_e32 v8, 31, v7
	s_delay_alu instid0(VALU_DEP_1) | instskip(NEXT) | instid1(VALU_DEP_1)
	v_lshlrev_b64 v[13:14], 3, v[7:8]
	v_add_co_u32 v13, vcc_lo, v6, v13
	s_delay_alu instid0(VALU_DEP_2)
	v_add_co_ci_u32_e32 v14, vcc_lo, v11, v14, vcc_lo
	v_cmp_ne_u32_e32 vcc_lo, v5, v7
	v_cndmask_b32_e32 v4, 0, v12, vcc_lo
	global_store_b64 v[13:14], v[3:4], off
.LBB1247_9:
	s_or_b32 exec_lo, exec_lo, s1
	v_cmp_le_i32_e32 vcc_lo, v5, v9
	s_and_b32 s0, vcc_lo, s0
	s_delay_alu instid0(SALU_CYCLE_1)
	s_and_saveexec_b32 s1, s0
	s_cbranch_execz .LBB1247_11
; %bb.10:
	v_ashrrev_i32_e32 v10, 31, v9
	s_delay_alu instid0(VALU_DEP_1) | instskip(NEXT) | instid1(VALU_DEP_1)
	v_lshlrev_b64 v[3:4], 3, v[9:10]
	v_add_co_u32 v5, vcc_lo, v6, v3
	s_delay_alu instid0(VALU_DEP_2)
	v_add_co_ci_u32_e32 v6, vcc_lo, v11, v4, vcc_lo
	v_cmp_ne_u32_e32 vcc_lo, v0, v7
	v_cndmask_b32_e32 v3, 0, v1, vcc_lo
	global_store_b64 v[5:6], v[2:3], off
.LBB1247_11:
	s_nop 0
	s_sendmsg sendmsg(MSG_DEALLOC_VGPRS)
	s_endpgm
	.section	.rodata,"a",@progbits
	.p2align	6, 0x0
	.amdhsa_kernel _ZL37rocblas_syrkx_herkx_restricted_kernelIl19rocblas_complex_numIfELi16ELi32ELi8ELi1ELi0ELb1ELc67ELc76EKS1_S1_EviT_PT9_S3_lS5_S3_lPT10_S3_li
		.amdhsa_group_segment_fixed_size 4096
		.amdhsa_private_segment_fixed_size 0
		.amdhsa_kernarg_size 92
		.amdhsa_user_sgpr_count 13
		.amdhsa_user_sgpr_dispatch_ptr 0
		.amdhsa_user_sgpr_queue_ptr 0
		.amdhsa_user_sgpr_kernarg_segment_ptr 1
		.amdhsa_user_sgpr_dispatch_id 0
		.amdhsa_user_sgpr_private_segment_size 0
		.amdhsa_wavefront_size32 1
		.amdhsa_uses_dynamic_stack 0
		.amdhsa_enable_private_segment 0
		.amdhsa_system_sgpr_workgroup_id_x 1
		.amdhsa_system_sgpr_workgroup_id_y 1
		.amdhsa_system_sgpr_workgroup_id_z 1
		.amdhsa_system_sgpr_workgroup_info 0
		.amdhsa_system_vgpr_workitem_id 1
		.amdhsa_next_free_vgpr 88
		.amdhsa_next_free_sgpr 32
		.amdhsa_reserve_vcc 1
		.amdhsa_float_round_mode_32 0
		.amdhsa_float_round_mode_16_64 0
		.amdhsa_float_denorm_mode_32 3
		.amdhsa_float_denorm_mode_16_64 3
		.amdhsa_dx10_clamp 1
		.amdhsa_ieee_mode 1
		.amdhsa_fp16_overflow 0
		.amdhsa_workgroup_processor_mode 1
		.amdhsa_memory_ordered 1
		.amdhsa_forward_progress 0
		.amdhsa_shared_vgpr_count 0
		.amdhsa_exception_fp_ieee_invalid_op 0
		.amdhsa_exception_fp_denorm_src 0
		.amdhsa_exception_fp_ieee_div_zero 0
		.amdhsa_exception_fp_ieee_overflow 0
		.amdhsa_exception_fp_ieee_underflow 0
		.amdhsa_exception_fp_ieee_inexact 0
		.amdhsa_exception_int_div_zero 0
	.end_amdhsa_kernel
	.section	.text._ZL37rocblas_syrkx_herkx_restricted_kernelIl19rocblas_complex_numIfELi16ELi32ELi8ELi1ELi0ELb1ELc67ELc76EKS1_S1_EviT_PT9_S3_lS5_S3_lPT10_S3_li,"axG",@progbits,_ZL37rocblas_syrkx_herkx_restricted_kernelIl19rocblas_complex_numIfELi16ELi32ELi8ELi1ELi0ELb1ELc67ELc76EKS1_S1_EviT_PT9_S3_lS5_S3_lPT10_S3_li,comdat
.Lfunc_end1247:
	.size	_ZL37rocblas_syrkx_herkx_restricted_kernelIl19rocblas_complex_numIfELi16ELi32ELi8ELi1ELi0ELb1ELc67ELc76EKS1_S1_EviT_PT9_S3_lS5_S3_lPT10_S3_li, .Lfunc_end1247-_ZL37rocblas_syrkx_herkx_restricted_kernelIl19rocblas_complex_numIfELi16ELi32ELi8ELi1ELi0ELb1ELc67ELc76EKS1_S1_EviT_PT9_S3_lS5_S3_lPT10_S3_li
                                        ; -- End function
	.section	.AMDGPU.csdata,"",@progbits
; Kernel info:
; codeLenInByte = 2212
; NumSgprs: 34
; NumVgprs: 88
; ScratchSize: 0
; MemoryBound: 0
; FloatMode: 240
; IeeeMode: 1
; LDSByteSize: 4096 bytes/workgroup (compile time only)
; SGPRBlocks: 4
; VGPRBlocks: 10
; NumSGPRsForWavesPerEU: 34
; NumVGPRsForWavesPerEU: 88
; Occupancy: 16
; WaveLimiterHint : 1
; COMPUTE_PGM_RSRC2:SCRATCH_EN: 0
; COMPUTE_PGM_RSRC2:USER_SGPR: 13
; COMPUTE_PGM_RSRC2:TRAP_HANDLER: 0
; COMPUTE_PGM_RSRC2:TGID_X_EN: 1
; COMPUTE_PGM_RSRC2:TGID_Y_EN: 1
; COMPUTE_PGM_RSRC2:TGID_Z_EN: 1
; COMPUTE_PGM_RSRC2:TIDIG_COMP_CNT: 1
	.section	.text._ZL37rocblas_syrkx_herkx_restricted_kernelIl19rocblas_complex_numIfELi16ELi32ELi8ELi1ELi0ELb1ELc78ELc76EKS1_S1_EviT_PT9_S3_lS5_S3_lPT10_S3_li,"axG",@progbits,_ZL37rocblas_syrkx_herkx_restricted_kernelIl19rocblas_complex_numIfELi16ELi32ELi8ELi1ELi0ELb1ELc78ELc76EKS1_S1_EviT_PT9_S3_lS5_S3_lPT10_S3_li,comdat
	.globl	_ZL37rocblas_syrkx_herkx_restricted_kernelIl19rocblas_complex_numIfELi16ELi32ELi8ELi1ELi0ELb1ELc78ELc76EKS1_S1_EviT_PT9_S3_lS5_S3_lPT10_S3_li ; -- Begin function _ZL37rocblas_syrkx_herkx_restricted_kernelIl19rocblas_complex_numIfELi16ELi32ELi8ELi1ELi0ELb1ELc78ELc76EKS1_S1_EviT_PT9_S3_lS5_S3_lPT10_S3_li
	.p2align	8
	.type	_ZL37rocblas_syrkx_herkx_restricted_kernelIl19rocblas_complex_numIfELi16ELi32ELi8ELi1ELi0ELb1ELc78ELc76EKS1_S1_EviT_PT9_S3_lS5_S3_lPT10_S3_li,@function
_ZL37rocblas_syrkx_herkx_restricted_kernelIl19rocblas_complex_numIfELi16ELi32ELi8ELi1ELi0ELb1ELc78ELc76EKS1_S1_EviT_PT9_S3_lS5_S3_lPT10_S3_li: ; @_ZL37rocblas_syrkx_herkx_restricted_kernelIl19rocblas_complex_numIfELi16ELi32ELi8ELi1ELi0ELb1ELc78ELc76EKS1_S1_EviT_PT9_S3_lS5_S3_lPT10_S3_li
; %bb.0:
	s_load_b512 s[16:31], s[0:1], 0x8
	v_dual_mov_b32 v4, 0 :: v_dual_mov_b32 v15, 0
	v_dual_mov_b32 v3, 0 :: v_dual_mov_b32 v14, 0
	v_dual_mov_b32 v2, 0 :: v_dual_mov_b32 v11, 0
	v_dual_mov_b32 v1, 0 :: v_dual_mov_b32 v10, 0
	v_and_b32_e32 v9, 0x3ff, v0
	v_bfe_u32 v0, v0, 10, 10
	s_lshl_b32 s8, s13, 5
	s_lshl_b32 s9, s14, 5
	s_waitcnt lgkmcnt(0)
	v_cmp_lt_i64_e64 s2, s[16:17], 1
	s_delay_alu instid0(VALU_DEP_1)
	s_and_b32 vcc_lo, exec_lo, s2
	s_cbranch_vccnz .LBB1248_3
; %bb.1:
	v_lshl_add_u32 v2, v0, 4, v9
	v_and_b32_e32 v11, 7, v9
	s_mul_i32 s3, s23, s15
	s_mul_hi_u32 s5, s22, s15
	s_mul_i32 s2, s22, s15
	v_and_b32_e32 v8, 31, v2
	v_lshrrev_b32_e32 v10, 3, v2
	v_lshrrev_b32_e32 v14, 5, v2
	s_add_i32 s3, s5, s3
	s_mul_i32 s6, s29, s15
	v_add_nc_u32_e32 v1, s8, v8
	v_add_nc_u32_e32 v3, s9, v10
	s_lshl_b64 s[2:3], s[2:3], 3
	s_mul_hi_u32 s7, s28, s15
	s_add_u32 s10, s18, s2
	v_ashrrev_i32_e32 v2, 31, v1
	v_ashrrev_i32_e32 v4, 31, v3
	s_mul_i32 s4, s28, s15
	s_addc_u32 s11, s19, s3
	s_add_i32 s5, s7, s6
	v_mad_u64_u32 v[5:6], null, v14, s20, v[1:2]
	v_mad_u64_u32 v[1:2], null, v11, s26, v[3:4]
	s_lshl_b64 s[4:5], s[4:5], 3
	s_lshl_b64 s[2:3], s[20:21], 6
	s_add_u32 s4, s24, s4
	s_addc_u32 s5, s25, s5
	s_delay_alu instid0(VALU_DEP_2) | instskip(SKIP_2) | instid1(VALU_DEP_2)
	v_dual_mov_b32 v3, v6 :: v_dual_lshlrev_b32 v12, 3, v9
	v_lshl_add_u32 v13, v0, 6, 0x800
	s_mov_b64 s[6:7], 0
	v_mad_u64_u32 v[6:7], null, v14, s21, v[3:4]
	v_mad_u64_u32 v[3:4], null, v11, s27, v[2:3]
	s_delay_alu instid0(VALU_DEP_1) | instskip(NEXT) | instid1(VALU_DEP_3)
	v_dual_mov_b32 v2, v3 :: v_dual_lshlrev_b32 v7, 3, v8
	v_lshlrev_b64 v[3:4], 3, v[5:6]
	v_lshlrev_b32_e32 v15, 3, v11
	v_mov_b32_e32 v11, 0
	s_delay_alu instid0(VALU_DEP_4) | instskip(NEXT) | instid1(VALU_DEP_4)
	v_lshlrev_b64 v[1:2], 3, v[1:2]
	v_add_co_u32 v3, vcc_lo, s10, v3
	v_add_co_ci_u32_e32 v4, vcc_lo, s11, v4, vcc_lo
	s_delay_alu instid0(VALU_DEP_3) | instskip(NEXT) | instid1(VALU_DEP_4)
	v_add_co_u32 v1, vcc_lo, s4, v1
	v_add_co_ci_u32_e32 v2, vcc_lo, s5, v2, vcc_lo
	s_delay_alu instid0(VALU_DEP_4) | instskip(NEXT) | instid1(VALU_DEP_4)
	v_add_co_u32 v5, vcc_lo, v3, 4
	v_add_co_ci_u32_e32 v6, vcc_lo, 0, v4, vcc_lo
	v_mov_b32_e32 v4, 0
	v_lshl_or_b32 v16, v14, 8, v7
	v_mov_b32_e32 v14, 0
	v_lshl_or_b32 v8, v10, 6, v15
	v_add_co_u32 v7, vcc_lo, v1, 4
	v_dual_mov_b32 v10, 0 :: v_dual_mov_b32 v1, 0
	s_delay_alu instid0(VALU_DEP_3)
	v_add_nc_u32_e32 v17, 0x800, v8
	v_add_co_ci_u32_e32 v8, vcc_lo, 0, v2, vcc_lo
	v_dual_mov_b32 v2, 0 :: v_dual_mov_b32 v3, 0
	v_mov_b32_e32 v15, 0
	s_lshl_b64 s[4:5], s[26:27], 6
.LBB1248_2:                             ; =>This Inner Loop Header: Depth=1
	global_load_b64 v[18:19], v[7:8], off offset:-4
	global_load_b64 v[20:21], v[5:6], off offset:-4
	s_add_u32 s6, s6, 8
	v_add_co_u32 v5, vcc_lo, v5, s2
	s_addc_u32 s7, s7, 0
	v_add_co_ci_u32_e32 v6, vcc_lo, s3, v6, vcc_lo
	v_cmp_ge_u64_e64 s10, s[6:7], s[16:17]
	v_add_co_u32 v7, vcc_lo, v7, s4
	v_add_co_ci_u32_e32 v8, vcc_lo, s5, v8, vcc_lo
	s_delay_alu instid0(VALU_DEP_3)
	s_and_b32 vcc_lo, exec_lo, s10
	s_waitcnt vmcnt(1)
	v_xor_b32_e32 v19, 0x80000000, v19
	s_waitcnt vmcnt(0)
	ds_store_b64 v16, v[20:21]
	ds_store_b64 v17, v[18:19]
	s_waitcnt lgkmcnt(0)
	s_barrier
	buffer_gl0_inv
	ds_load_2addr_b64 v[18:21], v12 offset1:16
	ds_load_b128 v[22:25], v13
	ds_load_b128 v[26:29], v13 offset:1024
	ds_load_b128 v[30:33], v13 offset:16
	;; [unrolled: 1-line block ×4, first 2 shown]
	ds_load_2addr_b64 v[42:45], v12 offset0:32 offset1:48
	ds_load_2addr_b64 v[46:49], v12 offset0:64 offset1:80
	ds_load_b128 v[50:53], v13 offset:1040
	ds_load_2addr_b64 v[54:57], v12 offset0:96 offset1:112
	ds_load_2addr_b64 v[58:61], v12 offset0:128 offset1:144
	;; [unrolled: 1-line block ×4, first 2 shown]
	ds_load_b128 v[70:73], v13 offset:1056
	ds_load_b128 v[74:77], v13 offset:1072
	ds_load_2addr_b64 v[78:81], v12 offset0:224 offset1:240
	s_waitcnt lgkmcnt(0)
	s_barrier
	buffer_gl0_inv
	v_dual_mul_f32 v82, v23, v19 :: v_dual_mul_f32 v85, v22, v21
	v_dual_mul_f32 v83, v22, v19 :: v_dual_mul_f32 v84, v23, v21
	v_mul_f32_e32 v86, v27, v19
	v_mul_f32_e32 v19, v26, v19
	;; [unrolled: 1-line block ×4, first 2 shown]
	v_fma_f32 v82, v22, v18, -v82
	v_fmac_f32_e32 v83, v23, v18
	v_fma_f32 v22, v22, v20, -v84
	v_fmac_f32_e32 v85, v23, v20
	v_fma_f32 v23, v26, v18, -v86
	v_dual_fmac_f32 v21, v27, v20 :: v_dual_mul_f32 v84, v24, v45
	v_fmac_f32_e32 v19, v27, v18
	v_fma_f32 v18, v26, v20, -v87
	v_mul_f32_e32 v20, v25, v43
	v_mul_f32_e32 v26, v24, v43
	v_fmac_f32_e32 v84, v25, v44
	v_dual_mul_f32 v27, v25, v45 :: v_dual_mul_f32 v86, v51, v47
	s_delay_alu instid0(VALU_DEP_4) | instskip(NEXT) | instid1(VALU_DEP_4)
	v_fma_f32 v20, v24, v42, -v20
	v_fmac_f32_e32 v26, v25, v42
	v_mul_f32_e32 v25, v29, v43
	s_delay_alu instid0(VALU_DEP_4)
	v_fma_f32 v24, v24, v44, -v27
	v_mul_f32_e32 v27, v28, v43
	v_mul_f32_e32 v43, v29, v45
	;; [unrolled: 1-line block ×3, first 2 shown]
	v_fma_f32 v25, v28, v42, -v25
	v_mul_f32_e32 v87, v51, v49
	v_fmac_f32_e32 v27, v29, v42
	v_fma_f32 v28, v28, v44, -v43
	v_fmac_f32_e32 v45, v29, v44
	v_mul_f32_e32 v29, v31, v47
	v_dual_mul_f32 v42, v30, v47 :: v_dual_mul_f32 v43, v31, v49
	v_mul_f32_e32 v44, v30, v49
	v_mul_f32_e32 v47, v50, v47
	;; [unrolled: 1-line block ×3, first 2 shown]
	v_fma_f32 v29, v30, v46, -v29
	v_fmac_f32_e32 v42, v31, v46
	v_fma_f32 v30, v30, v48, -v43
	v_fmac_f32_e32 v44, v31, v48
	v_fma_f32 v31, v50, v46, -v86
	v_mul_f32_e32 v86, v71, v59
	v_fmac_f32_e32 v47, v51, v46
	v_fma_f32 v43, v50, v48, -v87
	v_dual_fmac_f32 v49, v51, v48 :: v_dual_mul_f32 v46, v33, v55
	v_mul_f32_e32 v48, v32, v55
	v_mul_f32_e32 v50, v33, v57
	;; [unrolled: 1-line block ×4, first 2 shown]
	v_fma_f32 v46, v32, v54, -v46
	v_fmac_f32_e32 v48, v33, v54
	v_fma_f32 v32, v32, v56, -v50
	v_fmac_f32_e32 v51, v33, v56
	v_mul_f32_e32 v33, v53, v55
	v_dual_mul_f32 v50, v52, v55 :: v_dual_mul_f32 v55, v53, v57
	v_mul_f32_e32 v57, v52, v57
	v_add_f32_e32 v4, v4, v82
	s_delay_alu instid0(VALU_DEP_4) | instskip(NEXT) | instid1(VALU_DEP_4)
	v_fma_f32 v33, v52, v54, -v33
	v_fmac_f32_e32 v50, v53, v54
	v_fma_f32 v52, v52, v56, -v55
	v_fmac_f32_e32 v57, v53, v56
	v_mul_f32_e32 v53, v35, v59
	v_dual_mul_f32 v54, v34, v59 :: v_dual_mul_f32 v55, v35, v61
	v_mul_f32_e32 v56, v34, v61
	v_mul_f32_e32 v59, v70, v59
	;; [unrolled: 1-line block ×3, first 2 shown]
	v_fma_f32 v53, v34, v58, -v53
	v_fmac_f32_e32 v54, v35, v58
	v_fma_f32 v34, v34, v60, -v55
	v_fmac_f32_e32 v56, v35, v60
	v_fma_f32 v35, v70, v58, -v86
	v_mul_f32_e32 v86, v75, v67
	v_fmac_f32_e32 v59, v71, v58
	v_fma_f32 v55, v70, v60, -v87
	v_dual_fmac_f32 v61, v71, v60 :: v_dual_mul_f32 v58, v37, v63
	v_mul_f32_e32 v60, v36, v63
	v_mul_f32_e32 v70, v37, v65
	;; [unrolled: 1-line block ×3, first 2 shown]
	v_add_f32_e32 v14, v14, v85
	v_fma_f32 v58, v36, v62, -v58
	v_fmac_f32_e32 v60, v37, v62
	v_fma_f32 v36, v36, v64, -v70
	v_fmac_f32_e32 v71, v37, v64
	v_mul_f32_e32 v37, v73, v63
	v_dual_mul_f32 v63, v72, v63 :: v_dual_mul_f32 v70, v73, v65
	v_dual_mul_f32 v65, v72, v65 :: v_dual_add_f32 v2, v2, v23
	s_delay_alu instid0(VALU_DEP_2) | instskip(NEXT) | instid1(VALU_DEP_4)
	v_dual_add_f32 v4, v4, v20 :: v_dual_fmac_f32 v63, v73, v62
	v_fma_f32 v37, v72, v62, -v37
	s_delay_alu instid0(VALU_DEP_3)
	v_fmac_f32_e32 v65, v73, v64
	v_mul_f32_e32 v73, v38, v69
	v_fma_f32 v62, v72, v64, -v70
	v_mul_f32_e32 v64, v39, v67
	v_mul_f32_e32 v70, v38, v67
	v_dual_mul_f32 v72, v39, v69 :: v_dual_mul_f32 v67, v74, v67
	v_add_f32_e32 v4, v4, v29
	v_dual_mul_f32 v87, v75, v69 :: v_dual_add_f32 v14, v14, v84
	v_mul_f32_e32 v69, v74, v69
	v_dual_fmac_f32 v73, v39, v68 :: v_dual_add_f32 v10, v10, v21
	v_fma_f32 v64, v38, v66, -v64
	v_fmac_f32_e32 v70, v39, v66
	v_fma_f32 v38, v38, v68, -v72
	v_fma_f32 v39, v74, v66, -v86
	v_dual_fmac_f32 v67, v75, v66 :: v_dual_add_f32 v2, v2, v25
	v_fma_f32 v66, v74, v68, -v87
	v_mul_f32_e32 v72, v40, v79
	v_mul_f32_e32 v74, v41, v81
	v_add_f32_e32 v10, v10, v45
	v_add_f32_e32 v14, v14, v44
	v_dual_add_f32 v4, v4, v46 :: v_dual_fmac_f32 v69, v75, v68
	v_dual_mul_f32 v68, v41, v79 :: v_dual_mul_f32 v75, v40, v81
	v_fmac_f32_e32 v72, v41, v78
	v_add_f32_e32 v2, v2, v31
	v_add_f32_e32 v10, v10, v49
	s_delay_alu instid0(VALU_DEP_4)
	v_fma_f32 v68, v40, v78, -v68
	v_fma_f32 v40, v40, v80, -v74
	v_fmac_f32_e32 v75, v41, v80
	v_mul_f32_e32 v41, v77, v79
	v_dual_mul_f32 v74, v76, v79 :: v_dual_mul_f32 v79, v77, v81
	v_dual_add_f32 v14, v14, v51 :: v_dual_mul_f32 v81, v76, v81
	v_dual_add_f32 v15, v15, v83 :: v_dual_add_f32 v10, v10, v57
	v_dual_add_f32 v3, v3, v22 :: v_dual_add_f32 v4, v4, v53
	;; [unrolled: 1-line block ×3, first 2 shown]
	s_delay_alu instid0(VALU_DEP_3)
	v_dual_add_f32 v10, v10, v61 :: v_dual_add_f32 v1, v1, v18
	v_add_f32_e32 v14, v14, v56
	v_fmac_f32_e32 v81, v77, v80
	v_add_f32_e32 v15, v15, v26
	v_dual_add_f32 v3, v3, v24 :: v_dual_add_f32 v4, v4, v58
	v_add_f32_e32 v2, v2, v35
	v_add_f32_e32 v11, v11, v27
	v_dual_add_f32 v1, v1, v28 :: v_dual_add_f32 v10, v10, v65
	v_dual_add_f32 v14, v14, v71 :: v_dual_add_f32 v15, v15, v42
	;; [unrolled: 1-line block ×3, first 2 shown]
	s_delay_alu instid0(VALU_DEP_3) | instskip(NEXT) | instid1(VALU_DEP_4)
	v_dual_add_f32 v1, v1, v43 :: v_dual_add_f32 v2, v2, v37
	v_dual_add_f32 v11, v11, v47 :: v_dual_add_f32 v10, v10, v69
	v_fma_f32 v41, v76, v78, -v41
	s_delay_alu instid0(VALU_DEP_3) | instskip(NEXT) | instid1(VALU_DEP_3)
	v_dual_add_f32 v15, v15, v48 :: v_dual_add_f32 v2, v2, v39
	v_dual_add_f32 v11, v11, v50 :: v_dual_add_f32 v14, v14, v73
	v_add_f32_e32 v3, v3, v32
	v_add_f32_e32 v4, v4, v68
	v_dual_add_f32 v1, v1, v52 :: v_dual_add_f32 v10, v10, v81
	s_delay_alu instid0(VALU_DEP_4) | instskip(NEXT) | instid1(VALU_DEP_4)
	v_dual_add_f32 v15, v15, v54 :: v_dual_add_f32 v14, v14, v75
	v_add_f32_e32 v3, v3, v34
	s_delay_alu instid0(VALU_DEP_3) | instskip(SKIP_1) | instid1(VALU_DEP_4)
	v_dual_add_f32 v1, v1, v55 :: v_dual_add_f32 v2, v2, v41
	v_add_f32_e32 v11, v11, v59
	v_add_f32_e32 v15, v15, v60
	s_delay_alu instid0(VALU_DEP_4) | instskip(NEXT) | instid1(VALU_DEP_4)
	v_add_f32_e32 v3, v3, v36
	v_add_f32_e32 v1, v1, v62
	s_delay_alu instid0(VALU_DEP_4)
	v_dual_fmac_f32 v74, v77, v78 :: v_dual_add_f32 v11, v11, v63
	v_fma_f32 v76, v76, v80, -v79
	v_add_f32_e32 v15, v15, v70
	v_add_f32_e32 v3, v3, v38
	;; [unrolled: 1-line block ×4, first 2 shown]
	s_delay_alu instid0(VALU_DEP_4) | instskip(NEXT) | instid1(VALU_DEP_4)
	v_add_f32_e32 v15, v15, v72
	v_add_f32_e32 v3, v3, v40
	s_delay_alu instid0(VALU_DEP_4) | instskip(NEXT) | instid1(VALU_DEP_4)
	v_add_f32_e32 v1, v1, v76
	v_add_f32_e32 v11, v11, v74
	s_cbranch_vccz .LBB1248_2
.LBB1248_3:
	s_load_b128 s[4:7], s[0:1], 0x48
	v_add_nc_u32_e32 v0, s9, v0
	s_load_b32 s9, s[0:1], 0x0
	v_add_nc_u32_e32 v6, s8, v9
	s_delay_alu instid0(VALU_DEP_2) | instskip(NEXT) | instid1(VALU_DEP_2)
	v_ashrrev_i32_e32 v5, 31, v0
	v_cmp_le_i32_e64 s0, v0, v6
	s_waitcnt lgkmcnt(0)
	s_delay_alu instid0(VALU_DEP_2)
	v_mul_lo_u32 v5, v5, s4
	v_mul_lo_u32 v12, v0, s5
	v_mad_u64_u32 v[7:8], null, v0, s4, 0
	s_mul_i32 s1, s15, s7
	s_mul_hi_u32 s3, s15, s6
	s_mul_i32 s2, s15, s6
	s_add_i32 s3, s3, s1
	v_cmp_gt_i32_e32 vcc_lo, s9, v6
	s_lshl_b64 s[2:3], s[2:3], 3
	s_delay_alu instid0(VALU_DEP_2) | instskip(SKIP_3) | instid1(VALU_DEP_1)
	v_add3_u32 v8, v8, v12, v5
	s_add_u32 s2, s30, s2
	s_addc_u32 s3, s31, s3
	s_and_b32 s0, s0, vcc_lo
	v_lshlrev_b64 v[7:8], 3, v[7:8]
	s_delay_alu instid0(VALU_DEP_1) | instskip(NEXT) | instid1(VALU_DEP_1)
	v_add_co_u32 v12, s1, s2, v7
	v_add_co_ci_u32_e64 v13, s1, s3, v8, s1
	s_and_saveexec_b32 s1, s0
	s_cbranch_execz .LBB1248_5
; %bb.4:
	v_ashrrev_i32_e32 v7, 31, v6
	s_delay_alu instid0(VALU_DEP_1) | instskip(NEXT) | instid1(VALU_DEP_1)
	v_lshlrev_b64 v[7:8], 3, v[6:7]
	v_add_co_u32 v7, s0, v12, v7
	s_delay_alu instid0(VALU_DEP_1) | instskip(SKIP_1) | instid1(VALU_DEP_1)
	v_add_co_ci_u32_e64 v8, s0, v13, v8, s0
	v_cmp_ne_u32_e64 s0, v0, v6
	v_cndmask_b32_e64 v5, 0, v15, s0
	global_store_b64 v[7:8], v[4:5], off
.LBB1248_5:
	s_or_b32 exec_lo, exec_lo, s1
	v_add_nc_u32_e32 v8, 16, v6
	s_delay_alu instid0(VALU_DEP_1) | instskip(SKIP_1) | instid1(VALU_DEP_1)
	v_cmp_le_i32_e64 s1, v0, v8
	v_cmp_gt_i32_e64 s0, s9, v8
	s_and_b32 s1, s1, s0
	s_delay_alu instid0(SALU_CYCLE_1)
	s_and_saveexec_b32 s6, s1
	s_cbranch_execz .LBB1248_7
; %bb.6:
	v_ashrrev_i32_e32 v9, 31, v8
	s_delay_alu instid0(VALU_DEP_1) | instskip(NEXT) | instid1(VALU_DEP_1)
	v_lshlrev_b64 v[4:5], 3, v[8:9]
	v_add_co_u32 v12, s1, v12, v4
	s_delay_alu instid0(VALU_DEP_1) | instskip(SKIP_1) | instid1(VALU_DEP_1)
	v_add_co_ci_u32_e64 v13, s1, v13, v5, s1
	v_cmp_ne_u32_e64 s1, v0, v8
	v_cndmask_b32_e64 v4, 0, v14, s1
	global_store_b64 v[12:13], v[3:4], off
.LBB1248_7:
	s_or_b32 exec_lo, exec_lo, s6
	v_add_nc_u32_e32 v4, 16, v0
	s_delay_alu instid0(VALU_DEP_1) | instskip(SKIP_3) | instid1(VALU_DEP_4)
	v_ashrrev_i32_e32 v3, 31, v4
	v_mul_lo_u32 v5, v4, s5
	v_mad_u64_u32 v[12:13], null, v4, s4, 0
	v_cmp_le_i32_e64 s1, v4, v6
	v_mul_lo_u32 v3, v3, s4
	s_delay_alu instid0(VALU_DEP_1) | instskip(NEXT) | instid1(VALU_DEP_1)
	v_add3_u32 v13, v13, v5, v3
	v_lshlrev_b64 v[12:13], 3, v[12:13]
	s_delay_alu instid0(VALU_DEP_1) | instskip(NEXT) | instid1(VALU_DEP_1)
	v_add_co_u32 v5, s2, s2, v12
	v_add_co_ci_u32_e64 v12, s2, s3, v13, s2
	s_and_b32 s2, s1, vcc_lo
	s_delay_alu instid0(SALU_CYCLE_1)
	s_and_saveexec_b32 s1, s2
	s_cbranch_execz .LBB1248_9
; %bb.8:
	v_ashrrev_i32_e32 v7, 31, v6
	s_delay_alu instid0(VALU_DEP_1) | instskip(NEXT) | instid1(VALU_DEP_1)
	v_lshlrev_b64 v[13:14], 3, v[6:7]
	v_add_co_u32 v13, vcc_lo, v5, v13
	s_delay_alu instid0(VALU_DEP_2)
	v_add_co_ci_u32_e32 v14, vcc_lo, v12, v14, vcc_lo
	v_cmp_ne_u32_e32 vcc_lo, v4, v6
	v_cndmask_b32_e32 v3, 0, v11, vcc_lo
	global_store_b64 v[13:14], v[2:3], off
.LBB1248_9:
	s_or_b32 exec_lo, exec_lo, s1
	v_cmp_le_i32_e32 vcc_lo, v4, v8
	s_and_b32 s0, vcc_lo, s0
	s_delay_alu instid0(SALU_CYCLE_1)
	s_and_saveexec_b32 s1, s0
	s_cbranch_execz .LBB1248_11
; %bb.10:
	v_ashrrev_i32_e32 v9, 31, v8
	s_delay_alu instid0(VALU_DEP_1) | instskip(NEXT) | instid1(VALU_DEP_1)
	v_lshlrev_b64 v[2:3], 3, v[8:9]
	v_add_co_u32 v4, vcc_lo, v5, v2
	s_delay_alu instid0(VALU_DEP_2)
	v_add_co_ci_u32_e32 v5, vcc_lo, v12, v3, vcc_lo
	v_cmp_ne_u32_e32 vcc_lo, v0, v6
	v_cndmask_b32_e32 v2, 0, v10, vcc_lo
	global_store_b64 v[4:5], v[1:2], off
.LBB1248_11:
	s_nop 0
	s_sendmsg sendmsg(MSG_DEALLOC_VGPRS)
	s_endpgm
	.section	.rodata,"a",@progbits
	.p2align	6, 0x0
	.amdhsa_kernel _ZL37rocblas_syrkx_herkx_restricted_kernelIl19rocblas_complex_numIfELi16ELi32ELi8ELi1ELi0ELb1ELc78ELc76EKS1_S1_EviT_PT9_S3_lS5_S3_lPT10_S3_li
		.amdhsa_group_segment_fixed_size 4096
		.amdhsa_private_segment_fixed_size 0
		.amdhsa_kernarg_size 92
		.amdhsa_user_sgpr_count 13
		.amdhsa_user_sgpr_dispatch_ptr 0
		.amdhsa_user_sgpr_queue_ptr 0
		.amdhsa_user_sgpr_kernarg_segment_ptr 1
		.amdhsa_user_sgpr_dispatch_id 0
		.amdhsa_user_sgpr_private_segment_size 0
		.amdhsa_wavefront_size32 1
		.amdhsa_uses_dynamic_stack 0
		.amdhsa_enable_private_segment 0
		.amdhsa_system_sgpr_workgroup_id_x 1
		.amdhsa_system_sgpr_workgroup_id_y 1
		.amdhsa_system_sgpr_workgroup_id_z 1
		.amdhsa_system_sgpr_workgroup_info 0
		.amdhsa_system_vgpr_workitem_id 1
		.amdhsa_next_free_vgpr 88
		.amdhsa_next_free_sgpr 32
		.amdhsa_reserve_vcc 1
		.amdhsa_float_round_mode_32 0
		.amdhsa_float_round_mode_16_64 0
		.amdhsa_float_denorm_mode_32 3
		.amdhsa_float_denorm_mode_16_64 3
		.amdhsa_dx10_clamp 1
		.amdhsa_ieee_mode 1
		.amdhsa_fp16_overflow 0
		.amdhsa_workgroup_processor_mode 1
		.amdhsa_memory_ordered 1
		.amdhsa_forward_progress 0
		.amdhsa_shared_vgpr_count 0
		.amdhsa_exception_fp_ieee_invalid_op 0
		.amdhsa_exception_fp_denorm_src 0
		.amdhsa_exception_fp_ieee_div_zero 0
		.amdhsa_exception_fp_ieee_overflow 0
		.amdhsa_exception_fp_ieee_underflow 0
		.amdhsa_exception_fp_ieee_inexact 0
		.amdhsa_exception_int_div_zero 0
	.end_amdhsa_kernel
	.section	.text._ZL37rocblas_syrkx_herkx_restricted_kernelIl19rocblas_complex_numIfELi16ELi32ELi8ELi1ELi0ELb1ELc78ELc76EKS1_S1_EviT_PT9_S3_lS5_S3_lPT10_S3_li,"axG",@progbits,_ZL37rocblas_syrkx_herkx_restricted_kernelIl19rocblas_complex_numIfELi16ELi32ELi8ELi1ELi0ELb1ELc78ELc76EKS1_S1_EviT_PT9_S3_lS5_S3_lPT10_S3_li,comdat
.Lfunc_end1248:
	.size	_ZL37rocblas_syrkx_herkx_restricted_kernelIl19rocblas_complex_numIfELi16ELi32ELi8ELi1ELi0ELb1ELc78ELc76EKS1_S1_EviT_PT9_S3_lS5_S3_lPT10_S3_li, .Lfunc_end1248-_ZL37rocblas_syrkx_herkx_restricted_kernelIl19rocblas_complex_numIfELi16ELi32ELi8ELi1ELi0ELb1ELc78ELc76EKS1_S1_EviT_PT9_S3_lS5_S3_lPT10_S3_li
                                        ; -- End function
	.section	.AMDGPU.csdata,"",@progbits
; Kernel info:
; codeLenInByte = 2176
; NumSgprs: 34
; NumVgprs: 88
; ScratchSize: 0
; MemoryBound: 0
; FloatMode: 240
; IeeeMode: 1
; LDSByteSize: 4096 bytes/workgroup (compile time only)
; SGPRBlocks: 4
; VGPRBlocks: 10
; NumSGPRsForWavesPerEU: 34
; NumVGPRsForWavesPerEU: 88
; Occupancy: 16
; WaveLimiterHint : 1
; COMPUTE_PGM_RSRC2:SCRATCH_EN: 0
; COMPUTE_PGM_RSRC2:USER_SGPR: 13
; COMPUTE_PGM_RSRC2:TRAP_HANDLER: 0
; COMPUTE_PGM_RSRC2:TGID_X_EN: 1
; COMPUTE_PGM_RSRC2:TGID_Y_EN: 1
; COMPUTE_PGM_RSRC2:TGID_Z_EN: 1
; COMPUTE_PGM_RSRC2:TIDIG_COMP_CNT: 1
	.section	.text._ZL37rocblas_syrkx_herkx_restricted_kernelIl19rocblas_complex_numIfELi16ELi32ELi8ELi1ELi0ELb1ELc84ELc85EKS1_S1_EviT_PT9_S3_lS5_S3_lPT10_S3_li,"axG",@progbits,_ZL37rocblas_syrkx_herkx_restricted_kernelIl19rocblas_complex_numIfELi16ELi32ELi8ELi1ELi0ELb1ELc84ELc85EKS1_S1_EviT_PT9_S3_lS5_S3_lPT10_S3_li,comdat
	.globl	_ZL37rocblas_syrkx_herkx_restricted_kernelIl19rocblas_complex_numIfELi16ELi32ELi8ELi1ELi0ELb1ELc84ELc85EKS1_S1_EviT_PT9_S3_lS5_S3_lPT10_S3_li ; -- Begin function _ZL37rocblas_syrkx_herkx_restricted_kernelIl19rocblas_complex_numIfELi16ELi32ELi8ELi1ELi0ELb1ELc84ELc85EKS1_S1_EviT_PT9_S3_lS5_S3_lPT10_S3_li
	.p2align	8
	.type	_ZL37rocblas_syrkx_herkx_restricted_kernelIl19rocblas_complex_numIfELi16ELi32ELi8ELi1ELi0ELb1ELc84ELc85EKS1_S1_EviT_PT9_S3_lS5_S3_lPT10_S3_li,@function
_ZL37rocblas_syrkx_herkx_restricted_kernelIl19rocblas_complex_numIfELi16ELi32ELi8ELi1ELi0ELb1ELc84ELc85EKS1_S1_EviT_PT9_S3_lS5_S3_lPT10_S3_li: ; @_ZL37rocblas_syrkx_herkx_restricted_kernelIl19rocblas_complex_numIfELi16ELi32ELi8ELi1ELi0ELb1ELc84ELc85EKS1_S1_EviT_PT9_S3_lS5_S3_lPT10_S3_li
; %bb.0:
	s_load_b512 s[16:31], s[0:1], 0x8
	v_dual_mov_b32 v5, 0 :: v_dual_mov_b32 v16, 0
	v_dual_mov_b32 v4, 0 :: v_dual_mov_b32 v3, 0
	;; [unrolled: 1-line block ×3, first 2 shown]
	v_mov_b32_e32 v12, 0
	v_mov_b32_e32 v2, 0
	v_and_b32_e32 v10, 0x3ff, v0
	v_bfe_u32 v11, v0, 10, 10
	s_lshl_b32 s8, s13, 5
	s_lshl_b32 s9, s14, 5
	s_waitcnt lgkmcnt(0)
	v_cmp_lt_i64_e64 s2, s[16:17], 1
	s_delay_alu instid0(VALU_DEP_1)
	s_and_b32 vcc_lo, exec_lo, s2
	s_cbranch_vccnz .LBB1249_3
; %bb.1:
	v_lshl_add_u32 v2, v11, 4, v10
	v_dual_mov_b32 v1, 0 :: v_dual_and_b32 v0, 7, v10
	s_mul_i32 s3, s23, s15
	s_mul_hi_u32 s4, s22, s15
	s_delay_alu instid0(VALU_DEP_2)
	v_and_b32_e32 v8, 31, v2
	v_lshrrev_b32_e32 v9, 3, v2
	v_mov_b32_e32 v3, v1
	v_lshrrev_b32_e32 v2, 5, v2
	v_lshlrev_b32_e32 v14, 3, v0
	v_add_nc_u32_e32 v6, s8, v8
	v_add_nc_u32_e32 v12, s9, v9
	s_mul_i32 s2, s22, s15
	s_add_i32 s3, s4, s3
	s_mul_hi_u32 s5, s28, s15
	v_ashrrev_i32_e32 v7, 31, v6
	v_ashrrev_i32_e32 v15, 31, v12
	v_mad_u64_u32 v[4:5], null, s20, v6, v[2:3]
	v_mul_lo_u32 v3, s21, v6
	s_delay_alu instid0(VALU_DEP_4)
	v_mul_lo_u32 v16, s20, v7
	v_mul_lo_u32 v17, v12, s27
	v_mad_u64_u32 v[6:7], null, v12, s26, v[0:1]
	v_mul_lo_u32 v12, v15, s26
	v_lshlrev_b32_e32 v0, 3, v8
	s_lshl_b64 s[2:3], s[2:3], 3
	v_lshl_or_b32 v8, v9, 6, v14
	v_add3_u32 v5, v3, v5, v16
	s_add_u32 s4, s18, s2
	v_lshl_or_b32 v0, v2, 8, v0
	s_mul_i32 s2, s29, s15
	v_add3_u32 v7, v12, v7, v17
	v_lshlrev_b64 v[2:3], 3, v[4:5]
	s_addc_u32 s6, s19, s3
	s_add_i32 s3, s5, s2
	s_mul_i32 s2, s28, s15
	v_lshlrev_b64 v[4:5], 3, v[6:7]
	s_lshl_b64 s[2:3], s[2:3], 3
	v_add_co_u32 v2, vcc_lo, s4, v2
	s_add_u32 s2, s24, s2
	v_add_co_ci_u32_e32 v3, vcc_lo, s6, v3, vcc_lo
	s_addc_u32 s3, s25, s3
	v_add_co_u32 v4, vcc_lo, s2, v4
	v_add_co_ci_u32_e32 v5, vcc_lo, s3, v5, vcc_lo
	v_add_co_u32 v6, vcc_lo, v2, 4
	v_add_co_ci_u32_e32 v7, vcc_lo, 0, v3, vcc_lo
	v_dual_mov_b32 v12, v1 :: v_dual_add_nc_u32 v15, 0x800, v8
	v_add_co_u32 v8, vcc_lo, v4, 4
	v_dual_mov_b32 v2, v1 :: v_dual_lshlrev_b32 v13, 3, v10
	v_lshl_add_u32 v17, v11, 6, 0x800
	v_add_co_ci_u32_e32 v9, vcc_lo, 0, v5, vcc_lo
	v_mov_b32_e32 v3, v1
	v_mov_b32_e32 v14, v1
	;; [unrolled: 1-line block ×5, first 2 shown]
	s_mov_b64 s[2:3], 0
.LBB1249_2:                             ; =>This Inner Loop Header: Depth=1
	global_load_b64 v[18:19], v[6:7], off offset:-4
	global_load_b64 v[20:21], v[8:9], off offset:-4
	s_add_u32 s2, s2, 8
	v_add_co_u32 v6, vcc_lo, v6, 64
	s_addc_u32 s3, s3, 0
	v_add_co_ci_u32_e32 v7, vcc_lo, 0, v7, vcc_lo
	v_cmp_ge_u64_e64 s4, s[2:3], s[16:17]
	v_add_co_u32 v8, vcc_lo, v8, 64
	v_add_co_ci_u32_e32 v9, vcc_lo, 0, v9, vcc_lo
	s_waitcnt vmcnt(1)
	ds_store_b64 v0, v[18:19]
	s_waitcnt vmcnt(0)
	ds_store_b64 v15, v[20:21]
	s_waitcnt lgkmcnt(0)
	s_barrier
	buffer_gl0_inv
	ds_load_2addr_b64 v[18:21], v13 offset1:16
	ds_load_b128 v[22:25], v17
	ds_load_b128 v[26:29], v17 offset:1024
	ds_load_2addr_b64 v[30:33], v13 offset0:32 offset1:48
	ds_load_b128 v[34:37], v17 offset:16
	ds_load_b128 v[38:41], v17 offset:32
	;; [unrolled: 1-line block ×3, first 2 shown]
	ds_load_2addr_b64 v[46:49], v13 offset0:64 offset1:80
	ds_load_b128 v[50:53], v17 offset:1040
	ds_load_2addr_b64 v[54:57], v13 offset0:96 offset1:112
	ds_load_2addr_b64 v[58:61], v13 offset0:128 offset1:144
	;; [unrolled: 1-line block ×4, first 2 shown]
	ds_load_b128 v[70:73], v17 offset:1056
	ds_load_b128 v[74:77], v17 offset:1072
	s_and_b32 vcc_lo, exec_lo, s4
	s_waitcnt lgkmcnt(13)
	v_dual_mul_f32 v78, v23, v19 :: v_dual_mul_f32 v81, v22, v21
	s_waitcnt lgkmcnt(11)
	v_dual_mul_f32 v83, v26, v19 :: v_dual_mul_f32 v86, v25, v33
	v_mul_f32_e32 v84, v26, v21
	v_dual_mul_f32 v79, v22, v19 :: v_dual_mul_f32 v80, v23, v21
	v_mul_f32_e32 v82, v27, v19
	v_mul_f32_e32 v19, v27, v21
	;; [unrolled: 1-line block ×3, first 2 shown]
	v_dual_mul_f32 v85, v24, v31 :: v_dual_fmac_f32 v84, v27, v20
	v_fmac_f32_e32 v83, v27, v18
	v_mul_f32_e32 v27, v24, v33
	v_fma_f32 v78, v22, v18, -v78
	v_fmac_f32_e32 v79, v23, v18
	v_fmac_f32_e32 v81, v23, v20
	v_fma_f32 v23, v26, v18, -v82
	v_mul_f32_e32 v18, v29, v31
	v_fma_f32 v26, v26, v20, -v19
	v_mul_f32_e32 v31, v28, v31
	v_mul_f32_e32 v19, v29, v33
	v_fmac_f32_e32 v85, v25, v30
	v_fmac_f32_e32 v27, v25, v32
	v_mul_f32_e32 v25, v28, v33
	v_fma_f32 v22, v22, v20, -v80
	v_fma_f32 v80, v24, v30, -v21
	v_fma_f32 v24, v24, v32, -v86
	s_waitcnt lgkmcnt(7)
	v_mul_f32_e32 v20, v35, v47
	v_mul_f32_e32 v33, v34, v47
	;; [unrolled: 1-line block ×3, first 2 shown]
	v_fma_f32 v82, v28, v30, -v18
	v_fmac_f32_e32 v31, v29, v30
	v_fma_f32 v28, v28, v32, -v19
	v_fmac_f32_e32 v25, v29, v32
	s_waitcnt lgkmcnt(6)
	v_dual_mul_f32 v29, v34, v49 :: v_dual_mul_f32 v18, v51, v47
	v_dual_mul_f32 v30, v50, v47 :: v_dual_mul_f32 v19, v51, v49
	s_waitcnt lgkmcnt(5)
	v_dual_mul_f32 v32, v50, v49 :: v_dual_mul_f32 v49, v36, v55
	v_fma_f32 v87, v34, v46, -v20
	v_fmac_f32_e32 v33, v35, v46
	v_fmac_f32_e32 v29, v35, v48
	v_fma_f32 v35, v50, v46, -v18
	v_fmac_f32_e32 v30, v51, v46
	v_fma_f32 v46, v50, v48, -v19
	v_fmac_f32_e32 v32, v51, v48
	v_mul_f32_e32 v18, v53, v55
	v_fma_f32 v34, v34, v48, -v21
	v_dual_mul_f32 v48, v36, v57 :: v_dual_mul_f32 v47, v37, v55
	v_mul_f32_e32 v86, v37, v57
	v_dual_mul_f32 v50, v52, v55 :: v_dual_mul_f32 v19, v53, v57
	v_fmac_f32_e32 v49, v37, v54
	s_delay_alu instid0(VALU_DEP_4)
	v_dual_fmac_f32 v48, v37, v56 :: v_dual_mul_f32 v37, v52, v57
	v_fma_f32 v47, v36, v54, -v47
	v_fma_f32 v36, v36, v56, -v86
	s_waitcnt lgkmcnt(4)
	v_mul_f32_e32 v20, v39, v59
	v_mul_f32_e32 v51, v38, v59
	;; [unrolled: 1-line block ×3, first 2 shown]
	v_fma_f32 v55, v52, v54, -v18
	v_fmac_f32_e32 v50, v53, v54
	v_fmac_f32_e32 v37, v53, v56
	s_waitcnt lgkmcnt(1)
	v_dual_mul_f32 v53, v38, v61 :: v_dual_mul_f32 v18, v71, v59
	v_fma_f32 v52, v52, v56, -v19
	v_dual_mul_f32 v54, v70, v59 :: v_dual_mul_f32 v19, v71, v61
	v_dual_mul_f32 v56, v70, v61 :: v_dual_mul_f32 v59, v40, v63
	v_fma_f32 v86, v38, v58, -v20
	v_fmac_f32_e32 v51, v39, v58
	v_fma_f32 v38, v38, v60, -v21
	v_dual_fmac_f32 v53, v39, v60 :: v_dual_add_f32 v4, v4, v22
	v_fma_f32 v39, v70, v58, -v18
	v_fmac_f32_e32 v54, v71, v58
	v_fma_f32 v58, v70, v60, -v19
	v_fmac_f32_e32 v56, v71, v60
	v_dual_mul_f32 v60, v40, v65 :: v_dual_mul_f32 v57, v41, v63
	v_dual_mul_f32 v61, v41, v65 :: v_dual_add_f32 v16, v16, v79
	v_mul_f32_e32 v18, v73, v63
	v_dual_mul_f32 v63, v72, v63 :: v_dual_add_f32 v14, v14, v81
	v_dual_mul_f32 v19, v73, v65 :: v_dual_add_f32 v12, v12, v83
	s_delay_alu instid0(VALU_DEP_4)
	v_dual_fmac_f32 v59, v41, v62 :: v_dual_add_f32 v16, v16, v85
	v_dual_fmac_f32 v60, v41, v64 :: v_dual_mul_f32 v41, v72, v65
	v_add_f32_e32 v2, v2, v26
	v_fma_f32 v57, v40, v62, -v57
	v_fma_f32 v40, v40, v64, -v61
	v_mul_f32_e32 v20, v43, v67
	v_dual_mul_f32 v61, v42, v67 :: v_dual_add_f32 v4, v4, v24
	v_dual_mul_f32 v21, v43, v69 :: v_dual_add_f32 v14, v14, v27
	v_fma_f32 v65, v72, v62, -v18
	v_dual_fmac_f32 v63, v73, v62 :: v_dual_add_f32 v12, v12, v31
	v_fma_f32 v62, v72, v64, -v19
	v_dual_fmac_f32 v41, v73, v64 :: v_dual_add_f32 v16, v16, v33
	v_mul_f32_e32 v64, v42, v69
	s_waitcnt lgkmcnt(0)
	v_mul_f32_e32 v18, v75, v67
	v_dual_mul_f32 v67, v74, v67 :: v_dual_add_f32 v4, v4, v34
	v_dual_mul_f32 v19, v75, v69 :: v_dual_add_f32 v2, v2, v28
	v_fma_f32 v70, v42, v66, -v20
	v_dual_fmac_f32 v61, v43, v66 :: v_dual_add_f32 v14, v14, v29
	v_fma_f32 v42, v42, v68, -v21
	v_fmac_f32_e32 v64, v43, v68
	v_fma_f32 v43, v74, v66, -v18
	v_dual_fmac_f32 v67, v75, v66 :: v_dual_add_f32 v16, v16, v49
	v_fma_f32 v66, v74, v68, -v19
	ds_load_2addr_b64 v[18:21], v13 offset0:224 offset1:240
	v_dual_mul_f32 v69, v74, v69 :: v_dual_add_f32 v12, v12, v30
	v_add_f32_e32 v2, v2, v46
	v_add_f32_e32 v14, v14, v48
	;; [unrolled: 1-line block ×3, first 2 shown]
	s_delay_alu instid0(VALU_DEP_4) | instskip(NEXT) | instid1(VALU_DEP_4)
	v_dual_fmac_f32 v69, v75, v68 :: v_dual_add_f32 v12, v12, v50
	v_dual_add_f32 v3, v3, v23 :: v_dual_add_f32 v2, v2, v52
	s_delay_alu instid0(VALU_DEP_3) | instskip(SKIP_1) | instid1(VALU_DEP_4)
	v_add_f32_e32 v4, v4, v38
	v_add_f32_e32 v14, v14, v53
	v_dual_add_f32 v12, v12, v54 :: v_dual_add_f32 v1, v1, v84
	s_delay_alu instid0(VALU_DEP_3) | instskip(SKIP_1) | instid1(VALU_DEP_3)
	v_dual_add_f32 v3, v3, v82 :: v_dual_add_f32 v4, v4, v40
	v_add_f32_e32 v2, v2, v58
	v_dual_add_f32 v12, v12, v63 :: v_dual_add_f32 v1, v1, v25
	v_add_f32_e32 v14, v14, v60
	s_waitcnt lgkmcnt(0)
	v_mul_f32_e32 v68, v45, v19
	v_dual_mul_f32 v72, v45, v21 :: v_dual_mul_f32 v71, v44, v19
	v_dual_add_f32 v3, v3, v35 :: v_dual_add_f32 v4, v4, v42
	s_delay_alu instid0(VALU_DEP_3) | instskip(NEXT) | instid1(VALU_DEP_3)
	v_fma_f32 v68, v44, v18, -v68
	v_fma_f32 v72, v44, v20, -v72
	s_delay_alu instid0(VALU_DEP_4) | instskip(SKIP_1) | instid1(VALU_DEP_2)
	v_dual_mul_f32 v44, v44, v21 :: v_dual_fmac_f32 v71, v45, v18
	v_dual_mul_f32 v73, v77, v21 :: v_dual_add_f32 v16, v16, v51
	v_dual_mul_f32 v21, v76, v21 :: v_dual_fmac_f32 v44, v45, v20
	v_mul_f32_e32 v45, v77, v19
	v_mul_f32_e32 v19, v76, v19
	s_delay_alu instid0(VALU_DEP_4) | instskip(NEXT) | instid1(VALU_DEP_4)
	v_dual_add_f32 v5, v5, v78 :: v_dual_add_f32 v16, v16, v59
	v_fmac_f32_e32 v21, v77, v20
	v_dual_add_f32 v1, v1, v32 :: v_dual_add_f32 v12, v12, v67
	s_delay_alu instid0(VALU_DEP_4) | instskip(NEXT) | instid1(VALU_DEP_4)
	v_fmac_f32_e32 v19, v77, v18
	v_dual_add_f32 v5, v5, v80 :: v_dual_add_f32 v2, v2, v62
	v_dual_add_f32 v3, v3, v55 :: v_dual_add_f32 v16, v16, v61
	s_delay_alu instid0(VALU_DEP_4) | instskip(NEXT) | instid1(VALU_DEP_3)
	v_add_f32_e32 v1, v1, v37
	v_dual_add_f32 v5, v5, v87 :: v_dual_add_f32 v14, v14, v64
	s_delay_alu instid0(VALU_DEP_3) | instskip(NEXT) | instid1(VALU_DEP_4)
	v_dual_add_f32 v2, v2, v66 :: v_dual_add_f32 v3, v3, v39
	v_add_f32_e32 v16, v16, v71
	s_delay_alu instid0(VALU_DEP_3) | instskip(SKIP_3) | instid1(VALU_DEP_4)
	v_add_f32_e32 v5, v5, v47
	v_dual_add_f32 v1, v1, v56 :: v_dual_add_f32 v12, v12, v19
	v_fma_f32 v45, v76, v18, -v45
	v_fma_f32 v18, v76, v20, -v73
	v_dual_add_f32 v5, v5, v86 :: v_dual_add_f32 v4, v4, v72
	s_delay_alu instid0(VALU_DEP_4) | instskip(SKIP_1) | instid1(VALU_DEP_3)
	v_dual_add_f32 v1, v1, v41 :: v_dual_add_f32 v14, v14, v44
	v_add_f32_e32 v3, v3, v65
	v_dual_add_f32 v5, v5, v57 :: v_dual_add_f32 v2, v2, v18
	s_delay_alu instid0(VALU_DEP_3) | instskip(NEXT) | instid1(VALU_DEP_3)
	v_add_f32_e32 v1, v1, v69
	v_add_f32_e32 v3, v3, v43
	s_delay_alu instid0(VALU_DEP_3) | instskip(SKIP_1) | instid1(VALU_DEP_3)
	v_add_f32_e32 v5, v5, v70
	s_barrier
	v_add_f32_e32 v1, v1, v21
	buffer_gl0_inv
	v_add_f32_e32 v3, v3, v45
	v_add_f32_e32 v5, v5, v68
	s_cbranch_vccz .LBB1249_2
.LBB1249_3:
	s_clause 0x1
	s_load_b128 s[4:7], s[0:1], 0x48
	s_load_b32 s2, s[0:1], 0x0
	v_add_nc_u32_e32 v0, s9, v11
	v_add_nc_u32_e32 v7, s8, v10
	s_delay_alu instid0(VALU_DEP_2) | instskip(NEXT) | instid1(VALU_DEP_2)
	v_ashrrev_i32_e32 v6, 31, v0
	v_cmp_le_i32_e64 s0, v7, v0
	s_waitcnt lgkmcnt(0)
	s_delay_alu instid0(VALU_DEP_2)
	v_mul_lo_u32 v6, v6, s4
	v_mul_lo_u32 v11, v0, s5
	v_mad_u64_u32 v[8:9], null, v0, s4, 0
	s_mul_i32 s1, s15, s7
	s_mul_hi_u32 s3, s15, s6
	s_mul_i32 s6, s15, s6
	s_add_i32 s7, s3, s1
	v_cmp_gt_i32_e32 vcc_lo, s2, v0
	s_lshl_b64 s[6:7], s[6:7], 3
	s_delay_alu instid0(VALU_DEP_2) | instskip(SKIP_3) | instid1(VALU_DEP_1)
	v_add3_u32 v9, v9, v11, v6
	s_add_u32 s3, s30, s6
	s_addc_u32 s6, s31, s7
	s_and_b32 s0, vcc_lo, s0
	v_lshlrev_b64 v[8:9], 3, v[8:9]
	s_delay_alu instid0(VALU_DEP_1) | instskip(NEXT) | instid1(VALU_DEP_1)
	v_add_co_u32 v11, s1, s3, v8
	v_add_co_ci_u32_e64 v13, s1, s6, v9, s1
	s_and_saveexec_b32 s1, s0
	s_cbranch_execz .LBB1249_5
; %bb.4:
	v_ashrrev_i32_e32 v8, 31, v7
	s_delay_alu instid0(VALU_DEP_1) | instskip(NEXT) | instid1(VALU_DEP_1)
	v_lshlrev_b64 v[8:9], 3, v[7:8]
	v_add_co_u32 v8, s0, v11, v8
	s_delay_alu instid0(VALU_DEP_1) | instskip(SKIP_1) | instid1(VALU_DEP_1)
	v_add_co_ci_u32_e64 v9, s0, v13, v9, s0
	v_cmp_ne_u32_e64 s0, v0, v7
	v_cndmask_b32_e64 v6, 0, v16, s0
	global_store_b64 v[8:9], v[5:6], off
.LBB1249_5:
	s_or_b32 exec_lo, exec_lo, s1
	v_add_nc_u32_e32 v9, 16, v7
	s_delay_alu instid0(VALU_DEP_1) | instskip(NEXT) | instid1(VALU_DEP_1)
	v_cmp_le_i32_e64 s0, v9, v0
	s_and_b32 s1, vcc_lo, s0
	s_delay_alu instid0(SALU_CYCLE_1)
	s_and_saveexec_b32 s0, s1
	s_cbranch_execz .LBB1249_7
; %bb.6:
	v_ashrrev_i32_e32 v10, 31, v9
	s_delay_alu instid0(VALU_DEP_1) | instskip(NEXT) | instid1(VALU_DEP_1)
	v_lshlrev_b64 v[5:6], 3, v[9:10]
	v_add_co_u32 v10, vcc_lo, v11, v5
	s_delay_alu instid0(VALU_DEP_2)
	v_add_co_ci_u32_e32 v11, vcc_lo, v13, v6, vcc_lo
	v_cmp_ne_u32_e32 vcc_lo, v0, v9
	v_cndmask_b32_e32 v5, 0, v14, vcc_lo
	global_store_b64 v[10:11], v[4:5], off
.LBB1249_7:
	s_or_b32 exec_lo, exec_lo, s0
	v_add_nc_u32_e32 v5, 16, v0
	s_delay_alu instid0(VALU_DEP_1) | instskip(SKIP_3) | instid1(VALU_DEP_4)
	v_ashrrev_i32_e32 v4, 31, v5
	v_mul_lo_u32 v6, v5, s5
	v_mad_u64_u32 v[10:11], null, v5, s4, 0
	v_cmp_gt_i32_e32 vcc_lo, s2, v5
	v_mul_lo_u32 v4, v4, s4
	v_cmp_le_i32_e64 s0, v7, v5
	s_delay_alu instid0(VALU_DEP_1) | instskip(NEXT) | instid1(VALU_DEP_2)
	s_and_b32 s0, vcc_lo, s0
	v_add3_u32 v11, v11, v6, v4
	s_delay_alu instid0(VALU_DEP_1) | instskip(NEXT) | instid1(VALU_DEP_1)
	v_lshlrev_b64 v[10:11], 3, v[10:11]
	v_add_co_u32 v6, s1, s3, v10
	s_delay_alu instid0(VALU_DEP_1)
	v_add_co_ci_u32_e64 v11, s1, s6, v11, s1
	s_and_saveexec_b32 s1, s0
	s_cbranch_execz .LBB1249_9
; %bb.8:
	v_ashrrev_i32_e32 v8, 31, v7
	s_delay_alu instid0(VALU_DEP_1) | instskip(NEXT) | instid1(VALU_DEP_1)
	v_lshlrev_b64 v[13:14], 3, v[7:8]
	v_add_co_u32 v13, s0, v6, v13
	s_delay_alu instid0(VALU_DEP_1) | instskip(SKIP_1) | instid1(VALU_DEP_1)
	v_add_co_ci_u32_e64 v14, s0, v11, v14, s0
	v_cmp_ne_u32_e64 s0, v5, v7
	v_cndmask_b32_e64 v4, 0, v12, s0
	global_store_b64 v[13:14], v[3:4], off
.LBB1249_9:
	s_or_b32 exec_lo, exec_lo, s1
	v_cmp_le_i32_e64 s0, v9, v5
	s_delay_alu instid0(VALU_DEP_1) | instskip(NEXT) | instid1(SALU_CYCLE_1)
	s_and_b32 s0, vcc_lo, s0
	s_and_saveexec_b32 s1, s0
	s_cbranch_execz .LBB1249_11
; %bb.10:
	v_ashrrev_i32_e32 v10, 31, v9
	s_delay_alu instid0(VALU_DEP_1) | instskip(NEXT) | instid1(VALU_DEP_1)
	v_lshlrev_b64 v[3:4], 3, v[9:10]
	v_add_co_u32 v5, vcc_lo, v6, v3
	s_delay_alu instid0(VALU_DEP_2)
	v_add_co_ci_u32_e32 v6, vcc_lo, v11, v4, vcc_lo
	v_cmp_ne_u32_e32 vcc_lo, v0, v7
	v_cndmask_b32_e32 v3, 0, v1, vcc_lo
	global_store_b64 v[5:6], v[2:3], off
.LBB1249_11:
	s_nop 0
	s_sendmsg sendmsg(MSG_DEALLOC_VGPRS)
	s_endpgm
	.section	.rodata,"a",@progbits
	.p2align	6, 0x0
	.amdhsa_kernel _ZL37rocblas_syrkx_herkx_restricted_kernelIl19rocblas_complex_numIfELi16ELi32ELi8ELi1ELi0ELb1ELc84ELc85EKS1_S1_EviT_PT9_S3_lS5_S3_lPT10_S3_li
		.amdhsa_group_segment_fixed_size 4096
		.amdhsa_private_segment_fixed_size 0
		.amdhsa_kernarg_size 92
		.amdhsa_user_sgpr_count 13
		.amdhsa_user_sgpr_dispatch_ptr 0
		.amdhsa_user_sgpr_queue_ptr 0
		.amdhsa_user_sgpr_kernarg_segment_ptr 1
		.amdhsa_user_sgpr_dispatch_id 0
		.amdhsa_user_sgpr_private_segment_size 0
		.amdhsa_wavefront_size32 1
		.amdhsa_uses_dynamic_stack 0
		.amdhsa_enable_private_segment 0
		.amdhsa_system_sgpr_workgroup_id_x 1
		.amdhsa_system_sgpr_workgroup_id_y 1
		.amdhsa_system_sgpr_workgroup_id_z 1
		.amdhsa_system_sgpr_workgroup_info 0
		.amdhsa_system_vgpr_workitem_id 1
		.amdhsa_next_free_vgpr 88
		.amdhsa_next_free_sgpr 32
		.amdhsa_reserve_vcc 1
		.amdhsa_float_round_mode_32 0
		.amdhsa_float_round_mode_16_64 0
		.amdhsa_float_denorm_mode_32 3
		.amdhsa_float_denorm_mode_16_64 3
		.amdhsa_dx10_clamp 1
		.amdhsa_ieee_mode 1
		.amdhsa_fp16_overflow 0
		.amdhsa_workgroup_processor_mode 1
		.amdhsa_memory_ordered 1
		.amdhsa_forward_progress 0
		.amdhsa_shared_vgpr_count 0
		.amdhsa_exception_fp_ieee_invalid_op 0
		.amdhsa_exception_fp_denorm_src 0
		.amdhsa_exception_fp_ieee_div_zero 0
		.amdhsa_exception_fp_ieee_overflow 0
		.amdhsa_exception_fp_ieee_underflow 0
		.amdhsa_exception_fp_ieee_inexact 0
		.amdhsa_exception_int_div_zero 0
	.end_amdhsa_kernel
	.section	.text._ZL37rocblas_syrkx_herkx_restricted_kernelIl19rocblas_complex_numIfELi16ELi32ELi8ELi1ELi0ELb1ELc84ELc85EKS1_S1_EviT_PT9_S3_lS5_S3_lPT10_S3_li,"axG",@progbits,_ZL37rocblas_syrkx_herkx_restricted_kernelIl19rocblas_complex_numIfELi16ELi32ELi8ELi1ELi0ELb1ELc84ELc85EKS1_S1_EviT_PT9_S3_lS5_S3_lPT10_S3_li,comdat
.Lfunc_end1249:
	.size	_ZL37rocblas_syrkx_herkx_restricted_kernelIl19rocblas_complex_numIfELi16ELi32ELi8ELi1ELi0ELb1ELc84ELc85EKS1_S1_EviT_PT9_S3_lS5_S3_lPT10_S3_li, .Lfunc_end1249-_ZL37rocblas_syrkx_herkx_restricted_kernelIl19rocblas_complex_numIfELi16ELi32ELi8ELi1ELi0ELb1ELc84ELc85EKS1_S1_EviT_PT9_S3_lS5_S3_lPT10_S3_li
                                        ; -- End function
	.section	.AMDGPU.csdata,"",@progbits
; Kernel info:
; codeLenInByte = 2204
; NumSgprs: 34
; NumVgprs: 88
; ScratchSize: 0
; MemoryBound: 0
; FloatMode: 240
; IeeeMode: 1
; LDSByteSize: 4096 bytes/workgroup (compile time only)
; SGPRBlocks: 4
; VGPRBlocks: 10
; NumSGPRsForWavesPerEU: 34
; NumVGPRsForWavesPerEU: 88
; Occupancy: 16
; WaveLimiterHint : 1
; COMPUTE_PGM_RSRC2:SCRATCH_EN: 0
; COMPUTE_PGM_RSRC2:USER_SGPR: 13
; COMPUTE_PGM_RSRC2:TRAP_HANDLER: 0
; COMPUTE_PGM_RSRC2:TGID_X_EN: 1
; COMPUTE_PGM_RSRC2:TGID_Y_EN: 1
; COMPUTE_PGM_RSRC2:TGID_Z_EN: 1
; COMPUTE_PGM_RSRC2:TIDIG_COMP_CNT: 1
	.section	.text._ZL37rocblas_syrkx_herkx_restricted_kernelIl19rocblas_complex_numIfELi16ELi32ELi8ELi1ELi0ELb1ELc67ELc85EKS1_S1_EviT_PT9_S3_lS5_S3_lPT10_S3_li,"axG",@progbits,_ZL37rocblas_syrkx_herkx_restricted_kernelIl19rocblas_complex_numIfELi16ELi32ELi8ELi1ELi0ELb1ELc67ELc85EKS1_S1_EviT_PT9_S3_lS5_S3_lPT10_S3_li,comdat
	.globl	_ZL37rocblas_syrkx_herkx_restricted_kernelIl19rocblas_complex_numIfELi16ELi32ELi8ELi1ELi0ELb1ELc67ELc85EKS1_S1_EviT_PT9_S3_lS5_S3_lPT10_S3_li ; -- Begin function _ZL37rocblas_syrkx_herkx_restricted_kernelIl19rocblas_complex_numIfELi16ELi32ELi8ELi1ELi0ELb1ELc67ELc85EKS1_S1_EviT_PT9_S3_lS5_S3_lPT10_S3_li
	.p2align	8
	.type	_ZL37rocblas_syrkx_herkx_restricted_kernelIl19rocblas_complex_numIfELi16ELi32ELi8ELi1ELi0ELb1ELc67ELc85EKS1_S1_EviT_PT9_S3_lS5_S3_lPT10_S3_li,@function
_ZL37rocblas_syrkx_herkx_restricted_kernelIl19rocblas_complex_numIfELi16ELi32ELi8ELi1ELi0ELb1ELc67ELc85EKS1_S1_EviT_PT9_S3_lS5_S3_lPT10_S3_li: ; @_ZL37rocblas_syrkx_herkx_restricted_kernelIl19rocblas_complex_numIfELi16ELi32ELi8ELi1ELi0ELb1ELc67ELc85EKS1_S1_EviT_PT9_S3_lS5_S3_lPT10_S3_li
; %bb.0:
	s_load_b512 s[16:31], s[0:1], 0x8
	v_dual_mov_b32 v5, 0 :: v_dual_mov_b32 v16, 0
	v_dual_mov_b32 v4, 0 :: v_dual_mov_b32 v3, 0
	;; [unrolled: 1-line block ×3, first 2 shown]
	v_mov_b32_e32 v12, 0
	v_mov_b32_e32 v2, 0
	v_and_b32_e32 v10, 0x3ff, v0
	v_bfe_u32 v11, v0, 10, 10
	s_lshl_b32 s8, s13, 5
	s_lshl_b32 s9, s14, 5
	s_waitcnt lgkmcnt(0)
	v_cmp_lt_i64_e64 s2, s[16:17], 1
	s_delay_alu instid0(VALU_DEP_1)
	s_and_b32 vcc_lo, exec_lo, s2
	s_cbranch_vccnz .LBB1250_3
; %bb.1:
	v_lshl_add_u32 v2, v11, 4, v10
	v_dual_mov_b32 v1, 0 :: v_dual_and_b32 v0, 7, v10
	s_mul_i32 s3, s23, s15
	s_mul_hi_u32 s4, s22, s15
	s_delay_alu instid0(VALU_DEP_2)
	v_and_b32_e32 v8, 31, v2
	v_lshrrev_b32_e32 v9, 3, v2
	v_mov_b32_e32 v3, v1
	v_lshrrev_b32_e32 v2, 5, v2
	v_lshlrev_b32_e32 v14, 3, v0
	v_add_nc_u32_e32 v6, s8, v8
	v_add_nc_u32_e32 v12, s9, v9
	s_mul_i32 s2, s22, s15
	s_add_i32 s3, s4, s3
	s_mul_hi_u32 s5, s28, s15
	v_ashrrev_i32_e32 v7, 31, v6
	v_ashrrev_i32_e32 v15, 31, v12
	v_mad_u64_u32 v[4:5], null, s20, v6, v[2:3]
	v_mul_lo_u32 v3, s21, v6
	s_delay_alu instid0(VALU_DEP_4)
	v_mul_lo_u32 v16, s20, v7
	v_mul_lo_u32 v17, v12, s27
	v_mad_u64_u32 v[6:7], null, v12, s26, v[0:1]
	v_mul_lo_u32 v12, v15, s26
	v_lshlrev_b32_e32 v0, 3, v8
	s_lshl_b64 s[2:3], s[2:3], 3
	v_lshl_or_b32 v8, v9, 6, v14
	v_add3_u32 v5, v3, v5, v16
	s_add_u32 s4, s18, s2
	v_lshl_or_b32 v0, v2, 8, v0
	s_mul_i32 s2, s29, s15
	v_add3_u32 v7, v12, v7, v17
	v_lshlrev_b64 v[2:3], 3, v[4:5]
	s_addc_u32 s6, s19, s3
	s_add_i32 s3, s5, s2
	s_mul_i32 s2, s28, s15
	v_lshlrev_b64 v[4:5], 3, v[6:7]
	s_lshl_b64 s[2:3], s[2:3], 3
	v_add_co_u32 v2, vcc_lo, s4, v2
	s_add_u32 s2, s24, s2
	v_add_co_ci_u32_e32 v3, vcc_lo, s6, v3, vcc_lo
	s_addc_u32 s3, s25, s3
	v_add_co_u32 v4, vcc_lo, s2, v4
	v_add_co_ci_u32_e32 v5, vcc_lo, s3, v5, vcc_lo
	v_add_co_u32 v6, vcc_lo, v2, 4
	v_add_co_ci_u32_e32 v7, vcc_lo, 0, v3, vcc_lo
	v_dual_mov_b32 v12, v1 :: v_dual_add_nc_u32 v15, 0x800, v8
	v_add_co_u32 v8, vcc_lo, v4, 4
	v_dual_mov_b32 v2, v1 :: v_dual_lshlrev_b32 v13, 3, v10
	v_lshl_add_u32 v17, v11, 6, 0x800
	v_add_co_ci_u32_e32 v9, vcc_lo, 0, v5, vcc_lo
	v_mov_b32_e32 v3, v1
	v_mov_b32_e32 v14, v1
	;; [unrolled: 1-line block ×5, first 2 shown]
	s_mov_b64 s[2:3], 0
.LBB1250_2:                             ; =>This Inner Loop Header: Depth=1
	global_load_b64 v[18:19], v[6:7], off offset:-4
	global_load_b64 v[20:21], v[8:9], off offset:-4
	s_add_u32 s2, s2, 8
	v_add_co_u32 v6, vcc_lo, v6, 64
	s_addc_u32 s3, s3, 0
	v_add_co_ci_u32_e32 v7, vcc_lo, 0, v7, vcc_lo
	v_cmp_ge_u64_e64 s4, s[2:3], s[16:17]
	v_add_co_u32 v8, vcc_lo, v8, 64
	v_add_co_ci_u32_e32 v9, vcc_lo, 0, v9, vcc_lo
	s_delay_alu instid0(VALU_DEP_3)
	s_and_b32 vcc_lo, exec_lo, s4
	s_waitcnt vmcnt(1)
	v_xor_b32_e32 v19, 0x80000000, v19
	ds_store_b64 v0, v[18:19]
	s_waitcnt vmcnt(0)
	ds_store_b64 v15, v[20:21]
	s_waitcnt lgkmcnt(0)
	s_barrier
	buffer_gl0_inv
	ds_load_2addr_b64 v[18:21], v13 offset1:16
	ds_load_b128 v[22:25], v17
	ds_load_b128 v[26:29], v17 offset:1024
	ds_load_2addr_b64 v[30:33], v13 offset0:32 offset1:48
	ds_load_b128 v[34:37], v17 offset:16
	ds_load_b128 v[38:41], v17 offset:32
	;; [unrolled: 1-line block ×3, first 2 shown]
	ds_load_2addr_b64 v[46:49], v13 offset0:64 offset1:80
	ds_load_b128 v[50:53], v17 offset:1040
	ds_load_2addr_b64 v[54:57], v13 offset0:96 offset1:112
	ds_load_2addr_b64 v[58:61], v13 offset0:128 offset1:144
	ds_load_2addr_b64 v[62:65], v13 offset0:160 offset1:176
	ds_load_2addr_b64 v[66:69], v13 offset0:192 offset1:208
	ds_load_b128 v[70:73], v17 offset:1056
	ds_load_b128 v[74:77], v17 offset:1072
	s_waitcnt lgkmcnt(13)
	v_dual_mul_f32 v78, v23, v19 :: v_dual_mul_f32 v81, v22, v21
	s_waitcnt lgkmcnt(11)
	v_dual_mul_f32 v83, v26, v19 :: v_dual_mul_f32 v86, v25, v33
	v_mul_f32_e32 v84, v26, v21
	v_dual_mul_f32 v79, v22, v19 :: v_dual_mul_f32 v80, v23, v21
	v_mul_f32_e32 v82, v27, v19
	v_mul_f32_e32 v19, v27, v21
	;; [unrolled: 1-line block ×3, first 2 shown]
	v_dual_mul_f32 v85, v24, v31 :: v_dual_fmac_f32 v84, v27, v20
	v_fmac_f32_e32 v83, v27, v18
	v_mul_f32_e32 v27, v24, v33
	v_fma_f32 v78, v22, v18, -v78
	v_fmac_f32_e32 v79, v23, v18
	v_fmac_f32_e32 v81, v23, v20
	v_fma_f32 v23, v26, v18, -v82
	v_mul_f32_e32 v18, v29, v31
	v_fma_f32 v26, v26, v20, -v19
	v_mul_f32_e32 v31, v28, v31
	v_mul_f32_e32 v19, v29, v33
	v_fmac_f32_e32 v85, v25, v30
	v_fmac_f32_e32 v27, v25, v32
	v_mul_f32_e32 v25, v28, v33
	v_fma_f32 v22, v22, v20, -v80
	v_fma_f32 v80, v24, v30, -v21
	v_fma_f32 v24, v24, v32, -v86
	s_waitcnt lgkmcnt(7)
	v_mul_f32_e32 v20, v35, v47
	v_mul_f32_e32 v33, v34, v47
	;; [unrolled: 1-line block ×3, first 2 shown]
	v_fma_f32 v82, v28, v30, -v18
	v_fmac_f32_e32 v31, v29, v30
	v_fma_f32 v28, v28, v32, -v19
	v_fmac_f32_e32 v25, v29, v32
	s_waitcnt lgkmcnt(6)
	v_dual_mul_f32 v29, v34, v49 :: v_dual_mul_f32 v18, v51, v47
	v_dual_mul_f32 v30, v50, v47 :: v_dual_mul_f32 v19, v51, v49
	s_waitcnt lgkmcnt(5)
	v_dual_mul_f32 v32, v50, v49 :: v_dual_mul_f32 v49, v36, v55
	v_fma_f32 v87, v34, v46, -v20
	v_fmac_f32_e32 v33, v35, v46
	v_fmac_f32_e32 v29, v35, v48
	v_fma_f32 v35, v50, v46, -v18
	v_fmac_f32_e32 v30, v51, v46
	v_fma_f32 v46, v50, v48, -v19
	v_fmac_f32_e32 v32, v51, v48
	v_mul_f32_e32 v18, v53, v55
	v_fma_f32 v34, v34, v48, -v21
	v_dual_mul_f32 v48, v36, v57 :: v_dual_mul_f32 v47, v37, v55
	v_mul_f32_e32 v86, v37, v57
	v_dual_mul_f32 v50, v52, v55 :: v_dual_mul_f32 v19, v53, v57
	v_fmac_f32_e32 v49, v37, v54
	s_delay_alu instid0(VALU_DEP_4)
	v_dual_fmac_f32 v48, v37, v56 :: v_dual_mul_f32 v37, v52, v57
	v_fma_f32 v47, v36, v54, -v47
	v_fma_f32 v36, v36, v56, -v86
	s_waitcnt lgkmcnt(4)
	v_mul_f32_e32 v20, v39, v59
	v_mul_f32_e32 v51, v38, v59
	;; [unrolled: 1-line block ×3, first 2 shown]
	v_fma_f32 v55, v52, v54, -v18
	v_fmac_f32_e32 v50, v53, v54
	v_fmac_f32_e32 v37, v53, v56
	s_waitcnt lgkmcnt(1)
	v_dual_mul_f32 v53, v38, v61 :: v_dual_mul_f32 v18, v71, v59
	v_fma_f32 v52, v52, v56, -v19
	v_dual_mul_f32 v54, v70, v59 :: v_dual_mul_f32 v19, v71, v61
	v_dual_mul_f32 v56, v70, v61 :: v_dual_mul_f32 v59, v40, v63
	v_fma_f32 v86, v38, v58, -v20
	v_fmac_f32_e32 v51, v39, v58
	v_fma_f32 v38, v38, v60, -v21
	v_dual_fmac_f32 v53, v39, v60 :: v_dual_add_f32 v4, v4, v22
	v_fma_f32 v39, v70, v58, -v18
	v_fmac_f32_e32 v54, v71, v58
	v_fma_f32 v58, v70, v60, -v19
	v_fmac_f32_e32 v56, v71, v60
	v_dual_mul_f32 v60, v40, v65 :: v_dual_mul_f32 v57, v41, v63
	v_dual_mul_f32 v61, v41, v65 :: v_dual_add_f32 v16, v16, v79
	v_mul_f32_e32 v18, v73, v63
	v_dual_mul_f32 v63, v72, v63 :: v_dual_add_f32 v14, v14, v81
	v_dual_mul_f32 v19, v73, v65 :: v_dual_add_f32 v12, v12, v83
	s_delay_alu instid0(VALU_DEP_4)
	v_dual_fmac_f32 v59, v41, v62 :: v_dual_add_f32 v16, v16, v85
	v_dual_fmac_f32 v60, v41, v64 :: v_dual_mul_f32 v41, v72, v65
	v_add_f32_e32 v2, v2, v26
	v_fma_f32 v57, v40, v62, -v57
	v_fma_f32 v40, v40, v64, -v61
	v_mul_f32_e32 v20, v43, v67
	v_dual_mul_f32 v61, v42, v67 :: v_dual_add_f32 v4, v4, v24
	v_dual_mul_f32 v21, v43, v69 :: v_dual_add_f32 v14, v14, v27
	v_fma_f32 v65, v72, v62, -v18
	v_dual_fmac_f32 v63, v73, v62 :: v_dual_add_f32 v12, v12, v31
	v_fma_f32 v62, v72, v64, -v19
	v_dual_fmac_f32 v41, v73, v64 :: v_dual_add_f32 v16, v16, v33
	v_mul_f32_e32 v64, v42, v69
	s_waitcnt lgkmcnt(0)
	v_mul_f32_e32 v18, v75, v67
	v_dual_mul_f32 v67, v74, v67 :: v_dual_add_f32 v4, v4, v34
	v_dual_mul_f32 v19, v75, v69 :: v_dual_add_f32 v2, v2, v28
	v_fma_f32 v70, v42, v66, -v20
	v_dual_fmac_f32 v61, v43, v66 :: v_dual_add_f32 v14, v14, v29
	v_fma_f32 v42, v42, v68, -v21
	v_fmac_f32_e32 v64, v43, v68
	v_fma_f32 v43, v74, v66, -v18
	v_dual_fmac_f32 v67, v75, v66 :: v_dual_add_f32 v16, v16, v49
	v_fma_f32 v66, v74, v68, -v19
	ds_load_2addr_b64 v[18:21], v13 offset0:224 offset1:240
	v_dual_mul_f32 v69, v74, v69 :: v_dual_add_f32 v12, v12, v30
	v_add_f32_e32 v2, v2, v46
	v_add_f32_e32 v14, v14, v48
	v_add_f32_e32 v4, v4, v36
	s_delay_alu instid0(VALU_DEP_4) | instskip(NEXT) | instid1(VALU_DEP_4)
	v_dual_fmac_f32 v69, v75, v68 :: v_dual_add_f32 v12, v12, v50
	v_dual_add_f32 v3, v3, v23 :: v_dual_add_f32 v2, v2, v52
	s_delay_alu instid0(VALU_DEP_3) | instskip(SKIP_1) | instid1(VALU_DEP_4)
	v_add_f32_e32 v4, v4, v38
	v_add_f32_e32 v14, v14, v53
	v_dual_add_f32 v12, v12, v54 :: v_dual_add_f32 v1, v1, v84
	s_delay_alu instid0(VALU_DEP_3) | instskip(SKIP_1) | instid1(VALU_DEP_3)
	v_dual_add_f32 v3, v3, v82 :: v_dual_add_f32 v4, v4, v40
	v_add_f32_e32 v2, v2, v58
	v_dual_add_f32 v12, v12, v63 :: v_dual_add_f32 v1, v1, v25
	v_add_f32_e32 v14, v14, v60
	s_waitcnt lgkmcnt(0)
	v_mul_f32_e32 v68, v45, v19
	v_dual_mul_f32 v72, v45, v21 :: v_dual_mul_f32 v71, v44, v19
	v_dual_add_f32 v3, v3, v35 :: v_dual_add_f32 v4, v4, v42
	s_delay_alu instid0(VALU_DEP_3) | instskip(NEXT) | instid1(VALU_DEP_3)
	v_fma_f32 v68, v44, v18, -v68
	v_fma_f32 v72, v44, v20, -v72
	s_delay_alu instid0(VALU_DEP_4) | instskip(SKIP_1) | instid1(VALU_DEP_2)
	v_dual_mul_f32 v44, v44, v21 :: v_dual_fmac_f32 v71, v45, v18
	v_dual_mul_f32 v73, v77, v21 :: v_dual_add_f32 v16, v16, v51
	v_dual_mul_f32 v21, v76, v21 :: v_dual_fmac_f32 v44, v45, v20
	v_mul_f32_e32 v45, v77, v19
	v_mul_f32_e32 v19, v76, v19
	s_delay_alu instid0(VALU_DEP_4) | instskip(NEXT) | instid1(VALU_DEP_4)
	v_dual_add_f32 v5, v5, v78 :: v_dual_add_f32 v16, v16, v59
	v_fmac_f32_e32 v21, v77, v20
	v_dual_add_f32 v1, v1, v32 :: v_dual_add_f32 v12, v12, v67
	s_delay_alu instid0(VALU_DEP_4) | instskip(NEXT) | instid1(VALU_DEP_4)
	v_fmac_f32_e32 v19, v77, v18
	v_dual_add_f32 v5, v5, v80 :: v_dual_add_f32 v2, v2, v62
	v_dual_add_f32 v3, v3, v55 :: v_dual_add_f32 v16, v16, v61
	s_delay_alu instid0(VALU_DEP_4) | instskip(NEXT) | instid1(VALU_DEP_3)
	v_add_f32_e32 v1, v1, v37
	v_dual_add_f32 v5, v5, v87 :: v_dual_add_f32 v14, v14, v64
	s_delay_alu instid0(VALU_DEP_3) | instskip(NEXT) | instid1(VALU_DEP_4)
	v_dual_add_f32 v2, v2, v66 :: v_dual_add_f32 v3, v3, v39
	v_add_f32_e32 v16, v16, v71
	s_delay_alu instid0(VALU_DEP_3) | instskip(SKIP_3) | instid1(VALU_DEP_4)
	v_add_f32_e32 v5, v5, v47
	v_dual_add_f32 v1, v1, v56 :: v_dual_add_f32 v12, v12, v19
	v_fma_f32 v45, v76, v18, -v45
	v_fma_f32 v18, v76, v20, -v73
	v_dual_add_f32 v5, v5, v86 :: v_dual_add_f32 v4, v4, v72
	s_delay_alu instid0(VALU_DEP_4) | instskip(SKIP_1) | instid1(VALU_DEP_3)
	v_dual_add_f32 v1, v1, v41 :: v_dual_add_f32 v14, v14, v44
	v_add_f32_e32 v3, v3, v65
	v_dual_add_f32 v5, v5, v57 :: v_dual_add_f32 v2, v2, v18
	s_delay_alu instid0(VALU_DEP_3) | instskip(NEXT) | instid1(VALU_DEP_3)
	v_add_f32_e32 v1, v1, v69
	v_add_f32_e32 v3, v3, v43
	s_delay_alu instid0(VALU_DEP_3) | instskip(SKIP_1) | instid1(VALU_DEP_3)
	v_add_f32_e32 v5, v5, v70
	s_barrier
	v_add_f32_e32 v1, v1, v21
	buffer_gl0_inv
	v_add_f32_e32 v3, v3, v45
	v_add_f32_e32 v5, v5, v68
	s_cbranch_vccz .LBB1250_2
.LBB1250_3:
	s_clause 0x1
	s_load_b128 s[4:7], s[0:1], 0x48
	s_load_b32 s2, s[0:1], 0x0
	v_add_nc_u32_e32 v0, s9, v11
	v_add_nc_u32_e32 v7, s8, v10
	s_delay_alu instid0(VALU_DEP_2) | instskip(NEXT) | instid1(VALU_DEP_2)
	v_ashrrev_i32_e32 v6, 31, v0
	v_cmp_le_i32_e64 s0, v7, v0
	s_waitcnt lgkmcnt(0)
	s_delay_alu instid0(VALU_DEP_2)
	v_mul_lo_u32 v6, v6, s4
	v_mul_lo_u32 v11, v0, s5
	v_mad_u64_u32 v[8:9], null, v0, s4, 0
	s_mul_i32 s1, s15, s7
	s_mul_hi_u32 s3, s15, s6
	s_mul_i32 s6, s15, s6
	s_add_i32 s7, s3, s1
	v_cmp_gt_i32_e32 vcc_lo, s2, v0
	s_lshl_b64 s[6:7], s[6:7], 3
	s_delay_alu instid0(VALU_DEP_2) | instskip(SKIP_3) | instid1(VALU_DEP_1)
	v_add3_u32 v9, v9, v11, v6
	s_add_u32 s3, s30, s6
	s_addc_u32 s6, s31, s7
	s_and_b32 s0, vcc_lo, s0
	v_lshlrev_b64 v[8:9], 3, v[8:9]
	s_delay_alu instid0(VALU_DEP_1) | instskip(NEXT) | instid1(VALU_DEP_1)
	v_add_co_u32 v11, s1, s3, v8
	v_add_co_ci_u32_e64 v13, s1, s6, v9, s1
	s_and_saveexec_b32 s1, s0
	s_cbranch_execz .LBB1250_5
; %bb.4:
	v_ashrrev_i32_e32 v8, 31, v7
	s_delay_alu instid0(VALU_DEP_1) | instskip(NEXT) | instid1(VALU_DEP_1)
	v_lshlrev_b64 v[8:9], 3, v[7:8]
	v_add_co_u32 v8, s0, v11, v8
	s_delay_alu instid0(VALU_DEP_1) | instskip(SKIP_1) | instid1(VALU_DEP_1)
	v_add_co_ci_u32_e64 v9, s0, v13, v9, s0
	v_cmp_ne_u32_e64 s0, v0, v7
	v_cndmask_b32_e64 v6, 0, v16, s0
	global_store_b64 v[8:9], v[5:6], off
.LBB1250_5:
	s_or_b32 exec_lo, exec_lo, s1
	v_add_nc_u32_e32 v9, 16, v7
	s_delay_alu instid0(VALU_DEP_1) | instskip(NEXT) | instid1(VALU_DEP_1)
	v_cmp_le_i32_e64 s0, v9, v0
	s_and_b32 s1, vcc_lo, s0
	s_delay_alu instid0(SALU_CYCLE_1)
	s_and_saveexec_b32 s0, s1
	s_cbranch_execz .LBB1250_7
; %bb.6:
	v_ashrrev_i32_e32 v10, 31, v9
	s_delay_alu instid0(VALU_DEP_1) | instskip(NEXT) | instid1(VALU_DEP_1)
	v_lshlrev_b64 v[5:6], 3, v[9:10]
	v_add_co_u32 v10, vcc_lo, v11, v5
	s_delay_alu instid0(VALU_DEP_2)
	v_add_co_ci_u32_e32 v11, vcc_lo, v13, v6, vcc_lo
	v_cmp_ne_u32_e32 vcc_lo, v0, v9
	v_cndmask_b32_e32 v5, 0, v14, vcc_lo
	global_store_b64 v[10:11], v[4:5], off
.LBB1250_7:
	s_or_b32 exec_lo, exec_lo, s0
	v_add_nc_u32_e32 v5, 16, v0
	s_delay_alu instid0(VALU_DEP_1) | instskip(SKIP_3) | instid1(VALU_DEP_4)
	v_ashrrev_i32_e32 v4, 31, v5
	v_mul_lo_u32 v6, v5, s5
	v_mad_u64_u32 v[10:11], null, v5, s4, 0
	v_cmp_gt_i32_e32 vcc_lo, s2, v5
	v_mul_lo_u32 v4, v4, s4
	v_cmp_le_i32_e64 s0, v7, v5
	s_delay_alu instid0(VALU_DEP_1) | instskip(NEXT) | instid1(VALU_DEP_2)
	s_and_b32 s0, vcc_lo, s0
	v_add3_u32 v11, v11, v6, v4
	s_delay_alu instid0(VALU_DEP_1) | instskip(NEXT) | instid1(VALU_DEP_1)
	v_lshlrev_b64 v[10:11], 3, v[10:11]
	v_add_co_u32 v6, s1, s3, v10
	s_delay_alu instid0(VALU_DEP_1)
	v_add_co_ci_u32_e64 v11, s1, s6, v11, s1
	s_and_saveexec_b32 s1, s0
	s_cbranch_execz .LBB1250_9
; %bb.8:
	v_ashrrev_i32_e32 v8, 31, v7
	s_delay_alu instid0(VALU_DEP_1) | instskip(NEXT) | instid1(VALU_DEP_1)
	v_lshlrev_b64 v[13:14], 3, v[7:8]
	v_add_co_u32 v13, s0, v6, v13
	s_delay_alu instid0(VALU_DEP_1) | instskip(SKIP_1) | instid1(VALU_DEP_1)
	v_add_co_ci_u32_e64 v14, s0, v11, v14, s0
	v_cmp_ne_u32_e64 s0, v5, v7
	v_cndmask_b32_e64 v4, 0, v12, s0
	global_store_b64 v[13:14], v[3:4], off
.LBB1250_9:
	s_or_b32 exec_lo, exec_lo, s1
	v_cmp_le_i32_e64 s0, v9, v5
	s_delay_alu instid0(VALU_DEP_1) | instskip(NEXT) | instid1(SALU_CYCLE_1)
	s_and_b32 s0, vcc_lo, s0
	s_and_saveexec_b32 s1, s0
	s_cbranch_execz .LBB1250_11
; %bb.10:
	v_ashrrev_i32_e32 v10, 31, v9
	s_delay_alu instid0(VALU_DEP_1) | instskip(NEXT) | instid1(VALU_DEP_1)
	v_lshlrev_b64 v[3:4], 3, v[9:10]
	v_add_co_u32 v5, vcc_lo, v6, v3
	s_delay_alu instid0(VALU_DEP_2)
	v_add_co_ci_u32_e32 v6, vcc_lo, v11, v4, vcc_lo
	v_cmp_ne_u32_e32 vcc_lo, v0, v7
	v_cndmask_b32_e32 v3, 0, v1, vcc_lo
	global_store_b64 v[5:6], v[2:3], off
.LBB1250_11:
	s_nop 0
	s_sendmsg sendmsg(MSG_DEALLOC_VGPRS)
	s_endpgm
	.section	.rodata,"a",@progbits
	.p2align	6, 0x0
	.amdhsa_kernel _ZL37rocblas_syrkx_herkx_restricted_kernelIl19rocblas_complex_numIfELi16ELi32ELi8ELi1ELi0ELb1ELc67ELc85EKS1_S1_EviT_PT9_S3_lS5_S3_lPT10_S3_li
		.amdhsa_group_segment_fixed_size 4096
		.amdhsa_private_segment_fixed_size 0
		.amdhsa_kernarg_size 92
		.amdhsa_user_sgpr_count 13
		.amdhsa_user_sgpr_dispatch_ptr 0
		.amdhsa_user_sgpr_queue_ptr 0
		.amdhsa_user_sgpr_kernarg_segment_ptr 1
		.amdhsa_user_sgpr_dispatch_id 0
		.amdhsa_user_sgpr_private_segment_size 0
		.amdhsa_wavefront_size32 1
		.amdhsa_uses_dynamic_stack 0
		.amdhsa_enable_private_segment 0
		.amdhsa_system_sgpr_workgroup_id_x 1
		.amdhsa_system_sgpr_workgroup_id_y 1
		.amdhsa_system_sgpr_workgroup_id_z 1
		.amdhsa_system_sgpr_workgroup_info 0
		.amdhsa_system_vgpr_workitem_id 1
		.amdhsa_next_free_vgpr 88
		.amdhsa_next_free_sgpr 32
		.amdhsa_reserve_vcc 1
		.amdhsa_float_round_mode_32 0
		.amdhsa_float_round_mode_16_64 0
		.amdhsa_float_denorm_mode_32 3
		.amdhsa_float_denorm_mode_16_64 3
		.amdhsa_dx10_clamp 1
		.amdhsa_ieee_mode 1
		.amdhsa_fp16_overflow 0
		.amdhsa_workgroup_processor_mode 1
		.amdhsa_memory_ordered 1
		.amdhsa_forward_progress 0
		.amdhsa_shared_vgpr_count 0
		.amdhsa_exception_fp_ieee_invalid_op 0
		.amdhsa_exception_fp_denorm_src 0
		.amdhsa_exception_fp_ieee_div_zero 0
		.amdhsa_exception_fp_ieee_overflow 0
		.amdhsa_exception_fp_ieee_underflow 0
		.amdhsa_exception_fp_ieee_inexact 0
		.amdhsa_exception_int_div_zero 0
	.end_amdhsa_kernel
	.section	.text._ZL37rocblas_syrkx_herkx_restricted_kernelIl19rocblas_complex_numIfELi16ELi32ELi8ELi1ELi0ELb1ELc67ELc85EKS1_S1_EviT_PT9_S3_lS5_S3_lPT10_S3_li,"axG",@progbits,_ZL37rocblas_syrkx_herkx_restricted_kernelIl19rocblas_complex_numIfELi16ELi32ELi8ELi1ELi0ELb1ELc67ELc85EKS1_S1_EviT_PT9_S3_lS5_S3_lPT10_S3_li,comdat
.Lfunc_end1250:
	.size	_ZL37rocblas_syrkx_herkx_restricted_kernelIl19rocblas_complex_numIfELi16ELi32ELi8ELi1ELi0ELb1ELc67ELc85EKS1_S1_EviT_PT9_S3_lS5_S3_lPT10_S3_li, .Lfunc_end1250-_ZL37rocblas_syrkx_herkx_restricted_kernelIl19rocblas_complex_numIfELi16ELi32ELi8ELi1ELi0ELb1ELc67ELc85EKS1_S1_EviT_PT9_S3_lS5_S3_lPT10_S3_li
                                        ; -- End function
	.section	.AMDGPU.csdata,"",@progbits
; Kernel info:
; codeLenInByte = 2216
; NumSgprs: 34
; NumVgprs: 88
; ScratchSize: 0
; MemoryBound: 0
; FloatMode: 240
; IeeeMode: 1
; LDSByteSize: 4096 bytes/workgroup (compile time only)
; SGPRBlocks: 4
; VGPRBlocks: 10
; NumSGPRsForWavesPerEU: 34
; NumVGPRsForWavesPerEU: 88
; Occupancy: 16
; WaveLimiterHint : 1
; COMPUTE_PGM_RSRC2:SCRATCH_EN: 0
; COMPUTE_PGM_RSRC2:USER_SGPR: 13
; COMPUTE_PGM_RSRC2:TRAP_HANDLER: 0
; COMPUTE_PGM_RSRC2:TGID_X_EN: 1
; COMPUTE_PGM_RSRC2:TGID_Y_EN: 1
; COMPUTE_PGM_RSRC2:TGID_Z_EN: 1
; COMPUTE_PGM_RSRC2:TIDIG_COMP_CNT: 1
	.section	.text._ZL37rocblas_syrkx_herkx_restricted_kernelIl19rocblas_complex_numIfELi16ELi32ELi8ELi1ELi0ELb1ELc78ELc85EKS1_S1_EviT_PT9_S3_lS5_S3_lPT10_S3_li,"axG",@progbits,_ZL37rocblas_syrkx_herkx_restricted_kernelIl19rocblas_complex_numIfELi16ELi32ELi8ELi1ELi0ELb1ELc78ELc85EKS1_S1_EviT_PT9_S3_lS5_S3_lPT10_S3_li,comdat
	.globl	_ZL37rocblas_syrkx_herkx_restricted_kernelIl19rocblas_complex_numIfELi16ELi32ELi8ELi1ELi0ELb1ELc78ELc85EKS1_S1_EviT_PT9_S3_lS5_S3_lPT10_S3_li ; -- Begin function _ZL37rocblas_syrkx_herkx_restricted_kernelIl19rocblas_complex_numIfELi16ELi32ELi8ELi1ELi0ELb1ELc78ELc85EKS1_S1_EviT_PT9_S3_lS5_S3_lPT10_S3_li
	.p2align	8
	.type	_ZL37rocblas_syrkx_herkx_restricted_kernelIl19rocblas_complex_numIfELi16ELi32ELi8ELi1ELi0ELb1ELc78ELc85EKS1_S1_EviT_PT9_S3_lS5_S3_lPT10_S3_li,@function
_ZL37rocblas_syrkx_herkx_restricted_kernelIl19rocblas_complex_numIfELi16ELi32ELi8ELi1ELi0ELb1ELc78ELc85EKS1_S1_EviT_PT9_S3_lS5_S3_lPT10_S3_li: ; @_ZL37rocblas_syrkx_herkx_restricted_kernelIl19rocblas_complex_numIfELi16ELi32ELi8ELi1ELi0ELb1ELc78ELc85EKS1_S1_EviT_PT9_S3_lS5_S3_lPT10_S3_li
; %bb.0:
	s_load_b512 s[16:31], s[0:1], 0x8
	v_dual_mov_b32 v4, 0 :: v_dual_mov_b32 v15, 0
	v_dual_mov_b32 v3, 0 :: v_dual_mov_b32 v14, 0
	;; [unrolled: 1-line block ×4, first 2 shown]
	v_and_b32_e32 v9, 0x3ff, v0
	v_bfe_u32 v0, v0, 10, 10
	s_lshl_b32 s8, s13, 5
	s_lshl_b32 s9, s14, 5
	s_waitcnt lgkmcnt(0)
	v_cmp_lt_i64_e64 s2, s[16:17], 1
	s_delay_alu instid0(VALU_DEP_1)
	s_and_b32 vcc_lo, exec_lo, s2
	s_cbranch_vccnz .LBB1251_3
; %bb.1:
	v_lshl_add_u32 v2, v0, 4, v9
	v_and_b32_e32 v11, 7, v9
	s_mul_i32 s3, s23, s15
	s_mul_hi_u32 s5, s22, s15
	s_mul_i32 s2, s22, s15
	v_and_b32_e32 v8, 31, v2
	v_lshrrev_b32_e32 v10, 3, v2
	v_lshrrev_b32_e32 v14, 5, v2
	s_add_i32 s3, s5, s3
	s_mul_i32 s6, s29, s15
	v_add_nc_u32_e32 v1, s8, v8
	v_add_nc_u32_e32 v3, s9, v10
	s_lshl_b64 s[2:3], s[2:3], 3
	s_mul_hi_u32 s7, s28, s15
	s_add_u32 s10, s18, s2
	v_ashrrev_i32_e32 v2, 31, v1
	v_ashrrev_i32_e32 v4, 31, v3
	s_mul_i32 s4, s28, s15
	s_addc_u32 s11, s19, s3
	s_add_i32 s5, s7, s6
	v_mad_u64_u32 v[5:6], null, v14, s20, v[1:2]
	v_mad_u64_u32 v[1:2], null, v11, s26, v[3:4]
	s_lshl_b64 s[4:5], s[4:5], 3
	s_lshl_b64 s[2:3], s[20:21], 6
	s_add_u32 s4, s24, s4
	s_addc_u32 s5, s25, s5
	s_delay_alu instid0(VALU_DEP_2) | instskip(SKIP_2) | instid1(VALU_DEP_2)
	v_dual_mov_b32 v3, v6 :: v_dual_lshlrev_b32 v12, 3, v9
	v_lshl_add_u32 v13, v0, 6, 0x800
	s_mov_b64 s[6:7], 0
	v_mad_u64_u32 v[6:7], null, v14, s21, v[3:4]
	v_mad_u64_u32 v[3:4], null, v11, s27, v[2:3]
	s_delay_alu instid0(VALU_DEP_1) | instskip(NEXT) | instid1(VALU_DEP_3)
	v_dual_mov_b32 v2, v3 :: v_dual_lshlrev_b32 v7, 3, v8
	v_lshlrev_b64 v[3:4], 3, v[5:6]
	v_lshlrev_b32_e32 v15, 3, v11
	v_mov_b32_e32 v11, 0
	s_delay_alu instid0(VALU_DEP_4) | instskip(NEXT) | instid1(VALU_DEP_4)
	v_lshlrev_b64 v[1:2], 3, v[1:2]
	v_add_co_u32 v3, vcc_lo, s10, v3
	v_add_co_ci_u32_e32 v4, vcc_lo, s11, v4, vcc_lo
	s_delay_alu instid0(VALU_DEP_3) | instskip(NEXT) | instid1(VALU_DEP_4)
	v_add_co_u32 v1, vcc_lo, s4, v1
	v_add_co_ci_u32_e32 v2, vcc_lo, s5, v2, vcc_lo
	s_delay_alu instid0(VALU_DEP_4) | instskip(NEXT) | instid1(VALU_DEP_4)
	v_add_co_u32 v5, vcc_lo, v3, 4
	v_add_co_ci_u32_e32 v6, vcc_lo, 0, v4, vcc_lo
	v_mov_b32_e32 v4, 0
	v_lshl_or_b32 v16, v14, 8, v7
	v_mov_b32_e32 v14, 0
	v_lshl_or_b32 v8, v10, 6, v15
	v_add_co_u32 v7, vcc_lo, v1, 4
	v_dual_mov_b32 v10, 0 :: v_dual_mov_b32 v1, 0
	s_delay_alu instid0(VALU_DEP_3)
	v_add_nc_u32_e32 v17, 0x800, v8
	v_add_co_ci_u32_e32 v8, vcc_lo, 0, v2, vcc_lo
	v_dual_mov_b32 v2, 0 :: v_dual_mov_b32 v3, 0
	v_mov_b32_e32 v15, 0
	s_lshl_b64 s[4:5], s[26:27], 6
.LBB1251_2:                             ; =>This Inner Loop Header: Depth=1
	global_load_b64 v[18:19], v[7:8], off offset:-4
	global_load_b64 v[20:21], v[5:6], off offset:-4
	s_add_u32 s6, s6, 8
	v_add_co_u32 v5, vcc_lo, v5, s2
	s_addc_u32 s7, s7, 0
	v_add_co_ci_u32_e32 v6, vcc_lo, s3, v6, vcc_lo
	v_cmp_ge_u64_e64 s10, s[6:7], s[16:17]
	v_add_co_u32 v7, vcc_lo, v7, s4
	v_add_co_ci_u32_e32 v8, vcc_lo, s5, v8, vcc_lo
	s_delay_alu instid0(VALU_DEP_3)
	s_and_b32 vcc_lo, exec_lo, s10
	s_waitcnt vmcnt(1)
	v_xor_b32_e32 v19, 0x80000000, v19
	s_waitcnt vmcnt(0)
	ds_store_b64 v16, v[20:21]
	ds_store_b64 v17, v[18:19]
	s_waitcnt lgkmcnt(0)
	s_barrier
	buffer_gl0_inv
	ds_load_2addr_b64 v[18:21], v12 offset1:16
	ds_load_b128 v[22:25], v13
	ds_load_b128 v[26:29], v13 offset:1024
	ds_load_b128 v[30:33], v13 offset:16
	;; [unrolled: 1-line block ×4, first 2 shown]
	ds_load_2addr_b64 v[42:45], v12 offset0:32 offset1:48
	ds_load_2addr_b64 v[46:49], v12 offset0:64 offset1:80
	ds_load_b128 v[50:53], v13 offset:1040
	ds_load_2addr_b64 v[54:57], v12 offset0:96 offset1:112
	ds_load_2addr_b64 v[58:61], v12 offset0:128 offset1:144
	;; [unrolled: 1-line block ×4, first 2 shown]
	ds_load_b128 v[70:73], v13 offset:1056
	ds_load_b128 v[74:77], v13 offset:1072
	ds_load_2addr_b64 v[78:81], v12 offset0:224 offset1:240
	s_waitcnt lgkmcnt(0)
	s_barrier
	buffer_gl0_inv
	v_dual_mul_f32 v82, v23, v19 :: v_dual_mul_f32 v85, v22, v21
	v_dual_mul_f32 v83, v22, v19 :: v_dual_mul_f32 v84, v23, v21
	v_mul_f32_e32 v86, v27, v19
	v_mul_f32_e32 v19, v26, v19
	;; [unrolled: 1-line block ×4, first 2 shown]
	v_fma_f32 v82, v22, v18, -v82
	v_fmac_f32_e32 v83, v23, v18
	v_fma_f32 v22, v22, v20, -v84
	v_fmac_f32_e32 v85, v23, v20
	v_fma_f32 v23, v26, v18, -v86
	v_dual_fmac_f32 v21, v27, v20 :: v_dual_mul_f32 v84, v24, v45
	v_fmac_f32_e32 v19, v27, v18
	v_fma_f32 v18, v26, v20, -v87
	v_mul_f32_e32 v20, v25, v43
	v_mul_f32_e32 v26, v24, v43
	v_fmac_f32_e32 v84, v25, v44
	v_dual_mul_f32 v27, v25, v45 :: v_dual_mul_f32 v86, v51, v47
	s_delay_alu instid0(VALU_DEP_4) | instskip(NEXT) | instid1(VALU_DEP_4)
	v_fma_f32 v20, v24, v42, -v20
	v_fmac_f32_e32 v26, v25, v42
	v_mul_f32_e32 v25, v29, v43
	s_delay_alu instid0(VALU_DEP_4)
	v_fma_f32 v24, v24, v44, -v27
	v_mul_f32_e32 v27, v28, v43
	v_mul_f32_e32 v43, v29, v45
	;; [unrolled: 1-line block ×3, first 2 shown]
	v_fma_f32 v25, v28, v42, -v25
	v_mul_f32_e32 v87, v51, v49
	v_fmac_f32_e32 v27, v29, v42
	v_fma_f32 v28, v28, v44, -v43
	v_fmac_f32_e32 v45, v29, v44
	v_mul_f32_e32 v29, v31, v47
	v_dual_mul_f32 v42, v30, v47 :: v_dual_mul_f32 v43, v31, v49
	v_mul_f32_e32 v44, v30, v49
	v_mul_f32_e32 v47, v50, v47
	;; [unrolled: 1-line block ×3, first 2 shown]
	v_fma_f32 v29, v30, v46, -v29
	v_fmac_f32_e32 v42, v31, v46
	v_fma_f32 v30, v30, v48, -v43
	v_fmac_f32_e32 v44, v31, v48
	v_fma_f32 v31, v50, v46, -v86
	v_mul_f32_e32 v86, v71, v59
	v_fmac_f32_e32 v47, v51, v46
	v_fma_f32 v43, v50, v48, -v87
	v_dual_fmac_f32 v49, v51, v48 :: v_dual_mul_f32 v46, v33, v55
	v_mul_f32_e32 v48, v32, v55
	v_mul_f32_e32 v50, v33, v57
	;; [unrolled: 1-line block ×4, first 2 shown]
	v_fma_f32 v46, v32, v54, -v46
	v_fmac_f32_e32 v48, v33, v54
	v_fma_f32 v32, v32, v56, -v50
	v_fmac_f32_e32 v51, v33, v56
	v_mul_f32_e32 v33, v53, v55
	v_dual_mul_f32 v50, v52, v55 :: v_dual_mul_f32 v55, v53, v57
	v_mul_f32_e32 v57, v52, v57
	v_add_f32_e32 v4, v4, v82
	s_delay_alu instid0(VALU_DEP_4) | instskip(NEXT) | instid1(VALU_DEP_4)
	v_fma_f32 v33, v52, v54, -v33
	v_fmac_f32_e32 v50, v53, v54
	v_fma_f32 v52, v52, v56, -v55
	v_fmac_f32_e32 v57, v53, v56
	v_mul_f32_e32 v53, v35, v59
	v_dual_mul_f32 v54, v34, v59 :: v_dual_mul_f32 v55, v35, v61
	v_mul_f32_e32 v56, v34, v61
	v_mul_f32_e32 v59, v70, v59
	;; [unrolled: 1-line block ×3, first 2 shown]
	v_fma_f32 v53, v34, v58, -v53
	v_fmac_f32_e32 v54, v35, v58
	v_fma_f32 v34, v34, v60, -v55
	v_fmac_f32_e32 v56, v35, v60
	v_fma_f32 v35, v70, v58, -v86
	v_mul_f32_e32 v86, v75, v67
	v_fmac_f32_e32 v59, v71, v58
	v_fma_f32 v55, v70, v60, -v87
	v_dual_fmac_f32 v61, v71, v60 :: v_dual_mul_f32 v58, v37, v63
	v_mul_f32_e32 v60, v36, v63
	v_mul_f32_e32 v70, v37, v65
	;; [unrolled: 1-line block ×3, first 2 shown]
	v_add_f32_e32 v14, v14, v85
	v_fma_f32 v58, v36, v62, -v58
	v_fmac_f32_e32 v60, v37, v62
	v_fma_f32 v36, v36, v64, -v70
	v_fmac_f32_e32 v71, v37, v64
	v_mul_f32_e32 v37, v73, v63
	v_dual_mul_f32 v63, v72, v63 :: v_dual_mul_f32 v70, v73, v65
	v_dual_mul_f32 v65, v72, v65 :: v_dual_add_f32 v2, v2, v23
	s_delay_alu instid0(VALU_DEP_2) | instskip(NEXT) | instid1(VALU_DEP_4)
	v_dual_add_f32 v4, v4, v20 :: v_dual_fmac_f32 v63, v73, v62
	v_fma_f32 v37, v72, v62, -v37
	s_delay_alu instid0(VALU_DEP_3)
	v_fmac_f32_e32 v65, v73, v64
	v_mul_f32_e32 v73, v38, v69
	v_fma_f32 v62, v72, v64, -v70
	v_mul_f32_e32 v64, v39, v67
	v_mul_f32_e32 v70, v38, v67
	v_dual_mul_f32 v72, v39, v69 :: v_dual_mul_f32 v67, v74, v67
	v_add_f32_e32 v4, v4, v29
	v_dual_mul_f32 v87, v75, v69 :: v_dual_add_f32 v14, v14, v84
	v_mul_f32_e32 v69, v74, v69
	v_dual_fmac_f32 v73, v39, v68 :: v_dual_add_f32 v10, v10, v21
	v_fma_f32 v64, v38, v66, -v64
	v_fmac_f32_e32 v70, v39, v66
	v_fma_f32 v38, v38, v68, -v72
	v_fma_f32 v39, v74, v66, -v86
	v_dual_fmac_f32 v67, v75, v66 :: v_dual_add_f32 v2, v2, v25
	v_fma_f32 v66, v74, v68, -v87
	v_mul_f32_e32 v72, v40, v79
	v_mul_f32_e32 v74, v41, v81
	v_add_f32_e32 v10, v10, v45
	v_add_f32_e32 v14, v14, v44
	v_dual_add_f32 v4, v4, v46 :: v_dual_fmac_f32 v69, v75, v68
	v_dual_mul_f32 v68, v41, v79 :: v_dual_mul_f32 v75, v40, v81
	v_fmac_f32_e32 v72, v41, v78
	v_add_f32_e32 v2, v2, v31
	v_add_f32_e32 v10, v10, v49
	s_delay_alu instid0(VALU_DEP_4)
	v_fma_f32 v68, v40, v78, -v68
	v_fma_f32 v40, v40, v80, -v74
	v_fmac_f32_e32 v75, v41, v80
	v_mul_f32_e32 v41, v77, v79
	v_dual_mul_f32 v74, v76, v79 :: v_dual_mul_f32 v79, v77, v81
	v_dual_add_f32 v14, v14, v51 :: v_dual_mul_f32 v81, v76, v81
	v_dual_add_f32 v15, v15, v83 :: v_dual_add_f32 v10, v10, v57
	v_dual_add_f32 v3, v3, v22 :: v_dual_add_f32 v4, v4, v53
	;; [unrolled: 1-line block ×3, first 2 shown]
	s_delay_alu instid0(VALU_DEP_3)
	v_dual_add_f32 v10, v10, v61 :: v_dual_add_f32 v1, v1, v18
	v_add_f32_e32 v14, v14, v56
	v_fmac_f32_e32 v81, v77, v80
	v_add_f32_e32 v15, v15, v26
	v_dual_add_f32 v3, v3, v24 :: v_dual_add_f32 v4, v4, v58
	v_add_f32_e32 v2, v2, v35
	v_add_f32_e32 v11, v11, v27
	v_dual_add_f32 v1, v1, v28 :: v_dual_add_f32 v10, v10, v65
	v_dual_add_f32 v14, v14, v71 :: v_dual_add_f32 v15, v15, v42
	;; [unrolled: 1-line block ×3, first 2 shown]
	s_delay_alu instid0(VALU_DEP_3) | instskip(NEXT) | instid1(VALU_DEP_4)
	v_dual_add_f32 v1, v1, v43 :: v_dual_add_f32 v2, v2, v37
	v_dual_add_f32 v11, v11, v47 :: v_dual_add_f32 v10, v10, v69
	v_fma_f32 v41, v76, v78, -v41
	s_delay_alu instid0(VALU_DEP_3) | instskip(NEXT) | instid1(VALU_DEP_3)
	v_dual_add_f32 v15, v15, v48 :: v_dual_add_f32 v2, v2, v39
	v_dual_add_f32 v11, v11, v50 :: v_dual_add_f32 v14, v14, v73
	v_add_f32_e32 v3, v3, v32
	v_add_f32_e32 v4, v4, v68
	v_dual_add_f32 v1, v1, v52 :: v_dual_add_f32 v10, v10, v81
	s_delay_alu instid0(VALU_DEP_4) | instskip(NEXT) | instid1(VALU_DEP_4)
	v_dual_add_f32 v15, v15, v54 :: v_dual_add_f32 v14, v14, v75
	v_add_f32_e32 v3, v3, v34
	s_delay_alu instid0(VALU_DEP_3) | instskip(SKIP_1) | instid1(VALU_DEP_4)
	v_dual_add_f32 v1, v1, v55 :: v_dual_add_f32 v2, v2, v41
	v_add_f32_e32 v11, v11, v59
	v_add_f32_e32 v15, v15, v60
	s_delay_alu instid0(VALU_DEP_4) | instskip(NEXT) | instid1(VALU_DEP_4)
	v_add_f32_e32 v3, v3, v36
	v_add_f32_e32 v1, v1, v62
	s_delay_alu instid0(VALU_DEP_4)
	v_dual_fmac_f32 v74, v77, v78 :: v_dual_add_f32 v11, v11, v63
	v_fma_f32 v76, v76, v80, -v79
	v_add_f32_e32 v15, v15, v70
	v_add_f32_e32 v3, v3, v38
	;; [unrolled: 1-line block ×4, first 2 shown]
	s_delay_alu instid0(VALU_DEP_4) | instskip(NEXT) | instid1(VALU_DEP_4)
	v_add_f32_e32 v15, v15, v72
	v_add_f32_e32 v3, v3, v40
	s_delay_alu instid0(VALU_DEP_4) | instskip(NEXT) | instid1(VALU_DEP_4)
	v_add_f32_e32 v1, v1, v76
	v_add_f32_e32 v11, v11, v74
	s_cbranch_vccz .LBB1251_2
.LBB1251_3:
	s_clause 0x1
	s_load_b128 s[4:7], s[0:1], 0x48
	s_load_b32 s2, s[0:1], 0x0
	v_add_nc_u32_e32 v0, s9, v0
	v_add_nc_u32_e32 v6, s8, v9
	s_delay_alu instid0(VALU_DEP_2) | instskip(NEXT) | instid1(VALU_DEP_2)
	v_ashrrev_i32_e32 v5, 31, v0
	v_cmp_le_i32_e64 s0, v6, v0
	s_waitcnt lgkmcnt(0)
	s_delay_alu instid0(VALU_DEP_2)
	v_mul_lo_u32 v5, v5, s4
	v_mul_lo_u32 v12, v0, s5
	v_mad_u64_u32 v[7:8], null, v0, s4, 0
	s_mul_i32 s1, s15, s7
	s_mul_hi_u32 s3, s15, s6
	s_mul_i32 s6, s15, s6
	s_add_i32 s7, s3, s1
	v_cmp_gt_i32_e32 vcc_lo, s2, v0
	s_lshl_b64 s[6:7], s[6:7], 3
	s_delay_alu instid0(VALU_DEP_2) | instskip(SKIP_3) | instid1(VALU_DEP_1)
	v_add3_u32 v8, v8, v12, v5
	s_add_u32 s3, s30, s6
	s_addc_u32 s6, s31, s7
	s_and_b32 s0, vcc_lo, s0
	v_lshlrev_b64 v[7:8], 3, v[7:8]
	s_delay_alu instid0(VALU_DEP_1) | instskip(NEXT) | instid1(VALU_DEP_1)
	v_add_co_u32 v12, s1, s3, v7
	v_add_co_ci_u32_e64 v13, s1, s6, v8, s1
	s_and_saveexec_b32 s1, s0
	s_cbranch_execz .LBB1251_5
; %bb.4:
	v_ashrrev_i32_e32 v7, 31, v6
	s_delay_alu instid0(VALU_DEP_1) | instskip(NEXT) | instid1(VALU_DEP_1)
	v_lshlrev_b64 v[7:8], 3, v[6:7]
	v_add_co_u32 v7, s0, v12, v7
	s_delay_alu instid0(VALU_DEP_1) | instskip(SKIP_1) | instid1(VALU_DEP_1)
	v_add_co_ci_u32_e64 v8, s0, v13, v8, s0
	v_cmp_ne_u32_e64 s0, v0, v6
	v_cndmask_b32_e64 v5, 0, v15, s0
	global_store_b64 v[7:8], v[4:5], off
.LBB1251_5:
	s_or_b32 exec_lo, exec_lo, s1
	v_add_nc_u32_e32 v8, 16, v6
	s_delay_alu instid0(VALU_DEP_1) | instskip(NEXT) | instid1(VALU_DEP_1)
	v_cmp_le_i32_e64 s0, v8, v0
	s_and_b32 s1, vcc_lo, s0
	s_delay_alu instid0(SALU_CYCLE_1)
	s_and_saveexec_b32 s0, s1
	s_cbranch_execz .LBB1251_7
; %bb.6:
	v_ashrrev_i32_e32 v9, 31, v8
	s_delay_alu instid0(VALU_DEP_1) | instskip(NEXT) | instid1(VALU_DEP_1)
	v_lshlrev_b64 v[4:5], 3, v[8:9]
	v_add_co_u32 v12, vcc_lo, v12, v4
	s_delay_alu instid0(VALU_DEP_2)
	v_add_co_ci_u32_e32 v13, vcc_lo, v13, v5, vcc_lo
	v_cmp_ne_u32_e32 vcc_lo, v0, v8
	v_cndmask_b32_e32 v4, 0, v14, vcc_lo
	global_store_b64 v[12:13], v[3:4], off
.LBB1251_7:
	s_or_b32 exec_lo, exec_lo, s0
	v_add_nc_u32_e32 v4, 16, v0
	s_delay_alu instid0(VALU_DEP_1) | instskip(SKIP_3) | instid1(VALU_DEP_4)
	v_ashrrev_i32_e32 v3, 31, v4
	v_mul_lo_u32 v5, v4, s5
	v_mad_u64_u32 v[12:13], null, v4, s4, 0
	v_cmp_gt_i32_e32 vcc_lo, s2, v4
	v_mul_lo_u32 v3, v3, s4
	v_cmp_le_i32_e64 s0, v6, v4
	s_delay_alu instid0(VALU_DEP_1) | instskip(NEXT) | instid1(VALU_DEP_2)
	s_and_b32 s0, vcc_lo, s0
	v_add3_u32 v13, v13, v5, v3
	s_delay_alu instid0(VALU_DEP_1) | instskip(NEXT) | instid1(VALU_DEP_1)
	v_lshlrev_b64 v[12:13], 3, v[12:13]
	v_add_co_u32 v5, s1, s3, v12
	s_delay_alu instid0(VALU_DEP_1)
	v_add_co_ci_u32_e64 v12, s1, s6, v13, s1
	s_and_saveexec_b32 s1, s0
	s_cbranch_execz .LBB1251_9
; %bb.8:
	v_ashrrev_i32_e32 v7, 31, v6
	s_delay_alu instid0(VALU_DEP_1) | instskip(NEXT) | instid1(VALU_DEP_1)
	v_lshlrev_b64 v[13:14], 3, v[6:7]
	v_add_co_u32 v13, s0, v5, v13
	s_delay_alu instid0(VALU_DEP_1) | instskip(SKIP_1) | instid1(VALU_DEP_1)
	v_add_co_ci_u32_e64 v14, s0, v12, v14, s0
	v_cmp_ne_u32_e64 s0, v4, v6
	v_cndmask_b32_e64 v3, 0, v11, s0
	global_store_b64 v[13:14], v[2:3], off
.LBB1251_9:
	s_or_b32 exec_lo, exec_lo, s1
	v_cmp_le_i32_e64 s0, v8, v4
	s_delay_alu instid0(VALU_DEP_1) | instskip(NEXT) | instid1(SALU_CYCLE_1)
	s_and_b32 s0, vcc_lo, s0
	s_and_saveexec_b32 s1, s0
	s_cbranch_execz .LBB1251_11
; %bb.10:
	v_ashrrev_i32_e32 v9, 31, v8
	s_delay_alu instid0(VALU_DEP_1) | instskip(NEXT) | instid1(VALU_DEP_1)
	v_lshlrev_b64 v[2:3], 3, v[8:9]
	v_add_co_u32 v4, vcc_lo, v5, v2
	s_delay_alu instid0(VALU_DEP_2)
	v_add_co_ci_u32_e32 v5, vcc_lo, v12, v3, vcc_lo
	v_cmp_ne_u32_e32 vcc_lo, v0, v6
	v_cndmask_b32_e32 v2, 0, v10, vcc_lo
	global_store_b64 v[4:5], v[1:2], off
.LBB1251_11:
	s_nop 0
	s_sendmsg sendmsg(MSG_DEALLOC_VGPRS)
	s_endpgm
	.section	.rodata,"a",@progbits
	.p2align	6, 0x0
	.amdhsa_kernel _ZL37rocblas_syrkx_herkx_restricted_kernelIl19rocblas_complex_numIfELi16ELi32ELi8ELi1ELi0ELb1ELc78ELc85EKS1_S1_EviT_PT9_S3_lS5_S3_lPT10_S3_li
		.amdhsa_group_segment_fixed_size 4096
		.amdhsa_private_segment_fixed_size 0
		.amdhsa_kernarg_size 92
		.amdhsa_user_sgpr_count 13
		.amdhsa_user_sgpr_dispatch_ptr 0
		.amdhsa_user_sgpr_queue_ptr 0
		.amdhsa_user_sgpr_kernarg_segment_ptr 1
		.amdhsa_user_sgpr_dispatch_id 0
		.amdhsa_user_sgpr_private_segment_size 0
		.amdhsa_wavefront_size32 1
		.amdhsa_uses_dynamic_stack 0
		.amdhsa_enable_private_segment 0
		.amdhsa_system_sgpr_workgroup_id_x 1
		.amdhsa_system_sgpr_workgroup_id_y 1
		.amdhsa_system_sgpr_workgroup_id_z 1
		.amdhsa_system_sgpr_workgroup_info 0
		.amdhsa_system_vgpr_workitem_id 1
		.amdhsa_next_free_vgpr 88
		.amdhsa_next_free_sgpr 32
		.amdhsa_reserve_vcc 1
		.amdhsa_float_round_mode_32 0
		.amdhsa_float_round_mode_16_64 0
		.amdhsa_float_denorm_mode_32 3
		.amdhsa_float_denorm_mode_16_64 3
		.amdhsa_dx10_clamp 1
		.amdhsa_ieee_mode 1
		.amdhsa_fp16_overflow 0
		.amdhsa_workgroup_processor_mode 1
		.amdhsa_memory_ordered 1
		.amdhsa_forward_progress 0
		.amdhsa_shared_vgpr_count 0
		.amdhsa_exception_fp_ieee_invalid_op 0
		.amdhsa_exception_fp_denorm_src 0
		.amdhsa_exception_fp_ieee_div_zero 0
		.amdhsa_exception_fp_ieee_overflow 0
		.amdhsa_exception_fp_ieee_underflow 0
		.amdhsa_exception_fp_ieee_inexact 0
		.amdhsa_exception_int_div_zero 0
	.end_amdhsa_kernel
	.section	.text._ZL37rocblas_syrkx_herkx_restricted_kernelIl19rocblas_complex_numIfELi16ELi32ELi8ELi1ELi0ELb1ELc78ELc85EKS1_S1_EviT_PT9_S3_lS5_S3_lPT10_S3_li,"axG",@progbits,_ZL37rocblas_syrkx_herkx_restricted_kernelIl19rocblas_complex_numIfELi16ELi32ELi8ELi1ELi0ELb1ELc78ELc85EKS1_S1_EviT_PT9_S3_lS5_S3_lPT10_S3_li,comdat
.Lfunc_end1251:
	.size	_ZL37rocblas_syrkx_herkx_restricted_kernelIl19rocblas_complex_numIfELi16ELi32ELi8ELi1ELi0ELb1ELc78ELc85EKS1_S1_EviT_PT9_S3_lS5_S3_lPT10_S3_li, .Lfunc_end1251-_ZL37rocblas_syrkx_herkx_restricted_kernelIl19rocblas_complex_numIfELi16ELi32ELi8ELi1ELi0ELb1ELc78ELc85EKS1_S1_EviT_PT9_S3_lS5_S3_lPT10_S3_li
                                        ; -- End function
	.section	.AMDGPU.csdata,"",@progbits
; Kernel info:
; codeLenInByte = 2180
; NumSgprs: 34
; NumVgprs: 88
; ScratchSize: 0
; MemoryBound: 0
; FloatMode: 240
; IeeeMode: 1
; LDSByteSize: 4096 bytes/workgroup (compile time only)
; SGPRBlocks: 4
; VGPRBlocks: 10
; NumSGPRsForWavesPerEU: 34
; NumVGPRsForWavesPerEU: 88
; Occupancy: 16
; WaveLimiterHint : 1
; COMPUTE_PGM_RSRC2:SCRATCH_EN: 0
; COMPUTE_PGM_RSRC2:USER_SGPR: 13
; COMPUTE_PGM_RSRC2:TRAP_HANDLER: 0
; COMPUTE_PGM_RSRC2:TGID_X_EN: 1
; COMPUTE_PGM_RSRC2:TGID_Y_EN: 1
; COMPUTE_PGM_RSRC2:TGID_Z_EN: 1
; COMPUTE_PGM_RSRC2:TIDIG_COMP_CNT: 1
	.section	.text._ZL37rocblas_syrkx_herkx_restricted_kernelIl19rocblas_complex_numIfELi16ELi32ELi8ELin1ELi0ELb1ELc84ELc76EKS1_S1_EviT_PT9_S3_lS5_S3_lPT10_S3_li,"axG",@progbits,_ZL37rocblas_syrkx_herkx_restricted_kernelIl19rocblas_complex_numIfELi16ELi32ELi8ELin1ELi0ELb1ELc84ELc76EKS1_S1_EviT_PT9_S3_lS5_S3_lPT10_S3_li,comdat
	.globl	_ZL37rocblas_syrkx_herkx_restricted_kernelIl19rocblas_complex_numIfELi16ELi32ELi8ELin1ELi0ELb1ELc84ELc76EKS1_S1_EviT_PT9_S3_lS5_S3_lPT10_S3_li ; -- Begin function _ZL37rocblas_syrkx_herkx_restricted_kernelIl19rocblas_complex_numIfELi16ELi32ELi8ELin1ELi0ELb1ELc84ELc76EKS1_S1_EviT_PT9_S3_lS5_S3_lPT10_S3_li
	.p2align	8
	.type	_ZL37rocblas_syrkx_herkx_restricted_kernelIl19rocblas_complex_numIfELi16ELi32ELi8ELin1ELi0ELb1ELc84ELc76EKS1_S1_EviT_PT9_S3_lS5_S3_lPT10_S3_li,@function
_ZL37rocblas_syrkx_herkx_restricted_kernelIl19rocblas_complex_numIfELi16ELi32ELi8ELin1ELi0ELb1ELc84ELc76EKS1_S1_EviT_PT9_S3_lS5_S3_lPT10_S3_li: ; @_ZL37rocblas_syrkx_herkx_restricted_kernelIl19rocblas_complex_numIfELi16ELi32ELi8ELin1ELi0ELb1ELc84ELc76EKS1_S1_EviT_PT9_S3_lS5_S3_lPT10_S3_li
; %bb.0:
	s_load_b512 s[16:31], s[0:1], 0x8
	v_dual_mov_b32 v15, 0 :: v_dual_mov_b32 v16, 0
	v_dual_mov_b32 v13, 0 :: v_dual_mov_b32 v12, 0
	;; [unrolled: 1-line block ×3, first 2 shown]
	v_dual_mov_b32 v7, 0 :: v_dual_and_b32 v6, 0x3ff, v0
	v_bfe_u32 v8, v0, 10, 10
	v_mov_b32_e32 v1, 0
	s_lshl_b32 s8, s13, 5
	s_lshl_b32 s9, s14, 5
	s_waitcnt lgkmcnt(0)
	v_cmp_lt_i64_e64 s2, s[16:17], 1
	s_delay_alu instid0(VALU_DEP_1)
	s_and_b32 vcc_lo, exec_lo, s2
	s_cbranch_vccnz .LBB1252_3
; %bb.1:
	v_lshl_add_u32 v2, v8, 4, v6
	v_dual_mov_b32 v1, 0 :: v_dual_and_b32 v0, 7, v6
	s_mul_i32 s3, s23, s15
	s_mul_hi_u32 s4, s22, s15
	s_delay_alu instid0(VALU_DEP_2) | instskip(SKIP_3) | instid1(VALU_DEP_4)
	v_and_b32_e32 v7, 31, v2
	v_lshrrev_b32_e32 v12, 3, v2
	v_lshrrev_b32_e32 v2, 5, v2
	v_dual_mov_b32 v3, v1 :: v_dual_lshlrev_b32 v14, 3, v0
	v_add_nc_u32_e32 v9, s8, v7
	s_delay_alu instid0(VALU_DEP_4)
	v_add_nc_u32_e32 v13, s9, v12
	s_mul_i32 s2, s22, s15
	s_add_i32 s3, s4, s3
	s_mul_hi_u32 s5, s28, s15
	v_ashrrev_i32_e32 v10, 31, v9
	v_ashrrev_i32_e32 v15, 31, v13
	v_mad_u64_u32 v[4:5], null, s20, v9, v[2:3]
	v_mul_lo_u32 v3, s21, v9
	s_delay_alu instid0(VALU_DEP_4)
	v_mul_lo_u32 v16, s20, v10
	v_mul_lo_u32 v17, v13, s27
	v_mad_u64_u32 v[9:10], null, v13, s26, v[0:1]
	v_mul_lo_u32 v13, v15, s26
	v_lshlrev_b32_e32 v0, 3, v7
	v_lshl_or_b32 v7, v12, 6, v14
	s_lshl_b64 s[2:3], s[2:3], 3
	v_add3_u32 v5, v3, v5, v16
	s_add_u32 s4, s18, s2
	s_mul_i32 s2, s29, s15
	v_add_nc_u32_e32 v14, 0x800, v7
	v_add3_u32 v10, v13, v10, v17
	v_mov_b32_e32 v7, v1
	v_lshl_or_b32 v0, v2, 8, v0
	v_lshlrev_b64 v[2:3], 3, v[4:5]
	s_addc_u32 s6, s19, s3
	s_add_i32 s3, s5, s2
	s_mul_i32 s2, s28, s15
	v_lshlrev_b64 v[4:5], 3, v[9:10]
	v_mov_b32_e32 v9, v1
	s_lshl_b64 s[2:3], s[2:3], 3
	v_add_co_u32 v2, vcc_lo, s4, v2
	s_add_u32 s2, s24, s2
	v_add_co_ci_u32_e32 v3, vcc_lo, s6, v3, vcc_lo
	s_addc_u32 s3, s25, s3
	v_add_co_u32 v4, vcc_lo, s2, v4
	v_add_co_ci_u32_e32 v5, vcc_lo, s3, v5, vcc_lo
	v_add_co_u32 v2, vcc_lo, v2, 4
	v_add_co_ci_u32_e32 v3, vcc_lo, 0, v3, vcc_lo
	s_delay_alu instid0(VALU_DEP_4)
	v_add_co_u32 v4, vcc_lo, v4, 4
	v_dual_mov_b32 v10, v1 :: v_dual_lshlrev_b32 v11, 3, v6
	v_lshl_add_u32 v17, v8, 6, 0x800
	v_add_co_ci_u32_e32 v5, vcc_lo, 0, v5, vcc_lo
	v_mov_b32_e32 v12, v1
	v_mov_b32_e32 v13, v1
	;; [unrolled: 1-line block ×4, first 2 shown]
	s_mov_b64 s[2:3], 0
.LBB1252_2:                             ; =>This Inner Loop Header: Depth=1
	global_load_b64 v[18:19], v[2:3], off offset:-4
	global_load_b64 v[20:21], v[4:5], off offset:-4
	s_add_u32 s2, s2, 8
	v_add_co_u32 v2, vcc_lo, v2, 64
	s_addc_u32 s3, s3, 0
	v_add_co_ci_u32_e32 v3, vcc_lo, 0, v3, vcc_lo
	v_cmp_ge_u64_e64 s4, s[2:3], s[16:17]
	v_add_co_u32 v4, vcc_lo, v4, 64
	v_add_co_ci_u32_e32 v5, vcc_lo, 0, v5, vcc_lo
	s_waitcnt vmcnt(1)
	ds_store_b64 v0, v[18:19]
	s_waitcnt vmcnt(0)
	ds_store_b64 v14, v[20:21]
	s_waitcnt lgkmcnt(0)
	s_barrier
	buffer_gl0_inv
	ds_load_2addr_b64 v[18:21], v11 offset1:16
	ds_load_b128 v[22:25], v17
	ds_load_b128 v[26:29], v17 offset:1024
	ds_load_b128 v[30:33], v17 offset:16
	;; [unrolled: 1-line block ×4, first 2 shown]
	ds_load_2addr_b64 v[42:45], v11 offset0:32 offset1:48
	ds_load_2addr_b64 v[46:49], v11 offset0:64 offset1:80
	ds_load_b128 v[50:53], v17 offset:1040
	ds_load_2addr_b64 v[54:57], v11 offset0:96 offset1:112
	ds_load_2addr_b64 v[58:61], v11 offset0:128 offset1:144
	ds_load_2addr_b64 v[62:65], v11 offset0:160 offset1:176
	ds_load_2addr_b64 v[66:69], v11 offset0:192 offset1:208
	ds_load_b128 v[70:73], v17 offset:1056
	ds_load_b128 v[74:77], v17 offset:1072
	ds_load_2addr_b64 v[78:81], v11 offset0:224 offset1:240
	s_and_b32 vcc_lo, exec_lo, s4
	s_waitcnt lgkmcnt(0)
	s_barrier
	buffer_gl0_inv
	v_dual_mul_f32 v82, v23, v19 :: v_dual_mul_f32 v85, v22, v21
	v_dual_mul_f32 v83, v22, v19 :: v_dual_mul_f32 v84, v23, v21
	v_mul_f32_e32 v86, v27, v19
	v_dual_mul_f32 v19, v26, v19 :: v_dual_mul_f32 v90, v25, v45
	v_dual_mul_f32 v87, v27, v21 :: v_dual_mul_f32 v88, v25, v43
	v_mul_f32_e32 v21, v26, v21
	v_fma_f32 v82, v22, v18, -v82
	v_fmac_f32_e32 v83, v23, v18
	v_fma_f32 v22, v22, v20, -v84
	v_fmac_f32_e32 v85, v23, v20
	v_fma_f32 v23, v26, v18, -v86
	v_dual_fmac_f32 v19, v27, v18 :: v_dual_mul_f32 v86, v30, v47
	v_fma_f32 v18, v26, v20, -v87
	v_dual_fmac_f32 v21, v27, v20 :: v_dual_mul_f32 v20, v24, v45
	v_mul_f32_e32 v89, v24, v43
	v_mul_f32_e32 v26, v29, v43
	;; [unrolled: 1-line block ×4, first 2 shown]
	v_fmac_f32_e32 v20, v25, v44
	v_fmac_f32_e32 v89, v25, v42
	v_dual_mul_f32 v25, v28, v45 :: v_dual_fmac_f32 v86, v31, v46
	v_fma_f32 v84, v24, v42, -v88
	v_fma_f32 v24, v24, v44, -v90
	v_dual_mul_f32 v45, v31, v47 :: v_dual_mul_f32 v90, v33, v57
	v_fma_f32 v26, v28, v42, -v26
	v_fma_f32 v28, v28, v44, -v43
	v_fmac_f32_e32 v25, v29, v44
	v_dual_mul_f32 v43, v50, v47 :: v_dual_mul_f32 v44, v51, v49
	v_dual_fmac_f32 v27, v29, v42 :: v_dual_mul_f32 v42, v51, v47
	v_dual_mul_f32 v88, v32, v55 :: v_dual_mul_f32 v29, v30, v49
	v_mul_f32_e32 v87, v31, v49
	v_fma_f32 v45, v30, v46, -v45
	v_add_f32_e32 v16, v16, v83
	s_delay_alu instid0(VALU_DEP_4)
	v_dual_fmac_f32 v88, v33, v54 :: v_dual_fmac_f32 v29, v31, v48
	v_fma_f32 v31, v50, v46, -v42
	v_fma_f32 v42, v50, v48, -v44
	v_mul_f32_e32 v44, v32, v57
	v_mul_f32_e32 v47, v50, v49
	v_dual_mul_f32 v50, v53, v57 :: v_dual_fmac_f32 v43, v51, v46
	v_mul_f32_e32 v46, v53, v55
	v_mul_f32_e32 v49, v33, v55
	v_fma_f32 v30, v30, v48, -v87
	v_fmac_f32_e32 v44, v33, v56
	v_dual_fmac_f32 v47, v51, v48 :: v_dual_mul_f32 v48, v52, v55
	v_mul_f32_e32 v33, v52, v57
	v_fma_f32 v46, v52, v54, -v46
	v_fma_f32 v50, v52, v56, -v50
	v_mul_f32_e32 v52, v34, v61
	v_fma_f32 v49, v32, v54, -v49
	v_fma_f32 v32, v32, v56, -v90
	v_dual_mul_f32 v51, v35, v59 :: v_dual_fmac_f32 v48, v53, v54
	v_mul_f32_e32 v54, v70, v59
	v_dual_mul_f32 v55, v34, v59 :: v_dual_fmac_f32 v52, v35, v60
	v_fmac_f32_e32 v33, v53, v56
	v_mul_f32_e32 v53, v71, v59
	v_mul_f32_e32 v56, v71, v61
	;; [unrolled: 1-line block ×3, first 2 shown]
	v_fmac_f32_e32 v54, v71, v58
	v_fmac_f32_e32 v55, v35, v58
	v_fma_f32 v35, v70, v58, -v53
	v_fma_f32 v53, v70, v60, -v56
	v_mul_f32_e32 v56, v36, v65
	v_mul_f32_e32 v59, v70, v61
	v_fma_f32 v51, v34, v58, -v51
	v_mul_f32_e32 v58, v72, v63
	v_mul_f32_e32 v87, v36, v63
	;; [unrolled: 1-line block ×4, first 2 shown]
	v_fma_f32 v34, v34, v60, -v57
	v_mul_f32_e32 v57, v73, v63
	v_fmac_f32_e32 v56, v37, v64
	v_dual_fmac_f32 v59, v71, v60 :: v_dual_mul_f32 v60, v73, v65
	v_mul_f32_e32 v63, v39, v67
	v_mul_f32_e32 v70, v39, v69
	v_fmac_f32_e32 v58, v73, v62
	v_fmac_f32_e32 v87, v37, v62
	v_mul_f32_e32 v37, v72, v65
	v_fma_f32 v61, v36, v62, -v61
	v_fma_f32 v36, v36, v64, -v90
	v_mul_f32_e32 v65, v38, v67
	v_fma_f32 v57, v72, v62, -v57
	v_fma_f32 v60, v72, v64, -v60
	v_dual_fmac_f32 v37, v73, v64 :: v_dual_mul_f32 v62, v38, v69
	v_mul_f32_e32 v64, v75, v67
	v_fma_f32 v63, v38, v66, -v63
	v_fma_f32 v38, v38, v68, -v70
	v_mul_f32_e32 v70, v76, v79
	v_mul_f32_e32 v67, v74, v67
	v_dual_mul_f32 v71, v75, v69 :: v_dual_add_f32 v10, v10, v19
	v_dual_fmac_f32 v65, v39, v66 :: v_dual_add_f32 v12, v12, v85
	s_delay_alu instid0(VALU_DEP_4) | instskip(NEXT) | instid1(VALU_DEP_4)
	v_fmac_f32_e32 v70, v77, v78
	v_fmac_f32_e32 v67, v75, v66
	;; [unrolled: 1-line block ×3, first 2 shown]
	v_fma_f32 v39, v74, v66, -v64
	v_fma_f32 v64, v74, v68, -v71
	v_dual_mul_f32 v71, v77, v81 :: v_dual_add_f32 v10, v10, v27
	v_dual_mul_f32 v69, v74, v69 :: v_dual_add_f32 v12, v12, v20
	;; [unrolled: 1-line block ×3, first 2 shown]
	s_delay_alu instid0(VALU_DEP_3)
	v_add_f32_e32 v10, v10, v43
	v_mul_f32_e32 v73, v40, v79
	v_mul_f32_e32 v72, v41, v79
	v_dual_mul_f32 v90, v41, v81 :: v_dual_fmac_f32 v69, v75, v68
	v_add_f32_e32 v16, v16, v89
	v_fmac_f32_e32 v66, v41, v80
	v_dual_add_f32 v10, v10, v48 :: v_dual_fmac_f32 v73, v41, v78
	v_add_f32_e32 v12, v12, v29
	v_mul_f32_e32 v41, v76, v81
	v_add_f32_e32 v16, v16, v86
	s_delay_alu instid0(VALU_DEP_4) | instskip(SKIP_4) | instid1(VALU_DEP_3)
	v_add_f32_e32 v10, v10, v54
	v_add_f32_e32 v13, v13, v22
	v_dual_add_f32 v9, v9, v23 :: v_dual_add_f32 v12, v12, v44
	v_fmac_f32_e32 v41, v77, v80
	v_dual_add_f32 v16, v16, v88 :: v_dual_add_f32 v7, v7, v18
	v_dual_add_f32 v1, v1, v21 :: v_dual_add_f32 v12, v12, v52
	;; [unrolled: 1-line block ×3, first 2 shown]
	s_delay_alu instid0(VALU_DEP_3) | instskip(NEXT) | instid1(VALU_DEP_3)
	v_dual_add_f32 v16, v16, v55 :: v_dual_add_f32 v15, v15, v84
	v_dual_add_f32 v9, v9, v26 :: v_dual_add_f32 v12, v12, v56
	s_delay_alu instid0(VALU_DEP_2) | instskip(SKIP_1) | instid1(VALU_DEP_4)
	v_dual_add_f32 v1, v1, v25 :: v_dual_add_f32 v16, v16, v87
	v_add_f32_e32 v7, v7, v28
	v_dual_add_f32 v15, v15, v45 :: v_dual_add_f32 v10, v10, v67
	s_delay_alu instid0(VALU_DEP_4) | instskip(NEXT) | instid1(VALU_DEP_4)
	v_dual_add_f32 v12, v12, v62 :: v_dual_add_f32 v9, v9, v31
	v_dual_add_f32 v1, v1, v47 :: v_dual_add_f32 v16, v16, v65
	s_delay_alu instid0(VALU_DEP_3)
	v_add_f32_e32 v10, v10, v70
	v_add_f32_e32 v13, v13, v30
	;; [unrolled: 1-line block ×15, first 2 shown]
	v_dual_mul_f32 v68, v77, v79 :: v_dual_add_f32 v15, v15, v61
	v_add_f32_e32 v13, v13, v36
	v_add_f32_e32 v7, v7, v60
	s_delay_alu instid0(VALU_DEP_4)
	v_add_f32_e32 v9, v9, v57
	v_add_f32_e32 v1, v1, v37
	v_fma_f32 v72, v40, v78, -v72
	v_fma_f32 v40, v40, v80, -v90
	;; [unrolled: 1-line block ×4, first 2 shown]
	v_add_f32_e32 v15, v15, v63
	v_add_f32_e32 v13, v13, v38
	;; [unrolled: 1-line block ×10, first 2 shown]
	s_cbranch_vccz .LBB1252_2
.LBB1252_3:
	s_load_b128 s[4:7], s[0:1], 0x48
	v_add_nc_u32_e32 v8, s9, v8
	s_load_b32 s9, s[0:1], 0x0
	v_add_nc_u32_e32 v2, s8, v6
	s_delay_alu instid0(VALU_DEP_2) | instskip(NEXT) | instid1(VALU_DEP_2)
	v_ashrrev_i32_e32 v0, 31, v8
	v_cmp_le_i32_e64 s0, v8, v2
	s_waitcnt lgkmcnt(0)
	s_delay_alu instid0(VALU_DEP_2)
	v_mul_lo_u32 v0, v0, s4
	v_mul_lo_u32 v5, v8, s5
	v_mad_u64_u32 v[3:4], null, v8, s4, 0
	s_mul_i32 s1, s15, s7
	s_mul_hi_u32 s3, s15, s6
	s_mul_i32 s2, s15, s6
	s_add_i32 s3, s3, s1
	v_cmp_gt_i32_e32 vcc_lo, s9, v2
	s_lshl_b64 s[2:3], s[2:3], 3
	s_delay_alu instid0(VALU_DEP_2) | instskip(SKIP_3) | instid1(VALU_DEP_1)
	v_add3_u32 v4, v4, v5, v0
	s_add_u32 s2, s30, s2
	s_addc_u32 s3, s31, s3
	s_and_b32 s0, s0, vcc_lo
	v_lshlrev_b64 v[3:4], 3, v[3:4]
	s_delay_alu instid0(VALU_DEP_1) | instskip(NEXT) | instid1(VALU_DEP_1)
	v_add_co_u32 v0, s1, s2, v3
	v_add_co_ci_u32_e64 v6, s1, s3, v4, s1
	s_and_saveexec_b32 s1, s0
	s_cbranch_execz .LBB1252_6
; %bb.4:
	v_ashrrev_i32_e32 v3, 31, v2
	v_xor_b32_e32 v14, 0x80000000, v15
	v_xor_b32_e32 v15, 0x80000000, v16
	s_delay_alu instid0(VALU_DEP_3) | instskip(NEXT) | instid1(VALU_DEP_1)
	v_lshlrev_b64 v[3:4], 3, v[2:3]
	v_add_co_u32 v3, s0, v0, v3
	s_delay_alu instid0(VALU_DEP_1)
	v_add_co_ci_u32_e64 v4, s0, v6, v4, s0
	v_cmp_eq_u32_e64 s0, v8, v2
	global_store_b64 v[3:4], v[14:15], off
	s_and_b32 exec_lo, exec_lo, s0
	s_cbranch_execz .LBB1252_6
; %bb.5:
	v_mov_b32_e32 v5, 0
	global_store_b32 v[3:4], v5, off offset:4
.LBB1252_6:
	s_or_b32 exec_lo, exec_lo, s1
	v_add_nc_u32_e32 v4, 16, v2
	s_delay_alu instid0(VALU_DEP_1) | instskip(SKIP_1) | instid1(VALU_DEP_1)
	v_cmp_le_i32_e64 s1, v8, v4
	v_cmp_gt_i32_e64 s0, s9, v4
	s_and_b32 s1, s1, s0
	s_delay_alu instid0(SALU_CYCLE_1)
	s_and_saveexec_b32 s6, s1
	s_cbranch_execz .LBB1252_9
; %bb.7:
	v_ashrrev_i32_e32 v5, 31, v4
	v_xor_b32_e32 v11, 0x80000000, v13
	v_xor_b32_e32 v12, 0x80000000, v12
	s_delay_alu instid0(VALU_DEP_3) | instskip(NEXT) | instid1(VALU_DEP_1)
	v_lshlrev_b64 v[14:15], 3, v[4:5]
	v_add_co_u32 v5, s1, v0, v14
	s_delay_alu instid0(VALU_DEP_1)
	v_add_co_ci_u32_e64 v6, s1, v6, v15, s1
	v_cmp_eq_u32_e64 s1, v8, v4
	global_store_b64 v[5:6], v[11:12], off
	s_and_b32 exec_lo, exec_lo, s1
	s_cbranch_execz .LBB1252_9
; %bb.8:
	v_mov_b32_e32 v0, 0
	global_store_b32 v[5:6], v0, off offset:4
.LBB1252_9:
	s_or_b32 exec_lo, exec_lo, s6
	v_add_nc_u32_e32 v12, 16, v8
	s_delay_alu instid0(VALU_DEP_1) | instskip(SKIP_3) | instid1(VALU_DEP_4)
	v_ashrrev_i32_e32 v0, 31, v12
	v_mul_lo_u32 v3, v12, s5
	v_mad_u64_u32 v[5:6], null, v12, s4, 0
	v_cmp_le_i32_e64 s1, v12, v2
	v_mul_lo_u32 v0, v0, s4
	s_delay_alu instid0(VALU_DEP_1) | instskip(NEXT) | instid1(VALU_DEP_1)
	v_add3_u32 v6, v6, v3, v0
	v_lshlrev_b64 v[5:6], 3, v[5:6]
	s_delay_alu instid0(VALU_DEP_1) | instskip(NEXT) | instid1(VALU_DEP_1)
	v_add_co_u32 v0, s2, s2, v5
	v_add_co_ci_u32_e64 v11, s2, s3, v6, s2
	s_and_b32 s2, s1, vcc_lo
	s_delay_alu instid0(SALU_CYCLE_1)
	s_and_saveexec_b32 s1, s2
	s_cbranch_execz .LBB1252_12
; %bb.10:
	v_ashrrev_i32_e32 v3, 31, v2
	v_xor_b32_e32 v9, 0x80000000, v9
	v_xor_b32_e32 v10, 0x80000000, v10
	s_delay_alu instid0(VALU_DEP_3) | instskip(NEXT) | instid1(VALU_DEP_1)
	v_lshlrev_b64 v[5:6], 3, v[2:3]
	v_add_co_u32 v5, vcc_lo, v0, v5
	s_delay_alu instid0(VALU_DEP_2)
	v_add_co_ci_u32_e32 v6, vcc_lo, v11, v6, vcc_lo
	v_cmp_eq_u32_e32 vcc_lo, v12, v2
	global_store_b64 v[5:6], v[9:10], off
	s_and_b32 exec_lo, exec_lo, vcc_lo
	s_cbranch_execz .LBB1252_12
; %bb.11:
	v_mov_b32_e32 v3, 0
	global_store_b32 v[5:6], v3, off offset:4
.LBB1252_12:
	s_or_b32 exec_lo, exec_lo, s1
	v_cmp_le_i32_e32 vcc_lo, v12, v4
	s_and_b32 s0, vcc_lo, s0
	s_delay_alu instid0(SALU_CYCLE_1)
	s_and_saveexec_b32 s1, s0
	s_cbranch_execz .LBB1252_15
; %bb.13:
	v_ashrrev_i32_e32 v5, 31, v4
	v_xor_b32_e32 v6, 0x80000000, v1
	s_delay_alu instid0(VALU_DEP_2) | instskip(SKIP_1) | instid1(VALU_DEP_2)
	v_lshlrev_b64 v[3:4], 3, v[4:5]
	v_xor_b32_e32 v5, 0x80000000, v7
	v_add_co_u32 v0, vcc_lo, v0, v3
	s_delay_alu instid0(VALU_DEP_3)
	v_add_co_ci_u32_e32 v1, vcc_lo, v11, v4, vcc_lo
	v_cmp_eq_u32_e32 vcc_lo, v8, v2
	global_store_b64 v[0:1], v[5:6], off
	s_and_b32 exec_lo, exec_lo, vcc_lo
	s_cbranch_execz .LBB1252_15
; %bb.14:
	v_mov_b32_e32 v2, 0
	global_store_b32 v[0:1], v2, off offset:4
.LBB1252_15:
	s_nop 0
	s_sendmsg sendmsg(MSG_DEALLOC_VGPRS)
	s_endpgm
	.section	.rodata,"a",@progbits
	.p2align	6, 0x0
	.amdhsa_kernel _ZL37rocblas_syrkx_herkx_restricted_kernelIl19rocblas_complex_numIfELi16ELi32ELi8ELin1ELi0ELb1ELc84ELc76EKS1_S1_EviT_PT9_S3_lS5_S3_lPT10_S3_li
		.amdhsa_group_segment_fixed_size 4096
		.amdhsa_private_segment_fixed_size 0
		.amdhsa_kernarg_size 92
		.amdhsa_user_sgpr_count 13
		.amdhsa_user_sgpr_dispatch_ptr 0
		.amdhsa_user_sgpr_queue_ptr 0
		.amdhsa_user_sgpr_kernarg_segment_ptr 1
		.amdhsa_user_sgpr_dispatch_id 0
		.amdhsa_user_sgpr_private_segment_size 0
		.amdhsa_wavefront_size32 1
		.amdhsa_uses_dynamic_stack 0
		.amdhsa_enable_private_segment 0
		.amdhsa_system_sgpr_workgroup_id_x 1
		.amdhsa_system_sgpr_workgroup_id_y 1
		.amdhsa_system_sgpr_workgroup_id_z 1
		.amdhsa_system_sgpr_workgroup_info 0
		.amdhsa_system_vgpr_workitem_id 1
		.amdhsa_next_free_vgpr 91
		.amdhsa_next_free_sgpr 32
		.amdhsa_reserve_vcc 1
		.amdhsa_float_round_mode_32 0
		.amdhsa_float_round_mode_16_64 0
		.amdhsa_float_denorm_mode_32 3
		.amdhsa_float_denorm_mode_16_64 3
		.amdhsa_dx10_clamp 1
		.amdhsa_ieee_mode 1
		.amdhsa_fp16_overflow 0
		.amdhsa_workgroup_processor_mode 1
		.amdhsa_memory_ordered 1
		.amdhsa_forward_progress 0
		.amdhsa_shared_vgpr_count 0
		.amdhsa_exception_fp_ieee_invalid_op 0
		.amdhsa_exception_fp_denorm_src 0
		.amdhsa_exception_fp_ieee_div_zero 0
		.amdhsa_exception_fp_ieee_overflow 0
		.amdhsa_exception_fp_ieee_underflow 0
		.amdhsa_exception_fp_ieee_inexact 0
		.amdhsa_exception_int_div_zero 0
	.end_amdhsa_kernel
	.section	.text._ZL37rocblas_syrkx_herkx_restricted_kernelIl19rocblas_complex_numIfELi16ELi32ELi8ELin1ELi0ELb1ELc84ELc76EKS1_S1_EviT_PT9_S3_lS5_S3_lPT10_S3_li,"axG",@progbits,_ZL37rocblas_syrkx_herkx_restricted_kernelIl19rocblas_complex_numIfELi16ELi32ELi8ELin1ELi0ELb1ELc84ELc76EKS1_S1_EviT_PT9_S3_lS5_S3_lPT10_S3_li,comdat
.Lfunc_end1252:
	.size	_ZL37rocblas_syrkx_herkx_restricted_kernelIl19rocblas_complex_numIfELi16ELi32ELi8ELin1ELi0ELb1ELc84ELc76EKS1_S1_EviT_PT9_S3_lS5_S3_lPT10_S3_li, .Lfunc_end1252-_ZL37rocblas_syrkx_herkx_restricted_kernelIl19rocblas_complex_numIfELi16ELi32ELi8ELin1ELi0ELb1ELc84ELc76EKS1_S1_EviT_PT9_S3_lS5_S3_lPT10_S3_li
                                        ; -- End function
	.section	.AMDGPU.csdata,"",@progbits
; Kernel info:
; codeLenInByte = 2272
; NumSgprs: 34
; NumVgprs: 91
; ScratchSize: 0
; MemoryBound: 0
; FloatMode: 240
; IeeeMode: 1
; LDSByteSize: 4096 bytes/workgroup (compile time only)
; SGPRBlocks: 4
; VGPRBlocks: 11
; NumSGPRsForWavesPerEU: 34
; NumVGPRsForWavesPerEU: 91
; Occupancy: 16
; WaveLimiterHint : 1
; COMPUTE_PGM_RSRC2:SCRATCH_EN: 0
; COMPUTE_PGM_RSRC2:USER_SGPR: 13
; COMPUTE_PGM_RSRC2:TRAP_HANDLER: 0
; COMPUTE_PGM_RSRC2:TGID_X_EN: 1
; COMPUTE_PGM_RSRC2:TGID_Y_EN: 1
; COMPUTE_PGM_RSRC2:TGID_Z_EN: 1
; COMPUTE_PGM_RSRC2:TIDIG_COMP_CNT: 1
	.section	.text._ZL37rocblas_syrkx_herkx_restricted_kernelIl19rocblas_complex_numIfELi16ELi32ELi8ELin1ELi0ELb1ELc67ELc76EKS1_S1_EviT_PT9_S3_lS5_S3_lPT10_S3_li,"axG",@progbits,_ZL37rocblas_syrkx_herkx_restricted_kernelIl19rocblas_complex_numIfELi16ELi32ELi8ELin1ELi0ELb1ELc67ELc76EKS1_S1_EviT_PT9_S3_lS5_S3_lPT10_S3_li,comdat
	.globl	_ZL37rocblas_syrkx_herkx_restricted_kernelIl19rocblas_complex_numIfELi16ELi32ELi8ELin1ELi0ELb1ELc67ELc76EKS1_S1_EviT_PT9_S3_lS5_S3_lPT10_S3_li ; -- Begin function _ZL37rocblas_syrkx_herkx_restricted_kernelIl19rocblas_complex_numIfELi16ELi32ELi8ELin1ELi0ELb1ELc67ELc76EKS1_S1_EviT_PT9_S3_lS5_S3_lPT10_S3_li
	.p2align	8
	.type	_ZL37rocblas_syrkx_herkx_restricted_kernelIl19rocblas_complex_numIfELi16ELi32ELi8ELin1ELi0ELb1ELc67ELc76EKS1_S1_EviT_PT9_S3_lS5_S3_lPT10_S3_li,@function
_ZL37rocblas_syrkx_herkx_restricted_kernelIl19rocblas_complex_numIfELi16ELi32ELi8ELin1ELi0ELb1ELc67ELc76EKS1_S1_EviT_PT9_S3_lS5_S3_lPT10_S3_li: ; @_ZL37rocblas_syrkx_herkx_restricted_kernelIl19rocblas_complex_numIfELi16ELi32ELi8ELin1ELi0ELb1ELc67ELc76EKS1_S1_EviT_PT9_S3_lS5_S3_lPT10_S3_li
; %bb.0:
	s_load_b512 s[16:31], s[0:1], 0x8
	v_dual_mov_b32 v15, 0 :: v_dual_mov_b32 v16, 0
	v_dual_mov_b32 v13, 0 :: v_dual_mov_b32 v12, 0
	;; [unrolled: 1-line block ×3, first 2 shown]
	v_dual_mov_b32 v7, 0 :: v_dual_and_b32 v6, 0x3ff, v0
	v_bfe_u32 v8, v0, 10, 10
	v_mov_b32_e32 v1, 0
	s_lshl_b32 s8, s13, 5
	s_lshl_b32 s9, s14, 5
	s_waitcnt lgkmcnt(0)
	v_cmp_lt_i64_e64 s2, s[16:17], 1
	s_delay_alu instid0(VALU_DEP_1)
	s_and_b32 vcc_lo, exec_lo, s2
	s_cbranch_vccnz .LBB1253_3
; %bb.1:
	v_lshl_add_u32 v2, v8, 4, v6
	v_dual_mov_b32 v1, 0 :: v_dual_and_b32 v0, 7, v6
	s_mul_i32 s3, s23, s15
	s_mul_hi_u32 s4, s22, s15
	s_delay_alu instid0(VALU_DEP_2) | instskip(SKIP_3) | instid1(VALU_DEP_4)
	v_and_b32_e32 v7, 31, v2
	v_lshrrev_b32_e32 v12, 3, v2
	v_lshrrev_b32_e32 v2, 5, v2
	v_dual_mov_b32 v3, v1 :: v_dual_lshlrev_b32 v14, 3, v0
	v_add_nc_u32_e32 v9, s8, v7
	s_delay_alu instid0(VALU_DEP_4)
	v_add_nc_u32_e32 v13, s9, v12
	s_mul_i32 s2, s22, s15
	s_add_i32 s3, s4, s3
	s_mul_hi_u32 s5, s28, s15
	v_ashrrev_i32_e32 v10, 31, v9
	v_ashrrev_i32_e32 v15, 31, v13
	v_mad_u64_u32 v[4:5], null, s20, v9, v[2:3]
	v_mul_lo_u32 v3, s21, v9
	s_delay_alu instid0(VALU_DEP_4)
	v_mul_lo_u32 v16, s20, v10
	v_mul_lo_u32 v17, v13, s27
	v_mad_u64_u32 v[9:10], null, v13, s26, v[0:1]
	v_mul_lo_u32 v13, v15, s26
	v_lshlrev_b32_e32 v0, 3, v7
	v_lshl_or_b32 v7, v12, 6, v14
	s_lshl_b64 s[2:3], s[2:3], 3
	v_add3_u32 v5, v3, v5, v16
	s_add_u32 s4, s18, s2
	s_mul_i32 s2, s29, s15
	v_add_nc_u32_e32 v14, 0x800, v7
	v_add3_u32 v10, v13, v10, v17
	v_mov_b32_e32 v7, v1
	v_lshl_or_b32 v0, v2, 8, v0
	v_lshlrev_b64 v[2:3], 3, v[4:5]
	s_addc_u32 s6, s19, s3
	s_add_i32 s3, s5, s2
	s_mul_i32 s2, s28, s15
	v_lshlrev_b64 v[4:5], 3, v[9:10]
	v_mov_b32_e32 v9, v1
	s_lshl_b64 s[2:3], s[2:3], 3
	v_add_co_u32 v2, vcc_lo, s4, v2
	s_add_u32 s2, s24, s2
	v_add_co_ci_u32_e32 v3, vcc_lo, s6, v3, vcc_lo
	s_addc_u32 s3, s25, s3
	v_add_co_u32 v4, vcc_lo, s2, v4
	v_add_co_ci_u32_e32 v5, vcc_lo, s3, v5, vcc_lo
	v_add_co_u32 v2, vcc_lo, v2, 4
	v_add_co_ci_u32_e32 v3, vcc_lo, 0, v3, vcc_lo
	s_delay_alu instid0(VALU_DEP_4)
	v_add_co_u32 v4, vcc_lo, v4, 4
	v_dual_mov_b32 v10, v1 :: v_dual_lshlrev_b32 v11, 3, v6
	v_lshl_add_u32 v17, v8, 6, 0x800
	v_add_co_ci_u32_e32 v5, vcc_lo, 0, v5, vcc_lo
	v_mov_b32_e32 v12, v1
	v_mov_b32_e32 v13, v1
	;; [unrolled: 1-line block ×4, first 2 shown]
	s_mov_b64 s[2:3], 0
.LBB1253_2:                             ; =>This Inner Loop Header: Depth=1
	global_load_b64 v[18:19], v[2:3], off offset:-4
	global_load_b64 v[20:21], v[4:5], off offset:-4
	s_add_u32 s2, s2, 8
	v_add_co_u32 v2, vcc_lo, v2, 64
	s_addc_u32 s3, s3, 0
	v_add_co_ci_u32_e32 v3, vcc_lo, 0, v3, vcc_lo
	v_cmp_ge_u64_e64 s4, s[2:3], s[16:17]
	v_add_co_u32 v4, vcc_lo, v4, 64
	v_add_co_ci_u32_e32 v5, vcc_lo, 0, v5, vcc_lo
	s_delay_alu instid0(VALU_DEP_3)
	s_and_b32 vcc_lo, exec_lo, s4
	s_waitcnt vmcnt(1)
	v_xor_b32_e32 v19, 0x80000000, v19
	ds_store_b64 v0, v[18:19]
	s_waitcnt vmcnt(0)
	ds_store_b64 v14, v[20:21]
	s_waitcnt lgkmcnt(0)
	s_barrier
	buffer_gl0_inv
	ds_load_2addr_b64 v[18:21], v11 offset1:16
	ds_load_b128 v[22:25], v17
	ds_load_b128 v[26:29], v17 offset:1024
	ds_load_b128 v[30:33], v17 offset:16
	;; [unrolled: 1-line block ×4, first 2 shown]
	ds_load_2addr_b64 v[42:45], v11 offset0:32 offset1:48
	ds_load_2addr_b64 v[46:49], v11 offset0:64 offset1:80
	ds_load_b128 v[50:53], v17 offset:1040
	ds_load_2addr_b64 v[54:57], v11 offset0:96 offset1:112
	ds_load_2addr_b64 v[58:61], v11 offset0:128 offset1:144
	;; [unrolled: 1-line block ×4, first 2 shown]
	ds_load_b128 v[70:73], v17 offset:1056
	ds_load_b128 v[74:77], v17 offset:1072
	ds_load_2addr_b64 v[78:81], v11 offset0:224 offset1:240
	s_waitcnt lgkmcnt(0)
	s_barrier
	buffer_gl0_inv
	v_dual_mul_f32 v82, v23, v19 :: v_dual_mul_f32 v85, v22, v21
	v_dual_mul_f32 v83, v22, v19 :: v_dual_mul_f32 v84, v23, v21
	v_mul_f32_e32 v86, v27, v19
	v_dual_mul_f32 v19, v26, v19 :: v_dual_mul_f32 v90, v25, v45
	v_dual_mul_f32 v87, v27, v21 :: v_dual_mul_f32 v88, v25, v43
	v_mul_f32_e32 v21, v26, v21
	v_fma_f32 v82, v22, v18, -v82
	v_fmac_f32_e32 v83, v23, v18
	v_fma_f32 v22, v22, v20, -v84
	v_fmac_f32_e32 v85, v23, v20
	v_fma_f32 v23, v26, v18, -v86
	v_dual_fmac_f32 v19, v27, v18 :: v_dual_mul_f32 v86, v30, v47
	v_fma_f32 v18, v26, v20, -v87
	v_dual_fmac_f32 v21, v27, v20 :: v_dual_mul_f32 v20, v24, v45
	v_mul_f32_e32 v89, v24, v43
	v_mul_f32_e32 v26, v29, v43
	;; [unrolled: 1-line block ×4, first 2 shown]
	v_fmac_f32_e32 v20, v25, v44
	v_fmac_f32_e32 v89, v25, v42
	v_dual_mul_f32 v25, v28, v45 :: v_dual_fmac_f32 v86, v31, v46
	v_fma_f32 v84, v24, v42, -v88
	v_fma_f32 v24, v24, v44, -v90
	v_dual_mul_f32 v45, v31, v47 :: v_dual_mul_f32 v90, v33, v57
	v_fma_f32 v26, v28, v42, -v26
	v_fma_f32 v28, v28, v44, -v43
	v_fmac_f32_e32 v25, v29, v44
	v_dual_mul_f32 v43, v50, v47 :: v_dual_mul_f32 v44, v51, v49
	v_dual_fmac_f32 v27, v29, v42 :: v_dual_mul_f32 v42, v51, v47
	v_dual_mul_f32 v88, v32, v55 :: v_dual_mul_f32 v29, v30, v49
	v_mul_f32_e32 v87, v31, v49
	v_fma_f32 v45, v30, v46, -v45
	v_add_f32_e32 v16, v16, v83
	s_delay_alu instid0(VALU_DEP_4)
	v_dual_fmac_f32 v88, v33, v54 :: v_dual_fmac_f32 v29, v31, v48
	v_fma_f32 v31, v50, v46, -v42
	v_fma_f32 v42, v50, v48, -v44
	v_mul_f32_e32 v44, v32, v57
	v_mul_f32_e32 v47, v50, v49
	v_dual_mul_f32 v50, v53, v57 :: v_dual_fmac_f32 v43, v51, v46
	v_mul_f32_e32 v46, v53, v55
	v_mul_f32_e32 v49, v33, v55
	v_fma_f32 v30, v30, v48, -v87
	v_fmac_f32_e32 v44, v33, v56
	v_dual_fmac_f32 v47, v51, v48 :: v_dual_mul_f32 v48, v52, v55
	v_mul_f32_e32 v33, v52, v57
	v_fma_f32 v46, v52, v54, -v46
	v_fma_f32 v50, v52, v56, -v50
	v_mul_f32_e32 v52, v34, v61
	v_fma_f32 v49, v32, v54, -v49
	v_fma_f32 v32, v32, v56, -v90
	v_dual_mul_f32 v51, v35, v59 :: v_dual_fmac_f32 v48, v53, v54
	v_mul_f32_e32 v54, v70, v59
	v_dual_mul_f32 v55, v34, v59 :: v_dual_fmac_f32 v52, v35, v60
	v_fmac_f32_e32 v33, v53, v56
	v_mul_f32_e32 v53, v71, v59
	v_mul_f32_e32 v56, v71, v61
	;; [unrolled: 1-line block ×3, first 2 shown]
	v_fmac_f32_e32 v54, v71, v58
	v_fmac_f32_e32 v55, v35, v58
	v_fma_f32 v35, v70, v58, -v53
	v_fma_f32 v53, v70, v60, -v56
	v_mul_f32_e32 v56, v36, v65
	v_mul_f32_e32 v59, v70, v61
	v_fma_f32 v51, v34, v58, -v51
	v_mul_f32_e32 v58, v72, v63
	v_mul_f32_e32 v87, v36, v63
	;; [unrolled: 1-line block ×4, first 2 shown]
	v_fma_f32 v34, v34, v60, -v57
	v_mul_f32_e32 v57, v73, v63
	v_fmac_f32_e32 v56, v37, v64
	v_dual_fmac_f32 v59, v71, v60 :: v_dual_mul_f32 v60, v73, v65
	v_mul_f32_e32 v63, v39, v67
	v_mul_f32_e32 v70, v39, v69
	v_fmac_f32_e32 v58, v73, v62
	v_fmac_f32_e32 v87, v37, v62
	v_mul_f32_e32 v37, v72, v65
	v_fma_f32 v61, v36, v62, -v61
	v_fma_f32 v36, v36, v64, -v90
	v_mul_f32_e32 v65, v38, v67
	v_fma_f32 v57, v72, v62, -v57
	v_fma_f32 v60, v72, v64, -v60
	v_dual_fmac_f32 v37, v73, v64 :: v_dual_mul_f32 v62, v38, v69
	v_mul_f32_e32 v64, v75, v67
	v_fma_f32 v63, v38, v66, -v63
	v_fma_f32 v38, v38, v68, -v70
	v_mul_f32_e32 v70, v76, v79
	v_mul_f32_e32 v67, v74, v67
	v_dual_mul_f32 v71, v75, v69 :: v_dual_add_f32 v10, v10, v19
	v_dual_fmac_f32 v65, v39, v66 :: v_dual_add_f32 v12, v12, v85
	s_delay_alu instid0(VALU_DEP_4) | instskip(NEXT) | instid1(VALU_DEP_4)
	v_fmac_f32_e32 v70, v77, v78
	v_fmac_f32_e32 v67, v75, v66
	;; [unrolled: 1-line block ×3, first 2 shown]
	v_fma_f32 v39, v74, v66, -v64
	v_fma_f32 v64, v74, v68, -v71
	v_dual_mul_f32 v71, v77, v81 :: v_dual_add_f32 v10, v10, v27
	v_dual_mul_f32 v69, v74, v69 :: v_dual_add_f32 v12, v12, v20
	;; [unrolled: 1-line block ×3, first 2 shown]
	s_delay_alu instid0(VALU_DEP_3)
	v_add_f32_e32 v10, v10, v43
	v_mul_f32_e32 v73, v40, v79
	v_mul_f32_e32 v72, v41, v79
	v_dual_mul_f32 v90, v41, v81 :: v_dual_fmac_f32 v69, v75, v68
	v_add_f32_e32 v16, v16, v89
	v_fmac_f32_e32 v66, v41, v80
	v_dual_add_f32 v10, v10, v48 :: v_dual_fmac_f32 v73, v41, v78
	v_add_f32_e32 v12, v12, v29
	v_mul_f32_e32 v41, v76, v81
	v_add_f32_e32 v16, v16, v86
	s_delay_alu instid0(VALU_DEP_4) | instskip(SKIP_4) | instid1(VALU_DEP_3)
	v_add_f32_e32 v10, v10, v54
	v_add_f32_e32 v13, v13, v22
	v_dual_add_f32 v9, v9, v23 :: v_dual_add_f32 v12, v12, v44
	v_fmac_f32_e32 v41, v77, v80
	v_dual_add_f32 v16, v16, v88 :: v_dual_add_f32 v7, v7, v18
	v_dual_add_f32 v1, v1, v21 :: v_dual_add_f32 v12, v12, v52
	v_dual_add_f32 v13, v13, v24 :: v_dual_add_f32 v10, v10, v58
	s_delay_alu instid0(VALU_DEP_3) | instskip(NEXT) | instid1(VALU_DEP_3)
	v_dual_add_f32 v16, v16, v55 :: v_dual_add_f32 v15, v15, v84
	v_dual_add_f32 v9, v9, v26 :: v_dual_add_f32 v12, v12, v56
	s_delay_alu instid0(VALU_DEP_2) | instskip(SKIP_1) | instid1(VALU_DEP_4)
	v_dual_add_f32 v1, v1, v25 :: v_dual_add_f32 v16, v16, v87
	v_add_f32_e32 v7, v7, v28
	v_dual_add_f32 v15, v15, v45 :: v_dual_add_f32 v10, v10, v67
	s_delay_alu instid0(VALU_DEP_4) | instskip(NEXT) | instid1(VALU_DEP_4)
	v_dual_add_f32 v12, v12, v62 :: v_dual_add_f32 v9, v9, v31
	v_dual_add_f32 v1, v1, v47 :: v_dual_add_f32 v16, v16, v65
	s_delay_alu instid0(VALU_DEP_3)
	v_add_f32_e32 v10, v10, v70
	v_add_f32_e32 v13, v13, v30
	;; [unrolled: 1-line block ×15, first 2 shown]
	v_dual_mul_f32 v68, v77, v79 :: v_dual_add_f32 v15, v15, v61
	v_add_f32_e32 v13, v13, v36
	v_add_f32_e32 v7, v7, v60
	s_delay_alu instid0(VALU_DEP_4)
	v_add_f32_e32 v9, v9, v57
	v_add_f32_e32 v1, v1, v37
	v_fma_f32 v72, v40, v78, -v72
	v_fma_f32 v40, v40, v80, -v90
	;; [unrolled: 1-line block ×4, first 2 shown]
	v_add_f32_e32 v15, v15, v63
	v_add_f32_e32 v13, v13, v38
	;; [unrolled: 1-line block ×10, first 2 shown]
	s_cbranch_vccz .LBB1253_2
.LBB1253_3:
	s_load_b128 s[4:7], s[0:1], 0x48
	v_add_nc_u32_e32 v8, s9, v8
	s_load_b32 s9, s[0:1], 0x0
	v_add_nc_u32_e32 v2, s8, v6
	s_delay_alu instid0(VALU_DEP_2) | instskip(NEXT) | instid1(VALU_DEP_2)
	v_ashrrev_i32_e32 v0, 31, v8
	v_cmp_le_i32_e64 s0, v8, v2
	s_waitcnt lgkmcnt(0)
	s_delay_alu instid0(VALU_DEP_2)
	v_mul_lo_u32 v0, v0, s4
	v_mul_lo_u32 v5, v8, s5
	v_mad_u64_u32 v[3:4], null, v8, s4, 0
	s_mul_i32 s1, s15, s7
	s_mul_hi_u32 s3, s15, s6
	s_mul_i32 s2, s15, s6
	s_add_i32 s3, s3, s1
	v_cmp_gt_i32_e32 vcc_lo, s9, v2
	s_lshl_b64 s[2:3], s[2:3], 3
	s_delay_alu instid0(VALU_DEP_2) | instskip(SKIP_3) | instid1(VALU_DEP_1)
	v_add3_u32 v4, v4, v5, v0
	s_add_u32 s2, s30, s2
	s_addc_u32 s3, s31, s3
	s_and_b32 s0, s0, vcc_lo
	v_lshlrev_b64 v[3:4], 3, v[3:4]
	s_delay_alu instid0(VALU_DEP_1) | instskip(NEXT) | instid1(VALU_DEP_1)
	v_add_co_u32 v0, s1, s2, v3
	v_add_co_ci_u32_e64 v6, s1, s3, v4, s1
	s_and_saveexec_b32 s1, s0
	s_cbranch_execz .LBB1253_6
; %bb.4:
	v_ashrrev_i32_e32 v3, 31, v2
	v_xor_b32_e32 v14, 0x80000000, v15
	v_xor_b32_e32 v15, 0x80000000, v16
	s_delay_alu instid0(VALU_DEP_3) | instskip(NEXT) | instid1(VALU_DEP_1)
	v_lshlrev_b64 v[3:4], 3, v[2:3]
	v_add_co_u32 v3, s0, v0, v3
	s_delay_alu instid0(VALU_DEP_1)
	v_add_co_ci_u32_e64 v4, s0, v6, v4, s0
	v_cmp_eq_u32_e64 s0, v8, v2
	global_store_b64 v[3:4], v[14:15], off
	s_and_b32 exec_lo, exec_lo, s0
	s_cbranch_execz .LBB1253_6
; %bb.5:
	v_mov_b32_e32 v5, 0
	global_store_b32 v[3:4], v5, off offset:4
.LBB1253_6:
	s_or_b32 exec_lo, exec_lo, s1
	v_add_nc_u32_e32 v4, 16, v2
	s_delay_alu instid0(VALU_DEP_1) | instskip(SKIP_1) | instid1(VALU_DEP_1)
	v_cmp_le_i32_e64 s1, v8, v4
	v_cmp_gt_i32_e64 s0, s9, v4
	s_and_b32 s1, s1, s0
	s_delay_alu instid0(SALU_CYCLE_1)
	s_and_saveexec_b32 s6, s1
	s_cbranch_execz .LBB1253_9
; %bb.7:
	v_ashrrev_i32_e32 v5, 31, v4
	v_xor_b32_e32 v11, 0x80000000, v13
	v_xor_b32_e32 v12, 0x80000000, v12
	s_delay_alu instid0(VALU_DEP_3) | instskip(NEXT) | instid1(VALU_DEP_1)
	v_lshlrev_b64 v[14:15], 3, v[4:5]
	v_add_co_u32 v5, s1, v0, v14
	s_delay_alu instid0(VALU_DEP_1)
	v_add_co_ci_u32_e64 v6, s1, v6, v15, s1
	v_cmp_eq_u32_e64 s1, v8, v4
	global_store_b64 v[5:6], v[11:12], off
	s_and_b32 exec_lo, exec_lo, s1
	s_cbranch_execz .LBB1253_9
; %bb.8:
	v_mov_b32_e32 v0, 0
	global_store_b32 v[5:6], v0, off offset:4
.LBB1253_9:
	s_or_b32 exec_lo, exec_lo, s6
	v_add_nc_u32_e32 v12, 16, v8
	s_delay_alu instid0(VALU_DEP_1) | instskip(SKIP_3) | instid1(VALU_DEP_4)
	v_ashrrev_i32_e32 v0, 31, v12
	v_mul_lo_u32 v3, v12, s5
	v_mad_u64_u32 v[5:6], null, v12, s4, 0
	v_cmp_le_i32_e64 s1, v12, v2
	v_mul_lo_u32 v0, v0, s4
	s_delay_alu instid0(VALU_DEP_1) | instskip(NEXT) | instid1(VALU_DEP_1)
	v_add3_u32 v6, v6, v3, v0
	v_lshlrev_b64 v[5:6], 3, v[5:6]
	s_delay_alu instid0(VALU_DEP_1) | instskip(NEXT) | instid1(VALU_DEP_1)
	v_add_co_u32 v0, s2, s2, v5
	v_add_co_ci_u32_e64 v11, s2, s3, v6, s2
	s_and_b32 s2, s1, vcc_lo
	s_delay_alu instid0(SALU_CYCLE_1)
	s_and_saveexec_b32 s1, s2
	s_cbranch_execz .LBB1253_12
; %bb.10:
	v_ashrrev_i32_e32 v3, 31, v2
	v_xor_b32_e32 v9, 0x80000000, v9
	v_xor_b32_e32 v10, 0x80000000, v10
	s_delay_alu instid0(VALU_DEP_3) | instskip(NEXT) | instid1(VALU_DEP_1)
	v_lshlrev_b64 v[5:6], 3, v[2:3]
	v_add_co_u32 v5, vcc_lo, v0, v5
	s_delay_alu instid0(VALU_DEP_2)
	v_add_co_ci_u32_e32 v6, vcc_lo, v11, v6, vcc_lo
	v_cmp_eq_u32_e32 vcc_lo, v12, v2
	global_store_b64 v[5:6], v[9:10], off
	s_and_b32 exec_lo, exec_lo, vcc_lo
	s_cbranch_execz .LBB1253_12
; %bb.11:
	v_mov_b32_e32 v3, 0
	global_store_b32 v[5:6], v3, off offset:4
.LBB1253_12:
	s_or_b32 exec_lo, exec_lo, s1
	v_cmp_le_i32_e32 vcc_lo, v12, v4
	s_and_b32 s0, vcc_lo, s0
	s_delay_alu instid0(SALU_CYCLE_1)
	s_and_saveexec_b32 s1, s0
	s_cbranch_execz .LBB1253_15
; %bb.13:
	v_ashrrev_i32_e32 v5, 31, v4
	v_xor_b32_e32 v6, 0x80000000, v1
	s_delay_alu instid0(VALU_DEP_2) | instskip(SKIP_1) | instid1(VALU_DEP_2)
	v_lshlrev_b64 v[3:4], 3, v[4:5]
	v_xor_b32_e32 v5, 0x80000000, v7
	v_add_co_u32 v0, vcc_lo, v0, v3
	s_delay_alu instid0(VALU_DEP_3)
	v_add_co_ci_u32_e32 v1, vcc_lo, v11, v4, vcc_lo
	v_cmp_eq_u32_e32 vcc_lo, v8, v2
	global_store_b64 v[0:1], v[5:6], off
	s_and_b32 exec_lo, exec_lo, vcc_lo
	s_cbranch_execz .LBB1253_15
; %bb.14:
	v_mov_b32_e32 v2, 0
	global_store_b32 v[0:1], v2, off offset:4
.LBB1253_15:
	s_nop 0
	s_sendmsg sendmsg(MSG_DEALLOC_VGPRS)
	s_endpgm
	.section	.rodata,"a",@progbits
	.p2align	6, 0x0
	.amdhsa_kernel _ZL37rocblas_syrkx_herkx_restricted_kernelIl19rocblas_complex_numIfELi16ELi32ELi8ELin1ELi0ELb1ELc67ELc76EKS1_S1_EviT_PT9_S3_lS5_S3_lPT10_S3_li
		.amdhsa_group_segment_fixed_size 4096
		.amdhsa_private_segment_fixed_size 0
		.amdhsa_kernarg_size 92
		.amdhsa_user_sgpr_count 13
		.amdhsa_user_sgpr_dispatch_ptr 0
		.amdhsa_user_sgpr_queue_ptr 0
		.amdhsa_user_sgpr_kernarg_segment_ptr 1
		.amdhsa_user_sgpr_dispatch_id 0
		.amdhsa_user_sgpr_private_segment_size 0
		.amdhsa_wavefront_size32 1
		.amdhsa_uses_dynamic_stack 0
		.amdhsa_enable_private_segment 0
		.amdhsa_system_sgpr_workgroup_id_x 1
		.amdhsa_system_sgpr_workgroup_id_y 1
		.amdhsa_system_sgpr_workgroup_id_z 1
		.amdhsa_system_sgpr_workgroup_info 0
		.amdhsa_system_vgpr_workitem_id 1
		.amdhsa_next_free_vgpr 91
		.amdhsa_next_free_sgpr 32
		.amdhsa_reserve_vcc 1
		.amdhsa_float_round_mode_32 0
		.amdhsa_float_round_mode_16_64 0
		.amdhsa_float_denorm_mode_32 3
		.amdhsa_float_denorm_mode_16_64 3
		.amdhsa_dx10_clamp 1
		.amdhsa_ieee_mode 1
		.amdhsa_fp16_overflow 0
		.amdhsa_workgroup_processor_mode 1
		.amdhsa_memory_ordered 1
		.amdhsa_forward_progress 0
		.amdhsa_shared_vgpr_count 0
		.amdhsa_exception_fp_ieee_invalid_op 0
		.amdhsa_exception_fp_denorm_src 0
		.amdhsa_exception_fp_ieee_div_zero 0
		.amdhsa_exception_fp_ieee_overflow 0
		.amdhsa_exception_fp_ieee_underflow 0
		.amdhsa_exception_fp_ieee_inexact 0
		.amdhsa_exception_int_div_zero 0
	.end_amdhsa_kernel
	.section	.text._ZL37rocblas_syrkx_herkx_restricted_kernelIl19rocblas_complex_numIfELi16ELi32ELi8ELin1ELi0ELb1ELc67ELc76EKS1_S1_EviT_PT9_S3_lS5_S3_lPT10_S3_li,"axG",@progbits,_ZL37rocblas_syrkx_herkx_restricted_kernelIl19rocblas_complex_numIfELi16ELi32ELi8ELin1ELi0ELb1ELc67ELc76EKS1_S1_EviT_PT9_S3_lS5_S3_lPT10_S3_li,comdat
.Lfunc_end1253:
	.size	_ZL37rocblas_syrkx_herkx_restricted_kernelIl19rocblas_complex_numIfELi16ELi32ELi8ELin1ELi0ELb1ELc67ELc76EKS1_S1_EviT_PT9_S3_lS5_S3_lPT10_S3_li, .Lfunc_end1253-_ZL37rocblas_syrkx_herkx_restricted_kernelIl19rocblas_complex_numIfELi16ELi32ELi8ELin1ELi0ELb1ELc67ELc76EKS1_S1_EviT_PT9_S3_lS5_S3_lPT10_S3_li
                                        ; -- End function
	.section	.AMDGPU.csdata,"",@progbits
; Kernel info:
; codeLenInByte = 2284
; NumSgprs: 34
; NumVgprs: 91
; ScratchSize: 0
; MemoryBound: 0
; FloatMode: 240
; IeeeMode: 1
; LDSByteSize: 4096 bytes/workgroup (compile time only)
; SGPRBlocks: 4
; VGPRBlocks: 11
; NumSGPRsForWavesPerEU: 34
; NumVGPRsForWavesPerEU: 91
; Occupancy: 16
; WaveLimiterHint : 1
; COMPUTE_PGM_RSRC2:SCRATCH_EN: 0
; COMPUTE_PGM_RSRC2:USER_SGPR: 13
; COMPUTE_PGM_RSRC2:TRAP_HANDLER: 0
; COMPUTE_PGM_RSRC2:TGID_X_EN: 1
; COMPUTE_PGM_RSRC2:TGID_Y_EN: 1
; COMPUTE_PGM_RSRC2:TGID_Z_EN: 1
; COMPUTE_PGM_RSRC2:TIDIG_COMP_CNT: 1
	.section	.text._ZL37rocblas_syrkx_herkx_restricted_kernelIl19rocblas_complex_numIfELi16ELi32ELi8ELin1ELi0ELb1ELc78ELc76EKS1_S1_EviT_PT9_S3_lS5_S3_lPT10_S3_li,"axG",@progbits,_ZL37rocblas_syrkx_herkx_restricted_kernelIl19rocblas_complex_numIfELi16ELi32ELi8ELin1ELi0ELb1ELc78ELc76EKS1_S1_EviT_PT9_S3_lS5_S3_lPT10_S3_li,comdat
	.globl	_ZL37rocblas_syrkx_herkx_restricted_kernelIl19rocblas_complex_numIfELi16ELi32ELi8ELin1ELi0ELb1ELc78ELc76EKS1_S1_EviT_PT9_S3_lS5_S3_lPT10_S3_li ; -- Begin function _ZL37rocblas_syrkx_herkx_restricted_kernelIl19rocblas_complex_numIfELi16ELi32ELi8ELin1ELi0ELb1ELc78ELc76EKS1_S1_EviT_PT9_S3_lS5_S3_lPT10_S3_li
	.p2align	8
	.type	_ZL37rocblas_syrkx_herkx_restricted_kernelIl19rocblas_complex_numIfELi16ELi32ELi8ELin1ELi0ELb1ELc78ELc76EKS1_S1_EviT_PT9_S3_lS5_S3_lPT10_S3_li,@function
_ZL37rocblas_syrkx_herkx_restricted_kernelIl19rocblas_complex_numIfELi16ELi32ELi8ELin1ELi0ELb1ELc78ELc76EKS1_S1_EviT_PT9_S3_lS5_S3_lPT10_S3_li: ; @_ZL37rocblas_syrkx_herkx_restricted_kernelIl19rocblas_complex_numIfELi16ELi32ELi8ELin1ELi0ELb1ELc78ELc76EKS1_S1_EviT_PT9_S3_lS5_S3_lPT10_S3_li
; %bb.0:
	s_load_b512 s[16:31], s[0:1], 0x8
	v_dual_mov_b32 v14, 0 :: v_dual_mov_b32 v15, 0
	v_dual_mov_b32 v13, 0 :: v_dual_mov_b32 v12, 0
	;; [unrolled: 1-line block ×3, first 2 shown]
	v_dual_mov_b32 v7, 0 :: v_dual_and_b32 v4, 0x3ff, v0
	v_bfe_u32 v5, v0, 10, 10
	v_mov_b32_e32 v6, 0
	s_lshl_b32 s8, s13, 5
	s_lshl_b32 s9, s14, 5
	s_waitcnt lgkmcnt(0)
	v_cmp_lt_i64_e64 s2, s[16:17], 1
	s_delay_alu instid0(VALU_DEP_1)
	s_and_b32 vcc_lo, exec_lo, s2
	s_cbranch_vccnz .LBB1254_3
; %bb.1:
	v_lshl_add_u32 v1, v5, 4, v4
	v_and_b32_e32 v13, 7, v4
	s_mul_i32 s3, s23, s15
	s_mul_hi_u32 s5, s22, s15
	s_mul_i32 s2, s22, s15
	v_and_b32_e32 v9, 31, v1
	v_lshrrev_b32_e32 v12, 3, v1
	v_lshrrev_b32_e32 v14, 5, v1
	s_add_i32 s3, s5, s3
	s_mul_i32 s6, s29, s15
	v_add_nc_u32_e32 v0, s8, v9
	v_add_nc_u32_e32 v2, s9, v12
	s_lshl_b64 s[2:3], s[2:3], 3
	s_mul_hi_u32 s7, s28, s15
	s_add_u32 s10, s18, s2
	v_ashrrev_i32_e32 v1, 31, v0
	v_ashrrev_i32_e32 v3, 31, v2
	s_mul_i32 s4, s28, s15
	s_addc_u32 s11, s19, s3
	s_add_i32 s5, s7, s6
	v_mad_u64_u32 v[6:7], null, v14, s20, v[0:1]
	v_mad_u64_u32 v[0:1], null, v13, s26, v[2:3]
	s_lshl_b64 s[4:5], s[4:5], 3
	s_lshl_b64 s[2:3], s[20:21], 6
	s_add_u32 s4, s24, s4
	s_addc_u32 s5, s25, s5
	s_delay_alu instid0(VALU_DEP_2) | instskip(SKIP_3) | instid1(VALU_DEP_3)
	v_mov_b32_e32 v2, v7
	v_lshlrev_b32_e32 v10, 3, v4
	v_lshl_add_u32 v11, v5, 6, 0x800
	s_mov_b64 s[6:7], 0
	v_mad_u64_u32 v[7:8], null, v14, s21, v[2:3]
	v_mad_u64_u32 v[2:3], null, v13, s27, v[1:2]
	s_delay_alu instid0(VALU_DEP_1) | instskip(NEXT) | instid1(VALU_DEP_3)
	v_dual_mov_b32 v1, v2 :: v_dual_lshlrev_b32 v8, 3, v9
	v_lshlrev_b64 v[2:3], 3, v[6:7]
	s_delay_alu instid0(VALU_DEP_2) | instskip(NEXT) | instid1(VALU_DEP_2)
	v_lshlrev_b64 v[0:1], 3, v[0:1]
	v_add_co_u32 v2, vcc_lo, s10, v2
	s_delay_alu instid0(VALU_DEP_3) | instskip(NEXT) | instid1(VALU_DEP_3)
	v_add_co_ci_u32_e32 v3, vcc_lo, s11, v3, vcc_lo
	v_add_co_u32 v6, vcc_lo, s4, v0
	s_delay_alu instid0(VALU_DEP_4) | instskip(NEXT) | instid1(VALU_DEP_4)
	v_add_co_ci_u32_e32 v7, vcc_lo, s5, v1, vcc_lo
	v_add_co_u32 v0, vcc_lo, v2, 4
	s_delay_alu instid0(VALU_DEP_4) | instskip(NEXT) | instid1(VALU_DEP_4)
	v_add_co_ci_u32_e32 v1, vcc_lo, 0, v3, vcc_lo
	v_add_co_u32 v2, vcc_lo, v6, 4
	v_dual_mov_b32 v6, 0 :: v_dual_lshlrev_b32 v15, 3, v13
	v_mov_b32_e32 v13, 0
	v_lshl_or_b32 v16, v14, 8, v8
	v_mov_b32_e32 v8, 0
	v_add_co_ci_u32_e32 v3, vcc_lo, 0, v7, vcc_lo
	v_lshl_or_b32 v9, v12, 6, v15
	v_dual_mov_b32 v7, 0 :: v_dual_mov_b32 v12, 0
	v_dual_mov_b32 v15, 0 :: v_dual_mov_b32 v14, 0
	s_delay_alu instid0(VALU_DEP_3)
	v_add_nc_u32_e32 v17, 0x800, v9
	v_mov_b32_e32 v9, 0
	s_lshl_b64 s[4:5], s[26:27], 6
.LBB1254_2:                             ; =>This Inner Loop Header: Depth=1
	global_load_b64 v[18:19], v[2:3], off offset:-4
	global_load_b64 v[20:21], v[0:1], off offset:-4
	s_add_u32 s6, s6, 8
	v_add_co_u32 v0, vcc_lo, v0, s2
	s_addc_u32 s7, s7, 0
	v_add_co_ci_u32_e32 v1, vcc_lo, s3, v1, vcc_lo
	v_cmp_ge_u64_e64 s10, s[6:7], s[16:17]
	v_add_co_u32 v2, vcc_lo, v2, s4
	v_add_co_ci_u32_e32 v3, vcc_lo, s5, v3, vcc_lo
	s_delay_alu instid0(VALU_DEP_3)
	s_and_b32 vcc_lo, exec_lo, s10
	s_waitcnt vmcnt(1)
	v_xor_b32_e32 v19, 0x80000000, v19
	s_waitcnt vmcnt(0)
	ds_store_b64 v16, v[20:21]
	ds_store_b64 v17, v[18:19]
	s_waitcnt lgkmcnt(0)
	s_barrier
	buffer_gl0_inv
	ds_load_2addr_b64 v[18:21], v10 offset1:16
	ds_load_b128 v[22:25], v11
	ds_load_b128 v[26:29], v11 offset:1024
	ds_load_b128 v[30:33], v11 offset:16
	;; [unrolled: 1-line block ×4, first 2 shown]
	ds_load_2addr_b64 v[42:45], v10 offset0:32 offset1:48
	ds_load_2addr_b64 v[46:49], v10 offset0:64 offset1:80
	ds_load_b128 v[50:53], v11 offset:1040
	ds_load_2addr_b64 v[54:57], v10 offset0:96 offset1:112
	ds_load_2addr_b64 v[58:61], v10 offset0:128 offset1:144
	;; [unrolled: 1-line block ×4, first 2 shown]
	ds_load_b128 v[70:73], v11 offset:1056
	ds_load_b128 v[74:77], v11 offset:1072
	ds_load_2addr_b64 v[78:81], v10 offset0:224 offset1:240
	s_waitcnt lgkmcnt(0)
	s_barrier
	buffer_gl0_inv
	v_dual_mul_f32 v82, v23, v19 :: v_dual_mul_f32 v85, v22, v21
	v_dual_mul_f32 v83, v22, v19 :: v_dual_mul_f32 v84, v23, v21
	v_mul_f32_e32 v86, v27, v19
	v_dual_mul_f32 v19, v26, v19 :: v_dual_mul_f32 v90, v25, v45
	v_dual_mul_f32 v87, v27, v21 :: v_dual_mul_f32 v88, v25, v43
	v_mul_f32_e32 v21, v26, v21
	v_mul_f32_e32 v89, v24, v43
	;; [unrolled: 1-line block ×3, first 2 shown]
	v_fma_f32 v82, v22, v18, -v82
	v_fmac_f32_e32 v83, v23, v18
	v_fma_f32 v22, v22, v20, -v84
	v_dual_fmac_f32 v85, v23, v20 :: v_dual_mul_f32 v84, v30, v47
	v_fma_f32 v23, v26, v18, -v86
	v_fmac_f32_e32 v19, v27, v18
	v_fma_f32 v18, v26, v20, -v87
	v_dual_mul_f32 v26, v28, v43 :: v_dual_fmac_f32 v21, v27, v20
	v_mul_f32_e32 v20, v29, v43
	v_mul_f32_e32 v27, v29, v45
	v_dual_mul_f32 v43, v28, v45 :: v_dual_fmac_f32 v84, v31, v46
	v_fma_f32 v45, v24, v42, -v88
	v_fma_f32 v24, v24, v44, -v90
	v_dual_fmac_f32 v91, v25, v44 :: v_dual_mul_f32 v90, v32, v57
	v_dual_mul_f32 v86, v31, v49 :: v_dual_fmac_f32 v89, v25, v42
	v_dual_mul_f32 v25, v31, v47 :: v_dual_mul_f32 v88, v33, v57
	v_fma_f32 v20, v28, v42, -v20
	v_fmac_f32_e32 v26, v29, v42
	v_fma_f32 v27, v28, v44, -v27
	v_dual_fmac_f32 v43, v29, v44 :: v_dual_mul_f32 v28, v51, v47
	v_dual_mul_f32 v29, v50, v47 :: v_dual_mul_f32 v42, v51, v49
	v_mul_f32_e32 v44, v50, v49
	v_mul_f32_e32 v87, v30, v49
	;; [unrolled: 1-line block ×3, first 2 shown]
	v_dual_mul_f32 v49, v32, v55 :: v_dual_fmac_f32 v90, v33, v56
	v_fma_f32 v25, v30, v46, -v25
	v_fma_f32 v30, v30, v48, -v86
	;; [unrolled: 1-line block ×3, first 2 shown]
	v_fmac_f32_e32 v44, v51, v48
	v_fmac_f32_e32 v87, v31, v48
	v_fma_f32 v31, v50, v48, -v42
	v_mul_f32_e32 v42, v53, v55
	v_mul_f32_e32 v48, v53, v57
	v_dual_mul_f32 v50, v52, v57 :: v_dual_fmac_f32 v29, v51, v46
	v_mul_f32_e32 v46, v52, v55
	v_fma_f32 v47, v32, v54, -v47
	v_fmac_f32_e32 v49, v33, v54
	v_fma_f32 v32, v32, v56, -v88
	s_delay_alu instid0(VALU_DEP_4)
	v_dual_mul_f32 v33, v35, v59 :: v_dual_fmac_f32 v46, v53, v54
	v_mul_f32_e32 v51, v34, v59
	v_mul_f32_e32 v55, v35, v61
	v_fma_f32 v42, v52, v54, -v42
	v_fma_f32 v48, v52, v56, -v48
	v_fmac_f32_e32 v50, v53, v56
	v_mul_f32_e32 v52, v71, v59
	v_dual_mul_f32 v53, v70, v59 :: v_dual_mul_f32 v86, v37, v65
	v_mul_f32_e32 v54, v71, v61
	v_dual_mul_f32 v56, v70, v61 :: v_dual_mul_f32 v59, v37, v63
	v_mul_f32_e32 v57, v34, v61
	v_mul_f32_e32 v61, v36, v63
	v_dual_mul_f32 v88, v36, v65 :: v_dual_fmac_f32 v51, v35, v58
	v_fma_f32 v33, v34, v58, -v33
	v_fmac_f32_e32 v53, v71, v58
	v_fmac_f32_e32 v56, v71, v60
	s_delay_alu instid0(VALU_DEP_4)
	v_fmac_f32_e32 v88, v37, v64
	v_fmac_f32_e32 v57, v35, v60
	v_fma_f32 v35, v70, v58, -v52
	v_fma_f32 v52, v70, v60, -v54
	v_mul_f32_e32 v54, v73, v63
	v_fma_f32 v34, v34, v60, -v55
	v_mul_f32_e32 v60, v72, v65
	v_dual_mul_f32 v55, v72, v63 :: v_dual_mul_f32 v70, v38, v69
	v_mul_f32_e32 v58, v73, v65
	v_fma_f32 v59, v36, v62, -v59
	v_fmac_f32_e32 v61, v37, v62
	v_fma_f32 v36, v36, v64, -v86
	v_dual_mul_f32 v37, v39, v67 :: v_dual_fmac_f32 v60, v73, v64
	v_dual_mul_f32 v63, v38, v67 :: v_dual_mul_f32 v86, v40, v81
	v_mul_f32_e32 v65, v39, v69
	v_fma_f32 v54, v72, v62, -v54
	v_fmac_f32_e32 v55, v73, v62
	v_fma_f32 v58, v72, v64, -v58
	v_mul_f32_e32 v72, v40, v79
	v_mul_f32_e32 v62, v75, v67
	v_dual_mul_f32 v64, v74, v67 :: v_dual_mul_f32 v67, v75, v69
	v_dual_mul_f32 v69, v74, v69 :: v_dual_fmac_f32 v70, v39, v68
	s_delay_alu instid0(VALU_DEP_2)
	v_dual_mul_f32 v71, v41, v79 :: v_dual_fmac_f32 v64, v75, v66
	v_fma_f32 v37, v38, v66, -v37
	v_fmac_f32_e32 v63, v39, v66
	v_fma_f32 v38, v38, v68, -v65
	v_fma_f32 v39, v74, v66, -v62
	v_dual_fmac_f32 v69, v75, v68 :: v_dual_fmac_f32 v72, v41, v78
	v_mul_f32_e32 v66, v76, v79
	v_fma_f32 v62, v74, v68, -v67
	v_mul_f32_e32 v68, v76, v81
	v_dual_mul_f32 v73, v41, v81 :: v_dual_add_f32 v14, v14, v82
	v_dual_mul_f32 v65, v77, v79 :: v_dual_add_f32 v12, v12, v85
	;; [unrolled: 1-line block ×3, first 2 shown]
	v_dual_fmac_f32 v86, v41, v80 :: v_dual_add_f32 v15, v15, v83
	v_dual_fmac_f32 v68, v77, v80 :: v_dual_add_f32 v7, v7, v18
	v_dual_add_f32 v13, v13, v22 :: v_dual_add_f32 v6, v6, v21
	v_dual_add_f32 v9, v9, v19 :: v_dual_add_f32 v14, v14, v45
	s_delay_alu instid0(VALU_DEP_4) | instskip(NEXT) | instid1(VALU_DEP_3)
	v_dual_fmac_f32 v66, v77, v78 :: v_dual_add_f32 v15, v15, v89
	v_dual_add_f32 v13, v13, v24 :: v_dual_add_f32 v12, v12, v91
	s_delay_alu instid0(VALU_DEP_3) | instskip(NEXT) | instid1(VALU_DEP_4)
	v_dual_add_f32 v8, v8, v20 :: v_dual_add_f32 v9, v9, v26
	v_dual_add_f32 v7, v7, v27 :: v_dual_add_f32 v14, v14, v25
	s_delay_alu instid0(VALU_DEP_4) | instskip(NEXT) | instid1(VALU_DEP_4)
	v_dual_add_f32 v6, v6, v43 :: v_dual_add_f32 v15, v15, v84
	v_dual_add_f32 v13, v13, v30 :: v_dual_add_f32 v12, v12, v87
	s_delay_alu instid0(VALU_DEP_4) | instskip(NEXT) | instid1(VALU_DEP_3)
	v_dual_add_f32 v8, v8, v28 :: v_dual_add_f32 v9, v9, v29
	v_dual_add_f32 v7, v7, v31 :: v_dual_add_f32 v6, v6, v44
	s_delay_alu instid0(VALU_DEP_4) | instskip(NEXT) | instid1(VALU_DEP_4)
	v_dual_add_f32 v14, v14, v47 :: v_dual_add_f32 v15, v15, v49
	v_dual_add_f32 v13, v13, v32 :: v_dual_add_f32 v12, v12, v90
	s_delay_alu instid0(VALU_DEP_3) | instskip(NEXT) | instid1(VALU_DEP_3)
	v_dual_add_f32 v8, v8, v42 :: v_dual_add_f32 v7, v7, v48
	v_dual_add_f32 v9, v9, v46 :: v_dual_add_f32 v14, v14, v33
	s_delay_alu instid0(VALU_DEP_4) | instskip(NEXT) | instid1(VALU_DEP_4)
	v_dual_add_f32 v6, v6, v50 :: v_dual_add_f32 v15, v15, v51
	v_dual_add_f32 v13, v13, v34 :: v_dual_add_f32 v12, v12, v57
	s_delay_alu instid0(VALU_DEP_3) | instskip(NEXT) | instid1(VALU_DEP_4)
	v_dual_add_f32 v8, v8, v35 :: v_dual_add_f32 v9, v9, v53
	v_dual_add_f32 v7, v7, v52 :: v_dual_add_f32 v14, v14, v59
	s_delay_alu instid0(VALU_DEP_4) | instskip(NEXT) | instid1(VALU_DEP_3)
	v_dual_add_f32 v6, v6, v56 :: v_dual_add_f32 v15, v15, v61
	v_dual_add_f32 v13, v13, v36 :: v_dual_add_f32 v8, v8, v54
	s_delay_alu instid0(VALU_DEP_4) | instskip(NEXT) | instid1(VALU_DEP_3)
	v_dual_add_f32 v12, v12, v88 :: v_dual_add_f32 v9, v9, v55
	v_dual_add_f32 v7, v7, v58 :: v_dual_add_f32 v6, v6, v60
	v_fma_f32 v71, v40, v78, -v71
	v_fma_f32 v40, v40, v80, -v73
	;; [unrolled: 1-line block ×4, first 2 shown]
	v_dual_add_f32 v14, v14, v37 :: v_dual_add_f32 v15, v15, v63
	v_dual_add_f32 v13, v13, v38 :: v_dual_add_f32 v8, v8, v39
	;; [unrolled: 1-line block ×4, first 2 shown]
	s_delay_alu instid0(VALU_DEP_4) | instskip(NEXT) | instid1(VALU_DEP_3)
	v_dual_add_f32 v14, v14, v71 :: v_dual_add_f32 v15, v15, v72
	v_dual_add_f32 v13, v13, v40 :: v_dual_add_f32 v12, v12, v86
	s_delay_alu instid0(VALU_DEP_4) | instskip(NEXT) | instid1(VALU_DEP_4)
	v_dual_add_f32 v8, v8, v41 :: v_dual_add_f32 v9, v9, v66
	v_dual_add_f32 v7, v7, v65 :: v_dual_add_f32 v6, v6, v68
	s_cbranch_vccz .LBB1254_2
.LBB1254_3:
	s_load_b128 s[4:7], s[0:1], 0x48
	v_add_nc_u32_e32 v5, s9, v5
	s_load_b32 s9, s[0:1], 0x0
	s_delay_alu instid0(VALU_DEP_1) | instskip(SKIP_1) | instid1(VALU_DEP_1)
	v_ashrrev_i32_e32 v0, 31, v5
	s_waitcnt lgkmcnt(0)
	v_mul_lo_u32 v3, v0, s4
	v_mul_lo_u32 v10, v5, s5
	v_mad_u64_u32 v[1:2], null, v5, s4, 0
	s_mul_i32 s1, s15, s7
	s_mul_hi_u32 s3, s15, s6
	s_mul_i32 s2, s15, s6
	s_add_i32 s3, s3, s1
	v_add_nc_u32_e32 v0, s8, v4
	s_lshl_b64 s[2:3], s[2:3], 3
	s_delay_alu instid0(VALU_DEP_2)
	v_add3_u32 v2, v2, v10, v3
	s_add_u32 s2, s30, s2
	s_addc_u32 s3, s31, s3
	v_cmp_le_i32_e64 s0, v5, v0
	v_cmp_gt_i32_e32 vcc_lo, s9, v0
	v_lshlrev_b64 v[1:2], 3, v[1:2]
	s_delay_alu instid0(VALU_DEP_3) | instskip(NEXT) | instid1(VALU_DEP_1)
	s_and_b32 s0, s0, vcc_lo
	v_add_co_u32 v4, s1, s2, v1
	s_delay_alu instid0(VALU_DEP_1)
	v_add_co_ci_u32_e64 v10, s1, s3, v2, s1
	s_and_saveexec_b32 s1, s0
	s_cbranch_execz .LBB1254_6
; %bb.4:
	v_ashrrev_i32_e32 v1, 31, v0
	v_xor_b32_e32 v14, 0x80000000, v14
	v_xor_b32_e32 v15, 0x80000000, v15
	s_delay_alu instid0(VALU_DEP_3) | instskip(NEXT) | instid1(VALU_DEP_1)
	v_lshlrev_b64 v[1:2], 3, v[0:1]
	v_add_co_u32 v1, s0, v4, v1
	s_delay_alu instid0(VALU_DEP_1)
	v_add_co_ci_u32_e64 v2, s0, v10, v2, s0
	v_cmp_eq_u32_e64 s0, v5, v0
	global_store_b64 v[1:2], v[14:15], off
	s_and_b32 exec_lo, exec_lo, s0
	s_cbranch_execz .LBB1254_6
; %bb.5:
	v_mov_b32_e32 v3, 0
	global_store_b32 v[1:2], v3, off offset:4
.LBB1254_6:
	s_or_b32 exec_lo, exec_lo, s1
	v_add_nc_u32_e32 v2, 16, v0
	s_delay_alu instid0(VALU_DEP_1) | instskip(SKIP_1) | instid1(VALU_DEP_1)
	v_cmp_le_i32_e64 s1, v5, v2
	v_cmp_gt_i32_e64 s0, s9, v2
	s_and_b32 s1, s1, s0
	s_delay_alu instid0(SALU_CYCLE_1)
	s_and_saveexec_b32 s6, s1
	s_cbranch_execz .LBB1254_9
; %bb.7:
	v_ashrrev_i32_e32 v3, 31, v2
	v_xor_b32_e32 v11, 0x80000000, v13
	v_xor_b32_e32 v12, 0x80000000, v12
	s_delay_alu instid0(VALU_DEP_3) | instskip(NEXT) | instid1(VALU_DEP_1)
	v_lshlrev_b64 v[14:15], 3, v[2:3]
	v_add_co_u32 v3, s1, v4, v14
	s_delay_alu instid0(VALU_DEP_1)
	v_add_co_ci_u32_e64 v4, s1, v10, v15, s1
	v_cmp_eq_u32_e64 s1, v5, v2
	global_store_b64 v[3:4], v[11:12], off
	s_and_b32 exec_lo, exec_lo, s1
	s_cbranch_execz .LBB1254_9
; %bb.8:
	v_mov_b32_e32 v1, 0
	global_store_b32 v[3:4], v1, off offset:4
.LBB1254_9:
	s_or_b32 exec_lo, exec_lo, s6
	v_add_nc_u32_e32 v12, 16, v5
	s_delay_alu instid0(VALU_DEP_1) | instskip(SKIP_3) | instid1(VALU_DEP_4)
	v_ashrrev_i32_e32 v1, 31, v12
	v_mul_lo_u32 v10, v12, s5
	v_mad_u64_u32 v[3:4], null, v12, s4, 0
	v_cmp_le_i32_e64 s1, v12, v0
	v_mul_lo_u32 v1, v1, s4
	s_delay_alu instid0(VALU_DEP_1) | instskip(NEXT) | instid1(VALU_DEP_1)
	v_add3_u32 v4, v4, v10, v1
	v_lshlrev_b64 v[3:4], 3, v[3:4]
	s_delay_alu instid0(VALU_DEP_1) | instskip(NEXT) | instid1(VALU_DEP_1)
	v_add_co_u32 v10, s2, s2, v3
	v_add_co_ci_u32_e64 v11, s2, s3, v4, s2
	s_and_b32 s2, s1, vcc_lo
	s_delay_alu instid0(SALU_CYCLE_1)
	s_and_saveexec_b32 s1, s2
	s_cbranch_execz .LBB1254_12
; %bb.10:
	v_ashrrev_i32_e32 v1, 31, v0
	v_xor_b32_e32 v8, 0x80000000, v8
	v_xor_b32_e32 v9, 0x80000000, v9
	s_delay_alu instid0(VALU_DEP_3) | instskip(NEXT) | instid1(VALU_DEP_1)
	v_lshlrev_b64 v[3:4], 3, v[0:1]
	v_add_co_u32 v3, vcc_lo, v10, v3
	s_delay_alu instid0(VALU_DEP_2)
	v_add_co_ci_u32_e32 v4, vcc_lo, v11, v4, vcc_lo
	v_cmp_eq_u32_e32 vcc_lo, v12, v0
	global_store_b64 v[3:4], v[8:9], off
	s_and_b32 exec_lo, exec_lo, vcc_lo
	s_cbranch_execz .LBB1254_12
; %bb.11:
	v_mov_b32_e32 v1, 0
	global_store_b32 v[3:4], v1, off offset:4
.LBB1254_12:
	s_or_b32 exec_lo, exec_lo, s1
	v_cmp_le_i32_e32 vcc_lo, v12, v2
	s_and_b32 s0, vcc_lo, s0
	s_delay_alu instid0(SALU_CYCLE_1)
	s_and_saveexec_b32 s1, s0
	s_cbranch_execz .LBB1254_15
; %bb.13:
	v_ashrrev_i32_e32 v3, 31, v2
	v_xor_b32_e32 v4, 0x80000000, v6
	s_delay_alu instid0(VALU_DEP_2) | instskip(SKIP_1) | instid1(VALU_DEP_2)
	v_lshlrev_b64 v[1:2], 3, v[2:3]
	v_xor_b32_e32 v3, 0x80000000, v7
	v_add_co_u32 v1, vcc_lo, v10, v1
	s_delay_alu instid0(VALU_DEP_3)
	v_add_co_ci_u32_e32 v2, vcc_lo, v11, v2, vcc_lo
	v_cmp_eq_u32_e32 vcc_lo, v5, v0
	global_store_b64 v[1:2], v[3:4], off
	s_and_b32 exec_lo, exec_lo, vcc_lo
	s_cbranch_execz .LBB1254_15
; %bb.14:
	v_mov_b32_e32 v0, 0
	global_store_b32 v[1:2], v0, off offset:4
.LBB1254_15:
	s_nop 0
	s_sendmsg sendmsg(MSG_DEALLOC_VGPRS)
	s_endpgm
	.section	.rodata,"a",@progbits
	.p2align	6, 0x0
	.amdhsa_kernel _ZL37rocblas_syrkx_herkx_restricted_kernelIl19rocblas_complex_numIfELi16ELi32ELi8ELin1ELi0ELb1ELc78ELc76EKS1_S1_EviT_PT9_S3_lS5_S3_lPT10_S3_li
		.amdhsa_group_segment_fixed_size 4096
		.amdhsa_private_segment_fixed_size 0
		.amdhsa_kernarg_size 92
		.amdhsa_user_sgpr_count 13
		.amdhsa_user_sgpr_dispatch_ptr 0
		.amdhsa_user_sgpr_queue_ptr 0
		.amdhsa_user_sgpr_kernarg_segment_ptr 1
		.amdhsa_user_sgpr_dispatch_id 0
		.amdhsa_user_sgpr_private_segment_size 0
		.amdhsa_wavefront_size32 1
		.amdhsa_uses_dynamic_stack 0
		.amdhsa_enable_private_segment 0
		.amdhsa_system_sgpr_workgroup_id_x 1
		.amdhsa_system_sgpr_workgroup_id_y 1
		.amdhsa_system_sgpr_workgroup_id_z 1
		.amdhsa_system_sgpr_workgroup_info 0
		.amdhsa_system_vgpr_workitem_id 1
		.amdhsa_next_free_vgpr 92
		.amdhsa_next_free_sgpr 32
		.amdhsa_reserve_vcc 1
		.amdhsa_float_round_mode_32 0
		.amdhsa_float_round_mode_16_64 0
		.amdhsa_float_denorm_mode_32 3
		.amdhsa_float_denorm_mode_16_64 3
		.amdhsa_dx10_clamp 1
		.amdhsa_ieee_mode 1
		.amdhsa_fp16_overflow 0
		.amdhsa_workgroup_processor_mode 1
		.amdhsa_memory_ordered 1
		.amdhsa_forward_progress 0
		.amdhsa_shared_vgpr_count 0
		.amdhsa_exception_fp_ieee_invalid_op 0
		.amdhsa_exception_fp_denorm_src 0
		.amdhsa_exception_fp_ieee_div_zero 0
		.amdhsa_exception_fp_ieee_overflow 0
		.amdhsa_exception_fp_ieee_underflow 0
		.amdhsa_exception_fp_ieee_inexact 0
		.amdhsa_exception_int_div_zero 0
	.end_amdhsa_kernel
	.section	.text._ZL37rocblas_syrkx_herkx_restricted_kernelIl19rocblas_complex_numIfELi16ELi32ELi8ELin1ELi0ELb1ELc78ELc76EKS1_S1_EviT_PT9_S3_lS5_S3_lPT10_S3_li,"axG",@progbits,_ZL37rocblas_syrkx_herkx_restricted_kernelIl19rocblas_complex_numIfELi16ELi32ELi8ELin1ELi0ELb1ELc78ELc76EKS1_S1_EviT_PT9_S3_lS5_S3_lPT10_S3_li,comdat
.Lfunc_end1254:
	.size	_ZL37rocblas_syrkx_herkx_restricted_kernelIl19rocblas_complex_numIfELi16ELi32ELi8ELin1ELi0ELb1ELc78ELc76EKS1_S1_EviT_PT9_S3_lS5_S3_lPT10_S3_li, .Lfunc_end1254-_ZL37rocblas_syrkx_herkx_restricted_kernelIl19rocblas_complex_numIfELi16ELi32ELi8ELin1ELi0ELb1ELc78ELc76EKS1_S1_EviT_PT9_S3_lS5_S3_lPT10_S3_li
                                        ; -- End function
	.section	.AMDGPU.csdata,"",@progbits
; Kernel info:
; codeLenInByte = 2300
; NumSgprs: 34
; NumVgprs: 92
; ScratchSize: 0
; MemoryBound: 0
; FloatMode: 240
; IeeeMode: 1
; LDSByteSize: 4096 bytes/workgroup (compile time only)
; SGPRBlocks: 4
; VGPRBlocks: 11
; NumSGPRsForWavesPerEU: 34
; NumVGPRsForWavesPerEU: 92
; Occupancy: 16
; WaveLimiterHint : 1
; COMPUTE_PGM_RSRC2:SCRATCH_EN: 0
; COMPUTE_PGM_RSRC2:USER_SGPR: 13
; COMPUTE_PGM_RSRC2:TRAP_HANDLER: 0
; COMPUTE_PGM_RSRC2:TGID_X_EN: 1
; COMPUTE_PGM_RSRC2:TGID_Y_EN: 1
; COMPUTE_PGM_RSRC2:TGID_Z_EN: 1
; COMPUTE_PGM_RSRC2:TIDIG_COMP_CNT: 1
	.section	.text._ZL37rocblas_syrkx_herkx_restricted_kernelIl19rocblas_complex_numIfELi16ELi32ELi8ELin1ELi0ELb1ELc84ELc85EKS1_S1_EviT_PT9_S3_lS5_S3_lPT10_S3_li,"axG",@progbits,_ZL37rocblas_syrkx_herkx_restricted_kernelIl19rocblas_complex_numIfELi16ELi32ELi8ELin1ELi0ELb1ELc84ELc85EKS1_S1_EviT_PT9_S3_lS5_S3_lPT10_S3_li,comdat
	.globl	_ZL37rocblas_syrkx_herkx_restricted_kernelIl19rocblas_complex_numIfELi16ELi32ELi8ELin1ELi0ELb1ELc84ELc85EKS1_S1_EviT_PT9_S3_lS5_S3_lPT10_S3_li ; -- Begin function _ZL37rocblas_syrkx_herkx_restricted_kernelIl19rocblas_complex_numIfELi16ELi32ELi8ELin1ELi0ELb1ELc84ELc85EKS1_S1_EviT_PT9_S3_lS5_S3_lPT10_S3_li
	.p2align	8
	.type	_ZL37rocblas_syrkx_herkx_restricted_kernelIl19rocblas_complex_numIfELi16ELi32ELi8ELin1ELi0ELb1ELc84ELc85EKS1_S1_EviT_PT9_S3_lS5_S3_lPT10_S3_li,@function
_ZL37rocblas_syrkx_herkx_restricted_kernelIl19rocblas_complex_numIfELi16ELi32ELi8ELin1ELi0ELb1ELc84ELc85EKS1_S1_EviT_PT9_S3_lS5_S3_lPT10_S3_li: ; @_ZL37rocblas_syrkx_herkx_restricted_kernelIl19rocblas_complex_numIfELi16ELi32ELi8ELin1ELi0ELb1ELc84ELc85EKS1_S1_EviT_PT9_S3_lS5_S3_lPT10_S3_li
; %bb.0:
	s_load_b512 s[16:31], s[0:1], 0x8
	v_dual_mov_b32 v15, 0 :: v_dual_mov_b32 v16, 0
	v_dual_mov_b32 v13, 0 :: v_dual_mov_b32 v12, 0
	;; [unrolled: 1-line block ×3, first 2 shown]
	v_dual_mov_b32 v7, 0 :: v_dual_and_b32 v6, 0x3ff, v0
	v_bfe_u32 v8, v0, 10, 10
	v_mov_b32_e32 v1, 0
	s_lshl_b32 s8, s13, 5
	s_lshl_b32 s9, s14, 5
	s_waitcnt lgkmcnt(0)
	v_cmp_lt_i64_e64 s2, s[16:17], 1
	s_delay_alu instid0(VALU_DEP_1)
	s_and_b32 vcc_lo, exec_lo, s2
	s_cbranch_vccnz .LBB1255_3
; %bb.1:
	v_lshl_add_u32 v2, v8, 4, v6
	v_dual_mov_b32 v1, 0 :: v_dual_and_b32 v0, 7, v6
	s_mul_i32 s3, s23, s15
	s_mul_hi_u32 s4, s22, s15
	s_delay_alu instid0(VALU_DEP_2) | instskip(SKIP_3) | instid1(VALU_DEP_4)
	v_and_b32_e32 v7, 31, v2
	v_lshrrev_b32_e32 v12, 3, v2
	v_lshrrev_b32_e32 v2, 5, v2
	v_dual_mov_b32 v3, v1 :: v_dual_lshlrev_b32 v14, 3, v0
	v_add_nc_u32_e32 v9, s8, v7
	s_delay_alu instid0(VALU_DEP_4)
	v_add_nc_u32_e32 v13, s9, v12
	s_mul_i32 s2, s22, s15
	s_add_i32 s3, s4, s3
	s_mul_hi_u32 s5, s28, s15
	v_ashrrev_i32_e32 v10, 31, v9
	v_ashrrev_i32_e32 v15, 31, v13
	v_mad_u64_u32 v[4:5], null, s20, v9, v[2:3]
	v_mul_lo_u32 v3, s21, v9
	s_delay_alu instid0(VALU_DEP_4)
	v_mul_lo_u32 v16, s20, v10
	v_mul_lo_u32 v17, v13, s27
	v_mad_u64_u32 v[9:10], null, v13, s26, v[0:1]
	v_mul_lo_u32 v13, v15, s26
	v_lshlrev_b32_e32 v0, 3, v7
	v_lshl_or_b32 v7, v12, 6, v14
	s_lshl_b64 s[2:3], s[2:3], 3
	v_add3_u32 v5, v3, v5, v16
	s_add_u32 s4, s18, s2
	s_mul_i32 s2, s29, s15
	v_add_nc_u32_e32 v14, 0x800, v7
	v_add3_u32 v10, v13, v10, v17
	v_mov_b32_e32 v7, v1
	v_lshl_or_b32 v0, v2, 8, v0
	v_lshlrev_b64 v[2:3], 3, v[4:5]
	s_addc_u32 s6, s19, s3
	s_add_i32 s3, s5, s2
	s_mul_i32 s2, s28, s15
	v_lshlrev_b64 v[4:5], 3, v[9:10]
	v_mov_b32_e32 v9, v1
	s_lshl_b64 s[2:3], s[2:3], 3
	v_add_co_u32 v2, vcc_lo, s4, v2
	s_add_u32 s2, s24, s2
	v_add_co_ci_u32_e32 v3, vcc_lo, s6, v3, vcc_lo
	s_addc_u32 s3, s25, s3
	v_add_co_u32 v4, vcc_lo, s2, v4
	v_add_co_ci_u32_e32 v5, vcc_lo, s3, v5, vcc_lo
	v_add_co_u32 v2, vcc_lo, v2, 4
	v_add_co_ci_u32_e32 v3, vcc_lo, 0, v3, vcc_lo
	s_delay_alu instid0(VALU_DEP_4)
	v_add_co_u32 v4, vcc_lo, v4, 4
	v_dual_mov_b32 v10, v1 :: v_dual_lshlrev_b32 v11, 3, v6
	v_lshl_add_u32 v17, v8, 6, 0x800
	v_add_co_ci_u32_e32 v5, vcc_lo, 0, v5, vcc_lo
	v_mov_b32_e32 v12, v1
	v_mov_b32_e32 v13, v1
	v_mov_b32_e32 v16, v1
	v_mov_b32_e32 v15, v1
	s_mov_b64 s[2:3], 0
.LBB1255_2:                             ; =>This Inner Loop Header: Depth=1
	global_load_b64 v[18:19], v[2:3], off offset:-4
	global_load_b64 v[20:21], v[4:5], off offset:-4
	s_add_u32 s2, s2, 8
	v_add_co_u32 v2, vcc_lo, v2, 64
	s_addc_u32 s3, s3, 0
	v_add_co_ci_u32_e32 v3, vcc_lo, 0, v3, vcc_lo
	v_cmp_ge_u64_e64 s4, s[2:3], s[16:17]
	v_add_co_u32 v4, vcc_lo, v4, 64
	v_add_co_ci_u32_e32 v5, vcc_lo, 0, v5, vcc_lo
	s_waitcnt vmcnt(1)
	ds_store_b64 v0, v[18:19]
	s_waitcnt vmcnt(0)
	ds_store_b64 v14, v[20:21]
	s_waitcnt lgkmcnt(0)
	s_barrier
	buffer_gl0_inv
	ds_load_2addr_b64 v[18:21], v11 offset1:16
	ds_load_b128 v[22:25], v17
	ds_load_b128 v[26:29], v17 offset:1024
	ds_load_b128 v[30:33], v17 offset:16
	;; [unrolled: 1-line block ×4, first 2 shown]
	ds_load_2addr_b64 v[42:45], v11 offset0:32 offset1:48
	ds_load_2addr_b64 v[46:49], v11 offset0:64 offset1:80
	ds_load_b128 v[50:53], v17 offset:1040
	ds_load_2addr_b64 v[54:57], v11 offset0:96 offset1:112
	ds_load_2addr_b64 v[58:61], v11 offset0:128 offset1:144
	;; [unrolled: 1-line block ×4, first 2 shown]
	ds_load_b128 v[70:73], v17 offset:1056
	ds_load_b128 v[74:77], v17 offset:1072
	ds_load_2addr_b64 v[78:81], v11 offset0:224 offset1:240
	s_and_b32 vcc_lo, exec_lo, s4
	s_waitcnt lgkmcnt(0)
	s_barrier
	buffer_gl0_inv
	v_dual_mul_f32 v82, v23, v19 :: v_dual_mul_f32 v85, v22, v21
	v_dual_mul_f32 v83, v22, v19 :: v_dual_mul_f32 v84, v23, v21
	v_mul_f32_e32 v86, v27, v19
	v_dual_mul_f32 v19, v26, v19 :: v_dual_mul_f32 v90, v25, v45
	v_dual_mul_f32 v87, v27, v21 :: v_dual_mul_f32 v88, v25, v43
	v_mul_f32_e32 v21, v26, v21
	v_fma_f32 v82, v22, v18, -v82
	v_fmac_f32_e32 v83, v23, v18
	v_fma_f32 v22, v22, v20, -v84
	v_fmac_f32_e32 v85, v23, v20
	v_fma_f32 v23, v26, v18, -v86
	v_dual_fmac_f32 v19, v27, v18 :: v_dual_mul_f32 v86, v30, v47
	v_fma_f32 v18, v26, v20, -v87
	v_dual_fmac_f32 v21, v27, v20 :: v_dual_mul_f32 v20, v24, v45
	v_mul_f32_e32 v89, v24, v43
	v_mul_f32_e32 v26, v29, v43
	;; [unrolled: 1-line block ×4, first 2 shown]
	v_fmac_f32_e32 v20, v25, v44
	v_fmac_f32_e32 v89, v25, v42
	v_dual_mul_f32 v25, v28, v45 :: v_dual_fmac_f32 v86, v31, v46
	v_fma_f32 v84, v24, v42, -v88
	v_fma_f32 v24, v24, v44, -v90
	v_dual_mul_f32 v45, v31, v47 :: v_dual_mul_f32 v90, v33, v57
	v_fma_f32 v26, v28, v42, -v26
	v_fma_f32 v28, v28, v44, -v43
	v_fmac_f32_e32 v25, v29, v44
	v_dual_mul_f32 v43, v50, v47 :: v_dual_mul_f32 v44, v51, v49
	v_dual_fmac_f32 v27, v29, v42 :: v_dual_mul_f32 v42, v51, v47
	v_dual_mul_f32 v88, v32, v55 :: v_dual_mul_f32 v29, v30, v49
	v_mul_f32_e32 v87, v31, v49
	v_fma_f32 v45, v30, v46, -v45
	v_add_f32_e32 v16, v16, v83
	s_delay_alu instid0(VALU_DEP_4)
	v_dual_fmac_f32 v88, v33, v54 :: v_dual_fmac_f32 v29, v31, v48
	v_fma_f32 v31, v50, v46, -v42
	v_fma_f32 v42, v50, v48, -v44
	v_mul_f32_e32 v44, v32, v57
	v_mul_f32_e32 v47, v50, v49
	v_dual_mul_f32 v50, v53, v57 :: v_dual_fmac_f32 v43, v51, v46
	v_mul_f32_e32 v46, v53, v55
	v_mul_f32_e32 v49, v33, v55
	v_fma_f32 v30, v30, v48, -v87
	v_fmac_f32_e32 v44, v33, v56
	v_dual_fmac_f32 v47, v51, v48 :: v_dual_mul_f32 v48, v52, v55
	v_mul_f32_e32 v33, v52, v57
	v_fma_f32 v46, v52, v54, -v46
	v_fma_f32 v50, v52, v56, -v50
	v_mul_f32_e32 v52, v34, v61
	v_fma_f32 v49, v32, v54, -v49
	v_fma_f32 v32, v32, v56, -v90
	v_dual_mul_f32 v51, v35, v59 :: v_dual_fmac_f32 v48, v53, v54
	v_mul_f32_e32 v54, v70, v59
	v_dual_mul_f32 v55, v34, v59 :: v_dual_fmac_f32 v52, v35, v60
	v_fmac_f32_e32 v33, v53, v56
	v_mul_f32_e32 v53, v71, v59
	v_mul_f32_e32 v56, v71, v61
	;; [unrolled: 1-line block ×3, first 2 shown]
	v_fmac_f32_e32 v54, v71, v58
	v_fmac_f32_e32 v55, v35, v58
	v_fma_f32 v35, v70, v58, -v53
	v_fma_f32 v53, v70, v60, -v56
	v_mul_f32_e32 v56, v36, v65
	v_mul_f32_e32 v59, v70, v61
	v_fma_f32 v51, v34, v58, -v51
	v_mul_f32_e32 v58, v72, v63
	v_mul_f32_e32 v87, v36, v63
	;; [unrolled: 1-line block ×4, first 2 shown]
	v_fma_f32 v34, v34, v60, -v57
	v_mul_f32_e32 v57, v73, v63
	v_fmac_f32_e32 v56, v37, v64
	v_dual_fmac_f32 v59, v71, v60 :: v_dual_mul_f32 v60, v73, v65
	v_mul_f32_e32 v63, v39, v67
	v_mul_f32_e32 v70, v39, v69
	v_fmac_f32_e32 v58, v73, v62
	v_fmac_f32_e32 v87, v37, v62
	v_mul_f32_e32 v37, v72, v65
	v_fma_f32 v61, v36, v62, -v61
	v_fma_f32 v36, v36, v64, -v90
	v_mul_f32_e32 v65, v38, v67
	v_fma_f32 v57, v72, v62, -v57
	v_fma_f32 v60, v72, v64, -v60
	v_dual_fmac_f32 v37, v73, v64 :: v_dual_mul_f32 v62, v38, v69
	v_mul_f32_e32 v64, v75, v67
	v_fma_f32 v63, v38, v66, -v63
	v_fma_f32 v38, v38, v68, -v70
	v_mul_f32_e32 v70, v76, v79
	v_mul_f32_e32 v67, v74, v67
	v_dual_mul_f32 v71, v75, v69 :: v_dual_add_f32 v10, v10, v19
	v_dual_fmac_f32 v65, v39, v66 :: v_dual_add_f32 v12, v12, v85
	s_delay_alu instid0(VALU_DEP_4) | instskip(NEXT) | instid1(VALU_DEP_4)
	v_fmac_f32_e32 v70, v77, v78
	v_fmac_f32_e32 v67, v75, v66
	;; [unrolled: 1-line block ×3, first 2 shown]
	v_fma_f32 v39, v74, v66, -v64
	v_fma_f32 v64, v74, v68, -v71
	v_dual_mul_f32 v71, v77, v81 :: v_dual_add_f32 v10, v10, v27
	v_dual_mul_f32 v69, v74, v69 :: v_dual_add_f32 v12, v12, v20
	;; [unrolled: 1-line block ×3, first 2 shown]
	s_delay_alu instid0(VALU_DEP_3)
	v_add_f32_e32 v10, v10, v43
	v_mul_f32_e32 v73, v40, v79
	v_mul_f32_e32 v72, v41, v79
	v_dual_mul_f32 v90, v41, v81 :: v_dual_fmac_f32 v69, v75, v68
	v_add_f32_e32 v16, v16, v89
	v_fmac_f32_e32 v66, v41, v80
	v_dual_add_f32 v10, v10, v48 :: v_dual_fmac_f32 v73, v41, v78
	v_add_f32_e32 v12, v12, v29
	v_mul_f32_e32 v41, v76, v81
	v_add_f32_e32 v16, v16, v86
	s_delay_alu instid0(VALU_DEP_4) | instskip(SKIP_4) | instid1(VALU_DEP_3)
	v_add_f32_e32 v10, v10, v54
	v_add_f32_e32 v13, v13, v22
	v_dual_add_f32 v9, v9, v23 :: v_dual_add_f32 v12, v12, v44
	v_fmac_f32_e32 v41, v77, v80
	v_dual_add_f32 v16, v16, v88 :: v_dual_add_f32 v7, v7, v18
	v_dual_add_f32 v1, v1, v21 :: v_dual_add_f32 v12, v12, v52
	;; [unrolled: 1-line block ×3, first 2 shown]
	s_delay_alu instid0(VALU_DEP_3) | instskip(NEXT) | instid1(VALU_DEP_3)
	v_dual_add_f32 v16, v16, v55 :: v_dual_add_f32 v15, v15, v84
	v_dual_add_f32 v9, v9, v26 :: v_dual_add_f32 v12, v12, v56
	s_delay_alu instid0(VALU_DEP_2) | instskip(SKIP_1) | instid1(VALU_DEP_4)
	v_dual_add_f32 v1, v1, v25 :: v_dual_add_f32 v16, v16, v87
	v_add_f32_e32 v7, v7, v28
	v_dual_add_f32 v15, v15, v45 :: v_dual_add_f32 v10, v10, v67
	s_delay_alu instid0(VALU_DEP_4) | instskip(NEXT) | instid1(VALU_DEP_4)
	v_dual_add_f32 v12, v12, v62 :: v_dual_add_f32 v9, v9, v31
	v_dual_add_f32 v1, v1, v47 :: v_dual_add_f32 v16, v16, v65
	s_delay_alu instid0(VALU_DEP_3)
	v_add_f32_e32 v10, v10, v70
	v_add_f32_e32 v13, v13, v30
	;; [unrolled: 1-line block ×15, first 2 shown]
	v_dual_mul_f32 v68, v77, v79 :: v_dual_add_f32 v15, v15, v61
	v_add_f32_e32 v13, v13, v36
	v_add_f32_e32 v7, v7, v60
	s_delay_alu instid0(VALU_DEP_4)
	v_add_f32_e32 v9, v9, v57
	v_add_f32_e32 v1, v1, v37
	v_fma_f32 v72, v40, v78, -v72
	v_fma_f32 v40, v40, v80, -v90
	;; [unrolled: 1-line block ×4, first 2 shown]
	v_add_f32_e32 v15, v15, v63
	v_add_f32_e32 v13, v13, v38
	;; [unrolled: 1-line block ×10, first 2 shown]
	s_cbranch_vccz .LBB1255_2
.LBB1255_3:
	s_clause 0x1
	s_load_b128 s[4:7], s[0:1], 0x48
	s_load_b32 s2, s[0:1], 0x0
	v_add_nc_u32_e32 v8, s9, v8
	v_add_nc_u32_e32 v2, s8, v6
	s_delay_alu instid0(VALU_DEP_2) | instskip(NEXT) | instid1(VALU_DEP_2)
	v_ashrrev_i32_e32 v0, 31, v8
	v_cmp_le_i32_e64 s0, v2, v8
	s_waitcnt lgkmcnt(0)
	s_delay_alu instid0(VALU_DEP_2)
	v_mul_lo_u32 v0, v0, s4
	v_mul_lo_u32 v5, v8, s5
	v_mad_u64_u32 v[3:4], null, v8, s4, 0
	s_mul_i32 s1, s15, s7
	s_mul_hi_u32 s3, s15, s6
	s_mul_i32 s6, s15, s6
	s_add_i32 s7, s3, s1
	v_cmp_gt_i32_e32 vcc_lo, s2, v8
	s_lshl_b64 s[6:7], s[6:7], 3
	s_delay_alu instid0(VALU_DEP_2) | instskip(SKIP_3) | instid1(VALU_DEP_1)
	v_add3_u32 v4, v4, v5, v0
	s_add_u32 s3, s30, s6
	s_addc_u32 s6, s31, s7
	s_and_b32 s0, vcc_lo, s0
	v_lshlrev_b64 v[3:4], 3, v[3:4]
	s_delay_alu instid0(VALU_DEP_1) | instskip(NEXT) | instid1(VALU_DEP_1)
	v_add_co_u32 v0, s1, s3, v3
	v_add_co_ci_u32_e64 v6, s1, s6, v4, s1
	s_and_saveexec_b32 s1, s0
	s_cbranch_execz .LBB1255_6
; %bb.4:
	v_ashrrev_i32_e32 v3, 31, v2
	v_xor_b32_e32 v14, 0x80000000, v15
	v_xor_b32_e32 v15, 0x80000000, v16
	s_delay_alu instid0(VALU_DEP_3) | instskip(NEXT) | instid1(VALU_DEP_1)
	v_lshlrev_b64 v[3:4], 3, v[2:3]
	v_add_co_u32 v3, s0, v0, v3
	s_delay_alu instid0(VALU_DEP_1)
	v_add_co_ci_u32_e64 v4, s0, v6, v4, s0
	v_cmp_eq_u32_e64 s0, v8, v2
	global_store_b64 v[3:4], v[14:15], off
	s_and_b32 exec_lo, exec_lo, s0
	s_cbranch_execz .LBB1255_6
; %bb.5:
	v_mov_b32_e32 v5, 0
	global_store_b32 v[3:4], v5, off offset:4
.LBB1255_6:
	s_or_b32 exec_lo, exec_lo, s1
	v_add_nc_u32_e32 v4, 16, v2
	s_delay_alu instid0(VALU_DEP_1) | instskip(NEXT) | instid1(VALU_DEP_1)
	v_cmp_le_i32_e64 s0, v4, v8
	s_and_b32 s1, vcc_lo, s0
	s_delay_alu instid0(SALU_CYCLE_1)
	s_and_saveexec_b32 s0, s1
	s_cbranch_execz .LBB1255_9
; %bb.7:
	v_ashrrev_i32_e32 v5, 31, v4
	v_xor_b32_e32 v11, 0x80000000, v13
	v_xor_b32_e32 v12, 0x80000000, v12
	s_delay_alu instid0(VALU_DEP_3) | instskip(NEXT) | instid1(VALU_DEP_1)
	v_lshlrev_b64 v[14:15], 3, v[4:5]
	v_add_co_u32 v5, vcc_lo, v0, v14
	s_delay_alu instid0(VALU_DEP_2)
	v_add_co_ci_u32_e32 v6, vcc_lo, v6, v15, vcc_lo
	v_cmp_eq_u32_e32 vcc_lo, v8, v4
	global_store_b64 v[5:6], v[11:12], off
	s_and_b32 exec_lo, exec_lo, vcc_lo
	s_cbranch_execz .LBB1255_9
; %bb.8:
	v_mov_b32_e32 v0, 0
	global_store_b32 v[5:6], v0, off offset:4
.LBB1255_9:
	s_or_b32 exec_lo, exec_lo, s0
	v_add_nc_u32_e32 v12, 16, v8
	s_delay_alu instid0(VALU_DEP_1) | instskip(SKIP_3) | instid1(VALU_DEP_4)
	v_ashrrev_i32_e32 v0, 31, v12
	v_mul_lo_u32 v3, v12, s5
	v_mad_u64_u32 v[5:6], null, v12, s4, 0
	v_cmp_gt_i32_e32 vcc_lo, s2, v12
	v_mul_lo_u32 v0, v0, s4
	v_cmp_le_i32_e64 s0, v2, v12
	s_delay_alu instid0(VALU_DEP_1) | instskip(NEXT) | instid1(VALU_DEP_2)
	s_and_b32 s0, vcc_lo, s0
	v_add3_u32 v6, v6, v3, v0
	s_delay_alu instid0(VALU_DEP_1) | instskip(NEXT) | instid1(VALU_DEP_1)
	v_lshlrev_b64 v[5:6], 3, v[5:6]
	v_add_co_u32 v0, s1, s3, v5
	s_delay_alu instid0(VALU_DEP_1)
	v_add_co_ci_u32_e64 v11, s1, s6, v6, s1
	s_and_saveexec_b32 s1, s0
	s_cbranch_execz .LBB1255_12
; %bb.10:
	v_ashrrev_i32_e32 v3, 31, v2
	v_xor_b32_e32 v9, 0x80000000, v9
	v_xor_b32_e32 v10, 0x80000000, v10
	s_delay_alu instid0(VALU_DEP_3) | instskip(NEXT) | instid1(VALU_DEP_1)
	v_lshlrev_b64 v[5:6], 3, v[2:3]
	v_add_co_u32 v5, s0, v0, v5
	s_delay_alu instid0(VALU_DEP_1)
	v_add_co_ci_u32_e64 v6, s0, v11, v6, s0
	v_cmp_eq_u32_e64 s0, v12, v2
	global_store_b64 v[5:6], v[9:10], off
	s_and_b32 exec_lo, exec_lo, s0
	s_cbranch_execz .LBB1255_12
; %bb.11:
	v_mov_b32_e32 v3, 0
	global_store_b32 v[5:6], v3, off offset:4
.LBB1255_12:
	s_or_b32 exec_lo, exec_lo, s1
	v_cmp_le_i32_e64 s0, v4, v12
	s_delay_alu instid0(VALU_DEP_1) | instskip(NEXT) | instid1(SALU_CYCLE_1)
	s_and_b32 s0, vcc_lo, s0
	s_and_saveexec_b32 s1, s0
	s_cbranch_execz .LBB1255_15
; %bb.13:
	v_ashrrev_i32_e32 v5, 31, v4
	v_xor_b32_e32 v6, 0x80000000, v1
	s_delay_alu instid0(VALU_DEP_2) | instskip(SKIP_1) | instid1(VALU_DEP_2)
	v_lshlrev_b64 v[3:4], 3, v[4:5]
	v_xor_b32_e32 v5, 0x80000000, v7
	v_add_co_u32 v0, vcc_lo, v0, v3
	s_delay_alu instid0(VALU_DEP_3)
	v_add_co_ci_u32_e32 v1, vcc_lo, v11, v4, vcc_lo
	v_cmp_eq_u32_e32 vcc_lo, v8, v2
	global_store_b64 v[0:1], v[5:6], off
	s_and_b32 exec_lo, exec_lo, vcc_lo
	s_cbranch_execz .LBB1255_15
; %bb.14:
	v_mov_b32_e32 v2, 0
	global_store_b32 v[0:1], v2, off offset:4
.LBB1255_15:
	s_nop 0
	s_sendmsg sendmsg(MSG_DEALLOC_VGPRS)
	s_endpgm
	.section	.rodata,"a",@progbits
	.p2align	6, 0x0
	.amdhsa_kernel _ZL37rocblas_syrkx_herkx_restricted_kernelIl19rocblas_complex_numIfELi16ELi32ELi8ELin1ELi0ELb1ELc84ELc85EKS1_S1_EviT_PT9_S3_lS5_S3_lPT10_S3_li
		.amdhsa_group_segment_fixed_size 4096
		.amdhsa_private_segment_fixed_size 0
		.amdhsa_kernarg_size 92
		.amdhsa_user_sgpr_count 13
		.amdhsa_user_sgpr_dispatch_ptr 0
		.amdhsa_user_sgpr_queue_ptr 0
		.amdhsa_user_sgpr_kernarg_segment_ptr 1
		.amdhsa_user_sgpr_dispatch_id 0
		.amdhsa_user_sgpr_private_segment_size 0
		.amdhsa_wavefront_size32 1
		.amdhsa_uses_dynamic_stack 0
		.amdhsa_enable_private_segment 0
		.amdhsa_system_sgpr_workgroup_id_x 1
		.amdhsa_system_sgpr_workgroup_id_y 1
		.amdhsa_system_sgpr_workgroup_id_z 1
		.amdhsa_system_sgpr_workgroup_info 0
		.amdhsa_system_vgpr_workitem_id 1
		.amdhsa_next_free_vgpr 91
		.amdhsa_next_free_sgpr 32
		.amdhsa_reserve_vcc 1
		.amdhsa_float_round_mode_32 0
		.amdhsa_float_round_mode_16_64 0
		.amdhsa_float_denorm_mode_32 3
		.amdhsa_float_denorm_mode_16_64 3
		.amdhsa_dx10_clamp 1
		.amdhsa_ieee_mode 1
		.amdhsa_fp16_overflow 0
		.amdhsa_workgroup_processor_mode 1
		.amdhsa_memory_ordered 1
		.amdhsa_forward_progress 0
		.amdhsa_shared_vgpr_count 0
		.amdhsa_exception_fp_ieee_invalid_op 0
		.amdhsa_exception_fp_denorm_src 0
		.amdhsa_exception_fp_ieee_div_zero 0
		.amdhsa_exception_fp_ieee_overflow 0
		.amdhsa_exception_fp_ieee_underflow 0
		.amdhsa_exception_fp_ieee_inexact 0
		.amdhsa_exception_int_div_zero 0
	.end_amdhsa_kernel
	.section	.text._ZL37rocblas_syrkx_herkx_restricted_kernelIl19rocblas_complex_numIfELi16ELi32ELi8ELin1ELi0ELb1ELc84ELc85EKS1_S1_EviT_PT9_S3_lS5_S3_lPT10_S3_li,"axG",@progbits,_ZL37rocblas_syrkx_herkx_restricted_kernelIl19rocblas_complex_numIfELi16ELi32ELi8ELin1ELi0ELb1ELc84ELc85EKS1_S1_EviT_PT9_S3_lS5_S3_lPT10_S3_li,comdat
.Lfunc_end1255:
	.size	_ZL37rocblas_syrkx_herkx_restricted_kernelIl19rocblas_complex_numIfELi16ELi32ELi8ELin1ELi0ELb1ELc84ELc85EKS1_S1_EviT_PT9_S3_lS5_S3_lPT10_S3_li, .Lfunc_end1255-_ZL37rocblas_syrkx_herkx_restricted_kernelIl19rocblas_complex_numIfELi16ELi32ELi8ELin1ELi0ELb1ELc84ELc85EKS1_S1_EviT_PT9_S3_lS5_S3_lPT10_S3_li
                                        ; -- End function
	.section	.AMDGPU.csdata,"",@progbits
; Kernel info:
; codeLenInByte = 2276
; NumSgprs: 34
; NumVgprs: 91
; ScratchSize: 0
; MemoryBound: 0
; FloatMode: 240
; IeeeMode: 1
; LDSByteSize: 4096 bytes/workgroup (compile time only)
; SGPRBlocks: 4
; VGPRBlocks: 11
; NumSGPRsForWavesPerEU: 34
; NumVGPRsForWavesPerEU: 91
; Occupancy: 16
; WaveLimiterHint : 1
; COMPUTE_PGM_RSRC2:SCRATCH_EN: 0
; COMPUTE_PGM_RSRC2:USER_SGPR: 13
; COMPUTE_PGM_RSRC2:TRAP_HANDLER: 0
; COMPUTE_PGM_RSRC2:TGID_X_EN: 1
; COMPUTE_PGM_RSRC2:TGID_Y_EN: 1
; COMPUTE_PGM_RSRC2:TGID_Z_EN: 1
; COMPUTE_PGM_RSRC2:TIDIG_COMP_CNT: 1
	.section	.text._ZL37rocblas_syrkx_herkx_restricted_kernelIl19rocblas_complex_numIfELi16ELi32ELi8ELin1ELi0ELb1ELc67ELc85EKS1_S1_EviT_PT9_S3_lS5_S3_lPT10_S3_li,"axG",@progbits,_ZL37rocblas_syrkx_herkx_restricted_kernelIl19rocblas_complex_numIfELi16ELi32ELi8ELin1ELi0ELb1ELc67ELc85EKS1_S1_EviT_PT9_S3_lS5_S3_lPT10_S3_li,comdat
	.globl	_ZL37rocblas_syrkx_herkx_restricted_kernelIl19rocblas_complex_numIfELi16ELi32ELi8ELin1ELi0ELb1ELc67ELc85EKS1_S1_EviT_PT9_S3_lS5_S3_lPT10_S3_li ; -- Begin function _ZL37rocblas_syrkx_herkx_restricted_kernelIl19rocblas_complex_numIfELi16ELi32ELi8ELin1ELi0ELb1ELc67ELc85EKS1_S1_EviT_PT9_S3_lS5_S3_lPT10_S3_li
	.p2align	8
	.type	_ZL37rocblas_syrkx_herkx_restricted_kernelIl19rocblas_complex_numIfELi16ELi32ELi8ELin1ELi0ELb1ELc67ELc85EKS1_S1_EviT_PT9_S3_lS5_S3_lPT10_S3_li,@function
_ZL37rocblas_syrkx_herkx_restricted_kernelIl19rocblas_complex_numIfELi16ELi32ELi8ELin1ELi0ELb1ELc67ELc85EKS1_S1_EviT_PT9_S3_lS5_S3_lPT10_S3_li: ; @_ZL37rocblas_syrkx_herkx_restricted_kernelIl19rocblas_complex_numIfELi16ELi32ELi8ELin1ELi0ELb1ELc67ELc85EKS1_S1_EviT_PT9_S3_lS5_S3_lPT10_S3_li
; %bb.0:
	s_load_b512 s[16:31], s[0:1], 0x8
	v_dual_mov_b32 v15, 0 :: v_dual_mov_b32 v16, 0
	v_dual_mov_b32 v13, 0 :: v_dual_mov_b32 v12, 0
	;; [unrolled: 1-line block ×3, first 2 shown]
	v_dual_mov_b32 v7, 0 :: v_dual_and_b32 v6, 0x3ff, v0
	v_bfe_u32 v8, v0, 10, 10
	v_mov_b32_e32 v1, 0
	s_lshl_b32 s8, s13, 5
	s_lshl_b32 s9, s14, 5
	s_waitcnt lgkmcnt(0)
	v_cmp_lt_i64_e64 s2, s[16:17], 1
	s_delay_alu instid0(VALU_DEP_1)
	s_and_b32 vcc_lo, exec_lo, s2
	s_cbranch_vccnz .LBB1256_3
; %bb.1:
	v_lshl_add_u32 v2, v8, 4, v6
	v_dual_mov_b32 v1, 0 :: v_dual_and_b32 v0, 7, v6
	s_mul_i32 s3, s23, s15
	s_mul_hi_u32 s4, s22, s15
	s_delay_alu instid0(VALU_DEP_2) | instskip(SKIP_3) | instid1(VALU_DEP_4)
	v_and_b32_e32 v7, 31, v2
	v_lshrrev_b32_e32 v12, 3, v2
	v_lshrrev_b32_e32 v2, 5, v2
	v_dual_mov_b32 v3, v1 :: v_dual_lshlrev_b32 v14, 3, v0
	v_add_nc_u32_e32 v9, s8, v7
	s_delay_alu instid0(VALU_DEP_4)
	v_add_nc_u32_e32 v13, s9, v12
	s_mul_i32 s2, s22, s15
	s_add_i32 s3, s4, s3
	s_mul_hi_u32 s5, s28, s15
	v_ashrrev_i32_e32 v10, 31, v9
	v_ashrrev_i32_e32 v15, 31, v13
	v_mad_u64_u32 v[4:5], null, s20, v9, v[2:3]
	v_mul_lo_u32 v3, s21, v9
	s_delay_alu instid0(VALU_DEP_4)
	v_mul_lo_u32 v16, s20, v10
	v_mul_lo_u32 v17, v13, s27
	v_mad_u64_u32 v[9:10], null, v13, s26, v[0:1]
	v_mul_lo_u32 v13, v15, s26
	v_lshlrev_b32_e32 v0, 3, v7
	v_lshl_or_b32 v7, v12, 6, v14
	s_lshl_b64 s[2:3], s[2:3], 3
	v_add3_u32 v5, v3, v5, v16
	s_add_u32 s4, s18, s2
	s_mul_i32 s2, s29, s15
	v_add_nc_u32_e32 v14, 0x800, v7
	v_add3_u32 v10, v13, v10, v17
	v_mov_b32_e32 v7, v1
	v_lshl_or_b32 v0, v2, 8, v0
	v_lshlrev_b64 v[2:3], 3, v[4:5]
	s_addc_u32 s6, s19, s3
	s_add_i32 s3, s5, s2
	s_mul_i32 s2, s28, s15
	v_lshlrev_b64 v[4:5], 3, v[9:10]
	v_mov_b32_e32 v9, v1
	s_lshl_b64 s[2:3], s[2:3], 3
	v_add_co_u32 v2, vcc_lo, s4, v2
	s_add_u32 s2, s24, s2
	v_add_co_ci_u32_e32 v3, vcc_lo, s6, v3, vcc_lo
	s_addc_u32 s3, s25, s3
	v_add_co_u32 v4, vcc_lo, s2, v4
	v_add_co_ci_u32_e32 v5, vcc_lo, s3, v5, vcc_lo
	v_add_co_u32 v2, vcc_lo, v2, 4
	v_add_co_ci_u32_e32 v3, vcc_lo, 0, v3, vcc_lo
	s_delay_alu instid0(VALU_DEP_4)
	v_add_co_u32 v4, vcc_lo, v4, 4
	v_dual_mov_b32 v10, v1 :: v_dual_lshlrev_b32 v11, 3, v6
	v_lshl_add_u32 v17, v8, 6, 0x800
	v_add_co_ci_u32_e32 v5, vcc_lo, 0, v5, vcc_lo
	v_mov_b32_e32 v12, v1
	v_mov_b32_e32 v13, v1
	;; [unrolled: 1-line block ×4, first 2 shown]
	s_mov_b64 s[2:3], 0
.LBB1256_2:                             ; =>This Inner Loop Header: Depth=1
	global_load_b64 v[18:19], v[2:3], off offset:-4
	global_load_b64 v[20:21], v[4:5], off offset:-4
	s_add_u32 s2, s2, 8
	v_add_co_u32 v2, vcc_lo, v2, 64
	s_addc_u32 s3, s3, 0
	v_add_co_ci_u32_e32 v3, vcc_lo, 0, v3, vcc_lo
	v_cmp_ge_u64_e64 s4, s[2:3], s[16:17]
	v_add_co_u32 v4, vcc_lo, v4, 64
	v_add_co_ci_u32_e32 v5, vcc_lo, 0, v5, vcc_lo
	s_delay_alu instid0(VALU_DEP_3)
	s_and_b32 vcc_lo, exec_lo, s4
	s_waitcnt vmcnt(1)
	v_xor_b32_e32 v19, 0x80000000, v19
	ds_store_b64 v0, v[18:19]
	s_waitcnt vmcnt(0)
	ds_store_b64 v14, v[20:21]
	s_waitcnt lgkmcnt(0)
	s_barrier
	buffer_gl0_inv
	ds_load_2addr_b64 v[18:21], v11 offset1:16
	ds_load_b128 v[22:25], v17
	ds_load_b128 v[26:29], v17 offset:1024
	ds_load_b128 v[30:33], v17 offset:16
	;; [unrolled: 1-line block ×4, first 2 shown]
	ds_load_2addr_b64 v[42:45], v11 offset0:32 offset1:48
	ds_load_2addr_b64 v[46:49], v11 offset0:64 offset1:80
	ds_load_b128 v[50:53], v17 offset:1040
	ds_load_2addr_b64 v[54:57], v11 offset0:96 offset1:112
	ds_load_2addr_b64 v[58:61], v11 offset0:128 offset1:144
	;; [unrolled: 1-line block ×4, first 2 shown]
	ds_load_b128 v[70:73], v17 offset:1056
	ds_load_b128 v[74:77], v17 offset:1072
	ds_load_2addr_b64 v[78:81], v11 offset0:224 offset1:240
	s_waitcnt lgkmcnt(0)
	s_barrier
	buffer_gl0_inv
	v_dual_mul_f32 v82, v23, v19 :: v_dual_mul_f32 v85, v22, v21
	v_dual_mul_f32 v83, v22, v19 :: v_dual_mul_f32 v84, v23, v21
	v_mul_f32_e32 v86, v27, v19
	v_dual_mul_f32 v19, v26, v19 :: v_dual_mul_f32 v90, v25, v45
	v_dual_mul_f32 v87, v27, v21 :: v_dual_mul_f32 v88, v25, v43
	v_mul_f32_e32 v21, v26, v21
	v_fma_f32 v82, v22, v18, -v82
	v_fmac_f32_e32 v83, v23, v18
	v_fma_f32 v22, v22, v20, -v84
	v_fmac_f32_e32 v85, v23, v20
	v_fma_f32 v23, v26, v18, -v86
	v_dual_fmac_f32 v19, v27, v18 :: v_dual_mul_f32 v86, v30, v47
	v_fma_f32 v18, v26, v20, -v87
	v_dual_fmac_f32 v21, v27, v20 :: v_dual_mul_f32 v20, v24, v45
	v_mul_f32_e32 v89, v24, v43
	v_mul_f32_e32 v26, v29, v43
	;; [unrolled: 1-line block ×4, first 2 shown]
	v_fmac_f32_e32 v20, v25, v44
	v_fmac_f32_e32 v89, v25, v42
	v_dual_mul_f32 v25, v28, v45 :: v_dual_fmac_f32 v86, v31, v46
	v_fma_f32 v84, v24, v42, -v88
	v_fma_f32 v24, v24, v44, -v90
	v_dual_mul_f32 v45, v31, v47 :: v_dual_mul_f32 v90, v33, v57
	v_fma_f32 v26, v28, v42, -v26
	v_fma_f32 v28, v28, v44, -v43
	v_fmac_f32_e32 v25, v29, v44
	v_dual_mul_f32 v43, v50, v47 :: v_dual_mul_f32 v44, v51, v49
	v_dual_fmac_f32 v27, v29, v42 :: v_dual_mul_f32 v42, v51, v47
	v_dual_mul_f32 v88, v32, v55 :: v_dual_mul_f32 v29, v30, v49
	v_mul_f32_e32 v87, v31, v49
	v_fma_f32 v45, v30, v46, -v45
	v_add_f32_e32 v16, v16, v83
	s_delay_alu instid0(VALU_DEP_4)
	v_dual_fmac_f32 v88, v33, v54 :: v_dual_fmac_f32 v29, v31, v48
	v_fma_f32 v31, v50, v46, -v42
	v_fma_f32 v42, v50, v48, -v44
	v_mul_f32_e32 v44, v32, v57
	v_mul_f32_e32 v47, v50, v49
	v_dual_mul_f32 v50, v53, v57 :: v_dual_fmac_f32 v43, v51, v46
	v_mul_f32_e32 v46, v53, v55
	v_mul_f32_e32 v49, v33, v55
	v_fma_f32 v30, v30, v48, -v87
	v_fmac_f32_e32 v44, v33, v56
	v_dual_fmac_f32 v47, v51, v48 :: v_dual_mul_f32 v48, v52, v55
	v_mul_f32_e32 v33, v52, v57
	v_fma_f32 v46, v52, v54, -v46
	v_fma_f32 v50, v52, v56, -v50
	v_mul_f32_e32 v52, v34, v61
	v_fma_f32 v49, v32, v54, -v49
	v_fma_f32 v32, v32, v56, -v90
	v_dual_mul_f32 v51, v35, v59 :: v_dual_fmac_f32 v48, v53, v54
	v_mul_f32_e32 v54, v70, v59
	v_dual_mul_f32 v55, v34, v59 :: v_dual_fmac_f32 v52, v35, v60
	v_fmac_f32_e32 v33, v53, v56
	v_mul_f32_e32 v53, v71, v59
	v_mul_f32_e32 v56, v71, v61
	v_mul_f32_e32 v57, v35, v61
	v_fmac_f32_e32 v54, v71, v58
	v_fmac_f32_e32 v55, v35, v58
	v_fma_f32 v35, v70, v58, -v53
	v_fma_f32 v53, v70, v60, -v56
	v_mul_f32_e32 v56, v36, v65
	v_mul_f32_e32 v59, v70, v61
	v_fma_f32 v51, v34, v58, -v51
	v_mul_f32_e32 v58, v72, v63
	v_mul_f32_e32 v87, v36, v63
	;; [unrolled: 1-line block ×4, first 2 shown]
	v_fma_f32 v34, v34, v60, -v57
	v_mul_f32_e32 v57, v73, v63
	v_fmac_f32_e32 v56, v37, v64
	v_dual_fmac_f32 v59, v71, v60 :: v_dual_mul_f32 v60, v73, v65
	v_mul_f32_e32 v63, v39, v67
	v_mul_f32_e32 v70, v39, v69
	v_fmac_f32_e32 v58, v73, v62
	v_fmac_f32_e32 v87, v37, v62
	v_mul_f32_e32 v37, v72, v65
	v_fma_f32 v61, v36, v62, -v61
	v_fma_f32 v36, v36, v64, -v90
	v_mul_f32_e32 v65, v38, v67
	v_fma_f32 v57, v72, v62, -v57
	v_fma_f32 v60, v72, v64, -v60
	v_dual_fmac_f32 v37, v73, v64 :: v_dual_mul_f32 v62, v38, v69
	v_mul_f32_e32 v64, v75, v67
	v_fma_f32 v63, v38, v66, -v63
	v_fma_f32 v38, v38, v68, -v70
	v_mul_f32_e32 v70, v76, v79
	v_mul_f32_e32 v67, v74, v67
	v_dual_mul_f32 v71, v75, v69 :: v_dual_add_f32 v10, v10, v19
	v_dual_fmac_f32 v65, v39, v66 :: v_dual_add_f32 v12, v12, v85
	s_delay_alu instid0(VALU_DEP_4) | instskip(NEXT) | instid1(VALU_DEP_4)
	v_fmac_f32_e32 v70, v77, v78
	v_fmac_f32_e32 v67, v75, v66
	;; [unrolled: 1-line block ×3, first 2 shown]
	v_fma_f32 v39, v74, v66, -v64
	v_fma_f32 v64, v74, v68, -v71
	v_dual_mul_f32 v71, v77, v81 :: v_dual_add_f32 v10, v10, v27
	v_dual_mul_f32 v69, v74, v69 :: v_dual_add_f32 v12, v12, v20
	;; [unrolled: 1-line block ×3, first 2 shown]
	s_delay_alu instid0(VALU_DEP_3)
	v_add_f32_e32 v10, v10, v43
	v_mul_f32_e32 v73, v40, v79
	v_mul_f32_e32 v72, v41, v79
	v_dual_mul_f32 v90, v41, v81 :: v_dual_fmac_f32 v69, v75, v68
	v_add_f32_e32 v16, v16, v89
	v_fmac_f32_e32 v66, v41, v80
	v_dual_add_f32 v10, v10, v48 :: v_dual_fmac_f32 v73, v41, v78
	v_add_f32_e32 v12, v12, v29
	v_mul_f32_e32 v41, v76, v81
	v_add_f32_e32 v16, v16, v86
	s_delay_alu instid0(VALU_DEP_4) | instskip(SKIP_4) | instid1(VALU_DEP_3)
	v_add_f32_e32 v10, v10, v54
	v_add_f32_e32 v13, v13, v22
	v_dual_add_f32 v9, v9, v23 :: v_dual_add_f32 v12, v12, v44
	v_fmac_f32_e32 v41, v77, v80
	v_dual_add_f32 v16, v16, v88 :: v_dual_add_f32 v7, v7, v18
	v_dual_add_f32 v1, v1, v21 :: v_dual_add_f32 v12, v12, v52
	;; [unrolled: 1-line block ×3, first 2 shown]
	s_delay_alu instid0(VALU_DEP_3) | instskip(NEXT) | instid1(VALU_DEP_3)
	v_dual_add_f32 v16, v16, v55 :: v_dual_add_f32 v15, v15, v84
	v_dual_add_f32 v9, v9, v26 :: v_dual_add_f32 v12, v12, v56
	s_delay_alu instid0(VALU_DEP_2) | instskip(SKIP_1) | instid1(VALU_DEP_4)
	v_dual_add_f32 v1, v1, v25 :: v_dual_add_f32 v16, v16, v87
	v_add_f32_e32 v7, v7, v28
	v_dual_add_f32 v15, v15, v45 :: v_dual_add_f32 v10, v10, v67
	s_delay_alu instid0(VALU_DEP_4) | instskip(NEXT) | instid1(VALU_DEP_4)
	v_dual_add_f32 v12, v12, v62 :: v_dual_add_f32 v9, v9, v31
	v_dual_add_f32 v1, v1, v47 :: v_dual_add_f32 v16, v16, v65
	s_delay_alu instid0(VALU_DEP_3)
	v_add_f32_e32 v10, v10, v70
	v_add_f32_e32 v13, v13, v30
	;; [unrolled: 1-line block ×15, first 2 shown]
	v_dual_mul_f32 v68, v77, v79 :: v_dual_add_f32 v15, v15, v61
	v_add_f32_e32 v13, v13, v36
	v_add_f32_e32 v7, v7, v60
	s_delay_alu instid0(VALU_DEP_4)
	v_add_f32_e32 v9, v9, v57
	v_add_f32_e32 v1, v1, v37
	v_fma_f32 v72, v40, v78, -v72
	v_fma_f32 v40, v40, v80, -v90
	;; [unrolled: 1-line block ×4, first 2 shown]
	v_add_f32_e32 v15, v15, v63
	v_add_f32_e32 v13, v13, v38
	;; [unrolled: 1-line block ×10, first 2 shown]
	s_cbranch_vccz .LBB1256_2
.LBB1256_3:
	s_clause 0x1
	s_load_b128 s[4:7], s[0:1], 0x48
	s_load_b32 s2, s[0:1], 0x0
	v_add_nc_u32_e32 v8, s9, v8
	v_add_nc_u32_e32 v2, s8, v6
	s_delay_alu instid0(VALU_DEP_2) | instskip(NEXT) | instid1(VALU_DEP_2)
	v_ashrrev_i32_e32 v0, 31, v8
	v_cmp_le_i32_e64 s0, v2, v8
	s_waitcnt lgkmcnt(0)
	s_delay_alu instid0(VALU_DEP_2)
	v_mul_lo_u32 v0, v0, s4
	v_mul_lo_u32 v5, v8, s5
	v_mad_u64_u32 v[3:4], null, v8, s4, 0
	s_mul_i32 s1, s15, s7
	s_mul_hi_u32 s3, s15, s6
	s_mul_i32 s6, s15, s6
	s_add_i32 s7, s3, s1
	v_cmp_gt_i32_e32 vcc_lo, s2, v8
	s_lshl_b64 s[6:7], s[6:7], 3
	s_delay_alu instid0(VALU_DEP_2) | instskip(SKIP_3) | instid1(VALU_DEP_1)
	v_add3_u32 v4, v4, v5, v0
	s_add_u32 s3, s30, s6
	s_addc_u32 s6, s31, s7
	s_and_b32 s0, vcc_lo, s0
	v_lshlrev_b64 v[3:4], 3, v[3:4]
	s_delay_alu instid0(VALU_DEP_1) | instskip(NEXT) | instid1(VALU_DEP_1)
	v_add_co_u32 v0, s1, s3, v3
	v_add_co_ci_u32_e64 v6, s1, s6, v4, s1
	s_and_saveexec_b32 s1, s0
	s_cbranch_execz .LBB1256_6
; %bb.4:
	v_ashrrev_i32_e32 v3, 31, v2
	v_xor_b32_e32 v14, 0x80000000, v15
	v_xor_b32_e32 v15, 0x80000000, v16
	s_delay_alu instid0(VALU_DEP_3) | instskip(NEXT) | instid1(VALU_DEP_1)
	v_lshlrev_b64 v[3:4], 3, v[2:3]
	v_add_co_u32 v3, s0, v0, v3
	s_delay_alu instid0(VALU_DEP_1)
	v_add_co_ci_u32_e64 v4, s0, v6, v4, s0
	v_cmp_eq_u32_e64 s0, v8, v2
	global_store_b64 v[3:4], v[14:15], off
	s_and_b32 exec_lo, exec_lo, s0
	s_cbranch_execz .LBB1256_6
; %bb.5:
	v_mov_b32_e32 v5, 0
	global_store_b32 v[3:4], v5, off offset:4
.LBB1256_6:
	s_or_b32 exec_lo, exec_lo, s1
	v_add_nc_u32_e32 v4, 16, v2
	s_delay_alu instid0(VALU_DEP_1) | instskip(NEXT) | instid1(VALU_DEP_1)
	v_cmp_le_i32_e64 s0, v4, v8
	s_and_b32 s1, vcc_lo, s0
	s_delay_alu instid0(SALU_CYCLE_1)
	s_and_saveexec_b32 s0, s1
	s_cbranch_execz .LBB1256_9
; %bb.7:
	v_ashrrev_i32_e32 v5, 31, v4
	v_xor_b32_e32 v11, 0x80000000, v13
	v_xor_b32_e32 v12, 0x80000000, v12
	s_delay_alu instid0(VALU_DEP_3) | instskip(NEXT) | instid1(VALU_DEP_1)
	v_lshlrev_b64 v[14:15], 3, v[4:5]
	v_add_co_u32 v5, vcc_lo, v0, v14
	s_delay_alu instid0(VALU_DEP_2)
	v_add_co_ci_u32_e32 v6, vcc_lo, v6, v15, vcc_lo
	v_cmp_eq_u32_e32 vcc_lo, v8, v4
	global_store_b64 v[5:6], v[11:12], off
	s_and_b32 exec_lo, exec_lo, vcc_lo
	s_cbranch_execz .LBB1256_9
; %bb.8:
	v_mov_b32_e32 v0, 0
	global_store_b32 v[5:6], v0, off offset:4
.LBB1256_9:
	s_or_b32 exec_lo, exec_lo, s0
	v_add_nc_u32_e32 v12, 16, v8
	s_delay_alu instid0(VALU_DEP_1) | instskip(SKIP_3) | instid1(VALU_DEP_4)
	v_ashrrev_i32_e32 v0, 31, v12
	v_mul_lo_u32 v3, v12, s5
	v_mad_u64_u32 v[5:6], null, v12, s4, 0
	v_cmp_gt_i32_e32 vcc_lo, s2, v12
	v_mul_lo_u32 v0, v0, s4
	v_cmp_le_i32_e64 s0, v2, v12
	s_delay_alu instid0(VALU_DEP_1) | instskip(NEXT) | instid1(VALU_DEP_2)
	s_and_b32 s0, vcc_lo, s0
	v_add3_u32 v6, v6, v3, v0
	s_delay_alu instid0(VALU_DEP_1) | instskip(NEXT) | instid1(VALU_DEP_1)
	v_lshlrev_b64 v[5:6], 3, v[5:6]
	v_add_co_u32 v0, s1, s3, v5
	s_delay_alu instid0(VALU_DEP_1)
	v_add_co_ci_u32_e64 v11, s1, s6, v6, s1
	s_and_saveexec_b32 s1, s0
	s_cbranch_execz .LBB1256_12
; %bb.10:
	v_ashrrev_i32_e32 v3, 31, v2
	v_xor_b32_e32 v9, 0x80000000, v9
	v_xor_b32_e32 v10, 0x80000000, v10
	s_delay_alu instid0(VALU_DEP_3) | instskip(NEXT) | instid1(VALU_DEP_1)
	v_lshlrev_b64 v[5:6], 3, v[2:3]
	v_add_co_u32 v5, s0, v0, v5
	s_delay_alu instid0(VALU_DEP_1)
	v_add_co_ci_u32_e64 v6, s0, v11, v6, s0
	v_cmp_eq_u32_e64 s0, v12, v2
	global_store_b64 v[5:6], v[9:10], off
	s_and_b32 exec_lo, exec_lo, s0
	s_cbranch_execz .LBB1256_12
; %bb.11:
	v_mov_b32_e32 v3, 0
	global_store_b32 v[5:6], v3, off offset:4
.LBB1256_12:
	s_or_b32 exec_lo, exec_lo, s1
	v_cmp_le_i32_e64 s0, v4, v12
	s_delay_alu instid0(VALU_DEP_1) | instskip(NEXT) | instid1(SALU_CYCLE_1)
	s_and_b32 s0, vcc_lo, s0
	s_and_saveexec_b32 s1, s0
	s_cbranch_execz .LBB1256_15
; %bb.13:
	v_ashrrev_i32_e32 v5, 31, v4
	v_xor_b32_e32 v6, 0x80000000, v1
	s_delay_alu instid0(VALU_DEP_2) | instskip(SKIP_1) | instid1(VALU_DEP_2)
	v_lshlrev_b64 v[3:4], 3, v[4:5]
	v_xor_b32_e32 v5, 0x80000000, v7
	v_add_co_u32 v0, vcc_lo, v0, v3
	s_delay_alu instid0(VALU_DEP_3)
	v_add_co_ci_u32_e32 v1, vcc_lo, v11, v4, vcc_lo
	v_cmp_eq_u32_e32 vcc_lo, v8, v2
	global_store_b64 v[0:1], v[5:6], off
	s_and_b32 exec_lo, exec_lo, vcc_lo
	s_cbranch_execz .LBB1256_15
; %bb.14:
	v_mov_b32_e32 v2, 0
	global_store_b32 v[0:1], v2, off offset:4
.LBB1256_15:
	s_nop 0
	s_sendmsg sendmsg(MSG_DEALLOC_VGPRS)
	s_endpgm
	.section	.rodata,"a",@progbits
	.p2align	6, 0x0
	.amdhsa_kernel _ZL37rocblas_syrkx_herkx_restricted_kernelIl19rocblas_complex_numIfELi16ELi32ELi8ELin1ELi0ELb1ELc67ELc85EKS1_S1_EviT_PT9_S3_lS5_S3_lPT10_S3_li
		.amdhsa_group_segment_fixed_size 4096
		.amdhsa_private_segment_fixed_size 0
		.amdhsa_kernarg_size 92
		.amdhsa_user_sgpr_count 13
		.amdhsa_user_sgpr_dispatch_ptr 0
		.amdhsa_user_sgpr_queue_ptr 0
		.amdhsa_user_sgpr_kernarg_segment_ptr 1
		.amdhsa_user_sgpr_dispatch_id 0
		.amdhsa_user_sgpr_private_segment_size 0
		.amdhsa_wavefront_size32 1
		.amdhsa_uses_dynamic_stack 0
		.amdhsa_enable_private_segment 0
		.amdhsa_system_sgpr_workgroup_id_x 1
		.amdhsa_system_sgpr_workgroup_id_y 1
		.amdhsa_system_sgpr_workgroup_id_z 1
		.amdhsa_system_sgpr_workgroup_info 0
		.amdhsa_system_vgpr_workitem_id 1
		.amdhsa_next_free_vgpr 91
		.amdhsa_next_free_sgpr 32
		.amdhsa_reserve_vcc 1
		.amdhsa_float_round_mode_32 0
		.amdhsa_float_round_mode_16_64 0
		.amdhsa_float_denorm_mode_32 3
		.amdhsa_float_denorm_mode_16_64 3
		.amdhsa_dx10_clamp 1
		.amdhsa_ieee_mode 1
		.amdhsa_fp16_overflow 0
		.amdhsa_workgroup_processor_mode 1
		.amdhsa_memory_ordered 1
		.amdhsa_forward_progress 0
		.amdhsa_shared_vgpr_count 0
		.amdhsa_exception_fp_ieee_invalid_op 0
		.amdhsa_exception_fp_denorm_src 0
		.amdhsa_exception_fp_ieee_div_zero 0
		.amdhsa_exception_fp_ieee_overflow 0
		.amdhsa_exception_fp_ieee_underflow 0
		.amdhsa_exception_fp_ieee_inexact 0
		.amdhsa_exception_int_div_zero 0
	.end_amdhsa_kernel
	.section	.text._ZL37rocblas_syrkx_herkx_restricted_kernelIl19rocblas_complex_numIfELi16ELi32ELi8ELin1ELi0ELb1ELc67ELc85EKS1_S1_EviT_PT9_S3_lS5_S3_lPT10_S3_li,"axG",@progbits,_ZL37rocblas_syrkx_herkx_restricted_kernelIl19rocblas_complex_numIfELi16ELi32ELi8ELin1ELi0ELb1ELc67ELc85EKS1_S1_EviT_PT9_S3_lS5_S3_lPT10_S3_li,comdat
.Lfunc_end1256:
	.size	_ZL37rocblas_syrkx_herkx_restricted_kernelIl19rocblas_complex_numIfELi16ELi32ELi8ELin1ELi0ELb1ELc67ELc85EKS1_S1_EviT_PT9_S3_lS5_S3_lPT10_S3_li, .Lfunc_end1256-_ZL37rocblas_syrkx_herkx_restricted_kernelIl19rocblas_complex_numIfELi16ELi32ELi8ELin1ELi0ELb1ELc67ELc85EKS1_S1_EviT_PT9_S3_lS5_S3_lPT10_S3_li
                                        ; -- End function
	.section	.AMDGPU.csdata,"",@progbits
; Kernel info:
; codeLenInByte = 2288
; NumSgprs: 34
; NumVgprs: 91
; ScratchSize: 0
; MemoryBound: 0
; FloatMode: 240
; IeeeMode: 1
; LDSByteSize: 4096 bytes/workgroup (compile time only)
; SGPRBlocks: 4
; VGPRBlocks: 11
; NumSGPRsForWavesPerEU: 34
; NumVGPRsForWavesPerEU: 91
; Occupancy: 16
; WaveLimiterHint : 1
; COMPUTE_PGM_RSRC2:SCRATCH_EN: 0
; COMPUTE_PGM_RSRC2:USER_SGPR: 13
; COMPUTE_PGM_RSRC2:TRAP_HANDLER: 0
; COMPUTE_PGM_RSRC2:TGID_X_EN: 1
; COMPUTE_PGM_RSRC2:TGID_Y_EN: 1
; COMPUTE_PGM_RSRC2:TGID_Z_EN: 1
; COMPUTE_PGM_RSRC2:TIDIG_COMP_CNT: 1
	.section	.text._ZL37rocblas_syrkx_herkx_restricted_kernelIl19rocblas_complex_numIfELi16ELi32ELi8ELin1ELi0ELb1ELc78ELc85EKS1_S1_EviT_PT9_S3_lS5_S3_lPT10_S3_li,"axG",@progbits,_ZL37rocblas_syrkx_herkx_restricted_kernelIl19rocblas_complex_numIfELi16ELi32ELi8ELin1ELi0ELb1ELc78ELc85EKS1_S1_EviT_PT9_S3_lS5_S3_lPT10_S3_li,comdat
	.globl	_ZL37rocblas_syrkx_herkx_restricted_kernelIl19rocblas_complex_numIfELi16ELi32ELi8ELin1ELi0ELb1ELc78ELc85EKS1_S1_EviT_PT9_S3_lS5_S3_lPT10_S3_li ; -- Begin function _ZL37rocblas_syrkx_herkx_restricted_kernelIl19rocblas_complex_numIfELi16ELi32ELi8ELin1ELi0ELb1ELc78ELc85EKS1_S1_EviT_PT9_S3_lS5_S3_lPT10_S3_li
	.p2align	8
	.type	_ZL37rocblas_syrkx_herkx_restricted_kernelIl19rocblas_complex_numIfELi16ELi32ELi8ELin1ELi0ELb1ELc78ELc85EKS1_S1_EviT_PT9_S3_lS5_S3_lPT10_S3_li,@function
_ZL37rocblas_syrkx_herkx_restricted_kernelIl19rocblas_complex_numIfELi16ELi32ELi8ELin1ELi0ELb1ELc78ELc85EKS1_S1_EviT_PT9_S3_lS5_S3_lPT10_S3_li: ; @_ZL37rocblas_syrkx_herkx_restricted_kernelIl19rocblas_complex_numIfELi16ELi32ELi8ELin1ELi0ELb1ELc78ELc85EKS1_S1_EviT_PT9_S3_lS5_S3_lPT10_S3_li
; %bb.0:
	s_load_b512 s[16:31], s[0:1], 0x8
	v_dual_mov_b32 v14, 0 :: v_dual_mov_b32 v15, 0
	v_dual_mov_b32 v13, 0 :: v_dual_mov_b32 v12, 0
	;; [unrolled: 1-line block ×3, first 2 shown]
	v_dual_mov_b32 v7, 0 :: v_dual_and_b32 v4, 0x3ff, v0
	v_bfe_u32 v5, v0, 10, 10
	v_mov_b32_e32 v6, 0
	s_lshl_b32 s8, s13, 5
	s_lshl_b32 s9, s14, 5
	s_waitcnt lgkmcnt(0)
	v_cmp_lt_i64_e64 s2, s[16:17], 1
	s_delay_alu instid0(VALU_DEP_1)
	s_and_b32 vcc_lo, exec_lo, s2
	s_cbranch_vccnz .LBB1257_3
; %bb.1:
	v_lshl_add_u32 v1, v5, 4, v4
	v_and_b32_e32 v13, 7, v4
	s_mul_i32 s3, s23, s15
	s_mul_hi_u32 s5, s22, s15
	s_mul_i32 s2, s22, s15
	v_and_b32_e32 v9, 31, v1
	v_lshrrev_b32_e32 v12, 3, v1
	v_lshrrev_b32_e32 v14, 5, v1
	s_add_i32 s3, s5, s3
	s_mul_i32 s6, s29, s15
	v_add_nc_u32_e32 v0, s8, v9
	v_add_nc_u32_e32 v2, s9, v12
	s_lshl_b64 s[2:3], s[2:3], 3
	s_mul_hi_u32 s7, s28, s15
	s_add_u32 s10, s18, s2
	v_ashrrev_i32_e32 v1, 31, v0
	v_ashrrev_i32_e32 v3, 31, v2
	s_mul_i32 s4, s28, s15
	s_addc_u32 s11, s19, s3
	s_add_i32 s5, s7, s6
	v_mad_u64_u32 v[6:7], null, v14, s20, v[0:1]
	v_mad_u64_u32 v[0:1], null, v13, s26, v[2:3]
	s_lshl_b64 s[4:5], s[4:5], 3
	s_lshl_b64 s[2:3], s[20:21], 6
	s_add_u32 s4, s24, s4
	s_addc_u32 s5, s25, s5
	s_delay_alu instid0(VALU_DEP_2) | instskip(SKIP_3) | instid1(VALU_DEP_3)
	v_mov_b32_e32 v2, v7
	v_lshlrev_b32_e32 v10, 3, v4
	v_lshl_add_u32 v11, v5, 6, 0x800
	s_mov_b64 s[6:7], 0
	v_mad_u64_u32 v[7:8], null, v14, s21, v[2:3]
	v_mad_u64_u32 v[2:3], null, v13, s27, v[1:2]
	s_delay_alu instid0(VALU_DEP_1) | instskip(NEXT) | instid1(VALU_DEP_3)
	v_dual_mov_b32 v1, v2 :: v_dual_lshlrev_b32 v8, 3, v9
	v_lshlrev_b64 v[2:3], 3, v[6:7]
	s_delay_alu instid0(VALU_DEP_2) | instskip(NEXT) | instid1(VALU_DEP_2)
	v_lshlrev_b64 v[0:1], 3, v[0:1]
	v_add_co_u32 v2, vcc_lo, s10, v2
	s_delay_alu instid0(VALU_DEP_3) | instskip(NEXT) | instid1(VALU_DEP_3)
	v_add_co_ci_u32_e32 v3, vcc_lo, s11, v3, vcc_lo
	v_add_co_u32 v6, vcc_lo, s4, v0
	s_delay_alu instid0(VALU_DEP_4) | instskip(NEXT) | instid1(VALU_DEP_4)
	v_add_co_ci_u32_e32 v7, vcc_lo, s5, v1, vcc_lo
	v_add_co_u32 v0, vcc_lo, v2, 4
	s_delay_alu instid0(VALU_DEP_4) | instskip(NEXT) | instid1(VALU_DEP_4)
	v_add_co_ci_u32_e32 v1, vcc_lo, 0, v3, vcc_lo
	v_add_co_u32 v2, vcc_lo, v6, 4
	v_dual_mov_b32 v6, 0 :: v_dual_lshlrev_b32 v15, 3, v13
	v_mov_b32_e32 v13, 0
	v_lshl_or_b32 v16, v14, 8, v8
	v_mov_b32_e32 v8, 0
	v_add_co_ci_u32_e32 v3, vcc_lo, 0, v7, vcc_lo
	v_lshl_or_b32 v9, v12, 6, v15
	v_dual_mov_b32 v7, 0 :: v_dual_mov_b32 v12, 0
	v_dual_mov_b32 v15, 0 :: v_dual_mov_b32 v14, 0
	s_delay_alu instid0(VALU_DEP_3)
	v_add_nc_u32_e32 v17, 0x800, v9
	v_mov_b32_e32 v9, 0
	s_lshl_b64 s[4:5], s[26:27], 6
.LBB1257_2:                             ; =>This Inner Loop Header: Depth=1
	global_load_b64 v[18:19], v[2:3], off offset:-4
	global_load_b64 v[20:21], v[0:1], off offset:-4
	s_add_u32 s6, s6, 8
	v_add_co_u32 v0, vcc_lo, v0, s2
	s_addc_u32 s7, s7, 0
	v_add_co_ci_u32_e32 v1, vcc_lo, s3, v1, vcc_lo
	v_cmp_ge_u64_e64 s10, s[6:7], s[16:17]
	v_add_co_u32 v2, vcc_lo, v2, s4
	v_add_co_ci_u32_e32 v3, vcc_lo, s5, v3, vcc_lo
	s_delay_alu instid0(VALU_DEP_3)
	s_and_b32 vcc_lo, exec_lo, s10
	s_waitcnt vmcnt(1)
	v_xor_b32_e32 v19, 0x80000000, v19
	s_waitcnt vmcnt(0)
	ds_store_b64 v16, v[20:21]
	ds_store_b64 v17, v[18:19]
	s_waitcnt lgkmcnt(0)
	s_barrier
	buffer_gl0_inv
	ds_load_2addr_b64 v[18:21], v10 offset1:16
	ds_load_b128 v[22:25], v11
	ds_load_b128 v[26:29], v11 offset:1024
	ds_load_b128 v[30:33], v11 offset:16
	;; [unrolled: 1-line block ×4, first 2 shown]
	ds_load_2addr_b64 v[42:45], v10 offset0:32 offset1:48
	ds_load_2addr_b64 v[46:49], v10 offset0:64 offset1:80
	ds_load_b128 v[50:53], v11 offset:1040
	ds_load_2addr_b64 v[54:57], v10 offset0:96 offset1:112
	ds_load_2addr_b64 v[58:61], v10 offset0:128 offset1:144
	ds_load_2addr_b64 v[62:65], v10 offset0:160 offset1:176
	ds_load_2addr_b64 v[66:69], v10 offset0:192 offset1:208
	ds_load_b128 v[70:73], v11 offset:1056
	ds_load_b128 v[74:77], v11 offset:1072
	ds_load_2addr_b64 v[78:81], v10 offset0:224 offset1:240
	s_waitcnt lgkmcnt(0)
	s_barrier
	buffer_gl0_inv
	v_dual_mul_f32 v82, v23, v19 :: v_dual_mul_f32 v85, v22, v21
	v_dual_mul_f32 v83, v22, v19 :: v_dual_mul_f32 v84, v23, v21
	v_mul_f32_e32 v86, v27, v19
	v_dual_mul_f32 v19, v26, v19 :: v_dual_mul_f32 v90, v25, v45
	v_dual_mul_f32 v87, v27, v21 :: v_dual_mul_f32 v88, v25, v43
	v_mul_f32_e32 v21, v26, v21
	v_mul_f32_e32 v89, v24, v43
	;; [unrolled: 1-line block ×3, first 2 shown]
	v_fma_f32 v82, v22, v18, -v82
	v_fmac_f32_e32 v83, v23, v18
	v_fma_f32 v22, v22, v20, -v84
	v_dual_fmac_f32 v85, v23, v20 :: v_dual_mul_f32 v84, v30, v47
	v_fma_f32 v23, v26, v18, -v86
	v_fmac_f32_e32 v19, v27, v18
	v_fma_f32 v18, v26, v20, -v87
	v_dual_mul_f32 v26, v28, v43 :: v_dual_fmac_f32 v21, v27, v20
	v_mul_f32_e32 v20, v29, v43
	v_mul_f32_e32 v27, v29, v45
	v_dual_mul_f32 v43, v28, v45 :: v_dual_fmac_f32 v84, v31, v46
	v_fma_f32 v45, v24, v42, -v88
	v_fma_f32 v24, v24, v44, -v90
	v_dual_fmac_f32 v91, v25, v44 :: v_dual_mul_f32 v90, v32, v57
	v_dual_mul_f32 v86, v31, v49 :: v_dual_fmac_f32 v89, v25, v42
	v_dual_mul_f32 v25, v31, v47 :: v_dual_mul_f32 v88, v33, v57
	v_fma_f32 v20, v28, v42, -v20
	v_fmac_f32_e32 v26, v29, v42
	v_fma_f32 v27, v28, v44, -v27
	v_dual_fmac_f32 v43, v29, v44 :: v_dual_mul_f32 v28, v51, v47
	v_dual_mul_f32 v29, v50, v47 :: v_dual_mul_f32 v42, v51, v49
	v_mul_f32_e32 v44, v50, v49
	v_mul_f32_e32 v87, v30, v49
	;; [unrolled: 1-line block ×3, first 2 shown]
	v_dual_mul_f32 v49, v32, v55 :: v_dual_fmac_f32 v90, v33, v56
	v_fma_f32 v25, v30, v46, -v25
	v_fma_f32 v30, v30, v48, -v86
	;; [unrolled: 1-line block ×3, first 2 shown]
	v_fmac_f32_e32 v44, v51, v48
	v_fmac_f32_e32 v87, v31, v48
	v_fma_f32 v31, v50, v48, -v42
	v_mul_f32_e32 v42, v53, v55
	v_mul_f32_e32 v48, v53, v57
	v_dual_mul_f32 v50, v52, v57 :: v_dual_fmac_f32 v29, v51, v46
	v_mul_f32_e32 v46, v52, v55
	v_fma_f32 v47, v32, v54, -v47
	v_fmac_f32_e32 v49, v33, v54
	v_fma_f32 v32, v32, v56, -v88
	s_delay_alu instid0(VALU_DEP_4)
	v_dual_mul_f32 v33, v35, v59 :: v_dual_fmac_f32 v46, v53, v54
	v_mul_f32_e32 v51, v34, v59
	v_mul_f32_e32 v55, v35, v61
	v_fma_f32 v42, v52, v54, -v42
	v_fma_f32 v48, v52, v56, -v48
	v_fmac_f32_e32 v50, v53, v56
	v_mul_f32_e32 v52, v71, v59
	v_dual_mul_f32 v53, v70, v59 :: v_dual_mul_f32 v86, v37, v65
	v_mul_f32_e32 v54, v71, v61
	v_dual_mul_f32 v56, v70, v61 :: v_dual_mul_f32 v59, v37, v63
	v_mul_f32_e32 v57, v34, v61
	v_mul_f32_e32 v61, v36, v63
	v_dual_mul_f32 v88, v36, v65 :: v_dual_fmac_f32 v51, v35, v58
	v_fma_f32 v33, v34, v58, -v33
	v_fmac_f32_e32 v53, v71, v58
	v_fmac_f32_e32 v56, v71, v60
	s_delay_alu instid0(VALU_DEP_4)
	v_fmac_f32_e32 v88, v37, v64
	v_fmac_f32_e32 v57, v35, v60
	v_fma_f32 v35, v70, v58, -v52
	v_fma_f32 v52, v70, v60, -v54
	v_mul_f32_e32 v54, v73, v63
	v_fma_f32 v34, v34, v60, -v55
	v_mul_f32_e32 v60, v72, v65
	v_dual_mul_f32 v55, v72, v63 :: v_dual_mul_f32 v70, v38, v69
	v_mul_f32_e32 v58, v73, v65
	v_fma_f32 v59, v36, v62, -v59
	v_fmac_f32_e32 v61, v37, v62
	v_fma_f32 v36, v36, v64, -v86
	v_dual_mul_f32 v37, v39, v67 :: v_dual_fmac_f32 v60, v73, v64
	v_dual_mul_f32 v63, v38, v67 :: v_dual_mul_f32 v86, v40, v81
	v_mul_f32_e32 v65, v39, v69
	v_fma_f32 v54, v72, v62, -v54
	v_fmac_f32_e32 v55, v73, v62
	v_fma_f32 v58, v72, v64, -v58
	v_mul_f32_e32 v72, v40, v79
	v_mul_f32_e32 v62, v75, v67
	v_dual_mul_f32 v64, v74, v67 :: v_dual_mul_f32 v67, v75, v69
	v_dual_mul_f32 v69, v74, v69 :: v_dual_fmac_f32 v70, v39, v68
	s_delay_alu instid0(VALU_DEP_2)
	v_dual_mul_f32 v71, v41, v79 :: v_dual_fmac_f32 v64, v75, v66
	v_fma_f32 v37, v38, v66, -v37
	v_fmac_f32_e32 v63, v39, v66
	v_fma_f32 v38, v38, v68, -v65
	v_fma_f32 v39, v74, v66, -v62
	v_dual_fmac_f32 v69, v75, v68 :: v_dual_fmac_f32 v72, v41, v78
	v_mul_f32_e32 v66, v76, v79
	v_fma_f32 v62, v74, v68, -v67
	v_mul_f32_e32 v68, v76, v81
	v_dual_mul_f32 v73, v41, v81 :: v_dual_add_f32 v14, v14, v82
	v_dual_mul_f32 v65, v77, v79 :: v_dual_add_f32 v12, v12, v85
	;; [unrolled: 1-line block ×3, first 2 shown]
	v_dual_fmac_f32 v86, v41, v80 :: v_dual_add_f32 v15, v15, v83
	v_dual_fmac_f32 v68, v77, v80 :: v_dual_add_f32 v7, v7, v18
	v_dual_add_f32 v13, v13, v22 :: v_dual_add_f32 v6, v6, v21
	v_dual_add_f32 v9, v9, v19 :: v_dual_add_f32 v14, v14, v45
	s_delay_alu instid0(VALU_DEP_4) | instskip(NEXT) | instid1(VALU_DEP_3)
	v_dual_fmac_f32 v66, v77, v78 :: v_dual_add_f32 v15, v15, v89
	v_dual_add_f32 v13, v13, v24 :: v_dual_add_f32 v12, v12, v91
	s_delay_alu instid0(VALU_DEP_3) | instskip(NEXT) | instid1(VALU_DEP_4)
	v_dual_add_f32 v8, v8, v20 :: v_dual_add_f32 v9, v9, v26
	v_dual_add_f32 v7, v7, v27 :: v_dual_add_f32 v14, v14, v25
	s_delay_alu instid0(VALU_DEP_4) | instskip(NEXT) | instid1(VALU_DEP_4)
	v_dual_add_f32 v6, v6, v43 :: v_dual_add_f32 v15, v15, v84
	v_dual_add_f32 v13, v13, v30 :: v_dual_add_f32 v12, v12, v87
	s_delay_alu instid0(VALU_DEP_4) | instskip(NEXT) | instid1(VALU_DEP_3)
	v_dual_add_f32 v8, v8, v28 :: v_dual_add_f32 v9, v9, v29
	v_dual_add_f32 v7, v7, v31 :: v_dual_add_f32 v6, v6, v44
	s_delay_alu instid0(VALU_DEP_4) | instskip(NEXT) | instid1(VALU_DEP_4)
	v_dual_add_f32 v14, v14, v47 :: v_dual_add_f32 v15, v15, v49
	v_dual_add_f32 v13, v13, v32 :: v_dual_add_f32 v12, v12, v90
	s_delay_alu instid0(VALU_DEP_3) | instskip(NEXT) | instid1(VALU_DEP_3)
	v_dual_add_f32 v8, v8, v42 :: v_dual_add_f32 v7, v7, v48
	v_dual_add_f32 v9, v9, v46 :: v_dual_add_f32 v14, v14, v33
	s_delay_alu instid0(VALU_DEP_4) | instskip(NEXT) | instid1(VALU_DEP_4)
	v_dual_add_f32 v6, v6, v50 :: v_dual_add_f32 v15, v15, v51
	v_dual_add_f32 v13, v13, v34 :: v_dual_add_f32 v12, v12, v57
	s_delay_alu instid0(VALU_DEP_3) | instskip(NEXT) | instid1(VALU_DEP_4)
	v_dual_add_f32 v8, v8, v35 :: v_dual_add_f32 v9, v9, v53
	v_dual_add_f32 v7, v7, v52 :: v_dual_add_f32 v14, v14, v59
	s_delay_alu instid0(VALU_DEP_4) | instskip(NEXT) | instid1(VALU_DEP_3)
	v_dual_add_f32 v6, v6, v56 :: v_dual_add_f32 v15, v15, v61
	v_dual_add_f32 v13, v13, v36 :: v_dual_add_f32 v8, v8, v54
	s_delay_alu instid0(VALU_DEP_4) | instskip(NEXT) | instid1(VALU_DEP_3)
	v_dual_add_f32 v12, v12, v88 :: v_dual_add_f32 v9, v9, v55
	v_dual_add_f32 v7, v7, v58 :: v_dual_add_f32 v6, v6, v60
	v_fma_f32 v71, v40, v78, -v71
	v_fma_f32 v40, v40, v80, -v73
	;; [unrolled: 1-line block ×4, first 2 shown]
	v_dual_add_f32 v14, v14, v37 :: v_dual_add_f32 v15, v15, v63
	v_dual_add_f32 v13, v13, v38 :: v_dual_add_f32 v8, v8, v39
	;; [unrolled: 1-line block ×4, first 2 shown]
	s_delay_alu instid0(VALU_DEP_4) | instskip(NEXT) | instid1(VALU_DEP_3)
	v_dual_add_f32 v14, v14, v71 :: v_dual_add_f32 v15, v15, v72
	v_dual_add_f32 v13, v13, v40 :: v_dual_add_f32 v12, v12, v86
	s_delay_alu instid0(VALU_DEP_4) | instskip(NEXT) | instid1(VALU_DEP_4)
	v_dual_add_f32 v8, v8, v41 :: v_dual_add_f32 v9, v9, v66
	v_dual_add_f32 v7, v7, v65 :: v_dual_add_f32 v6, v6, v68
	s_cbranch_vccz .LBB1257_2
.LBB1257_3:
	s_clause 0x1
	s_load_b128 s[4:7], s[0:1], 0x48
	s_load_b32 s2, s[0:1], 0x0
	v_add_nc_u32_e32 v5, s9, v5
	s_delay_alu instid0(VALU_DEP_1) | instskip(SKIP_1) | instid1(VALU_DEP_1)
	v_ashrrev_i32_e32 v0, 31, v5
	s_waitcnt lgkmcnt(0)
	v_mul_lo_u32 v3, v0, s4
	v_mul_lo_u32 v10, v5, s5
	v_mad_u64_u32 v[1:2], null, v5, s4, 0
	s_mul_i32 s1, s15, s7
	s_mul_hi_u32 s3, s15, s6
	s_mul_i32 s6, s15, s6
	s_add_i32 s7, s3, s1
	v_add_nc_u32_e32 v0, s8, v4
	s_lshl_b64 s[6:7], s[6:7], 3
	s_delay_alu instid0(VALU_DEP_2)
	v_add3_u32 v2, v2, v10, v3
	s_add_u32 s3, s30, s6
	v_cmp_gt_i32_e32 vcc_lo, s2, v5
	v_cmp_le_i32_e64 s0, v0, v5
	s_addc_u32 s6, s31, s7
	v_lshlrev_b64 v[1:2], 3, v[1:2]
	s_delay_alu instid0(VALU_DEP_2) | instskip(NEXT) | instid1(VALU_DEP_1)
	s_and_b32 s0, vcc_lo, s0
	v_add_co_u32 v4, s1, s3, v1
	s_delay_alu instid0(VALU_DEP_1)
	v_add_co_ci_u32_e64 v10, s1, s6, v2, s1
	s_and_saveexec_b32 s1, s0
	s_cbranch_execz .LBB1257_6
; %bb.4:
	v_ashrrev_i32_e32 v1, 31, v0
	v_xor_b32_e32 v14, 0x80000000, v14
	v_xor_b32_e32 v15, 0x80000000, v15
	s_delay_alu instid0(VALU_DEP_3) | instskip(NEXT) | instid1(VALU_DEP_1)
	v_lshlrev_b64 v[1:2], 3, v[0:1]
	v_add_co_u32 v1, s0, v4, v1
	s_delay_alu instid0(VALU_DEP_1)
	v_add_co_ci_u32_e64 v2, s0, v10, v2, s0
	v_cmp_eq_u32_e64 s0, v5, v0
	global_store_b64 v[1:2], v[14:15], off
	s_and_b32 exec_lo, exec_lo, s0
	s_cbranch_execz .LBB1257_6
; %bb.5:
	v_mov_b32_e32 v3, 0
	global_store_b32 v[1:2], v3, off offset:4
.LBB1257_6:
	s_or_b32 exec_lo, exec_lo, s1
	v_add_nc_u32_e32 v2, 16, v0
	s_delay_alu instid0(VALU_DEP_1) | instskip(NEXT) | instid1(VALU_DEP_1)
	v_cmp_le_i32_e64 s0, v2, v5
	s_and_b32 s1, vcc_lo, s0
	s_delay_alu instid0(SALU_CYCLE_1)
	s_and_saveexec_b32 s0, s1
	s_cbranch_execz .LBB1257_9
; %bb.7:
	v_ashrrev_i32_e32 v3, 31, v2
	v_xor_b32_e32 v11, 0x80000000, v13
	v_xor_b32_e32 v12, 0x80000000, v12
	s_delay_alu instid0(VALU_DEP_3) | instskip(NEXT) | instid1(VALU_DEP_1)
	v_lshlrev_b64 v[14:15], 3, v[2:3]
	v_add_co_u32 v3, vcc_lo, v4, v14
	s_delay_alu instid0(VALU_DEP_2)
	v_add_co_ci_u32_e32 v4, vcc_lo, v10, v15, vcc_lo
	v_cmp_eq_u32_e32 vcc_lo, v5, v2
	global_store_b64 v[3:4], v[11:12], off
	s_and_b32 exec_lo, exec_lo, vcc_lo
	s_cbranch_execz .LBB1257_9
; %bb.8:
	v_mov_b32_e32 v1, 0
	global_store_b32 v[3:4], v1, off offset:4
.LBB1257_9:
	s_or_b32 exec_lo, exec_lo, s0
	v_add_nc_u32_e32 v12, 16, v5
	s_delay_alu instid0(VALU_DEP_1) | instskip(SKIP_3) | instid1(VALU_DEP_4)
	v_ashrrev_i32_e32 v1, 31, v12
	v_mul_lo_u32 v10, v12, s5
	v_mad_u64_u32 v[3:4], null, v12, s4, 0
	v_cmp_gt_i32_e32 vcc_lo, s2, v12
	v_mul_lo_u32 v1, v1, s4
	v_cmp_le_i32_e64 s0, v0, v12
	s_delay_alu instid0(VALU_DEP_1) | instskip(NEXT) | instid1(VALU_DEP_2)
	s_and_b32 s0, vcc_lo, s0
	v_add3_u32 v4, v4, v10, v1
	s_delay_alu instid0(VALU_DEP_1) | instskip(NEXT) | instid1(VALU_DEP_1)
	v_lshlrev_b64 v[3:4], 3, v[3:4]
	v_add_co_u32 v10, s1, s3, v3
	s_delay_alu instid0(VALU_DEP_1)
	v_add_co_ci_u32_e64 v11, s1, s6, v4, s1
	s_and_saveexec_b32 s1, s0
	s_cbranch_execz .LBB1257_12
; %bb.10:
	v_ashrrev_i32_e32 v1, 31, v0
	v_xor_b32_e32 v8, 0x80000000, v8
	v_xor_b32_e32 v9, 0x80000000, v9
	s_delay_alu instid0(VALU_DEP_3) | instskip(NEXT) | instid1(VALU_DEP_1)
	v_lshlrev_b64 v[3:4], 3, v[0:1]
	v_add_co_u32 v3, s0, v10, v3
	s_delay_alu instid0(VALU_DEP_1)
	v_add_co_ci_u32_e64 v4, s0, v11, v4, s0
	v_cmp_eq_u32_e64 s0, v12, v0
	global_store_b64 v[3:4], v[8:9], off
	s_and_b32 exec_lo, exec_lo, s0
	s_cbranch_execz .LBB1257_12
; %bb.11:
	v_mov_b32_e32 v1, 0
	global_store_b32 v[3:4], v1, off offset:4
.LBB1257_12:
	s_or_b32 exec_lo, exec_lo, s1
	v_cmp_le_i32_e64 s0, v2, v12
	s_delay_alu instid0(VALU_DEP_1) | instskip(NEXT) | instid1(SALU_CYCLE_1)
	s_and_b32 s0, vcc_lo, s0
	s_and_saveexec_b32 s1, s0
	s_cbranch_execz .LBB1257_15
; %bb.13:
	v_ashrrev_i32_e32 v3, 31, v2
	v_xor_b32_e32 v4, 0x80000000, v6
	s_delay_alu instid0(VALU_DEP_2) | instskip(SKIP_1) | instid1(VALU_DEP_2)
	v_lshlrev_b64 v[1:2], 3, v[2:3]
	v_xor_b32_e32 v3, 0x80000000, v7
	v_add_co_u32 v1, vcc_lo, v10, v1
	s_delay_alu instid0(VALU_DEP_3)
	v_add_co_ci_u32_e32 v2, vcc_lo, v11, v2, vcc_lo
	v_cmp_eq_u32_e32 vcc_lo, v5, v0
	global_store_b64 v[1:2], v[3:4], off
	s_and_b32 exec_lo, exec_lo, vcc_lo
	s_cbranch_execz .LBB1257_15
; %bb.14:
	v_mov_b32_e32 v0, 0
	global_store_b32 v[1:2], v0, off offset:4
.LBB1257_15:
	s_nop 0
	s_sendmsg sendmsg(MSG_DEALLOC_VGPRS)
	s_endpgm
	.section	.rodata,"a",@progbits
	.p2align	6, 0x0
	.amdhsa_kernel _ZL37rocblas_syrkx_herkx_restricted_kernelIl19rocblas_complex_numIfELi16ELi32ELi8ELin1ELi0ELb1ELc78ELc85EKS1_S1_EviT_PT9_S3_lS5_S3_lPT10_S3_li
		.amdhsa_group_segment_fixed_size 4096
		.amdhsa_private_segment_fixed_size 0
		.amdhsa_kernarg_size 92
		.amdhsa_user_sgpr_count 13
		.amdhsa_user_sgpr_dispatch_ptr 0
		.amdhsa_user_sgpr_queue_ptr 0
		.amdhsa_user_sgpr_kernarg_segment_ptr 1
		.amdhsa_user_sgpr_dispatch_id 0
		.amdhsa_user_sgpr_private_segment_size 0
		.amdhsa_wavefront_size32 1
		.amdhsa_uses_dynamic_stack 0
		.amdhsa_enable_private_segment 0
		.amdhsa_system_sgpr_workgroup_id_x 1
		.amdhsa_system_sgpr_workgroup_id_y 1
		.amdhsa_system_sgpr_workgroup_id_z 1
		.amdhsa_system_sgpr_workgroup_info 0
		.amdhsa_system_vgpr_workitem_id 1
		.amdhsa_next_free_vgpr 92
		.amdhsa_next_free_sgpr 32
		.amdhsa_reserve_vcc 1
		.amdhsa_float_round_mode_32 0
		.amdhsa_float_round_mode_16_64 0
		.amdhsa_float_denorm_mode_32 3
		.amdhsa_float_denorm_mode_16_64 3
		.amdhsa_dx10_clamp 1
		.amdhsa_ieee_mode 1
		.amdhsa_fp16_overflow 0
		.amdhsa_workgroup_processor_mode 1
		.amdhsa_memory_ordered 1
		.amdhsa_forward_progress 0
		.amdhsa_shared_vgpr_count 0
		.amdhsa_exception_fp_ieee_invalid_op 0
		.amdhsa_exception_fp_denorm_src 0
		.amdhsa_exception_fp_ieee_div_zero 0
		.amdhsa_exception_fp_ieee_overflow 0
		.amdhsa_exception_fp_ieee_underflow 0
		.amdhsa_exception_fp_ieee_inexact 0
		.amdhsa_exception_int_div_zero 0
	.end_amdhsa_kernel
	.section	.text._ZL37rocblas_syrkx_herkx_restricted_kernelIl19rocblas_complex_numIfELi16ELi32ELi8ELin1ELi0ELb1ELc78ELc85EKS1_S1_EviT_PT9_S3_lS5_S3_lPT10_S3_li,"axG",@progbits,_ZL37rocblas_syrkx_herkx_restricted_kernelIl19rocblas_complex_numIfELi16ELi32ELi8ELin1ELi0ELb1ELc78ELc85EKS1_S1_EviT_PT9_S3_lS5_S3_lPT10_S3_li,comdat
.Lfunc_end1257:
	.size	_ZL37rocblas_syrkx_herkx_restricted_kernelIl19rocblas_complex_numIfELi16ELi32ELi8ELin1ELi0ELb1ELc78ELc85EKS1_S1_EviT_PT9_S3_lS5_S3_lPT10_S3_li, .Lfunc_end1257-_ZL37rocblas_syrkx_herkx_restricted_kernelIl19rocblas_complex_numIfELi16ELi32ELi8ELin1ELi0ELb1ELc78ELc85EKS1_S1_EviT_PT9_S3_lS5_S3_lPT10_S3_li
                                        ; -- End function
	.section	.AMDGPU.csdata,"",@progbits
; Kernel info:
; codeLenInByte = 2304
; NumSgprs: 34
; NumVgprs: 92
; ScratchSize: 0
; MemoryBound: 0
; FloatMode: 240
; IeeeMode: 1
; LDSByteSize: 4096 bytes/workgroup (compile time only)
; SGPRBlocks: 4
; VGPRBlocks: 11
; NumSGPRsForWavesPerEU: 34
; NumVGPRsForWavesPerEU: 92
; Occupancy: 16
; WaveLimiterHint : 1
; COMPUTE_PGM_RSRC2:SCRATCH_EN: 0
; COMPUTE_PGM_RSRC2:USER_SGPR: 13
; COMPUTE_PGM_RSRC2:TRAP_HANDLER: 0
; COMPUTE_PGM_RSRC2:TGID_X_EN: 1
; COMPUTE_PGM_RSRC2:TGID_Y_EN: 1
; COMPUTE_PGM_RSRC2:TGID_Z_EN: 1
; COMPUTE_PGM_RSRC2:TIDIG_COMP_CNT: 1
	.section	.text._ZL37rocblas_syrkx_herkx_restricted_kernelIl19rocblas_complex_numIfELi16ELi32ELi8ELb1ELb1ELc84ELc76EKS1_S1_EviT_T0_PT8_S3_lS6_S3_lS4_PT9_S3_li,"axG",@progbits,_ZL37rocblas_syrkx_herkx_restricted_kernelIl19rocblas_complex_numIfELi16ELi32ELi8ELb1ELb1ELc84ELc76EKS1_S1_EviT_T0_PT8_S3_lS6_S3_lS4_PT9_S3_li,comdat
	.globl	_ZL37rocblas_syrkx_herkx_restricted_kernelIl19rocblas_complex_numIfELi16ELi32ELi8ELb1ELb1ELc84ELc76EKS1_S1_EviT_T0_PT8_S3_lS6_S3_lS4_PT9_S3_li ; -- Begin function _ZL37rocblas_syrkx_herkx_restricted_kernelIl19rocblas_complex_numIfELi16ELi32ELi8ELb1ELb1ELc84ELc76EKS1_S1_EviT_T0_PT8_S3_lS6_S3_lS4_PT9_S3_li
	.p2align	8
	.type	_ZL37rocblas_syrkx_herkx_restricted_kernelIl19rocblas_complex_numIfELi16ELi32ELi8ELb1ELb1ELc84ELc76EKS1_S1_EviT_T0_PT8_S3_lS6_S3_lS4_PT9_S3_li,@function
_ZL37rocblas_syrkx_herkx_restricted_kernelIl19rocblas_complex_numIfELi16ELi32ELi8ELb1ELb1ELc84ELc76EKS1_S1_EviT_T0_PT8_S3_lS6_S3_lS4_PT9_S3_li: ; @_ZL37rocblas_syrkx_herkx_restricted_kernelIl19rocblas_complex_numIfELi16ELi32ELi8ELb1ELb1ELc84ELc76EKS1_S1_EviT_T0_PT8_S3_lS6_S3_lS4_PT9_S3_li
; %bb.0:
	s_load_b512 s[16:31], s[0:1], 0x8
	v_dual_mov_b32 v15, 0 :: v_dual_mov_b32 v16, 0
	v_dual_mov_b32 v11, 0 :: v_dual_mov_b32 v10, 0
	v_dual_mov_b32 v13, 0 :: v_dual_and_b32 v6, 0x3ff, v0
	v_mov_b32_e32 v9, 0
	v_mov_b32_e32 v7, 0
	v_bfe_u32 v8, v0, 10, 10
	v_mov_b32_e32 v1, 0
	s_lshl_b32 s8, s13, 5
	s_lshl_b32 s9, s14, 5
	s_waitcnt lgkmcnt(0)
	v_cmp_lt_i64_e64 s2, s[16:17], 1
	s_delay_alu instid0(VALU_DEP_1)
	s_and_b32 vcc_lo, exec_lo, s2
	s_cbranch_vccnz .LBB1258_3
; %bb.1:
	v_lshl_add_u32 v2, v8, 4, v6
	v_dual_mov_b32 v1, 0 :: v_dual_and_b32 v0, 7, v6
	v_lshlrev_b32_e32 v12, 3, v6
	s_mul_i32 s3, s25, s15
	s_delay_alu instid0(VALU_DEP_3)
	v_and_b32_e32 v7, 31, v2
	v_lshrrev_b32_e32 v11, 3, v2
	v_lshrrev_b32_e32 v2, 5, v2
	v_mov_b32_e32 v3, v1
	s_mul_hi_u32 s4, s24, s15
	v_add_nc_u32_e32 v9, s8, v7
	v_add_nc_u32_e32 v13, s9, v11
	v_lshlrev_b32_e32 v14, 3, v0
	s_mul_i32 s2, s24, s15
	s_add_i32 s3, s4, s3
	v_ashrrev_i32_e32 v10, 31, v9
	v_ashrrev_i32_e32 v15, 31, v13
	v_mad_u64_u32 v[4:5], null, s22, v9, v[2:3]
	v_mul_lo_u32 v3, s23, v9
	s_delay_alu instid0(VALU_DEP_4)
	v_mul_lo_u32 v16, s22, v10
	v_mul_lo_u32 v17, v13, s29
	v_mad_u64_u32 v[9:10], null, v13, s28, v[0:1]
	v_mul_lo_u32 v13, v15, s28
	v_lshlrev_b32_e32 v0, 3, v7
	s_lshl_b64 s[2:3], s[2:3], 3
	s_mul_hi_u32 s5, s30, s15
	v_add3_u32 v5, v3, v5, v16
	s_add_u32 s4, s20, s2
	v_lshl_or_b32 v0, v2, 8, v0
	s_mul_i32 s2, s31, s15
	v_add3_u32 v10, v13, v10, v17
	v_lshlrev_b64 v[2:3], 3, v[4:5]
	s_addc_u32 s6, s21, s3
	s_add_i32 s3, s5, s2
	s_mul_i32 s2, s30, s15
	v_lshlrev_b64 v[4:5], 3, v[9:10]
	v_mov_b32_e32 v9, v1
	s_lshl_b64 s[2:3], s[2:3], 3
	v_add_co_u32 v2, vcc_lo, s4, v2
	s_add_u32 s2, s26, s2
	v_add_co_ci_u32_e32 v3, vcc_lo, s6, v3, vcc_lo
	s_addc_u32 s3, s27, s3
	v_add_co_u32 v4, vcc_lo, s2, v4
	v_add_co_ci_u32_e32 v5, vcc_lo, s3, v5, vcc_lo
	v_lshl_or_b32 v7, v11, 6, v14
	v_add_co_u32 v2, vcc_lo, v2, 4
	v_add_co_ci_u32_e32 v3, vcc_lo, 0, v3, vcc_lo
	v_add_co_u32 v4, vcc_lo, v4, 4
	s_delay_alu instid0(VALU_DEP_4)
	v_dual_mov_b32 v13, v1 :: v_dual_add_nc_u32 v14, 0x800, v7
	v_lshl_add_u32 v17, v8, 6, 0x800
	v_add_co_ci_u32_e32 v5, vcc_lo, 0, v5, vcc_lo
	v_mov_b32_e32 v7, v1
	v_mov_b32_e32 v10, v1
	;; [unrolled: 1-line block ×5, first 2 shown]
	s_mov_b64 s[2:3], 0
.LBB1258_2:                             ; =>This Inner Loop Header: Depth=1
	global_load_b64 v[18:19], v[2:3], off offset:-4
	global_load_b64 v[20:21], v[4:5], off offset:-4
	s_add_u32 s2, s2, 8
	v_add_co_u32 v2, vcc_lo, v2, 64
	s_addc_u32 s3, s3, 0
	v_add_co_ci_u32_e32 v3, vcc_lo, 0, v3, vcc_lo
	v_cmp_ge_u64_e64 s4, s[2:3], s[16:17]
	v_add_co_u32 v4, vcc_lo, v4, 64
	v_add_co_ci_u32_e32 v5, vcc_lo, 0, v5, vcc_lo
	s_waitcnt vmcnt(1)
	ds_store_b64 v0, v[18:19]
	s_waitcnt vmcnt(0)
	ds_store_b64 v14, v[20:21]
	s_waitcnt lgkmcnt(0)
	s_barrier
	buffer_gl0_inv
	ds_load_2addr_b64 v[18:21], v12 offset1:16
	ds_load_b128 v[22:25], v17
	ds_load_b128 v[26:29], v17 offset:1024
	ds_load_b128 v[30:33], v17 offset:16
	;; [unrolled: 1-line block ×4, first 2 shown]
	ds_load_2addr_b64 v[42:45], v12 offset0:32 offset1:48
	ds_load_2addr_b64 v[46:49], v12 offset0:64 offset1:80
	ds_load_b128 v[50:53], v17 offset:1040
	ds_load_2addr_b64 v[54:57], v12 offset0:96 offset1:112
	ds_load_2addr_b64 v[58:61], v12 offset0:128 offset1:144
	;; [unrolled: 1-line block ×4, first 2 shown]
	ds_load_b128 v[70:73], v17 offset:1056
	ds_load_b128 v[74:77], v17 offset:1072
	ds_load_2addr_b64 v[78:81], v12 offset0:224 offset1:240
	s_and_b32 vcc_lo, exec_lo, s4
	s_waitcnt lgkmcnt(0)
	s_barrier
	buffer_gl0_inv
	v_dual_mul_f32 v82, v23, v19 :: v_dual_mul_f32 v85, v22, v21
	v_dual_mul_f32 v83, v22, v19 :: v_dual_mul_f32 v84, v23, v21
	v_mul_f32_e32 v86, v27, v19
	v_dual_mul_f32 v19, v26, v19 :: v_dual_mul_f32 v90, v25, v45
	v_dual_mul_f32 v87, v27, v21 :: v_dual_mul_f32 v88, v25, v43
	v_mul_f32_e32 v21, v26, v21
	v_fma_f32 v82, v22, v18, -v82
	v_fmac_f32_e32 v83, v23, v18
	v_fma_f32 v22, v22, v20, -v84
	v_fmac_f32_e32 v85, v23, v20
	v_fma_f32 v23, v26, v18, -v86
	v_dual_fmac_f32 v19, v27, v18 :: v_dual_mul_f32 v86, v30, v47
	v_fma_f32 v18, v26, v20, -v87
	v_dual_fmac_f32 v21, v27, v20 :: v_dual_mul_f32 v20, v24, v45
	v_mul_f32_e32 v89, v24, v43
	v_mul_f32_e32 v26, v29, v43
	;; [unrolled: 1-line block ×4, first 2 shown]
	v_fmac_f32_e32 v20, v25, v44
	v_fmac_f32_e32 v89, v25, v42
	v_dual_mul_f32 v25, v28, v45 :: v_dual_fmac_f32 v86, v31, v46
	v_fma_f32 v84, v24, v42, -v88
	v_fma_f32 v24, v24, v44, -v90
	v_dual_mul_f32 v45, v31, v47 :: v_dual_mul_f32 v90, v33, v57
	v_fma_f32 v26, v28, v42, -v26
	v_fma_f32 v28, v28, v44, -v43
	v_fmac_f32_e32 v25, v29, v44
	v_dual_mul_f32 v43, v50, v47 :: v_dual_mul_f32 v44, v51, v49
	v_dual_fmac_f32 v27, v29, v42 :: v_dual_mul_f32 v42, v51, v47
	v_dual_mul_f32 v88, v32, v55 :: v_dual_mul_f32 v29, v30, v49
	v_mul_f32_e32 v87, v31, v49
	v_fma_f32 v45, v30, v46, -v45
	v_add_f32_e32 v16, v16, v83
	s_delay_alu instid0(VALU_DEP_4)
	v_dual_fmac_f32 v88, v33, v54 :: v_dual_fmac_f32 v29, v31, v48
	v_fma_f32 v31, v50, v46, -v42
	v_fma_f32 v42, v50, v48, -v44
	v_mul_f32_e32 v44, v32, v57
	v_mul_f32_e32 v47, v50, v49
	v_dual_mul_f32 v50, v53, v57 :: v_dual_fmac_f32 v43, v51, v46
	v_mul_f32_e32 v46, v53, v55
	v_mul_f32_e32 v49, v33, v55
	v_fma_f32 v30, v30, v48, -v87
	v_fmac_f32_e32 v44, v33, v56
	v_dual_fmac_f32 v47, v51, v48 :: v_dual_mul_f32 v48, v52, v55
	v_mul_f32_e32 v33, v52, v57
	v_fma_f32 v46, v52, v54, -v46
	v_fma_f32 v50, v52, v56, -v50
	v_mul_f32_e32 v52, v34, v61
	v_fma_f32 v49, v32, v54, -v49
	v_fma_f32 v32, v32, v56, -v90
	v_dual_mul_f32 v51, v35, v59 :: v_dual_fmac_f32 v48, v53, v54
	v_mul_f32_e32 v54, v70, v59
	v_dual_mul_f32 v55, v34, v59 :: v_dual_fmac_f32 v52, v35, v60
	v_fmac_f32_e32 v33, v53, v56
	v_mul_f32_e32 v53, v71, v59
	v_mul_f32_e32 v56, v71, v61
	;; [unrolled: 1-line block ×3, first 2 shown]
	v_fmac_f32_e32 v54, v71, v58
	v_fmac_f32_e32 v55, v35, v58
	v_fma_f32 v35, v70, v58, -v53
	v_fma_f32 v53, v70, v60, -v56
	v_mul_f32_e32 v56, v36, v65
	v_mul_f32_e32 v59, v70, v61
	v_fma_f32 v51, v34, v58, -v51
	v_mul_f32_e32 v58, v72, v63
	v_mul_f32_e32 v87, v36, v63
	v_mul_f32_e32 v61, v37, v63
	v_mul_f32_e32 v90, v37, v65
	v_fma_f32 v34, v34, v60, -v57
	v_mul_f32_e32 v57, v73, v63
	v_fmac_f32_e32 v56, v37, v64
	v_dual_fmac_f32 v59, v71, v60 :: v_dual_mul_f32 v60, v73, v65
	v_mul_f32_e32 v63, v39, v67
	v_mul_f32_e32 v70, v39, v69
	v_fmac_f32_e32 v58, v73, v62
	v_fmac_f32_e32 v87, v37, v62
	v_mul_f32_e32 v37, v72, v65
	v_fma_f32 v61, v36, v62, -v61
	v_fma_f32 v36, v36, v64, -v90
	v_mul_f32_e32 v65, v38, v67
	v_fma_f32 v57, v72, v62, -v57
	v_fma_f32 v60, v72, v64, -v60
	v_dual_fmac_f32 v37, v73, v64 :: v_dual_mul_f32 v62, v38, v69
	v_mul_f32_e32 v64, v75, v67
	v_mul_f32_e32 v71, v75, v69
	v_fma_f32 v63, v38, v66, -v63
	v_fma_f32 v38, v38, v68, -v70
	v_mul_f32_e32 v70, v76, v79
	v_mul_f32_e32 v67, v74, v67
	v_dual_fmac_f32 v65, v39, v66 :: v_dual_add_f32 v10, v10, v19
	v_add_f32_e32 v16, v16, v89
	s_delay_alu instid0(VALU_DEP_4) | instskip(NEXT) | instid1(VALU_DEP_3)
	v_dual_mul_f32 v69, v74, v69 :: v_dual_fmac_f32 v70, v77, v78
	v_dual_fmac_f32 v67, v75, v66 :: v_dual_add_f32 v10, v10, v27
	s_delay_alu instid0(VALU_DEP_2)
	v_dual_add_f32 v16, v16, v86 :: v_dual_fmac_f32 v69, v75, v68
	v_fmac_f32_e32 v62, v39, v68
	v_fma_f32 v39, v74, v66, -v64
	v_fma_f32 v64, v74, v68, -v71
	v_mul_f32_e32 v66, v40, v81
	v_dual_mul_f32 v71, v77, v81 :: v_dual_add_f32 v10, v10, v43
	v_mul_f32_e32 v73, v40, v79
	v_mul_f32_e32 v72, v41, v79
	;; [unrolled: 1-line block ×3, first 2 shown]
	v_fmac_f32_e32 v66, v41, v80
	s_delay_alu instid0(VALU_DEP_4) | instskip(SKIP_2) | instid1(VALU_DEP_3)
	v_dual_add_f32 v10, v10, v48 :: v_dual_fmac_f32 v73, v41, v78
	v_add_f32_e32 v16, v16, v88
	v_dual_mul_f32 v41, v76, v81 :: v_dual_mul_f32 v68, v77, v79
	v_dual_add_f32 v10, v10, v54 :: v_dual_add_f32 v13, v13, v85
	s_delay_alu instid0(VALU_DEP_2) | instskip(SKIP_1) | instid1(VALU_DEP_3)
	v_dual_add_f32 v16, v16, v55 :: v_dual_fmac_f32 v41, v77, v80
	v_add_f32_e32 v15, v15, v82
	v_add_f32_e32 v10, v10, v58
	s_delay_alu instid0(VALU_DEP_3) | instskip(SKIP_1) | instid1(VALU_DEP_3)
	v_dual_add_f32 v7, v7, v18 :: v_dual_add_f32 v16, v16, v87
	v_add_f32_e32 v11, v11, v22
	v_dual_add_f32 v15, v15, v84 :: v_dual_add_f32 v10, v10, v67
	v_add_f32_e32 v1, v1, v21
	s_delay_alu instid0(VALU_DEP_4) | instskip(NEXT) | instid1(VALU_DEP_4)
	v_dual_add_f32 v16, v16, v65 :: v_dual_add_f32 v9, v9, v23
	v_add_f32_e32 v11, v11, v24
	v_add_f32_e32 v13, v13, v20
	s_delay_alu instid0(VALU_DEP_3) | instskip(NEXT) | instid1(VALU_DEP_4)
	v_dual_add_f32 v7, v7, v28 :: v_dual_add_f32 v16, v16, v73
	v_add_f32_e32 v9, v9, v26
	v_dual_add_f32 v10, v10, v70 :: v_dual_add_f32 v1, v1, v25
	v_add_f32_e32 v15, v15, v45
	v_add_f32_e32 v11, v11, v30
	;; [unrolled: 1-line block ×24, first 2 shown]
	v_fma_f32 v72, v40, v78, -v72
	v_fma_f32 v40, v40, v80, -v90
	;; [unrolled: 1-line block ×4, first 2 shown]
	v_add_f32_e32 v15, v15, v63
	v_add_f32_e32 v11, v11, v38
	;; [unrolled: 1-line block ×12, first 2 shown]
	s_cbranch_vccz .LBB1258_2
.LBB1258_3:
	s_load_b128 s[4:7], s[0:1], 0x50
	v_add_nc_u32_e32 v8, s9, v8
	s_clause 0x1
	s_load_b32 s9, s[0:1], 0x0
	s_load_b64 s[2:3], s[0:1], 0x60
	v_add_nc_u32_e32 v2, s8, v6
	v_ashrrev_i32_e32 v0, 31, v8
	s_delay_alu instid0(VALU_DEP_2) | instskip(SKIP_1) | instid1(VALU_DEP_2)
	v_cmp_le_i32_e64 s0, v8, v2
	s_waitcnt lgkmcnt(0)
	v_mul_lo_u32 v0, v0, s6
	v_mul_lo_u32 v5, v8, s7
	v_mad_u64_u32 v[3:4], null, v8, s6, 0
	s_mul_i32 s1, s15, s3
	s_mul_hi_u32 s3, s15, s2
	s_mul_i32 s2, s15, s2
	s_add_i32 s3, s3, s1
	v_cmp_gt_i32_e32 vcc_lo, s9, v2
	s_lshl_b64 s[2:3], s[2:3], 3
	s_delay_alu instid0(VALU_DEP_2) | instskip(SKIP_3) | instid1(VALU_DEP_1)
	v_add3_u32 v4, v4, v5, v0
	s_add_u32 s2, s4, s2
	s_addc_u32 s3, s5, s3
	s_and_b32 s0, s0, vcc_lo
	v_lshlrev_b64 v[3:4], 3, v[3:4]
	s_delay_alu instid0(VALU_DEP_1) | instskip(NEXT) | instid1(VALU_DEP_1)
	v_add_co_u32 v0, s1, s2, v3
	v_add_co_ci_u32_e64 v6, s1, s3, v4, s1
	s_and_saveexec_b32 s1, s0
	s_cbranch_execz .LBB1258_6
; %bb.4:
	v_ashrrev_i32_e32 v3, 31, v2
	v_mul_f32_e32 v5, s19, v16
	v_mul_f32_e32 v17, s18, v16
	s_delay_alu instid0(VALU_DEP_3) | instskip(NEXT) | instid1(VALU_DEP_3)
	v_lshlrev_b64 v[3:4], 3, v[2:3]
	v_fma_f32 v16, v15, s18, -v5
	s_delay_alu instid0(VALU_DEP_3) | instskip(NEXT) | instid1(VALU_DEP_3)
	v_fmac_f32_e32 v17, s19, v15
	v_add_co_u32 v3, s0, v0, v3
	s_delay_alu instid0(VALU_DEP_1)
	v_add_co_ci_u32_e64 v4, s0, v6, v4, s0
	v_cmp_eq_u32_e64 s0, v8, v2
	global_store_b64 v[3:4], v[16:17], off
	s_and_b32 exec_lo, exec_lo, s0
	s_cbranch_execz .LBB1258_6
; %bb.5:
	v_mov_b32_e32 v5, 0
	global_store_b32 v[3:4], v5, off offset:4
.LBB1258_6:
	s_or_b32 exec_lo, exec_lo, s1
	v_add_nc_u32_e32 v4, 16, v2
	s_delay_alu instid0(VALU_DEP_1) | instskip(SKIP_1) | instid1(VALU_DEP_1)
	v_cmp_le_i32_e64 s1, v8, v4
	v_cmp_gt_i32_e64 s0, s9, v4
	s_and_b32 s1, s1, s0
	s_delay_alu instid0(SALU_CYCLE_1)
	s_and_saveexec_b32 s4, s1
	s_cbranch_execz .LBB1258_9
; %bb.7:
	v_ashrrev_i32_e32 v5, 31, v4
	v_mul_f32_e32 v3, s19, v13
	v_mul_f32_e32 v13, s18, v13
	s_delay_alu instid0(VALU_DEP_3) | instskip(NEXT) | instid1(VALU_DEP_3)
	v_lshlrev_b64 v[14:15], 3, v[4:5]
	v_fma_f32 v12, v11, s18, -v3
	s_delay_alu instid0(VALU_DEP_3) | instskip(NEXT) | instid1(VALU_DEP_3)
	v_fmac_f32_e32 v13, s19, v11
	v_add_co_u32 v5, s1, v0, v14
	s_delay_alu instid0(VALU_DEP_1)
	v_add_co_ci_u32_e64 v6, s1, v6, v15, s1
	v_cmp_eq_u32_e64 s1, v8, v4
	global_store_b64 v[5:6], v[12:13], off
	s_and_b32 exec_lo, exec_lo, s1
	s_cbranch_execz .LBB1258_9
; %bb.8:
	v_mov_b32_e32 v0, 0
	global_store_b32 v[5:6], v0, off offset:4
.LBB1258_9:
	s_or_b32 exec_lo, exec_lo, s4
	v_add_nc_u32_e32 v12, 16, v8
	s_delay_alu instid0(VALU_DEP_1) | instskip(SKIP_3) | instid1(VALU_DEP_4)
	v_ashrrev_i32_e32 v0, 31, v12
	v_mul_lo_u32 v3, v12, s7
	v_mad_u64_u32 v[5:6], null, v12, s6, 0
	v_cmp_le_i32_e64 s1, v12, v2
	v_mul_lo_u32 v0, v0, s6
	s_delay_alu instid0(VALU_DEP_1) | instskip(NEXT) | instid1(VALU_DEP_1)
	v_add3_u32 v6, v6, v3, v0
	v_lshlrev_b64 v[5:6], 3, v[5:6]
	s_delay_alu instid0(VALU_DEP_1) | instskip(NEXT) | instid1(VALU_DEP_1)
	v_add_co_u32 v0, s2, s2, v5
	v_add_co_ci_u32_e64 v11, s2, s3, v6, s2
	s_and_b32 s2, s1, vcc_lo
	s_delay_alu instid0(SALU_CYCLE_1)
	s_and_saveexec_b32 s1, s2
	s_cbranch_execz .LBB1258_12
; %bb.10:
	v_ashrrev_i32_e32 v3, 31, v2
	v_mul_f32_e32 v14, s18, v10
	v_mul_f32_e32 v13, s19, v10
	s_delay_alu instid0(VALU_DEP_3) | instskip(NEXT) | instid1(VALU_DEP_3)
	v_lshlrev_b64 v[5:6], 3, v[2:3]
	v_fmac_f32_e32 v14, s19, v9
	s_delay_alu instid0(VALU_DEP_3) | instskip(NEXT) | instid1(VALU_DEP_3)
	v_fma_f32 v13, v9, s18, -v13
	v_add_co_u32 v5, vcc_lo, v0, v5
	s_delay_alu instid0(VALU_DEP_4)
	v_add_co_ci_u32_e32 v6, vcc_lo, v11, v6, vcc_lo
	v_cmp_eq_u32_e32 vcc_lo, v12, v2
	global_store_b64 v[5:6], v[13:14], off
	s_and_b32 exec_lo, exec_lo, vcc_lo
	s_cbranch_execz .LBB1258_12
; %bb.11:
	v_mov_b32_e32 v3, 0
	global_store_b32 v[5:6], v3, off offset:4
.LBB1258_12:
	s_or_b32 exec_lo, exec_lo, s1
	v_cmp_le_i32_e32 vcc_lo, v12, v4
	s_and_b32 s0, vcc_lo, s0
	s_delay_alu instid0(SALU_CYCLE_1)
	s_and_saveexec_b32 s1, s0
	s_cbranch_execz .LBB1258_15
; %bb.13:
	v_ashrrev_i32_e32 v5, 31, v4
	v_mul_f32_e32 v6, s18, v1
	v_mul_f32_e32 v9, s19, v1
	s_delay_alu instid0(VALU_DEP_3) | instskip(NEXT) | instid1(VALU_DEP_3)
	v_lshlrev_b64 v[3:4], 3, v[4:5]
	v_fmac_f32_e32 v6, s19, v7
	s_delay_alu instid0(VALU_DEP_3) | instskip(NEXT) | instid1(VALU_DEP_3)
	v_fma_f32 v5, v7, s18, -v9
	v_add_co_u32 v0, vcc_lo, v0, v3
	s_delay_alu instid0(VALU_DEP_4)
	v_add_co_ci_u32_e32 v1, vcc_lo, v11, v4, vcc_lo
	v_cmp_eq_u32_e32 vcc_lo, v8, v2
	global_store_b64 v[0:1], v[5:6], off
	s_and_b32 exec_lo, exec_lo, vcc_lo
	s_cbranch_execz .LBB1258_15
; %bb.14:
	v_mov_b32_e32 v2, 0
	global_store_b32 v[0:1], v2, off offset:4
.LBB1258_15:
	s_nop 0
	s_sendmsg sendmsg(MSG_DEALLOC_VGPRS)
	s_endpgm
	.section	.rodata,"a",@progbits
	.p2align	6, 0x0
	.amdhsa_kernel _ZL37rocblas_syrkx_herkx_restricted_kernelIl19rocblas_complex_numIfELi16ELi32ELi8ELb1ELb1ELc84ELc76EKS1_S1_EviT_T0_PT8_S3_lS6_S3_lS4_PT9_S3_li
		.amdhsa_group_segment_fixed_size 4096
		.amdhsa_private_segment_fixed_size 0
		.amdhsa_kernarg_size 108
		.amdhsa_user_sgpr_count 13
		.amdhsa_user_sgpr_dispatch_ptr 0
		.amdhsa_user_sgpr_queue_ptr 0
		.amdhsa_user_sgpr_kernarg_segment_ptr 1
		.amdhsa_user_sgpr_dispatch_id 0
		.amdhsa_user_sgpr_private_segment_size 0
		.amdhsa_wavefront_size32 1
		.amdhsa_uses_dynamic_stack 0
		.amdhsa_enable_private_segment 0
		.amdhsa_system_sgpr_workgroup_id_x 1
		.amdhsa_system_sgpr_workgroup_id_y 1
		.amdhsa_system_sgpr_workgroup_id_z 1
		.amdhsa_system_sgpr_workgroup_info 0
		.amdhsa_system_vgpr_workitem_id 1
		.amdhsa_next_free_vgpr 91
		.amdhsa_next_free_sgpr 32
		.amdhsa_reserve_vcc 1
		.amdhsa_float_round_mode_32 0
		.amdhsa_float_round_mode_16_64 0
		.amdhsa_float_denorm_mode_32 3
		.amdhsa_float_denorm_mode_16_64 3
		.amdhsa_dx10_clamp 1
		.amdhsa_ieee_mode 1
		.amdhsa_fp16_overflow 0
		.amdhsa_workgroup_processor_mode 1
		.amdhsa_memory_ordered 1
		.amdhsa_forward_progress 0
		.amdhsa_shared_vgpr_count 0
		.amdhsa_exception_fp_ieee_invalid_op 0
		.amdhsa_exception_fp_denorm_src 0
		.amdhsa_exception_fp_ieee_div_zero 0
		.amdhsa_exception_fp_ieee_overflow 0
		.amdhsa_exception_fp_ieee_underflow 0
		.amdhsa_exception_fp_ieee_inexact 0
		.amdhsa_exception_int_div_zero 0
	.end_amdhsa_kernel
	.section	.text._ZL37rocblas_syrkx_herkx_restricted_kernelIl19rocblas_complex_numIfELi16ELi32ELi8ELb1ELb1ELc84ELc76EKS1_S1_EviT_T0_PT8_S3_lS6_S3_lS4_PT9_S3_li,"axG",@progbits,_ZL37rocblas_syrkx_herkx_restricted_kernelIl19rocblas_complex_numIfELi16ELi32ELi8ELb1ELb1ELc84ELc76EKS1_S1_EviT_T0_PT8_S3_lS6_S3_lS4_PT9_S3_li,comdat
.Lfunc_end1258:
	.size	_ZL37rocblas_syrkx_herkx_restricted_kernelIl19rocblas_complex_numIfELi16ELi32ELi8ELb1ELb1ELc84ELc76EKS1_S1_EviT_T0_PT8_S3_lS6_S3_lS4_PT9_S3_li, .Lfunc_end1258-_ZL37rocblas_syrkx_herkx_restricted_kernelIl19rocblas_complex_numIfELi16ELi32ELi8ELb1ELb1ELc84ELc76EKS1_S1_EviT_T0_PT8_S3_lS6_S3_lS4_PT9_S3_li
                                        ; -- End function
	.section	.AMDGPU.csdata,"",@progbits
; Kernel info:
; codeLenInByte = 2304
; NumSgprs: 34
; NumVgprs: 91
; ScratchSize: 0
; MemoryBound: 0
; FloatMode: 240
; IeeeMode: 1
; LDSByteSize: 4096 bytes/workgroup (compile time only)
; SGPRBlocks: 4
; VGPRBlocks: 11
; NumSGPRsForWavesPerEU: 34
; NumVGPRsForWavesPerEU: 91
; Occupancy: 16
; WaveLimiterHint : 1
; COMPUTE_PGM_RSRC2:SCRATCH_EN: 0
; COMPUTE_PGM_RSRC2:USER_SGPR: 13
; COMPUTE_PGM_RSRC2:TRAP_HANDLER: 0
; COMPUTE_PGM_RSRC2:TGID_X_EN: 1
; COMPUTE_PGM_RSRC2:TGID_Y_EN: 1
; COMPUTE_PGM_RSRC2:TGID_Z_EN: 1
; COMPUTE_PGM_RSRC2:TIDIG_COMP_CNT: 1
	.section	.text._ZL37rocblas_syrkx_herkx_restricted_kernelIl19rocblas_complex_numIfELi16ELi32ELi8ELb1ELb1ELc67ELc76EKS1_S1_EviT_T0_PT8_S3_lS6_S3_lS4_PT9_S3_li,"axG",@progbits,_ZL37rocblas_syrkx_herkx_restricted_kernelIl19rocblas_complex_numIfELi16ELi32ELi8ELb1ELb1ELc67ELc76EKS1_S1_EviT_T0_PT8_S3_lS6_S3_lS4_PT9_S3_li,comdat
	.globl	_ZL37rocblas_syrkx_herkx_restricted_kernelIl19rocblas_complex_numIfELi16ELi32ELi8ELb1ELb1ELc67ELc76EKS1_S1_EviT_T0_PT8_S3_lS6_S3_lS4_PT9_S3_li ; -- Begin function _ZL37rocblas_syrkx_herkx_restricted_kernelIl19rocblas_complex_numIfELi16ELi32ELi8ELb1ELb1ELc67ELc76EKS1_S1_EviT_T0_PT8_S3_lS6_S3_lS4_PT9_S3_li
	.p2align	8
	.type	_ZL37rocblas_syrkx_herkx_restricted_kernelIl19rocblas_complex_numIfELi16ELi32ELi8ELb1ELb1ELc67ELc76EKS1_S1_EviT_T0_PT8_S3_lS6_S3_lS4_PT9_S3_li,@function
_ZL37rocblas_syrkx_herkx_restricted_kernelIl19rocblas_complex_numIfELi16ELi32ELi8ELb1ELb1ELc67ELc76EKS1_S1_EviT_T0_PT8_S3_lS6_S3_lS4_PT9_S3_li: ; @_ZL37rocblas_syrkx_herkx_restricted_kernelIl19rocblas_complex_numIfELi16ELi32ELi8ELb1ELb1ELc67ELc76EKS1_S1_EviT_T0_PT8_S3_lS6_S3_lS4_PT9_S3_li
; %bb.0:
	s_load_b512 s[16:31], s[0:1], 0x8
	v_dual_mov_b32 v15, 0 :: v_dual_mov_b32 v16, 0
	v_dual_mov_b32 v11, 0 :: v_dual_mov_b32 v10, 0
	v_dual_mov_b32 v13, 0 :: v_dual_and_b32 v6, 0x3ff, v0
	v_mov_b32_e32 v9, 0
	v_mov_b32_e32 v7, 0
	v_bfe_u32 v8, v0, 10, 10
	v_mov_b32_e32 v1, 0
	s_lshl_b32 s8, s13, 5
	s_lshl_b32 s9, s14, 5
	s_waitcnt lgkmcnt(0)
	v_cmp_lt_i64_e64 s2, s[16:17], 1
	s_delay_alu instid0(VALU_DEP_1)
	s_and_b32 vcc_lo, exec_lo, s2
	s_cbranch_vccnz .LBB1259_3
; %bb.1:
	v_lshl_add_u32 v2, v8, 4, v6
	v_dual_mov_b32 v1, 0 :: v_dual_and_b32 v0, 7, v6
	v_lshlrev_b32_e32 v12, 3, v6
	s_mul_i32 s3, s25, s15
	s_delay_alu instid0(VALU_DEP_3)
	v_and_b32_e32 v7, 31, v2
	v_lshrrev_b32_e32 v11, 3, v2
	v_lshrrev_b32_e32 v2, 5, v2
	v_mov_b32_e32 v3, v1
	s_mul_hi_u32 s4, s24, s15
	v_add_nc_u32_e32 v9, s8, v7
	v_add_nc_u32_e32 v13, s9, v11
	v_lshlrev_b32_e32 v14, 3, v0
	s_mul_i32 s2, s24, s15
	s_add_i32 s3, s4, s3
	v_ashrrev_i32_e32 v10, 31, v9
	v_ashrrev_i32_e32 v15, 31, v13
	v_mad_u64_u32 v[4:5], null, s22, v9, v[2:3]
	v_mul_lo_u32 v3, s23, v9
	s_delay_alu instid0(VALU_DEP_4)
	v_mul_lo_u32 v16, s22, v10
	v_mul_lo_u32 v17, v13, s29
	v_mad_u64_u32 v[9:10], null, v13, s28, v[0:1]
	v_mul_lo_u32 v13, v15, s28
	v_lshlrev_b32_e32 v0, 3, v7
	s_lshl_b64 s[2:3], s[2:3], 3
	s_mul_hi_u32 s5, s30, s15
	v_add3_u32 v5, v3, v5, v16
	s_add_u32 s4, s20, s2
	v_lshl_or_b32 v0, v2, 8, v0
	s_mul_i32 s2, s31, s15
	v_add3_u32 v10, v13, v10, v17
	v_lshlrev_b64 v[2:3], 3, v[4:5]
	s_addc_u32 s6, s21, s3
	s_add_i32 s3, s5, s2
	s_mul_i32 s2, s30, s15
	v_lshlrev_b64 v[4:5], 3, v[9:10]
	v_mov_b32_e32 v9, v1
	s_lshl_b64 s[2:3], s[2:3], 3
	v_add_co_u32 v2, vcc_lo, s4, v2
	s_add_u32 s2, s26, s2
	v_add_co_ci_u32_e32 v3, vcc_lo, s6, v3, vcc_lo
	s_addc_u32 s3, s27, s3
	v_add_co_u32 v4, vcc_lo, s2, v4
	v_add_co_ci_u32_e32 v5, vcc_lo, s3, v5, vcc_lo
	v_lshl_or_b32 v7, v11, 6, v14
	v_add_co_u32 v2, vcc_lo, v2, 4
	v_add_co_ci_u32_e32 v3, vcc_lo, 0, v3, vcc_lo
	v_add_co_u32 v4, vcc_lo, v4, 4
	s_delay_alu instid0(VALU_DEP_4)
	v_dual_mov_b32 v13, v1 :: v_dual_add_nc_u32 v14, 0x800, v7
	v_lshl_add_u32 v17, v8, 6, 0x800
	v_add_co_ci_u32_e32 v5, vcc_lo, 0, v5, vcc_lo
	v_mov_b32_e32 v7, v1
	v_mov_b32_e32 v10, v1
	;; [unrolled: 1-line block ×5, first 2 shown]
	s_mov_b64 s[2:3], 0
.LBB1259_2:                             ; =>This Inner Loop Header: Depth=1
	global_load_b64 v[18:19], v[2:3], off offset:-4
	global_load_b64 v[20:21], v[4:5], off offset:-4
	s_add_u32 s2, s2, 8
	v_add_co_u32 v2, vcc_lo, v2, 64
	s_addc_u32 s3, s3, 0
	v_add_co_ci_u32_e32 v3, vcc_lo, 0, v3, vcc_lo
	v_cmp_ge_u64_e64 s4, s[2:3], s[16:17]
	v_add_co_u32 v4, vcc_lo, v4, 64
	v_add_co_ci_u32_e32 v5, vcc_lo, 0, v5, vcc_lo
	s_delay_alu instid0(VALU_DEP_3)
	s_and_b32 vcc_lo, exec_lo, s4
	s_waitcnt vmcnt(1)
	v_xor_b32_e32 v19, 0x80000000, v19
	ds_store_b64 v0, v[18:19]
	s_waitcnt vmcnt(0)
	ds_store_b64 v14, v[20:21]
	s_waitcnt lgkmcnt(0)
	s_barrier
	buffer_gl0_inv
	ds_load_2addr_b64 v[18:21], v12 offset1:16
	ds_load_b128 v[22:25], v17
	ds_load_b128 v[26:29], v17 offset:1024
	ds_load_b128 v[30:33], v17 offset:16
	;; [unrolled: 1-line block ×4, first 2 shown]
	ds_load_2addr_b64 v[42:45], v12 offset0:32 offset1:48
	ds_load_2addr_b64 v[46:49], v12 offset0:64 offset1:80
	ds_load_b128 v[50:53], v17 offset:1040
	ds_load_2addr_b64 v[54:57], v12 offset0:96 offset1:112
	ds_load_2addr_b64 v[58:61], v12 offset0:128 offset1:144
	;; [unrolled: 1-line block ×4, first 2 shown]
	ds_load_b128 v[70:73], v17 offset:1056
	ds_load_b128 v[74:77], v17 offset:1072
	ds_load_2addr_b64 v[78:81], v12 offset0:224 offset1:240
	s_waitcnt lgkmcnt(0)
	s_barrier
	buffer_gl0_inv
	v_dual_mul_f32 v82, v23, v19 :: v_dual_mul_f32 v85, v22, v21
	v_dual_mul_f32 v83, v22, v19 :: v_dual_mul_f32 v84, v23, v21
	v_mul_f32_e32 v86, v27, v19
	v_dual_mul_f32 v19, v26, v19 :: v_dual_mul_f32 v90, v25, v45
	v_dual_mul_f32 v87, v27, v21 :: v_dual_mul_f32 v88, v25, v43
	v_mul_f32_e32 v21, v26, v21
	v_fma_f32 v82, v22, v18, -v82
	v_fmac_f32_e32 v83, v23, v18
	v_fma_f32 v22, v22, v20, -v84
	v_fmac_f32_e32 v85, v23, v20
	v_fma_f32 v23, v26, v18, -v86
	v_dual_fmac_f32 v19, v27, v18 :: v_dual_mul_f32 v86, v30, v47
	v_fma_f32 v18, v26, v20, -v87
	v_dual_fmac_f32 v21, v27, v20 :: v_dual_mul_f32 v20, v24, v45
	v_mul_f32_e32 v89, v24, v43
	v_mul_f32_e32 v26, v29, v43
	;; [unrolled: 1-line block ×4, first 2 shown]
	v_fmac_f32_e32 v20, v25, v44
	v_fmac_f32_e32 v89, v25, v42
	v_dual_mul_f32 v25, v28, v45 :: v_dual_fmac_f32 v86, v31, v46
	v_fma_f32 v84, v24, v42, -v88
	v_fma_f32 v24, v24, v44, -v90
	v_dual_mul_f32 v45, v31, v47 :: v_dual_mul_f32 v90, v33, v57
	v_fma_f32 v26, v28, v42, -v26
	v_fma_f32 v28, v28, v44, -v43
	v_fmac_f32_e32 v25, v29, v44
	v_dual_mul_f32 v43, v50, v47 :: v_dual_mul_f32 v44, v51, v49
	v_dual_fmac_f32 v27, v29, v42 :: v_dual_mul_f32 v42, v51, v47
	v_dual_mul_f32 v88, v32, v55 :: v_dual_mul_f32 v29, v30, v49
	v_mul_f32_e32 v87, v31, v49
	v_fma_f32 v45, v30, v46, -v45
	v_add_f32_e32 v16, v16, v83
	s_delay_alu instid0(VALU_DEP_4)
	v_dual_fmac_f32 v88, v33, v54 :: v_dual_fmac_f32 v29, v31, v48
	v_fma_f32 v31, v50, v46, -v42
	v_fma_f32 v42, v50, v48, -v44
	v_mul_f32_e32 v44, v32, v57
	v_mul_f32_e32 v47, v50, v49
	v_dual_mul_f32 v50, v53, v57 :: v_dual_fmac_f32 v43, v51, v46
	v_mul_f32_e32 v46, v53, v55
	v_mul_f32_e32 v49, v33, v55
	v_fma_f32 v30, v30, v48, -v87
	v_fmac_f32_e32 v44, v33, v56
	v_dual_fmac_f32 v47, v51, v48 :: v_dual_mul_f32 v48, v52, v55
	v_mul_f32_e32 v33, v52, v57
	v_fma_f32 v46, v52, v54, -v46
	v_fma_f32 v50, v52, v56, -v50
	v_mul_f32_e32 v52, v34, v61
	v_fma_f32 v49, v32, v54, -v49
	v_fma_f32 v32, v32, v56, -v90
	v_dual_mul_f32 v51, v35, v59 :: v_dual_fmac_f32 v48, v53, v54
	v_mul_f32_e32 v54, v70, v59
	v_dual_mul_f32 v55, v34, v59 :: v_dual_fmac_f32 v52, v35, v60
	v_fmac_f32_e32 v33, v53, v56
	v_mul_f32_e32 v53, v71, v59
	v_mul_f32_e32 v56, v71, v61
	v_mul_f32_e32 v57, v35, v61
	v_fmac_f32_e32 v54, v71, v58
	v_fmac_f32_e32 v55, v35, v58
	v_fma_f32 v35, v70, v58, -v53
	v_fma_f32 v53, v70, v60, -v56
	v_mul_f32_e32 v56, v36, v65
	v_mul_f32_e32 v59, v70, v61
	v_fma_f32 v51, v34, v58, -v51
	v_mul_f32_e32 v58, v72, v63
	v_mul_f32_e32 v87, v36, v63
	;; [unrolled: 1-line block ×4, first 2 shown]
	v_fma_f32 v34, v34, v60, -v57
	v_mul_f32_e32 v57, v73, v63
	v_fmac_f32_e32 v56, v37, v64
	v_dual_fmac_f32 v59, v71, v60 :: v_dual_mul_f32 v60, v73, v65
	v_mul_f32_e32 v63, v39, v67
	v_mul_f32_e32 v70, v39, v69
	v_fmac_f32_e32 v58, v73, v62
	v_fmac_f32_e32 v87, v37, v62
	v_mul_f32_e32 v37, v72, v65
	v_fma_f32 v61, v36, v62, -v61
	v_fma_f32 v36, v36, v64, -v90
	v_mul_f32_e32 v65, v38, v67
	v_fma_f32 v57, v72, v62, -v57
	v_fma_f32 v60, v72, v64, -v60
	v_dual_fmac_f32 v37, v73, v64 :: v_dual_mul_f32 v62, v38, v69
	v_mul_f32_e32 v64, v75, v67
	v_mul_f32_e32 v71, v75, v69
	v_fma_f32 v63, v38, v66, -v63
	v_fma_f32 v38, v38, v68, -v70
	v_mul_f32_e32 v70, v76, v79
	v_mul_f32_e32 v67, v74, v67
	v_dual_fmac_f32 v65, v39, v66 :: v_dual_add_f32 v10, v10, v19
	v_add_f32_e32 v16, v16, v89
	s_delay_alu instid0(VALU_DEP_4) | instskip(NEXT) | instid1(VALU_DEP_3)
	v_dual_mul_f32 v69, v74, v69 :: v_dual_fmac_f32 v70, v77, v78
	v_dual_fmac_f32 v67, v75, v66 :: v_dual_add_f32 v10, v10, v27
	s_delay_alu instid0(VALU_DEP_2)
	v_dual_add_f32 v16, v16, v86 :: v_dual_fmac_f32 v69, v75, v68
	v_fmac_f32_e32 v62, v39, v68
	v_fma_f32 v39, v74, v66, -v64
	v_fma_f32 v64, v74, v68, -v71
	v_mul_f32_e32 v66, v40, v81
	v_dual_mul_f32 v71, v77, v81 :: v_dual_add_f32 v10, v10, v43
	v_mul_f32_e32 v73, v40, v79
	v_mul_f32_e32 v72, v41, v79
	;; [unrolled: 1-line block ×3, first 2 shown]
	v_fmac_f32_e32 v66, v41, v80
	s_delay_alu instid0(VALU_DEP_4) | instskip(SKIP_2) | instid1(VALU_DEP_3)
	v_dual_add_f32 v10, v10, v48 :: v_dual_fmac_f32 v73, v41, v78
	v_add_f32_e32 v16, v16, v88
	v_dual_mul_f32 v41, v76, v81 :: v_dual_mul_f32 v68, v77, v79
	v_dual_add_f32 v10, v10, v54 :: v_dual_add_f32 v13, v13, v85
	s_delay_alu instid0(VALU_DEP_2) | instskip(SKIP_1) | instid1(VALU_DEP_3)
	v_dual_add_f32 v16, v16, v55 :: v_dual_fmac_f32 v41, v77, v80
	v_add_f32_e32 v15, v15, v82
	v_add_f32_e32 v10, v10, v58
	s_delay_alu instid0(VALU_DEP_3) | instskip(SKIP_1) | instid1(VALU_DEP_3)
	v_dual_add_f32 v7, v7, v18 :: v_dual_add_f32 v16, v16, v87
	v_add_f32_e32 v11, v11, v22
	v_dual_add_f32 v15, v15, v84 :: v_dual_add_f32 v10, v10, v67
	v_add_f32_e32 v1, v1, v21
	s_delay_alu instid0(VALU_DEP_4) | instskip(NEXT) | instid1(VALU_DEP_4)
	v_dual_add_f32 v16, v16, v65 :: v_dual_add_f32 v9, v9, v23
	v_add_f32_e32 v11, v11, v24
	v_add_f32_e32 v13, v13, v20
	s_delay_alu instid0(VALU_DEP_3) | instskip(NEXT) | instid1(VALU_DEP_4)
	v_dual_add_f32 v7, v7, v28 :: v_dual_add_f32 v16, v16, v73
	v_add_f32_e32 v9, v9, v26
	v_dual_add_f32 v10, v10, v70 :: v_dual_add_f32 v1, v1, v25
	v_add_f32_e32 v15, v15, v45
	v_add_f32_e32 v11, v11, v30
	;; [unrolled: 1-line block ×24, first 2 shown]
	v_fma_f32 v72, v40, v78, -v72
	v_fma_f32 v40, v40, v80, -v90
	;; [unrolled: 1-line block ×4, first 2 shown]
	v_add_f32_e32 v15, v15, v63
	v_add_f32_e32 v11, v11, v38
	v_add_f32_e32 v13, v13, v62
	v_add_f32_e32 v9, v9, v39
	v_add_f32_e32 v7, v7, v64
	v_add_f32_e32 v1, v1, v69
	v_add_f32_e32 v15, v15, v72
	v_add_f32_e32 v11, v11, v40
	v_add_f32_e32 v13, v13, v66
	v_add_f32_e32 v9, v9, v68
	v_add_f32_e32 v7, v7, v71
	v_add_f32_e32 v1, v1, v41
	s_cbranch_vccz .LBB1259_2
.LBB1259_3:
	s_load_b128 s[4:7], s[0:1], 0x50
	v_add_nc_u32_e32 v8, s9, v8
	s_clause 0x1
	s_load_b32 s9, s[0:1], 0x0
	s_load_b64 s[2:3], s[0:1], 0x60
	v_add_nc_u32_e32 v2, s8, v6
	v_ashrrev_i32_e32 v0, 31, v8
	s_delay_alu instid0(VALU_DEP_2) | instskip(SKIP_1) | instid1(VALU_DEP_2)
	v_cmp_le_i32_e64 s0, v8, v2
	s_waitcnt lgkmcnt(0)
	v_mul_lo_u32 v0, v0, s6
	v_mul_lo_u32 v5, v8, s7
	v_mad_u64_u32 v[3:4], null, v8, s6, 0
	s_mul_i32 s1, s15, s3
	s_mul_hi_u32 s3, s15, s2
	s_mul_i32 s2, s15, s2
	s_add_i32 s3, s3, s1
	v_cmp_gt_i32_e32 vcc_lo, s9, v2
	s_lshl_b64 s[2:3], s[2:3], 3
	s_delay_alu instid0(VALU_DEP_2) | instskip(SKIP_3) | instid1(VALU_DEP_1)
	v_add3_u32 v4, v4, v5, v0
	s_add_u32 s2, s4, s2
	s_addc_u32 s3, s5, s3
	s_and_b32 s0, s0, vcc_lo
	v_lshlrev_b64 v[3:4], 3, v[3:4]
	s_delay_alu instid0(VALU_DEP_1) | instskip(NEXT) | instid1(VALU_DEP_1)
	v_add_co_u32 v0, s1, s2, v3
	v_add_co_ci_u32_e64 v6, s1, s3, v4, s1
	s_and_saveexec_b32 s1, s0
	s_cbranch_execz .LBB1259_6
; %bb.4:
	v_ashrrev_i32_e32 v3, 31, v2
	v_mul_f32_e32 v5, s19, v16
	v_mul_f32_e32 v17, s18, v16
	s_delay_alu instid0(VALU_DEP_3) | instskip(NEXT) | instid1(VALU_DEP_3)
	v_lshlrev_b64 v[3:4], 3, v[2:3]
	v_fma_f32 v16, v15, s18, -v5
	s_delay_alu instid0(VALU_DEP_3) | instskip(NEXT) | instid1(VALU_DEP_3)
	v_fmac_f32_e32 v17, s19, v15
	v_add_co_u32 v3, s0, v0, v3
	s_delay_alu instid0(VALU_DEP_1)
	v_add_co_ci_u32_e64 v4, s0, v6, v4, s0
	v_cmp_eq_u32_e64 s0, v8, v2
	global_store_b64 v[3:4], v[16:17], off
	s_and_b32 exec_lo, exec_lo, s0
	s_cbranch_execz .LBB1259_6
; %bb.5:
	v_mov_b32_e32 v5, 0
	global_store_b32 v[3:4], v5, off offset:4
.LBB1259_6:
	s_or_b32 exec_lo, exec_lo, s1
	v_add_nc_u32_e32 v4, 16, v2
	s_delay_alu instid0(VALU_DEP_1) | instskip(SKIP_1) | instid1(VALU_DEP_1)
	v_cmp_le_i32_e64 s1, v8, v4
	v_cmp_gt_i32_e64 s0, s9, v4
	s_and_b32 s1, s1, s0
	s_delay_alu instid0(SALU_CYCLE_1)
	s_and_saveexec_b32 s4, s1
	s_cbranch_execz .LBB1259_9
; %bb.7:
	v_ashrrev_i32_e32 v5, 31, v4
	v_mul_f32_e32 v3, s19, v13
	v_mul_f32_e32 v13, s18, v13
	s_delay_alu instid0(VALU_DEP_3) | instskip(NEXT) | instid1(VALU_DEP_3)
	v_lshlrev_b64 v[14:15], 3, v[4:5]
	v_fma_f32 v12, v11, s18, -v3
	s_delay_alu instid0(VALU_DEP_3) | instskip(NEXT) | instid1(VALU_DEP_3)
	v_fmac_f32_e32 v13, s19, v11
	v_add_co_u32 v5, s1, v0, v14
	s_delay_alu instid0(VALU_DEP_1)
	v_add_co_ci_u32_e64 v6, s1, v6, v15, s1
	v_cmp_eq_u32_e64 s1, v8, v4
	global_store_b64 v[5:6], v[12:13], off
	s_and_b32 exec_lo, exec_lo, s1
	s_cbranch_execz .LBB1259_9
; %bb.8:
	v_mov_b32_e32 v0, 0
	global_store_b32 v[5:6], v0, off offset:4
.LBB1259_9:
	s_or_b32 exec_lo, exec_lo, s4
	v_add_nc_u32_e32 v12, 16, v8
	s_delay_alu instid0(VALU_DEP_1) | instskip(SKIP_3) | instid1(VALU_DEP_4)
	v_ashrrev_i32_e32 v0, 31, v12
	v_mul_lo_u32 v3, v12, s7
	v_mad_u64_u32 v[5:6], null, v12, s6, 0
	v_cmp_le_i32_e64 s1, v12, v2
	v_mul_lo_u32 v0, v0, s6
	s_delay_alu instid0(VALU_DEP_1) | instskip(NEXT) | instid1(VALU_DEP_1)
	v_add3_u32 v6, v6, v3, v0
	v_lshlrev_b64 v[5:6], 3, v[5:6]
	s_delay_alu instid0(VALU_DEP_1) | instskip(NEXT) | instid1(VALU_DEP_1)
	v_add_co_u32 v0, s2, s2, v5
	v_add_co_ci_u32_e64 v11, s2, s3, v6, s2
	s_and_b32 s2, s1, vcc_lo
	s_delay_alu instid0(SALU_CYCLE_1)
	s_and_saveexec_b32 s1, s2
	s_cbranch_execz .LBB1259_12
; %bb.10:
	v_ashrrev_i32_e32 v3, 31, v2
	v_mul_f32_e32 v14, s18, v10
	v_mul_f32_e32 v13, s19, v10
	s_delay_alu instid0(VALU_DEP_3) | instskip(NEXT) | instid1(VALU_DEP_3)
	v_lshlrev_b64 v[5:6], 3, v[2:3]
	v_fmac_f32_e32 v14, s19, v9
	s_delay_alu instid0(VALU_DEP_3) | instskip(NEXT) | instid1(VALU_DEP_3)
	v_fma_f32 v13, v9, s18, -v13
	v_add_co_u32 v5, vcc_lo, v0, v5
	s_delay_alu instid0(VALU_DEP_4)
	v_add_co_ci_u32_e32 v6, vcc_lo, v11, v6, vcc_lo
	v_cmp_eq_u32_e32 vcc_lo, v12, v2
	global_store_b64 v[5:6], v[13:14], off
	s_and_b32 exec_lo, exec_lo, vcc_lo
	s_cbranch_execz .LBB1259_12
; %bb.11:
	v_mov_b32_e32 v3, 0
	global_store_b32 v[5:6], v3, off offset:4
.LBB1259_12:
	s_or_b32 exec_lo, exec_lo, s1
	v_cmp_le_i32_e32 vcc_lo, v12, v4
	s_and_b32 s0, vcc_lo, s0
	s_delay_alu instid0(SALU_CYCLE_1)
	s_and_saveexec_b32 s1, s0
	s_cbranch_execz .LBB1259_15
; %bb.13:
	v_ashrrev_i32_e32 v5, 31, v4
	v_mul_f32_e32 v6, s18, v1
	v_mul_f32_e32 v9, s19, v1
	s_delay_alu instid0(VALU_DEP_3) | instskip(NEXT) | instid1(VALU_DEP_3)
	v_lshlrev_b64 v[3:4], 3, v[4:5]
	v_fmac_f32_e32 v6, s19, v7
	s_delay_alu instid0(VALU_DEP_3) | instskip(NEXT) | instid1(VALU_DEP_3)
	v_fma_f32 v5, v7, s18, -v9
	v_add_co_u32 v0, vcc_lo, v0, v3
	s_delay_alu instid0(VALU_DEP_4)
	v_add_co_ci_u32_e32 v1, vcc_lo, v11, v4, vcc_lo
	v_cmp_eq_u32_e32 vcc_lo, v8, v2
	global_store_b64 v[0:1], v[5:6], off
	s_and_b32 exec_lo, exec_lo, vcc_lo
	s_cbranch_execz .LBB1259_15
; %bb.14:
	v_mov_b32_e32 v2, 0
	global_store_b32 v[0:1], v2, off offset:4
.LBB1259_15:
	s_nop 0
	s_sendmsg sendmsg(MSG_DEALLOC_VGPRS)
	s_endpgm
	.section	.rodata,"a",@progbits
	.p2align	6, 0x0
	.amdhsa_kernel _ZL37rocblas_syrkx_herkx_restricted_kernelIl19rocblas_complex_numIfELi16ELi32ELi8ELb1ELb1ELc67ELc76EKS1_S1_EviT_T0_PT8_S3_lS6_S3_lS4_PT9_S3_li
		.amdhsa_group_segment_fixed_size 4096
		.amdhsa_private_segment_fixed_size 0
		.amdhsa_kernarg_size 108
		.amdhsa_user_sgpr_count 13
		.amdhsa_user_sgpr_dispatch_ptr 0
		.amdhsa_user_sgpr_queue_ptr 0
		.amdhsa_user_sgpr_kernarg_segment_ptr 1
		.amdhsa_user_sgpr_dispatch_id 0
		.amdhsa_user_sgpr_private_segment_size 0
		.amdhsa_wavefront_size32 1
		.amdhsa_uses_dynamic_stack 0
		.amdhsa_enable_private_segment 0
		.amdhsa_system_sgpr_workgroup_id_x 1
		.amdhsa_system_sgpr_workgroup_id_y 1
		.amdhsa_system_sgpr_workgroup_id_z 1
		.amdhsa_system_sgpr_workgroup_info 0
		.amdhsa_system_vgpr_workitem_id 1
		.amdhsa_next_free_vgpr 91
		.amdhsa_next_free_sgpr 32
		.amdhsa_reserve_vcc 1
		.amdhsa_float_round_mode_32 0
		.amdhsa_float_round_mode_16_64 0
		.amdhsa_float_denorm_mode_32 3
		.amdhsa_float_denorm_mode_16_64 3
		.amdhsa_dx10_clamp 1
		.amdhsa_ieee_mode 1
		.amdhsa_fp16_overflow 0
		.amdhsa_workgroup_processor_mode 1
		.amdhsa_memory_ordered 1
		.amdhsa_forward_progress 0
		.amdhsa_shared_vgpr_count 0
		.amdhsa_exception_fp_ieee_invalid_op 0
		.amdhsa_exception_fp_denorm_src 0
		.amdhsa_exception_fp_ieee_div_zero 0
		.amdhsa_exception_fp_ieee_overflow 0
		.amdhsa_exception_fp_ieee_underflow 0
		.amdhsa_exception_fp_ieee_inexact 0
		.amdhsa_exception_int_div_zero 0
	.end_amdhsa_kernel
	.section	.text._ZL37rocblas_syrkx_herkx_restricted_kernelIl19rocblas_complex_numIfELi16ELi32ELi8ELb1ELb1ELc67ELc76EKS1_S1_EviT_T0_PT8_S3_lS6_S3_lS4_PT9_S3_li,"axG",@progbits,_ZL37rocblas_syrkx_herkx_restricted_kernelIl19rocblas_complex_numIfELi16ELi32ELi8ELb1ELb1ELc67ELc76EKS1_S1_EviT_T0_PT8_S3_lS6_S3_lS4_PT9_S3_li,comdat
.Lfunc_end1259:
	.size	_ZL37rocblas_syrkx_herkx_restricted_kernelIl19rocblas_complex_numIfELi16ELi32ELi8ELb1ELb1ELc67ELc76EKS1_S1_EviT_T0_PT8_S3_lS6_S3_lS4_PT9_S3_li, .Lfunc_end1259-_ZL37rocblas_syrkx_herkx_restricted_kernelIl19rocblas_complex_numIfELi16ELi32ELi8ELb1ELb1ELc67ELc76EKS1_S1_EviT_T0_PT8_S3_lS6_S3_lS4_PT9_S3_li
                                        ; -- End function
	.section	.AMDGPU.csdata,"",@progbits
; Kernel info:
; codeLenInByte = 2316
; NumSgprs: 34
; NumVgprs: 91
; ScratchSize: 0
; MemoryBound: 0
; FloatMode: 240
; IeeeMode: 1
; LDSByteSize: 4096 bytes/workgroup (compile time only)
; SGPRBlocks: 4
; VGPRBlocks: 11
; NumSGPRsForWavesPerEU: 34
; NumVGPRsForWavesPerEU: 91
; Occupancy: 16
; WaveLimiterHint : 1
; COMPUTE_PGM_RSRC2:SCRATCH_EN: 0
; COMPUTE_PGM_RSRC2:USER_SGPR: 13
; COMPUTE_PGM_RSRC2:TRAP_HANDLER: 0
; COMPUTE_PGM_RSRC2:TGID_X_EN: 1
; COMPUTE_PGM_RSRC2:TGID_Y_EN: 1
; COMPUTE_PGM_RSRC2:TGID_Z_EN: 1
; COMPUTE_PGM_RSRC2:TIDIG_COMP_CNT: 1
	.section	.text._ZL37rocblas_syrkx_herkx_restricted_kernelIl19rocblas_complex_numIfELi16ELi32ELi8ELb1ELb1ELc78ELc76EKS1_S1_EviT_T0_PT8_S3_lS6_S3_lS4_PT9_S3_li,"axG",@progbits,_ZL37rocblas_syrkx_herkx_restricted_kernelIl19rocblas_complex_numIfELi16ELi32ELi8ELb1ELb1ELc78ELc76EKS1_S1_EviT_T0_PT8_S3_lS6_S3_lS4_PT9_S3_li,comdat
	.globl	_ZL37rocblas_syrkx_herkx_restricted_kernelIl19rocblas_complex_numIfELi16ELi32ELi8ELb1ELb1ELc78ELc76EKS1_S1_EviT_T0_PT8_S3_lS6_S3_lS4_PT9_S3_li ; -- Begin function _ZL37rocblas_syrkx_herkx_restricted_kernelIl19rocblas_complex_numIfELi16ELi32ELi8ELb1ELb1ELc78ELc76EKS1_S1_EviT_T0_PT8_S3_lS6_S3_lS4_PT9_S3_li
	.p2align	8
	.type	_ZL37rocblas_syrkx_herkx_restricted_kernelIl19rocblas_complex_numIfELi16ELi32ELi8ELb1ELb1ELc78ELc76EKS1_S1_EviT_T0_PT8_S3_lS6_S3_lS4_PT9_S3_li,@function
_ZL37rocblas_syrkx_herkx_restricted_kernelIl19rocblas_complex_numIfELi16ELi32ELi8ELb1ELb1ELc78ELc76EKS1_S1_EviT_T0_PT8_S3_lS6_S3_lS4_PT9_S3_li: ; @_ZL37rocblas_syrkx_herkx_restricted_kernelIl19rocblas_complex_numIfELi16ELi32ELi8ELb1ELb1ELc78ELc76EKS1_S1_EviT_T0_PT8_S3_lS6_S3_lS4_PT9_S3_li
; %bb.0:
	s_load_b512 s[16:31], s[0:1], 0x8
	v_dual_mov_b32 v14, 0 :: v_dual_mov_b32 v15, 0
	v_dual_mov_b32 v10, 0 :: v_dual_mov_b32 v13, 0
	;; [unrolled: 1-line block ×3, first 2 shown]
	v_dual_mov_b32 v5, 0 :: v_dual_and_b32 v4, 0x3ff, v0
	v_bfe_u32 v7, v0, 10, 10
	v_mov_b32_e32 v6, 0
	s_lshl_b32 s8, s13, 5
	s_lshl_b32 s9, s14, 5
	s_waitcnt lgkmcnt(0)
	v_cmp_lt_i64_e64 s2, s[16:17], 1
	s_delay_alu instid0(VALU_DEP_1)
	s_and_b32 vcc_lo, exec_lo, s2
	s_cbranch_vccnz .LBB1260_3
; %bb.1:
	v_lshl_add_u32 v1, v7, 4, v4
	v_and_b32_e32 v14, 7, v4
	s_mul_i32 s3, s25, s15
	s_mul_hi_u32 s5, s24, s15
	s_mul_i32 s2, s24, s15
	v_and_b32_e32 v10, 31, v1
	v_lshrrev_b32_e32 v13, 3, v1
	v_lshrrev_b32_e32 v15, 5, v1
	s_add_i32 s3, s5, s3
	s_mul_i32 s6, s31, s15
	v_add_nc_u32_e32 v0, s8, v10
	v_add_nc_u32_e32 v2, s9, v13
	s_lshl_b64 s[2:3], s[2:3], 3
	s_mul_hi_u32 s7, s30, s15
	s_add_u32 s10, s20, s2
	v_ashrrev_i32_e32 v1, 31, v0
	v_ashrrev_i32_e32 v3, 31, v2
	s_mul_i32 s4, s30, s15
	s_addc_u32 s11, s21, s3
	s_add_i32 s5, s7, s6
	v_mad_u64_u32 v[5:6], null, v15, s22, v[0:1]
	v_lshlrev_b32_e32 v11, 3, v4
	v_mad_u64_u32 v[0:1], null, v14, s28, v[2:3]
	s_lshl_b64 s[4:5], s[4:5], 3
	s_lshl_b64 s[2:3], s[22:23], 6
	s_add_u32 s4, s26, s4
	s_delay_alu instid0(VALU_DEP_3) | instskip(SKIP_3) | instid1(VALU_DEP_2)
	v_mov_b32_e32 v2, v6
	s_addc_u32 s5, s27, s5
	v_lshl_add_u32 v12, v7, 6, 0x800
	s_mov_b64 s[6:7], 0
	v_mad_u64_u32 v[8:9], null, v15, s23, v[2:3]
	v_mad_u64_u32 v[2:3], null, v14, s29, v[1:2]
	s_delay_alu instid0(VALU_DEP_1) | instskip(SKIP_2) | instid1(VALU_DEP_3)
	v_dual_mov_b32 v6, v8 :: v_dual_mov_b32 v1, v2
	v_lshlrev_b32_e32 v8, 3, v10
	v_mov_b32_e32 v10, 0
	v_lshlrev_b64 v[2:3], 3, v[5:6]
	s_delay_alu instid0(VALU_DEP_4) | instskip(NEXT) | instid1(VALU_DEP_2)
	v_lshlrev_b64 v[0:1], 3, v[0:1]
	v_add_co_u32 v2, vcc_lo, s10, v2
	s_delay_alu instid0(VALU_DEP_3) | instskip(NEXT) | instid1(VALU_DEP_3)
	v_add_co_ci_u32_e32 v3, vcc_lo, s11, v3, vcc_lo
	v_add_co_u32 v5, vcc_lo, s4, v0
	s_delay_alu instid0(VALU_DEP_4) | instskip(NEXT) | instid1(VALU_DEP_4)
	v_add_co_ci_u32_e32 v6, vcc_lo, s5, v1, vcc_lo
	v_add_co_u32 v0, vcc_lo, v2, 4
	s_delay_alu instid0(VALU_DEP_4) | instskip(NEXT) | instid1(VALU_DEP_4)
	v_add_co_ci_u32_e32 v1, vcc_lo, 0, v3, vcc_lo
	v_add_co_u32 v2, vcc_lo, v5, 4
	v_dual_mov_b32 v5, 0 :: v_dual_lshlrev_b32 v16, 3, v14
	v_add_co_ci_u32_e32 v3, vcc_lo, 0, v6, vcc_lo
	v_mov_b32_e32 v6, 0
	v_mov_b32_e32 v14, 0
	s_delay_alu instid0(VALU_DEP_4) | instskip(SKIP_3) | instid1(VALU_DEP_4)
	v_lshl_or_b32 v9, v13, 6, v16
	v_lshl_or_b32 v16, v15, 8, v8
	v_dual_mov_b32 v15, 0 :: v_dual_mov_b32 v8, 0
	v_mov_b32_e32 v13, 0
	v_add_nc_u32_e32 v17, 0x800, v9
	v_mov_b32_e32 v9, 0
	s_lshl_b64 s[4:5], s[28:29], 6
.LBB1260_2:                             ; =>This Inner Loop Header: Depth=1
	global_load_b64 v[18:19], v[2:3], off offset:-4
	global_load_b64 v[20:21], v[0:1], off offset:-4
	s_add_u32 s6, s6, 8
	v_add_co_u32 v0, vcc_lo, v0, s2
	s_addc_u32 s7, s7, 0
	v_add_co_ci_u32_e32 v1, vcc_lo, s3, v1, vcc_lo
	v_cmp_ge_u64_e64 s10, s[6:7], s[16:17]
	v_add_co_u32 v2, vcc_lo, v2, s4
	v_add_co_ci_u32_e32 v3, vcc_lo, s5, v3, vcc_lo
	s_delay_alu instid0(VALU_DEP_3)
	s_and_b32 vcc_lo, exec_lo, s10
	s_waitcnt vmcnt(1)
	v_xor_b32_e32 v19, 0x80000000, v19
	s_waitcnt vmcnt(0)
	ds_store_b64 v16, v[20:21]
	ds_store_b64 v17, v[18:19]
	s_waitcnt lgkmcnt(0)
	s_barrier
	buffer_gl0_inv
	ds_load_2addr_b64 v[18:21], v11 offset1:16
	ds_load_b128 v[22:25], v12
	ds_load_b128 v[26:29], v12 offset:1024
	ds_load_b128 v[30:33], v12 offset:16
	;; [unrolled: 1-line block ×4, first 2 shown]
	ds_load_2addr_b64 v[42:45], v11 offset0:32 offset1:48
	ds_load_2addr_b64 v[46:49], v11 offset0:64 offset1:80
	ds_load_b128 v[50:53], v12 offset:1040
	ds_load_2addr_b64 v[54:57], v11 offset0:96 offset1:112
	ds_load_2addr_b64 v[58:61], v11 offset0:128 offset1:144
	;; [unrolled: 1-line block ×4, first 2 shown]
	ds_load_b128 v[70:73], v12 offset:1056
	ds_load_b128 v[74:77], v12 offset:1072
	ds_load_2addr_b64 v[78:81], v11 offset0:224 offset1:240
	s_waitcnt lgkmcnt(0)
	s_barrier
	buffer_gl0_inv
	v_dual_mul_f32 v82, v23, v19 :: v_dual_mul_f32 v85, v22, v21
	v_dual_mul_f32 v83, v22, v19 :: v_dual_mul_f32 v84, v23, v21
	v_mul_f32_e32 v86, v27, v19
	v_dual_mul_f32 v19, v26, v19 :: v_dual_mul_f32 v90, v25, v45
	v_dual_mul_f32 v87, v27, v21 :: v_dual_mul_f32 v88, v25, v43
	v_mul_f32_e32 v21, v26, v21
	v_mul_f32_e32 v89, v24, v43
	;; [unrolled: 1-line block ×3, first 2 shown]
	v_fma_f32 v82, v22, v18, -v82
	v_fmac_f32_e32 v83, v23, v18
	v_fma_f32 v22, v22, v20, -v84
	v_dual_fmac_f32 v85, v23, v20 :: v_dual_mul_f32 v84, v30, v47
	v_fma_f32 v23, v26, v18, -v86
	v_fmac_f32_e32 v19, v27, v18
	v_fma_f32 v18, v26, v20, -v87
	v_dual_mul_f32 v26, v28, v43 :: v_dual_fmac_f32 v21, v27, v20
	v_mul_f32_e32 v20, v29, v43
	v_mul_f32_e32 v27, v29, v45
	v_dual_mul_f32 v43, v28, v45 :: v_dual_fmac_f32 v84, v31, v46
	v_fma_f32 v45, v24, v42, -v88
	v_fma_f32 v24, v24, v44, -v90
	v_dual_fmac_f32 v91, v25, v44 :: v_dual_mul_f32 v90, v32, v57
	v_dual_mul_f32 v86, v31, v49 :: v_dual_fmac_f32 v89, v25, v42
	v_dual_mul_f32 v25, v31, v47 :: v_dual_mul_f32 v88, v33, v57
	v_fma_f32 v20, v28, v42, -v20
	v_fmac_f32_e32 v26, v29, v42
	v_fma_f32 v27, v28, v44, -v27
	v_dual_fmac_f32 v43, v29, v44 :: v_dual_mul_f32 v28, v51, v47
	v_dual_mul_f32 v29, v50, v47 :: v_dual_mul_f32 v42, v51, v49
	v_mul_f32_e32 v44, v50, v49
	v_mul_f32_e32 v87, v30, v49
	;; [unrolled: 1-line block ×3, first 2 shown]
	v_dual_mul_f32 v49, v32, v55 :: v_dual_fmac_f32 v90, v33, v56
	v_fma_f32 v25, v30, v46, -v25
	v_fma_f32 v30, v30, v48, -v86
	;; [unrolled: 1-line block ×3, first 2 shown]
	v_fmac_f32_e32 v44, v51, v48
	v_fmac_f32_e32 v87, v31, v48
	v_fma_f32 v31, v50, v48, -v42
	v_mul_f32_e32 v42, v53, v55
	v_mul_f32_e32 v48, v53, v57
	v_dual_mul_f32 v50, v52, v57 :: v_dual_fmac_f32 v29, v51, v46
	v_mul_f32_e32 v46, v52, v55
	v_fma_f32 v47, v32, v54, -v47
	v_fmac_f32_e32 v49, v33, v54
	v_fma_f32 v32, v32, v56, -v88
	s_delay_alu instid0(VALU_DEP_4)
	v_dual_mul_f32 v33, v35, v59 :: v_dual_fmac_f32 v46, v53, v54
	v_mul_f32_e32 v51, v34, v59
	v_mul_f32_e32 v55, v35, v61
	v_fma_f32 v42, v52, v54, -v42
	v_fma_f32 v48, v52, v56, -v48
	v_fmac_f32_e32 v50, v53, v56
	v_mul_f32_e32 v52, v71, v59
	v_dual_mul_f32 v53, v70, v59 :: v_dual_mul_f32 v86, v37, v65
	v_mul_f32_e32 v54, v71, v61
	v_dual_mul_f32 v56, v70, v61 :: v_dual_mul_f32 v59, v37, v63
	v_mul_f32_e32 v57, v34, v61
	v_mul_f32_e32 v61, v36, v63
	v_dual_mul_f32 v88, v36, v65 :: v_dual_fmac_f32 v51, v35, v58
	v_fma_f32 v33, v34, v58, -v33
	v_fmac_f32_e32 v53, v71, v58
	v_fmac_f32_e32 v56, v71, v60
	s_delay_alu instid0(VALU_DEP_4)
	v_fmac_f32_e32 v88, v37, v64
	v_fmac_f32_e32 v57, v35, v60
	v_fma_f32 v35, v70, v58, -v52
	v_fma_f32 v52, v70, v60, -v54
	v_mul_f32_e32 v54, v73, v63
	v_fma_f32 v34, v34, v60, -v55
	v_mul_f32_e32 v60, v72, v65
	v_dual_mul_f32 v55, v72, v63 :: v_dual_mul_f32 v70, v38, v69
	v_mul_f32_e32 v58, v73, v65
	v_fma_f32 v59, v36, v62, -v59
	v_fmac_f32_e32 v61, v37, v62
	v_fma_f32 v36, v36, v64, -v86
	v_dual_mul_f32 v37, v39, v67 :: v_dual_fmac_f32 v60, v73, v64
	v_dual_mul_f32 v63, v38, v67 :: v_dual_mul_f32 v86, v40, v81
	v_mul_f32_e32 v65, v39, v69
	v_fma_f32 v54, v72, v62, -v54
	v_fmac_f32_e32 v55, v73, v62
	v_fma_f32 v58, v72, v64, -v58
	v_mul_f32_e32 v72, v40, v79
	v_mul_f32_e32 v62, v75, v67
	v_dual_mul_f32 v64, v74, v67 :: v_dual_mul_f32 v67, v75, v69
	v_dual_mul_f32 v69, v74, v69 :: v_dual_fmac_f32 v70, v39, v68
	s_delay_alu instid0(VALU_DEP_2)
	v_dual_mul_f32 v71, v41, v79 :: v_dual_fmac_f32 v64, v75, v66
	v_dual_mul_f32 v73, v41, v81 :: v_dual_add_f32 v14, v14, v82
	v_fma_f32 v37, v38, v66, -v37
	v_fmac_f32_e32 v63, v39, v66
	v_fma_f32 v38, v38, v68, -v65
	v_fma_f32 v39, v74, v66, -v62
	v_dual_mul_f32 v65, v77, v79 :: v_dual_add_f32 v10, v10, v22
	v_mul_f32_e32 v66, v76, v79
	v_fma_f32 v62, v74, v68, -v67
	v_dual_mul_f32 v67, v77, v81 :: v_dual_add_f32 v8, v8, v23
	v_dual_fmac_f32 v86, v41, v80 :: v_dual_add_f32 v15, v15, v83
	v_dual_add_f32 v13, v13, v85 :: v_dual_add_f32 v10, v10, v24
	v_dual_add_f32 v9, v9, v19 :: v_dual_add_f32 v6, v6, v21
	;; [unrolled: 1-line block ×3, first 2 shown]
	s_delay_alu instid0(VALU_DEP_4) | instskip(NEXT) | instid1(VALU_DEP_4)
	v_dual_fmac_f32 v66, v77, v78 :: v_dual_add_f32 v15, v15, v89
	v_dual_add_f32 v13, v13, v91 :: v_dual_add_f32 v8, v8, v20
	s_delay_alu instid0(VALU_DEP_4) | instskip(NEXT) | instid1(VALU_DEP_4)
	v_dual_add_f32 v9, v9, v26 :: v_dual_add_f32 v6, v6, v43
	v_dual_add_f32 v5, v5, v27 :: v_dual_add_f32 v14, v14, v25
	v_dual_fmac_f32 v69, v75, v68 :: v_dual_fmac_f32 v72, v41, v78
	v_dual_mul_f32 v68, v76, v81 :: v_dual_add_f32 v15, v15, v84
	v_dual_add_f32 v10, v10, v30 :: v_dual_add_f32 v13, v13, v87
	v_dual_add_f32 v8, v8, v28 :: v_dual_add_f32 v9, v9, v29
	;; [unrolled: 1-line block ×3, first 2 shown]
	s_delay_alu instid0(VALU_DEP_3) | instskip(SKIP_2) | instid1(VALU_DEP_4)
	v_add_f32_e32 v10, v10, v32
	v_dual_fmac_f32 v68, v77, v80 :: v_dual_add_f32 v15, v15, v49
	v_dual_add_f32 v14, v14, v47 :: v_dual_add_f32 v13, v13, v90
	v_dual_add_f32 v8, v8, v42 :: v_dual_add_f32 v5, v5, v48
	s_delay_alu instid0(VALU_DEP_2) | instskip(NEXT) | instid1(VALU_DEP_4)
	v_dual_add_f32 v9, v9, v46 :: v_dual_add_f32 v14, v14, v33
	v_dual_add_f32 v6, v6, v50 :: v_dual_add_f32 v15, v15, v51
	s_delay_alu instid0(VALU_DEP_4) | instskip(NEXT) | instid1(VALU_DEP_3)
	v_dual_add_f32 v10, v10, v34 :: v_dual_add_f32 v13, v13, v57
	v_dual_add_f32 v8, v8, v35 :: v_dual_add_f32 v9, v9, v53
	s_delay_alu instid0(VALU_DEP_4) | instskip(NEXT) | instid1(VALU_DEP_4)
	v_dual_add_f32 v5, v5, v52 :: v_dual_add_f32 v14, v14, v59
	v_dual_add_f32 v6, v6, v56 :: v_dual_add_f32 v15, v15, v61
	s_delay_alu instid0(VALU_DEP_3) | instskip(NEXT) | instid1(VALU_DEP_4)
	v_dual_add_f32 v10, v10, v36 :: v_dual_add_f32 v9, v9, v55
	v_dual_add_f32 v13, v13, v88 :: v_dual_add_f32 v8, v8, v54
	s_delay_alu instid0(VALU_DEP_3)
	v_dual_add_f32 v5, v5, v58 :: v_dual_add_f32 v6, v6, v60
	v_fma_f32 v71, v40, v78, -v71
	v_fma_f32 v40, v40, v80, -v73
	;; [unrolled: 1-line block ×4, first 2 shown]
	v_dual_add_f32 v14, v14, v37 :: v_dual_add_f32 v15, v15, v63
	v_dual_add_f32 v10, v10, v38 :: v_dual_add_f32 v9, v9, v64
	;; [unrolled: 1-line block ×4, first 2 shown]
	s_delay_alu instid0(VALU_DEP_4) | instskip(NEXT) | instid1(VALU_DEP_3)
	v_dual_add_f32 v14, v14, v71 :: v_dual_add_f32 v15, v15, v72
	v_dual_add_f32 v10, v10, v40 :: v_dual_add_f32 v13, v13, v86
	s_delay_alu instid0(VALU_DEP_4) | instskip(NEXT) | instid1(VALU_DEP_4)
	v_dual_add_f32 v8, v8, v41 :: v_dual_add_f32 v9, v9, v66
	v_dual_add_f32 v5, v5, v65 :: v_dual_add_f32 v6, v6, v68
	s_cbranch_vccz .LBB1260_2
.LBB1260_3:
	s_load_b128 s[4:7], s[0:1], 0x50
	v_add_nc_u32_e32 v7, s9, v7
	s_clause 0x1
	s_load_b32 s9, s[0:1], 0x0
	s_load_b64 s[2:3], s[0:1], 0x60
	s_delay_alu instid0(VALU_DEP_1) | instskip(SKIP_1) | instid1(VALU_DEP_1)
	v_ashrrev_i32_e32 v0, 31, v7
	s_waitcnt lgkmcnt(0)
	v_mul_lo_u32 v3, v0, s6
	v_mul_lo_u32 v11, v7, s7
	v_mad_u64_u32 v[1:2], null, v7, s6, 0
	s_mul_i32 s1, s15, s3
	s_mul_hi_u32 s3, s15, s2
	s_mul_i32 s2, s15, s2
	s_add_i32 s3, s3, s1
	v_add_nc_u32_e32 v0, s8, v4
	s_lshl_b64 s[2:3], s[2:3], 3
	s_delay_alu instid0(VALU_DEP_2)
	v_add3_u32 v2, v2, v11, v3
	s_add_u32 s2, s4, s2
	s_addc_u32 s3, s5, s3
	v_cmp_le_i32_e64 s0, v7, v0
	v_cmp_gt_i32_e32 vcc_lo, s9, v0
	v_lshlrev_b64 v[1:2], 3, v[1:2]
	s_delay_alu instid0(VALU_DEP_3) | instskip(NEXT) | instid1(VALU_DEP_1)
	s_and_b32 s0, s0, vcc_lo
	v_add_co_u32 v4, s1, s2, v1
	s_delay_alu instid0(VALU_DEP_1)
	v_add_co_ci_u32_e64 v11, s1, s3, v2, s1
	s_and_saveexec_b32 s1, s0
	s_cbranch_execz .LBB1260_6
; %bb.4:
	v_ashrrev_i32_e32 v1, 31, v0
	v_mul_f32_e32 v16, s18, v15
	v_mul_f32_e32 v3, s19, v15
	s_delay_alu instid0(VALU_DEP_3) | instskip(NEXT) | instid1(VALU_DEP_3)
	v_lshlrev_b64 v[1:2], 3, v[0:1]
	v_fmac_f32_e32 v16, s19, v14
	s_delay_alu instid0(VALU_DEP_3) | instskip(NEXT) | instid1(VALU_DEP_3)
	v_fma_f32 v15, v14, s18, -v3
	v_add_co_u32 v1, s0, v4, v1
	s_delay_alu instid0(VALU_DEP_1)
	v_add_co_ci_u32_e64 v2, s0, v11, v2, s0
	v_cmp_eq_u32_e64 s0, v7, v0
	global_store_b64 v[1:2], v[15:16], off
	s_and_b32 exec_lo, exec_lo, s0
	s_cbranch_execz .LBB1260_6
; %bb.5:
	v_mov_b32_e32 v3, 0
	global_store_b32 v[1:2], v3, off offset:4
.LBB1260_6:
	s_or_b32 exec_lo, exec_lo, s1
	v_add_nc_u32_e32 v2, 16, v0
	s_delay_alu instid0(VALU_DEP_1) | instskip(SKIP_1) | instid1(VALU_DEP_1)
	v_cmp_le_i32_e64 s1, v7, v2
	v_cmp_gt_i32_e64 s0, s9, v2
	s_and_b32 s1, s1, s0
	s_delay_alu instid0(SALU_CYCLE_1)
	s_and_saveexec_b32 s4, s1
	s_cbranch_execz .LBB1260_9
; %bb.7:
	v_ashrrev_i32_e32 v3, 31, v2
	v_mul_f32_e32 v1, s19, v13
	v_mul_f32_e32 v13, s18, v13
	s_delay_alu instid0(VALU_DEP_3) | instskip(NEXT) | instid1(VALU_DEP_3)
	v_lshlrev_b64 v[14:15], 3, v[2:3]
	v_fma_f32 v12, v10, s18, -v1
	s_delay_alu instid0(VALU_DEP_3) | instskip(NEXT) | instid1(VALU_DEP_3)
	v_fmac_f32_e32 v13, s19, v10
	v_add_co_u32 v3, s1, v4, v14
	s_delay_alu instid0(VALU_DEP_1)
	v_add_co_ci_u32_e64 v4, s1, v11, v15, s1
	v_cmp_eq_u32_e64 s1, v7, v2
	global_store_b64 v[3:4], v[12:13], off
	s_and_b32 exec_lo, exec_lo, s1
	s_cbranch_execz .LBB1260_9
; %bb.8:
	v_mov_b32_e32 v1, 0
	global_store_b32 v[3:4], v1, off offset:4
.LBB1260_9:
	s_or_b32 exec_lo, exec_lo, s4
	v_add_nc_u32_e32 v12, 16, v7
	s_delay_alu instid0(VALU_DEP_1) | instskip(SKIP_3) | instid1(VALU_DEP_4)
	v_ashrrev_i32_e32 v1, 31, v12
	v_mul_lo_u32 v10, v12, s7
	v_mad_u64_u32 v[3:4], null, v12, s6, 0
	v_cmp_le_i32_e64 s1, v12, v0
	v_mul_lo_u32 v1, v1, s6
	s_delay_alu instid0(VALU_DEP_1) | instskip(NEXT) | instid1(VALU_DEP_1)
	v_add3_u32 v4, v4, v10, v1
	v_lshlrev_b64 v[3:4], 3, v[3:4]
	s_delay_alu instid0(VALU_DEP_1) | instskip(NEXT) | instid1(VALU_DEP_1)
	v_add_co_u32 v10, s2, s2, v3
	v_add_co_ci_u32_e64 v11, s2, s3, v4, s2
	s_and_b32 s2, s1, vcc_lo
	s_delay_alu instid0(SALU_CYCLE_1)
	s_and_saveexec_b32 s1, s2
	s_cbranch_execz .LBB1260_12
; %bb.10:
	v_ashrrev_i32_e32 v1, 31, v0
	v_mul_f32_e32 v14, s18, v9
	v_mul_f32_e32 v13, s19, v9
	s_delay_alu instid0(VALU_DEP_3) | instskip(NEXT) | instid1(VALU_DEP_3)
	v_lshlrev_b64 v[3:4], 3, v[0:1]
	v_fmac_f32_e32 v14, s19, v8
	s_delay_alu instid0(VALU_DEP_3) | instskip(NEXT) | instid1(VALU_DEP_3)
	v_fma_f32 v13, v8, s18, -v13
	v_add_co_u32 v3, vcc_lo, v10, v3
	s_delay_alu instid0(VALU_DEP_4)
	v_add_co_ci_u32_e32 v4, vcc_lo, v11, v4, vcc_lo
	v_cmp_eq_u32_e32 vcc_lo, v12, v0
	global_store_b64 v[3:4], v[13:14], off
	s_and_b32 exec_lo, exec_lo, vcc_lo
	s_cbranch_execz .LBB1260_12
; %bb.11:
	v_mov_b32_e32 v1, 0
	global_store_b32 v[3:4], v1, off offset:4
.LBB1260_12:
	s_or_b32 exec_lo, exec_lo, s1
	v_cmp_le_i32_e32 vcc_lo, v12, v2
	s_and_b32 s0, vcc_lo, s0
	s_delay_alu instid0(SALU_CYCLE_1)
	s_and_saveexec_b32 s1, s0
	s_cbranch_execz .LBB1260_15
; %bb.13:
	v_ashrrev_i32_e32 v3, 31, v2
	v_mul_f32_e32 v8, s19, v6
	v_mul_f32_e32 v4, s18, v6
	s_delay_alu instid0(VALU_DEP_3) | instskip(NEXT) | instid1(VALU_DEP_3)
	v_lshlrev_b64 v[1:2], 3, v[2:3]
	v_fma_f32 v3, v5, s18, -v8
	s_delay_alu instid0(VALU_DEP_3) | instskip(NEXT) | instid1(VALU_DEP_3)
	v_fmac_f32_e32 v4, s19, v5
	v_add_co_u32 v1, vcc_lo, v10, v1
	s_delay_alu instid0(VALU_DEP_4)
	v_add_co_ci_u32_e32 v2, vcc_lo, v11, v2, vcc_lo
	v_cmp_eq_u32_e32 vcc_lo, v7, v0
	global_store_b64 v[1:2], v[3:4], off
	s_and_b32 exec_lo, exec_lo, vcc_lo
	s_cbranch_execz .LBB1260_15
; %bb.14:
	v_mov_b32_e32 v0, 0
	global_store_b32 v[1:2], v0, off offset:4
.LBB1260_15:
	s_nop 0
	s_sendmsg sendmsg(MSG_DEALLOC_VGPRS)
	s_endpgm
	.section	.rodata,"a",@progbits
	.p2align	6, 0x0
	.amdhsa_kernel _ZL37rocblas_syrkx_herkx_restricted_kernelIl19rocblas_complex_numIfELi16ELi32ELi8ELb1ELb1ELc78ELc76EKS1_S1_EviT_T0_PT8_S3_lS6_S3_lS4_PT9_S3_li
		.amdhsa_group_segment_fixed_size 4096
		.amdhsa_private_segment_fixed_size 0
		.amdhsa_kernarg_size 108
		.amdhsa_user_sgpr_count 13
		.amdhsa_user_sgpr_dispatch_ptr 0
		.amdhsa_user_sgpr_queue_ptr 0
		.amdhsa_user_sgpr_kernarg_segment_ptr 1
		.amdhsa_user_sgpr_dispatch_id 0
		.amdhsa_user_sgpr_private_segment_size 0
		.amdhsa_wavefront_size32 1
		.amdhsa_uses_dynamic_stack 0
		.amdhsa_enable_private_segment 0
		.amdhsa_system_sgpr_workgroup_id_x 1
		.amdhsa_system_sgpr_workgroup_id_y 1
		.amdhsa_system_sgpr_workgroup_id_z 1
		.amdhsa_system_sgpr_workgroup_info 0
		.amdhsa_system_vgpr_workitem_id 1
		.amdhsa_next_free_vgpr 92
		.amdhsa_next_free_sgpr 32
		.amdhsa_reserve_vcc 1
		.amdhsa_float_round_mode_32 0
		.amdhsa_float_round_mode_16_64 0
		.amdhsa_float_denorm_mode_32 3
		.amdhsa_float_denorm_mode_16_64 3
		.amdhsa_dx10_clamp 1
		.amdhsa_ieee_mode 1
		.amdhsa_fp16_overflow 0
		.amdhsa_workgroup_processor_mode 1
		.amdhsa_memory_ordered 1
		.amdhsa_forward_progress 0
		.amdhsa_shared_vgpr_count 0
		.amdhsa_exception_fp_ieee_invalid_op 0
		.amdhsa_exception_fp_denorm_src 0
		.amdhsa_exception_fp_ieee_div_zero 0
		.amdhsa_exception_fp_ieee_overflow 0
		.amdhsa_exception_fp_ieee_underflow 0
		.amdhsa_exception_fp_ieee_inexact 0
		.amdhsa_exception_int_div_zero 0
	.end_amdhsa_kernel
	.section	.text._ZL37rocblas_syrkx_herkx_restricted_kernelIl19rocblas_complex_numIfELi16ELi32ELi8ELb1ELb1ELc78ELc76EKS1_S1_EviT_T0_PT8_S3_lS6_S3_lS4_PT9_S3_li,"axG",@progbits,_ZL37rocblas_syrkx_herkx_restricted_kernelIl19rocblas_complex_numIfELi16ELi32ELi8ELb1ELb1ELc78ELc76EKS1_S1_EviT_T0_PT8_S3_lS6_S3_lS4_PT9_S3_li,comdat
.Lfunc_end1260:
	.size	_ZL37rocblas_syrkx_herkx_restricted_kernelIl19rocblas_complex_numIfELi16ELi32ELi8ELb1ELb1ELc78ELc76EKS1_S1_EviT_T0_PT8_S3_lS6_S3_lS4_PT9_S3_li, .Lfunc_end1260-_ZL37rocblas_syrkx_herkx_restricted_kernelIl19rocblas_complex_numIfELi16ELi32ELi8ELb1ELb1ELc78ELc76EKS1_S1_EviT_T0_PT8_S3_lS6_S3_lS4_PT9_S3_li
                                        ; -- End function
	.section	.AMDGPU.csdata,"",@progbits
; Kernel info:
; codeLenInByte = 2340
; NumSgprs: 34
; NumVgprs: 92
; ScratchSize: 0
; MemoryBound: 0
; FloatMode: 240
; IeeeMode: 1
; LDSByteSize: 4096 bytes/workgroup (compile time only)
; SGPRBlocks: 4
; VGPRBlocks: 11
; NumSGPRsForWavesPerEU: 34
; NumVGPRsForWavesPerEU: 92
; Occupancy: 16
; WaveLimiterHint : 1
; COMPUTE_PGM_RSRC2:SCRATCH_EN: 0
; COMPUTE_PGM_RSRC2:USER_SGPR: 13
; COMPUTE_PGM_RSRC2:TRAP_HANDLER: 0
; COMPUTE_PGM_RSRC2:TGID_X_EN: 1
; COMPUTE_PGM_RSRC2:TGID_Y_EN: 1
; COMPUTE_PGM_RSRC2:TGID_Z_EN: 1
; COMPUTE_PGM_RSRC2:TIDIG_COMP_CNT: 1
	.section	.text._ZL37rocblas_syrkx_herkx_restricted_kernelIl19rocblas_complex_numIfELi16ELi32ELi8ELb1ELb1ELc84ELc85EKS1_S1_EviT_T0_PT8_S3_lS6_S3_lS4_PT9_S3_li,"axG",@progbits,_ZL37rocblas_syrkx_herkx_restricted_kernelIl19rocblas_complex_numIfELi16ELi32ELi8ELb1ELb1ELc84ELc85EKS1_S1_EviT_T0_PT8_S3_lS6_S3_lS4_PT9_S3_li,comdat
	.globl	_ZL37rocblas_syrkx_herkx_restricted_kernelIl19rocblas_complex_numIfELi16ELi32ELi8ELb1ELb1ELc84ELc85EKS1_S1_EviT_T0_PT8_S3_lS6_S3_lS4_PT9_S3_li ; -- Begin function _ZL37rocblas_syrkx_herkx_restricted_kernelIl19rocblas_complex_numIfELi16ELi32ELi8ELb1ELb1ELc84ELc85EKS1_S1_EviT_T0_PT8_S3_lS6_S3_lS4_PT9_S3_li
	.p2align	8
	.type	_ZL37rocblas_syrkx_herkx_restricted_kernelIl19rocblas_complex_numIfELi16ELi32ELi8ELb1ELb1ELc84ELc85EKS1_S1_EviT_T0_PT8_S3_lS6_S3_lS4_PT9_S3_li,@function
_ZL37rocblas_syrkx_herkx_restricted_kernelIl19rocblas_complex_numIfELi16ELi32ELi8ELb1ELb1ELc84ELc85EKS1_S1_EviT_T0_PT8_S3_lS6_S3_lS4_PT9_S3_li: ; @_ZL37rocblas_syrkx_herkx_restricted_kernelIl19rocblas_complex_numIfELi16ELi32ELi8ELb1ELb1ELc84ELc85EKS1_S1_EviT_T0_PT8_S3_lS6_S3_lS4_PT9_S3_li
; %bb.0:
	s_load_b512 s[16:31], s[0:1], 0x8
	v_dual_mov_b32 v15, 0 :: v_dual_mov_b32 v16, 0
	v_dual_mov_b32 v11, 0 :: v_dual_mov_b32 v10, 0
	v_dual_mov_b32 v13, 0 :: v_dual_and_b32 v6, 0x3ff, v0
	v_mov_b32_e32 v9, 0
	v_mov_b32_e32 v7, 0
	v_bfe_u32 v8, v0, 10, 10
	v_mov_b32_e32 v1, 0
	s_lshl_b32 s8, s13, 5
	s_lshl_b32 s9, s14, 5
	s_waitcnt lgkmcnt(0)
	v_cmp_lt_i64_e64 s2, s[16:17], 1
	s_delay_alu instid0(VALU_DEP_1)
	s_and_b32 vcc_lo, exec_lo, s2
	s_cbranch_vccnz .LBB1261_3
; %bb.1:
	v_lshl_add_u32 v2, v8, 4, v6
	v_dual_mov_b32 v1, 0 :: v_dual_and_b32 v0, 7, v6
	v_lshlrev_b32_e32 v12, 3, v6
	s_mul_i32 s3, s25, s15
	s_delay_alu instid0(VALU_DEP_3)
	v_and_b32_e32 v7, 31, v2
	v_lshrrev_b32_e32 v11, 3, v2
	v_lshrrev_b32_e32 v2, 5, v2
	v_mov_b32_e32 v3, v1
	s_mul_hi_u32 s4, s24, s15
	v_add_nc_u32_e32 v9, s8, v7
	v_add_nc_u32_e32 v13, s9, v11
	v_lshlrev_b32_e32 v14, 3, v0
	s_mul_i32 s2, s24, s15
	s_add_i32 s3, s4, s3
	v_ashrrev_i32_e32 v10, 31, v9
	v_ashrrev_i32_e32 v15, 31, v13
	v_mad_u64_u32 v[4:5], null, s22, v9, v[2:3]
	v_mul_lo_u32 v3, s23, v9
	s_delay_alu instid0(VALU_DEP_4)
	v_mul_lo_u32 v16, s22, v10
	v_mul_lo_u32 v17, v13, s29
	v_mad_u64_u32 v[9:10], null, v13, s28, v[0:1]
	v_mul_lo_u32 v13, v15, s28
	v_lshlrev_b32_e32 v0, 3, v7
	s_lshl_b64 s[2:3], s[2:3], 3
	s_mul_hi_u32 s5, s30, s15
	v_add3_u32 v5, v3, v5, v16
	s_add_u32 s4, s20, s2
	v_lshl_or_b32 v0, v2, 8, v0
	s_mul_i32 s2, s31, s15
	v_add3_u32 v10, v13, v10, v17
	v_lshlrev_b64 v[2:3], 3, v[4:5]
	s_addc_u32 s6, s21, s3
	s_add_i32 s3, s5, s2
	s_mul_i32 s2, s30, s15
	v_lshlrev_b64 v[4:5], 3, v[9:10]
	v_mov_b32_e32 v9, v1
	s_lshl_b64 s[2:3], s[2:3], 3
	v_add_co_u32 v2, vcc_lo, s4, v2
	s_add_u32 s2, s26, s2
	v_add_co_ci_u32_e32 v3, vcc_lo, s6, v3, vcc_lo
	s_addc_u32 s3, s27, s3
	v_add_co_u32 v4, vcc_lo, s2, v4
	v_add_co_ci_u32_e32 v5, vcc_lo, s3, v5, vcc_lo
	v_lshl_or_b32 v7, v11, 6, v14
	v_add_co_u32 v2, vcc_lo, v2, 4
	v_add_co_ci_u32_e32 v3, vcc_lo, 0, v3, vcc_lo
	v_add_co_u32 v4, vcc_lo, v4, 4
	s_delay_alu instid0(VALU_DEP_4)
	v_dual_mov_b32 v13, v1 :: v_dual_add_nc_u32 v14, 0x800, v7
	v_lshl_add_u32 v17, v8, 6, 0x800
	v_add_co_ci_u32_e32 v5, vcc_lo, 0, v5, vcc_lo
	v_mov_b32_e32 v7, v1
	v_mov_b32_e32 v10, v1
	;; [unrolled: 1-line block ×5, first 2 shown]
	s_mov_b64 s[2:3], 0
.LBB1261_2:                             ; =>This Inner Loop Header: Depth=1
	global_load_b64 v[18:19], v[2:3], off offset:-4
	global_load_b64 v[20:21], v[4:5], off offset:-4
	s_add_u32 s2, s2, 8
	v_add_co_u32 v2, vcc_lo, v2, 64
	s_addc_u32 s3, s3, 0
	v_add_co_ci_u32_e32 v3, vcc_lo, 0, v3, vcc_lo
	v_cmp_ge_u64_e64 s4, s[2:3], s[16:17]
	v_add_co_u32 v4, vcc_lo, v4, 64
	v_add_co_ci_u32_e32 v5, vcc_lo, 0, v5, vcc_lo
	s_waitcnt vmcnt(1)
	ds_store_b64 v0, v[18:19]
	s_waitcnt vmcnt(0)
	ds_store_b64 v14, v[20:21]
	s_waitcnt lgkmcnt(0)
	s_barrier
	buffer_gl0_inv
	ds_load_2addr_b64 v[18:21], v12 offset1:16
	ds_load_b128 v[22:25], v17
	ds_load_b128 v[26:29], v17 offset:1024
	ds_load_b128 v[30:33], v17 offset:16
	;; [unrolled: 1-line block ×4, first 2 shown]
	ds_load_2addr_b64 v[42:45], v12 offset0:32 offset1:48
	ds_load_2addr_b64 v[46:49], v12 offset0:64 offset1:80
	ds_load_b128 v[50:53], v17 offset:1040
	ds_load_2addr_b64 v[54:57], v12 offset0:96 offset1:112
	ds_load_2addr_b64 v[58:61], v12 offset0:128 offset1:144
	;; [unrolled: 1-line block ×4, first 2 shown]
	ds_load_b128 v[70:73], v17 offset:1056
	ds_load_b128 v[74:77], v17 offset:1072
	ds_load_2addr_b64 v[78:81], v12 offset0:224 offset1:240
	s_and_b32 vcc_lo, exec_lo, s4
	s_waitcnt lgkmcnt(0)
	s_barrier
	buffer_gl0_inv
	v_dual_mul_f32 v82, v23, v19 :: v_dual_mul_f32 v85, v22, v21
	v_dual_mul_f32 v83, v22, v19 :: v_dual_mul_f32 v84, v23, v21
	v_mul_f32_e32 v86, v27, v19
	v_dual_mul_f32 v19, v26, v19 :: v_dual_mul_f32 v90, v25, v45
	v_dual_mul_f32 v87, v27, v21 :: v_dual_mul_f32 v88, v25, v43
	v_mul_f32_e32 v21, v26, v21
	v_fma_f32 v82, v22, v18, -v82
	v_fmac_f32_e32 v83, v23, v18
	v_fma_f32 v22, v22, v20, -v84
	v_fmac_f32_e32 v85, v23, v20
	v_fma_f32 v23, v26, v18, -v86
	v_dual_fmac_f32 v19, v27, v18 :: v_dual_mul_f32 v86, v30, v47
	v_fma_f32 v18, v26, v20, -v87
	v_dual_fmac_f32 v21, v27, v20 :: v_dual_mul_f32 v20, v24, v45
	v_mul_f32_e32 v89, v24, v43
	v_mul_f32_e32 v26, v29, v43
	;; [unrolled: 1-line block ×4, first 2 shown]
	v_fmac_f32_e32 v20, v25, v44
	v_fmac_f32_e32 v89, v25, v42
	v_dual_mul_f32 v25, v28, v45 :: v_dual_fmac_f32 v86, v31, v46
	v_fma_f32 v84, v24, v42, -v88
	v_fma_f32 v24, v24, v44, -v90
	v_dual_mul_f32 v45, v31, v47 :: v_dual_mul_f32 v90, v33, v57
	v_fma_f32 v26, v28, v42, -v26
	v_fma_f32 v28, v28, v44, -v43
	v_fmac_f32_e32 v25, v29, v44
	v_dual_mul_f32 v43, v50, v47 :: v_dual_mul_f32 v44, v51, v49
	v_dual_fmac_f32 v27, v29, v42 :: v_dual_mul_f32 v42, v51, v47
	v_dual_mul_f32 v88, v32, v55 :: v_dual_mul_f32 v29, v30, v49
	v_mul_f32_e32 v87, v31, v49
	v_fma_f32 v45, v30, v46, -v45
	v_add_f32_e32 v16, v16, v83
	s_delay_alu instid0(VALU_DEP_4)
	v_dual_fmac_f32 v88, v33, v54 :: v_dual_fmac_f32 v29, v31, v48
	v_fma_f32 v31, v50, v46, -v42
	v_fma_f32 v42, v50, v48, -v44
	v_mul_f32_e32 v44, v32, v57
	v_mul_f32_e32 v47, v50, v49
	v_dual_mul_f32 v50, v53, v57 :: v_dual_fmac_f32 v43, v51, v46
	v_mul_f32_e32 v46, v53, v55
	v_mul_f32_e32 v49, v33, v55
	v_fma_f32 v30, v30, v48, -v87
	v_fmac_f32_e32 v44, v33, v56
	v_dual_fmac_f32 v47, v51, v48 :: v_dual_mul_f32 v48, v52, v55
	v_mul_f32_e32 v33, v52, v57
	v_fma_f32 v46, v52, v54, -v46
	v_fma_f32 v50, v52, v56, -v50
	v_mul_f32_e32 v52, v34, v61
	v_fma_f32 v49, v32, v54, -v49
	v_fma_f32 v32, v32, v56, -v90
	v_dual_mul_f32 v51, v35, v59 :: v_dual_fmac_f32 v48, v53, v54
	v_mul_f32_e32 v54, v70, v59
	v_dual_mul_f32 v55, v34, v59 :: v_dual_fmac_f32 v52, v35, v60
	v_fmac_f32_e32 v33, v53, v56
	v_mul_f32_e32 v53, v71, v59
	v_mul_f32_e32 v56, v71, v61
	;; [unrolled: 1-line block ×3, first 2 shown]
	v_fmac_f32_e32 v54, v71, v58
	v_fmac_f32_e32 v55, v35, v58
	v_fma_f32 v35, v70, v58, -v53
	v_fma_f32 v53, v70, v60, -v56
	v_mul_f32_e32 v56, v36, v65
	v_mul_f32_e32 v59, v70, v61
	v_fma_f32 v51, v34, v58, -v51
	v_mul_f32_e32 v58, v72, v63
	v_mul_f32_e32 v87, v36, v63
	v_mul_f32_e32 v61, v37, v63
	v_mul_f32_e32 v90, v37, v65
	v_fma_f32 v34, v34, v60, -v57
	v_mul_f32_e32 v57, v73, v63
	v_fmac_f32_e32 v56, v37, v64
	v_dual_fmac_f32 v59, v71, v60 :: v_dual_mul_f32 v60, v73, v65
	v_mul_f32_e32 v63, v39, v67
	v_mul_f32_e32 v70, v39, v69
	v_fmac_f32_e32 v58, v73, v62
	v_fmac_f32_e32 v87, v37, v62
	v_mul_f32_e32 v37, v72, v65
	v_fma_f32 v61, v36, v62, -v61
	v_fma_f32 v36, v36, v64, -v90
	v_mul_f32_e32 v65, v38, v67
	v_fma_f32 v57, v72, v62, -v57
	v_fma_f32 v60, v72, v64, -v60
	v_dual_fmac_f32 v37, v73, v64 :: v_dual_mul_f32 v62, v38, v69
	v_mul_f32_e32 v64, v75, v67
	v_mul_f32_e32 v71, v75, v69
	v_fma_f32 v63, v38, v66, -v63
	v_fma_f32 v38, v38, v68, -v70
	v_mul_f32_e32 v70, v76, v79
	v_mul_f32_e32 v67, v74, v67
	v_dual_fmac_f32 v65, v39, v66 :: v_dual_add_f32 v10, v10, v19
	v_add_f32_e32 v16, v16, v89
	s_delay_alu instid0(VALU_DEP_4) | instskip(NEXT) | instid1(VALU_DEP_3)
	v_dual_mul_f32 v69, v74, v69 :: v_dual_fmac_f32 v70, v77, v78
	v_dual_fmac_f32 v67, v75, v66 :: v_dual_add_f32 v10, v10, v27
	s_delay_alu instid0(VALU_DEP_2)
	v_dual_add_f32 v16, v16, v86 :: v_dual_fmac_f32 v69, v75, v68
	v_fmac_f32_e32 v62, v39, v68
	v_fma_f32 v39, v74, v66, -v64
	v_fma_f32 v64, v74, v68, -v71
	v_mul_f32_e32 v66, v40, v81
	v_dual_mul_f32 v71, v77, v81 :: v_dual_add_f32 v10, v10, v43
	v_mul_f32_e32 v73, v40, v79
	v_mul_f32_e32 v72, v41, v79
	;; [unrolled: 1-line block ×3, first 2 shown]
	v_fmac_f32_e32 v66, v41, v80
	s_delay_alu instid0(VALU_DEP_4) | instskip(SKIP_2) | instid1(VALU_DEP_3)
	v_dual_add_f32 v10, v10, v48 :: v_dual_fmac_f32 v73, v41, v78
	v_add_f32_e32 v16, v16, v88
	v_dual_mul_f32 v41, v76, v81 :: v_dual_mul_f32 v68, v77, v79
	v_dual_add_f32 v10, v10, v54 :: v_dual_add_f32 v13, v13, v85
	s_delay_alu instid0(VALU_DEP_2) | instskip(SKIP_1) | instid1(VALU_DEP_3)
	v_dual_add_f32 v16, v16, v55 :: v_dual_fmac_f32 v41, v77, v80
	v_add_f32_e32 v15, v15, v82
	v_add_f32_e32 v10, v10, v58
	s_delay_alu instid0(VALU_DEP_3) | instskip(SKIP_1) | instid1(VALU_DEP_3)
	v_dual_add_f32 v7, v7, v18 :: v_dual_add_f32 v16, v16, v87
	v_add_f32_e32 v11, v11, v22
	v_dual_add_f32 v15, v15, v84 :: v_dual_add_f32 v10, v10, v67
	v_add_f32_e32 v1, v1, v21
	s_delay_alu instid0(VALU_DEP_4) | instskip(NEXT) | instid1(VALU_DEP_4)
	v_dual_add_f32 v16, v16, v65 :: v_dual_add_f32 v9, v9, v23
	v_add_f32_e32 v11, v11, v24
	v_add_f32_e32 v13, v13, v20
	s_delay_alu instid0(VALU_DEP_3) | instskip(NEXT) | instid1(VALU_DEP_4)
	v_dual_add_f32 v7, v7, v28 :: v_dual_add_f32 v16, v16, v73
	v_add_f32_e32 v9, v9, v26
	v_dual_add_f32 v10, v10, v70 :: v_dual_add_f32 v1, v1, v25
	v_add_f32_e32 v15, v15, v45
	v_add_f32_e32 v11, v11, v30
	;; [unrolled: 1-line block ×24, first 2 shown]
	v_fma_f32 v72, v40, v78, -v72
	v_fma_f32 v40, v40, v80, -v90
	;; [unrolled: 1-line block ×4, first 2 shown]
	v_add_f32_e32 v15, v15, v63
	v_add_f32_e32 v11, v11, v38
	;; [unrolled: 1-line block ×12, first 2 shown]
	s_cbranch_vccz .LBB1261_2
.LBB1261_3:
	s_clause 0x1
	s_load_b128 s[4:7], s[0:1], 0x50
	s_load_b32 s2, s[0:1], 0x0
	v_add_nc_u32_e32 v8, s9, v8
	s_load_b64 s[10:11], s[0:1], 0x60
	v_add_nc_u32_e32 v2, s8, v6
	s_delay_alu instid0(VALU_DEP_2) | instskip(NEXT) | instid1(VALU_DEP_2)
	v_ashrrev_i32_e32 v0, 31, v8
	v_cmp_le_i32_e64 s0, v2, v8
	s_waitcnt lgkmcnt(0)
	s_delay_alu instid0(VALU_DEP_2)
	v_mul_lo_u32 v0, v0, s6
	v_mul_lo_u32 v5, v8, s7
	v_mad_u64_u32 v[3:4], null, v8, s6, 0
	s_mul_i32 s1, s15, s11
	s_mul_hi_u32 s3, s15, s10
	s_mul_i32 s8, s15, s10
	s_add_i32 s9, s3, s1
	v_cmp_gt_i32_e32 vcc_lo, s2, v8
	s_lshl_b64 s[8:9], s[8:9], 3
	s_delay_alu instid0(VALU_DEP_2) | instskip(SKIP_3) | instid1(VALU_DEP_1)
	v_add3_u32 v4, v4, v5, v0
	s_add_u32 s3, s4, s8
	s_addc_u32 s4, s5, s9
	s_and_b32 s0, vcc_lo, s0
	v_lshlrev_b64 v[3:4], 3, v[3:4]
	s_delay_alu instid0(VALU_DEP_1) | instskip(NEXT) | instid1(VALU_DEP_1)
	v_add_co_u32 v0, s1, s3, v3
	v_add_co_ci_u32_e64 v6, s1, s4, v4, s1
	s_and_saveexec_b32 s1, s0
	s_cbranch_execz .LBB1261_6
; %bb.4:
	v_ashrrev_i32_e32 v3, 31, v2
	v_mul_f32_e32 v5, s19, v16
	v_mul_f32_e32 v17, s18, v16
	s_delay_alu instid0(VALU_DEP_3) | instskip(NEXT) | instid1(VALU_DEP_3)
	v_lshlrev_b64 v[3:4], 3, v[2:3]
	v_fma_f32 v16, v15, s18, -v5
	s_delay_alu instid0(VALU_DEP_3) | instskip(NEXT) | instid1(VALU_DEP_3)
	v_fmac_f32_e32 v17, s19, v15
	v_add_co_u32 v3, s0, v0, v3
	s_delay_alu instid0(VALU_DEP_1)
	v_add_co_ci_u32_e64 v4, s0, v6, v4, s0
	v_cmp_eq_u32_e64 s0, v8, v2
	global_store_b64 v[3:4], v[16:17], off
	s_and_b32 exec_lo, exec_lo, s0
	s_cbranch_execz .LBB1261_6
; %bb.5:
	v_mov_b32_e32 v5, 0
	global_store_b32 v[3:4], v5, off offset:4
.LBB1261_6:
	s_or_b32 exec_lo, exec_lo, s1
	v_add_nc_u32_e32 v4, 16, v2
	s_delay_alu instid0(VALU_DEP_1) | instskip(NEXT) | instid1(VALU_DEP_1)
	v_cmp_le_i32_e64 s0, v4, v8
	s_and_b32 s1, vcc_lo, s0
	s_delay_alu instid0(SALU_CYCLE_1)
	s_and_saveexec_b32 s0, s1
	s_cbranch_execz .LBB1261_9
; %bb.7:
	v_ashrrev_i32_e32 v5, 31, v4
	v_mul_f32_e32 v3, s19, v13
	v_mul_f32_e32 v13, s18, v13
	s_delay_alu instid0(VALU_DEP_3) | instskip(NEXT) | instid1(VALU_DEP_3)
	v_lshlrev_b64 v[14:15], 3, v[4:5]
	v_fma_f32 v12, v11, s18, -v3
	s_delay_alu instid0(VALU_DEP_3) | instskip(NEXT) | instid1(VALU_DEP_3)
	v_fmac_f32_e32 v13, s19, v11
	v_add_co_u32 v5, vcc_lo, v0, v14
	s_delay_alu instid0(VALU_DEP_4)
	v_add_co_ci_u32_e32 v6, vcc_lo, v6, v15, vcc_lo
	v_cmp_eq_u32_e32 vcc_lo, v8, v4
	global_store_b64 v[5:6], v[12:13], off
	s_and_b32 exec_lo, exec_lo, vcc_lo
	s_cbranch_execz .LBB1261_9
; %bb.8:
	v_mov_b32_e32 v0, 0
	global_store_b32 v[5:6], v0, off offset:4
.LBB1261_9:
	s_or_b32 exec_lo, exec_lo, s0
	v_add_nc_u32_e32 v12, 16, v8
	s_delay_alu instid0(VALU_DEP_1) | instskip(SKIP_3) | instid1(VALU_DEP_4)
	v_ashrrev_i32_e32 v0, 31, v12
	v_mul_lo_u32 v3, v12, s7
	v_mad_u64_u32 v[5:6], null, v12, s6, 0
	v_cmp_gt_i32_e32 vcc_lo, s2, v12
	v_mul_lo_u32 v0, v0, s6
	v_cmp_le_i32_e64 s0, v2, v12
	s_delay_alu instid0(VALU_DEP_1) | instskip(NEXT) | instid1(VALU_DEP_2)
	s_and_b32 s0, vcc_lo, s0
	v_add3_u32 v6, v6, v3, v0
	s_delay_alu instid0(VALU_DEP_1) | instskip(NEXT) | instid1(VALU_DEP_1)
	v_lshlrev_b64 v[5:6], 3, v[5:6]
	v_add_co_u32 v0, s1, s3, v5
	s_delay_alu instid0(VALU_DEP_1)
	v_add_co_ci_u32_e64 v11, s1, s4, v6, s1
	s_and_saveexec_b32 s1, s0
	s_cbranch_execz .LBB1261_12
; %bb.10:
	v_ashrrev_i32_e32 v3, 31, v2
	v_mul_f32_e32 v14, s18, v10
	v_mul_f32_e32 v13, s19, v10
	s_delay_alu instid0(VALU_DEP_3) | instskip(NEXT) | instid1(VALU_DEP_3)
	v_lshlrev_b64 v[5:6], 3, v[2:3]
	v_fmac_f32_e32 v14, s19, v9
	s_delay_alu instid0(VALU_DEP_3) | instskip(NEXT) | instid1(VALU_DEP_3)
	v_fma_f32 v13, v9, s18, -v13
	v_add_co_u32 v5, s0, v0, v5
	s_delay_alu instid0(VALU_DEP_1)
	v_add_co_ci_u32_e64 v6, s0, v11, v6, s0
	v_cmp_eq_u32_e64 s0, v12, v2
	global_store_b64 v[5:6], v[13:14], off
	s_and_b32 exec_lo, exec_lo, s0
	s_cbranch_execz .LBB1261_12
; %bb.11:
	v_mov_b32_e32 v3, 0
	global_store_b32 v[5:6], v3, off offset:4
.LBB1261_12:
	s_or_b32 exec_lo, exec_lo, s1
	v_cmp_le_i32_e64 s0, v4, v12
	s_delay_alu instid0(VALU_DEP_1) | instskip(NEXT) | instid1(SALU_CYCLE_1)
	s_and_b32 s0, vcc_lo, s0
	s_and_saveexec_b32 s1, s0
	s_cbranch_execz .LBB1261_15
; %bb.13:
	v_ashrrev_i32_e32 v5, 31, v4
	v_mul_f32_e32 v6, s18, v1
	v_mul_f32_e32 v9, s19, v1
	s_delay_alu instid0(VALU_DEP_3) | instskip(NEXT) | instid1(VALU_DEP_3)
	v_lshlrev_b64 v[3:4], 3, v[4:5]
	v_fmac_f32_e32 v6, s19, v7
	s_delay_alu instid0(VALU_DEP_3) | instskip(NEXT) | instid1(VALU_DEP_3)
	v_fma_f32 v5, v7, s18, -v9
	v_add_co_u32 v0, vcc_lo, v0, v3
	s_delay_alu instid0(VALU_DEP_4)
	v_add_co_ci_u32_e32 v1, vcc_lo, v11, v4, vcc_lo
	v_cmp_eq_u32_e32 vcc_lo, v8, v2
	global_store_b64 v[0:1], v[5:6], off
	s_and_b32 exec_lo, exec_lo, vcc_lo
	s_cbranch_execz .LBB1261_15
; %bb.14:
	v_mov_b32_e32 v2, 0
	global_store_b32 v[0:1], v2, off offset:4
.LBB1261_15:
	s_nop 0
	s_sendmsg sendmsg(MSG_DEALLOC_VGPRS)
	s_endpgm
	.section	.rodata,"a",@progbits
	.p2align	6, 0x0
	.amdhsa_kernel _ZL37rocblas_syrkx_herkx_restricted_kernelIl19rocblas_complex_numIfELi16ELi32ELi8ELb1ELb1ELc84ELc85EKS1_S1_EviT_T0_PT8_S3_lS6_S3_lS4_PT9_S3_li
		.amdhsa_group_segment_fixed_size 4096
		.amdhsa_private_segment_fixed_size 0
		.amdhsa_kernarg_size 108
		.amdhsa_user_sgpr_count 13
		.amdhsa_user_sgpr_dispatch_ptr 0
		.amdhsa_user_sgpr_queue_ptr 0
		.amdhsa_user_sgpr_kernarg_segment_ptr 1
		.amdhsa_user_sgpr_dispatch_id 0
		.amdhsa_user_sgpr_private_segment_size 0
		.amdhsa_wavefront_size32 1
		.amdhsa_uses_dynamic_stack 0
		.amdhsa_enable_private_segment 0
		.amdhsa_system_sgpr_workgroup_id_x 1
		.amdhsa_system_sgpr_workgroup_id_y 1
		.amdhsa_system_sgpr_workgroup_id_z 1
		.amdhsa_system_sgpr_workgroup_info 0
		.amdhsa_system_vgpr_workitem_id 1
		.amdhsa_next_free_vgpr 91
		.amdhsa_next_free_sgpr 32
		.amdhsa_reserve_vcc 1
		.amdhsa_float_round_mode_32 0
		.amdhsa_float_round_mode_16_64 0
		.amdhsa_float_denorm_mode_32 3
		.amdhsa_float_denorm_mode_16_64 3
		.amdhsa_dx10_clamp 1
		.amdhsa_ieee_mode 1
		.amdhsa_fp16_overflow 0
		.amdhsa_workgroup_processor_mode 1
		.amdhsa_memory_ordered 1
		.amdhsa_forward_progress 0
		.amdhsa_shared_vgpr_count 0
		.amdhsa_exception_fp_ieee_invalid_op 0
		.amdhsa_exception_fp_denorm_src 0
		.amdhsa_exception_fp_ieee_div_zero 0
		.amdhsa_exception_fp_ieee_overflow 0
		.amdhsa_exception_fp_ieee_underflow 0
		.amdhsa_exception_fp_ieee_inexact 0
		.amdhsa_exception_int_div_zero 0
	.end_amdhsa_kernel
	.section	.text._ZL37rocblas_syrkx_herkx_restricted_kernelIl19rocblas_complex_numIfELi16ELi32ELi8ELb1ELb1ELc84ELc85EKS1_S1_EviT_T0_PT8_S3_lS6_S3_lS4_PT9_S3_li,"axG",@progbits,_ZL37rocblas_syrkx_herkx_restricted_kernelIl19rocblas_complex_numIfELi16ELi32ELi8ELb1ELb1ELc84ELc85EKS1_S1_EviT_T0_PT8_S3_lS6_S3_lS4_PT9_S3_li,comdat
.Lfunc_end1261:
	.size	_ZL37rocblas_syrkx_herkx_restricted_kernelIl19rocblas_complex_numIfELi16ELi32ELi8ELb1ELb1ELc84ELc85EKS1_S1_EviT_T0_PT8_S3_lS6_S3_lS4_PT9_S3_li, .Lfunc_end1261-_ZL37rocblas_syrkx_herkx_restricted_kernelIl19rocblas_complex_numIfELi16ELi32ELi8ELb1ELb1ELc84ELc85EKS1_S1_EviT_T0_PT8_S3_lS6_S3_lS4_PT9_S3_li
                                        ; -- End function
	.section	.AMDGPU.csdata,"",@progbits
; Kernel info:
; codeLenInByte = 2308
; NumSgprs: 34
; NumVgprs: 91
; ScratchSize: 0
; MemoryBound: 0
; FloatMode: 240
; IeeeMode: 1
; LDSByteSize: 4096 bytes/workgroup (compile time only)
; SGPRBlocks: 4
; VGPRBlocks: 11
; NumSGPRsForWavesPerEU: 34
; NumVGPRsForWavesPerEU: 91
; Occupancy: 16
; WaveLimiterHint : 1
; COMPUTE_PGM_RSRC2:SCRATCH_EN: 0
; COMPUTE_PGM_RSRC2:USER_SGPR: 13
; COMPUTE_PGM_RSRC2:TRAP_HANDLER: 0
; COMPUTE_PGM_RSRC2:TGID_X_EN: 1
; COMPUTE_PGM_RSRC2:TGID_Y_EN: 1
; COMPUTE_PGM_RSRC2:TGID_Z_EN: 1
; COMPUTE_PGM_RSRC2:TIDIG_COMP_CNT: 1
	.section	.text._ZL37rocblas_syrkx_herkx_restricted_kernelIl19rocblas_complex_numIfELi16ELi32ELi8ELb1ELb1ELc67ELc85EKS1_S1_EviT_T0_PT8_S3_lS6_S3_lS4_PT9_S3_li,"axG",@progbits,_ZL37rocblas_syrkx_herkx_restricted_kernelIl19rocblas_complex_numIfELi16ELi32ELi8ELb1ELb1ELc67ELc85EKS1_S1_EviT_T0_PT8_S3_lS6_S3_lS4_PT9_S3_li,comdat
	.globl	_ZL37rocblas_syrkx_herkx_restricted_kernelIl19rocblas_complex_numIfELi16ELi32ELi8ELb1ELb1ELc67ELc85EKS1_S1_EviT_T0_PT8_S3_lS6_S3_lS4_PT9_S3_li ; -- Begin function _ZL37rocblas_syrkx_herkx_restricted_kernelIl19rocblas_complex_numIfELi16ELi32ELi8ELb1ELb1ELc67ELc85EKS1_S1_EviT_T0_PT8_S3_lS6_S3_lS4_PT9_S3_li
	.p2align	8
	.type	_ZL37rocblas_syrkx_herkx_restricted_kernelIl19rocblas_complex_numIfELi16ELi32ELi8ELb1ELb1ELc67ELc85EKS1_S1_EviT_T0_PT8_S3_lS6_S3_lS4_PT9_S3_li,@function
_ZL37rocblas_syrkx_herkx_restricted_kernelIl19rocblas_complex_numIfELi16ELi32ELi8ELb1ELb1ELc67ELc85EKS1_S1_EviT_T0_PT8_S3_lS6_S3_lS4_PT9_S3_li: ; @_ZL37rocblas_syrkx_herkx_restricted_kernelIl19rocblas_complex_numIfELi16ELi32ELi8ELb1ELb1ELc67ELc85EKS1_S1_EviT_T0_PT8_S3_lS6_S3_lS4_PT9_S3_li
; %bb.0:
	s_load_b512 s[16:31], s[0:1], 0x8
	v_dual_mov_b32 v15, 0 :: v_dual_mov_b32 v16, 0
	v_dual_mov_b32 v11, 0 :: v_dual_mov_b32 v10, 0
	v_dual_mov_b32 v13, 0 :: v_dual_and_b32 v6, 0x3ff, v0
	v_mov_b32_e32 v9, 0
	v_mov_b32_e32 v7, 0
	v_bfe_u32 v8, v0, 10, 10
	v_mov_b32_e32 v1, 0
	s_lshl_b32 s8, s13, 5
	s_lshl_b32 s9, s14, 5
	s_waitcnt lgkmcnt(0)
	v_cmp_lt_i64_e64 s2, s[16:17], 1
	s_delay_alu instid0(VALU_DEP_1)
	s_and_b32 vcc_lo, exec_lo, s2
	s_cbranch_vccnz .LBB1262_3
; %bb.1:
	v_lshl_add_u32 v2, v8, 4, v6
	v_dual_mov_b32 v1, 0 :: v_dual_and_b32 v0, 7, v6
	v_lshlrev_b32_e32 v12, 3, v6
	s_mul_i32 s3, s25, s15
	s_delay_alu instid0(VALU_DEP_3)
	v_and_b32_e32 v7, 31, v2
	v_lshrrev_b32_e32 v11, 3, v2
	v_lshrrev_b32_e32 v2, 5, v2
	v_mov_b32_e32 v3, v1
	s_mul_hi_u32 s4, s24, s15
	v_add_nc_u32_e32 v9, s8, v7
	v_add_nc_u32_e32 v13, s9, v11
	v_lshlrev_b32_e32 v14, 3, v0
	s_mul_i32 s2, s24, s15
	s_add_i32 s3, s4, s3
	v_ashrrev_i32_e32 v10, 31, v9
	v_ashrrev_i32_e32 v15, 31, v13
	v_mad_u64_u32 v[4:5], null, s22, v9, v[2:3]
	v_mul_lo_u32 v3, s23, v9
	s_delay_alu instid0(VALU_DEP_4)
	v_mul_lo_u32 v16, s22, v10
	v_mul_lo_u32 v17, v13, s29
	v_mad_u64_u32 v[9:10], null, v13, s28, v[0:1]
	v_mul_lo_u32 v13, v15, s28
	v_lshlrev_b32_e32 v0, 3, v7
	s_lshl_b64 s[2:3], s[2:3], 3
	s_mul_hi_u32 s5, s30, s15
	v_add3_u32 v5, v3, v5, v16
	s_add_u32 s4, s20, s2
	v_lshl_or_b32 v0, v2, 8, v0
	s_mul_i32 s2, s31, s15
	v_add3_u32 v10, v13, v10, v17
	v_lshlrev_b64 v[2:3], 3, v[4:5]
	s_addc_u32 s6, s21, s3
	s_add_i32 s3, s5, s2
	s_mul_i32 s2, s30, s15
	v_lshlrev_b64 v[4:5], 3, v[9:10]
	v_mov_b32_e32 v9, v1
	s_lshl_b64 s[2:3], s[2:3], 3
	v_add_co_u32 v2, vcc_lo, s4, v2
	s_add_u32 s2, s26, s2
	v_add_co_ci_u32_e32 v3, vcc_lo, s6, v3, vcc_lo
	s_addc_u32 s3, s27, s3
	v_add_co_u32 v4, vcc_lo, s2, v4
	v_add_co_ci_u32_e32 v5, vcc_lo, s3, v5, vcc_lo
	v_lshl_or_b32 v7, v11, 6, v14
	v_add_co_u32 v2, vcc_lo, v2, 4
	v_add_co_ci_u32_e32 v3, vcc_lo, 0, v3, vcc_lo
	v_add_co_u32 v4, vcc_lo, v4, 4
	s_delay_alu instid0(VALU_DEP_4)
	v_dual_mov_b32 v13, v1 :: v_dual_add_nc_u32 v14, 0x800, v7
	v_lshl_add_u32 v17, v8, 6, 0x800
	v_add_co_ci_u32_e32 v5, vcc_lo, 0, v5, vcc_lo
	v_mov_b32_e32 v7, v1
	v_mov_b32_e32 v10, v1
	;; [unrolled: 1-line block ×5, first 2 shown]
	s_mov_b64 s[2:3], 0
.LBB1262_2:                             ; =>This Inner Loop Header: Depth=1
	global_load_b64 v[18:19], v[2:3], off offset:-4
	global_load_b64 v[20:21], v[4:5], off offset:-4
	s_add_u32 s2, s2, 8
	v_add_co_u32 v2, vcc_lo, v2, 64
	s_addc_u32 s3, s3, 0
	v_add_co_ci_u32_e32 v3, vcc_lo, 0, v3, vcc_lo
	v_cmp_ge_u64_e64 s4, s[2:3], s[16:17]
	v_add_co_u32 v4, vcc_lo, v4, 64
	v_add_co_ci_u32_e32 v5, vcc_lo, 0, v5, vcc_lo
	s_delay_alu instid0(VALU_DEP_3)
	s_and_b32 vcc_lo, exec_lo, s4
	s_waitcnt vmcnt(1)
	v_xor_b32_e32 v19, 0x80000000, v19
	ds_store_b64 v0, v[18:19]
	s_waitcnt vmcnt(0)
	ds_store_b64 v14, v[20:21]
	s_waitcnt lgkmcnt(0)
	s_barrier
	buffer_gl0_inv
	ds_load_2addr_b64 v[18:21], v12 offset1:16
	ds_load_b128 v[22:25], v17
	ds_load_b128 v[26:29], v17 offset:1024
	ds_load_b128 v[30:33], v17 offset:16
	;; [unrolled: 1-line block ×4, first 2 shown]
	ds_load_2addr_b64 v[42:45], v12 offset0:32 offset1:48
	ds_load_2addr_b64 v[46:49], v12 offset0:64 offset1:80
	ds_load_b128 v[50:53], v17 offset:1040
	ds_load_2addr_b64 v[54:57], v12 offset0:96 offset1:112
	ds_load_2addr_b64 v[58:61], v12 offset0:128 offset1:144
	ds_load_2addr_b64 v[62:65], v12 offset0:160 offset1:176
	ds_load_2addr_b64 v[66:69], v12 offset0:192 offset1:208
	ds_load_b128 v[70:73], v17 offset:1056
	ds_load_b128 v[74:77], v17 offset:1072
	ds_load_2addr_b64 v[78:81], v12 offset0:224 offset1:240
	s_waitcnt lgkmcnt(0)
	s_barrier
	buffer_gl0_inv
	v_dual_mul_f32 v82, v23, v19 :: v_dual_mul_f32 v85, v22, v21
	v_dual_mul_f32 v83, v22, v19 :: v_dual_mul_f32 v84, v23, v21
	v_mul_f32_e32 v86, v27, v19
	v_dual_mul_f32 v19, v26, v19 :: v_dual_mul_f32 v90, v25, v45
	v_dual_mul_f32 v87, v27, v21 :: v_dual_mul_f32 v88, v25, v43
	v_mul_f32_e32 v21, v26, v21
	v_fma_f32 v82, v22, v18, -v82
	v_fmac_f32_e32 v83, v23, v18
	v_fma_f32 v22, v22, v20, -v84
	v_fmac_f32_e32 v85, v23, v20
	v_fma_f32 v23, v26, v18, -v86
	v_dual_fmac_f32 v19, v27, v18 :: v_dual_mul_f32 v86, v30, v47
	v_fma_f32 v18, v26, v20, -v87
	v_dual_fmac_f32 v21, v27, v20 :: v_dual_mul_f32 v20, v24, v45
	v_mul_f32_e32 v89, v24, v43
	v_mul_f32_e32 v26, v29, v43
	v_mul_f32_e32 v27, v28, v43
	v_mul_f32_e32 v43, v29, v45
	v_fmac_f32_e32 v20, v25, v44
	v_fmac_f32_e32 v89, v25, v42
	v_dual_mul_f32 v25, v28, v45 :: v_dual_fmac_f32 v86, v31, v46
	v_fma_f32 v84, v24, v42, -v88
	v_fma_f32 v24, v24, v44, -v90
	v_dual_mul_f32 v45, v31, v47 :: v_dual_mul_f32 v90, v33, v57
	v_fma_f32 v26, v28, v42, -v26
	v_fma_f32 v28, v28, v44, -v43
	v_fmac_f32_e32 v25, v29, v44
	v_dual_mul_f32 v43, v50, v47 :: v_dual_mul_f32 v44, v51, v49
	v_dual_fmac_f32 v27, v29, v42 :: v_dual_mul_f32 v42, v51, v47
	v_dual_mul_f32 v88, v32, v55 :: v_dual_mul_f32 v29, v30, v49
	v_mul_f32_e32 v87, v31, v49
	v_fma_f32 v45, v30, v46, -v45
	v_add_f32_e32 v16, v16, v83
	s_delay_alu instid0(VALU_DEP_4)
	v_dual_fmac_f32 v88, v33, v54 :: v_dual_fmac_f32 v29, v31, v48
	v_fma_f32 v31, v50, v46, -v42
	v_fma_f32 v42, v50, v48, -v44
	v_mul_f32_e32 v44, v32, v57
	v_mul_f32_e32 v47, v50, v49
	v_dual_mul_f32 v50, v53, v57 :: v_dual_fmac_f32 v43, v51, v46
	v_mul_f32_e32 v46, v53, v55
	v_mul_f32_e32 v49, v33, v55
	v_fma_f32 v30, v30, v48, -v87
	v_fmac_f32_e32 v44, v33, v56
	v_dual_fmac_f32 v47, v51, v48 :: v_dual_mul_f32 v48, v52, v55
	v_mul_f32_e32 v33, v52, v57
	v_fma_f32 v46, v52, v54, -v46
	v_fma_f32 v50, v52, v56, -v50
	v_mul_f32_e32 v52, v34, v61
	v_fma_f32 v49, v32, v54, -v49
	v_fma_f32 v32, v32, v56, -v90
	v_dual_mul_f32 v51, v35, v59 :: v_dual_fmac_f32 v48, v53, v54
	v_mul_f32_e32 v54, v70, v59
	v_dual_mul_f32 v55, v34, v59 :: v_dual_fmac_f32 v52, v35, v60
	v_fmac_f32_e32 v33, v53, v56
	v_mul_f32_e32 v53, v71, v59
	v_mul_f32_e32 v56, v71, v61
	;; [unrolled: 1-line block ×3, first 2 shown]
	v_fmac_f32_e32 v54, v71, v58
	v_fmac_f32_e32 v55, v35, v58
	v_fma_f32 v35, v70, v58, -v53
	v_fma_f32 v53, v70, v60, -v56
	v_mul_f32_e32 v56, v36, v65
	v_mul_f32_e32 v59, v70, v61
	v_fma_f32 v51, v34, v58, -v51
	v_mul_f32_e32 v58, v72, v63
	v_mul_f32_e32 v87, v36, v63
	;; [unrolled: 1-line block ×4, first 2 shown]
	v_fma_f32 v34, v34, v60, -v57
	v_mul_f32_e32 v57, v73, v63
	v_fmac_f32_e32 v56, v37, v64
	v_dual_fmac_f32 v59, v71, v60 :: v_dual_mul_f32 v60, v73, v65
	v_mul_f32_e32 v63, v39, v67
	v_mul_f32_e32 v70, v39, v69
	v_fmac_f32_e32 v58, v73, v62
	v_fmac_f32_e32 v87, v37, v62
	v_mul_f32_e32 v37, v72, v65
	v_fma_f32 v61, v36, v62, -v61
	v_fma_f32 v36, v36, v64, -v90
	v_mul_f32_e32 v65, v38, v67
	v_fma_f32 v57, v72, v62, -v57
	v_fma_f32 v60, v72, v64, -v60
	v_dual_fmac_f32 v37, v73, v64 :: v_dual_mul_f32 v62, v38, v69
	v_mul_f32_e32 v64, v75, v67
	v_mul_f32_e32 v71, v75, v69
	v_fma_f32 v63, v38, v66, -v63
	v_fma_f32 v38, v38, v68, -v70
	v_mul_f32_e32 v70, v76, v79
	v_mul_f32_e32 v67, v74, v67
	v_dual_fmac_f32 v65, v39, v66 :: v_dual_add_f32 v10, v10, v19
	v_add_f32_e32 v16, v16, v89
	s_delay_alu instid0(VALU_DEP_4) | instskip(NEXT) | instid1(VALU_DEP_3)
	v_dual_mul_f32 v69, v74, v69 :: v_dual_fmac_f32 v70, v77, v78
	v_dual_fmac_f32 v67, v75, v66 :: v_dual_add_f32 v10, v10, v27
	s_delay_alu instid0(VALU_DEP_2)
	v_dual_add_f32 v16, v16, v86 :: v_dual_fmac_f32 v69, v75, v68
	v_fmac_f32_e32 v62, v39, v68
	v_fma_f32 v39, v74, v66, -v64
	v_fma_f32 v64, v74, v68, -v71
	v_mul_f32_e32 v66, v40, v81
	v_dual_mul_f32 v71, v77, v81 :: v_dual_add_f32 v10, v10, v43
	v_mul_f32_e32 v73, v40, v79
	v_mul_f32_e32 v72, v41, v79
	;; [unrolled: 1-line block ×3, first 2 shown]
	v_fmac_f32_e32 v66, v41, v80
	s_delay_alu instid0(VALU_DEP_4) | instskip(SKIP_2) | instid1(VALU_DEP_3)
	v_dual_add_f32 v10, v10, v48 :: v_dual_fmac_f32 v73, v41, v78
	v_add_f32_e32 v16, v16, v88
	v_dual_mul_f32 v41, v76, v81 :: v_dual_mul_f32 v68, v77, v79
	v_dual_add_f32 v10, v10, v54 :: v_dual_add_f32 v13, v13, v85
	s_delay_alu instid0(VALU_DEP_2) | instskip(SKIP_1) | instid1(VALU_DEP_3)
	v_dual_add_f32 v16, v16, v55 :: v_dual_fmac_f32 v41, v77, v80
	v_add_f32_e32 v15, v15, v82
	v_add_f32_e32 v10, v10, v58
	s_delay_alu instid0(VALU_DEP_3) | instskip(SKIP_1) | instid1(VALU_DEP_3)
	v_dual_add_f32 v7, v7, v18 :: v_dual_add_f32 v16, v16, v87
	v_add_f32_e32 v11, v11, v22
	v_dual_add_f32 v15, v15, v84 :: v_dual_add_f32 v10, v10, v67
	v_add_f32_e32 v1, v1, v21
	s_delay_alu instid0(VALU_DEP_4) | instskip(NEXT) | instid1(VALU_DEP_4)
	v_dual_add_f32 v16, v16, v65 :: v_dual_add_f32 v9, v9, v23
	v_add_f32_e32 v11, v11, v24
	v_add_f32_e32 v13, v13, v20
	s_delay_alu instid0(VALU_DEP_3) | instskip(NEXT) | instid1(VALU_DEP_4)
	v_dual_add_f32 v7, v7, v28 :: v_dual_add_f32 v16, v16, v73
	v_add_f32_e32 v9, v9, v26
	v_dual_add_f32 v10, v10, v70 :: v_dual_add_f32 v1, v1, v25
	v_add_f32_e32 v15, v15, v45
	v_add_f32_e32 v11, v11, v30
	;; [unrolled: 1-line block ×24, first 2 shown]
	v_fma_f32 v72, v40, v78, -v72
	v_fma_f32 v40, v40, v80, -v90
	v_fma_f32 v68, v76, v78, -v68
	v_fma_f32 v71, v76, v80, -v71
	v_add_f32_e32 v15, v15, v63
	v_add_f32_e32 v11, v11, v38
	;; [unrolled: 1-line block ×12, first 2 shown]
	s_cbranch_vccz .LBB1262_2
.LBB1262_3:
	s_clause 0x1
	s_load_b128 s[4:7], s[0:1], 0x50
	s_load_b32 s2, s[0:1], 0x0
	v_add_nc_u32_e32 v8, s9, v8
	s_load_b64 s[10:11], s[0:1], 0x60
	v_add_nc_u32_e32 v2, s8, v6
	s_delay_alu instid0(VALU_DEP_2) | instskip(NEXT) | instid1(VALU_DEP_2)
	v_ashrrev_i32_e32 v0, 31, v8
	v_cmp_le_i32_e64 s0, v2, v8
	s_waitcnt lgkmcnt(0)
	s_delay_alu instid0(VALU_DEP_2)
	v_mul_lo_u32 v0, v0, s6
	v_mul_lo_u32 v5, v8, s7
	v_mad_u64_u32 v[3:4], null, v8, s6, 0
	s_mul_i32 s1, s15, s11
	s_mul_hi_u32 s3, s15, s10
	s_mul_i32 s8, s15, s10
	s_add_i32 s9, s3, s1
	v_cmp_gt_i32_e32 vcc_lo, s2, v8
	s_lshl_b64 s[8:9], s[8:9], 3
	s_delay_alu instid0(VALU_DEP_2) | instskip(SKIP_3) | instid1(VALU_DEP_1)
	v_add3_u32 v4, v4, v5, v0
	s_add_u32 s3, s4, s8
	s_addc_u32 s4, s5, s9
	s_and_b32 s0, vcc_lo, s0
	v_lshlrev_b64 v[3:4], 3, v[3:4]
	s_delay_alu instid0(VALU_DEP_1) | instskip(NEXT) | instid1(VALU_DEP_1)
	v_add_co_u32 v0, s1, s3, v3
	v_add_co_ci_u32_e64 v6, s1, s4, v4, s1
	s_and_saveexec_b32 s1, s0
	s_cbranch_execz .LBB1262_6
; %bb.4:
	v_ashrrev_i32_e32 v3, 31, v2
	v_mul_f32_e32 v5, s19, v16
	v_mul_f32_e32 v17, s18, v16
	s_delay_alu instid0(VALU_DEP_3) | instskip(NEXT) | instid1(VALU_DEP_3)
	v_lshlrev_b64 v[3:4], 3, v[2:3]
	v_fma_f32 v16, v15, s18, -v5
	s_delay_alu instid0(VALU_DEP_3) | instskip(NEXT) | instid1(VALU_DEP_3)
	v_fmac_f32_e32 v17, s19, v15
	v_add_co_u32 v3, s0, v0, v3
	s_delay_alu instid0(VALU_DEP_1)
	v_add_co_ci_u32_e64 v4, s0, v6, v4, s0
	v_cmp_eq_u32_e64 s0, v8, v2
	global_store_b64 v[3:4], v[16:17], off
	s_and_b32 exec_lo, exec_lo, s0
	s_cbranch_execz .LBB1262_6
; %bb.5:
	v_mov_b32_e32 v5, 0
	global_store_b32 v[3:4], v5, off offset:4
.LBB1262_6:
	s_or_b32 exec_lo, exec_lo, s1
	v_add_nc_u32_e32 v4, 16, v2
	s_delay_alu instid0(VALU_DEP_1) | instskip(NEXT) | instid1(VALU_DEP_1)
	v_cmp_le_i32_e64 s0, v4, v8
	s_and_b32 s1, vcc_lo, s0
	s_delay_alu instid0(SALU_CYCLE_1)
	s_and_saveexec_b32 s0, s1
	s_cbranch_execz .LBB1262_9
; %bb.7:
	v_ashrrev_i32_e32 v5, 31, v4
	v_mul_f32_e32 v3, s19, v13
	v_mul_f32_e32 v13, s18, v13
	s_delay_alu instid0(VALU_DEP_3) | instskip(NEXT) | instid1(VALU_DEP_3)
	v_lshlrev_b64 v[14:15], 3, v[4:5]
	v_fma_f32 v12, v11, s18, -v3
	s_delay_alu instid0(VALU_DEP_3) | instskip(NEXT) | instid1(VALU_DEP_3)
	v_fmac_f32_e32 v13, s19, v11
	v_add_co_u32 v5, vcc_lo, v0, v14
	s_delay_alu instid0(VALU_DEP_4)
	v_add_co_ci_u32_e32 v6, vcc_lo, v6, v15, vcc_lo
	v_cmp_eq_u32_e32 vcc_lo, v8, v4
	global_store_b64 v[5:6], v[12:13], off
	s_and_b32 exec_lo, exec_lo, vcc_lo
	s_cbranch_execz .LBB1262_9
; %bb.8:
	v_mov_b32_e32 v0, 0
	global_store_b32 v[5:6], v0, off offset:4
.LBB1262_9:
	s_or_b32 exec_lo, exec_lo, s0
	v_add_nc_u32_e32 v12, 16, v8
	s_delay_alu instid0(VALU_DEP_1) | instskip(SKIP_3) | instid1(VALU_DEP_4)
	v_ashrrev_i32_e32 v0, 31, v12
	v_mul_lo_u32 v3, v12, s7
	v_mad_u64_u32 v[5:6], null, v12, s6, 0
	v_cmp_gt_i32_e32 vcc_lo, s2, v12
	v_mul_lo_u32 v0, v0, s6
	v_cmp_le_i32_e64 s0, v2, v12
	s_delay_alu instid0(VALU_DEP_1) | instskip(NEXT) | instid1(VALU_DEP_2)
	s_and_b32 s0, vcc_lo, s0
	v_add3_u32 v6, v6, v3, v0
	s_delay_alu instid0(VALU_DEP_1) | instskip(NEXT) | instid1(VALU_DEP_1)
	v_lshlrev_b64 v[5:6], 3, v[5:6]
	v_add_co_u32 v0, s1, s3, v5
	s_delay_alu instid0(VALU_DEP_1)
	v_add_co_ci_u32_e64 v11, s1, s4, v6, s1
	s_and_saveexec_b32 s1, s0
	s_cbranch_execz .LBB1262_12
; %bb.10:
	v_ashrrev_i32_e32 v3, 31, v2
	v_mul_f32_e32 v14, s18, v10
	v_mul_f32_e32 v13, s19, v10
	s_delay_alu instid0(VALU_DEP_3) | instskip(NEXT) | instid1(VALU_DEP_3)
	v_lshlrev_b64 v[5:6], 3, v[2:3]
	v_fmac_f32_e32 v14, s19, v9
	s_delay_alu instid0(VALU_DEP_3) | instskip(NEXT) | instid1(VALU_DEP_3)
	v_fma_f32 v13, v9, s18, -v13
	v_add_co_u32 v5, s0, v0, v5
	s_delay_alu instid0(VALU_DEP_1)
	v_add_co_ci_u32_e64 v6, s0, v11, v6, s0
	v_cmp_eq_u32_e64 s0, v12, v2
	global_store_b64 v[5:6], v[13:14], off
	s_and_b32 exec_lo, exec_lo, s0
	s_cbranch_execz .LBB1262_12
; %bb.11:
	v_mov_b32_e32 v3, 0
	global_store_b32 v[5:6], v3, off offset:4
.LBB1262_12:
	s_or_b32 exec_lo, exec_lo, s1
	v_cmp_le_i32_e64 s0, v4, v12
	s_delay_alu instid0(VALU_DEP_1) | instskip(NEXT) | instid1(SALU_CYCLE_1)
	s_and_b32 s0, vcc_lo, s0
	s_and_saveexec_b32 s1, s0
	s_cbranch_execz .LBB1262_15
; %bb.13:
	v_ashrrev_i32_e32 v5, 31, v4
	v_mul_f32_e32 v6, s18, v1
	v_mul_f32_e32 v9, s19, v1
	s_delay_alu instid0(VALU_DEP_3) | instskip(NEXT) | instid1(VALU_DEP_3)
	v_lshlrev_b64 v[3:4], 3, v[4:5]
	v_fmac_f32_e32 v6, s19, v7
	s_delay_alu instid0(VALU_DEP_3) | instskip(NEXT) | instid1(VALU_DEP_3)
	v_fma_f32 v5, v7, s18, -v9
	v_add_co_u32 v0, vcc_lo, v0, v3
	s_delay_alu instid0(VALU_DEP_4)
	v_add_co_ci_u32_e32 v1, vcc_lo, v11, v4, vcc_lo
	v_cmp_eq_u32_e32 vcc_lo, v8, v2
	global_store_b64 v[0:1], v[5:6], off
	s_and_b32 exec_lo, exec_lo, vcc_lo
	s_cbranch_execz .LBB1262_15
; %bb.14:
	v_mov_b32_e32 v2, 0
	global_store_b32 v[0:1], v2, off offset:4
.LBB1262_15:
	s_nop 0
	s_sendmsg sendmsg(MSG_DEALLOC_VGPRS)
	s_endpgm
	.section	.rodata,"a",@progbits
	.p2align	6, 0x0
	.amdhsa_kernel _ZL37rocblas_syrkx_herkx_restricted_kernelIl19rocblas_complex_numIfELi16ELi32ELi8ELb1ELb1ELc67ELc85EKS1_S1_EviT_T0_PT8_S3_lS6_S3_lS4_PT9_S3_li
		.amdhsa_group_segment_fixed_size 4096
		.amdhsa_private_segment_fixed_size 0
		.amdhsa_kernarg_size 108
		.amdhsa_user_sgpr_count 13
		.amdhsa_user_sgpr_dispatch_ptr 0
		.amdhsa_user_sgpr_queue_ptr 0
		.amdhsa_user_sgpr_kernarg_segment_ptr 1
		.amdhsa_user_sgpr_dispatch_id 0
		.amdhsa_user_sgpr_private_segment_size 0
		.amdhsa_wavefront_size32 1
		.amdhsa_uses_dynamic_stack 0
		.amdhsa_enable_private_segment 0
		.amdhsa_system_sgpr_workgroup_id_x 1
		.amdhsa_system_sgpr_workgroup_id_y 1
		.amdhsa_system_sgpr_workgroup_id_z 1
		.amdhsa_system_sgpr_workgroup_info 0
		.amdhsa_system_vgpr_workitem_id 1
		.amdhsa_next_free_vgpr 91
		.amdhsa_next_free_sgpr 32
		.amdhsa_reserve_vcc 1
		.amdhsa_float_round_mode_32 0
		.amdhsa_float_round_mode_16_64 0
		.amdhsa_float_denorm_mode_32 3
		.amdhsa_float_denorm_mode_16_64 3
		.amdhsa_dx10_clamp 1
		.amdhsa_ieee_mode 1
		.amdhsa_fp16_overflow 0
		.amdhsa_workgroup_processor_mode 1
		.amdhsa_memory_ordered 1
		.amdhsa_forward_progress 0
		.amdhsa_shared_vgpr_count 0
		.amdhsa_exception_fp_ieee_invalid_op 0
		.amdhsa_exception_fp_denorm_src 0
		.amdhsa_exception_fp_ieee_div_zero 0
		.amdhsa_exception_fp_ieee_overflow 0
		.amdhsa_exception_fp_ieee_underflow 0
		.amdhsa_exception_fp_ieee_inexact 0
		.amdhsa_exception_int_div_zero 0
	.end_amdhsa_kernel
	.section	.text._ZL37rocblas_syrkx_herkx_restricted_kernelIl19rocblas_complex_numIfELi16ELi32ELi8ELb1ELb1ELc67ELc85EKS1_S1_EviT_T0_PT8_S3_lS6_S3_lS4_PT9_S3_li,"axG",@progbits,_ZL37rocblas_syrkx_herkx_restricted_kernelIl19rocblas_complex_numIfELi16ELi32ELi8ELb1ELb1ELc67ELc85EKS1_S1_EviT_T0_PT8_S3_lS6_S3_lS4_PT9_S3_li,comdat
.Lfunc_end1262:
	.size	_ZL37rocblas_syrkx_herkx_restricted_kernelIl19rocblas_complex_numIfELi16ELi32ELi8ELb1ELb1ELc67ELc85EKS1_S1_EviT_T0_PT8_S3_lS6_S3_lS4_PT9_S3_li, .Lfunc_end1262-_ZL37rocblas_syrkx_herkx_restricted_kernelIl19rocblas_complex_numIfELi16ELi32ELi8ELb1ELb1ELc67ELc85EKS1_S1_EviT_T0_PT8_S3_lS6_S3_lS4_PT9_S3_li
                                        ; -- End function
	.section	.AMDGPU.csdata,"",@progbits
; Kernel info:
; codeLenInByte = 2320
; NumSgprs: 34
; NumVgprs: 91
; ScratchSize: 0
; MemoryBound: 0
; FloatMode: 240
; IeeeMode: 1
; LDSByteSize: 4096 bytes/workgroup (compile time only)
; SGPRBlocks: 4
; VGPRBlocks: 11
; NumSGPRsForWavesPerEU: 34
; NumVGPRsForWavesPerEU: 91
; Occupancy: 16
; WaveLimiterHint : 1
; COMPUTE_PGM_RSRC2:SCRATCH_EN: 0
; COMPUTE_PGM_RSRC2:USER_SGPR: 13
; COMPUTE_PGM_RSRC2:TRAP_HANDLER: 0
; COMPUTE_PGM_RSRC2:TGID_X_EN: 1
; COMPUTE_PGM_RSRC2:TGID_Y_EN: 1
; COMPUTE_PGM_RSRC2:TGID_Z_EN: 1
; COMPUTE_PGM_RSRC2:TIDIG_COMP_CNT: 1
	.section	.text._ZL37rocblas_syrkx_herkx_restricted_kernelIl19rocblas_complex_numIfELi16ELi32ELi8ELb1ELb1ELc78ELc85EKS1_S1_EviT_T0_PT8_S3_lS6_S3_lS4_PT9_S3_li,"axG",@progbits,_ZL37rocblas_syrkx_herkx_restricted_kernelIl19rocblas_complex_numIfELi16ELi32ELi8ELb1ELb1ELc78ELc85EKS1_S1_EviT_T0_PT8_S3_lS6_S3_lS4_PT9_S3_li,comdat
	.globl	_ZL37rocblas_syrkx_herkx_restricted_kernelIl19rocblas_complex_numIfELi16ELi32ELi8ELb1ELb1ELc78ELc85EKS1_S1_EviT_T0_PT8_S3_lS6_S3_lS4_PT9_S3_li ; -- Begin function _ZL37rocblas_syrkx_herkx_restricted_kernelIl19rocblas_complex_numIfELi16ELi32ELi8ELb1ELb1ELc78ELc85EKS1_S1_EviT_T0_PT8_S3_lS6_S3_lS4_PT9_S3_li
	.p2align	8
	.type	_ZL37rocblas_syrkx_herkx_restricted_kernelIl19rocblas_complex_numIfELi16ELi32ELi8ELb1ELb1ELc78ELc85EKS1_S1_EviT_T0_PT8_S3_lS6_S3_lS4_PT9_S3_li,@function
_ZL37rocblas_syrkx_herkx_restricted_kernelIl19rocblas_complex_numIfELi16ELi32ELi8ELb1ELb1ELc78ELc85EKS1_S1_EviT_T0_PT8_S3_lS6_S3_lS4_PT9_S3_li: ; @_ZL37rocblas_syrkx_herkx_restricted_kernelIl19rocblas_complex_numIfELi16ELi32ELi8ELb1ELb1ELc78ELc85EKS1_S1_EviT_T0_PT8_S3_lS6_S3_lS4_PT9_S3_li
; %bb.0:
	s_load_b512 s[16:31], s[0:1], 0x8
	v_dual_mov_b32 v14, 0 :: v_dual_mov_b32 v15, 0
	v_dual_mov_b32 v10, 0 :: v_dual_mov_b32 v13, 0
	;; [unrolled: 1-line block ×3, first 2 shown]
	v_dual_mov_b32 v5, 0 :: v_dual_and_b32 v4, 0x3ff, v0
	v_bfe_u32 v7, v0, 10, 10
	v_mov_b32_e32 v6, 0
	s_lshl_b32 s8, s13, 5
	s_lshl_b32 s9, s14, 5
	s_waitcnt lgkmcnt(0)
	v_cmp_lt_i64_e64 s2, s[16:17], 1
	s_delay_alu instid0(VALU_DEP_1)
	s_and_b32 vcc_lo, exec_lo, s2
	s_cbranch_vccnz .LBB1263_3
; %bb.1:
	v_lshl_add_u32 v1, v7, 4, v4
	v_and_b32_e32 v14, 7, v4
	s_mul_i32 s3, s25, s15
	s_mul_hi_u32 s5, s24, s15
	s_mul_i32 s2, s24, s15
	v_and_b32_e32 v10, 31, v1
	v_lshrrev_b32_e32 v13, 3, v1
	v_lshrrev_b32_e32 v15, 5, v1
	s_add_i32 s3, s5, s3
	s_mul_i32 s6, s31, s15
	v_add_nc_u32_e32 v0, s8, v10
	v_add_nc_u32_e32 v2, s9, v13
	s_lshl_b64 s[2:3], s[2:3], 3
	s_mul_hi_u32 s7, s30, s15
	s_add_u32 s10, s20, s2
	v_ashrrev_i32_e32 v1, 31, v0
	v_ashrrev_i32_e32 v3, 31, v2
	s_mul_i32 s4, s30, s15
	s_addc_u32 s11, s21, s3
	s_add_i32 s5, s7, s6
	v_mad_u64_u32 v[5:6], null, v15, s22, v[0:1]
	v_lshlrev_b32_e32 v11, 3, v4
	v_mad_u64_u32 v[0:1], null, v14, s28, v[2:3]
	s_lshl_b64 s[4:5], s[4:5], 3
	s_lshl_b64 s[2:3], s[22:23], 6
	s_add_u32 s4, s26, s4
	s_delay_alu instid0(VALU_DEP_3) | instskip(SKIP_3) | instid1(VALU_DEP_2)
	v_mov_b32_e32 v2, v6
	s_addc_u32 s5, s27, s5
	v_lshl_add_u32 v12, v7, 6, 0x800
	s_mov_b64 s[6:7], 0
	v_mad_u64_u32 v[8:9], null, v15, s23, v[2:3]
	v_mad_u64_u32 v[2:3], null, v14, s29, v[1:2]
	s_delay_alu instid0(VALU_DEP_1) | instskip(SKIP_2) | instid1(VALU_DEP_3)
	v_dual_mov_b32 v6, v8 :: v_dual_mov_b32 v1, v2
	v_lshlrev_b32_e32 v8, 3, v10
	v_mov_b32_e32 v10, 0
	v_lshlrev_b64 v[2:3], 3, v[5:6]
	s_delay_alu instid0(VALU_DEP_4) | instskip(NEXT) | instid1(VALU_DEP_2)
	v_lshlrev_b64 v[0:1], 3, v[0:1]
	v_add_co_u32 v2, vcc_lo, s10, v2
	s_delay_alu instid0(VALU_DEP_3) | instskip(NEXT) | instid1(VALU_DEP_3)
	v_add_co_ci_u32_e32 v3, vcc_lo, s11, v3, vcc_lo
	v_add_co_u32 v5, vcc_lo, s4, v0
	s_delay_alu instid0(VALU_DEP_4) | instskip(NEXT) | instid1(VALU_DEP_4)
	v_add_co_ci_u32_e32 v6, vcc_lo, s5, v1, vcc_lo
	v_add_co_u32 v0, vcc_lo, v2, 4
	s_delay_alu instid0(VALU_DEP_4) | instskip(NEXT) | instid1(VALU_DEP_4)
	v_add_co_ci_u32_e32 v1, vcc_lo, 0, v3, vcc_lo
	v_add_co_u32 v2, vcc_lo, v5, 4
	v_dual_mov_b32 v5, 0 :: v_dual_lshlrev_b32 v16, 3, v14
	v_add_co_ci_u32_e32 v3, vcc_lo, 0, v6, vcc_lo
	v_mov_b32_e32 v6, 0
	v_mov_b32_e32 v14, 0
	s_delay_alu instid0(VALU_DEP_4) | instskip(SKIP_3) | instid1(VALU_DEP_4)
	v_lshl_or_b32 v9, v13, 6, v16
	v_lshl_or_b32 v16, v15, 8, v8
	v_dual_mov_b32 v15, 0 :: v_dual_mov_b32 v8, 0
	v_mov_b32_e32 v13, 0
	v_add_nc_u32_e32 v17, 0x800, v9
	v_mov_b32_e32 v9, 0
	s_lshl_b64 s[4:5], s[28:29], 6
.LBB1263_2:                             ; =>This Inner Loop Header: Depth=1
	global_load_b64 v[18:19], v[2:3], off offset:-4
	global_load_b64 v[20:21], v[0:1], off offset:-4
	s_add_u32 s6, s6, 8
	v_add_co_u32 v0, vcc_lo, v0, s2
	s_addc_u32 s7, s7, 0
	v_add_co_ci_u32_e32 v1, vcc_lo, s3, v1, vcc_lo
	v_cmp_ge_u64_e64 s10, s[6:7], s[16:17]
	v_add_co_u32 v2, vcc_lo, v2, s4
	v_add_co_ci_u32_e32 v3, vcc_lo, s5, v3, vcc_lo
	s_delay_alu instid0(VALU_DEP_3)
	s_and_b32 vcc_lo, exec_lo, s10
	s_waitcnt vmcnt(1)
	v_xor_b32_e32 v19, 0x80000000, v19
	s_waitcnt vmcnt(0)
	ds_store_b64 v16, v[20:21]
	ds_store_b64 v17, v[18:19]
	s_waitcnt lgkmcnt(0)
	s_barrier
	buffer_gl0_inv
	ds_load_2addr_b64 v[18:21], v11 offset1:16
	ds_load_b128 v[22:25], v12
	ds_load_b128 v[26:29], v12 offset:1024
	ds_load_b128 v[30:33], v12 offset:16
	;; [unrolled: 1-line block ×4, first 2 shown]
	ds_load_2addr_b64 v[42:45], v11 offset0:32 offset1:48
	ds_load_2addr_b64 v[46:49], v11 offset0:64 offset1:80
	ds_load_b128 v[50:53], v12 offset:1040
	ds_load_2addr_b64 v[54:57], v11 offset0:96 offset1:112
	ds_load_2addr_b64 v[58:61], v11 offset0:128 offset1:144
	;; [unrolled: 1-line block ×4, first 2 shown]
	ds_load_b128 v[70:73], v12 offset:1056
	ds_load_b128 v[74:77], v12 offset:1072
	ds_load_2addr_b64 v[78:81], v11 offset0:224 offset1:240
	s_waitcnt lgkmcnt(0)
	s_barrier
	buffer_gl0_inv
	v_dual_mul_f32 v82, v23, v19 :: v_dual_mul_f32 v85, v22, v21
	v_dual_mul_f32 v83, v22, v19 :: v_dual_mul_f32 v84, v23, v21
	v_mul_f32_e32 v86, v27, v19
	v_dual_mul_f32 v19, v26, v19 :: v_dual_mul_f32 v90, v25, v45
	v_dual_mul_f32 v87, v27, v21 :: v_dual_mul_f32 v88, v25, v43
	v_mul_f32_e32 v21, v26, v21
	v_mul_f32_e32 v89, v24, v43
	;; [unrolled: 1-line block ×3, first 2 shown]
	v_fma_f32 v82, v22, v18, -v82
	v_fmac_f32_e32 v83, v23, v18
	v_fma_f32 v22, v22, v20, -v84
	v_dual_fmac_f32 v85, v23, v20 :: v_dual_mul_f32 v84, v30, v47
	v_fma_f32 v23, v26, v18, -v86
	v_fmac_f32_e32 v19, v27, v18
	v_fma_f32 v18, v26, v20, -v87
	v_dual_mul_f32 v26, v28, v43 :: v_dual_fmac_f32 v21, v27, v20
	v_mul_f32_e32 v20, v29, v43
	v_mul_f32_e32 v27, v29, v45
	v_dual_mul_f32 v43, v28, v45 :: v_dual_fmac_f32 v84, v31, v46
	v_fma_f32 v45, v24, v42, -v88
	v_fma_f32 v24, v24, v44, -v90
	v_dual_fmac_f32 v91, v25, v44 :: v_dual_mul_f32 v90, v32, v57
	v_dual_mul_f32 v86, v31, v49 :: v_dual_fmac_f32 v89, v25, v42
	v_dual_mul_f32 v25, v31, v47 :: v_dual_mul_f32 v88, v33, v57
	v_fma_f32 v20, v28, v42, -v20
	v_fmac_f32_e32 v26, v29, v42
	v_fma_f32 v27, v28, v44, -v27
	v_dual_fmac_f32 v43, v29, v44 :: v_dual_mul_f32 v28, v51, v47
	v_dual_mul_f32 v29, v50, v47 :: v_dual_mul_f32 v42, v51, v49
	v_mul_f32_e32 v44, v50, v49
	v_mul_f32_e32 v87, v30, v49
	;; [unrolled: 1-line block ×3, first 2 shown]
	v_dual_mul_f32 v49, v32, v55 :: v_dual_fmac_f32 v90, v33, v56
	v_fma_f32 v25, v30, v46, -v25
	v_fma_f32 v30, v30, v48, -v86
	;; [unrolled: 1-line block ×3, first 2 shown]
	v_fmac_f32_e32 v44, v51, v48
	v_fmac_f32_e32 v87, v31, v48
	v_fma_f32 v31, v50, v48, -v42
	v_mul_f32_e32 v42, v53, v55
	v_mul_f32_e32 v48, v53, v57
	v_dual_mul_f32 v50, v52, v57 :: v_dual_fmac_f32 v29, v51, v46
	v_mul_f32_e32 v46, v52, v55
	v_fma_f32 v47, v32, v54, -v47
	v_fmac_f32_e32 v49, v33, v54
	v_fma_f32 v32, v32, v56, -v88
	s_delay_alu instid0(VALU_DEP_4)
	v_dual_mul_f32 v33, v35, v59 :: v_dual_fmac_f32 v46, v53, v54
	v_mul_f32_e32 v51, v34, v59
	v_mul_f32_e32 v55, v35, v61
	v_fma_f32 v42, v52, v54, -v42
	v_fma_f32 v48, v52, v56, -v48
	v_fmac_f32_e32 v50, v53, v56
	v_mul_f32_e32 v52, v71, v59
	v_dual_mul_f32 v53, v70, v59 :: v_dual_mul_f32 v86, v37, v65
	v_mul_f32_e32 v54, v71, v61
	v_dual_mul_f32 v56, v70, v61 :: v_dual_mul_f32 v59, v37, v63
	v_mul_f32_e32 v57, v34, v61
	v_mul_f32_e32 v61, v36, v63
	v_dual_mul_f32 v88, v36, v65 :: v_dual_fmac_f32 v51, v35, v58
	v_fma_f32 v33, v34, v58, -v33
	v_fmac_f32_e32 v53, v71, v58
	v_fmac_f32_e32 v56, v71, v60
	s_delay_alu instid0(VALU_DEP_4)
	v_fmac_f32_e32 v88, v37, v64
	v_fmac_f32_e32 v57, v35, v60
	v_fma_f32 v35, v70, v58, -v52
	v_fma_f32 v52, v70, v60, -v54
	v_mul_f32_e32 v54, v73, v63
	v_fma_f32 v34, v34, v60, -v55
	v_mul_f32_e32 v60, v72, v65
	v_dual_mul_f32 v55, v72, v63 :: v_dual_mul_f32 v70, v38, v69
	v_mul_f32_e32 v58, v73, v65
	v_fma_f32 v59, v36, v62, -v59
	v_fmac_f32_e32 v61, v37, v62
	v_fma_f32 v36, v36, v64, -v86
	v_dual_mul_f32 v37, v39, v67 :: v_dual_fmac_f32 v60, v73, v64
	v_dual_mul_f32 v63, v38, v67 :: v_dual_mul_f32 v86, v40, v81
	v_mul_f32_e32 v65, v39, v69
	v_fma_f32 v54, v72, v62, -v54
	v_fmac_f32_e32 v55, v73, v62
	v_fma_f32 v58, v72, v64, -v58
	v_mul_f32_e32 v72, v40, v79
	v_mul_f32_e32 v62, v75, v67
	v_dual_mul_f32 v64, v74, v67 :: v_dual_mul_f32 v67, v75, v69
	v_dual_mul_f32 v69, v74, v69 :: v_dual_fmac_f32 v70, v39, v68
	s_delay_alu instid0(VALU_DEP_2)
	v_dual_mul_f32 v71, v41, v79 :: v_dual_fmac_f32 v64, v75, v66
	v_dual_mul_f32 v73, v41, v81 :: v_dual_add_f32 v14, v14, v82
	v_fma_f32 v37, v38, v66, -v37
	v_fmac_f32_e32 v63, v39, v66
	v_fma_f32 v38, v38, v68, -v65
	v_fma_f32 v39, v74, v66, -v62
	v_dual_mul_f32 v65, v77, v79 :: v_dual_add_f32 v10, v10, v22
	v_mul_f32_e32 v66, v76, v79
	v_fma_f32 v62, v74, v68, -v67
	v_dual_mul_f32 v67, v77, v81 :: v_dual_add_f32 v8, v8, v23
	v_dual_fmac_f32 v86, v41, v80 :: v_dual_add_f32 v15, v15, v83
	v_dual_add_f32 v13, v13, v85 :: v_dual_add_f32 v10, v10, v24
	v_dual_add_f32 v9, v9, v19 :: v_dual_add_f32 v6, v6, v21
	;; [unrolled: 1-line block ×3, first 2 shown]
	s_delay_alu instid0(VALU_DEP_4) | instskip(NEXT) | instid1(VALU_DEP_4)
	v_dual_fmac_f32 v66, v77, v78 :: v_dual_add_f32 v15, v15, v89
	v_dual_add_f32 v13, v13, v91 :: v_dual_add_f32 v8, v8, v20
	s_delay_alu instid0(VALU_DEP_4) | instskip(NEXT) | instid1(VALU_DEP_4)
	v_dual_add_f32 v9, v9, v26 :: v_dual_add_f32 v6, v6, v43
	v_dual_add_f32 v5, v5, v27 :: v_dual_add_f32 v14, v14, v25
	v_dual_fmac_f32 v69, v75, v68 :: v_dual_fmac_f32 v72, v41, v78
	v_dual_mul_f32 v68, v76, v81 :: v_dual_add_f32 v15, v15, v84
	v_dual_add_f32 v10, v10, v30 :: v_dual_add_f32 v13, v13, v87
	v_dual_add_f32 v8, v8, v28 :: v_dual_add_f32 v9, v9, v29
	v_dual_add_f32 v6, v6, v44 :: v_dual_add_f32 v5, v5, v31
	s_delay_alu instid0(VALU_DEP_3) | instskip(SKIP_2) | instid1(VALU_DEP_4)
	v_add_f32_e32 v10, v10, v32
	v_dual_fmac_f32 v68, v77, v80 :: v_dual_add_f32 v15, v15, v49
	v_dual_add_f32 v14, v14, v47 :: v_dual_add_f32 v13, v13, v90
	v_dual_add_f32 v8, v8, v42 :: v_dual_add_f32 v5, v5, v48
	s_delay_alu instid0(VALU_DEP_2) | instskip(NEXT) | instid1(VALU_DEP_4)
	v_dual_add_f32 v9, v9, v46 :: v_dual_add_f32 v14, v14, v33
	v_dual_add_f32 v6, v6, v50 :: v_dual_add_f32 v15, v15, v51
	s_delay_alu instid0(VALU_DEP_4) | instskip(NEXT) | instid1(VALU_DEP_3)
	v_dual_add_f32 v10, v10, v34 :: v_dual_add_f32 v13, v13, v57
	v_dual_add_f32 v8, v8, v35 :: v_dual_add_f32 v9, v9, v53
	s_delay_alu instid0(VALU_DEP_4) | instskip(NEXT) | instid1(VALU_DEP_4)
	v_dual_add_f32 v5, v5, v52 :: v_dual_add_f32 v14, v14, v59
	v_dual_add_f32 v6, v6, v56 :: v_dual_add_f32 v15, v15, v61
	s_delay_alu instid0(VALU_DEP_3) | instskip(NEXT) | instid1(VALU_DEP_4)
	v_dual_add_f32 v10, v10, v36 :: v_dual_add_f32 v9, v9, v55
	v_dual_add_f32 v13, v13, v88 :: v_dual_add_f32 v8, v8, v54
	s_delay_alu instid0(VALU_DEP_3)
	v_dual_add_f32 v5, v5, v58 :: v_dual_add_f32 v6, v6, v60
	v_fma_f32 v71, v40, v78, -v71
	v_fma_f32 v40, v40, v80, -v73
	;; [unrolled: 1-line block ×4, first 2 shown]
	v_dual_add_f32 v14, v14, v37 :: v_dual_add_f32 v15, v15, v63
	v_dual_add_f32 v10, v10, v38 :: v_dual_add_f32 v9, v9, v64
	;; [unrolled: 1-line block ×4, first 2 shown]
	s_delay_alu instid0(VALU_DEP_4) | instskip(NEXT) | instid1(VALU_DEP_3)
	v_dual_add_f32 v14, v14, v71 :: v_dual_add_f32 v15, v15, v72
	v_dual_add_f32 v10, v10, v40 :: v_dual_add_f32 v13, v13, v86
	s_delay_alu instid0(VALU_DEP_4) | instskip(NEXT) | instid1(VALU_DEP_4)
	v_dual_add_f32 v8, v8, v41 :: v_dual_add_f32 v9, v9, v66
	v_dual_add_f32 v5, v5, v65 :: v_dual_add_f32 v6, v6, v68
	s_cbranch_vccz .LBB1263_2
.LBB1263_3:
	s_clause 0x1
	s_load_b128 s[4:7], s[0:1], 0x50
	s_load_b32 s2, s[0:1], 0x0
	v_add_nc_u32_e32 v7, s9, v7
	s_load_b64 s[10:11], s[0:1], 0x60
	s_delay_alu instid0(VALU_DEP_1) | instskip(SKIP_1) | instid1(VALU_DEP_1)
	v_ashrrev_i32_e32 v0, 31, v7
	s_waitcnt lgkmcnt(0)
	v_mul_lo_u32 v3, v0, s6
	v_mul_lo_u32 v11, v7, s7
	v_mad_u64_u32 v[1:2], null, v7, s6, 0
	s_mul_i32 s1, s15, s11
	s_mul_hi_u32 s3, s15, s10
	v_add_nc_u32_e32 v0, s8, v4
	s_mul_i32 s8, s15, s10
	s_add_i32 s9, s3, s1
	v_cmp_gt_i32_e32 vcc_lo, s2, v7
	s_delay_alu instid0(VALU_DEP_3)
	v_add3_u32 v2, v2, v11, v3
	s_lshl_b64 s[8:9], s[8:9], 3
	v_cmp_le_i32_e64 s0, v0, v7
	s_add_u32 s3, s4, s8
	s_addc_u32 s4, s5, s9
	v_lshlrev_b64 v[1:2], 3, v[1:2]
	s_delay_alu instid0(VALU_DEP_2) | instskip(NEXT) | instid1(VALU_DEP_1)
	s_and_b32 s0, vcc_lo, s0
	v_add_co_u32 v4, s1, s3, v1
	s_delay_alu instid0(VALU_DEP_1)
	v_add_co_ci_u32_e64 v11, s1, s4, v2, s1
	s_and_saveexec_b32 s1, s0
	s_cbranch_execz .LBB1263_6
; %bb.4:
	v_ashrrev_i32_e32 v1, 31, v0
	v_mul_f32_e32 v16, s18, v15
	v_mul_f32_e32 v3, s19, v15
	s_delay_alu instid0(VALU_DEP_3) | instskip(NEXT) | instid1(VALU_DEP_3)
	v_lshlrev_b64 v[1:2], 3, v[0:1]
	v_fmac_f32_e32 v16, s19, v14
	s_delay_alu instid0(VALU_DEP_3) | instskip(NEXT) | instid1(VALU_DEP_3)
	v_fma_f32 v15, v14, s18, -v3
	v_add_co_u32 v1, s0, v4, v1
	s_delay_alu instid0(VALU_DEP_1)
	v_add_co_ci_u32_e64 v2, s0, v11, v2, s0
	v_cmp_eq_u32_e64 s0, v7, v0
	global_store_b64 v[1:2], v[15:16], off
	s_and_b32 exec_lo, exec_lo, s0
	s_cbranch_execz .LBB1263_6
; %bb.5:
	v_mov_b32_e32 v3, 0
	global_store_b32 v[1:2], v3, off offset:4
.LBB1263_6:
	s_or_b32 exec_lo, exec_lo, s1
	v_add_nc_u32_e32 v2, 16, v0
	s_delay_alu instid0(VALU_DEP_1) | instskip(NEXT) | instid1(VALU_DEP_1)
	v_cmp_le_i32_e64 s0, v2, v7
	s_and_b32 s1, vcc_lo, s0
	s_delay_alu instid0(SALU_CYCLE_1)
	s_and_saveexec_b32 s0, s1
	s_cbranch_execz .LBB1263_9
; %bb.7:
	v_ashrrev_i32_e32 v3, 31, v2
	v_mul_f32_e32 v1, s19, v13
	v_mul_f32_e32 v13, s18, v13
	s_delay_alu instid0(VALU_DEP_3) | instskip(NEXT) | instid1(VALU_DEP_3)
	v_lshlrev_b64 v[14:15], 3, v[2:3]
	v_fma_f32 v12, v10, s18, -v1
	s_delay_alu instid0(VALU_DEP_3) | instskip(NEXT) | instid1(VALU_DEP_3)
	v_fmac_f32_e32 v13, s19, v10
	v_add_co_u32 v3, vcc_lo, v4, v14
	s_delay_alu instid0(VALU_DEP_4)
	v_add_co_ci_u32_e32 v4, vcc_lo, v11, v15, vcc_lo
	v_cmp_eq_u32_e32 vcc_lo, v7, v2
	global_store_b64 v[3:4], v[12:13], off
	s_and_b32 exec_lo, exec_lo, vcc_lo
	s_cbranch_execz .LBB1263_9
; %bb.8:
	v_mov_b32_e32 v1, 0
	global_store_b32 v[3:4], v1, off offset:4
.LBB1263_9:
	s_or_b32 exec_lo, exec_lo, s0
	v_add_nc_u32_e32 v12, 16, v7
	s_delay_alu instid0(VALU_DEP_1) | instskip(SKIP_3) | instid1(VALU_DEP_4)
	v_ashrrev_i32_e32 v1, 31, v12
	v_mul_lo_u32 v10, v12, s7
	v_mad_u64_u32 v[3:4], null, v12, s6, 0
	v_cmp_gt_i32_e32 vcc_lo, s2, v12
	v_mul_lo_u32 v1, v1, s6
	v_cmp_le_i32_e64 s0, v0, v12
	s_delay_alu instid0(VALU_DEP_1) | instskip(NEXT) | instid1(VALU_DEP_2)
	s_and_b32 s0, vcc_lo, s0
	v_add3_u32 v4, v4, v10, v1
	s_delay_alu instid0(VALU_DEP_1) | instskip(NEXT) | instid1(VALU_DEP_1)
	v_lshlrev_b64 v[3:4], 3, v[3:4]
	v_add_co_u32 v10, s1, s3, v3
	s_delay_alu instid0(VALU_DEP_1)
	v_add_co_ci_u32_e64 v11, s1, s4, v4, s1
	s_and_saveexec_b32 s1, s0
	s_cbranch_execz .LBB1263_12
; %bb.10:
	v_ashrrev_i32_e32 v1, 31, v0
	v_mul_f32_e32 v14, s18, v9
	v_mul_f32_e32 v13, s19, v9
	s_delay_alu instid0(VALU_DEP_3) | instskip(NEXT) | instid1(VALU_DEP_3)
	v_lshlrev_b64 v[3:4], 3, v[0:1]
	v_fmac_f32_e32 v14, s19, v8
	s_delay_alu instid0(VALU_DEP_3) | instskip(NEXT) | instid1(VALU_DEP_3)
	v_fma_f32 v13, v8, s18, -v13
	v_add_co_u32 v3, s0, v10, v3
	s_delay_alu instid0(VALU_DEP_1)
	v_add_co_ci_u32_e64 v4, s0, v11, v4, s0
	v_cmp_eq_u32_e64 s0, v12, v0
	global_store_b64 v[3:4], v[13:14], off
	s_and_b32 exec_lo, exec_lo, s0
	s_cbranch_execz .LBB1263_12
; %bb.11:
	v_mov_b32_e32 v1, 0
	global_store_b32 v[3:4], v1, off offset:4
.LBB1263_12:
	s_or_b32 exec_lo, exec_lo, s1
	v_cmp_le_i32_e64 s0, v2, v12
	s_delay_alu instid0(VALU_DEP_1) | instskip(NEXT) | instid1(SALU_CYCLE_1)
	s_and_b32 s0, vcc_lo, s0
	s_and_saveexec_b32 s1, s0
	s_cbranch_execz .LBB1263_15
; %bb.13:
	v_ashrrev_i32_e32 v3, 31, v2
	v_mul_f32_e32 v8, s19, v6
	v_mul_f32_e32 v4, s18, v6
	s_delay_alu instid0(VALU_DEP_3) | instskip(NEXT) | instid1(VALU_DEP_3)
	v_lshlrev_b64 v[1:2], 3, v[2:3]
	v_fma_f32 v3, v5, s18, -v8
	s_delay_alu instid0(VALU_DEP_3) | instskip(NEXT) | instid1(VALU_DEP_3)
	v_fmac_f32_e32 v4, s19, v5
	v_add_co_u32 v1, vcc_lo, v10, v1
	s_delay_alu instid0(VALU_DEP_4)
	v_add_co_ci_u32_e32 v2, vcc_lo, v11, v2, vcc_lo
	v_cmp_eq_u32_e32 vcc_lo, v7, v0
	global_store_b64 v[1:2], v[3:4], off
	s_and_b32 exec_lo, exec_lo, vcc_lo
	s_cbranch_execz .LBB1263_15
; %bb.14:
	v_mov_b32_e32 v0, 0
	global_store_b32 v[1:2], v0, off offset:4
.LBB1263_15:
	s_nop 0
	s_sendmsg sendmsg(MSG_DEALLOC_VGPRS)
	s_endpgm
	.section	.rodata,"a",@progbits
	.p2align	6, 0x0
	.amdhsa_kernel _ZL37rocblas_syrkx_herkx_restricted_kernelIl19rocblas_complex_numIfELi16ELi32ELi8ELb1ELb1ELc78ELc85EKS1_S1_EviT_T0_PT8_S3_lS6_S3_lS4_PT9_S3_li
		.amdhsa_group_segment_fixed_size 4096
		.amdhsa_private_segment_fixed_size 0
		.amdhsa_kernarg_size 108
		.amdhsa_user_sgpr_count 13
		.amdhsa_user_sgpr_dispatch_ptr 0
		.amdhsa_user_sgpr_queue_ptr 0
		.amdhsa_user_sgpr_kernarg_segment_ptr 1
		.amdhsa_user_sgpr_dispatch_id 0
		.amdhsa_user_sgpr_private_segment_size 0
		.amdhsa_wavefront_size32 1
		.amdhsa_uses_dynamic_stack 0
		.amdhsa_enable_private_segment 0
		.amdhsa_system_sgpr_workgroup_id_x 1
		.amdhsa_system_sgpr_workgroup_id_y 1
		.amdhsa_system_sgpr_workgroup_id_z 1
		.amdhsa_system_sgpr_workgroup_info 0
		.amdhsa_system_vgpr_workitem_id 1
		.amdhsa_next_free_vgpr 92
		.amdhsa_next_free_sgpr 32
		.amdhsa_reserve_vcc 1
		.amdhsa_float_round_mode_32 0
		.amdhsa_float_round_mode_16_64 0
		.amdhsa_float_denorm_mode_32 3
		.amdhsa_float_denorm_mode_16_64 3
		.amdhsa_dx10_clamp 1
		.amdhsa_ieee_mode 1
		.amdhsa_fp16_overflow 0
		.amdhsa_workgroup_processor_mode 1
		.amdhsa_memory_ordered 1
		.amdhsa_forward_progress 0
		.amdhsa_shared_vgpr_count 0
		.amdhsa_exception_fp_ieee_invalid_op 0
		.amdhsa_exception_fp_denorm_src 0
		.amdhsa_exception_fp_ieee_div_zero 0
		.amdhsa_exception_fp_ieee_overflow 0
		.amdhsa_exception_fp_ieee_underflow 0
		.amdhsa_exception_fp_ieee_inexact 0
		.amdhsa_exception_int_div_zero 0
	.end_amdhsa_kernel
	.section	.text._ZL37rocblas_syrkx_herkx_restricted_kernelIl19rocblas_complex_numIfELi16ELi32ELi8ELb1ELb1ELc78ELc85EKS1_S1_EviT_T0_PT8_S3_lS6_S3_lS4_PT9_S3_li,"axG",@progbits,_ZL37rocblas_syrkx_herkx_restricted_kernelIl19rocblas_complex_numIfELi16ELi32ELi8ELb1ELb1ELc78ELc85EKS1_S1_EviT_T0_PT8_S3_lS6_S3_lS4_PT9_S3_li,comdat
.Lfunc_end1263:
	.size	_ZL37rocblas_syrkx_herkx_restricted_kernelIl19rocblas_complex_numIfELi16ELi32ELi8ELb1ELb1ELc78ELc85EKS1_S1_EviT_T0_PT8_S3_lS6_S3_lS4_PT9_S3_li, .Lfunc_end1263-_ZL37rocblas_syrkx_herkx_restricted_kernelIl19rocblas_complex_numIfELi16ELi32ELi8ELb1ELb1ELc78ELc85EKS1_S1_EviT_T0_PT8_S3_lS6_S3_lS4_PT9_S3_li
                                        ; -- End function
	.section	.AMDGPU.csdata,"",@progbits
; Kernel info:
; codeLenInByte = 2340
; NumSgprs: 34
; NumVgprs: 92
; ScratchSize: 0
; MemoryBound: 0
; FloatMode: 240
; IeeeMode: 1
; LDSByteSize: 4096 bytes/workgroup (compile time only)
; SGPRBlocks: 4
; VGPRBlocks: 11
; NumSGPRsForWavesPerEU: 34
; NumVGPRsForWavesPerEU: 92
; Occupancy: 16
; WaveLimiterHint : 1
; COMPUTE_PGM_RSRC2:SCRATCH_EN: 0
; COMPUTE_PGM_RSRC2:USER_SGPR: 13
; COMPUTE_PGM_RSRC2:TRAP_HANDLER: 0
; COMPUTE_PGM_RSRC2:TGID_X_EN: 1
; COMPUTE_PGM_RSRC2:TGID_Y_EN: 1
; COMPUTE_PGM_RSRC2:TGID_Z_EN: 1
; COMPUTE_PGM_RSRC2:TIDIG_COMP_CNT: 1
	.section	.text._ZL37rocblas_syrkx_herkx_restricted_kernelIl19rocblas_complex_numIfELi16ELi32ELi8ELb0ELb1ELc84ELc76EKS1_S1_EviT_T0_PT8_S3_lS6_S3_lS4_PT9_S3_li,"axG",@progbits,_ZL37rocblas_syrkx_herkx_restricted_kernelIl19rocblas_complex_numIfELi16ELi32ELi8ELb0ELb1ELc84ELc76EKS1_S1_EviT_T0_PT8_S3_lS6_S3_lS4_PT9_S3_li,comdat
	.globl	_ZL37rocblas_syrkx_herkx_restricted_kernelIl19rocblas_complex_numIfELi16ELi32ELi8ELb0ELb1ELc84ELc76EKS1_S1_EviT_T0_PT8_S3_lS6_S3_lS4_PT9_S3_li ; -- Begin function _ZL37rocblas_syrkx_herkx_restricted_kernelIl19rocblas_complex_numIfELi16ELi32ELi8ELb0ELb1ELc84ELc76EKS1_S1_EviT_T0_PT8_S3_lS6_S3_lS4_PT9_S3_li
	.p2align	8
	.type	_ZL37rocblas_syrkx_herkx_restricted_kernelIl19rocblas_complex_numIfELi16ELi32ELi8ELb0ELb1ELc84ELc76EKS1_S1_EviT_T0_PT8_S3_lS6_S3_lS4_PT9_S3_li,@function
_ZL37rocblas_syrkx_herkx_restricted_kernelIl19rocblas_complex_numIfELi16ELi32ELi8ELb0ELb1ELc84ELc76EKS1_S1_EviT_T0_PT8_S3_lS6_S3_lS4_PT9_S3_li: ; @_ZL37rocblas_syrkx_herkx_restricted_kernelIl19rocblas_complex_numIfELi16ELi32ELi8ELb0ELb1ELc84ELc76EKS1_S1_EviT_T0_PT8_S3_lS6_S3_lS4_PT9_S3_li
; %bb.0:
	s_load_b512 s[16:31], s[0:1], 0x8
	v_dual_mov_b32 v14, 0 :: v_dual_mov_b32 v11, 0
	v_dual_mov_b32 v16, 0 :: v_dual_mov_b32 v9, 0
	;; [unrolled: 1-line block ×4, first 2 shown]
	v_and_b32_e32 v6, 0x3ff, v0
	v_bfe_u32 v10, v0, 10, 10
	s_lshl_b32 s12, s13, 5
	s_lshl_b32 s13, s14, 5
	s_waitcnt lgkmcnt(0)
	v_cmp_lt_i64_e64 s2, s[16:17], 1
	s_delay_alu instid0(VALU_DEP_1)
	s_and_b32 vcc_lo, exec_lo, s2
	s_cbranch_vccnz .LBB1264_3
; %bb.1:
	v_lshl_add_u32 v2, v10, 4, v6
	v_dual_mov_b32 v1, 0 :: v_dual_and_b32 v0, 7, v6
	s_mul_i32 s3, s25, s15
	s_mul_hi_u32 s4, s24, s15
	s_delay_alu instid0(VALU_DEP_2)
	v_and_b32_e32 v9, 31, v2
	v_lshrrev_b32_e32 v11, 3, v2
	v_lshrrev_b32_e32 v2, 5, v2
	v_lshlrev_b32_e32 v14, 3, v0
	s_mul_i32 s2, s24, s15
	v_add_nc_u32_e32 v7, s12, v9
	v_dual_mov_b32 v3, v1 :: v_dual_add_nc_u32 v12, s13, v11
	s_add_i32 s3, s4, s3
	s_mul_hi_u32 s5, s30, s15
	s_delay_alu instid0(VALU_DEP_2) | instskip(NEXT) | instid1(VALU_DEP_2)
	v_ashrrev_i32_e32 v8, 31, v7
	v_ashrrev_i32_e32 v15, 31, v12
	v_mad_u64_u32 v[4:5], null, s22, v7, v[2:3]
	v_mul_lo_u32 v3, s23, v7
	s_delay_alu instid0(VALU_DEP_4)
	v_mul_lo_u32 v16, s22, v8
	v_mul_lo_u32 v17, v12, s29
	v_mad_u64_u32 v[7:8], null, v12, s28, v[0:1]
	v_mul_lo_u32 v12, v15, s28
	s_lshl_b64 s[2:3], s[2:3], 3
	v_lshlrev_b32_e32 v13, 3, v6
	s_add_u32 s4, s20, s2
	v_add3_u32 v5, v3, v5, v16
	s_mul_i32 s2, s31, s15
	s_addc_u32 s6, s21, s3
	s_add_i32 s3, s5, s2
	v_add3_u32 v8, v12, v8, v17
	v_mov_b32_e32 v12, v1
	v_lshlrev_b32_e32 v0, 3, v9
	s_mul_i32 s2, s30, s15
	v_lshl_add_u32 v17, v10, 6, 0x800
	s_lshl_b64 s[2:3], s[2:3], 3
	v_mov_b32_e32 v16, v1
	v_lshl_or_b32 v0, v2, 8, v0
	v_lshlrev_b64 v[2:3], 3, v[4:5]
	v_lshlrev_b64 v[4:5], 3, v[7:8]
	s_add_u32 s2, s26, s2
	s_addc_u32 s3, s27, s3
	v_mov_b32_e32 v7, v1
	v_lshl_or_b32 v9, v11, 6, v14
	v_add_co_u32 v2, vcc_lo, s4, v2
	v_add_co_ci_u32_e32 v3, vcc_lo, s6, v3, vcc_lo
	v_add_co_u32 v4, vcc_lo, s2, v4
	v_add_co_ci_u32_e32 v5, vcc_lo, s3, v5, vcc_lo
	s_delay_alu instid0(VALU_DEP_4) | instskip(NEXT) | instid1(VALU_DEP_4)
	v_add_co_u32 v2, vcc_lo, v2, 4
	v_add_co_ci_u32_e32 v3, vcc_lo, 0, v3, vcc_lo
	s_delay_alu instid0(VALU_DEP_4)
	v_add_co_u32 v4, vcc_lo, v4, 4
	v_dual_mov_b32 v14, v1 :: v_dual_add_nc_u32 v15, 0x800, v9
	v_add_co_ci_u32_e32 v5, vcc_lo, 0, v5, vcc_lo
	v_mov_b32_e32 v9, v1
	v_mov_b32_e32 v8, v1
	;; [unrolled: 1-line block ×3, first 2 shown]
	s_mov_b64 s[2:3], 0
.LBB1264_2:                             ; =>This Inner Loop Header: Depth=1
	global_load_b64 v[18:19], v[2:3], off offset:-4
	global_load_b64 v[20:21], v[4:5], off offset:-4
	s_add_u32 s2, s2, 8
	v_add_co_u32 v2, vcc_lo, v2, 64
	s_addc_u32 s3, s3, 0
	v_add_co_ci_u32_e32 v3, vcc_lo, 0, v3, vcc_lo
	v_cmp_ge_u64_e64 s4, s[2:3], s[16:17]
	v_add_co_u32 v4, vcc_lo, v4, 64
	v_add_co_ci_u32_e32 v5, vcc_lo, 0, v5, vcc_lo
	s_waitcnt vmcnt(1)
	ds_store_b64 v0, v[18:19]
	s_waitcnt vmcnt(0)
	ds_store_b64 v15, v[20:21]
	s_waitcnt lgkmcnt(0)
	s_barrier
	buffer_gl0_inv
	ds_load_2addr_b64 v[18:21], v13 offset1:16
	ds_load_b128 v[22:25], v17
	ds_load_b128 v[26:29], v17 offset:1024
	ds_load_b128 v[30:33], v17 offset:16
	;; [unrolled: 1-line block ×4, first 2 shown]
	ds_load_2addr_b64 v[42:45], v13 offset0:32 offset1:48
	ds_load_2addr_b64 v[46:49], v13 offset0:64 offset1:80
	ds_load_b128 v[50:53], v17 offset:1040
	ds_load_2addr_b64 v[54:57], v13 offset0:96 offset1:112
	ds_load_2addr_b64 v[58:61], v13 offset0:128 offset1:144
	;; [unrolled: 1-line block ×4, first 2 shown]
	ds_load_b128 v[70:73], v17 offset:1056
	ds_load_b128 v[74:77], v17 offset:1072
	ds_load_2addr_b64 v[78:81], v13 offset0:224 offset1:240
	s_and_b32 vcc_lo, exec_lo, s4
	s_waitcnt lgkmcnt(0)
	s_barrier
	buffer_gl0_inv
	v_dual_mul_f32 v82, v23, v19 :: v_dual_mul_f32 v85, v22, v21
	v_dual_mul_f32 v83, v22, v19 :: v_dual_mul_f32 v84, v23, v21
	v_mul_f32_e32 v86, v27, v19
	v_dual_mul_f32 v19, v26, v19 :: v_dual_mul_f32 v90, v25, v45
	v_dual_mul_f32 v87, v27, v21 :: v_dual_mul_f32 v88, v25, v43
	v_mul_f32_e32 v21, v26, v21
	v_fma_f32 v82, v22, v18, -v82
	v_fmac_f32_e32 v83, v23, v18
	v_fma_f32 v22, v22, v20, -v84
	v_fmac_f32_e32 v85, v23, v20
	v_fma_f32 v23, v26, v18, -v86
	v_dual_fmac_f32 v19, v27, v18 :: v_dual_mul_f32 v86, v30, v47
	v_fma_f32 v18, v26, v20, -v87
	v_dual_fmac_f32 v21, v27, v20 :: v_dual_mul_f32 v20, v24, v45
	v_mul_f32_e32 v89, v24, v43
	v_mul_f32_e32 v26, v29, v43
	;; [unrolled: 1-line block ×4, first 2 shown]
	v_fmac_f32_e32 v20, v25, v44
	v_fmac_f32_e32 v89, v25, v42
	v_dual_mul_f32 v25, v28, v45 :: v_dual_fmac_f32 v86, v31, v46
	v_fma_f32 v84, v24, v42, -v88
	v_fma_f32 v24, v24, v44, -v90
	v_dual_mul_f32 v45, v31, v47 :: v_dual_mul_f32 v90, v33, v57
	v_fma_f32 v26, v28, v42, -v26
	v_fma_f32 v28, v28, v44, -v43
	v_fmac_f32_e32 v25, v29, v44
	v_dual_mul_f32 v43, v50, v47 :: v_dual_mul_f32 v44, v51, v49
	v_dual_fmac_f32 v27, v29, v42 :: v_dual_mul_f32 v42, v51, v47
	v_dual_mul_f32 v88, v32, v55 :: v_dual_mul_f32 v29, v30, v49
	v_mul_f32_e32 v87, v31, v49
	v_fma_f32 v45, v30, v46, -v45
	v_add_f32_e32 v14, v14, v82
	s_delay_alu instid0(VALU_DEP_4)
	v_dual_fmac_f32 v88, v33, v54 :: v_dual_fmac_f32 v29, v31, v48
	v_fma_f32 v31, v50, v46, -v42
	v_fma_f32 v42, v50, v48, -v44
	v_mul_f32_e32 v44, v32, v57
	v_mul_f32_e32 v47, v50, v49
	v_dual_mul_f32 v50, v53, v57 :: v_dual_fmac_f32 v43, v51, v46
	v_mul_f32_e32 v46, v53, v55
	v_mul_f32_e32 v49, v33, v55
	v_fma_f32 v30, v30, v48, -v87
	v_fmac_f32_e32 v44, v33, v56
	v_dual_fmac_f32 v47, v51, v48 :: v_dual_mul_f32 v48, v52, v55
	v_mul_f32_e32 v33, v52, v57
	v_fma_f32 v46, v52, v54, -v46
	v_fma_f32 v50, v52, v56, -v50
	v_mul_f32_e32 v52, v34, v61
	v_fma_f32 v49, v32, v54, -v49
	v_fma_f32 v32, v32, v56, -v90
	v_dual_mul_f32 v51, v35, v59 :: v_dual_fmac_f32 v48, v53, v54
	v_mul_f32_e32 v54, v70, v59
	v_dual_mul_f32 v55, v34, v59 :: v_dual_fmac_f32 v52, v35, v60
	v_fmac_f32_e32 v33, v53, v56
	v_mul_f32_e32 v53, v71, v59
	v_mul_f32_e32 v56, v71, v61
	;; [unrolled: 1-line block ×3, first 2 shown]
	v_fmac_f32_e32 v54, v71, v58
	v_fmac_f32_e32 v55, v35, v58
	v_fma_f32 v35, v70, v58, -v53
	v_fma_f32 v53, v70, v60, -v56
	v_mul_f32_e32 v56, v36, v65
	v_mul_f32_e32 v59, v70, v61
	v_fma_f32 v51, v34, v58, -v51
	v_mul_f32_e32 v58, v72, v63
	v_mul_f32_e32 v87, v36, v63
	v_mul_f32_e32 v61, v37, v63
	v_mul_f32_e32 v90, v37, v65
	v_fma_f32 v34, v34, v60, -v57
	v_mul_f32_e32 v57, v73, v63
	v_fmac_f32_e32 v56, v37, v64
	v_dual_fmac_f32 v59, v71, v60 :: v_dual_mul_f32 v60, v73, v65
	v_mul_f32_e32 v63, v39, v67
	v_mul_f32_e32 v70, v39, v69
	v_fmac_f32_e32 v58, v73, v62
	v_fmac_f32_e32 v87, v37, v62
	v_mul_f32_e32 v37, v72, v65
	v_mul_f32_e32 v65, v38, v67
	;; [unrolled: 1-line block ×3, first 2 shown]
	v_fma_f32 v61, v36, v62, -v61
	v_fma_f32 v36, v36, v64, -v90
	;; [unrolled: 1-line block ×4, first 2 shown]
	v_dual_fmac_f32 v37, v73, v64 :: v_dual_mul_f32 v62, v38, v69
	v_mul_f32_e32 v64, v75, v67
	v_dual_mul_f32 v73, v40, v79 :: v_dual_add_f32 v14, v14, v84
	v_fma_f32 v63, v38, v66, -v63
	v_dual_fmac_f32 v65, v39, v66 :: v_dual_add_f32 v12, v12, v85
	v_fma_f32 v38, v38, v68, -v70
	v_mul_f32_e32 v70, v76, v79
	v_mul_f32_e32 v67, v74, v67
	v_dual_mul_f32 v69, v74, v69 :: v_dual_add_f32 v16, v16, v83
	v_fmac_f32_e32 v62, v39, v68
	v_fma_f32 v39, v74, v66, -v64
	v_fma_f32 v64, v74, v68, -v71
	v_dual_mul_f32 v71, v77, v81 :: v_dual_add_f32 v12, v12, v20
	v_dual_fmac_f32 v73, v41, v78 :: v_dual_add_f32 v14, v14, v45
	v_fmac_f32_e32 v70, v77, v78
	v_dual_fmac_f32 v67, v75, v66 :: v_dual_add_f32 v8, v8, v23
	v_dual_mul_f32 v66, v40, v81 :: v_dual_add_f32 v11, v11, v22
	v_add_f32_e32 v12, v12, v29
	v_mul_f32_e32 v72, v41, v79
	v_dual_mul_f32 v90, v41, v81 :: v_dual_fmac_f32 v69, v75, v68
	v_add_f32_e32 v16, v16, v89
	v_fmac_f32_e32 v66, v41, v80
	v_dual_add_f32 v11, v11, v24 :: v_dual_add_f32 v14, v14, v49
	v_mul_f32_e32 v41, v76, v81
	s_delay_alu instid0(VALU_DEP_4) | instskip(SKIP_1) | instid1(VALU_DEP_4)
	v_dual_add_f32 v9, v9, v19 :: v_dual_add_f32 v16, v16, v86
	v_dual_add_f32 v1, v1, v21 :: v_dual_add_f32 v8, v8, v26
	;; [unrolled: 1-line block ×3, first 2 shown]
	s_delay_alu instid0(VALU_DEP_4) | instskip(NEXT) | instid1(VALU_DEP_4)
	v_fmac_f32_e32 v41, v77, v80
	v_dual_add_f32 v9, v9, v27 :: v_dual_add_f32 v12, v12, v44
	s_delay_alu instid0(VALU_DEP_3) | instskip(SKIP_1) | instid1(VALU_DEP_3)
	v_dual_add_f32 v8, v8, v31 :: v_dual_add_f32 v7, v7, v28
	v_dual_add_f32 v16, v16, v88 :: v_dual_add_f32 v1, v1, v25
	;; [unrolled: 1-line block ×3, first 2 shown]
	s_delay_alu instid0(VALU_DEP_4) | instskip(NEXT) | instid1(VALU_DEP_4)
	v_dual_add_f32 v9, v9, v43 :: v_dual_add_f32 v14, v14, v61
	v_add_f32_e32 v8, v8, v46
	s_delay_alu instid0(VALU_DEP_4) | instskip(NEXT) | instid1(VALU_DEP_4)
	v_dual_add_f32 v7, v7, v42 :: v_dual_add_f32 v16, v16, v55
	v_dual_add_f32 v1, v1, v47 :: v_dual_add_f32 v12, v12, v56
	s_delay_alu instid0(VALU_DEP_3) | instskip(NEXT) | instid1(VALU_DEP_3)
	v_dual_add_f32 v11, v11, v32 :: v_dual_add_f32 v8, v8, v35
	v_dual_add_f32 v16, v16, v87 :: v_dual_add_f32 v9, v9, v48
	s_delay_alu instid0(VALU_DEP_4) | instskip(NEXT) | instid1(VALU_DEP_4)
	v_dual_add_f32 v7, v7, v50 :: v_dual_add_f32 v14, v14, v63
	v_dual_add_f32 v1, v1, v33 :: v_dual_add_f32 v12, v12, v62
	v_mul_f32_e32 v68, v77, v79
	v_fma_f32 v72, v40, v78, -v72
	v_dual_add_f32 v11, v11, v34 :: v_dual_add_f32 v16, v16, v65
	v_add_f32_e32 v7, v7, v53
	v_dual_add_f32 v1, v1, v59 :: v_dual_add_f32 v8, v8, v57
	v_add_f32_e32 v9, v9, v54
	v_fma_f32 v68, v76, v78, -v68
	v_dual_add_f32 v11, v11, v36 :: v_dual_add_f32 v12, v12, v66
	s_delay_alu instid0(VALU_DEP_3) | instskip(SKIP_2) | instid1(VALU_DEP_3)
	v_dual_add_f32 v8, v8, v39 :: v_dual_add_f32 v9, v9, v58
	v_add_f32_e32 v14, v14, v72
	v_dual_add_f32 v7, v7, v60 :: v_dual_add_f32 v16, v16, v73
	v_dual_add_f32 v8, v8, v68 :: v_dual_add_f32 v1, v1, v37
	v_fma_f32 v40, v40, v80, -v90
	v_fma_f32 v71, v76, v80, -v71
	v_add_f32_e32 v11, v11, v38
	v_add_f32_e32 v9, v9, v67
	;; [unrolled: 1-line block ×4, first 2 shown]
	s_delay_alu instid0(VALU_DEP_4) | instskip(NEXT) | instid1(VALU_DEP_4)
	v_add_f32_e32 v11, v11, v40
	v_add_f32_e32 v9, v9, v70
	s_delay_alu instid0(VALU_DEP_4) | instskip(NEXT) | instid1(VALU_DEP_4)
	v_add_f32_e32 v7, v7, v71
	v_add_f32_e32 v1, v1, v41
	s_cbranch_vccz .LBB1264_2
.LBB1264_3:
	s_load_b256 s[4:11], s[0:1], 0x48
	v_add_nc_u32_e32 v0, s13, v10
	s_load_b32 s13, s[0:1], 0x0
	s_delay_alu instid0(VALU_DEP_1) | instskip(SKIP_3) | instid1(VALU_DEP_3)
	v_ashrrev_i32_e32 v2, 31, v0
	s_waitcnt lgkmcnt(0)
	v_mul_lo_u32 v5, v0, s9
	v_mad_u64_u32 v[3:4], null, v0, s8, 0
	v_mul_lo_u32 v2, v2, s8
	s_mul_i32 s1, s15, s11
	s_mul_hi_u32 s2, s15, s10
	s_mul_i32 s0, s15, s10
	s_add_i32 s1, s2, s1
	s_delay_alu instid0(SALU_CYCLE_1) | instskip(NEXT) | instid1(VALU_DEP_1)
	s_lshl_b64 s[2:3], s[0:1], 3
	v_add3_u32 v4, v4, v5, v2
	v_add_nc_u32_e32 v2, s12, v6
	s_add_u32 s2, s6, s2
	s_addc_u32 s3, s7, s3
	s_delay_alu instid0(VALU_DEP_2) | instskip(NEXT) | instid1(VALU_DEP_2)
	v_lshlrev_b64 v[3:4], 3, v[3:4]
	v_cmp_le_i32_e64 s0, v0, v2
	v_cmp_gt_i32_e32 vcc_lo, s13, v2
	s_delay_alu instid0(VALU_DEP_3) | instskip(NEXT) | instid1(VALU_DEP_1)
	v_add_co_u32 v6, s1, s2, v3
	v_add_co_ci_u32_e64 v10, s1, s3, v4, s1
	s_delay_alu instid0(VALU_DEP_4) | instskip(NEXT) | instid1(SALU_CYCLE_1)
	s_and_b32 s0, s0, vcc_lo
	s_and_saveexec_b32 s1, s0
	s_cbranch_execz .LBB1264_6
; %bb.4:
	v_ashrrev_i32_e32 v3, 31, v2
	s_delay_alu instid0(VALU_DEP_1) | instskip(NEXT) | instid1(VALU_DEP_1)
	v_lshlrev_b64 v[3:4], 3, v[2:3]
	v_add_co_u32 v3, s0, v6, v3
	s_delay_alu instid0(VALU_DEP_1)
	v_add_co_ci_u32_e64 v4, s0, v10, v4, s0
	v_cmp_eq_u32_e64 s0, v0, v2
	global_load_b64 v[17:18], v[3:4], off
	v_mul_f32_e32 v5, s19, v16
	s_waitcnt vmcnt(0)
	v_dual_mul_f32 v15, s18, v16 :: v_dual_mul_f32 v16, s4, v18
	s_delay_alu instid0(VALU_DEP_2) | instskip(NEXT) | instid1(VALU_DEP_2)
	v_fma_f32 v5, v14, s18, -v5
	v_dual_fmac_f32 v16, s5, v17 :: v_dual_fmac_f32 v15, s19, v14
	s_delay_alu instid0(VALU_DEP_1) | instskip(NEXT) | instid1(VALU_DEP_1)
	v_dual_mul_f32 v13, s5, v18 :: v_dual_add_f32 v14, v15, v16
	v_fma_f32 v13, v17, s4, -v13
	s_delay_alu instid0(VALU_DEP_1)
	v_add_f32_e32 v13, v5, v13
	global_store_b64 v[3:4], v[13:14], off
	s_and_b32 exec_lo, exec_lo, s0
	s_cbranch_execz .LBB1264_6
; %bb.5:
	v_mov_b32_e32 v5, 0
	global_store_b32 v[3:4], v5, off offset:4
.LBB1264_6:
	s_or_b32 exec_lo, exec_lo, s1
	v_add_nc_u32_e32 v4, 16, v2
	s_delay_alu instid0(VALU_DEP_1) | instskip(SKIP_1) | instid1(VALU_DEP_1)
	v_cmp_le_i32_e64 s1, v0, v4
	v_cmp_gt_i32_e64 s0, s13, v4
	s_and_b32 s1, s1, s0
	s_delay_alu instid0(SALU_CYCLE_1)
	s_and_saveexec_b32 s6, s1
	s_cbranch_execz .LBB1264_9
; %bb.7:
	v_ashrrev_i32_e32 v5, 31, v4
	s_delay_alu instid0(VALU_DEP_1) | instskip(NEXT) | instid1(VALU_DEP_1)
	v_lshlrev_b64 v[13:14], 3, v[4:5]
	v_add_co_u32 v5, s1, v6, v13
	s_delay_alu instid0(VALU_DEP_1) | instskip(SKIP_4) | instid1(VALU_DEP_1)
	v_add_co_ci_u32_e64 v6, s1, v10, v14, s1
	v_cmp_eq_u32_e64 s1, v0, v4
	global_load_b64 v[13:14], v[5:6], off
	v_mul_f32_e32 v3, s19, v12
	v_mul_f32_e32 v12, s18, v12
	v_fmac_f32_e32 v12, s19, v11
	s_waitcnt vmcnt(0)
	v_mul_f32_e32 v10, s5, v14
	v_mul_f32_e32 v14, s4, v14
	v_fma_f32 v3, v11, s18, -v3
	s_delay_alu instid0(VALU_DEP_3) | instskip(NEXT) | instid1(VALU_DEP_3)
	v_fma_f32 v10, v13, s4, -v10
	v_fmac_f32_e32 v14, s5, v13
	s_delay_alu instid0(VALU_DEP_2) | instskip(NEXT) | instid1(VALU_DEP_2)
	v_add_f32_e32 v10, v3, v10
	v_add_f32_e32 v11, v12, v14
	global_store_b64 v[5:6], v[10:11], off
	s_and_b32 exec_lo, exec_lo, s1
	s_cbranch_execz .LBB1264_9
; %bb.8:
	v_mov_b32_e32 v3, 0
	global_store_b32 v[5:6], v3, off offset:4
.LBB1264_9:
	s_or_b32 exec_lo, exec_lo, s6
	v_add_nc_u32_e32 v12, 16, v0
	s_delay_alu instid0(VALU_DEP_1) | instskip(SKIP_3) | instid1(VALU_DEP_4)
	v_ashrrev_i32_e32 v3, 31, v12
	v_mul_lo_u32 v10, v12, s9
	v_mad_u64_u32 v[5:6], null, v12, s8, 0
	v_cmp_le_i32_e64 s1, v12, v2
	v_mul_lo_u32 v3, v3, s8
	s_delay_alu instid0(VALU_DEP_1) | instskip(NEXT) | instid1(VALU_DEP_1)
	v_add3_u32 v6, v6, v10, v3
	v_lshlrev_b64 v[5:6], 3, v[5:6]
	s_delay_alu instid0(VALU_DEP_1) | instskip(NEXT) | instid1(VALU_DEP_1)
	v_add_co_u32 v10, s2, s2, v5
	v_add_co_ci_u32_e64 v11, s2, s3, v6, s2
	s_and_b32 s2, s1, vcc_lo
	s_delay_alu instid0(SALU_CYCLE_1)
	s_and_saveexec_b32 s1, s2
	s_cbranch_execz .LBB1264_12
; %bb.10:
	v_ashrrev_i32_e32 v3, 31, v2
	s_delay_alu instid0(VALU_DEP_1) | instskip(NEXT) | instid1(VALU_DEP_1)
	v_lshlrev_b64 v[5:6], 3, v[2:3]
	v_add_co_u32 v5, vcc_lo, v10, v5
	s_delay_alu instid0(VALU_DEP_2)
	v_add_co_ci_u32_e32 v6, vcc_lo, v11, v6, vcc_lo
	v_cmp_eq_u32_e32 vcc_lo, v12, v2
	global_load_b64 v[13:14], v[5:6], off
	v_mul_f32_e32 v3, s19, v9
	s_waitcnt vmcnt(0)
	v_mul_f32_e32 v15, s5, v14
	v_mul_f32_e32 v14, s4, v14
	s_delay_alu instid0(VALU_DEP_3) | instskip(SKIP_1) | instid1(VALU_DEP_1)
	v_fma_f32 v3, v8, s18, -v3
	v_mul_f32_e32 v9, s18, v9
	v_dual_fmac_f32 v14, s5, v13 :: v_dual_fmac_f32 v9, s19, v8
	v_fma_f32 v8, v13, s4, -v15
	s_delay_alu instid0(VALU_DEP_1)
	v_dual_add_f32 v9, v9, v14 :: v_dual_add_f32 v8, v3, v8
	global_store_b64 v[5:6], v[8:9], off
	s_and_b32 exec_lo, exec_lo, vcc_lo
	s_cbranch_execz .LBB1264_12
; %bb.11:
	v_mov_b32_e32 v3, 0
	global_store_b32 v[5:6], v3, off offset:4
.LBB1264_12:
	s_or_b32 exec_lo, exec_lo, s1
	v_cmp_le_i32_e32 vcc_lo, v12, v4
	s_and_b32 s0, vcc_lo, s0
	s_delay_alu instid0(SALU_CYCLE_1)
	s_and_saveexec_b32 s1, s0
	s_cbranch_execz .LBB1264_15
; %bb.13:
	v_ashrrev_i32_e32 v5, 31, v4
	s_delay_alu instid0(VALU_DEP_1) | instskip(NEXT) | instid1(VALU_DEP_1)
	v_lshlrev_b64 v[3:4], 3, v[4:5]
	v_add_co_u32 v3, vcc_lo, v10, v3
	s_delay_alu instid0(VALU_DEP_2)
	v_add_co_ci_u32_e32 v4, vcc_lo, v11, v4, vcc_lo
	v_cmp_eq_u32_e32 vcc_lo, v0, v2
	global_load_b64 v[5:6], v[3:4], off
	v_mul_f32_e32 v8, s19, v1
	v_mul_f32_e32 v1, s18, v1
	s_waitcnt vmcnt(0)
	v_mul_f32_e32 v9, s5, v6
	v_mul_f32_e32 v6, s4, v6
	v_fma_f32 v8, v7, s18, -v8
	v_fmac_f32_e32 v1, s19, v7
	s_delay_alu instid0(VALU_DEP_4) | instskip(NEXT) | instid1(VALU_DEP_1)
	v_fma_f32 v7, v5, s4, -v9
	v_dual_fmac_f32 v6, s5, v5 :: v_dual_add_f32 v5, v8, v7
	s_delay_alu instid0(VALU_DEP_1)
	v_add_f32_e32 v6, v1, v6
	global_store_b64 v[3:4], v[5:6], off
	s_and_b32 exec_lo, exec_lo, vcc_lo
	s_cbranch_execz .LBB1264_15
; %bb.14:
	v_mov_b32_e32 v0, 0
	global_store_b32 v[3:4], v0, off offset:4
.LBB1264_15:
	s_nop 0
	s_sendmsg sendmsg(MSG_DEALLOC_VGPRS)
	s_endpgm
	.section	.rodata,"a",@progbits
	.p2align	6, 0x0
	.amdhsa_kernel _ZL37rocblas_syrkx_herkx_restricted_kernelIl19rocblas_complex_numIfELi16ELi32ELi8ELb0ELb1ELc84ELc76EKS1_S1_EviT_T0_PT8_S3_lS6_S3_lS4_PT9_S3_li
		.amdhsa_group_segment_fixed_size 4096
		.amdhsa_private_segment_fixed_size 0
		.amdhsa_kernarg_size 108
		.amdhsa_user_sgpr_count 13
		.amdhsa_user_sgpr_dispatch_ptr 0
		.amdhsa_user_sgpr_queue_ptr 0
		.amdhsa_user_sgpr_kernarg_segment_ptr 1
		.amdhsa_user_sgpr_dispatch_id 0
		.amdhsa_user_sgpr_private_segment_size 0
		.amdhsa_wavefront_size32 1
		.amdhsa_uses_dynamic_stack 0
		.amdhsa_enable_private_segment 0
		.amdhsa_system_sgpr_workgroup_id_x 1
		.amdhsa_system_sgpr_workgroup_id_y 1
		.amdhsa_system_sgpr_workgroup_id_z 1
		.amdhsa_system_sgpr_workgroup_info 0
		.amdhsa_system_vgpr_workitem_id 1
		.amdhsa_next_free_vgpr 91
		.amdhsa_next_free_sgpr 32
		.amdhsa_reserve_vcc 1
		.amdhsa_float_round_mode_32 0
		.amdhsa_float_round_mode_16_64 0
		.amdhsa_float_denorm_mode_32 3
		.amdhsa_float_denorm_mode_16_64 3
		.amdhsa_dx10_clamp 1
		.amdhsa_ieee_mode 1
		.amdhsa_fp16_overflow 0
		.amdhsa_workgroup_processor_mode 1
		.amdhsa_memory_ordered 1
		.amdhsa_forward_progress 0
		.amdhsa_shared_vgpr_count 0
		.amdhsa_exception_fp_ieee_invalid_op 0
		.amdhsa_exception_fp_denorm_src 0
		.amdhsa_exception_fp_ieee_div_zero 0
		.amdhsa_exception_fp_ieee_overflow 0
		.amdhsa_exception_fp_ieee_underflow 0
		.amdhsa_exception_fp_ieee_inexact 0
		.amdhsa_exception_int_div_zero 0
	.end_amdhsa_kernel
	.section	.text._ZL37rocblas_syrkx_herkx_restricted_kernelIl19rocblas_complex_numIfELi16ELi32ELi8ELb0ELb1ELc84ELc76EKS1_S1_EviT_T0_PT8_S3_lS6_S3_lS4_PT9_S3_li,"axG",@progbits,_ZL37rocblas_syrkx_herkx_restricted_kernelIl19rocblas_complex_numIfELi16ELi32ELi8ELb0ELb1ELc84ELc76EKS1_S1_EviT_T0_PT8_S3_lS6_S3_lS4_PT9_S3_li,comdat
.Lfunc_end1264:
	.size	_ZL37rocblas_syrkx_herkx_restricted_kernelIl19rocblas_complex_numIfELi16ELi32ELi8ELb0ELb1ELc84ELc76EKS1_S1_EviT_T0_PT8_S3_lS6_S3_lS4_PT9_S3_li, .Lfunc_end1264-_ZL37rocblas_syrkx_herkx_restricted_kernelIl19rocblas_complex_numIfELi16ELi32ELi8ELb0ELb1ELc84ELc76EKS1_S1_EviT_T0_PT8_S3_lS6_S3_lS4_PT9_S3_li
                                        ; -- End function
	.section	.AMDGPU.csdata,"",@progbits
; Kernel info:
; codeLenInByte = 2500
; NumSgprs: 34
; NumVgprs: 91
; ScratchSize: 0
; MemoryBound: 0
; FloatMode: 240
; IeeeMode: 1
; LDSByteSize: 4096 bytes/workgroup (compile time only)
; SGPRBlocks: 4
; VGPRBlocks: 11
; NumSGPRsForWavesPerEU: 34
; NumVGPRsForWavesPerEU: 91
; Occupancy: 16
; WaveLimiterHint : 0
; COMPUTE_PGM_RSRC2:SCRATCH_EN: 0
; COMPUTE_PGM_RSRC2:USER_SGPR: 13
; COMPUTE_PGM_RSRC2:TRAP_HANDLER: 0
; COMPUTE_PGM_RSRC2:TGID_X_EN: 1
; COMPUTE_PGM_RSRC2:TGID_Y_EN: 1
; COMPUTE_PGM_RSRC2:TGID_Z_EN: 1
; COMPUTE_PGM_RSRC2:TIDIG_COMP_CNT: 1
	.section	.text._ZL37rocblas_syrkx_herkx_restricted_kernelIl19rocblas_complex_numIfELi16ELi32ELi8ELb0ELb1ELc67ELc76EKS1_S1_EviT_T0_PT8_S3_lS6_S3_lS4_PT9_S3_li,"axG",@progbits,_ZL37rocblas_syrkx_herkx_restricted_kernelIl19rocblas_complex_numIfELi16ELi32ELi8ELb0ELb1ELc67ELc76EKS1_S1_EviT_T0_PT8_S3_lS6_S3_lS4_PT9_S3_li,comdat
	.globl	_ZL37rocblas_syrkx_herkx_restricted_kernelIl19rocblas_complex_numIfELi16ELi32ELi8ELb0ELb1ELc67ELc76EKS1_S1_EviT_T0_PT8_S3_lS6_S3_lS4_PT9_S3_li ; -- Begin function _ZL37rocblas_syrkx_herkx_restricted_kernelIl19rocblas_complex_numIfELi16ELi32ELi8ELb0ELb1ELc67ELc76EKS1_S1_EviT_T0_PT8_S3_lS6_S3_lS4_PT9_S3_li
	.p2align	8
	.type	_ZL37rocblas_syrkx_herkx_restricted_kernelIl19rocblas_complex_numIfELi16ELi32ELi8ELb0ELb1ELc67ELc76EKS1_S1_EviT_T0_PT8_S3_lS6_S3_lS4_PT9_S3_li,@function
_ZL37rocblas_syrkx_herkx_restricted_kernelIl19rocblas_complex_numIfELi16ELi32ELi8ELb0ELb1ELc67ELc76EKS1_S1_EviT_T0_PT8_S3_lS6_S3_lS4_PT9_S3_li: ; @_ZL37rocblas_syrkx_herkx_restricted_kernelIl19rocblas_complex_numIfELi16ELi32ELi8ELb0ELb1ELc67ELc76EKS1_S1_EviT_T0_PT8_S3_lS6_S3_lS4_PT9_S3_li
; %bb.0:
	s_load_b512 s[16:31], s[0:1], 0x8
	v_dual_mov_b32 v14, 0 :: v_dual_mov_b32 v11, 0
	v_dual_mov_b32 v16, 0 :: v_dual_mov_b32 v9, 0
	;; [unrolled: 1-line block ×4, first 2 shown]
	v_and_b32_e32 v6, 0x3ff, v0
	v_bfe_u32 v10, v0, 10, 10
	s_lshl_b32 s12, s13, 5
	s_lshl_b32 s13, s14, 5
	s_waitcnt lgkmcnt(0)
	v_cmp_lt_i64_e64 s2, s[16:17], 1
	s_delay_alu instid0(VALU_DEP_1)
	s_and_b32 vcc_lo, exec_lo, s2
	s_cbranch_vccnz .LBB1265_3
; %bb.1:
	v_lshl_add_u32 v2, v10, 4, v6
	v_dual_mov_b32 v1, 0 :: v_dual_and_b32 v0, 7, v6
	s_mul_i32 s3, s25, s15
	s_mul_hi_u32 s4, s24, s15
	s_delay_alu instid0(VALU_DEP_2)
	v_and_b32_e32 v9, 31, v2
	v_lshrrev_b32_e32 v11, 3, v2
	v_lshrrev_b32_e32 v2, 5, v2
	v_lshlrev_b32_e32 v14, 3, v0
	s_mul_i32 s2, s24, s15
	v_add_nc_u32_e32 v7, s12, v9
	v_dual_mov_b32 v3, v1 :: v_dual_add_nc_u32 v12, s13, v11
	s_add_i32 s3, s4, s3
	s_mul_hi_u32 s5, s30, s15
	s_delay_alu instid0(VALU_DEP_2) | instskip(NEXT) | instid1(VALU_DEP_2)
	v_ashrrev_i32_e32 v8, 31, v7
	v_ashrrev_i32_e32 v15, 31, v12
	v_mad_u64_u32 v[4:5], null, s22, v7, v[2:3]
	v_mul_lo_u32 v3, s23, v7
	s_delay_alu instid0(VALU_DEP_4)
	v_mul_lo_u32 v16, s22, v8
	v_mul_lo_u32 v17, v12, s29
	v_mad_u64_u32 v[7:8], null, v12, s28, v[0:1]
	v_mul_lo_u32 v12, v15, s28
	s_lshl_b64 s[2:3], s[2:3], 3
	v_lshlrev_b32_e32 v13, 3, v6
	s_add_u32 s4, s20, s2
	v_add3_u32 v5, v3, v5, v16
	s_mul_i32 s2, s31, s15
	s_addc_u32 s6, s21, s3
	s_add_i32 s3, s5, s2
	v_add3_u32 v8, v12, v8, v17
	v_mov_b32_e32 v12, v1
	v_lshlrev_b32_e32 v0, 3, v9
	s_mul_i32 s2, s30, s15
	v_lshl_add_u32 v17, v10, 6, 0x800
	s_lshl_b64 s[2:3], s[2:3], 3
	v_mov_b32_e32 v16, v1
	v_lshl_or_b32 v0, v2, 8, v0
	v_lshlrev_b64 v[2:3], 3, v[4:5]
	v_lshlrev_b64 v[4:5], 3, v[7:8]
	s_add_u32 s2, s26, s2
	s_addc_u32 s3, s27, s3
	v_mov_b32_e32 v7, v1
	v_lshl_or_b32 v9, v11, 6, v14
	v_add_co_u32 v2, vcc_lo, s4, v2
	v_add_co_ci_u32_e32 v3, vcc_lo, s6, v3, vcc_lo
	v_add_co_u32 v4, vcc_lo, s2, v4
	v_add_co_ci_u32_e32 v5, vcc_lo, s3, v5, vcc_lo
	s_delay_alu instid0(VALU_DEP_4) | instskip(NEXT) | instid1(VALU_DEP_4)
	v_add_co_u32 v2, vcc_lo, v2, 4
	v_add_co_ci_u32_e32 v3, vcc_lo, 0, v3, vcc_lo
	s_delay_alu instid0(VALU_DEP_4)
	v_add_co_u32 v4, vcc_lo, v4, 4
	v_dual_mov_b32 v14, v1 :: v_dual_add_nc_u32 v15, 0x800, v9
	v_add_co_ci_u32_e32 v5, vcc_lo, 0, v5, vcc_lo
	v_mov_b32_e32 v9, v1
	v_mov_b32_e32 v8, v1
	;; [unrolled: 1-line block ×3, first 2 shown]
	s_mov_b64 s[2:3], 0
.LBB1265_2:                             ; =>This Inner Loop Header: Depth=1
	global_load_b64 v[18:19], v[2:3], off offset:-4
	global_load_b64 v[20:21], v[4:5], off offset:-4
	s_add_u32 s2, s2, 8
	v_add_co_u32 v2, vcc_lo, v2, 64
	s_addc_u32 s3, s3, 0
	v_add_co_ci_u32_e32 v3, vcc_lo, 0, v3, vcc_lo
	v_cmp_ge_u64_e64 s4, s[2:3], s[16:17]
	v_add_co_u32 v4, vcc_lo, v4, 64
	v_add_co_ci_u32_e32 v5, vcc_lo, 0, v5, vcc_lo
	s_delay_alu instid0(VALU_DEP_3)
	s_and_b32 vcc_lo, exec_lo, s4
	s_waitcnt vmcnt(1)
	v_xor_b32_e32 v19, 0x80000000, v19
	ds_store_b64 v0, v[18:19]
	s_waitcnt vmcnt(0)
	ds_store_b64 v15, v[20:21]
	s_waitcnt lgkmcnt(0)
	s_barrier
	buffer_gl0_inv
	ds_load_2addr_b64 v[18:21], v13 offset1:16
	ds_load_b128 v[22:25], v17
	ds_load_b128 v[26:29], v17 offset:1024
	ds_load_b128 v[30:33], v17 offset:16
	;; [unrolled: 1-line block ×4, first 2 shown]
	ds_load_2addr_b64 v[42:45], v13 offset0:32 offset1:48
	ds_load_2addr_b64 v[46:49], v13 offset0:64 offset1:80
	ds_load_b128 v[50:53], v17 offset:1040
	ds_load_2addr_b64 v[54:57], v13 offset0:96 offset1:112
	ds_load_2addr_b64 v[58:61], v13 offset0:128 offset1:144
	;; [unrolled: 1-line block ×4, first 2 shown]
	ds_load_b128 v[70:73], v17 offset:1056
	ds_load_b128 v[74:77], v17 offset:1072
	ds_load_2addr_b64 v[78:81], v13 offset0:224 offset1:240
	s_waitcnt lgkmcnt(0)
	s_barrier
	buffer_gl0_inv
	v_dual_mul_f32 v82, v23, v19 :: v_dual_mul_f32 v85, v22, v21
	v_dual_mul_f32 v83, v22, v19 :: v_dual_mul_f32 v84, v23, v21
	v_mul_f32_e32 v86, v27, v19
	v_dual_mul_f32 v19, v26, v19 :: v_dual_mul_f32 v90, v25, v45
	v_dual_mul_f32 v87, v27, v21 :: v_dual_mul_f32 v88, v25, v43
	v_mul_f32_e32 v21, v26, v21
	v_fma_f32 v82, v22, v18, -v82
	v_fmac_f32_e32 v83, v23, v18
	v_fma_f32 v22, v22, v20, -v84
	v_fmac_f32_e32 v85, v23, v20
	v_fma_f32 v23, v26, v18, -v86
	v_dual_fmac_f32 v19, v27, v18 :: v_dual_mul_f32 v86, v30, v47
	v_fma_f32 v18, v26, v20, -v87
	v_dual_fmac_f32 v21, v27, v20 :: v_dual_mul_f32 v20, v24, v45
	v_mul_f32_e32 v89, v24, v43
	v_mul_f32_e32 v26, v29, v43
	;; [unrolled: 1-line block ×4, first 2 shown]
	v_fmac_f32_e32 v20, v25, v44
	v_fmac_f32_e32 v89, v25, v42
	v_dual_mul_f32 v25, v28, v45 :: v_dual_fmac_f32 v86, v31, v46
	v_fma_f32 v84, v24, v42, -v88
	v_fma_f32 v24, v24, v44, -v90
	v_dual_mul_f32 v45, v31, v47 :: v_dual_mul_f32 v90, v33, v57
	v_fma_f32 v26, v28, v42, -v26
	v_fma_f32 v28, v28, v44, -v43
	v_fmac_f32_e32 v25, v29, v44
	v_dual_mul_f32 v43, v50, v47 :: v_dual_mul_f32 v44, v51, v49
	v_dual_fmac_f32 v27, v29, v42 :: v_dual_mul_f32 v42, v51, v47
	v_dual_mul_f32 v88, v32, v55 :: v_dual_mul_f32 v29, v30, v49
	v_mul_f32_e32 v87, v31, v49
	v_fma_f32 v45, v30, v46, -v45
	v_add_f32_e32 v14, v14, v82
	s_delay_alu instid0(VALU_DEP_4)
	v_dual_fmac_f32 v88, v33, v54 :: v_dual_fmac_f32 v29, v31, v48
	v_fma_f32 v31, v50, v46, -v42
	v_fma_f32 v42, v50, v48, -v44
	v_mul_f32_e32 v44, v32, v57
	v_mul_f32_e32 v47, v50, v49
	v_dual_mul_f32 v50, v53, v57 :: v_dual_fmac_f32 v43, v51, v46
	v_mul_f32_e32 v46, v53, v55
	v_mul_f32_e32 v49, v33, v55
	v_fma_f32 v30, v30, v48, -v87
	v_fmac_f32_e32 v44, v33, v56
	v_dual_fmac_f32 v47, v51, v48 :: v_dual_mul_f32 v48, v52, v55
	v_mul_f32_e32 v33, v52, v57
	v_fma_f32 v46, v52, v54, -v46
	v_fma_f32 v50, v52, v56, -v50
	v_mul_f32_e32 v52, v34, v61
	v_fma_f32 v49, v32, v54, -v49
	v_fma_f32 v32, v32, v56, -v90
	v_dual_mul_f32 v51, v35, v59 :: v_dual_fmac_f32 v48, v53, v54
	v_mul_f32_e32 v54, v70, v59
	v_dual_mul_f32 v55, v34, v59 :: v_dual_fmac_f32 v52, v35, v60
	v_fmac_f32_e32 v33, v53, v56
	v_mul_f32_e32 v53, v71, v59
	v_mul_f32_e32 v56, v71, v61
	;; [unrolled: 1-line block ×3, first 2 shown]
	v_fmac_f32_e32 v54, v71, v58
	v_fmac_f32_e32 v55, v35, v58
	v_fma_f32 v35, v70, v58, -v53
	v_fma_f32 v53, v70, v60, -v56
	v_mul_f32_e32 v56, v36, v65
	v_mul_f32_e32 v59, v70, v61
	v_fma_f32 v51, v34, v58, -v51
	v_mul_f32_e32 v58, v72, v63
	v_mul_f32_e32 v87, v36, v63
	v_mul_f32_e32 v61, v37, v63
	v_mul_f32_e32 v90, v37, v65
	v_fma_f32 v34, v34, v60, -v57
	v_mul_f32_e32 v57, v73, v63
	v_fmac_f32_e32 v56, v37, v64
	v_dual_fmac_f32 v59, v71, v60 :: v_dual_mul_f32 v60, v73, v65
	v_mul_f32_e32 v63, v39, v67
	v_mul_f32_e32 v70, v39, v69
	v_fmac_f32_e32 v58, v73, v62
	v_fmac_f32_e32 v87, v37, v62
	v_mul_f32_e32 v37, v72, v65
	v_mul_f32_e32 v65, v38, v67
	;; [unrolled: 1-line block ×3, first 2 shown]
	v_fma_f32 v61, v36, v62, -v61
	v_fma_f32 v36, v36, v64, -v90
	v_fma_f32 v57, v72, v62, -v57
	v_fma_f32 v60, v72, v64, -v60
	v_dual_fmac_f32 v37, v73, v64 :: v_dual_mul_f32 v62, v38, v69
	v_mul_f32_e32 v64, v75, v67
	v_dual_mul_f32 v73, v40, v79 :: v_dual_add_f32 v14, v14, v84
	v_fma_f32 v63, v38, v66, -v63
	v_dual_fmac_f32 v65, v39, v66 :: v_dual_add_f32 v12, v12, v85
	v_fma_f32 v38, v38, v68, -v70
	v_mul_f32_e32 v70, v76, v79
	v_mul_f32_e32 v67, v74, v67
	v_dual_mul_f32 v69, v74, v69 :: v_dual_add_f32 v16, v16, v83
	v_fmac_f32_e32 v62, v39, v68
	v_fma_f32 v39, v74, v66, -v64
	v_fma_f32 v64, v74, v68, -v71
	v_dual_mul_f32 v71, v77, v81 :: v_dual_add_f32 v12, v12, v20
	v_dual_fmac_f32 v73, v41, v78 :: v_dual_add_f32 v14, v14, v45
	v_fmac_f32_e32 v70, v77, v78
	v_dual_fmac_f32 v67, v75, v66 :: v_dual_add_f32 v8, v8, v23
	v_dual_mul_f32 v66, v40, v81 :: v_dual_add_f32 v11, v11, v22
	v_add_f32_e32 v12, v12, v29
	v_mul_f32_e32 v72, v41, v79
	v_dual_mul_f32 v90, v41, v81 :: v_dual_fmac_f32 v69, v75, v68
	v_add_f32_e32 v16, v16, v89
	v_fmac_f32_e32 v66, v41, v80
	v_dual_add_f32 v11, v11, v24 :: v_dual_add_f32 v14, v14, v49
	v_mul_f32_e32 v41, v76, v81
	s_delay_alu instid0(VALU_DEP_4) | instskip(SKIP_1) | instid1(VALU_DEP_4)
	v_dual_add_f32 v9, v9, v19 :: v_dual_add_f32 v16, v16, v86
	v_dual_add_f32 v1, v1, v21 :: v_dual_add_f32 v8, v8, v26
	;; [unrolled: 1-line block ×3, first 2 shown]
	s_delay_alu instid0(VALU_DEP_4) | instskip(NEXT) | instid1(VALU_DEP_4)
	v_fmac_f32_e32 v41, v77, v80
	v_dual_add_f32 v9, v9, v27 :: v_dual_add_f32 v12, v12, v44
	s_delay_alu instid0(VALU_DEP_3) | instskip(SKIP_1) | instid1(VALU_DEP_3)
	v_dual_add_f32 v8, v8, v31 :: v_dual_add_f32 v7, v7, v28
	v_dual_add_f32 v16, v16, v88 :: v_dual_add_f32 v1, v1, v25
	;; [unrolled: 1-line block ×3, first 2 shown]
	s_delay_alu instid0(VALU_DEP_4) | instskip(NEXT) | instid1(VALU_DEP_4)
	v_dual_add_f32 v9, v9, v43 :: v_dual_add_f32 v14, v14, v61
	v_add_f32_e32 v8, v8, v46
	s_delay_alu instid0(VALU_DEP_4) | instskip(NEXT) | instid1(VALU_DEP_4)
	v_dual_add_f32 v7, v7, v42 :: v_dual_add_f32 v16, v16, v55
	v_dual_add_f32 v1, v1, v47 :: v_dual_add_f32 v12, v12, v56
	s_delay_alu instid0(VALU_DEP_3) | instskip(NEXT) | instid1(VALU_DEP_3)
	v_dual_add_f32 v11, v11, v32 :: v_dual_add_f32 v8, v8, v35
	v_dual_add_f32 v16, v16, v87 :: v_dual_add_f32 v9, v9, v48
	s_delay_alu instid0(VALU_DEP_4) | instskip(NEXT) | instid1(VALU_DEP_4)
	v_dual_add_f32 v7, v7, v50 :: v_dual_add_f32 v14, v14, v63
	v_dual_add_f32 v1, v1, v33 :: v_dual_add_f32 v12, v12, v62
	v_mul_f32_e32 v68, v77, v79
	v_fma_f32 v72, v40, v78, -v72
	v_dual_add_f32 v11, v11, v34 :: v_dual_add_f32 v16, v16, v65
	v_add_f32_e32 v7, v7, v53
	v_dual_add_f32 v1, v1, v59 :: v_dual_add_f32 v8, v8, v57
	v_add_f32_e32 v9, v9, v54
	v_fma_f32 v68, v76, v78, -v68
	v_dual_add_f32 v11, v11, v36 :: v_dual_add_f32 v12, v12, v66
	s_delay_alu instid0(VALU_DEP_3) | instskip(SKIP_2) | instid1(VALU_DEP_3)
	v_dual_add_f32 v8, v8, v39 :: v_dual_add_f32 v9, v9, v58
	v_add_f32_e32 v14, v14, v72
	v_dual_add_f32 v7, v7, v60 :: v_dual_add_f32 v16, v16, v73
	v_dual_add_f32 v8, v8, v68 :: v_dual_add_f32 v1, v1, v37
	v_fma_f32 v40, v40, v80, -v90
	v_fma_f32 v71, v76, v80, -v71
	v_add_f32_e32 v11, v11, v38
	v_add_f32_e32 v9, v9, v67
	;; [unrolled: 1-line block ×4, first 2 shown]
	s_delay_alu instid0(VALU_DEP_4) | instskip(NEXT) | instid1(VALU_DEP_4)
	v_add_f32_e32 v11, v11, v40
	v_add_f32_e32 v9, v9, v70
	s_delay_alu instid0(VALU_DEP_4) | instskip(NEXT) | instid1(VALU_DEP_4)
	v_add_f32_e32 v7, v7, v71
	v_add_f32_e32 v1, v1, v41
	s_cbranch_vccz .LBB1265_2
.LBB1265_3:
	s_load_b256 s[4:11], s[0:1], 0x48
	v_add_nc_u32_e32 v0, s13, v10
	s_load_b32 s13, s[0:1], 0x0
	s_delay_alu instid0(VALU_DEP_1) | instskip(SKIP_3) | instid1(VALU_DEP_3)
	v_ashrrev_i32_e32 v2, 31, v0
	s_waitcnt lgkmcnt(0)
	v_mul_lo_u32 v5, v0, s9
	v_mad_u64_u32 v[3:4], null, v0, s8, 0
	v_mul_lo_u32 v2, v2, s8
	s_mul_i32 s1, s15, s11
	s_mul_hi_u32 s2, s15, s10
	s_mul_i32 s0, s15, s10
	s_add_i32 s1, s2, s1
	s_delay_alu instid0(SALU_CYCLE_1) | instskip(NEXT) | instid1(VALU_DEP_1)
	s_lshl_b64 s[2:3], s[0:1], 3
	v_add3_u32 v4, v4, v5, v2
	v_add_nc_u32_e32 v2, s12, v6
	s_add_u32 s2, s6, s2
	s_addc_u32 s3, s7, s3
	s_delay_alu instid0(VALU_DEP_2) | instskip(NEXT) | instid1(VALU_DEP_2)
	v_lshlrev_b64 v[3:4], 3, v[3:4]
	v_cmp_le_i32_e64 s0, v0, v2
	v_cmp_gt_i32_e32 vcc_lo, s13, v2
	s_delay_alu instid0(VALU_DEP_3) | instskip(NEXT) | instid1(VALU_DEP_1)
	v_add_co_u32 v6, s1, s2, v3
	v_add_co_ci_u32_e64 v10, s1, s3, v4, s1
	s_delay_alu instid0(VALU_DEP_4) | instskip(NEXT) | instid1(SALU_CYCLE_1)
	s_and_b32 s0, s0, vcc_lo
	s_and_saveexec_b32 s1, s0
	s_cbranch_execz .LBB1265_6
; %bb.4:
	v_ashrrev_i32_e32 v3, 31, v2
	s_delay_alu instid0(VALU_DEP_1) | instskip(NEXT) | instid1(VALU_DEP_1)
	v_lshlrev_b64 v[3:4], 3, v[2:3]
	v_add_co_u32 v3, s0, v6, v3
	s_delay_alu instid0(VALU_DEP_1)
	v_add_co_ci_u32_e64 v4, s0, v10, v4, s0
	v_cmp_eq_u32_e64 s0, v0, v2
	global_load_b64 v[17:18], v[3:4], off
	v_mul_f32_e32 v5, s19, v16
	s_waitcnt vmcnt(0)
	v_dual_mul_f32 v15, s18, v16 :: v_dual_mul_f32 v16, s4, v18
	s_delay_alu instid0(VALU_DEP_2) | instskip(NEXT) | instid1(VALU_DEP_2)
	v_fma_f32 v5, v14, s18, -v5
	v_dual_fmac_f32 v16, s5, v17 :: v_dual_fmac_f32 v15, s19, v14
	s_delay_alu instid0(VALU_DEP_1) | instskip(NEXT) | instid1(VALU_DEP_1)
	v_dual_mul_f32 v13, s5, v18 :: v_dual_add_f32 v14, v15, v16
	v_fma_f32 v13, v17, s4, -v13
	s_delay_alu instid0(VALU_DEP_1)
	v_add_f32_e32 v13, v5, v13
	global_store_b64 v[3:4], v[13:14], off
	s_and_b32 exec_lo, exec_lo, s0
	s_cbranch_execz .LBB1265_6
; %bb.5:
	v_mov_b32_e32 v5, 0
	global_store_b32 v[3:4], v5, off offset:4
.LBB1265_6:
	s_or_b32 exec_lo, exec_lo, s1
	v_add_nc_u32_e32 v4, 16, v2
	s_delay_alu instid0(VALU_DEP_1) | instskip(SKIP_1) | instid1(VALU_DEP_1)
	v_cmp_le_i32_e64 s1, v0, v4
	v_cmp_gt_i32_e64 s0, s13, v4
	s_and_b32 s1, s1, s0
	s_delay_alu instid0(SALU_CYCLE_1)
	s_and_saveexec_b32 s6, s1
	s_cbranch_execz .LBB1265_9
; %bb.7:
	v_ashrrev_i32_e32 v5, 31, v4
	s_delay_alu instid0(VALU_DEP_1) | instskip(NEXT) | instid1(VALU_DEP_1)
	v_lshlrev_b64 v[13:14], 3, v[4:5]
	v_add_co_u32 v5, s1, v6, v13
	s_delay_alu instid0(VALU_DEP_1) | instskip(SKIP_4) | instid1(VALU_DEP_1)
	v_add_co_ci_u32_e64 v6, s1, v10, v14, s1
	v_cmp_eq_u32_e64 s1, v0, v4
	global_load_b64 v[13:14], v[5:6], off
	v_mul_f32_e32 v3, s19, v12
	v_mul_f32_e32 v12, s18, v12
	v_fmac_f32_e32 v12, s19, v11
	s_waitcnt vmcnt(0)
	v_mul_f32_e32 v10, s5, v14
	v_mul_f32_e32 v14, s4, v14
	v_fma_f32 v3, v11, s18, -v3
	s_delay_alu instid0(VALU_DEP_3) | instskip(NEXT) | instid1(VALU_DEP_3)
	v_fma_f32 v10, v13, s4, -v10
	v_fmac_f32_e32 v14, s5, v13
	s_delay_alu instid0(VALU_DEP_2) | instskip(NEXT) | instid1(VALU_DEP_2)
	v_add_f32_e32 v10, v3, v10
	v_add_f32_e32 v11, v12, v14
	global_store_b64 v[5:6], v[10:11], off
	s_and_b32 exec_lo, exec_lo, s1
	s_cbranch_execz .LBB1265_9
; %bb.8:
	v_mov_b32_e32 v3, 0
	global_store_b32 v[5:6], v3, off offset:4
.LBB1265_9:
	s_or_b32 exec_lo, exec_lo, s6
	v_add_nc_u32_e32 v12, 16, v0
	s_delay_alu instid0(VALU_DEP_1) | instskip(SKIP_3) | instid1(VALU_DEP_4)
	v_ashrrev_i32_e32 v3, 31, v12
	v_mul_lo_u32 v10, v12, s9
	v_mad_u64_u32 v[5:6], null, v12, s8, 0
	v_cmp_le_i32_e64 s1, v12, v2
	v_mul_lo_u32 v3, v3, s8
	s_delay_alu instid0(VALU_DEP_1) | instskip(NEXT) | instid1(VALU_DEP_1)
	v_add3_u32 v6, v6, v10, v3
	v_lshlrev_b64 v[5:6], 3, v[5:6]
	s_delay_alu instid0(VALU_DEP_1) | instskip(NEXT) | instid1(VALU_DEP_1)
	v_add_co_u32 v10, s2, s2, v5
	v_add_co_ci_u32_e64 v11, s2, s3, v6, s2
	s_and_b32 s2, s1, vcc_lo
	s_delay_alu instid0(SALU_CYCLE_1)
	s_and_saveexec_b32 s1, s2
	s_cbranch_execz .LBB1265_12
; %bb.10:
	v_ashrrev_i32_e32 v3, 31, v2
	s_delay_alu instid0(VALU_DEP_1) | instskip(NEXT) | instid1(VALU_DEP_1)
	v_lshlrev_b64 v[5:6], 3, v[2:3]
	v_add_co_u32 v5, vcc_lo, v10, v5
	s_delay_alu instid0(VALU_DEP_2)
	v_add_co_ci_u32_e32 v6, vcc_lo, v11, v6, vcc_lo
	v_cmp_eq_u32_e32 vcc_lo, v12, v2
	global_load_b64 v[13:14], v[5:6], off
	v_mul_f32_e32 v3, s19, v9
	s_waitcnt vmcnt(0)
	v_mul_f32_e32 v15, s5, v14
	v_mul_f32_e32 v14, s4, v14
	s_delay_alu instid0(VALU_DEP_3) | instskip(SKIP_1) | instid1(VALU_DEP_1)
	v_fma_f32 v3, v8, s18, -v3
	v_mul_f32_e32 v9, s18, v9
	v_dual_fmac_f32 v14, s5, v13 :: v_dual_fmac_f32 v9, s19, v8
	v_fma_f32 v8, v13, s4, -v15
	s_delay_alu instid0(VALU_DEP_1)
	v_dual_add_f32 v9, v9, v14 :: v_dual_add_f32 v8, v3, v8
	global_store_b64 v[5:6], v[8:9], off
	s_and_b32 exec_lo, exec_lo, vcc_lo
	s_cbranch_execz .LBB1265_12
; %bb.11:
	v_mov_b32_e32 v3, 0
	global_store_b32 v[5:6], v3, off offset:4
.LBB1265_12:
	s_or_b32 exec_lo, exec_lo, s1
	v_cmp_le_i32_e32 vcc_lo, v12, v4
	s_and_b32 s0, vcc_lo, s0
	s_delay_alu instid0(SALU_CYCLE_1)
	s_and_saveexec_b32 s1, s0
	s_cbranch_execz .LBB1265_15
; %bb.13:
	v_ashrrev_i32_e32 v5, 31, v4
	s_delay_alu instid0(VALU_DEP_1) | instskip(NEXT) | instid1(VALU_DEP_1)
	v_lshlrev_b64 v[3:4], 3, v[4:5]
	v_add_co_u32 v3, vcc_lo, v10, v3
	s_delay_alu instid0(VALU_DEP_2)
	v_add_co_ci_u32_e32 v4, vcc_lo, v11, v4, vcc_lo
	v_cmp_eq_u32_e32 vcc_lo, v0, v2
	global_load_b64 v[5:6], v[3:4], off
	v_mul_f32_e32 v8, s19, v1
	v_mul_f32_e32 v1, s18, v1
	s_waitcnt vmcnt(0)
	v_mul_f32_e32 v9, s5, v6
	v_mul_f32_e32 v6, s4, v6
	v_fma_f32 v8, v7, s18, -v8
	v_fmac_f32_e32 v1, s19, v7
	s_delay_alu instid0(VALU_DEP_4) | instskip(NEXT) | instid1(VALU_DEP_1)
	v_fma_f32 v7, v5, s4, -v9
	v_dual_fmac_f32 v6, s5, v5 :: v_dual_add_f32 v5, v8, v7
	s_delay_alu instid0(VALU_DEP_1)
	v_add_f32_e32 v6, v1, v6
	global_store_b64 v[3:4], v[5:6], off
	s_and_b32 exec_lo, exec_lo, vcc_lo
	s_cbranch_execz .LBB1265_15
; %bb.14:
	v_mov_b32_e32 v0, 0
	global_store_b32 v[3:4], v0, off offset:4
.LBB1265_15:
	s_nop 0
	s_sendmsg sendmsg(MSG_DEALLOC_VGPRS)
	s_endpgm
	.section	.rodata,"a",@progbits
	.p2align	6, 0x0
	.amdhsa_kernel _ZL37rocblas_syrkx_herkx_restricted_kernelIl19rocblas_complex_numIfELi16ELi32ELi8ELb0ELb1ELc67ELc76EKS1_S1_EviT_T0_PT8_S3_lS6_S3_lS4_PT9_S3_li
		.amdhsa_group_segment_fixed_size 4096
		.amdhsa_private_segment_fixed_size 0
		.amdhsa_kernarg_size 108
		.amdhsa_user_sgpr_count 13
		.amdhsa_user_sgpr_dispatch_ptr 0
		.amdhsa_user_sgpr_queue_ptr 0
		.amdhsa_user_sgpr_kernarg_segment_ptr 1
		.amdhsa_user_sgpr_dispatch_id 0
		.amdhsa_user_sgpr_private_segment_size 0
		.amdhsa_wavefront_size32 1
		.amdhsa_uses_dynamic_stack 0
		.amdhsa_enable_private_segment 0
		.amdhsa_system_sgpr_workgroup_id_x 1
		.amdhsa_system_sgpr_workgroup_id_y 1
		.amdhsa_system_sgpr_workgroup_id_z 1
		.amdhsa_system_sgpr_workgroup_info 0
		.amdhsa_system_vgpr_workitem_id 1
		.amdhsa_next_free_vgpr 91
		.amdhsa_next_free_sgpr 32
		.amdhsa_reserve_vcc 1
		.amdhsa_float_round_mode_32 0
		.amdhsa_float_round_mode_16_64 0
		.amdhsa_float_denorm_mode_32 3
		.amdhsa_float_denorm_mode_16_64 3
		.amdhsa_dx10_clamp 1
		.amdhsa_ieee_mode 1
		.amdhsa_fp16_overflow 0
		.amdhsa_workgroup_processor_mode 1
		.amdhsa_memory_ordered 1
		.amdhsa_forward_progress 0
		.amdhsa_shared_vgpr_count 0
		.amdhsa_exception_fp_ieee_invalid_op 0
		.amdhsa_exception_fp_denorm_src 0
		.amdhsa_exception_fp_ieee_div_zero 0
		.amdhsa_exception_fp_ieee_overflow 0
		.amdhsa_exception_fp_ieee_underflow 0
		.amdhsa_exception_fp_ieee_inexact 0
		.amdhsa_exception_int_div_zero 0
	.end_amdhsa_kernel
	.section	.text._ZL37rocblas_syrkx_herkx_restricted_kernelIl19rocblas_complex_numIfELi16ELi32ELi8ELb0ELb1ELc67ELc76EKS1_S1_EviT_T0_PT8_S3_lS6_S3_lS4_PT9_S3_li,"axG",@progbits,_ZL37rocblas_syrkx_herkx_restricted_kernelIl19rocblas_complex_numIfELi16ELi32ELi8ELb0ELb1ELc67ELc76EKS1_S1_EviT_T0_PT8_S3_lS6_S3_lS4_PT9_S3_li,comdat
.Lfunc_end1265:
	.size	_ZL37rocblas_syrkx_herkx_restricted_kernelIl19rocblas_complex_numIfELi16ELi32ELi8ELb0ELb1ELc67ELc76EKS1_S1_EviT_T0_PT8_S3_lS6_S3_lS4_PT9_S3_li, .Lfunc_end1265-_ZL37rocblas_syrkx_herkx_restricted_kernelIl19rocblas_complex_numIfELi16ELi32ELi8ELb0ELb1ELc67ELc76EKS1_S1_EviT_T0_PT8_S3_lS6_S3_lS4_PT9_S3_li
                                        ; -- End function
	.section	.AMDGPU.csdata,"",@progbits
; Kernel info:
; codeLenInByte = 2512
; NumSgprs: 34
; NumVgprs: 91
; ScratchSize: 0
; MemoryBound: 0
; FloatMode: 240
; IeeeMode: 1
; LDSByteSize: 4096 bytes/workgroup (compile time only)
; SGPRBlocks: 4
; VGPRBlocks: 11
; NumSGPRsForWavesPerEU: 34
; NumVGPRsForWavesPerEU: 91
; Occupancy: 16
; WaveLimiterHint : 0
; COMPUTE_PGM_RSRC2:SCRATCH_EN: 0
; COMPUTE_PGM_RSRC2:USER_SGPR: 13
; COMPUTE_PGM_RSRC2:TRAP_HANDLER: 0
; COMPUTE_PGM_RSRC2:TGID_X_EN: 1
; COMPUTE_PGM_RSRC2:TGID_Y_EN: 1
; COMPUTE_PGM_RSRC2:TGID_Z_EN: 1
; COMPUTE_PGM_RSRC2:TIDIG_COMP_CNT: 1
	.section	.text._ZL37rocblas_syrkx_herkx_restricted_kernelIl19rocblas_complex_numIfELi16ELi32ELi8ELb0ELb1ELc78ELc76EKS1_S1_EviT_T0_PT8_S3_lS6_S3_lS4_PT9_S3_li,"axG",@progbits,_ZL37rocblas_syrkx_herkx_restricted_kernelIl19rocblas_complex_numIfELi16ELi32ELi8ELb0ELb1ELc78ELc76EKS1_S1_EviT_T0_PT8_S3_lS6_S3_lS4_PT9_S3_li,comdat
	.globl	_ZL37rocblas_syrkx_herkx_restricted_kernelIl19rocblas_complex_numIfELi16ELi32ELi8ELb0ELb1ELc78ELc76EKS1_S1_EviT_T0_PT8_S3_lS6_S3_lS4_PT9_S3_li ; -- Begin function _ZL37rocblas_syrkx_herkx_restricted_kernelIl19rocblas_complex_numIfELi16ELi32ELi8ELb0ELb1ELc78ELc76EKS1_S1_EviT_T0_PT8_S3_lS6_S3_lS4_PT9_S3_li
	.p2align	8
	.type	_ZL37rocblas_syrkx_herkx_restricted_kernelIl19rocblas_complex_numIfELi16ELi32ELi8ELb0ELb1ELc78ELc76EKS1_S1_EviT_T0_PT8_S3_lS6_S3_lS4_PT9_S3_li,@function
_ZL37rocblas_syrkx_herkx_restricted_kernelIl19rocblas_complex_numIfELi16ELi32ELi8ELb0ELb1ELc78ELc76EKS1_S1_EviT_T0_PT8_S3_lS6_S3_lS4_PT9_S3_li: ; @_ZL37rocblas_syrkx_herkx_restricted_kernelIl19rocblas_complex_numIfELi16ELi32ELi8ELb0ELb1ELc78ELc76EKS1_S1_EviT_T0_PT8_S3_lS6_S3_lS4_PT9_S3_li
; %bb.0:
	s_load_b512 s[16:31], s[0:1], 0x8
	v_dual_mov_b32 v14, 0 :: v_dual_mov_b32 v15, 0
	v_dual_mov_b32 v10, 0 :: v_dual_mov_b32 v11, 0
	v_dual_mov_b32 v7, 0 :: v_dual_and_b32 v4, 0x3ff, v0
	v_dual_mov_b32 v9, 0 :: v_dual_mov_b32 v6, 0
	v_mov_b32_e32 v5, 0
	v_bfe_u32 v8, v0, 10, 10
	s_lshl_b32 s12, s13, 5
	s_lshl_b32 s13, s14, 5
	s_waitcnt lgkmcnt(0)
	v_cmp_lt_i64_e64 s2, s[16:17], 1
	s_delay_alu instid0(VALU_DEP_1)
	s_and_b32 vcc_lo, exec_lo, s2
	s_cbranch_vccnz .LBB1266_3
; %bb.1:
	v_lshl_add_u32 v1, v8, 4, v4
	v_and_b32_e32 v11, 7, v4
	s_mul_i32 s3, s25, s15
	s_mul_hi_u32 s5, s24, s15
	s_mul_i32 s2, s24, s15
	v_and_b32_e32 v9, 31, v1
	v_lshrrev_b32_e32 v10, 3, v1
	v_lshrrev_b32_e32 v14, 5, v1
	s_add_i32 s3, s5, s3
	s_mul_i32 s6, s31, s15
	v_add_nc_u32_e32 v0, s12, v9
	v_add_nc_u32_e32 v2, s13, v10
	s_lshl_b64 s[2:3], s[2:3], 3
	s_mul_hi_u32 s7, s30, s15
	s_add_u32 s8, s20, s2
	v_ashrrev_i32_e32 v1, 31, v0
	v_ashrrev_i32_e32 v3, 31, v2
	s_mul_i32 s4, s30, s15
	s_addc_u32 s9, s21, s3
	s_add_i32 s5, s7, s6
	v_mad_u64_u32 v[5:6], null, v14, s22, v[0:1]
	v_mad_u64_u32 v[0:1], null, v11, s28, v[2:3]
	s_lshl_b64 s[4:5], s[4:5], 3
	s_lshl_b64 s[2:3], s[22:23], 6
	s_add_u32 s4, s26, s4
	s_addc_u32 s5, s27, s5
	s_delay_alu instid0(VALU_DEP_2) | instskip(SKIP_3) | instid1(VALU_DEP_3)
	v_mov_b32_e32 v2, v6
	v_lshlrev_b32_e32 v12, 3, v4
	v_lshl_add_u32 v13, v8, 6, 0x800
	s_mov_b64 s[6:7], 0
	v_mad_u64_u32 v[6:7], null, v14, s23, v[2:3]
	v_mad_u64_u32 v[2:3], null, v11, s29, v[1:2]
	v_lshlrev_b32_e32 v7, 3, v9
	s_delay_alu instid0(VALU_DEP_1) | instskip(NEXT) | instid1(VALU_DEP_3)
	v_lshl_or_b32 v16, v14, 8, v7
	v_dual_mov_b32 v14, 0 :: v_dual_mov_b32 v1, v2
	v_lshlrev_b64 v[2:3], 3, v[5:6]
	v_mov_b32_e32 v7, 0
	s_delay_alu instid0(VALU_DEP_3) | instskip(NEXT) | instid1(VALU_DEP_3)
	v_lshlrev_b64 v[0:1], 3, v[0:1]
	v_add_co_u32 v2, vcc_lo, s8, v2
	s_delay_alu instid0(VALU_DEP_4) | instskip(NEXT) | instid1(VALU_DEP_3)
	v_add_co_ci_u32_e32 v3, vcc_lo, s9, v3, vcc_lo
	v_add_co_u32 v5, vcc_lo, s4, v0
	s_delay_alu instid0(VALU_DEP_4) | instskip(NEXT) | instid1(VALU_DEP_4)
	v_add_co_ci_u32_e32 v6, vcc_lo, s5, v1, vcc_lo
	v_add_co_u32 v0, vcc_lo, v2, 4
	s_delay_alu instid0(VALU_DEP_4) | instskip(NEXT) | instid1(VALU_DEP_4)
	v_add_co_ci_u32_e32 v1, vcc_lo, 0, v3, vcc_lo
	v_add_co_u32 v2, vcc_lo, v5, 4
	s_delay_alu instid0(VALU_DEP_4) | instskip(SKIP_4) | instid1(VALU_DEP_3)
	v_add_co_ci_u32_e32 v3, vcc_lo, 0, v6, vcc_lo
	v_dual_mov_b32 v6, 0 :: v_dual_lshlrev_b32 v15, 3, v11
	v_mov_b32_e32 v5, 0
	v_mov_b32_e32 v11, 0
	s_lshl_b64 s[4:5], s[28:29], 6
	v_lshl_or_b32 v9, v10, 6, v15
	v_dual_mov_b32 v10, 0 :: v_dual_mov_b32 v15, 0
	s_delay_alu instid0(VALU_DEP_2)
	v_add_nc_u32_e32 v17, 0x800, v9
	v_mov_b32_e32 v9, 0
.LBB1266_2:                             ; =>This Inner Loop Header: Depth=1
	global_load_b64 v[18:19], v[2:3], off offset:-4
	global_load_b64 v[20:21], v[0:1], off offset:-4
	s_add_u32 s6, s6, 8
	v_add_co_u32 v0, vcc_lo, v0, s2
	s_addc_u32 s7, s7, 0
	v_add_co_ci_u32_e32 v1, vcc_lo, s3, v1, vcc_lo
	v_cmp_ge_u64_e64 s8, s[6:7], s[16:17]
	v_add_co_u32 v2, vcc_lo, v2, s4
	v_add_co_ci_u32_e32 v3, vcc_lo, s5, v3, vcc_lo
	s_delay_alu instid0(VALU_DEP_3)
	s_and_b32 vcc_lo, exec_lo, s8
	s_waitcnt vmcnt(1)
	v_xor_b32_e32 v19, 0x80000000, v19
	s_waitcnt vmcnt(0)
	ds_store_b64 v16, v[20:21]
	ds_store_b64 v17, v[18:19]
	s_waitcnt lgkmcnt(0)
	s_barrier
	buffer_gl0_inv
	ds_load_2addr_b64 v[18:21], v12 offset1:16
	ds_load_b128 v[22:25], v13
	ds_load_b128 v[26:29], v13 offset:1024
	ds_load_b128 v[30:33], v13 offset:16
	;; [unrolled: 1-line block ×4, first 2 shown]
	ds_load_2addr_b64 v[42:45], v12 offset0:32 offset1:48
	ds_load_2addr_b64 v[46:49], v12 offset0:64 offset1:80
	ds_load_b128 v[50:53], v13 offset:1040
	ds_load_2addr_b64 v[54:57], v12 offset0:96 offset1:112
	ds_load_2addr_b64 v[58:61], v12 offset0:128 offset1:144
	ds_load_2addr_b64 v[62:65], v12 offset0:160 offset1:176
	ds_load_2addr_b64 v[66:69], v12 offset0:192 offset1:208
	ds_load_b128 v[70:73], v13 offset:1056
	ds_load_b128 v[74:77], v13 offset:1072
	ds_load_2addr_b64 v[78:81], v12 offset0:224 offset1:240
	s_waitcnt lgkmcnt(0)
	s_barrier
	buffer_gl0_inv
	v_dual_mul_f32 v82, v23, v19 :: v_dual_mul_f32 v85, v22, v21
	v_dual_mul_f32 v83, v22, v19 :: v_dual_mul_f32 v84, v23, v21
	v_mul_f32_e32 v86, v27, v19
	v_dual_mul_f32 v19, v26, v19 :: v_dual_mul_f32 v90, v25, v45
	v_dual_mul_f32 v87, v27, v21 :: v_dual_mul_f32 v88, v25, v43
	v_mul_f32_e32 v21, v26, v21
	v_mul_f32_e32 v89, v24, v43
	;; [unrolled: 1-line block ×3, first 2 shown]
	v_fma_f32 v82, v22, v18, -v82
	v_fmac_f32_e32 v83, v23, v18
	v_fma_f32 v22, v22, v20, -v84
	v_dual_fmac_f32 v85, v23, v20 :: v_dual_mul_f32 v84, v30, v47
	v_fma_f32 v23, v26, v18, -v86
	v_fmac_f32_e32 v19, v27, v18
	v_fma_f32 v18, v26, v20, -v87
	v_dual_mul_f32 v26, v28, v43 :: v_dual_fmac_f32 v21, v27, v20
	v_mul_f32_e32 v20, v29, v43
	v_mul_f32_e32 v27, v29, v45
	v_dual_mul_f32 v43, v28, v45 :: v_dual_fmac_f32 v84, v31, v46
	v_fma_f32 v45, v24, v42, -v88
	v_fma_f32 v24, v24, v44, -v90
	v_dual_fmac_f32 v91, v25, v44 :: v_dual_mul_f32 v90, v32, v57
	v_dual_mul_f32 v86, v31, v49 :: v_dual_fmac_f32 v89, v25, v42
	v_dual_mul_f32 v25, v31, v47 :: v_dual_mul_f32 v88, v33, v57
	v_fma_f32 v20, v28, v42, -v20
	v_fmac_f32_e32 v26, v29, v42
	v_fma_f32 v27, v28, v44, -v27
	v_dual_fmac_f32 v43, v29, v44 :: v_dual_mul_f32 v28, v51, v47
	v_dual_mul_f32 v29, v50, v47 :: v_dual_mul_f32 v42, v51, v49
	v_mul_f32_e32 v44, v50, v49
	v_mul_f32_e32 v87, v30, v49
	;; [unrolled: 1-line block ×3, first 2 shown]
	v_dual_mul_f32 v49, v32, v55 :: v_dual_fmac_f32 v90, v33, v56
	v_fma_f32 v25, v30, v46, -v25
	v_fma_f32 v30, v30, v48, -v86
	;; [unrolled: 1-line block ×3, first 2 shown]
	v_fmac_f32_e32 v44, v51, v48
	v_fmac_f32_e32 v87, v31, v48
	v_fma_f32 v31, v50, v48, -v42
	v_mul_f32_e32 v42, v53, v55
	v_mul_f32_e32 v48, v53, v57
	v_dual_mul_f32 v50, v52, v57 :: v_dual_fmac_f32 v29, v51, v46
	v_mul_f32_e32 v46, v52, v55
	v_fma_f32 v47, v32, v54, -v47
	v_fmac_f32_e32 v49, v33, v54
	v_fma_f32 v32, v32, v56, -v88
	s_delay_alu instid0(VALU_DEP_4)
	v_dual_mul_f32 v33, v35, v59 :: v_dual_fmac_f32 v46, v53, v54
	v_mul_f32_e32 v51, v34, v59
	v_mul_f32_e32 v55, v35, v61
	v_fma_f32 v42, v52, v54, -v42
	v_fma_f32 v48, v52, v56, -v48
	v_fmac_f32_e32 v50, v53, v56
	v_mul_f32_e32 v52, v71, v59
	v_dual_mul_f32 v53, v70, v59 :: v_dual_mul_f32 v86, v37, v65
	v_mul_f32_e32 v54, v71, v61
	v_dual_mul_f32 v56, v70, v61 :: v_dual_mul_f32 v59, v37, v63
	v_mul_f32_e32 v57, v34, v61
	v_mul_f32_e32 v61, v36, v63
	v_dual_mul_f32 v88, v36, v65 :: v_dual_fmac_f32 v51, v35, v58
	v_fma_f32 v33, v34, v58, -v33
	v_fmac_f32_e32 v53, v71, v58
	v_fmac_f32_e32 v56, v71, v60
	s_delay_alu instid0(VALU_DEP_4)
	v_fmac_f32_e32 v88, v37, v64
	v_fmac_f32_e32 v57, v35, v60
	v_fma_f32 v35, v70, v58, -v52
	v_fma_f32 v52, v70, v60, -v54
	v_mul_f32_e32 v54, v73, v63
	v_fma_f32 v34, v34, v60, -v55
	v_mul_f32_e32 v60, v72, v65
	v_dual_mul_f32 v55, v72, v63 :: v_dual_mul_f32 v70, v38, v69
	v_mul_f32_e32 v58, v73, v65
	v_fma_f32 v59, v36, v62, -v59
	v_fmac_f32_e32 v61, v37, v62
	v_fma_f32 v36, v36, v64, -v86
	v_dual_mul_f32 v37, v39, v67 :: v_dual_fmac_f32 v60, v73, v64
	v_dual_mul_f32 v63, v38, v67 :: v_dual_mul_f32 v86, v40, v81
	v_mul_f32_e32 v65, v39, v69
	v_fma_f32 v54, v72, v62, -v54
	v_fmac_f32_e32 v55, v73, v62
	v_fma_f32 v58, v72, v64, -v58
	v_mul_f32_e32 v72, v40, v79
	v_mul_f32_e32 v62, v75, v67
	v_dual_mul_f32 v64, v74, v67 :: v_dual_mul_f32 v67, v75, v69
	v_dual_mul_f32 v69, v74, v69 :: v_dual_fmac_f32 v70, v39, v68
	s_delay_alu instid0(VALU_DEP_2)
	v_dual_mul_f32 v71, v41, v79 :: v_dual_fmac_f32 v64, v75, v66
	v_dual_mul_f32 v73, v41, v81 :: v_dual_add_f32 v14, v14, v82
	v_fma_f32 v37, v38, v66, -v37
	v_fmac_f32_e32 v63, v39, v66
	v_fma_f32 v38, v38, v68, -v65
	v_fma_f32 v39, v74, v66, -v62
	v_dual_fmac_f32 v69, v75, v68 :: v_dual_fmac_f32 v72, v41, v78
	v_dual_mul_f32 v65, v77, v79 :: v_dual_add_f32 v10, v10, v22
	v_mul_f32_e32 v66, v76, v79
	v_fma_f32 v62, v74, v68, -v67
	v_mul_f32_e32 v68, v76, v81
	v_dual_fmac_f32 v86, v41, v80 :: v_dual_add_f32 v15, v15, v83
	v_dual_add_f32 v9, v9, v19 :: v_dual_add_f32 v6, v6, v21
	v_dual_mul_f32 v67, v77, v81 :: v_dual_add_f32 v10, v10, v24
	v_dual_fmac_f32 v66, v77, v78 :: v_dual_add_f32 v11, v11, v85
	v_dual_fmac_f32 v68, v77, v80 :: v_dual_add_f32 v7, v7, v23
	v_dual_add_f32 v5, v5, v18 :: v_dual_add_f32 v14, v14, v45
	v_dual_add_f32 v15, v15, v89 :: v_dual_add_f32 v6, v6, v43
	s_delay_alu instid0(VALU_DEP_4) | instskip(NEXT) | instid1(VALU_DEP_4)
	v_add_f32_e32 v11, v11, v91
	v_dual_add_f32 v7, v7, v20 :: v_dual_add_f32 v10, v10, v30
	s_delay_alu instid0(VALU_DEP_3) | instskip(SKIP_1) | instid1(VALU_DEP_3)
	v_dual_add_f32 v9, v9, v26 :: v_dual_add_f32 v6, v6, v44
	v_dual_add_f32 v14, v14, v25 :: v_dual_add_f32 v5, v5, v27
	v_add_f32_e32 v10, v10, v32
	v_add_f32_e32 v15, v15, v84
	s_delay_alu instid0(VALU_DEP_4) | instskip(NEXT) | instid1(VALU_DEP_4)
	v_dual_add_f32 v11, v11, v87 :: v_dual_add_f32 v6, v6, v50
	v_dual_add_f32 v14, v14, v47 :: v_dual_add_f32 v7, v7, v28
	s_delay_alu instid0(VALU_DEP_4) | instskip(NEXT) | instid1(VALU_DEP_3)
	v_dual_add_f32 v9, v9, v29 :: v_dual_add_f32 v10, v10, v34
	v_dual_add_f32 v5, v5, v31 :: v_dual_add_f32 v6, v6, v56
	s_delay_alu instid0(VALU_DEP_3) | instskip(SKIP_1) | instid1(VALU_DEP_4)
	v_add_f32_e32 v14, v14, v33
	v_add_f32_e32 v15, v15, v49
	v_dual_add_f32 v11, v11, v90 :: v_dual_add_f32 v10, v10, v36
	s_delay_alu instid0(VALU_DEP_4) | instskip(NEXT) | instid1(VALU_DEP_4)
	v_dual_add_f32 v7, v7, v42 :: v_dual_add_f32 v6, v6, v60
	v_dual_add_f32 v5, v5, v48 :: v_dual_add_f32 v14, v14, v59
	s_delay_alu instid0(VALU_DEP_3)
	v_add_f32_e32 v10, v10, v38
	v_add_f32_e32 v9, v9, v46
	v_fma_f32 v71, v40, v78, -v71
	v_fma_f32 v40, v40, v80, -v73
	v_dual_add_f32 v14, v14, v37 :: v_dual_add_f32 v15, v15, v51
	v_add_f32_e32 v6, v6, v69
	v_add_f32_e32 v11, v11, v57
	s_delay_alu instid0(VALU_DEP_4) | instskip(NEXT) | instid1(VALU_DEP_3)
	v_dual_add_f32 v7, v7, v35 :: v_dual_add_f32 v10, v10, v40
	v_dual_add_f32 v9, v9, v53 :: v_dual_add_f32 v6, v6, v68
	v_add_f32_e32 v5, v5, v52
	v_add_f32_e32 v15, v15, v61
	s_delay_alu instid0(VALU_DEP_4) | instskip(NEXT) | instid1(VALU_DEP_4)
	v_add_f32_e32 v7, v7, v54
	v_add_f32_e32 v9, v9, v55
	v_dual_add_f32 v14, v14, v71 :: v_dual_add_f32 v11, v11, v88
	v_add_f32_e32 v5, v5, v58
	v_fma_f32 v41, v76, v78, -v65
	v_fma_f32 v65, v76, v80, -v67
	v_add_f32_e32 v15, v15, v63
	v_add_f32_e32 v11, v11, v70
	;; [unrolled: 1-line block ×10, first 2 shown]
	s_cbranch_vccz .LBB1266_2
.LBB1266_3:
	s_load_b256 s[4:11], s[0:1], 0x48
	v_add_nc_u32_e32 v8, s13, v8
	s_load_b32 s13, s[0:1], 0x0
	s_delay_alu instid0(VALU_DEP_1) | instskip(SKIP_3) | instid1(VALU_DEP_3)
	v_ashrrev_i32_e32 v0, 31, v8
	s_waitcnt lgkmcnt(0)
	v_mul_lo_u32 v3, v8, s9
	v_mad_u64_u32 v[1:2], null, v8, s8, 0
	v_mul_lo_u32 v0, v0, s8
	s_mul_i32 s1, s15, s11
	s_mul_hi_u32 s2, s15, s10
	s_mul_i32 s0, s15, s10
	s_add_i32 s1, s2, s1
	s_delay_alu instid0(SALU_CYCLE_1) | instskip(NEXT) | instid1(VALU_DEP_1)
	s_lshl_b64 s[2:3], s[0:1], 3
	v_add3_u32 v2, v2, v3, v0
	v_add_nc_u32_e32 v0, s12, v4
	s_add_u32 s2, s6, s2
	s_addc_u32 s3, s7, s3
	s_delay_alu instid0(VALU_DEP_2) | instskip(NEXT) | instid1(VALU_DEP_2)
	v_lshlrev_b64 v[1:2], 3, v[1:2]
	v_cmp_le_i32_e64 s0, v8, v0
	v_cmp_gt_i32_e32 vcc_lo, s13, v0
	s_delay_alu instid0(VALU_DEP_3) | instskip(NEXT) | instid1(VALU_DEP_1)
	v_add_co_u32 v4, s1, s2, v1
	v_add_co_ci_u32_e64 v12, s1, s3, v2, s1
	s_delay_alu instid0(VALU_DEP_4) | instskip(NEXT) | instid1(SALU_CYCLE_1)
	s_and_b32 s0, s0, vcc_lo
	s_and_saveexec_b32 s1, s0
	s_cbranch_execz .LBB1266_6
; %bb.4:
	v_ashrrev_i32_e32 v1, 31, v0
	s_delay_alu instid0(VALU_DEP_1) | instskip(NEXT) | instid1(VALU_DEP_1)
	v_lshlrev_b64 v[1:2], 3, v[0:1]
	v_add_co_u32 v1, s0, v4, v1
	s_delay_alu instid0(VALU_DEP_1)
	v_add_co_ci_u32_e64 v2, s0, v12, v2, s0
	v_cmp_eq_u32_e64 s0, v8, v0
	global_load_b64 v[16:17], v[1:2], off
	s_waitcnt vmcnt(0)
	v_mul_f32_e32 v13, s5, v17
	v_mul_f32_e32 v17, s4, v17
	s_delay_alu instid0(VALU_DEP_2) | instskip(NEXT) | instid1(VALU_DEP_2)
	v_fma_f32 v13, v16, s4, -v13
	v_fmac_f32_e32 v17, s5, v16
	v_mul_f32_e32 v3, s19, v15
	v_mul_f32_e32 v15, s18, v15
	s_delay_alu instid0(VALU_DEP_2) | instskip(NEXT) | instid1(VALU_DEP_2)
	v_fma_f32 v3, v14, s18, -v3
	v_fmac_f32_e32 v15, s19, v14
	s_delay_alu instid0(VALU_DEP_2) | instskip(NEXT) | instid1(VALU_DEP_2)
	v_add_f32_e32 v13, v3, v13
	v_add_f32_e32 v14, v15, v17
	global_store_b64 v[1:2], v[13:14], off
	s_and_b32 exec_lo, exec_lo, s0
	s_cbranch_execz .LBB1266_6
; %bb.5:
	v_mov_b32_e32 v3, 0
	global_store_b32 v[1:2], v3, off offset:4
.LBB1266_6:
	s_or_b32 exec_lo, exec_lo, s1
	v_add_nc_u32_e32 v2, 16, v0
	s_delay_alu instid0(VALU_DEP_1) | instskip(SKIP_1) | instid1(VALU_DEP_1)
	v_cmp_le_i32_e64 s1, v8, v2
	v_cmp_gt_i32_e64 s0, s13, v2
	s_and_b32 s1, s1, s0
	s_delay_alu instid0(SALU_CYCLE_1)
	s_and_saveexec_b32 s6, s1
	s_cbranch_execz .LBB1266_9
; %bb.7:
	v_ashrrev_i32_e32 v3, 31, v2
	s_delay_alu instid0(VALU_DEP_1) | instskip(NEXT) | instid1(VALU_DEP_1)
	v_lshlrev_b64 v[13:14], 3, v[2:3]
	v_add_co_u32 v3, s1, v4, v13
	s_delay_alu instid0(VALU_DEP_1)
	v_add_co_ci_u32_e64 v4, s1, v12, v14, s1
	v_cmp_eq_u32_e64 s1, v8, v2
	global_load_b64 v[12:13], v[3:4], off
	s_waitcnt vmcnt(0)
	v_dual_mul_f32 v1, s19, v11 :: v_dual_mul_f32 v14, s5, v13
	v_mul_f32_e32 v13, s4, v13
	s_delay_alu instid0(VALU_DEP_2) | instskip(SKIP_1) | instid1(VALU_DEP_3)
	v_fma_f32 v1, v10, s18, -v1
	v_mul_f32_e32 v11, s18, v11
	v_fmac_f32_e32 v13, s5, v12
	s_delay_alu instid0(VALU_DEP_2) | instskip(SKIP_1) | instid1(VALU_DEP_1)
	v_fmac_f32_e32 v11, s19, v10
	v_fma_f32 v10, v12, s4, -v14
	v_dual_add_f32 v11, v11, v13 :: v_dual_add_f32 v10, v1, v10
	global_store_b64 v[3:4], v[10:11], off
	s_and_b32 exec_lo, exec_lo, s1
	s_cbranch_execz .LBB1266_9
; %bb.8:
	v_mov_b32_e32 v1, 0
	global_store_b32 v[3:4], v1, off offset:4
.LBB1266_9:
	s_or_b32 exec_lo, exec_lo, s6
	v_add_nc_u32_e32 v12, 16, v8
	s_delay_alu instid0(VALU_DEP_1) | instskip(SKIP_3) | instid1(VALU_DEP_4)
	v_ashrrev_i32_e32 v1, 31, v12
	v_mul_lo_u32 v10, v12, s9
	v_mad_u64_u32 v[3:4], null, v12, s8, 0
	v_cmp_le_i32_e64 s1, v12, v0
	v_mul_lo_u32 v1, v1, s8
	s_delay_alu instid0(VALU_DEP_1) | instskip(NEXT) | instid1(VALU_DEP_1)
	v_add3_u32 v4, v4, v10, v1
	v_lshlrev_b64 v[3:4], 3, v[3:4]
	s_delay_alu instid0(VALU_DEP_1) | instskip(NEXT) | instid1(VALU_DEP_1)
	v_add_co_u32 v10, s2, s2, v3
	v_add_co_ci_u32_e64 v11, s2, s3, v4, s2
	s_and_b32 s2, s1, vcc_lo
	s_delay_alu instid0(SALU_CYCLE_1)
	s_and_saveexec_b32 s1, s2
	s_cbranch_execz .LBB1266_12
; %bb.10:
	v_ashrrev_i32_e32 v1, 31, v0
	s_delay_alu instid0(VALU_DEP_1) | instskip(NEXT) | instid1(VALU_DEP_1)
	v_lshlrev_b64 v[3:4], 3, v[0:1]
	v_add_co_u32 v3, vcc_lo, v10, v3
	s_delay_alu instid0(VALU_DEP_2) | instskip(SKIP_4) | instid1(VALU_DEP_1)
	v_add_co_ci_u32_e32 v4, vcc_lo, v11, v4, vcc_lo
	v_cmp_eq_u32_e32 vcc_lo, v12, v0
	global_load_b64 v[13:14], v[3:4], off
	v_mul_f32_e32 v1, s19, v9
	v_mul_f32_e32 v9, s18, v9
	v_fmac_f32_e32 v9, s19, v7
	s_waitcnt vmcnt(0)
	v_mul_f32_e32 v15, s5, v14
	v_mul_f32_e32 v14, s4, v14
	v_fma_f32 v1, v7, s18, -v1
	s_delay_alu instid0(VALU_DEP_2) | instskip(NEXT) | instid1(VALU_DEP_4)
	v_fmac_f32_e32 v14, s5, v13
	v_fma_f32 v7, v13, s4, -v15
	s_delay_alu instid0(VALU_DEP_2) | instskip(NEXT) | instid1(VALU_DEP_2)
	v_add_f32_e32 v14, v9, v14
	v_add_f32_e32 v13, v1, v7
	global_store_b64 v[3:4], v[13:14], off
	s_and_b32 exec_lo, exec_lo, vcc_lo
	s_cbranch_execz .LBB1266_12
; %bb.11:
	v_mov_b32_e32 v1, 0
	global_store_b32 v[3:4], v1, off offset:4
.LBB1266_12:
	s_or_b32 exec_lo, exec_lo, s1
	v_cmp_le_i32_e32 vcc_lo, v12, v2
	s_and_b32 s0, vcc_lo, s0
	s_delay_alu instid0(SALU_CYCLE_1)
	s_and_saveexec_b32 s1, s0
	s_cbranch_execz .LBB1266_15
; %bb.13:
	v_ashrrev_i32_e32 v3, 31, v2
	s_delay_alu instid0(VALU_DEP_1) | instskip(NEXT) | instid1(VALU_DEP_1)
	v_lshlrev_b64 v[1:2], 3, v[2:3]
	v_add_co_u32 v1, vcc_lo, v10, v1
	s_delay_alu instid0(VALU_DEP_2)
	v_add_co_ci_u32_e32 v2, vcc_lo, v11, v2, vcc_lo
	v_cmp_eq_u32_e32 vcc_lo, v8, v0
	global_load_b64 v[3:4], v[1:2], off
	v_mul_f32_e32 v7, s19, v6
	s_waitcnt vmcnt(0)
	v_dual_mul_f32 v6, s18, v6 :: v_dual_mul_f32 v9, s5, v4
	v_mul_f32_e32 v4, s4, v4
	s_delay_alu instid0(VALU_DEP_3) | instskip(NEXT) | instid1(VALU_DEP_3)
	v_fma_f32 v7, v5, s18, -v7
	v_fmac_f32_e32 v6, s19, v5
	s_delay_alu instid0(VALU_DEP_4) | instskip(NEXT) | instid1(VALU_DEP_1)
	v_fma_f32 v5, v3, s4, -v9
	v_dual_fmac_f32 v4, s5, v3 :: v_dual_add_f32 v3, v7, v5
	s_delay_alu instid0(VALU_DEP_1)
	v_add_f32_e32 v4, v6, v4
	global_store_b64 v[1:2], v[3:4], off
	s_and_b32 exec_lo, exec_lo, vcc_lo
	s_cbranch_execz .LBB1266_15
; %bb.14:
	v_mov_b32_e32 v0, 0
	global_store_b32 v[1:2], v0, off offset:4
.LBB1266_15:
	s_nop 0
	s_sendmsg sendmsg(MSG_DEALLOC_VGPRS)
	s_endpgm
	.section	.rodata,"a",@progbits
	.p2align	6, 0x0
	.amdhsa_kernel _ZL37rocblas_syrkx_herkx_restricted_kernelIl19rocblas_complex_numIfELi16ELi32ELi8ELb0ELb1ELc78ELc76EKS1_S1_EviT_T0_PT8_S3_lS6_S3_lS4_PT9_S3_li
		.amdhsa_group_segment_fixed_size 4096
		.amdhsa_private_segment_fixed_size 0
		.amdhsa_kernarg_size 108
		.amdhsa_user_sgpr_count 13
		.amdhsa_user_sgpr_dispatch_ptr 0
		.amdhsa_user_sgpr_queue_ptr 0
		.amdhsa_user_sgpr_kernarg_segment_ptr 1
		.amdhsa_user_sgpr_dispatch_id 0
		.amdhsa_user_sgpr_private_segment_size 0
		.amdhsa_wavefront_size32 1
		.amdhsa_uses_dynamic_stack 0
		.amdhsa_enable_private_segment 0
		.amdhsa_system_sgpr_workgroup_id_x 1
		.amdhsa_system_sgpr_workgroup_id_y 1
		.amdhsa_system_sgpr_workgroup_id_z 1
		.amdhsa_system_sgpr_workgroup_info 0
		.amdhsa_system_vgpr_workitem_id 1
		.amdhsa_next_free_vgpr 92
		.amdhsa_next_free_sgpr 32
		.amdhsa_reserve_vcc 1
		.amdhsa_float_round_mode_32 0
		.amdhsa_float_round_mode_16_64 0
		.amdhsa_float_denorm_mode_32 3
		.amdhsa_float_denorm_mode_16_64 3
		.amdhsa_dx10_clamp 1
		.amdhsa_ieee_mode 1
		.amdhsa_fp16_overflow 0
		.amdhsa_workgroup_processor_mode 1
		.amdhsa_memory_ordered 1
		.amdhsa_forward_progress 0
		.amdhsa_shared_vgpr_count 0
		.amdhsa_exception_fp_ieee_invalid_op 0
		.amdhsa_exception_fp_denorm_src 0
		.amdhsa_exception_fp_ieee_div_zero 0
		.amdhsa_exception_fp_ieee_overflow 0
		.amdhsa_exception_fp_ieee_underflow 0
		.amdhsa_exception_fp_ieee_inexact 0
		.amdhsa_exception_int_div_zero 0
	.end_amdhsa_kernel
	.section	.text._ZL37rocblas_syrkx_herkx_restricted_kernelIl19rocblas_complex_numIfELi16ELi32ELi8ELb0ELb1ELc78ELc76EKS1_S1_EviT_T0_PT8_S3_lS6_S3_lS4_PT9_S3_li,"axG",@progbits,_ZL37rocblas_syrkx_herkx_restricted_kernelIl19rocblas_complex_numIfELi16ELi32ELi8ELb0ELb1ELc78ELc76EKS1_S1_EviT_T0_PT8_S3_lS6_S3_lS4_PT9_S3_li,comdat
.Lfunc_end1266:
	.size	_ZL37rocblas_syrkx_herkx_restricted_kernelIl19rocblas_complex_numIfELi16ELi32ELi8ELb0ELb1ELc78ELc76EKS1_S1_EviT_T0_PT8_S3_lS6_S3_lS4_PT9_S3_li, .Lfunc_end1266-_ZL37rocblas_syrkx_herkx_restricted_kernelIl19rocblas_complex_numIfELi16ELi32ELi8ELb0ELb1ELc78ELc76EKS1_S1_EviT_T0_PT8_S3_lS6_S3_lS4_PT9_S3_li
                                        ; -- End function
	.section	.AMDGPU.csdata,"",@progbits
; Kernel info:
; codeLenInByte = 2512
; NumSgprs: 34
; NumVgprs: 92
; ScratchSize: 0
; MemoryBound: 0
; FloatMode: 240
; IeeeMode: 1
; LDSByteSize: 4096 bytes/workgroup (compile time only)
; SGPRBlocks: 4
; VGPRBlocks: 11
; NumSGPRsForWavesPerEU: 34
; NumVGPRsForWavesPerEU: 92
; Occupancy: 16
; WaveLimiterHint : 0
; COMPUTE_PGM_RSRC2:SCRATCH_EN: 0
; COMPUTE_PGM_RSRC2:USER_SGPR: 13
; COMPUTE_PGM_RSRC2:TRAP_HANDLER: 0
; COMPUTE_PGM_RSRC2:TGID_X_EN: 1
; COMPUTE_PGM_RSRC2:TGID_Y_EN: 1
; COMPUTE_PGM_RSRC2:TGID_Z_EN: 1
; COMPUTE_PGM_RSRC2:TIDIG_COMP_CNT: 1
	.section	.text._ZL37rocblas_syrkx_herkx_restricted_kernelIl19rocblas_complex_numIfELi16ELi32ELi8ELb0ELb1ELc84ELc85EKS1_S1_EviT_T0_PT8_S3_lS6_S3_lS4_PT9_S3_li,"axG",@progbits,_ZL37rocblas_syrkx_herkx_restricted_kernelIl19rocblas_complex_numIfELi16ELi32ELi8ELb0ELb1ELc84ELc85EKS1_S1_EviT_T0_PT8_S3_lS6_S3_lS4_PT9_S3_li,comdat
	.globl	_ZL37rocblas_syrkx_herkx_restricted_kernelIl19rocblas_complex_numIfELi16ELi32ELi8ELb0ELb1ELc84ELc85EKS1_S1_EviT_T0_PT8_S3_lS6_S3_lS4_PT9_S3_li ; -- Begin function _ZL37rocblas_syrkx_herkx_restricted_kernelIl19rocblas_complex_numIfELi16ELi32ELi8ELb0ELb1ELc84ELc85EKS1_S1_EviT_T0_PT8_S3_lS6_S3_lS4_PT9_S3_li
	.p2align	8
	.type	_ZL37rocblas_syrkx_herkx_restricted_kernelIl19rocblas_complex_numIfELi16ELi32ELi8ELb0ELb1ELc84ELc85EKS1_S1_EviT_T0_PT8_S3_lS6_S3_lS4_PT9_S3_li,@function
_ZL37rocblas_syrkx_herkx_restricted_kernelIl19rocblas_complex_numIfELi16ELi32ELi8ELb0ELb1ELc84ELc85EKS1_S1_EviT_T0_PT8_S3_lS6_S3_lS4_PT9_S3_li: ; @_ZL37rocblas_syrkx_herkx_restricted_kernelIl19rocblas_complex_numIfELi16ELi32ELi8ELb0ELb1ELc84ELc85EKS1_S1_EviT_T0_PT8_S3_lS6_S3_lS4_PT9_S3_li
; %bb.0:
	s_load_b512 s[16:31], s[0:1], 0x8
	v_dual_mov_b32 v14, 0 :: v_dual_mov_b32 v11, 0
	v_dual_mov_b32 v16, 0 :: v_dual_mov_b32 v9, 0
	;; [unrolled: 1-line block ×4, first 2 shown]
	v_and_b32_e32 v6, 0x3ff, v0
	v_bfe_u32 v10, v0, 10, 10
	s_lshl_b32 s12, s13, 5
	s_lshl_b32 s13, s14, 5
	s_waitcnt lgkmcnt(0)
	v_cmp_lt_i64_e64 s2, s[16:17], 1
	s_delay_alu instid0(VALU_DEP_1)
	s_and_b32 vcc_lo, exec_lo, s2
	s_cbranch_vccnz .LBB1267_3
; %bb.1:
	v_lshl_add_u32 v2, v10, 4, v6
	v_dual_mov_b32 v1, 0 :: v_dual_and_b32 v0, 7, v6
	s_mul_i32 s3, s25, s15
	s_mul_hi_u32 s4, s24, s15
	s_delay_alu instid0(VALU_DEP_2)
	v_and_b32_e32 v9, 31, v2
	v_lshrrev_b32_e32 v11, 3, v2
	v_lshrrev_b32_e32 v2, 5, v2
	v_lshlrev_b32_e32 v14, 3, v0
	s_mul_i32 s2, s24, s15
	v_add_nc_u32_e32 v7, s12, v9
	v_dual_mov_b32 v3, v1 :: v_dual_add_nc_u32 v12, s13, v11
	s_add_i32 s3, s4, s3
	s_mul_hi_u32 s5, s30, s15
	s_delay_alu instid0(VALU_DEP_2) | instskip(NEXT) | instid1(VALU_DEP_2)
	v_ashrrev_i32_e32 v8, 31, v7
	v_ashrrev_i32_e32 v15, 31, v12
	v_mad_u64_u32 v[4:5], null, s22, v7, v[2:3]
	v_mul_lo_u32 v3, s23, v7
	s_delay_alu instid0(VALU_DEP_4)
	v_mul_lo_u32 v16, s22, v8
	v_mul_lo_u32 v17, v12, s29
	v_mad_u64_u32 v[7:8], null, v12, s28, v[0:1]
	v_mul_lo_u32 v12, v15, s28
	s_lshl_b64 s[2:3], s[2:3], 3
	v_lshlrev_b32_e32 v13, 3, v6
	s_add_u32 s4, s20, s2
	v_add3_u32 v5, v3, v5, v16
	s_mul_i32 s2, s31, s15
	s_addc_u32 s6, s21, s3
	s_add_i32 s3, s5, s2
	v_add3_u32 v8, v12, v8, v17
	v_mov_b32_e32 v12, v1
	v_lshlrev_b32_e32 v0, 3, v9
	s_mul_i32 s2, s30, s15
	v_lshl_add_u32 v17, v10, 6, 0x800
	s_lshl_b64 s[2:3], s[2:3], 3
	v_mov_b32_e32 v16, v1
	v_lshl_or_b32 v0, v2, 8, v0
	v_lshlrev_b64 v[2:3], 3, v[4:5]
	v_lshlrev_b64 v[4:5], 3, v[7:8]
	s_add_u32 s2, s26, s2
	s_addc_u32 s3, s27, s3
	v_mov_b32_e32 v7, v1
	v_lshl_or_b32 v9, v11, 6, v14
	v_add_co_u32 v2, vcc_lo, s4, v2
	v_add_co_ci_u32_e32 v3, vcc_lo, s6, v3, vcc_lo
	v_add_co_u32 v4, vcc_lo, s2, v4
	v_add_co_ci_u32_e32 v5, vcc_lo, s3, v5, vcc_lo
	s_delay_alu instid0(VALU_DEP_4) | instskip(NEXT) | instid1(VALU_DEP_4)
	v_add_co_u32 v2, vcc_lo, v2, 4
	v_add_co_ci_u32_e32 v3, vcc_lo, 0, v3, vcc_lo
	s_delay_alu instid0(VALU_DEP_4)
	v_add_co_u32 v4, vcc_lo, v4, 4
	v_dual_mov_b32 v14, v1 :: v_dual_add_nc_u32 v15, 0x800, v9
	v_add_co_ci_u32_e32 v5, vcc_lo, 0, v5, vcc_lo
	v_mov_b32_e32 v9, v1
	v_mov_b32_e32 v8, v1
	;; [unrolled: 1-line block ×3, first 2 shown]
	s_mov_b64 s[2:3], 0
.LBB1267_2:                             ; =>This Inner Loop Header: Depth=1
	global_load_b64 v[18:19], v[2:3], off offset:-4
	global_load_b64 v[20:21], v[4:5], off offset:-4
	s_add_u32 s2, s2, 8
	v_add_co_u32 v2, vcc_lo, v2, 64
	s_addc_u32 s3, s3, 0
	v_add_co_ci_u32_e32 v3, vcc_lo, 0, v3, vcc_lo
	v_cmp_ge_u64_e64 s4, s[2:3], s[16:17]
	v_add_co_u32 v4, vcc_lo, v4, 64
	v_add_co_ci_u32_e32 v5, vcc_lo, 0, v5, vcc_lo
	s_waitcnt vmcnt(1)
	ds_store_b64 v0, v[18:19]
	s_waitcnt vmcnt(0)
	ds_store_b64 v15, v[20:21]
	s_waitcnt lgkmcnt(0)
	s_barrier
	buffer_gl0_inv
	ds_load_2addr_b64 v[18:21], v13 offset1:16
	ds_load_b128 v[22:25], v17
	ds_load_b128 v[26:29], v17 offset:1024
	ds_load_b128 v[30:33], v17 offset:16
	;; [unrolled: 1-line block ×4, first 2 shown]
	ds_load_2addr_b64 v[42:45], v13 offset0:32 offset1:48
	ds_load_2addr_b64 v[46:49], v13 offset0:64 offset1:80
	ds_load_b128 v[50:53], v17 offset:1040
	ds_load_2addr_b64 v[54:57], v13 offset0:96 offset1:112
	ds_load_2addr_b64 v[58:61], v13 offset0:128 offset1:144
	;; [unrolled: 1-line block ×4, first 2 shown]
	ds_load_b128 v[70:73], v17 offset:1056
	ds_load_b128 v[74:77], v17 offset:1072
	ds_load_2addr_b64 v[78:81], v13 offset0:224 offset1:240
	s_and_b32 vcc_lo, exec_lo, s4
	s_waitcnt lgkmcnt(0)
	s_barrier
	buffer_gl0_inv
	v_dual_mul_f32 v82, v23, v19 :: v_dual_mul_f32 v85, v22, v21
	v_dual_mul_f32 v83, v22, v19 :: v_dual_mul_f32 v84, v23, v21
	v_mul_f32_e32 v86, v27, v19
	v_dual_mul_f32 v19, v26, v19 :: v_dual_mul_f32 v90, v25, v45
	v_dual_mul_f32 v87, v27, v21 :: v_dual_mul_f32 v88, v25, v43
	v_mul_f32_e32 v21, v26, v21
	v_fma_f32 v82, v22, v18, -v82
	v_fmac_f32_e32 v83, v23, v18
	v_fma_f32 v22, v22, v20, -v84
	v_fmac_f32_e32 v85, v23, v20
	v_fma_f32 v23, v26, v18, -v86
	v_dual_fmac_f32 v19, v27, v18 :: v_dual_mul_f32 v86, v30, v47
	v_fma_f32 v18, v26, v20, -v87
	v_dual_fmac_f32 v21, v27, v20 :: v_dual_mul_f32 v20, v24, v45
	v_mul_f32_e32 v89, v24, v43
	v_mul_f32_e32 v26, v29, v43
	;; [unrolled: 1-line block ×4, first 2 shown]
	v_fmac_f32_e32 v20, v25, v44
	v_fmac_f32_e32 v89, v25, v42
	v_dual_mul_f32 v25, v28, v45 :: v_dual_fmac_f32 v86, v31, v46
	v_fma_f32 v84, v24, v42, -v88
	v_fma_f32 v24, v24, v44, -v90
	v_dual_mul_f32 v45, v31, v47 :: v_dual_mul_f32 v90, v33, v57
	v_fma_f32 v26, v28, v42, -v26
	v_fma_f32 v28, v28, v44, -v43
	v_fmac_f32_e32 v25, v29, v44
	v_dual_mul_f32 v43, v50, v47 :: v_dual_mul_f32 v44, v51, v49
	v_dual_fmac_f32 v27, v29, v42 :: v_dual_mul_f32 v42, v51, v47
	v_dual_mul_f32 v88, v32, v55 :: v_dual_mul_f32 v29, v30, v49
	v_mul_f32_e32 v87, v31, v49
	v_fma_f32 v45, v30, v46, -v45
	v_add_f32_e32 v14, v14, v82
	s_delay_alu instid0(VALU_DEP_4)
	v_dual_fmac_f32 v88, v33, v54 :: v_dual_fmac_f32 v29, v31, v48
	v_fma_f32 v31, v50, v46, -v42
	v_fma_f32 v42, v50, v48, -v44
	v_mul_f32_e32 v44, v32, v57
	v_mul_f32_e32 v47, v50, v49
	v_dual_mul_f32 v50, v53, v57 :: v_dual_fmac_f32 v43, v51, v46
	v_mul_f32_e32 v46, v53, v55
	v_mul_f32_e32 v49, v33, v55
	v_fma_f32 v30, v30, v48, -v87
	v_fmac_f32_e32 v44, v33, v56
	v_dual_fmac_f32 v47, v51, v48 :: v_dual_mul_f32 v48, v52, v55
	v_mul_f32_e32 v33, v52, v57
	v_fma_f32 v46, v52, v54, -v46
	v_fma_f32 v50, v52, v56, -v50
	v_mul_f32_e32 v52, v34, v61
	v_fma_f32 v49, v32, v54, -v49
	v_fma_f32 v32, v32, v56, -v90
	v_dual_mul_f32 v51, v35, v59 :: v_dual_fmac_f32 v48, v53, v54
	v_mul_f32_e32 v54, v70, v59
	v_dual_mul_f32 v55, v34, v59 :: v_dual_fmac_f32 v52, v35, v60
	v_fmac_f32_e32 v33, v53, v56
	v_mul_f32_e32 v53, v71, v59
	v_mul_f32_e32 v56, v71, v61
	;; [unrolled: 1-line block ×3, first 2 shown]
	v_fmac_f32_e32 v54, v71, v58
	v_fmac_f32_e32 v55, v35, v58
	v_fma_f32 v35, v70, v58, -v53
	v_fma_f32 v53, v70, v60, -v56
	v_mul_f32_e32 v56, v36, v65
	v_mul_f32_e32 v59, v70, v61
	v_fma_f32 v51, v34, v58, -v51
	v_mul_f32_e32 v58, v72, v63
	v_mul_f32_e32 v87, v36, v63
	;; [unrolled: 1-line block ×4, first 2 shown]
	v_fma_f32 v34, v34, v60, -v57
	v_mul_f32_e32 v57, v73, v63
	v_fmac_f32_e32 v56, v37, v64
	v_dual_fmac_f32 v59, v71, v60 :: v_dual_mul_f32 v60, v73, v65
	v_mul_f32_e32 v63, v39, v67
	v_mul_f32_e32 v70, v39, v69
	v_fmac_f32_e32 v58, v73, v62
	v_fmac_f32_e32 v87, v37, v62
	v_mul_f32_e32 v37, v72, v65
	v_mul_f32_e32 v65, v38, v67
	;; [unrolled: 1-line block ×3, first 2 shown]
	v_fma_f32 v61, v36, v62, -v61
	v_fma_f32 v36, v36, v64, -v90
	;; [unrolled: 1-line block ×4, first 2 shown]
	v_dual_fmac_f32 v37, v73, v64 :: v_dual_mul_f32 v62, v38, v69
	v_mul_f32_e32 v64, v75, v67
	v_dual_mul_f32 v73, v40, v79 :: v_dual_add_f32 v14, v14, v84
	v_fma_f32 v63, v38, v66, -v63
	v_dual_fmac_f32 v65, v39, v66 :: v_dual_add_f32 v12, v12, v85
	v_fma_f32 v38, v38, v68, -v70
	v_mul_f32_e32 v70, v76, v79
	v_mul_f32_e32 v67, v74, v67
	v_dual_mul_f32 v69, v74, v69 :: v_dual_add_f32 v16, v16, v83
	v_fmac_f32_e32 v62, v39, v68
	v_fma_f32 v39, v74, v66, -v64
	v_fma_f32 v64, v74, v68, -v71
	v_dual_mul_f32 v71, v77, v81 :: v_dual_add_f32 v12, v12, v20
	v_dual_fmac_f32 v73, v41, v78 :: v_dual_add_f32 v14, v14, v45
	v_fmac_f32_e32 v70, v77, v78
	v_dual_fmac_f32 v67, v75, v66 :: v_dual_add_f32 v8, v8, v23
	v_dual_mul_f32 v66, v40, v81 :: v_dual_add_f32 v11, v11, v22
	v_add_f32_e32 v12, v12, v29
	v_mul_f32_e32 v72, v41, v79
	v_dual_mul_f32 v90, v41, v81 :: v_dual_fmac_f32 v69, v75, v68
	v_add_f32_e32 v16, v16, v89
	v_fmac_f32_e32 v66, v41, v80
	v_dual_add_f32 v11, v11, v24 :: v_dual_add_f32 v14, v14, v49
	v_mul_f32_e32 v41, v76, v81
	s_delay_alu instid0(VALU_DEP_4) | instskip(SKIP_1) | instid1(VALU_DEP_4)
	v_dual_add_f32 v9, v9, v19 :: v_dual_add_f32 v16, v16, v86
	v_dual_add_f32 v1, v1, v21 :: v_dual_add_f32 v8, v8, v26
	;; [unrolled: 1-line block ×3, first 2 shown]
	s_delay_alu instid0(VALU_DEP_4) | instskip(NEXT) | instid1(VALU_DEP_4)
	v_fmac_f32_e32 v41, v77, v80
	v_dual_add_f32 v9, v9, v27 :: v_dual_add_f32 v12, v12, v44
	s_delay_alu instid0(VALU_DEP_3) | instskip(SKIP_1) | instid1(VALU_DEP_3)
	v_dual_add_f32 v8, v8, v31 :: v_dual_add_f32 v7, v7, v28
	v_dual_add_f32 v16, v16, v88 :: v_dual_add_f32 v1, v1, v25
	;; [unrolled: 1-line block ×3, first 2 shown]
	s_delay_alu instid0(VALU_DEP_4) | instskip(NEXT) | instid1(VALU_DEP_4)
	v_dual_add_f32 v9, v9, v43 :: v_dual_add_f32 v14, v14, v61
	v_add_f32_e32 v8, v8, v46
	s_delay_alu instid0(VALU_DEP_4) | instskip(NEXT) | instid1(VALU_DEP_4)
	v_dual_add_f32 v7, v7, v42 :: v_dual_add_f32 v16, v16, v55
	v_dual_add_f32 v1, v1, v47 :: v_dual_add_f32 v12, v12, v56
	s_delay_alu instid0(VALU_DEP_3) | instskip(NEXT) | instid1(VALU_DEP_3)
	v_dual_add_f32 v11, v11, v32 :: v_dual_add_f32 v8, v8, v35
	v_dual_add_f32 v16, v16, v87 :: v_dual_add_f32 v9, v9, v48
	s_delay_alu instid0(VALU_DEP_4) | instskip(NEXT) | instid1(VALU_DEP_4)
	v_dual_add_f32 v7, v7, v50 :: v_dual_add_f32 v14, v14, v63
	v_dual_add_f32 v1, v1, v33 :: v_dual_add_f32 v12, v12, v62
	v_mul_f32_e32 v68, v77, v79
	v_fma_f32 v72, v40, v78, -v72
	v_dual_add_f32 v11, v11, v34 :: v_dual_add_f32 v16, v16, v65
	v_add_f32_e32 v7, v7, v53
	v_dual_add_f32 v1, v1, v59 :: v_dual_add_f32 v8, v8, v57
	v_add_f32_e32 v9, v9, v54
	v_fma_f32 v68, v76, v78, -v68
	v_dual_add_f32 v11, v11, v36 :: v_dual_add_f32 v12, v12, v66
	s_delay_alu instid0(VALU_DEP_3) | instskip(SKIP_2) | instid1(VALU_DEP_3)
	v_dual_add_f32 v8, v8, v39 :: v_dual_add_f32 v9, v9, v58
	v_add_f32_e32 v14, v14, v72
	v_dual_add_f32 v7, v7, v60 :: v_dual_add_f32 v16, v16, v73
	v_dual_add_f32 v8, v8, v68 :: v_dual_add_f32 v1, v1, v37
	v_fma_f32 v40, v40, v80, -v90
	v_fma_f32 v71, v76, v80, -v71
	v_add_f32_e32 v11, v11, v38
	v_add_f32_e32 v9, v9, v67
	v_add_f32_e32 v7, v7, v64
	v_add_f32_e32 v1, v1, v69
	s_delay_alu instid0(VALU_DEP_4) | instskip(NEXT) | instid1(VALU_DEP_4)
	v_add_f32_e32 v11, v11, v40
	v_add_f32_e32 v9, v9, v70
	s_delay_alu instid0(VALU_DEP_4) | instskip(NEXT) | instid1(VALU_DEP_4)
	v_add_f32_e32 v7, v7, v71
	v_add_f32_e32 v1, v1, v41
	s_cbranch_vccz .LBB1267_2
.LBB1267_3:
	s_load_b256 s[4:11], s[0:1], 0x48
	v_add_nc_u32_e32 v0, s13, v10
	s_load_b32 s2, s[0:1], 0x0
	s_delay_alu instid0(VALU_DEP_1) | instskip(SKIP_3) | instid1(VALU_DEP_3)
	v_ashrrev_i32_e32 v2, 31, v0
	s_waitcnt lgkmcnt(0)
	v_mul_lo_u32 v5, v0, s9
	v_mad_u64_u32 v[3:4], null, v0, s8, 0
	v_mul_lo_u32 v2, v2, s8
	s_mul_i32 s1, s15, s11
	s_mul_hi_u32 s3, s15, s10
	s_mul_i32 s0, s15, s10
	s_add_i32 s1, s3, s1
	v_cmp_gt_i32_e32 vcc_lo, s2, v0
	s_lshl_b64 s[10:11], s[0:1], 3
	s_delay_alu instid0(VALU_DEP_2) | instskip(SKIP_3) | instid1(VALU_DEP_2)
	v_add3_u32 v4, v4, v5, v2
	v_add_nc_u32_e32 v2, s12, v6
	s_add_u32 s3, s6, s10
	s_addc_u32 s6, s7, s11
	v_lshlrev_b64 v[3:4], 3, v[3:4]
	s_delay_alu instid0(VALU_DEP_2) | instskip(NEXT) | instid1(VALU_DEP_1)
	v_cmp_le_i32_e64 s0, v2, v0
	s_and_b32 s0, vcc_lo, s0
	s_delay_alu instid0(VALU_DEP_2) | instskip(NEXT) | instid1(VALU_DEP_1)
	v_add_co_u32 v6, s1, s3, v3
	v_add_co_ci_u32_e64 v10, s1, s6, v4, s1
	s_and_saveexec_b32 s1, s0
	s_cbranch_execz .LBB1267_6
; %bb.4:
	v_ashrrev_i32_e32 v3, 31, v2
	s_delay_alu instid0(VALU_DEP_1) | instskip(NEXT) | instid1(VALU_DEP_1)
	v_lshlrev_b64 v[3:4], 3, v[2:3]
	v_add_co_u32 v3, s0, v6, v3
	s_delay_alu instid0(VALU_DEP_1)
	v_add_co_ci_u32_e64 v4, s0, v10, v4, s0
	v_cmp_eq_u32_e64 s0, v0, v2
	global_load_b64 v[17:18], v[3:4], off
	v_mul_f32_e32 v5, s19, v16
	s_waitcnt vmcnt(0)
	v_dual_mul_f32 v15, s18, v16 :: v_dual_mul_f32 v16, s4, v18
	s_delay_alu instid0(VALU_DEP_2) | instskip(NEXT) | instid1(VALU_DEP_2)
	v_fma_f32 v5, v14, s18, -v5
	v_dual_fmac_f32 v16, s5, v17 :: v_dual_fmac_f32 v15, s19, v14
	s_delay_alu instid0(VALU_DEP_1) | instskip(NEXT) | instid1(VALU_DEP_1)
	v_dual_mul_f32 v13, s5, v18 :: v_dual_add_f32 v14, v15, v16
	v_fma_f32 v13, v17, s4, -v13
	s_delay_alu instid0(VALU_DEP_1)
	v_add_f32_e32 v13, v5, v13
	global_store_b64 v[3:4], v[13:14], off
	s_and_b32 exec_lo, exec_lo, s0
	s_cbranch_execz .LBB1267_6
; %bb.5:
	v_mov_b32_e32 v5, 0
	global_store_b32 v[3:4], v5, off offset:4
.LBB1267_6:
	s_or_b32 exec_lo, exec_lo, s1
	v_add_nc_u32_e32 v4, 16, v2
	s_delay_alu instid0(VALU_DEP_1) | instskip(NEXT) | instid1(VALU_DEP_1)
	v_cmp_le_i32_e64 s0, v4, v0
	s_and_b32 s1, vcc_lo, s0
	s_delay_alu instid0(SALU_CYCLE_1)
	s_and_saveexec_b32 s0, s1
	s_cbranch_execz .LBB1267_9
; %bb.7:
	v_ashrrev_i32_e32 v5, 31, v4
	s_delay_alu instid0(VALU_DEP_1) | instskip(NEXT) | instid1(VALU_DEP_1)
	v_lshlrev_b64 v[13:14], 3, v[4:5]
	v_add_co_u32 v5, vcc_lo, v6, v13
	s_delay_alu instid0(VALU_DEP_2) | instskip(SKIP_4) | instid1(VALU_DEP_1)
	v_add_co_ci_u32_e32 v6, vcc_lo, v10, v14, vcc_lo
	v_cmp_eq_u32_e32 vcc_lo, v0, v4
	global_load_b64 v[13:14], v[5:6], off
	v_mul_f32_e32 v3, s19, v12
	v_mul_f32_e32 v12, s18, v12
	v_fmac_f32_e32 v12, s19, v11
	s_waitcnt vmcnt(0)
	v_mul_f32_e32 v10, s5, v14
	v_mul_f32_e32 v14, s4, v14
	v_fma_f32 v3, v11, s18, -v3
	s_delay_alu instid0(VALU_DEP_3) | instskip(NEXT) | instid1(VALU_DEP_3)
	v_fma_f32 v10, v13, s4, -v10
	v_fmac_f32_e32 v14, s5, v13
	s_delay_alu instid0(VALU_DEP_2) | instskip(NEXT) | instid1(VALU_DEP_2)
	v_add_f32_e32 v10, v3, v10
	v_add_f32_e32 v11, v12, v14
	global_store_b64 v[5:6], v[10:11], off
	s_and_b32 exec_lo, exec_lo, vcc_lo
	s_cbranch_execz .LBB1267_9
; %bb.8:
	v_mov_b32_e32 v3, 0
	global_store_b32 v[5:6], v3, off offset:4
.LBB1267_9:
	s_or_b32 exec_lo, exec_lo, s0
	v_add_nc_u32_e32 v12, 16, v0
	s_delay_alu instid0(VALU_DEP_1) | instskip(SKIP_3) | instid1(VALU_DEP_4)
	v_ashrrev_i32_e32 v3, 31, v12
	v_mul_lo_u32 v10, v12, s9
	v_mad_u64_u32 v[5:6], null, v12, s8, 0
	v_cmp_gt_i32_e32 vcc_lo, s2, v12
	v_mul_lo_u32 v3, v3, s8
	v_cmp_le_i32_e64 s0, v2, v12
	s_delay_alu instid0(VALU_DEP_1) | instskip(NEXT) | instid1(VALU_DEP_2)
	s_and_b32 s0, vcc_lo, s0
	v_add3_u32 v6, v6, v10, v3
	s_delay_alu instid0(VALU_DEP_1) | instskip(NEXT) | instid1(VALU_DEP_1)
	v_lshlrev_b64 v[5:6], 3, v[5:6]
	v_add_co_u32 v10, s1, s3, v5
	s_delay_alu instid0(VALU_DEP_1)
	v_add_co_ci_u32_e64 v11, s1, s6, v6, s1
	s_and_saveexec_b32 s1, s0
	s_cbranch_execz .LBB1267_12
; %bb.10:
	v_ashrrev_i32_e32 v3, 31, v2
	s_delay_alu instid0(VALU_DEP_1) | instskip(NEXT) | instid1(VALU_DEP_1)
	v_lshlrev_b64 v[5:6], 3, v[2:3]
	v_add_co_u32 v5, s0, v10, v5
	s_delay_alu instid0(VALU_DEP_1)
	v_add_co_ci_u32_e64 v6, s0, v11, v6, s0
	v_cmp_eq_u32_e64 s0, v12, v2
	global_load_b64 v[13:14], v[5:6], off
	v_mul_f32_e32 v3, s19, v9
	s_waitcnt vmcnt(0)
	v_mul_f32_e32 v15, s5, v14
	v_mul_f32_e32 v14, s4, v14
	s_delay_alu instid0(VALU_DEP_3) | instskip(SKIP_1) | instid1(VALU_DEP_1)
	v_fma_f32 v3, v8, s18, -v3
	v_mul_f32_e32 v9, s18, v9
	v_dual_fmac_f32 v14, s5, v13 :: v_dual_fmac_f32 v9, s19, v8
	v_fma_f32 v8, v13, s4, -v15
	s_delay_alu instid0(VALU_DEP_1)
	v_dual_add_f32 v9, v9, v14 :: v_dual_add_f32 v8, v3, v8
	global_store_b64 v[5:6], v[8:9], off
	s_and_b32 exec_lo, exec_lo, s0
	s_cbranch_execz .LBB1267_12
; %bb.11:
	v_mov_b32_e32 v3, 0
	global_store_b32 v[5:6], v3, off offset:4
.LBB1267_12:
	s_or_b32 exec_lo, exec_lo, s1
	v_cmp_le_i32_e64 s0, v4, v12
	s_delay_alu instid0(VALU_DEP_1) | instskip(NEXT) | instid1(SALU_CYCLE_1)
	s_and_b32 s0, vcc_lo, s0
	s_and_saveexec_b32 s1, s0
	s_cbranch_execz .LBB1267_15
; %bb.13:
	v_ashrrev_i32_e32 v5, 31, v4
	s_delay_alu instid0(VALU_DEP_1) | instskip(NEXT) | instid1(VALU_DEP_1)
	v_lshlrev_b64 v[3:4], 3, v[4:5]
	v_add_co_u32 v3, vcc_lo, v10, v3
	s_delay_alu instid0(VALU_DEP_2)
	v_add_co_ci_u32_e32 v4, vcc_lo, v11, v4, vcc_lo
	v_cmp_eq_u32_e32 vcc_lo, v0, v2
	global_load_b64 v[5:6], v[3:4], off
	v_mul_f32_e32 v8, s19, v1
	v_mul_f32_e32 v1, s18, v1
	s_waitcnt vmcnt(0)
	v_mul_f32_e32 v9, s5, v6
	v_mul_f32_e32 v6, s4, v6
	v_fma_f32 v8, v7, s18, -v8
	v_fmac_f32_e32 v1, s19, v7
	s_delay_alu instid0(VALU_DEP_4) | instskip(NEXT) | instid1(VALU_DEP_1)
	v_fma_f32 v7, v5, s4, -v9
	v_dual_fmac_f32 v6, s5, v5 :: v_dual_add_f32 v5, v8, v7
	s_delay_alu instid0(VALU_DEP_1)
	v_add_f32_e32 v6, v1, v6
	global_store_b64 v[3:4], v[5:6], off
	s_and_b32 exec_lo, exec_lo, vcc_lo
	s_cbranch_execz .LBB1267_15
; %bb.14:
	v_mov_b32_e32 v0, 0
	global_store_b32 v[3:4], v0, off offset:4
.LBB1267_15:
	s_nop 0
	s_sendmsg sendmsg(MSG_DEALLOC_VGPRS)
	s_endpgm
	.section	.rodata,"a",@progbits
	.p2align	6, 0x0
	.amdhsa_kernel _ZL37rocblas_syrkx_herkx_restricted_kernelIl19rocblas_complex_numIfELi16ELi32ELi8ELb0ELb1ELc84ELc85EKS1_S1_EviT_T0_PT8_S3_lS6_S3_lS4_PT9_S3_li
		.amdhsa_group_segment_fixed_size 4096
		.amdhsa_private_segment_fixed_size 0
		.amdhsa_kernarg_size 108
		.amdhsa_user_sgpr_count 13
		.amdhsa_user_sgpr_dispatch_ptr 0
		.amdhsa_user_sgpr_queue_ptr 0
		.amdhsa_user_sgpr_kernarg_segment_ptr 1
		.amdhsa_user_sgpr_dispatch_id 0
		.amdhsa_user_sgpr_private_segment_size 0
		.amdhsa_wavefront_size32 1
		.amdhsa_uses_dynamic_stack 0
		.amdhsa_enable_private_segment 0
		.amdhsa_system_sgpr_workgroup_id_x 1
		.amdhsa_system_sgpr_workgroup_id_y 1
		.amdhsa_system_sgpr_workgroup_id_z 1
		.amdhsa_system_sgpr_workgroup_info 0
		.amdhsa_system_vgpr_workitem_id 1
		.amdhsa_next_free_vgpr 91
		.amdhsa_next_free_sgpr 32
		.amdhsa_reserve_vcc 1
		.amdhsa_float_round_mode_32 0
		.amdhsa_float_round_mode_16_64 0
		.amdhsa_float_denorm_mode_32 3
		.amdhsa_float_denorm_mode_16_64 3
		.amdhsa_dx10_clamp 1
		.amdhsa_ieee_mode 1
		.amdhsa_fp16_overflow 0
		.amdhsa_workgroup_processor_mode 1
		.amdhsa_memory_ordered 1
		.amdhsa_forward_progress 0
		.amdhsa_shared_vgpr_count 0
		.amdhsa_exception_fp_ieee_invalid_op 0
		.amdhsa_exception_fp_denorm_src 0
		.amdhsa_exception_fp_ieee_div_zero 0
		.amdhsa_exception_fp_ieee_overflow 0
		.amdhsa_exception_fp_ieee_underflow 0
		.amdhsa_exception_fp_ieee_inexact 0
		.amdhsa_exception_int_div_zero 0
	.end_amdhsa_kernel
	.section	.text._ZL37rocblas_syrkx_herkx_restricted_kernelIl19rocblas_complex_numIfELi16ELi32ELi8ELb0ELb1ELc84ELc85EKS1_S1_EviT_T0_PT8_S3_lS6_S3_lS4_PT9_S3_li,"axG",@progbits,_ZL37rocblas_syrkx_herkx_restricted_kernelIl19rocblas_complex_numIfELi16ELi32ELi8ELb0ELb1ELc84ELc85EKS1_S1_EviT_T0_PT8_S3_lS6_S3_lS4_PT9_S3_li,comdat
.Lfunc_end1267:
	.size	_ZL37rocblas_syrkx_herkx_restricted_kernelIl19rocblas_complex_numIfELi16ELi32ELi8ELb0ELb1ELc84ELc85EKS1_S1_EviT_T0_PT8_S3_lS6_S3_lS4_PT9_S3_li, .Lfunc_end1267-_ZL37rocblas_syrkx_herkx_restricted_kernelIl19rocblas_complex_numIfELi16ELi32ELi8ELb0ELb1ELc84ELc85EKS1_S1_EviT_T0_PT8_S3_lS6_S3_lS4_PT9_S3_li
                                        ; -- End function
	.section	.AMDGPU.csdata,"",@progbits
; Kernel info:
; codeLenInByte = 2496
; NumSgprs: 34
; NumVgprs: 91
; ScratchSize: 0
; MemoryBound: 0
; FloatMode: 240
; IeeeMode: 1
; LDSByteSize: 4096 bytes/workgroup (compile time only)
; SGPRBlocks: 4
; VGPRBlocks: 11
; NumSGPRsForWavesPerEU: 34
; NumVGPRsForWavesPerEU: 91
; Occupancy: 16
; WaveLimiterHint : 0
; COMPUTE_PGM_RSRC2:SCRATCH_EN: 0
; COMPUTE_PGM_RSRC2:USER_SGPR: 13
; COMPUTE_PGM_RSRC2:TRAP_HANDLER: 0
; COMPUTE_PGM_RSRC2:TGID_X_EN: 1
; COMPUTE_PGM_RSRC2:TGID_Y_EN: 1
; COMPUTE_PGM_RSRC2:TGID_Z_EN: 1
; COMPUTE_PGM_RSRC2:TIDIG_COMP_CNT: 1
	.section	.text._ZL37rocblas_syrkx_herkx_restricted_kernelIl19rocblas_complex_numIfELi16ELi32ELi8ELb0ELb1ELc67ELc85EKS1_S1_EviT_T0_PT8_S3_lS6_S3_lS4_PT9_S3_li,"axG",@progbits,_ZL37rocblas_syrkx_herkx_restricted_kernelIl19rocblas_complex_numIfELi16ELi32ELi8ELb0ELb1ELc67ELc85EKS1_S1_EviT_T0_PT8_S3_lS6_S3_lS4_PT9_S3_li,comdat
	.globl	_ZL37rocblas_syrkx_herkx_restricted_kernelIl19rocblas_complex_numIfELi16ELi32ELi8ELb0ELb1ELc67ELc85EKS1_S1_EviT_T0_PT8_S3_lS6_S3_lS4_PT9_S3_li ; -- Begin function _ZL37rocblas_syrkx_herkx_restricted_kernelIl19rocblas_complex_numIfELi16ELi32ELi8ELb0ELb1ELc67ELc85EKS1_S1_EviT_T0_PT8_S3_lS6_S3_lS4_PT9_S3_li
	.p2align	8
	.type	_ZL37rocblas_syrkx_herkx_restricted_kernelIl19rocblas_complex_numIfELi16ELi32ELi8ELb0ELb1ELc67ELc85EKS1_S1_EviT_T0_PT8_S3_lS6_S3_lS4_PT9_S3_li,@function
_ZL37rocblas_syrkx_herkx_restricted_kernelIl19rocblas_complex_numIfELi16ELi32ELi8ELb0ELb1ELc67ELc85EKS1_S1_EviT_T0_PT8_S3_lS6_S3_lS4_PT9_S3_li: ; @_ZL37rocblas_syrkx_herkx_restricted_kernelIl19rocblas_complex_numIfELi16ELi32ELi8ELb0ELb1ELc67ELc85EKS1_S1_EviT_T0_PT8_S3_lS6_S3_lS4_PT9_S3_li
; %bb.0:
	s_load_b512 s[16:31], s[0:1], 0x8
	v_dual_mov_b32 v14, 0 :: v_dual_mov_b32 v11, 0
	v_dual_mov_b32 v16, 0 :: v_dual_mov_b32 v9, 0
	;; [unrolled: 1-line block ×4, first 2 shown]
	v_and_b32_e32 v6, 0x3ff, v0
	v_bfe_u32 v10, v0, 10, 10
	s_lshl_b32 s12, s13, 5
	s_lshl_b32 s13, s14, 5
	s_waitcnt lgkmcnt(0)
	v_cmp_lt_i64_e64 s2, s[16:17], 1
	s_delay_alu instid0(VALU_DEP_1)
	s_and_b32 vcc_lo, exec_lo, s2
	s_cbranch_vccnz .LBB1268_3
; %bb.1:
	v_lshl_add_u32 v2, v10, 4, v6
	v_dual_mov_b32 v1, 0 :: v_dual_and_b32 v0, 7, v6
	s_mul_i32 s3, s25, s15
	s_mul_hi_u32 s4, s24, s15
	s_delay_alu instid0(VALU_DEP_2)
	v_and_b32_e32 v9, 31, v2
	v_lshrrev_b32_e32 v11, 3, v2
	v_lshrrev_b32_e32 v2, 5, v2
	v_lshlrev_b32_e32 v14, 3, v0
	s_mul_i32 s2, s24, s15
	v_add_nc_u32_e32 v7, s12, v9
	v_dual_mov_b32 v3, v1 :: v_dual_add_nc_u32 v12, s13, v11
	s_add_i32 s3, s4, s3
	s_mul_hi_u32 s5, s30, s15
	s_delay_alu instid0(VALU_DEP_2) | instskip(NEXT) | instid1(VALU_DEP_2)
	v_ashrrev_i32_e32 v8, 31, v7
	v_ashrrev_i32_e32 v15, 31, v12
	v_mad_u64_u32 v[4:5], null, s22, v7, v[2:3]
	v_mul_lo_u32 v3, s23, v7
	s_delay_alu instid0(VALU_DEP_4)
	v_mul_lo_u32 v16, s22, v8
	v_mul_lo_u32 v17, v12, s29
	v_mad_u64_u32 v[7:8], null, v12, s28, v[0:1]
	v_mul_lo_u32 v12, v15, s28
	s_lshl_b64 s[2:3], s[2:3], 3
	v_lshlrev_b32_e32 v13, 3, v6
	s_add_u32 s4, s20, s2
	v_add3_u32 v5, v3, v5, v16
	s_mul_i32 s2, s31, s15
	s_addc_u32 s6, s21, s3
	s_add_i32 s3, s5, s2
	v_add3_u32 v8, v12, v8, v17
	v_mov_b32_e32 v12, v1
	v_lshlrev_b32_e32 v0, 3, v9
	s_mul_i32 s2, s30, s15
	v_lshl_add_u32 v17, v10, 6, 0x800
	s_lshl_b64 s[2:3], s[2:3], 3
	v_mov_b32_e32 v16, v1
	v_lshl_or_b32 v0, v2, 8, v0
	v_lshlrev_b64 v[2:3], 3, v[4:5]
	v_lshlrev_b64 v[4:5], 3, v[7:8]
	s_add_u32 s2, s26, s2
	s_addc_u32 s3, s27, s3
	v_mov_b32_e32 v7, v1
	v_lshl_or_b32 v9, v11, 6, v14
	v_add_co_u32 v2, vcc_lo, s4, v2
	v_add_co_ci_u32_e32 v3, vcc_lo, s6, v3, vcc_lo
	v_add_co_u32 v4, vcc_lo, s2, v4
	v_add_co_ci_u32_e32 v5, vcc_lo, s3, v5, vcc_lo
	s_delay_alu instid0(VALU_DEP_4) | instskip(NEXT) | instid1(VALU_DEP_4)
	v_add_co_u32 v2, vcc_lo, v2, 4
	v_add_co_ci_u32_e32 v3, vcc_lo, 0, v3, vcc_lo
	s_delay_alu instid0(VALU_DEP_4)
	v_add_co_u32 v4, vcc_lo, v4, 4
	v_dual_mov_b32 v14, v1 :: v_dual_add_nc_u32 v15, 0x800, v9
	v_add_co_ci_u32_e32 v5, vcc_lo, 0, v5, vcc_lo
	v_mov_b32_e32 v9, v1
	v_mov_b32_e32 v8, v1
	;; [unrolled: 1-line block ×3, first 2 shown]
	s_mov_b64 s[2:3], 0
.LBB1268_2:                             ; =>This Inner Loop Header: Depth=1
	global_load_b64 v[18:19], v[2:3], off offset:-4
	global_load_b64 v[20:21], v[4:5], off offset:-4
	s_add_u32 s2, s2, 8
	v_add_co_u32 v2, vcc_lo, v2, 64
	s_addc_u32 s3, s3, 0
	v_add_co_ci_u32_e32 v3, vcc_lo, 0, v3, vcc_lo
	v_cmp_ge_u64_e64 s4, s[2:3], s[16:17]
	v_add_co_u32 v4, vcc_lo, v4, 64
	v_add_co_ci_u32_e32 v5, vcc_lo, 0, v5, vcc_lo
	s_delay_alu instid0(VALU_DEP_3)
	s_and_b32 vcc_lo, exec_lo, s4
	s_waitcnt vmcnt(1)
	v_xor_b32_e32 v19, 0x80000000, v19
	ds_store_b64 v0, v[18:19]
	s_waitcnt vmcnt(0)
	ds_store_b64 v15, v[20:21]
	s_waitcnt lgkmcnt(0)
	s_barrier
	buffer_gl0_inv
	ds_load_2addr_b64 v[18:21], v13 offset1:16
	ds_load_b128 v[22:25], v17
	ds_load_b128 v[26:29], v17 offset:1024
	ds_load_b128 v[30:33], v17 offset:16
	;; [unrolled: 1-line block ×4, first 2 shown]
	ds_load_2addr_b64 v[42:45], v13 offset0:32 offset1:48
	ds_load_2addr_b64 v[46:49], v13 offset0:64 offset1:80
	ds_load_b128 v[50:53], v17 offset:1040
	ds_load_2addr_b64 v[54:57], v13 offset0:96 offset1:112
	ds_load_2addr_b64 v[58:61], v13 offset0:128 offset1:144
	;; [unrolled: 1-line block ×4, first 2 shown]
	ds_load_b128 v[70:73], v17 offset:1056
	ds_load_b128 v[74:77], v17 offset:1072
	ds_load_2addr_b64 v[78:81], v13 offset0:224 offset1:240
	s_waitcnt lgkmcnt(0)
	s_barrier
	buffer_gl0_inv
	v_dual_mul_f32 v82, v23, v19 :: v_dual_mul_f32 v85, v22, v21
	v_dual_mul_f32 v83, v22, v19 :: v_dual_mul_f32 v84, v23, v21
	v_mul_f32_e32 v86, v27, v19
	v_dual_mul_f32 v19, v26, v19 :: v_dual_mul_f32 v90, v25, v45
	v_dual_mul_f32 v87, v27, v21 :: v_dual_mul_f32 v88, v25, v43
	v_mul_f32_e32 v21, v26, v21
	v_fma_f32 v82, v22, v18, -v82
	v_fmac_f32_e32 v83, v23, v18
	v_fma_f32 v22, v22, v20, -v84
	v_fmac_f32_e32 v85, v23, v20
	v_fma_f32 v23, v26, v18, -v86
	v_dual_fmac_f32 v19, v27, v18 :: v_dual_mul_f32 v86, v30, v47
	v_fma_f32 v18, v26, v20, -v87
	v_dual_fmac_f32 v21, v27, v20 :: v_dual_mul_f32 v20, v24, v45
	v_mul_f32_e32 v89, v24, v43
	v_mul_f32_e32 v26, v29, v43
	;; [unrolled: 1-line block ×4, first 2 shown]
	v_fmac_f32_e32 v20, v25, v44
	v_fmac_f32_e32 v89, v25, v42
	v_dual_mul_f32 v25, v28, v45 :: v_dual_fmac_f32 v86, v31, v46
	v_fma_f32 v84, v24, v42, -v88
	v_fma_f32 v24, v24, v44, -v90
	v_dual_mul_f32 v45, v31, v47 :: v_dual_mul_f32 v90, v33, v57
	v_fma_f32 v26, v28, v42, -v26
	v_fma_f32 v28, v28, v44, -v43
	v_fmac_f32_e32 v25, v29, v44
	v_dual_mul_f32 v43, v50, v47 :: v_dual_mul_f32 v44, v51, v49
	v_dual_fmac_f32 v27, v29, v42 :: v_dual_mul_f32 v42, v51, v47
	v_dual_mul_f32 v88, v32, v55 :: v_dual_mul_f32 v29, v30, v49
	v_mul_f32_e32 v87, v31, v49
	v_fma_f32 v45, v30, v46, -v45
	v_add_f32_e32 v14, v14, v82
	s_delay_alu instid0(VALU_DEP_4)
	v_dual_fmac_f32 v88, v33, v54 :: v_dual_fmac_f32 v29, v31, v48
	v_fma_f32 v31, v50, v46, -v42
	v_fma_f32 v42, v50, v48, -v44
	v_mul_f32_e32 v44, v32, v57
	v_mul_f32_e32 v47, v50, v49
	v_dual_mul_f32 v50, v53, v57 :: v_dual_fmac_f32 v43, v51, v46
	v_mul_f32_e32 v46, v53, v55
	v_mul_f32_e32 v49, v33, v55
	v_fma_f32 v30, v30, v48, -v87
	v_fmac_f32_e32 v44, v33, v56
	v_dual_fmac_f32 v47, v51, v48 :: v_dual_mul_f32 v48, v52, v55
	v_mul_f32_e32 v33, v52, v57
	v_fma_f32 v46, v52, v54, -v46
	v_fma_f32 v50, v52, v56, -v50
	v_mul_f32_e32 v52, v34, v61
	v_fma_f32 v49, v32, v54, -v49
	v_fma_f32 v32, v32, v56, -v90
	v_dual_mul_f32 v51, v35, v59 :: v_dual_fmac_f32 v48, v53, v54
	v_mul_f32_e32 v54, v70, v59
	v_dual_mul_f32 v55, v34, v59 :: v_dual_fmac_f32 v52, v35, v60
	v_fmac_f32_e32 v33, v53, v56
	v_mul_f32_e32 v53, v71, v59
	v_mul_f32_e32 v56, v71, v61
	;; [unrolled: 1-line block ×3, first 2 shown]
	v_fmac_f32_e32 v54, v71, v58
	v_fmac_f32_e32 v55, v35, v58
	v_fma_f32 v35, v70, v58, -v53
	v_fma_f32 v53, v70, v60, -v56
	v_mul_f32_e32 v56, v36, v65
	v_mul_f32_e32 v59, v70, v61
	v_fma_f32 v51, v34, v58, -v51
	v_mul_f32_e32 v58, v72, v63
	v_mul_f32_e32 v87, v36, v63
	;; [unrolled: 1-line block ×4, first 2 shown]
	v_fma_f32 v34, v34, v60, -v57
	v_mul_f32_e32 v57, v73, v63
	v_fmac_f32_e32 v56, v37, v64
	v_dual_fmac_f32 v59, v71, v60 :: v_dual_mul_f32 v60, v73, v65
	v_mul_f32_e32 v63, v39, v67
	v_mul_f32_e32 v70, v39, v69
	v_fmac_f32_e32 v58, v73, v62
	v_fmac_f32_e32 v87, v37, v62
	v_mul_f32_e32 v37, v72, v65
	v_mul_f32_e32 v65, v38, v67
	;; [unrolled: 1-line block ×3, first 2 shown]
	v_fma_f32 v61, v36, v62, -v61
	v_fma_f32 v36, v36, v64, -v90
	;; [unrolled: 1-line block ×4, first 2 shown]
	v_dual_fmac_f32 v37, v73, v64 :: v_dual_mul_f32 v62, v38, v69
	v_mul_f32_e32 v64, v75, v67
	v_dual_mul_f32 v73, v40, v79 :: v_dual_add_f32 v14, v14, v84
	v_fma_f32 v63, v38, v66, -v63
	v_dual_fmac_f32 v65, v39, v66 :: v_dual_add_f32 v12, v12, v85
	v_fma_f32 v38, v38, v68, -v70
	v_mul_f32_e32 v70, v76, v79
	v_mul_f32_e32 v67, v74, v67
	v_dual_mul_f32 v69, v74, v69 :: v_dual_add_f32 v16, v16, v83
	v_fmac_f32_e32 v62, v39, v68
	v_fma_f32 v39, v74, v66, -v64
	v_fma_f32 v64, v74, v68, -v71
	v_dual_mul_f32 v71, v77, v81 :: v_dual_add_f32 v12, v12, v20
	v_dual_fmac_f32 v73, v41, v78 :: v_dual_add_f32 v14, v14, v45
	v_fmac_f32_e32 v70, v77, v78
	v_dual_fmac_f32 v67, v75, v66 :: v_dual_add_f32 v8, v8, v23
	v_dual_mul_f32 v66, v40, v81 :: v_dual_add_f32 v11, v11, v22
	v_add_f32_e32 v12, v12, v29
	v_mul_f32_e32 v72, v41, v79
	v_dual_mul_f32 v90, v41, v81 :: v_dual_fmac_f32 v69, v75, v68
	v_add_f32_e32 v16, v16, v89
	v_fmac_f32_e32 v66, v41, v80
	v_dual_add_f32 v11, v11, v24 :: v_dual_add_f32 v14, v14, v49
	v_mul_f32_e32 v41, v76, v81
	s_delay_alu instid0(VALU_DEP_4) | instskip(SKIP_1) | instid1(VALU_DEP_4)
	v_dual_add_f32 v9, v9, v19 :: v_dual_add_f32 v16, v16, v86
	v_dual_add_f32 v1, v1, v21 :: v_dual_add_f32 v8, v8, v26
	;; [unrolled: 1-line block ×3, first 2 shown]
	s_delay_alu instid0(VALU_DEP_4) | instskip(NEXT) | instid1(VALU_DEP_4)
	v_fmac_f32_e32 v41, v77, v80
	v_dual_add_f32 v9, v9, v27 :: v_dual_add_f32 v12, v12, v44
	s_delay_alu instid0(VALU_DEP_3) | instskip(SKIP_1) | instid1(VALU_DEP_3)
	v_dual_add_f32 v8, v8, v31 :: v_dual_add_f32 v7, v7, v28
	v_dual_add_f32 v16, v16, v88 :: v_dual_add_f32 v1, v1, v25
	;; [unrolled: 1-line block ×3, first 2 shown]
	s_delay_alu instid0(VALU_DEP_4) | instskip(NEXT) | instid1(VALU_DEP_4)
	v_dual_add_f32 v9, v9, v43 :: v_dual_add_f32 v14, v14, v61
	v_add_f32_e32 v8, v8, v46
	s_delay_alu instid0(VALU_DEP_4) | instskip(NEXT) | instid1(VALU_DEP_4)
	v_dual_add_f32 v7, v7, v42 :: v_dual_add_f32 v16, v16, v55
	v_dual_add_f32 v1, v1, v47 :: v_dual_add_f32 v12, v12, v56
	s_delay_alu instid0(VALU_DEP_3) | instskip(NEXT) | instid1(VALU_DEP_3)
	v_dual_add_f32 v11, v11, v32 :: v_dual_add_f32 v8, v8, v35
	v_dual_add_f32 v16, v16, v87 :: v_dual_add_f32 v9, v9, v48
	s_delay_alu instid0(VALU_DEP_4) | instskip(NEXT) | instid1(VALU_DEP_4)
	v_dual_add_f32 v7, v7, v50 :: v_dual_add_f32 v14, v14, v63
	v_dual_add_f32 v1, v1, v33 :: v_dual_add_f32 v12, v12, v62
	v_mul_f32_e32 v68, v77, v79
	v_fma_f32 v72, v40, v78, -v72
	v_dual_add_f32 v11, v11, v34 :: v_dual_add_f32 v16, v16, v65
	v_add_f32_e32 v7, v7, v53
	v_dual_add_f32 v1, v1, v59 :: v_dual_add_f32 v8, v8, v57
	v_add_f32_e32 v9, v9, v54
	v_fma_f32 v68, v76, v78, -v68
	v_dual_add_f32 v11, v11, v36 :: v_dual_add_f32 v12, v12, v66
	s_delay_alu instid0(VALU_DEP_3) | instskip(SKIP_2) | instid1(VALU_DEP_3)
	v_dual_add_f32 v8, v8, v39 :: v_dual_add_f32 v9, v9, v58
	v_add_f32_e32 v14, v14, v72
	v_dual_add_f32 v7, v7, v60 :: v_dual_add_f32 v16, v16, v73
	v_dual_add_f32 v8, v8, v68 :: v_dual_add_f32 v1, v1, v37
	v_fma_f32 v40, v40, v80, -v90
	v_fma_f32 v71, v76, v80, -v71
	v_add_f32_e32 v11, v11, v38
	v_add_f32_e32 v9, v9, v67
	;; [unrolled: 1-line block ×4, first 2 shown]
	s_delay_alu instid0(VALU_DEP_4) | instskip(NEXT) | instid1(VALU_DEP_4)
	v_add_f32_e32 v11, v11, v40
	v_add_f32_e32 v9, v9, v70
	s_delay_alu instid0(VALU_DEP_4) | instskip(NEXT) | instid1(VALU_DEP_4)
	v_add_f32_e32 v7, v7, v71
	v_add_f32_e32 v1, v1, v41
	s_cbranch_vccz .LBB1268_2
.LBB1268_3:
	s_load_b256 s[4:11], s[0:1], 0x48
	v_add_nc_u32_e32 v0, s13, v10
	s_load_b32 s2, s[0:1], 0x0
	s_delay_alu instid0(VALU_DEP_1) | instskip(SKIP_3) | instid1(VALU_DEP_3)
	v_ashrrev_i32_e32 v2, 31, v0
	s_waitcnt lgkmcnt(0)
	v_mul_lo_u32 v5, v0, s9
	v_mad_u64_u32 v[3:4], null, v0, s8, 0
	v_mul_lo_u32 v2, v2, s8
	s_mul_i32 s1, s15, s11
	s_mul_hi_u32 s3, s15, s10
	s_mul_i32 s0, s15, s10
	s_add_i32 s1, s3, s1
	v_cmp_gt_i32_e32 vcc_lo, s2, v0
	s_lshl_b64 s[10:11], s[0:1], 3
	s_delay_alu instid0(VALU_DEP_2) | instskip(SKIP_3) | instid1(VALU_DEP_2)
	v_add3_u32 v4, v4, v5, v2
	v_add_nc_u32_e32 v2, s12, v6
	s_add_u32 s3, s6, s10
	s_addc_u32 s6, s7, s11
	v_lshlrev_b64 v[3:4], 3, v[3:4]
	s_delay_alu instid0(VALU_DEP_2) | instskip(NEXT) | instid1(VALU_DEP_1)
	v_cmp_le_i32_e64 s0, v2, v0
	s_and_b32 s0, vcc_lo, s0
	s_delay_alu instid0(VALU_DEP_2) | instskip(NEXT) | instid1(VALU_DEP_1)
	v_add_co_u32 v6, s1, s3, v3
	v_add_co_ci_u32_e64 v10, s1, s6, v4, s1
	s_and_saveexec_b32 s1, s0
	s_cbranch_execz .LBB1268_6
; %bb.4:
	v_ashrrev_i32_e32 v3, 31, v2
	s_delay_alu instid0(VALU_DEP_1) | instskip(NEXT) | instid1(VALU_DEP_1)
	v_lshlrev_b64 v[3:4], 3, v[2:3]
	v_add_co_u32 v3, s0, v6, v3
	s_delay_alu instid0(VALU_DEP_1)
	v_add_co_ci_u32_e64 v4, s0, v10, v4, s0
	v_cmp_eq_u32_e64 s0, v0, v2
	global_load_b64 v[17:18], v[3:4], off
	v_mul_f32_e32 v5, s19, v16
	s_waitcnt vmcnt(0)
	v_dual_mul_f32 v15, s18, v16 :: v_dual_mul_f32 v16, s4, v18
	s_delay_alu instid0(VALU_DEP_2) | instskip(NEXT) | instid1(VALU_DEP_2)
	v_fma_f32 v5, v14, s18, -v5
	v_dual_fmac_f32 v16, s5, v17 :: v_dual_fmac_f32 v15, s19, v14
	s_delay_alu instid0(VALU_DEP_1) | instskip(NEXT) | instid1(VALU_DEP_1)
	v_dual_mul_f32 v13, s5, v18 :: v_dual_add_f32 v14, v15, v16
	v_fma_f32 v13, v17, s4, -v13
	s_delay_alu instid0(VALU_DEP_1)
	v_add_f32_e32 v13, v5, v13
	global_store_b64 v[3:4], v[13:14], off
	s_and_b32 exec_lo, exec_lo, s0
	s_cbranch_execz .LBB1268_6
; %bb.5:
	v_mov_b32_e32 v5, 0
	global_store_b32 v[3:4], v5, off offset:4
.LBB1268_6:
	s_or_b32 exec_lo, exec_lo, s1
	v_add_nc_u32_e32 v4, 16, v2
	s_delay_alu instid0(VALU_DEP_1) | instskip(NEXT) | instid1(VALU_DEP_1)
	v_cmp_le_i32_e64 s0, v4, v0
	s_and_b32 s1, vcc_lo, s0
	s_delay_alu instid0(SALU_CYCLE_1)
	s_and_saveexec_b32 s0, s1
	s_cbranch_execz .LBB1268_9
; %bb.7:
	v_ashrrev_i32_e32 v5, 31, v4
	s_delay_alu instid0(VALU_DEP_1) | instskip(NEXT) | instid1(VALU_DEP_1)
	v_lshlrev_b64 v[13:14], 3, v[4:5]
	v_add_co_u32 v5, vcc_lo, v6, v13
	s_delay_alu instid0(VALU_DEP_2) | instskip(SKIP_4) | instid1(VALU_DEP_1)
	v_add_co_ci_u32_e32 v6, vcc_lo, v10, v14, vcc_lo
	v_cmp_eq_u32_e32 vcc_lo, v0, v4
	global_load_b64 v[13:14], v[5:6], off
	v_mul_f32_e32 v3, s19, v12
	v_mul_f32_e32 v12, s18, v12
	v_fmac_f32_e32 v12, s19, v11
	s_waitcnt vmcnt(0)
	v_mul_f32_e32 v10, s5, v14
	v_mul_f32_e32 v14, s4, v14
	v_fma_f32 v3, v11, s18, -v3
	s_delay_alu instid0(VALU_DEP_3) | instskip(NEXT) | instid1(VALU_DEP_3)
	v_fma_f32 v10, v13, s4, -v10
	v_fmac_f32_e32 v14, s5, v13
	s_delay_alu instid0(VALU_DEP_2) | instskip(NEXT) | instid1(VALU_DEP_2)
	v_add_f32_e32 v10, v3, v10
	v_add_f32_e32 v11, v12, v14
	global_store_b64 v[5:6], v[10:11], off
	s_and_b32 exec_lo, exec_lo, vcc_lo
	s_cbranch_execz .LBB1268_9
; %bb.8:
	v_mov_b32_e32 v3, 0
	global_store_b32 v[5:6], v3, off offset:4
.LBB1268_9:
	s_or_b32 exec_lo, exec_lo, s0
	v_add_nc_u32_e32 v12, 16, v0
	s_delay_alu instid0(VALU_DEP_1) | instskip(SKIP_3) | instid1(VALU_DEP_4)
	v_ashrrev_i32_e32 v3, 31, v12
	v_mul_lo_u32 v10, v12, s9
	v_mad_u64_u32 v[5:6], null, v12, s8, 0
	v_cmp_gt_i32_e32 vcc_lo, s2, v12
	v_mul_lo_u32 v3, v3, s8
	v_cmp_le_i32_e64 s0, v2, v12
	s_delay_alu instid0(VALU_DEP_1) | instskip(NEXT) | instid1(VALU_DEP_2)
	s_and_b32 s0, vcc_lo, s0
	v_add3_u32 v6, v6, v10, v3
	s_delay_alu instid0(VALU_DEP_1) | instskip(NEXT) | instid1(VALU_DEP_1)
	v_lshlrev_b64 v[5:6], 3, v[5:6]
	v_add_co_u32 v10, s1, s3, v5
	s_delay_alu instid0(VALU_DEP_1)
	v_add_co_ci_u32_e64 v11, s1, s6, v6, s1
	s_and_saveexec_b32 s1, s0
	s_cbranch_execz .LBB1268_12
; %bb.10:
	v_ashrrev_i32_e32 v3, 31, v2
	s_delay_alu instid0(VALU_DEP_1) | instskip(NEXT) | instid1(VALU_DEP_1)
	v_lshlrev_b64 v[5:6], 3, v[2:3]
	v_add_co_u32 v5, s0, v10, v5
	s_delay_alu instid0(VALU_DEP_1)
	v_add_co_ci_u32_e64 v6, s0, v11, v6, s0
	v_cmp_eq_u32_e64 s0, v12, v2
	global_load_b64 v[13:14], v[5:6], off
	v_mul_f32_e32 v3, s19, v9
	s_waitcnt vmcnt(0)
	v_mul_f32_e32 v15, s5, v14
	v_mul_f32_e32 v14, s4, v14
	s_delay_alu instid0(VALU_DEP_3) | instskip(SKIP_1) | instid1(VALU_DEP_1)
	v_fma_f32 v3, v8, s18, -v3
	v_mul_f32_e32 v9, s18, v9
	v_dual_fmac_f32 v14, s5, v13 :: v_dual_fmac_f32 v9, s19, v8
	v_fma_f32 v8, v13, s4, -v15
	s_delay_alu instid0(VALU_DEP_1)
	v_dual_add_f32 v9, v9, v14 :: v_dual_add_f32 v8, v3, v8
	global_store_b64 v[5:6], v[8:9], off
	s_and_b32 exec_lo, exec_lo, s0
	s_cbranch_execz .LBB1268_12
; %bb.11:
	v_mov_b32_e32 v3, 0
	global_store_b32 v[5:6], v3, off offset:4
.LBB1268_12:
	s_or_b32 exec_lo, exec_lo, s1
	v_cmp_le_i32_e64 s0, v4, v12
	s_delay_alu instid0(VALU_DEP_1) | instskip(NEXT) | instid1(SALU_CYCLE_1)
	s_and_b32 s0, vcc_lo, s0
	s_and_saveexec_b32 s1, s0
	s_cbranch_execz .LBB1268_15
; %bb.13:
	v_ashrrev_i32_e32 v5, 31, v4
	s_delay_alu instid0(VALU_DEP_1) | instskip(NEXT) | instid1(VALU_DEP_1)
	v_lshlrev_b64 v[3:4], 3, v[4:5]
	v_add_co_u32 v3, vcc_lo, v10, v3
	s_delay_alu instid0(VALU_DEP_2)
	v_add_co_ci_u32_e32 v4, vcc_lo, v11, v4, vcc_lo
	v_cmp_eq_u32_e32 vcc_lo, v0, v2
	global_load_b64 v[5:6], v[3:4], off
	v_mul_f32_e32 v8, s19, v1
	v_mul_f32_e32 v1, s18, v1
	s_waitcnt vmcnt(0)
	v_mul_f32_e32 v9, s5, v6
	v_mul_f32_e32 v6, s4, v6
	v_fma_f32 v8, v7, s18, -v8
	v_fmac_f32_e32 v1, s19, v7
	s_delay_alu instid0(VALU_DEP_4) | instskip(NEXT) | instid1(VALU_DEP_1)
	v_fma_f32 v7, v5, s4, -v9
	v_dual_fmac_f32 v6, s5, v5 :: v_dual_add_f32 v5, v8, v7
	s_delay_alu instid0(VALU_DEP_1)
	v_add_f32_e32 v6, v1, v6
	global_store_b64 v[3:4], v[5:6], off
	s_and_b32 exec_lo, exec_lo, vcc_lo
	s_cbranch_execz .LBB1268_15
; %bb.14:
	v_mov_b32_e32 v0, 0
	global_store_b32 v[3:4], v0, off offset:4
.LBB1268_15:
	s_nop 0
	s_sendmsg sendmsg(MSG_DEALLOC_VGPRS)
	s_endpgm
	.section	.rodata,"a",@progbits
	.p2align	6, 0x0
	.amdhsa_kernel _ZL37rocblas_syrkx_herkx_restricted_kernelIl19rocblas_complex_numIfELi16ELi32ELi8ELb0ELb1ELc67ELc85EKS1_S1_EviT_T0_PT8_S3_lS6_S3_lS4_PT9_S3_li
		.amdhsa_group_segment_fixed_size 4096
		.amdhsa_private_segment_fixed_size 0
		.amdhsa_kernarg_size 108
		.amdhsa_user_sgpr_count 13
		.amdhsa_user_sgpr_dispatch_ptr 0
		.amdhsa_user_sgpr_queue_ptr 0
		.amdhsa_user_sgpr_kernarg_segment_ptr 1
		.amdhsa_user_sgpr_dispatch_id 0
		.amdhsa_user_sgpr_private_segment_size 0
		.amdhsa_wavefront_size32 1
		.amdhsa_uses_dynamic_stack 0
		.amdhsa_enable_private_segment 0
		.amdhsa_system_sgpr_workgroup_id_x 1
		.amdhsa_system_sgpr_workgroup_id_y 1
		.amdhsa_system_sgpr_workgroup_id_z 1
		.amdhsa_system_sgpr_workgroup_info 0
		.amdhsa_system_vgpr_workitem_id 1
		.amdhsa_next_free_vgpr 91
		.amdhsa_next_free_sgpr 32
		.amdhsa_reserve_vcc 1
		.amdhsa_float_round_mode_32 0
		.amdhsa_float_round_mode_16_64 0
		.amdhsa_float_denorm_mode_32 3
		.amdhsa_float_denorm_mode_16_64 3
		.amdhsa_dx10_clamp 1
		.amdhsa_ieee_mode 1
		.amdhsa_fp16_overflow 0
		.amdhsa_workgroup_processor_mode 1
		.amdhsa_memory_ordered 1
		.amdhsa_forward_progress 0
		.amdhsa_shared_vgpr_count 0
		.amdhsa_exception_fp_ieee_invalid_op 0
		.amdhsa_exception_fp_denorm_src 0
		.amdhsa_exception_fp_ieee_div_zero 0
		.amdhsa_exception_fp_ieee_overflow 0
		.amdhsa_exception_fp_ieee_underflow 0
		.amdhsa_exception_fp_ieee_inexact 0
		.amdhsa_exception_int_div_zero 0
	.end_amdhsa_kernel
	.section	.text._ZL37rocblas_syrkx_herkx_restricted_kernelIl19rocblas_complex_numIfELi16ELi32ELi8ELb0ELb1ELc67ELc85EKS1_S1_EviT_T0_PT8_S3_lS6_S3_lS4_PT9_S3_li,"axG",@progbits,_ZL37rocblas_syrkx_herkx_restricted_kernelIl19rocblas_complex_numIfELi16ELi32ELi8ELb0ELb1ELc67ELc85EKS1_S1_EviT_T0_PT8_S3_lS6_S3_lS4_PT9_S3_li,comdat
.Lfunc_end1268:
	.size	_ZL37rocblas_syrkx_herkx_restricted_kernelIl19rocblas_complex_numIfELi16ELi32ELi8ELb0ELb1ELc67ELc85EKS1_S1_EviT_T0_PT8_S3_lS6_S3_lS4_PT9_S3_li, .Lfunc_end1268-_ZL37rocblas_syrkx_herkx_restricted_kernelIl19rocblas_complex_numIfELi16ELi32ELi8ELb0ELb1ELc67ELc85EKS1_S1_EviT_T0_PT8_S3_lS6_S3_lS4_PT9_S3_li
                                        ; -- End function
	.section	.AMDGPU.csdata,"",@progbits
; Kernel info:
; codeLenInByte = 2508
; NumSgprs: 34
; NumVgprs: 91
; ScratchSize: 0
; MemoryBound: 0
; FloatMode: 240
; IeeeMode: 1
; LDSByteSize: 4096 bytes/workgroup (compile time only)
; SGPRBlocks: 4
; VGPRBlocks: 11
; NumSGPRsForWavesPerEU: 34
; NumVGPRsForWavesPerEU: 91
; Occupancy: 16
; WaveLimiterHint : 0
; COMPUTE_PGM_RSRC2:SCRATCH_EN: 0
; COMPUTE_PGM_RSRC2:USER_SGPR: 13
; COMPUTE_PGM_RSRC2:TRAP_HANDLER: 0
; COMPUTE_PGM_RSRC2:TGID_X_EN: 1
; COMPUTE_PGM_RSRC2:TGID_Y_EN: 1
; COMPUTE_PGM_RSRC2:TGID_Z_EN: 1
; COMPUTE_PGM_RSRC2:TIDIG_COMP_CNT: 1
	.section	.text._ZL37rocblas_syrkx_herkx_restricted_kernelIl19rocblas_complex_numIfELi16ELi32ELi8ELb0ELb1ELc78ELc85EKS1_S1_EviT_T0_PT8_S3_lS6_S3_lS4_PT9_S3_li,"axG",@progbits,_ZL37rocblas_syrkx_herkx_restricted_kernelIl19rocblas_complex_numIfELi16ELi32ELi8ELb0ELb1ELc78ELc85EKS1_S1_EviT_T0_PT8_S3_lS6_S3_lS4_PT9_S3_li,comdat
	.globl	_ZL37rocblas_syrkx_herkx_restricted_kernelIl19rocblas_complex_numIfELi16ELi32ELi8ELb0ELb1ELc78ELc85EKS1_S1_EviT_T0_PT8_S3_lS6_S3_lS4_PT9_S3_li ; -- Begin function _ZL37rocblas_syrkx_herkx_restricted_kernelIl19rocblas_complex_numIfELi16ELi32ELi8ELb0ELb1ELc78ELc85EKS1_S1_EviT_T0_PT8_S3_lS6_S3_lS4_PT9_S3_li
	.p2align	8
	.type	_ZL37rocblas_syrkx_herkx_restricted_kernelIl19rocblas_complex_numIfELi16ELi32ELi8ELb0ELb1ELc78ELc85EKS1_S1_EviT_T0_PT8_S3_lS6_S3_lS4_PT9_S3_li,@function
_ZL37rocblas_syrkx_herkx_restricted_kernelIl19rocblas_complex_numIfELi16ELi32ELi8ELb0ELb1ELc78ELc85EKS1_S1_EviT_T0_PT8_S3_lS6_S3_lS4_PT9_S3_li: ; @_ZL37rocblas_syrkx_herkx_restricted_kernelIl19rocblas_complex_numIfELi16ELi32ELi8ELb0ELb1ELc78ELc85EKS1_S1_EviT_T0_PT8_S3_lS6_S3_lS4_PT9_S3_li
; %bb.0:
	s_load_b512 s[16:31], s[0:1], 0x8
	v_dual_mov_b32 v14, 0 :: v_dual_mov_b32 v15, 0
	v_dual_mov_b32 v10, 0 :: v_dual_mov_b32 v11, 0
	v_dual_mov_b32 v7, 0 :: v_dual_and_b32 v4, 0x3ff, v0
	v_dual_mov_b32 v9, 0 :: v_dual_mov_b32 v6, 0
	v_mov_b32_e32 v5, 0
	v_bfe_u32 v8, v0, 10, 10
	s_lshl_b32 s12, s13, 5
	s_lshl_b32 s13, s14, 5
	s_waitcnt lgkmcnt(0)
	v_cmp_lt_i64_e64 s2, s[16:17], 1
	s_delay_alu instid0(VALU_DEP_1)
	s_and_b32 vcc_lo, exec_lo, s2
	s_cbranch_vccnz .LBB1269_3
; %bb.1:
	v_lshl_add_u32 v1, v8, 4, v4
	v_and_b32_e32 v11, 7, v4
	s_mul_i32 s3, s25, s15
	s_mul_hi_u32 s5, s24, s15
	s_mul_i32 s2, s24, s15
	v_and_b32_e32 v9, 31, v1
	v_lshrrev_b32_e32 v10, 3, v1
	v_lshrrev_b32_e32 v14, 5, v1
	s_add_i32 s3, s5, s3
	s_mul_i32 s6, s31, s15
	v_add_nc_u32_e32 v0, s12, v9
	v_add_nc_u32_e32 v2, s13, v10
	s_lshl_b64 s[2:3], s[2:3], 3
	s_mul_hi_u32 s7, s30, s15
	s_add_u32 s8, s20, s2
	v_ashrrev_i32_e32 v1, 31, v0
	v_ashrrev_i32_e32 v3, 31, v2
	s_mul_i32 s4, s30, s15
	s_addc_u32 s9, s21, s3
	s_add_i32 s5, s7, s6
	v_mad_u64_u32 v[5:6], null, v14, s22, v[0:1]
	v_mad_u64_u32 v[0:1], null, v11, s28, v[2:3]
	s_lshl_b64 s[4:5], s[4:5], 3
	s_lshl_b64 s[2:3], s[22:23], 6
	s_add_u32 s4, s26, s4
	s_addc_u32 s5, s27, s5
	s_delay_alu instid0(VALU_DEP_2) | instskip(SKIP_3) | instid1(VALU_DEP_3)
	v_mov_b32_e32 v2, v6
	v_lshlrev_b32_e32 v12, 3, v4
	v_lshl_add_u32 v13, v8, 6, 0x800
	s_mov_b64 s[6:7], 0
	v_mad_u64_u32 v[6:7], null, v14, s23, v[2:3]
	v_mad_u64_u32 v[2:3], null, v11, s29, v[1:2]
	v_lshlrev_b32_e32 v7, 3, v9
	s_delay_alu instid0(VALU_DEP_1) | instskip(NEXT) | instid1(VALU_DEP_3)
	v_lshl_or_b32 v16, v14, 8, v7
	v_dual_mov_b32 v14, 0 :: v_dual_mov_b32 v1, v2
	v_lshlrev_b64 v[2:3], 3, v[5:6]
	v_mov_b32_e32 v7, 0
	s_delay_alu instid0(VALU_DEP_3) | instskip(NEXT) | instid1(VALU_DEP_3)
	v_lshlrev_b64 v[0:1], 3, v[0:1]
	v_add_co_u32 v2, vcc_lo, s8, v2
	s_delay_alu instid0(VALU_DEP_4) | instskip(NEXT) | instid1(VALU_DEP_3)
	v_add_co_ci_u32_e32 v3, vcc_lo, s9, v3, vcc_lo
	v_add_co_u32 v5, vcc_lo, s4, v0
	s_delay_alu instid0(VALU_DEP_4) | instskip(NEXT) | instid1(VALU_DEP_4)
	v_add_co_ci_u32_e32 v6, vcc_lo, s5, v1, vcc_lo
	v_add_co_u32 v0, vcc_lo, v2, 4
	s_delay_alu instid0(VALU_DEP_4) | instskip(NEXT) | instid1(VALU_DEP_4)
	v_add_co_ci_u32_e32 v1, vcc_lo, 0, v3, vcc_lo
	v_add_co_u32 v2, vcc_lo, v5, 4
	s_delay_alu instid0(VALU_DEP_4) | instskip(SKIP_4) | instid1(VALU_DEP_3)
	v_add_co_ci_u32_e32 v3, vcc_lo, 0, v6, vcc_lo
	v_dual_mov_b32 v6, 0 :: v_dual_lshlrev_b32 v15, 3, v11
	v_mov_b32_e32 v5, 0
	v_mov_b32_e32 v11, 0
	s_lshl_b64 s[4:5], s[28:29], 6
	v_lshl_or_b32 v9, v10, 6, v15
	v_dual_mov_b32 v10, 0 :: v_dual_mov_b32 v15, 0
	s_delay_alu instid0(VALU_DEP_2)
	v_add_nc_u32_e32 v17, 0x800, v9
	v_mov_b32_e32 v9, 0
.LBB1269_2:                             ; =>This Inner Loop Header: Depth=1
	global_load_b64 v[18:19], v[2:3], off offset:-4
	global_load_b64 v[20:21], v[0:1], off offset:-4
	s_add_u32 s6, s6, 8
	v_add_co_u32 v0, vcc_lo, v0, s2
	s_addc_u32 s7, s7, 0
	v_add_co_ci_u32_e32 v1, vcc_lo, s3, v1, vcc_lo
	v_cmp_ge_u64_e64 s8, s[6:7], s[16:17]
	v_add_co_u32 v2, vcc_lo, v2, s4
	v_add_co_ci_u32_e32 v3, vcc_lo, s5, v3, vcc_lo
	s_delay_alu instid0(VALU_DEP_3)
	s_and_b32 vcc_lo, exec_lo, s8
	s_waitcnt vmcnt(1)
	v_xor_b32_e32 v19, 0x80000000, v19
	s_waitcnt vmcnt(0)
	ds_store_b64 v16, v[20:21]
	ds_store_b64 v17, v[18:19]
	s_waitcnt lgkmcnt(0)
	s_barrier
	buffer_gl0_inv
	ds_load_2addr_b64 v[18:21], v12 offset1:16
	ds_load_b128 v[22:25], v13
	ds_load_b128 v[26:29], v13 offset:1024
	ds_load_b128 v[30:33], v13 offset:16
	ds_load_b128 v[34:37], v13 offset:32
	ds_load_b128 v[38:41], v13 offset:48
	ds_load_2addr_b64 v[42:45], v12 offset0:32 offset1:48
	ds_load_2addr_b64 v[46:49], v12 offset0:64 offset1:80
	ds_load_b128 v[50:53], v13 offset:1040
	ds_load_2addr_b64 v[54:57], v12 offset0:96 offset1:112
	ds_load_2addr_b64 v[58:61], v12 offset0:128 offset1:144
	;; [unrolled: 1-line block ×4, first 2 shown]
	ds_load_b128 v[70:73], v13 offset:1056
	ds_load_b128 v[74:77], v13 offset:1072
	ds_load_2addr_b64 v[78:81], v12 offset0:224 offset1:240
	s_waitcnt lgkmcnt(0)
	s_barrier
	buffer_gl0_inv
	v_dual_mul_f32 v82, v23, v19 :: v_dual_mul_f32 v85, v22, v21
	v_dual_mul_f32 v83, v22, v19 :: v_dual_mul_f32 v84, v23, v21
	v_mul_f32_e32 v86, v27, v19
	v_dual_mul_f32 v19, v26, v19 :: v_dual_mul_f32 v90, v25, v45
	v_dual_mul_f32 v87, v27, v21 :: v_dual_mul_f32 v88, v25, v43
	v_mul_f32_e32 v21, v26, v21
	v_mul_f32_e32 v89, v24, v43
	v_mul_f32_e32 v91, v24, v45
	v_fma_f32 v82, v22, v18, -v82
	v_fmac_f32_e32 v83, v23, v18
	v_fma_f32 v22, v22, v20, -v84
	v_dual_fmac_f32 v85, v23, v20 :: v_dual_mul_f32 v84, v30, v47
	v_fma_f32 v23, v26, v18, -v86
	v_fmac_f32_e32 v19, v27, v18
	v_fma_f32 v18, v26, v20, -v87
	v_dual_mul_f32 v26, v28, v43 :: v_dual_fmac_f32 v21, v27, v20
	v_mul_f32_e32 v20, v29, v43
	v_mul_f32_e32 v27, v29, v45
	v_dual_mul_f32 v43, v28, v45 :: v_dual_fmac_f32 v84, v31, v46
	v_fma_f32 v45, v24, v42, -v88
	v_fma_f32 v24, v24, v44, -v90
	v_dual_fmac_f32 v91, v25, v44 :: v_dual_mul_f32 v90, v32, v57
	v_dual_mul_f32 v86, v31, v49 :: v_dual_fmac_f32 v89, v25, v42
	v_dual_mul_f32 v25, v31, v47 :: v_dual_mul_f32 v88, v33, v57
	v_fma_f32 v20, v28, v42, -v20
	v_fmac_f32_e32 v26, v29, v42
	v_fma_f32 v27, v28, v44, -v27
	v_dual_fmac_f32 v43, v29, v44 :: v_dual_mul_f32 v28, v51, v47
	v_dual_mul_f32 v29, v50, v47 :: v_dual_mul_f32 v42, v51, v49
	v_mul_f32_e32 v44, v50, v49
	v_mul_f32_e32 v87, v30, v49
	;; [unrolled: 1-line block ×3, first 2 shown]
	v_dual_mul_f32 v49, v32, v55 :: v_dual_fmac_f32 v90, v33, v56
	v_fma_f32 v25, v30, v46, -v25
	v_fma_f32 v30, v30, v48, -v86
	;; [unrolled: 1-line block ×3, first 2 shown]
	v_fmac_f32_e32 v44, v51, v48
	v_fmac_f32_e32 v87, v31, v48
	v_fma_f32 v31, v50, v48, -v42
	v_mul_f32_e32 v42, v53, v55
	v_mul_f32_e32 v48, v53, v57
	v_dual_mul_f32 v50, v52, v57 :: v_dual_fmac_f32 v29, v51, v46
	v_mul_f32_e32 v46, v52, v55
	v_fma_f32 v47, v32, v54, -v47
	v_fmac_f32_e32 v49, v33, v54
	v_fma_f32 v32, v32, v56, -v88
	s_delay_alu instid0(VALU_DEP_4)
	v_dual_mul_f32 v33, v35, v59 :: v_dual_fmac_f32 v46, v53, v54
	v_mul_f32_e32 v51, v34, v59
	v_mul_f32_e32 v55, v35, v61
	v_fma_f32 v42, v52, v54, -v42
	v_fma_f32 v48, v52, v56, -v48
	v_fmac_f32_e32 v50, v53, v56
	v_mul_f32_e32 v52, v71, v59
	v_dual_mul_f32 v53, v70, v59 :: v_dual_mul_f32 v86, v37, v65
	v_mul_f32_e32 v54, v71, v61
	v_dual_mul_f32 v56, v70, v61 :: v_dual_mul_f32 v59, v37, v63
	v_mul_f32_e32 v57, v34, v61
	v_mul_f32_e32 v61, v36, v63
	v_dual_mul_f32 v88, v36, v65 :: v_dual_fmac_f32 v51, v35, v58
	v_fma_f32 v33, v34, v58, -v33
	v_fmac_f32_e32 v53, v71, v58
	v_fmac_f32_e32 v56, v71, v60
	s_delay_alu instid0(VALU_DEP_4)
	v_fmac_f32_e32 v88, v37, v64
	v_fmac_f32_e32 v57, v35, v60
	v_fma_f32 v35, v70, v58, -v52
	v_fma_f32 v52, v70, v60, -v54
	v_mul_f32_e32 v54, v73, v63
	v_fma_f32 v34, v34, v60, -v55
	v_mul_f32_e32 v60, v72, v65
	v_dual_mul_f32 v55, v72, v63 :: v_dual_mul_f32 v70, v38, v69
	v_mul_f32_e32 v58, v73, v65
	v_fma_f32 v59, v36, v62, -v59
	v_fmac_f32_e32 v61, v37, v62
	v_fma_f32 v36, v36, v64, -v86
	v_dual_mul_f32 v37, v39, v67 :: v_dual_fmac_f32 v60, v73, v64
	v_dual_mul_f32 v63, v38, v67 :: v_dual_mul_f32 v86, v40, v81
	v_mul_f32_e32 v65, v39, v69
	v_fma_f32 v54, v72, v62, -v54
	v_fmac_f32_e32 v55, v73, v62
	v_fma_f32 v58, v72, v64, -v58
	v_mul_f32_e32 v72, v40, v79
	v_mul_f32_e32 v62, v75, v67
	v_dual_mul_f32 v64, v74, v67 :: v_dual_mul_f32 v67, v75, v69
	v_dual_mul_f32 v69, v74, v69 :: v_dual_fmac_f32 v70, v39, v68
	s_delay_alu instid0(VALU_DEP_2)
	v_dual_mul_f32 v71, v41, v79 :: v_dual_fmac_f32 v64, v75, v66
	v_dual_mul_f32 v73, v41, v81 :: v_dual_add_f32 v14, v14, v82
	v_fma_f32 v37, v38, v66, -v37
	v_fmac_f32_e32 v63, v39, v66
	v_fma_f32 v38, v38, v68, -v65
	v_fma_f32 v39, v74, v66, -v62
	v_dual_fmac_f32 v69, v75, v68 :: v_dual_fmac_f32 v72, v41, v78
	v_dual_mul_f32 v65, v77, v79 :: v_dual_add_f32 v10, v10, v22
	v_mul_f32_e32 v66, v76, v79
	v_fma_f32 v62, v74, v68, -v67
	v_mul_f32_e32 v68, v76, v81
	v_dual_fmac_f32 v86, v41, v80 :: v_dual_add_f32 v15, v15, v83
	v_dual_add_f32 v9, v9, v19 :: v_dual_add_f32 v6, v6, v21
	v_dual_mul_f32 v67, v77, v81 :: v_dual_add_f32 v10, v10, v24
	v_dual_fmac_f32 v66, v77, v78 :: v_dual_add_f32 v11, v11, v85
	v_dual_fmac_f32 v68, v77, v80 :: v_dual_add_f32 v7, v7, v23
	v_dual_add_f32 v5, v5, v18 :: v_dual_add_f32 v14, v14, v45
	v_dual_add_f32 v15, v15, v89 :: v_dual_add_f32 v6, v6, v43
	s_delay_alu instid0(VALU_DEP_4) | instskip(NEXT) | instid1(VALU_DEP_4)
	v_add_f32_e32 v11, v11, v91
	v_dual_add_f32 v7, v7, v20 :: v_dual_add_f32 v10, v10, v30
	s_delay_alu instid0(VALU_DEP_3) | instskip(SKIP_1) | instid1(VALU_DEP_3)
	v_dual_add_f32 v9, v9, v26 :: v_dual_add_f32 v6, v6, v44
	v_dual_add_f32 v14, v14, v25 :: v_dual_add_f32 v5, v5, v27
	v_add_f32_e32 v10, v10, v32
	v_add_f32_e32 v15, v15, v84
	s_delay_alu instid0(VALU_DEP_4) | instskip(NEXT) | instid1(VALU_DEP_4)
	v_dual_add_f32 v11, v11, v87 :: v_dual_add_f32 v6, v6, v50
	v_dual_add_f32 v14, v14, v47 :: v_dual_add_f32 v7, v7, v28
	s_delay_alu instid0(VALU_DEP_4) | instskip(NEXT) | instid1(VALU_DEP_3)
	v_dual_add_f32 v9, v9, v29 :: v_dual_add_f32 v10, v10, v34
	v_dual_add_f32 v5, v5, v31 :: v_dual_add_f32 v6, v6, v56
	s_delay_alu instid0(VALU_DEP_3) | instskip(SKIP_1) | instid1(VALU_DEP_4)
	v_add_f32_e32 v14, v14, v33
	v_add_f32_e32 v15, v15, v49
	v_dual_add_f32 v11, v11, v90 :: v_dual_add_f32 v10, v10, v36
	s_delay_alu instid0(VALU_DEP_4) | instskip(NEXT) | instid1(VALU_DEP_4)
	v_dual_add_f32 v7, v7, v42 :: v_dual_add_f32 v6, v6, v60
	v_dual_add_f32 v5, v5, v48 :: v_dual_add_f32 v14, v14, v59
	s_delay_alu instid0(VALU_DEP_3)
	v_add_f32_e32 v10, v10, v38
	v_add_f32_e32 v9, v9, v46
	v_fma_f32 v71, v40, v78, -v71
	v_fma_f32 v40, v40, v80, -v73
	v_dual_add_f32 v14, v14, v37 :: v_dual_add_f32 v15, v15, v51
	v_add_f32_e32 v6, v6, v69
	v_add_f32_e32 v11, v11, v57
	s_delay_alu instid0(VALU_DEP_4) | instskip(NEXT) | instid1(VALU_DEP_3)
	v_dual_add_f32 v7, v7, v35 :: v_dual_add_f32 v10, v10, v40
	v_dual_add_f32 v9, v9, v53 :: v_dual_add_f32 v6, v6, v68
	v_add_f32_e32 v5, v5, v52
	v_add_f32_e32 v15, v15, v61
	s_delay_alu instid0(VALU_DEP_4) | instskip(NEXT) | instid1(VALU_DEP_4)
	v_add_f32_e32 v7, v7, v54
	v_add_f32_e32 v9, v9, v55
	v_dual_add_f32 v14, v14, v71 :: v_dual_add_f32 v11, v11, v88
	v_add_f32_e32 v5, v5, v58
	v_fma_f32 v41, v76, v78, -v65
	v_fma_f32 v65, v76, v80, -v67
	v_add_f32_e32 v15, v15, v63
	v_add_f32_e32 v11, v11, v70
	;; [unrolled: 1-line block ×10, first 2 shown]
	s_cbranch_vccz .LBB1269_2
.LBB1269_3:
	s_load_b256 s[4:11], s[0:1], 0x48
	v_add_nc_u32_e32 v8, s13, v8
	s_load_b32 s2, s[0:1], 0x0
	s_delay_alu instid0(VALU_DEP_1) | instskip(SKIP_3) | instid1(VALU_DEP_3)
	v_ashrrev_i32_e32 v0, 31, v8
	s_waitcnt lgkmcnt(0)
	v_mul_lo_u32 v3, v8, s9
	v_mad_u64_u32 v[1:2], null, v8, s8, 0
	v_mul_lo_u32 v0, v0, s8
	s_mul_i32 s1, s15, s11
	s_mul_hi_u32 s3, s15, s10
	s_mul_i32 s0, s15, s10
	s_add_i32 s1, s3, s1
	v_cmp_gt_i32_e32 vcc_lo, s2, v8
	s_lshl_b64 s[10:11], s[0:1], 3
	s_delay_alu instid0(VALU_DEP_2) | instskip(SKIP_3) | instid1(VALU_DEP_2)
	v_add3_u32 v2, v2, v3, v0
	v_add_nc_u32_e32 v0, s12, v4
	s_add_u32 s3, s6, s10
	s_addc_u32 s6, s7, s11
	v_lshlrev_b64 v[1:2], 3, v[1:2]
	s_delay_alu instid0(VALU_DEP_2) | instskip(NEXT) | instid1(VALU_DEP_1)
	v_cmp_le_i32_e64 s0, v0, v8
	s_and_b32 s0, vcc_lo, s0
	s_delay_alu instid0(VALU_DEP_2) | instskip(NEXT) | instid1(VALU_DEP_1)
	v_add_co_u32 v4, s1, s3, v1
	v_add_co_ci_u32_e64 v12, s1, s6, v2, s1
	s_and_saveexec_b32 s1, s0
	s_cbranch_execz .LBB1269_6
; %bb.4:
	v_ashrrev_i32_e32 v1, 31, v0
	s_delay_alu instid0(VALU_DEP_1) | instskip(NEXT) | instid1(VALU_DEP_1)
	v_lshlrev_b64 v[1:2], 3, v[0:1]
	v_add_co_u32 v1, s0, v4, v1
	s_delay_alu instid0(VALU_DEP_1)
	v_add_co_ci_u32_e64 v2, s0, v12, v2, s0
	v_cmp_eq_u32_e64 s0, v8, v0
	global_load_b64 v[16:17], v[1:2], off
	s_waitcnt vmcnt(0)
	v_mul_f32_e32 v13, s5, v17
	v_mul_f32_e32 v17, s4, v17
	s_delay_alu instid0(VALU_DEP_2) | instskip(NEXT) | instid1(VALU_DEP_2)
	v_fma_f32 v13, v16, s4, -v13
	v_fmac_f32_e32 v17, s5, v16
	v_mul_f32_e32 v3, s19, v15
	v_mul_f32_e32 v15, s18, v15
	s_delay_alu instid0(VALU_DEP_2) | instskip(NEXT) | instid1(VALU_DEP_2)
	v_fma_f32 v3, v14, s18, -v3
	v_fmac_f32_e32 v15, s19, v14
	s_delay_alu instid0(VALU_DEP_2) | instskip(NEXT) | instid1(VALU_DEP_2)
	v_add_f32_e32 v13, v3, v13
	v_add_f32_e32 v14, v15, v17
	global_store_b64 v[1:2], v[13:14], off
	s_and_b32 exec_lo, exec_lo, s0
	s_cbranch_execz .LBB1269_6
; %bb.5:
	v_mov_b32_e32 v3, 0
	global_store_b32 v[1:2], v3, off offset:4
.LBB1269_6:
	s_or_b32 exec_lo, exec_lo, s1
	v_add_nc_u32_e32 v2, 16, v0
	s_delay_alu instid0(VALU_DEP_1) | instskip(NEXT) | instid1(VALU_DEP_1)
	v_cmp_le_i32_e64 s0, v2, v8
	s_and_b32 s1, vcc_lo, s0
	s_delay_alu instid0(SALU_CYCLE_1)
	s_and_saveexec_b32 s0, s1
	s_cbranch_execz .LBB1269_9
; %bb.7:
	v_ashrrev_i32_e32 v3, 31, v2
	s_delay_alu instid0(VALU_DEP_1) | instskip(NEXT) | instid1(VALU_DEP_1)
	v_lshlrev_b64 v[13:14], 3, v[2:3]
	v_add_co_u32 v3, vcc_lo, v4, v13
	s_delay_alu instid0(VALU_DEP_2)
	v_add_co_ci_u32_e32 v4, vcc_lo, v12, v14, vcc_lo
	v_cmp_eq_u32_e32 vcc_lo, v8, v2
	global_load_b64 v[12:13], v[3:4], off
	s_waitcnt vmcnt(0)
	v_dual_mul_f32 v1, s19, v11 :: v_dual_mul_f32 v14, s5, v13
	v_mul_f32_e32 v13, s4, v13
	s_delay_alu instid0(VALU_DEP_2) | instskip(SKIP_1) | instid1(VALU_DEP_3)
	v_fma_f32 v1, v10, s18, -v1
	v_mul_f32_e32 v11, s18, v11
	v_fmac_f32_e32 v13, s5, v12
	s_delay_alu instid0(VALU_DEP_2) | instskip(SKIP_1) | instid1(VALU_DEP_1)
	v_fmac_f32_e32 v11, s19, v10
	v_fma_f32 v10, v12, s4, -v14
	v_dual_add_f32 v11, v11, v13 :: v_dual_add_f32 v10, v1, v10
	global_store_b64 v[3:4], v[10:11], off
	s_and_b32 exec_lo, exec_lo, vcc_lo
	s_cbranch_execz .LBB1269_9
; %bb.8:
	v_mov_b32_e32 v1, 0
	global_store_b32 v[3:4], v1, off offset:4
.LBB1269_9:
	s_or_b32 exec_lo, exec_lo, s0
	v_add_nc_u32_e32 v12, 16, v8
	s_delay_alu instid0(VALU_DEP_1) | instskip(SKIP_3) | instid1(VALU_DEP_4)
	v_ashrrev_i32_e32 v1, 31, v12
	v_mul_lo_u32 v10, v12, s9
	v_mad_u64_u32 v[3:4], null, v12, s8, 0
	v_cmp_gt_i32_e32 vcc_lo, s2, v12
	v_mul_lo_u32 v1, v1, s8
	v_cmp_le_i32_e64 s0, v0, v12
	s_delay_alu instid0(VALU_DEP_1) | instskip(NEXT) | instid1(VALU_DEP_2)
	s_and_b32 s0, vcc_lo, s0
	v_add3_u32 v4, v4, v10, v1
	s_delay_alu instid0(VALU_DEP_1) | instskip(NEXT) | instid1(VALU_DEP_1)
	v_lshlrev_b64 v[3:4], 3, v[3:4]
	v_add_co_u32 v10, s1, s3, v3
	s_delay_alu instid0(VALU_DEP_1)
	v_add_co_ci_u32_e64 v11, s1, s6, v4, s1
	s_and_saveexec_b32 s1, s0
	s_cbranch_execz .LBB1269_12
; %bb.10:
	v_ashrrev_i32_e32 v1, 31, v0
	s_delay_alu instid0(VALU_DEP_1) | instskip(NEXT) | instid1(VALU_DEP_1)
	v_lshlrev_b64 v[3:4], 3, v[0:1]
	v_add_co_u32 v3, s0, v10, v3
	s_delay_alu instid0(VALU_DEP_1) | instskip(SKIP_4) | instid1(VALU_DEP_1)
	v_add_co_ci_u32_e64 v4, s0, v11, v4, s0
	v_cmp_eq_u32_e64 s0, v12, v0
	global_load_b64 v[13:14], v[3:4], off
	v_mul_f32_e32 v1, s19, v9
	v_mul_f32_e32 v9, s18, v9
	v_fmac_f32_e32 v9, s19, v7
	s_waitcnt vmcnt(0)
	v_mul_f32_e32 v15, s5, v14
	v_mul_f32_e32 v14, s4, v14
	v_fma_f32 v1, v7, s18, -v1
	s_delay_alu instid0(VALU_DEP_2) | instskip(NEXT) | instid1(VALU_DEP_4)
	v_fmac_f32_e32 v14, s5, v13
	v_fma_f32 v7, v13, s4, -v15
	s_delay_alu instid0(VALU_DEP_2) | instskip(NEXT) | instid1(VALU_DEP_2)
	v_add_f32_e32 v14, v9, v14
	v_add_f32_e32 v13, v1, v7
	global_store_b64 v[3:4], v[13:14], off
	s_and_b32 exec_lo, exec_lo, s0
	s_cbranch_execz .LBB1269_12
; %bb.11:
	v_mov_b32_e32 v1, 0
	global_store_b32 v[3:4], v1, off offset:4
.LBB1269_12:
	s_or_b32 exec_lo, exec_lo, s1
	v_cmp_le_i32_e64 s0, v2, v12
	s_delay_alu instid0(VALU_DEP_1) | instskip(NEXT) | instid1(SALU_CYCLE_1)
	s_and_b32 s0, vcc_lo, s0
	s_and_saveexec_b32 s1, s0
	s_cbranch_execz .LBB1269_15
; %bb.13:
	v_ashrrev_i32_e32 v3, 31, v2
	s_delay_alu instid0(VALU_DEP_1) | instskip(NEXT) | instid1(VALU_DEP_1)
	v_lshlrev_b64 v[1:2], 3, v[2:3]
	v_add_co_u32 v1, vcc_lo, v10, v1
	s_delay_alu instid0(VALU_DEP_2)
	v_add_co_ci_u32_e32 v2, vcc_lo, v11, v2, vcc_lo
	v_cmp_eq_u32_e32 vcc_lo, v8, v0
	global_load_b64 v[3:4], v[1:2], off
	v_mul_f32_e32 v7, s19, v6
	s_waitcnt vmcnt(0)
	v_dual_mul_f32 v6, s18, v6 :: v_dual_mul_f32 v9, s5, v4
	v_mul_f32_e32 v4, s4, v4
	s_delay_alu instid0(VALU_DEP_3) | instskip(NEXT) | instid1(VALU_DEP_3)
	v_fma_f32 v7, v5, s18, -v7
	v_fmac_f32_e32 v6, s19, v5
	s_delay_alu instid0(VALU_DEP_4) | instskip(NEXT) | instid1(VALU_DEP_1)
	v_fma_f32 v5, v3, s4, -v9
	v_dual_fmac_f32 v4, s5, v3 :: v_dual_add_f32 v3, v7, v5
	s_delay_alu instid0(VALU_DEP_1)
	v_add_f32_e32 v4, v6, v4
	global_store_b64 v[1:2], v[3:4], off
	s_and_b32 exec_lo, exec_lo, vcc_lo
	s_cbranch_execz .LBB1269_15
; %bb.14:
	v_mov_b32_e32 v0, 0
	global_store_b32 v[1:2], v0, off offset:4
.LBB1269_15:
	s_nop 0
	s_sendmsg sendmsg(MSG_DEALLOC_VGPRS)
	s_endpgm
	.section	.rodata,"a",@progbits
	.p2align	6, 0x0
	.amdhsa_kernel _ZL37rocblas_syrkx_herkx_restricted_kernelIl19rocblas_complex_numIfELi16ELi32ELi8ELb0ELb1ELc78ELc85EKS1_S1_EviT_T0_PT8_S3_lS6_S3_lS4_PT9_S3_li
		.amdhsa_group_segment_fixed_size 4096
		.amdhsa_private_segment_fixed_size 0
		.amdhsa_kernarg_size 108
		.amdhsa_user_sgpr_count 13
		.amdhsa_user_sgpr_dispatch_ptr 0
		.amdhsa_user_sgpr_queue_ptr 0
		.amdhsa_user_sgpr_kernarg_segment_ptr 1
		.amdhsa_user_sgpr_dispatch_id 0
		.amdhsa_user_sgpr_private_segment_size 0
		.amdhsa_wavefront_size32 1
		.amdhsa_uses_dynamic_stack 0
		.amdhsa_enable_private_segment 0
		.amdhsa_system_sgpr_workgroup_id_x 1
		.amdhsa_system_sgpr_workgroup_id_y 1
		.amdhsa_system_sgpr_workgroup_id_z 1
		.amdhsa_system_sgpr_workgroup_info 0
		.amdhsa_system_vgpr_workitem_id 1
		.amdhsa_next_free_vgpr 92
		.amdhsa_next_free_sgpr 32
		.amdhsa_reserve_vcc 1
		.amdhsa_float_round_mode_32 0
		.amdhsa_float_round_mode_16_64 0
		.amdhsa_float_denorm_mode_32 3
		.amdhsa_float_denorm_mode_16_64 3
		.amdhsa_dx10_clamp 1
		.amdhsa_ieee_mode 1
		.amdhsa_fp16_overflow 0
		.amdhsa_workgroup_processor_mode 1
		.amdhsa_memory_ordered 1
		.amdhsa_forward_progress 0
		.amdhsa_shared_vgpr_count 0
		.amdhsa_exception_fp_ieee_invalid_op 0
		.amdhsa_exception_fp_denorm_src 0
		.amdhsa_exception_fp_ieee_div_zero 0
		.amdhsa_exception_fp_ieee_overflow 0
		.amdhsa_exception_fp_ieee_underflow 0
		.amdhsa_exception_fp_ieee_inexact 0
		.amdhsa_exception_int_div_zero 0
	.end_amdhsa_kernel
	.section	.text._ZL37rocblas_syrkx_herkx_restricted_kernelIl19rocblas_complex_numIfELi16ELi32ELi8ELb0ELb1ELc78ELc85EKS1_S1_EviT_T0_PT8_S3_lS6_S3_lS4_PT9_S3_li,"axG",@progbits,_ZL37rocblas_syrkx_herkx_restricted_kernelIl19rocblas_complex_numIfELi16ELi32ELi8ELb0ELb1ELc78ELc85EKS1_S1_EviT_T0_PT8_S3_lS6_S3_lS4_PT9_S3_li,comdat
.Lfunc_end1269:
	.size	_ZL37rocblas_syrkx_herkx_restricted_kernelIl19rocblas_complex_numIfELi16ELi32ELi8ELb0ELb1ELc78ELc85EKS1_S1_EviT_T0_PT8_S3_lS6_S3_lS4_PT9_S3_li, .Lfunc_end1269-_ZL37rocblas_syrkx_herkx_restricted_kernelIl19rocblas_complex_numIfELi16ELi32ELi8ELb0ELb1ELc78ELc85EKS1_S1_EviT_T0_PT8_S3_lS6_S3_lS4_PT9_S3_li
                                        ; -- End function
	.section	.AMDGPU.csdata,"",@progbits
; Kernel info:
; codeLenInByte = 2508
; NumSgprs: 34
; NumVgprs: 92
; ScratchSize: 0
; MemoryBound: 0
; FloatMode: 240
; IeeeMode: 1
; LDSByteSize: 4096 bytes/workgroup (compile time only)
; SGPRBlocks: 4
; VGPRBlocks: 11
; NumSGPRsForWavesPerEU: 34
; NumVGPRsForWavesPerEU: 92
; Occupancy: 16
; WaveLimiterHint : 0
; COMPUTE_PGM_RSRC2:SCRATCH_EN: 0
; COMPUTE_PGM_RSRC2:USER_SGPR: 13
; COMPUTE_PGM_RSRC2:TRAP_HANDLER: 0
; COMPUTE_PGM_RSRC2:TGID_X_EN: 1
; COMPUTE_PGM_RSRC2:TGID_Y_EN: 1
; COMPUTE_PGM_RSRC2:TGID_Z_EN: 1
; COMPUTE_PGM_RSRC2:TIDIG_COMP_CNT: 1
	.section	.text._ZL41rocblas_syrkx_herkx_small_restrict_kernelIl19rocblas_complex_numIfELi16ELb1ELb1ELc84ELc76EKS1_S1_EviT_T0_PT6_S3_lS6_S3_lS4_PT7_S3_li,"axG",@progbits,_ZL41rocblas_syrkx_herkx_small_restrict_kernelIl19rocblas_complex_numIfELi16ELb1ELb1ELc84ELc76EKS1_S1_EviT_T0_PT6_S3_lS6_S3_lS4_PT7_S3_li,comdat
	.globl	_ZL41rocblas_syrkx_herkx_small_restrict_kernelIl19rocblas_complex_numIfELi16ELb1ELb1ELc84ELc76EKS1_S1_EviT_T0_PT6_S3_lS6_S3_lS4_PT7_S3_li ; -- Begin function _ZL41rocblas_syrkx_herkx_small_restrict_kernelIl19rocblas_complex_numIfELi16ELb1ELb1ELc84ELc76EKS1_S1_EviT_T0_PT6_S3_lS6_S3_lS4_PT7_S3_li
	.p2align	8
	.type	_ZL41rocblas_syrkx_herkx_small_restrict_kernelIl19rocblas_complex_numIfELi16ELb1ELb1ELc84ELc76EKS1_S1_EviT_T0_PT6_S3_lS6_S3_lS4_PT7_S3_li,@function
_ZL41rocblas_syrkx_herkx_small_restrict_kernelIl19rocblas_complex_numIfELi16ELb1ELb1ELc84ELc76EKS1_S1_EviT_T0_PT6_S3_lS6_S3_lS4_PT7_S3_li: ; @_ZL41rocblas_syrkx_herkx_small_restrict_kernelIl19rocblas_complex_numIfELi16ELb1ELb1ELc84ELc76EKS1_S1_EviT_T0_PT6_S3_lS6_S3_lS4_PT7_S3_li
; %bb.0:
	s_load_b512 s[16:31], s[0:1], 0x8
	v_dual_mov_b32 v12, 0 :: v_dual_and_b32 v3, 0x3ff, v0
	v_bfe_u32 v2, v0, 10, 10
	v_mov_b32_e32 v13, 0
	s_delay_alu instid0(VALU_DEP_3) | instskip(NEXT) | instid1(VALU_DEP_3)
	v_lshl_add_u32 v0, s13, 4, v3
	v_lshl_add_u32 v6, s14, 4, v2
	s_delay_alu instid0(VALU_DEP_2) | instskip(NEXT) | instid1(VALU_DEP_2)
	v_ashrrev_i32_e32 v1, 31, v0
	v_ashrrev_i32_e32 v7, 31, v6
	s_waitcnt lgkmcnt(0)
	v_cmp_lt_i64_e64 s2, s[16:17], 1
	s_delay_alu instid0(VALU_DEP_1)
	s_and_b32 vcc_lo, exec_lo, s2
	s_cbranch_vccnz .LBB1270_3
; %bb.1:
	v_mul_lo_u32 v11, s29, v6
	v_mul_lo_u32 v14, s28, v7
	v_mad_u64_u32 v[4:5], null, s28, v6, 0
	v_lshlrev_b32_e32 v8, 3, v3
	v_mul_lo_u32 v3, s23, v0
	v_mul_lo_u32 v15, s22, v1
	v_mad_u64_u32 v[12:13], null, s22, v0, 0
	s_mul_i32 s2, s31, s15
	v_add3_u32 v5, v5, v14, v11
	s_mul_hi_u32 s3, s30, s15
	s_mul_i32 s4, s25, s15
	s_add_i32 s3, s3, s2
	s_mul_i32 s2, s30, s15
	s_delay_alu instid0(VALU_DEP_2)
	v_add3_u32 v13, v13, v15, v3
	v_lshlrev_b64 v[3:4], 3, v[4:5]
	s_lshl_b64 s[2:3], s[2:3], 3
	s_mul_hi_u32 s5, s24, s15
	v_lshlrev_b32_e32 v10, 7, v2
	v_lshlrev_b64 v[12:13], 3, v[12:13]
	s_add_i32 s5, s5, s4
	s_mul_i32 s4, s24, s15
	v_add_co_u32 v3, vcc_lo, v3, s2
	v_add_co_ci_u32_e32 v4, vcc_lo, s3, v4, vcc_lo
	s_lshl_b64 s[2:3], s[4:5], 3
	v_lshlrev_b32_e32 v2, 3, v2
	v_add_co_u32 v5, vcc_lo, v12, s2
	v_add_co_ci_u32_e32 v12, vcc_lo, s3, v13, vcc_lo
	v_mov_b32_e32 v13, 0
	v_add_co_u32 v3, vcc_lo, v3, v8
	v_add_co_ci_u32_e32 v4, vcc_lo, 0, v4, vcc_lo
	v_add_co_u32 v5, vcc_lo, v5, v2
	v_add_co_ci_u32_e32 v12, vcc_lo, 0, v12, vcc_lo
	v_add_nc_u32_e32 v9, 0x800, v10
	v_add_co_u32 v2, vcc_lo, s26, v3
	v_add_co_ci_u32_e32 v3, vcc_lo, s27, v4, vcc_lo
	v_add_co_u32 v4, vcc_lo, s20, v5
	v_add_nc_u32_e32 v10, v8, v10
	v_add_co_ci_u32_e32 v5, vcc_lo, s21, v12, vcc_lo
	v_dual_mov_b32 v12, 0 :: v_dual_add_nc_u32 v11, v9, v8
	s_mov_b64 s[2:3], 0
.LBB1270_2:                             ; =>This Inner Loop Header: Depth=1
	global_load_b64 v[14:15], v[4:5], off
	global_load_b64 v[16:17], v[2:3], off
	s_add_u32 s2, s2, 16
	v_add_co_u32 v2, vcc_lo, 0x80, v2
	s_addc_u32 s3, s3, 0
	v_add_co_ci_u32_e32 v3, vcc_lo, 0, v3, vcc_lo
	v_cmp_lt_i64_e64 s4, s[2:3], s[16:17]
	v_add_co_u32 v4, vcc_lo, 0x80, v4
	v_add_co_ci_u32_e32 v5, vcc_lo, 0, v5, vcc_lo
	s_waitcnt vmcnt(1)
	ds_store_b64 v10, v[14:15]
	s_waitcnt vmcnt(0)
	ds_store_b64 v11, v[16:17]
	s_waitcnt lgkmcnt(0)
	s_barrier
	buffer_gl0_inv
	ds_load_2addr_b64 v[14:17], v8 offset1:16
	ds_load_b128 v[18:21], v9
	ds_load_b128 v[22:25], v9 offset:16
	ds_load_2addr_b64 v[26:29], v8 offset0:32 offset1:48
	ds_load_2addr_b64 v[30:33], v8 offset0:64 offset1:80
	ds_load_b128 v[34:37], v9 offset:32
	ds_load_b128 v[38:41], v9 offset:48
	ds_load_2addr_b64 v[42:45], v8 offset0:96 offset1:112
	ds_load_2addr_b64 v[46:49], v8 offset0:128 offset1:144
	ds_load_2addr_b64 v[50:53], v8 offset0:160 offset1:176
	ds_load_b128 v[54:57], v9 offset:64
	ds_load_b128 v[58:61], v9 offset:80
	ds_load_2addr_b64 v[62:65], v8 offset0:192 offset1:208
	ds_load_2addr_b64 v[66:69], v8 offset0:224 offset1:240
	ds_load_b128 v[70:73], v9 offset:96
	ds_load_b128 v[74:77], v9 offset:112
	s_and_b32 vcc_lo, exec_lo, s4
	s_waitcnt lgkmcnt(0)
	s_barrier
	buffer_gl0_inv
	v_dual_mul_f32 v78, v19, v15 :: v_dual_mul_f32 v79, v21, v17
	v_mul_f32_e32 v15, v18, v15
	v_dual_mul_f32 v17, v20, v17 :: v_dual_mul_f32 v80, v23, v27
	v_mul_f32_e32 v27, v22, v27
	v_dual_mul_f32 v81, v25, v29 :: v_dual_mul_f32 v82, v35, v31
	v_fma_f32 v18, v18, v14, -v78
	v_mul_f32_e32 v31, v34, v31
	s_delay_alu instid0(VALU_DEP_4) | instskip(NEXT) | instid1(VALU_DEP_4)
	v_fmac_f32_e32 v27, v23, v26
	v_fma_f32 v23, v24, v28, -v81
	v_fmac_f32_e32 v15, v19, v14
	v_fma_f32 v14, v20, v16, -v79
	v_add_f32_e32 v12, v12, v18
	v_dual_mul_f32 v29, v24, v29 :: v_dual_mul_f32 v84, v39, v43
	v_mul_f32_e32 v43, v38, v43
	v_fma_f32 v22, v22, v26, -v80
	s_delay_alu instid0(VALU_DEP_4) | instskip(SKIP_2) | instid1(VALU_DEP_3)
	v_dual_add_f32 v12, v12, v14 :: v_dual_fmac_f32 v17, v21, v16
	v_dual_mul_f32 v83, v37, v33 :: v_dual_mul_f32 v86, v55, v47
	v_dual_mul_f32 v85, v41, v45 :: v_dual_mul_f32 v18, v74, v67
	v_add_f32_e32 v12, v12, v22
	v_fma_f32 v22, v34, v30, -v82
	v_mul_f32_e32 v16, v57, v49
	v_mul_f32_e32 v19, v56, v49
	v_dual_mul_f32 v33, v36, v33 :: v_dual_mul_f32 v20, v59, v51
	v_add_f32_e32 v12, v12, v23
	v_mul_f32_e32 v21, v58, v51
	v_fma_f32 v23, v36, v32, -v83
	v_mul_f32_e32 v51, v60, v53
	v_fma_f32 v16, v56, v48, -v16
	v_dual_add_f32 v12, v12, v22 :: v_dual_mul_f32 v49, v61, v53
	v_fma_f32 v22, v38, v42, -v84
	v_fma_f32 v20, v58, v50, -v20
	v_mul_f32_e32 v24, v73, v65
	s_delay_alu instid0(VALU_DEP_4) | instskip(SKIP_3) | instid1(VALU_DEP_4)
	v_add_f32_e32 v12, v12, v23
	v_mul_f32_e32 v53, v71, v63
	v_fma_f32 v23, v40, v44, -v85
	v_dual_mul_f32 v47, v54, v47 :: v_dual_mul_f32 v14, v77, v69
	v_add_f32_e32 v12, v12, v22
	v_fma_f32 v22, v54, v46, -v86
	v_fmac_f32_e32 v33, v37, v32
	v_dual_mul_f32 v45, v40, v45 :: v_dual_fmac_f32 v18, v75, v66
	s_delay_alu instid0(VALU_DEP_4) | instskip(SKIP_3) | instid1(VALU_DEP_4)
	v_add_f32_e32 v12, v12, v23
	v_mul_f32_e32 v63, v70, v63
	v_fma_f32 v14, v76, v68, -v14
	v_fmac_f32_e32 v43, v39, v42
	v_dual_fmac_f32 v45, v41, v44 :: v_dual_add_f32 v12, v12, v22
	v_add_f32_e32 v13, v13, v15
	v_fmac_f32_e32 v47, v55, v46
	v_fmac_f32_e32 v19, v57, v48
	s_delay_alu instid0(VALU_DEP_4) | instskip(SKIP_3) | instid1(VALU_DEP_4)
	v_dual_fmac_f32 v21, v59, v50 :: v_dual_add_f32 v12, v12, v16
	v_mul_f32_e32 v15, v75, v67
	v_fma_f32 v16, v60, v52, -v49
	v_fmac_f32_e32 v51, v61, v52
	v_dual_fmac_f32 v63, v71, v62 :: v_dual_add_f32 v12, v12, v20
	v_add_f32_e32 v13, v13, v17
	v_fma_f32 v15, v74, v66, -v15
	v_fmac_f32_e32 v31, v35, v30
	v_mul_f32_e32 v17, v76, v69
	v_add_f32_e32 v12, v12, v16
	v_fmac_f32_e32 v29, v25, v28
	v_fma_f32 v16, v72, v64, -v24
	v_add_f32_e32 v13, v13, v27
	v_mul_f32_e32 v25, v72, v65
	v_fmac_f32_e32 v17, v77, v68
	s_delay_alu instid0(VALU_DEP_3) | instskip(NEXT) | instid1(VALU_DEP_3)
	v_add_f32_e32 v13, v13, v29
	v_fmac_f32_e32 v25, v73, v64
	s_delay_alu instid0(VALU_DEP_2) | instskip(NEXT) | instid1(VALU_DEP_1)
	v_add_f32_e32 v13, v13, v31
	v_add_f32_e32 v13, v13, v33
	s_delay_alu instid0(VALU_DEP_1) | instskip(NEXT) | instid1(VALU_DEP_1)
	v_add_f32_e32 v13, v13, v43
	v_add_f32_e32 v13, v13, v45
	s_delay_alu instid0(VALU_DEP_1) | instskip(NEXT) | instid1(VALU_DEP_1)
	v_add_f32_e32 v13, v13, v47
	v_add_f32_e32 v13, v13, v19
	v_fma_f32 v19, v70, v62, -v53
	s_delay_alu instid0(VALU_DEP_1) | instskip(NEXT) | instid1(VALU_DEP_1)
	v_dual_add_f32 v13, v13, v21 :: v_dual_add_f32 v12, v12, v19
	v_dual_add_f32 v13, v13, v51 :: v_dual_add_f32 v12, v12, v16
	s_delay_alu instid0(VALU_DEP_1) | instskip(NEXT) | instid1(VALU_DEP_1)
	v_add_f32_e32 v13, v13, v63
	v_dual_add_f32 v12, v12, v15 :: v_dual_add_f32 v13, v13, v25
	s_delay_alu instid0(VALU_DEP_1) | instskip(NEXT) | instid1(VALU_DEP_2)
	v_add_f32_e32 v12, v12, v14
	v_add_f32_e32 v13, v13, v18
	s_delay_alu instid0(VALU_DEP_1)
	v_add_f32_e32 v13, v13, v17
	s_cbranch_vccnz .LBB1270_2
.LBB1270_3:
	s_mov_b32 s2, exec_lo
	v_cmpx_le_i32_e64 v6, v0
	s_cbranch_execz .LBB1270_6
; %bb.4:
	s_clause 0x1
	s_load_b128 s[4:7], s[0:1], 0x50
	s_load_b64 s[0:1], s[0:1], 0x60
	v_mul_f32_e32 v10, s19, v13
	v_mul_f32_e32 v4, s18, v13
	s_delay_alu instid0(VALU_DEP_1)
	v_fmac_f32_e32 v4, s19, v12
	s_waitcnt lgkmcnt(0)
	v_mul_lo_u32 v5, v6, s7
	v_mul_lo_u32 v9, v7, s6
	v_mad_u64_u32 v[2:3], null, v6, s6, 0
	s_mul_i32 s1, s15, s1
	s_mul_hi_u32 s2, s15, s0
	v_lshlrev_b64 v[7:8], 3, v[0:1]
	s_mul_i32 s0, s15, s0
	s_add_i32 s1, s2, s1
	s_delay_alu instid0(VALU_DEP_2) | instskip(SKIP_1) | instid1(SALU_CYCLE_1)
	v_add3_u32 v3, v3, v5, v9
	s_lshl_b64 s[0:1], s[0:1], 3
	s_add_u32 s0, s4, s0
	s_addc_u32 s1, s5, s1
	s_delay_alu instid0(VALU_DEP_1) | instskip(SKIP_1) | instid1(VALU_DEP_2)
	v_lshlrev_b64 v[1:2], 3, v[2:3]
	v_fma_f32 v3, v12, s18, -v10
	v_add_co_u32 v1, vcc_lo, s0, v1
	s_delay_alu instid0(VALU_DEP_3) | instskip(NEXT) | instid1(VALU_DEP_2)
	v_add_co_ci_u32_e32 v2, vcc_lo, s1, v2, vcc_lo
	v_add_co_u32 v1, vcc_lo, v1, v7
	s_delay_alu instid0(VALU_DEP_2)
	v_add_co_ci_u32_e32 v2, vcc_lo, v2, v8, vcc_lo
	v_cmp_eq_u32_e32 vcc_lo, v0, v6
	global_store_b64 v[1:2], v[3:4], off
	s_and_b32 exec_lo, exec_lo, vcc_lo
	s_cbranch_execz .LBB1270_6
; %bb.5:
	v_mov_b32_e32 v0, 0
	global_store_b32 v[1:2], v0, off offset:4
.LBB1270_6:
	s_nop 0
	s_sendmsg sendmsg(MSG_DEALLOC_VGPRS)
	s_endpgm
	.section	.rodata,"a",@progbits
	.p2align	6, 0x0
	.amdhsa_kernel _ZL41rocblas_syrkx_herkx_small_restrict_kernelIl19rocblas_complex_numIfELi16ELb1ELb1ELc84ELc76EKS1_S1_EviT_T0_PT6_S3_lS6_S3_lS4_PT7_S3_li
		.amdhsa_group_segment_fixed_size 4096
		.amdhsa_private_segment_fixed_size 0
		.amdhsa_kernarg_size 108
		.amdhsa_user_sgpr_count 13
		.amdhsa_user_sgpr_dispatch_ptr 0
		.amdhsa_user_sgpr_queue_ptr 0
		.amdhsa_user_sgpr_kernarg_segment_ptr 1
		.amdhsa_user_sgpr_dispatch_id 0
		.amdhsa_user_sgpr_private_segment_size 0
		.amdhsa_wavefront_size32 1
		.amdhsa_uses_dynamic_stack 0
		.amdhsa_enable_private_segment 0
		.amdhsa_system_sgpr_workgroup_id_x 1
		.amdhsa_system_sgpr_workgroup_id_y 1
		.amdhsa_system_sgpr_workgroup_id_z 1
		.amdhsa_system_sgpr_workgroup_info 0
		.amdhsa_system_vgpr_workitem_id 1
		.amdhsa_next_free_vgpr 87
		.amdhsa_next_free_sgpr 32
		.amdhsa_reserve_vcc 1
		.amdhsa_float_round_mode_32 0
		.amdhsa_float_round_mode_16_64 0
		.amdhsa_float_denorm_mode_32 3
		.amdhsa_float_denorm_mode_16_64 3
		.amdhsa_dx10_clamp 1
		.amdhsa_ieee_mode 1
		.amdhsa_fp16_overflow 0
		.amdhsa_workgroup_processor_mode 1
		.amdhsa_memory_ordered 1
		.amdhsa_forward_progress 0
		.amdhsa_shared_vgpr_count 0
		.amdhsa_exception_fp_ieee_invalid_op 0
		.amdhsa_exception_fp_denorm_src 0
		.amdhsa_exception_fp_ieee_div_zero 0
		.amdhsa_exception_fp_ieee_overflow 0
		.amdhsa_exception_fp_ieee_underflow 0
		.amdhsa_exception_fp_ieee_inexact 0
		.amdhsa_exception_int_div_zero 0
	.end_amdhsa_kernel
	.section	.text._ZL41rocblas_syrkx_herkx_small_restrict_kernelIl19rocblas_complex_numIfELi16ELb1ELb1ELc84ELc76EKS1_S1_EviT_T0_PT6_S3_lS6_S3_lS4_PT7_S3_li,"axG",@progbits,_ZL41rocblas_syrkx_herkx_small_restrict_kernelIl19rocblas_complex_numIfELi16ELb1ELb1ELc84ELc76EKS1_S1_EviT_T0_PT6_S3_lS6_S3_lS4_PT7_S3_li,comdat
.Lfunc_end1270:
	.size	_ZL41rocblas_syrkx_herkx_small_restrict_kernelIl19rocblas_complex_numIfELi16ELb1ELb1ELc84ELc76EKS1_S1_EviT_T0_PT6_S3_lS6_S3_lS4_PT7_S3_li, .Lfunc_end1270-_ZL41rocblas_syrkx_herkx_small_restrict_kernelIl19rocblas_complex_numIfELi16ELb1ELb1ELc84ELc76EKS1_S1_EviT_T0_PT6_S3_lS6_S3_lS4_PT7_S3_li
                                        ; -- End function
	.section	.AMDGPU.csdata,"",@progbits
; Kernel info:
; codeLenInByte = 1304
; NumSgprs: 34
; NumVgprs: 87
; ScratchSize: 0
; MemoryBound: 0
; FloatMode: 240
; IeeeMode: 1
; LDSByteSize: 4096 bytes/workgroup (compile time only)
; SGPRBlocks: 4
; VGPRBlocks: 10
; NumSGPRsForWavesPerEU: 34
; NumVGPRsForWavesPerEU: 87
; Occupancy: 16
; WaveLimiterHint : 0
; COMPUTE_PGM_RSRC2:SCRATCH_EN: 0
; COMPUTE_PGM_RSRC2:USER_SGPR: 13
; COMPUTE_PGM_RSRC2:TRAP_HANDLER: 0
; COMPUTE_PGM_RSRC2:TGID_X_EN: 1
; COMPUTE_PGM_RSRC2:TGID_Y_EN: 1
; COMPUTE_PGM_RSRC2:TGID_Z_EN: 1
; COMPUTE_PGM_RSRC2:TIDIG_COMP_CNT: 1
	.section	.text._ZL41rocblas_syrkx_herkx_small_restrict_kernelIl19rocblas_complex_numIfELi16ELb1ELb1ELc67ELc76EKS1_S1_EviT_T0_PT6_S3_lS6_S3_lS4_PT7_S3_li,"axG",@progbits,_ZL41rocblas_syrkx_herkx_small_restrict_kernelIl19rocblas_complex_numIfELi16ELb1ELb1ELc67ELc76EKS1_S1_EviT_T0_PT6_S3_lS6_S3_lS4_PT7_S3_li,comdat
	.globl	_ZL41rocblas_syrkx_herkx_small_restrict_kernelIl19rocblas_complex_numIfELi16ELb1ELb1ELc67ELc76EKS1_S1_EviT_T0_PT6_S3_lS6_S3_lS4_PT7_S3_li ; -- Begin function _ZL41rocblas_syrkx_herkx_small_restrict_kernelIl19rocblas_complex_numIfELi16ELb1ELb1ELc67ELc76EKS1_S1_EviT_T0_PT6_S3_lS6_S3_lS4_PT7_S3_li
	.p2align	8
	.type	_ZL41rocblas_syrkx_herkx_small_restrict_kernelIl19rocblas_complex_numIfELi16ELb1ELb1ELc67ELc76EKS1_S1_EviT_T0_PT6_S3_lS6_S3_lS4_PT7_S3_li,@function
_ZL41rocblas_syrkx_herkx_small_restrict_kernelIl19rocblas_complex_numIfELi16ELb1ELb1ELc67ELc76EKS1_S1_EviT_T0_PT6_S3_lS6_S3_lS4_PT7_S3_li: ; @_ZL41rocblas_syrkx_herkx_small_restrict_kernelIl19rocblas_complex_numIfELi16ELb1ELb1ELc67ELc76EKS1_S1_EviT_T0_PT6_S3_lS6_S3_lS4_PT7_S3_li
; %bb.0:
	s_load_b512 s[16:31], s[0:1], 0x8
	v_dual_mov_b32 v12, 0 :: v_dual_and_b32 v3, 0x3ff, v0
	v_bfe_u32 v2, v0, 10, 10
	v_mov_b32_e32 v13, 0
	s_delay_alu instid0(VALU_DEP_3) | instskip(NEXT) | instid1(VALU_DEP_3)
	v_lshl_add_u32 v0, s13, 4, v3
	v_lshl_add_u32 v6, s14, 4, v2
	s_delay_alu instid0(VALU_DEP_2) | instskip(NEXT) | instid1(VALU_DEP_2)
	v_ashrrev_i32_e32 v1, 31, v0
	v_ashrrev_i32_e32 v7, 31, v6
	s_waitcnt lgkmcnt(0)
	v_cmp_lt_i64_e64 s2, s[16:17], 1
	s_delay_alu instid0(VALU_DEP_1)
	s_and_b32 vcc_lo, exec_lo, s2
	s_cbranch_vccnz .LBB1271_3
; %bb.1:
	v_mul_lo_u32 v15, s23, v0
	v_mul_lo_u32 v16, s22, v1
	v_mad_u64_u32 v[12:13], null, s22, v0, 0
	v_mul_lo_u32 v10, s29, v6
	v_mul_lo_u32 v11, s28, v7
	v_mad_u64_u32 v[4:5], null, s28, v6, 0
	s_mul_i32 s4, s25, s15
	s_mul_hi_u32 s5, s24, s15
	s_delay_alu instid0(VALU_DEP_4) | instskip(SKIP_3) | instid1(VALU_DEP_3)
	v_add3_u32 v13, v13, v16, v15
	s_add_i32 s5, s5, s4
	s_mul_i32 s4, s24, s15
	v_lshlrev_b32_e32 v8, 3, v3
	v_add3_u32 v5, v5, v11, v10
	v_lshlrev_b64 v[12:13], 3, v[12:13]
	s_mul_i32 s2, s31, s15
	s_mul_hi_u32 s3, s30, s15
	s_lshl_b64 s[4:5], s[4:5], 3
	v_lshlrev_b64 v[3:4], 3, v[4:5]
	s_add_i32 s3, s3, s2
	s_mul_i32 s2, s30, s15
	v_add_co_u32 v5, vcc_lo, v12, s4
	v_lshlrev_b32_e32 v14, 7, v2
	s_lshl_b64 s[2:3], s[2:3], 3
	v_lshlrev_b32_e32 v2, 3, v2
	v_add_co_ci_u32_e32 v12, vcc_lo, s5, v13, vcc_lo
	v_mov_b32_e32 v13, 0
	v_add_co_u32 v3, vcc_lo, v3, s2
	v_add_co_ci_u32_e32 v4, vcc_lo, s3, v4, vcc_lo
	v_add_co_u32 v2, vcc_lo, v5, v2
	v_add_co_ci_u32_e32 v5, vcc_lo, 0, v12, vcc_lo
	s_delay_alu instid0(VALU_DEP_4) | instskip(NEXT) | instid1(VALU_DEP_4)
	v_add_co_u32 v3, vcc_lo, v3, v8
	v_add_co_ci_u32_e32 v4, vcc_lo, 0, v4, vcc_lo
	s_delay_alu instid0(VALU_DEP_4) | instskip(NEXT) | instid1(VALU_DEP_4)
	v_add_co_u32 v12, vcc_lo, v2, s20
	v_add_co_ci_u32_e32 v5, vcc_lo, s21, v5, vcc_lo
	v_add_nc_u32_e32 v9, 0x800, v14
	v_add_co_u32 v2, vcc_lo, s26, v3
	v_add_co_ci_u32_e32 v3, vcc_lo, s27, v4, vcc_lo
	v_add_co_u32 v4, vcc_lo, v12, 4
	v_mov_b32_e32 v12, 0
	v_add_nc_u32_e32 v10, v8, v14
	v_add_nc_u32_e32 v11, v9, v8
	v_add_co_ci_u32_e32 v5, vcc_lo, 0, v5, vcc_lo
	s_mov_b64 s[2:3], 0
.LBB1271_2:                             ; =>This Inner Loop Header: Depth=1
	global_load_b64 v[14:15], v[4:5], off offset:-4
	global_load_b64 v[16:17], v[2:3], off
	s_add_u32 s2, s2, 16
	v_add_co_u32 v2, vcc_lo, 0x80, v2
	s_addc_u32 s3, s3, 0
	v_add_co_ci_u32_e32 v3, vcc_lo, 0, v3, vcc_lo
	v_cmp_lt_i64_e64 s4, s[2:3], s[16:17]
	v_add_co_u32 v4, vcc_lo, 0x80, v4
	v_add_co_ci_u32_e32 v5, vcc_lo, 0, v5, vcc_lo
	s_delay_alu instid0(VALU_DEP_3)
	s_and_b32 vcc_lo, exec_lo, s4
	s_waitcnt vmcnt(1)
	v_xor_b32_e32 v15, 0x80000000, v15
	ds_store_b64 v10, v[14:15]
	s_waitcnt vmcnt(0)
	ds_store_b64 v11, v[16:17]
	s_waitcnt lgkmcnt(0)
	s_barrier
	buffer_gl0_inv
	ds_load_2addr_b64 v[14:17], v8 offset1:16
	ds_load_b128 v[18:21], v9
	ds_load_b128 v[22:25], v9 offset:16
	ds_load_2addr_b64 v[26:29], v8 offset0:32 offset1:48
	ds_load_2addr_b64 v[30:33], v8 offset0:64 offset1:80
	ds_load_b128 v[34:37], v9 offset:32
	ds_load_b128 v[38:41], v9 offset:48
	ds_load_2addr_b64 v[42:45], v8 offset0:96 offset1:112
	ds_load_2addr_b64 v[46:49], v8 offset0:128 offset1:144
	;; [unrolled: 1-line block ×3, first 2 shown]
	ds_load_b128 v[54:57], v9 offset:64
	ds_load_b128 v[58:61], v9 offset:80
	ds_load_2addr_b64 v[62:65], v8 offset0:192 offset1:208
	ds_load_2addr_b64 v[66:69], v8 offset0:224 offset1:240
	ds_load_b128 v[70:73], v9 offset:96
	ds_load_b128 v[74:77], v9 offset:112
	s_waitcnt lgkmcnt(0)
	s_barrier
	buffer_gl0_inv
	v_dual_mul_f32 v78, v19, v15 :: v_dual_mul_f32 v79, v21, v17
	v_mul_f32_e32 v15, v18, v15
	v_dual_mul_f32 v17, v20, v17 :: v_dual_mul_f32 v80, v23, v27
	v_mul_f32_e32 v27, v22, v27
	v_dual_mul_f32 v81, v25, v29 :: v_dual_mul_f32 v82, v35, v31
	v_fma_f32 v18, v18, v14, -v78
	v_mul_f32_e32 v31, v34, v31
	s_delay_alu instid0(VALU_DEP_4) | instskip(NEXT) | instid1(VALU_DEP_4)
	v_fmac_f32_e32 v27, v23, v26
	v_fma_f32 v23, v24, v28, -v81
	v_fmac_f32_e32 v15, v19, v14
	v_fma_f32 v14, v20, v16, -v79
	v_add_f32_e32 v12, v12, v18
	v_dual_mul_f32 v29, v24, v29 :: v_dual_mul_f32 v84, v39, v43
	v_mul_f32_e32 v43, v38, v43
	v_fma_f32 v22, v22, v26, -v80
	s_delay_alu instid0(VALU_DEP_4) | instskip(SKIP_2) | instid1(VALU_DEP_3)
	v_dual_add_f32 v12, v12, v14 :: v_dual_fmac_f32 v17, v21, v16
	v_dual_mul_f32 v83, v37, v33 :: v_dual_mul_f32 v86, v55, v47
	v_dual_mul_f32 v85, v41, v45 :: v_dual_mul_f32 v18, v74, v67
	v_add_f32_e32 v12, v12, v22
	v_fma_f32 v22, v34, v30, -v82
	v_mul_f32_e32 v16, v57, v49
	v_mul_f32_e32 v19, v56, v49
	v_dual_mul_f32 v33, v36, v33 :: v_dual_mul_f32 v20, v59, v51
	v_add_f32_e32 v12, v12, v23
	v_mul_f32_e32 v21, v58, v51
	v_fma_f32 v23, v36, v32, -v83
	v_mul_f32_e32 v51, v60, v53
	v_fma_f32 v16, v56, v48, -v16
	v_dual_add_f32 v12, v12, v22 :: v_dual_mul_f32 v49, v61, v53
	v_fma_f32 v22, v38, v42, -v84
	v_fma_f32 v20, v58, v50, -v20
	v_mul_f32_e32 v24, v73, v65
	s_delay_alu instid0(VALU_DEP_4) | instskip(SKIP_3) | instid1(VALU_DEP_4)
	v_add_f32_e32 v12, v12, v23
	v_mul_f32_e32 v53, v71, v63
	v_fma_f32 v23, v40, v44, -v85
	v_dual_mul_f32 v47, v54, v47 :: v_dual_mul_f32 v14, v77, v69
	v_add_f32_e32 v12, v12, v22
	v_fma_f32 v22, v54, v46, -v86
	v_fmac_f32_e32 v33, v37, v32
	v_dual_mul_f32 v45, v40, v45 :: v_dual_fmac_f32 v18, v75, v66
	s_delay_alu instid0(VALU_DEP_4) | instskip(SKIP_3) | instid1(VALU_DEP_4)
	v_add_f32_e32 v12, v12, v23
	v_mul_f32_e32 v63, v70, v63
	v_fma_f32 v14, v76, v68, -v14
	v_fmac_f32_e32 v43, v39, v42
	v_dual_fmac_f32 v45, v41, v44 :: v_dual_add_f32 v12, v12, v22
	v_add_f32_e32 v13, v13, v15
	v_fmac_f32_e32 v47, v55, v46
	v_fmac_f32_e32 v19, v57, v48
	s_delay_alu instid0(VALU_DEP_4) | instskip(SKIP_3) | instid1(VALU_DEP_4)
	v_dual_fmac_f32 v21, v59, v50 :: v_dual_add_f32 v12, v12, v16
	v_mul_f32_e32 v15, v75, v67
	v_fma_f32 v16, v60, v52, -v49
	v_fmac_f32_e32 v51, v61, v52
	v_dual_fmac_f32 v63, v71, v62 :: v_dual_add_f32 v12, v12, v20
	v_add_f32_e32 v13, v13, v17
	v_fma_f32 v15, v74, v66, -v15
	v_fmac_f32_e32 v31, v35, v30
	v_mul_f32_e32 v17, v76, v69
	v_add_f32_e32 v12, v12, v16
	v_fmac_f32_e32 v29, v25, v28
	v_fma_f32 v16, v72, v64, -v24
	v_add_f32_e32 v13, v13, v27
	v_mul_f32_e32 v25, v72, v65
	v_fmac_f32_e32 v17, v77, v68
	s_delay_alu instid0(VALU_DEP_3) | instskip(NEXT) | instid1(VALU_DEP_3)
	v_add_f32_e32 v13, v13, v29
	v_fmac_f32_e32 v25, v73, v64
	s_delay_alu instid0(VALU_DEP_2) | instskip(NEXT) | instid1(VALU_DEP_1)
	v_add_f32_e32 v13, v13, v31
	v_add_f32_e32 v13, v13, v33
	s_delay_alu instid0(VALU_DEP_1) | instskip(NEXT) | instid1(VALU_DEP_1)
	v_add_f32_e32 v13, v13, v43
	v_add_f32_e32 v13, v13, v45
	s_delay_alu instid0(VALU_DEP_1) | instskip(NEXT) | instid1(VALU_DEP_1)
	v_add_f32_e32 v13, v13, v47
	v_add_f32_e32 v13, v13, v19
	v_fma_f32 v19, v70, v62, -v53
	s_delay_alu instid0(VALU_DEP_1) | instskip(NEXT) | instid1(VALU_DEP_1)
	v_dual_add_f32 v13, v13, v21 :: v_dual_add_f32 v12, v12, v19
	v_dual_add_f32 v13, v13, v51 :: v_dual_add_f32 v12, v12, v16
	s_delay_alu instid0(VALU_DEP_1) | instskip(NEXT) | instid1(VALU_DEP_1)
	v_add_f32_e32 v13, v13, v63
	v_dual_add_f32 v12, v12, v15 :: v_dual_add_f32 v13, v13, v25
	s_delay_alu instid0(VALU_DEP_1) | instskip(NEXT) | instid1(VALU_DEP_2)
	v_add_f32_e32 v12, v12, v14
	v_add_f32_e32 v13, v13, v18
	s_delay_alu instid0(VALU_DEP_1)
	v_add_f32_e32 v13, v13, v17
	s_cbranch_vccnz .LBB1271_2
.LBB1271_3:
	s_mov_b32 s2, exec_lo
	v_cmpx_le_i32_e64 v6, v0
	s_cbranch_execz .LBB1271_6
; %bb.4:
	s_clause 0x1
	s_load_b128 s[4:7], s[0:1], 0x50
	s_load_b64 s[0:1], s[0:1], 0x60
	v_mul_f32_e32 v10, s19, v13
	v_mul_f32_e32 v4, s18, v13
	s_delay_alu instid0(VALU_DEP_1)
	v_fmac_f32_e32 v4, s19, v12
	s_waitcnt lgkmcnt(0)
	v_mul_lo_u32 v5, v6, s7
	v_mul_lo_u32 v9, v7, s6
	v_mad_u64_u32 v[2:3], null, v6, s6, 0
	s_mul_i32 s1, s15, s1
	s_mul_hi_u32 s2, s15, s0
	v_lshlrev_b64 v[7:8], 3, v[0:1]
	s_mul_i32 s0, s15, s0
	s_add_i32 s1, s2, s1
	s_delay_alu instid0(VALU_DEP_2) | instskip(SKIP_1) | instid1(SALU_CYCLE_1)
	v_add3_u32 v3, v3, v5, v9
	s_lshl_b64 s[0:1], s[0:1], 3
	s_add_u32 s0, s4, s0
	s_addc_u32 s1, s5, s1
	s_delay_alu instid0(VALU_DEP_1) | instskip(SKIP_1) | instid1(VALU_DEP_2)
	v_lshlrev_b64 v[1:2], 3, v[2:3]
	v_fma_f32 v3, v12, s18, -v10
	v_add_co_u32 v1, vcc_lo, s0, v1
	s_delay_alu instid0(VALU_DEP_3) | instskip(NEXT) | instid1(VALU_DEP_2)
	v_add_co_ci_u32_e32 v2, vcc_lo, s1, v2, vcc_lo
	v_add_co_u32 v1, vcc_lo, v1, v7
	s_delay_alu instid0(VALU_DEP_2)
	v_add_co_ci_u32_e32 v2, vcc_lo, v2, v8, vcc_lo
	v_cmp_eq_u32_e32 vcc_lo, v0, v6
	global_store_b64 v[1:2], v[3:4], off
	s_and_b32 exec_lo, exec_lo, vcc_lo
	s_cbranch_execz .LBB1271_6
; %bb.5:
	v_mov_b32_e32 v0, 0
	global_store_b32 v[1:2], v0, off offset:4
.LBB1271_6:
	s_nop 0
	s_sendmsg sendmsg(MSG_DEALLOC_VGPRS)
	s_endpgm
	.section	.rodata,"a",@progbits
	.p2align	6, 0x0
	.amdhsa_kernel _ZL41rocblas_syrkx_herkx_small_restrict_kernelIl19rocblas_complex_numIfELi16ELb1ELb1ELc67ELc76EKS1_S1_EviT_T0_PT6_S3_lS6_S3_lS4_PT7_S3_li
		.amdhsa_group_segment_fixed_size 4096
		.amdhsa_private_segment_fixed_size 0
		.amdhsa_kernarg_size 108
		.amdhsa_user_sgpr_count 13
		.amdhsa_user_sgpr_dispatch_ptr 0
		.amdhsa_user_sgpr_queue_ptr 0
		.amdhsa_user_sgpr_kernarg_segment_ptr 1
		.amdhsa_user_sgpr_dispatch_id 0
		.amdhsa_user_sgpr_private_segment_size 0
		.amdhsa_wavefront_size32 1
		.amdhsa_uses_dynamic_stack 0
		.amdhsa_enable_private_segment 0
		.amdhsa_system_sgpr_workgroup_id_x 1
		.amdhsa_system_sgpr_workgroup_id_y 1
		.amdhsa_system_sgpr_workgroup_id_z 1
		.amdhsa_system_sgpr_workgroup_info 0
		.amdhsa_system_vgpr_workitem_id 1
		.amdhsa_next_free_vgpr 87
		.amdhsa_next_free_sgpr 32
		.amdhsa_reserve_vcc 1
		.amdhsa_float_round_mode_32 0
		.amdhsa_float_round_mode_16_64 0
		.amdhsa_float_denorm_mode_32 3
		.amdhsa_float_denorm_mode_16_64 3
		.amdhsa_dx10_clamp 1
		.amdhsa_ieee_mode 1
		.amdhsa_fp16_overflow 0
		.amdhsa_workgroup_processor_mode 1
		.amdhsa_memory_ordered 1
		.amdhsa_forward_progress 0
		.amdhsa_shared_vgpr_count 0
		.amdhsa_exception_fp_ieee_invalid_op 0
		.amdhsa_exception_fp_denorm_src 0
		.amdhsa_exception_fp_ieee_div_zero 0
		.amdhsa_exception_fp_ieee_overflow 0
		.amdhsa_exception_fp_ieee_underflow 0
		.amdhsa_exception_fp_ieee_inexact 0
		.amdhsa_exception_int_div_zero 0
	.end_amdhsa_kernel
	.section	.text._ZL41rocblas_syrkx_herkx_small_restrict_kernelIl19rocblas_complex_numIfELi16ELb1ELb1ELc67ELc76EKS1_S1_EviT_T0_PT6_S3_lS6_S3_lS4_PT7_S3_li,"axG",@progbits,_ZL41rocblas_syrkx_herkx_small_restrict_kernelIl19rocblas_complex_numIfELi16ELb1ELb1ELc67ELc76EKS1_S1_EviT_T0_PT6_S3_lS6_S3_lS4_PT7_S3_li,comdat
.Lfunc_end1271:
	.size	_ZL41rocblas_syrkx_herkx_small_restrict_kernelIl19rocblas_complex_numIfELi16ELb1ELb1ELc67ELc76EKS1_S1_EviT_T0_PT6_S3_lS6_S3_lS4_PT7_S3_li, .Lfunc_end1271-_ZL41rocblas_syrkx_herkx_small_restrict_kernelIl19rocblas_complex_numIfELi16ELb1ELb1ELc67ELc76EKS1_S1_EviT_T0_PT6_S3_lS6_S3_lS4_PT7_S3_li
                                        ; -- End function
	.section	.AMDGPU.csdata,"",@progbits
; Kernel info:
; codeLenInByte = 1336
; NumSgprs: 34
; NumVgprs: 87
; ScratchSize: 0
; MemoryBound: 0
; FloatMode: 240
; IeeeMode: 1
; LDSByteSize: 4096 bytes/workgroup (compile time only)
; SGPRBlocks: 4
; VGPRBlocks: 10
; NumSGPRsForWavesPerEU: 34
; NumVGPRsForWavesPerEU: 87
; Occupancy: 16
; WaveLimiterHint : 0
; COMPUTE_PGM_RSRC2:SCRATCH_EN: 0
; COMPUTE_PGM_RSRC2:USER_SGPR: 13
; COMPUTE_PGM_RSRC2:TRAP_HANDLER: 0
; COMPUTE_PGM_RSRC2:TGID_X_EN: 1
; COMPUTE_PGM_RSRC2:TGID_Y_EN: 1
; COMPUTE_PGM_RSRC2:TGID_Z_EN: 1
; COMPUTE_PGM_RSRC2:TIDIG_COMP_CNT: 1
	.section	.text._ZL41rocblas_syrkx_herkx_small_restrict_kernelIl19rocblas_complex_numIfELi16ELb1ELb1ELc78ELc76EKS1_S1_EviT_T0_PT6_S3_lS6_S3_lS4_PT7_S3_li,"axG",@progbits,_ZL41rocblas_syrkx_herkx_small_restrict_kernelIl19rocblas_complex_numIfELi16ELb1ELb1ELc78ELc76EKS1_S1_EviT_T0_PT6_S3_lS6_S3_lS4_PT7_S3_li,comdat
	.globl	_ZL41rocblas_syrkx_herkx_small_restrict_kernelIl19rocblas_complex_numIfELi16ELb1ELb1ELc78ELc76EKS1_S1_EviT_T0_PT6_S3_lS6_S3_lS4_PT7_S3_li ; -- Begin function _ZL41rocblas_syrkx_herkx_small_restrict_kernelIl19rocblas_complex_numIfELi16ELb1ELb1ELc78ELc76EKS1_S1_EviT_T0_PT6_S3_lS6_S3_lS4_PT7_S3_li
	.p2align	8
	.type	_ZL41rocblas_syrkx_herkx_small_restrict_kernelIl19rocblas_complex_numIfELi16ELb1ELb1ELc78ELc76EKS1_S1_EviT_T0_PT6_S3_lS6_S3_lS4_PT7_S3_li,@function
_ZL41rocblas_syrkx_herkx_small_restrict_kernelIl19rocblas_complex_numIfELi16ELb1ELb1ELc78ELc76EKS1_S1_EviT_T0_PT6_S3_lS6_S3_lS4_PT7_S3_li: ; @_ZL41rocblas_syrkx_herkx_small_restrict_kernelIl19rocblas_complex_numIfELi16ELb1ELb1ELc78ELc76EKS1_S1_EviT_T0_PT6_S3_lS6_S3_lS4_PT7_S3_li
; %bb.0:
	s_load_b512 s[16:31], s[0:1], 0x8
	v_dual_mov_b32 v12, 0 :: v_dual_and_b32 v5, 0x3ff, v0
	v_bfe_u32 v4, v0, 10, 10
	v_mov_b32_e32 v13, 0
	s_delay_alu instid0(VALU_DEP_3) | instskip(NEXT) | instid1(VALU_DEP_3)
	v_lshl_add_u32 v0, s13, 4, v5
	v_lshl_add_u32 v2, s14, 4, v4
	s_delay_alu instid0(VALU_DEP_2) | instskip(NEXT) | instid1(VALU_DEP_2)
	v_ashrrev_i32_e32 v1, 31, v0
	v_ashrrev_i32_e32 v3, 31, v2
	s_waitcnt lgkmcnt(0)
	v_cmp_lt_i64_e64 s2, s[16:17], 1
	s_delay_alu instid0(VALU_DEP_1)
	s_and_b32 vcc_lo, exec_lo, s2
	s_cbranch_vccnz .LBB1272_3
; %bb.1:
	v_mad_u64_u32 v[6:7], null, s28, v5, 0
	v_mad_u64_u32 v[12:13], null, s22, v4, 0
	v_lshlrev_b32_e32 v8, 3, v5
	v_lshlrev_b32_e32 v11, 7, v4
	s_mul_i32 s3, s31, s15
	s_mul_hi_u32 s5, s30, s15
	s_mul_i32 s2, s30, s15
	s_delay_alu instid0(VALU_DEP_4) | instskip(NEXT) | instid1(VALU_DEP_4)
	v_mad_u64_u32 v[9:10], null, s29, v5, v[7:8]
	v_mov_b32_e32 v5, v13
	s_add_i32 s3, s5, s3
	v_lshlrev_b64 v[14:15], 3, v[2:3]
	s_lshl_b64 s[2:3], s[2:3], 3
	s_mul_i32 s6, s25, s15
	v_mad_u64_u32 v[16:17], null, s23, v4, v[5:6]
	s_delay_alu instid0(VALU_DEP_4)
	v_mov_b32_e32 v7, v9
	s_mul_hi_u32 s7, s24, s15
	s_mul_i32 s4, s24, s15
	s_add_i32 s5, s7, s6
	s_mov_b64 s[6:7], 0
	v_lshlrev_b64 v[4:5], 3, v[6:7]
	s_delay_alu instid0(VALU_DEP_3) | instskip(SKIP_1) | instid1(VALU_DEP_2)
	v_mov_b32_e32 v13, v16
	s_lshl_b64 s[4:5], s[4:5], 3
	v_add_co_u32 v6, vcc_lo, s2, v4
	s_delay_alu instid0(VALU_DEP_3) | instskip(NEXT) | instid1(VALU_DEP_3)
	v_add_co_ci_u32_e32 v7, vcc_lo, s3, v5, vcc_lo
	v_lshlrev_b64 v[4:5], 3, v[12:13]
	s_delay_alu instid0(VALU_DEP_3) | instskip(NEXT) | instid1(VALU_DEP_3)
	v_add_co_u32 v6, vcc_lo, v6, v14
	v_add_co_ci_u32_e32 v7, vcc_lo, v7, v15, vcc_lo
	s_lshl_b64 s[2:3], s[28:29], 7
	s_delay_alu instid0(VALU_DEP_3) | instskip(NEXT) | instid1(VALU_DEP_4)
	v_add_co_u32 v12, vcc_lo, s4, v4
	v_add_co_ci_u32_e32 v13, vcc_lo, s5, v5, vcc_lo
	v_lshlrev_b64 v[4:5], 3, v[0:1]
	v_add_co_u32 v6, vcc_lo, v6, s26
	v_add_co_ci_u32_e32 v7, vcc_lo, s27, v7, vcc_lo
	s_lshl_b64 s[4:5], s[22:23], 7
	s_delay_alu instid0(VALU_DEP_3) | instskip(NEXT) | instid1(VALU_DEP_4)
	v_add_co_u32 v12, vcc_lo, v12, v4
	v_add_co_ci_u32_e32 v13, vcc_lo, v13, v5, vcc_lo
	v_add_co_u32 v4, vcc_lo, v6, 4
	v_add_co_ci_u32_e32 v5, vcc_lo, 0, v7, vcc_lo
	s_delay_alu instid0(VALU_DEP_4)
	v_add_co_u32 v6, vcc_lo, s20, v12
	v_mov_b32_e32 v12, 0
	v_add_nc_u32_e32 v10, v8, v11
	v_add_nc_u32_e32 v9, 0x800, v11
	v_add_co_ci_u32_e32 v7, vcc_lo, s21, v13, vcc_lo
	v_mov_b32_e32 v13, 0
	s_delay_alu instid0(VALU_DEP_3)
	v_add_nc_u32_e32 v11, v9, v8
.LBB1272_2:                             ; =>This Inner Loop Header: Depth=1
	global_load_b64 v[14:15], v[4:5], off offset:-4
	global_load_b64 v[16:17], v[6:7], off
	s_add_u32 s6, s6, 16
	v_add_co_u32 v4, vcc_lo, v4, s2
	s_addc_u32 s7, s7, 0
	v_add_co_ci_u32_e32 v5, vcc_lo, s3, v5, vcc_lo
	v_cmp_lt_i64_e64 s8, s[6:7], s[16:17]
	v_add_co_u32 v6, vcc_lo, v6, s4
	v_add_co_ci_u32_e32 v7, vcc_lo, s5, v7, vcc_lo
	s_delay_alu instid0(VALU_DEP_3)
	s_and_b32 vcc_lo, exec_lo, s8
	s_waitcnt vmcnt(1)
	v_xor_b32_e32 v15, 0x80000000, v15
	s_waitcnt vmcnt(0)
	ds_store_b64 v10, v[16:17]
	ds_store_b64 v11, v[14:15]
	s_waitcnt lgkmcnt(0)
	s_barrier
	buffer_gl0_inv
	ds_load_2addr_b64 v[14:17], v8 offset1:16
	ds_load_b128 v[18:21], v9
	ds_load_b128 v[22:25], v9 offset:16
	ds_load_2addr_b64 v[26:29], v8 offset0:32 offset1:48
	ds_load_2addr_b64 v[30:33], v8 offset0:64 offset1:80
	ds_load_b128 v[34:37], v9 offset:32
	ds_load_b128 v[38:41], v9 offset:48
	ds_load_2addr_b64 v[42:45], v8 offset0:96 offset1:112
	ds_load_2addr_b64 v[46:49], v8 offset0:128 offset1:144
	;; [unrolled: 1-line block ×3, first 2 shown]
	ds_load_b128 v[54:57], v9 offset:64
	ds_load_b128 v[58:61], v9 offset:80
	ds_load_2addr_b64 v[62:65], v8 offset0:192 offset1:208
	ds_load_2addr_b64 v[66:69], v8 offset0:224 offset1:240
	ds_load_b128 v[70:73], v9 offset:96
	ds_load_b128 v[74:77], v9 offset:112
	s_waitcnt lgkmcnt(0)
	s_barrier
	buffer_gl0_inv
	v_dual_mul_f32 v78, v19, v15 :: v_dual_mul_f32 v79, v21, v17
	v_mul_f32_e32 v15, v18, v15
	v_dual_mul_f32 v17, v20, v17 :: v_dual_mul_f32 v80, v23, v27
	v_mul_f32_e32 v27, v22, v27
	v_dual_mul_f32 v81, v25, v29 :: v_dual_mul_f32 v82, v35, v31
	v_fma_f32 v18, v18, v14, -v78
	v_mul_f32_e32 v31, v34, v31
	s_delay_alu instid0(VALU_DEP_4) | instskip(NEXT) | instid1(VALU_DEP_4)
	v_fmac_f32_e32 v27, v23, v26
	v_fma_f32 v23, v24, v28, -v81
	v_fmac_f32_e32 v15, v19, v14
	v_fma_f32 v14, v20, v16, -v79
	v_add_f32_e32 v12, v12, v18
	v_dual_mul_f32 v29, v24, v29 :: v_dual_mul_f32 v84, v39, v43
	v_mul_f32_e32 v43, v38, v43
	v_fma_f32 v22, v22, v26, -v80
	s_delay_alu instid0(VALU_DEP_4) | instskip(SKIP_2) | instid1(VALU_DEP_3)
	v_dual_add_f32 v12, v12, v14 :: v_dual_fmac_f32 v17, v21, v16
	v_dual_mul_f32 v83, v37, v33 :: v_dual_mul_f32 v86, v55, v47
	v_dual_mul_f32 v85, v41, v45 :: v_dual_mul_f32 v18, v74, v67
	v_add_f32_e32 v12, v12, v22
	v_fma_f32 v22, v34, v30, -v82
	v_mul_f32_e32 v16, v57, v49
	v_mul_f32_e32 v19, v56, v49
	v_dual_mul_f32 v33, v36, v33 :: v_dual_mul_f32 v20, v59, v51
	v_add_f32_e32 v12, v12, v23
	v_mul_f32_e32 v21, v58, v51
	v_fma_f32 v23, v36, v32, -v83
	v_mul_f32_e32 v51, v60, v53
	v_fma_f32 v16, v56, v48, -v16
	v_dual_add_f32 v12, v12, v22 :: v_dual_mul_f32 v49, v61, v53
	v_fma_f32 v22, v38, v42, -v84
	v_fma_f32 v20, v58, v50, -v20
	v_mul_f32_e32 v24, v73, v65
	s_delay_alu instid0(VALU_DEP_4) | instskip(SKIP_3) | instid1(VALU_DEP_4)
	v_add_f32_e32 v12, v12, v23
	v_mul_f32_e32 v53, v71, v63
	v_fma_f32 v23, v40, v44, -v85
	v_dual_mul_f32 v47, v54, v47 :: v_dual_mul_f32 v14, v77, v69
	v_add_f32_e32 v12, v12, v22
	v_fma_f32 v22, v54, v46, -v86
	v_fmac_f32_e32 v33, v37, v32
	v_dual_mul_f32 v45, v40, v45 :: v_dual_fmac_f32 v18, v75, v66
	s_delay_alu instid0(VALU_DEP_4) | instskip(SKIP_3) | instid1(VALU_DEP_4)
	v_add_f32_e32 v12, v12, v23
	v_mul_f32_e32 v63, v70, v63
	v_fma_f32 v14, v76, v68, -v14
	v_fmac_f32_e32 v43, v39, v42
	v_dual_fmac_f32 v45, v41, v44 :: v_dual_add_f32 v12, v12, v22
	v_add_f32_e32 v13, v13, v15
	v_fmac_f32_e32 v47, v55, v46
	v_fmac_f32_e32 v19, v57, v48
	s_delay_alu instid0(VALU_DEP_4) | instskip(SKIP_3) | instid1(VALU_DEP_4)
	v_dual_fmac_f32 v21, v59, v50 :: v_dual_add_f32 v12, v12, v16
	v_mul_f32_e32 v15, v75, v67
	v_fma_f32 v16, v60, v52, -v49
	v_fmac_f32_e32 v51, v61, v52
	v_dual_fmac_f32 v63, v71, v62 :: v_dual_add_f32 v12, v12, v20
	v_add_f32_e32 v13, v13, v17
	v_fma_f32 v15, v74, v66, -v15
	v_fmac_f32_e32 v31, v35, v30
	v_mul_f32_e32 v17, v76, v69
	v_add_f32_e32 v12, v12, v16
	v_fmac_f32_e32 v29, v25, v28
	v_fma_f32 v16, v72, v64, -v24
	v_add_f32_e32 v13, v13, v27
	v_mul_f32_e32 v25, v72, v65
	v_fmac_f32_e32 v17, v77, v68
	s_delay_alu instid0(VALU_DEP_3) | instskip(NEXT) | instid1(VALU_DEP_3)
	v_add_f32_e32 v13, v13, v29
	v_fmac_f32_e32 v25, v73, v64
	s_delay_alu instid0(VALU_DEP_2) | instskip(NEXT) | instid1(VALU_DEP_1)
	v_add_f32_e32 v13, v13, v31
	v_add_f32_e32 v13, v13, v33
	s_delay_alu instid0(VALU_DEP_1) | instskip(NEXT) | instid1(VALU_DEP_1)
	v_add_f32_e32 v13, v13, v43
	v_add_f32_e32 v13, v13, v45
	s_delay_alu instid0(VALU_DEP_1) | instskip(NEXT) | instid1(VALU_DEP_1)
	v_add_f32_e32 v13, v13, v47
	v_add_f32_e32 v13, v13, v19
	v_fma_f32 v19, v70, v62, -v53
	s_delay_alu instid0(VALU_DEP_1) | instskip(NEXT) | instid1(VALU_DEP_1)
	v_dual_add_f32 v13, v13, v21 :: v_dual_add_f32 v12, v12, v19
	v_dual_add_f32 v13, v13, v51 :: v_dual_add_f32 v12, v12, v16
	s_delay_alu instid0(VALU_DEP_1) | instskip(NEXT) | instid1(VALU_DEP_1)
	v_add_f32_e32 v13, v13, v63
	v_dual_add_f32 v12, v12, v15 :: v_dual_add_f32 v13, v13, v25
	s_delay_alu instid0(VALU_DEP_1) | instskip(NEXT) | instid1(VALU_DEP_2)
	v_add_f32_e32 v12, v12, v14
	v_add_f32_e32 v13, v13, v18
	s_delay_alu instid0(VALU_DEP_1)
	v_add_f32_e32 v13, v13, v17
	s_cbranch_vccnz .LBB1272_2
.LBB1272_3:
	s_mov_b32 s2, exec_lo
	v_cmpx_le_i32_e64 v2, v0
	s_cbranch_execz .LBB1272_6
; %bb.4:
	s_clause 0x1
	s_load_b128 s[4:7], s[0:1], 0x50
	s_load_b64 s[0:1], s[0:1], 0x60
	v_lshlrev_b64 v[7:8], 3, v[0:1]
	v_mul_f32_e32 v10, s19, v13
	v_mul_f32_e32 v6, s18, v13
	s_delay_alu instid0(VALU_DEP_1)
	v_fmac_f32_e32 v6, s19, v12
	s_waitcnt lgkmcnt(0)
	v_mul_lo_u32 v5, v2, s7
	v_mul_lo_u32 v9, v3, s6
	v_mad_u64_u32 v[3:4], null, v2, s6, 0
	s_mul_i32 s1, s15, s1
	s_mul_hi_u32 s2, s15, s0
	s_mul_i32 s0, s15, s0
	s_add_i32 s1, s2, s1
	s_delay_alu instid0(SALU_CYCLE_1) | instskip(NEXT) | instid1(VALU_DEP_1)
	s_lshl_b64 s[0:1], s[0:1], 3
	v_add3_u32 v4, v4, v5, v9
	s_add_u32 s0, s4, s0
	s_addc_u32 s1, s5, s1
	v_fma_f32 v5, v12, s18, -v10
	s_delay_alu instid0(VALU_DEP_2) | instskip(NEXT) | instid1(VALU_DEP_1)
	v_lshlrev_b64 v[3:4], 3, v[3:4]
	v_add_co_u32 v1, vcc_lo, s0, v3
	s_delay_alu instid0(VALU_DEP_2) | instskip(NEXT) | instid1(VALU_DEP_2)
	v_add_co_ci_u32_e32 v4, vcc_lo, s1, v4, vcc_lo
	v_add_co_u32 v3, vcc_lo, v1, v7
	s_delay_alu instid0(VALU_DEP_2)
	v_add_co_ci_u32_e32 v4, vcc_lo, v4, v8, vcc_lo
	v_cmp_eq_u32_e32 vcc_lo, v0, v2
	global_store_b64 v[3:4], v[5:6], off
	s_and_b32 exec_lo, exec_lo, vcc_lo
	s_cbranch_execz .LBB1272_6
; %bb.5:
	v_mov_b32_e32 v0, 0
	global_store_b32 v[3:4], v0, off offset:4
.LBB1272_6:
	s_nop 0
	s_sendmsg sendmsg(MSG_DEALLOC_VGPRS)
	s_endpgm
	.section	.rodata,"a",@progbits
	.p2align	6, 0x0
	.amdhsa_kernel _ZL41rocblas_syrkx_herkx_small_restrict_kernelIl19rocblas_complex_numIfELi16ELb1ELb1ELc78ELc76EKS1_S1_EviT_T0_PT6_S3_lS6_S3_lS4_PT7_S3_li
		.amdhsa_group_segment_fixed_size 4096
		.amdhsa_private_segment_fixed_size 0
		.amdhsa_kernarg_size 108
		.amdhsa_user_sgpr_count 13
		.amdhsa_user_sgpr_dispatch_ptr 0
		.amdhsa_user_sgpr_queue_ptr 0
		.amdhsa_user_sgpr_kernarg_segment_ptr 1
		.amdhsa_user_sgpr_dispatch_id 0
		.amdhsa_user_sgpr_private_segment_size 0
		.amdhsa_wavefront_size32 1
		.amdhsa_uses_dynamic_stack 0
		.amdhsa_enable_private_segment 0
		.amdhsa_system_sgpr_workgroup_id_x 1
		.amdhsa_system_sgpr_workgroup_id_y 1
		.amdhsa_system_sgpr_workgroup_id_z 1
		.amdhsa_system_sgpr_workgroup_info 0
		.amdhsa_system_vgpr_workitem_id 1
		.amdhsa_next_free_vgpr 87
		.amdhsa_next_free_sgpr 32
		.amdhsa_reserve_vcc 1
		.amdhsa_float_round_mode_32 0
		.amdhsa_float_round_mode_16_64 0
		.amdhsa_float_denorm_mode_32 3
		.amdhsa_float_denorm_mode_16_64 3
		.amdhsa_dx10_clamp 1
		.amdhsa_ieee_mode 1
		.amdhsa_fp16_overflow 0
		.amdhsa_workgroup_processor_mode 1
		.amdhsa_memory_ordered 1
		.amdhsa_forward_progress 0
		.amdhsa_shared_vgpr_count 0
		.amdhsa_exception_fp_ieee_invalid_op 0
		.amdhsa_exception_fp_denorm_src 0
		.amdhsa_exception_fp_ieee_div_zero 0
		.amdhsa_exception_fp_ieee_overflow 0
		.amdhsa_exception_fp_ieee_underflow 0
		.amdhsa_exception_fp_ieee_inexact 0
		.amdhsa_exception_int_div_zero 0
	.end_amdhsa_kernel
	.section	.text._ZL41rocblas_syrkx_herkx_small_restrict_kernelIl19rocblas_complex_numIfELi16ELb1ELb1ELc78ELc76EKS1_S1_EviT_T0_PT6_S3_lS6_S3_lS4_PT7_S3_li,"axG",@progbits,_ZL41rocblas_syrkx_herkx_small_restrict_kernelIl19rocblas_complex_numIfELi16ELb1ELb1ELc78ELc76EKS1_S1_EviT_T0_PT6_S3_lS6_S3_lS4_PT7_S3_li,comdat
.Lfunc_end1272:
	.size	_ZL41rocblas_syrkx_herkx_small_restrict_kernelIl19rocblas_complex_numIfELi16ELb1ELb1ELc78ELc76EKS1_S1_EviT_T0_PT6_S3_lS6_S3_lS4_PT7_S3_li, .Lfunc_end1272-_ZL41rocblas_syrkx_herkx_small_restrict_kernelIl19rocblas_complex_numIfELi16ELb1ELb1ELc78ELc76EKS1_S1_EviT_T0_PT6_S3_lS6_S3_lS4_PT7_S3_li
                                        ; -- End function
	.section	.AMDGPU.csdata,"",@progbits
; Kernel info:
; codeLenInByte = 1352
; NumSgprs: 34
; NumVgprs: 87
; ScratchSize: 0
; MemoryBound: 0
; FloatMode: 240
; IeeeMode: 1
; LDSByteSize: 4096 bytes/workgroup (compile time only)
; SGPRBlocks: 4
; VGPRBlocks: 10
; NumSGPRsForWavesPerEU: 34
; NumVGPRsForWavesPerEU: 87
; Occupancy: 16
; WaveLimiterHint : 0
; COMPUTE_PGM_RSRC2:SCRATCH_EN: 0
; COMPUTE_PGM_RSRC2:USER_SGPR: 13
; COMPUTE_PGM_RSRC2:TRAP_HANDLER: 0
; COMPUTE_PGM_RSRC2:TGID_X_EN: 1
; COMPUTE_PGM_RSRC2:TGID_Y_EN: 1
; COMPUTE_PGM_RSRC2:TGID_Z_EN: 1
; COMPUTE_PGM_RSRC2:TIDIG_COMP_CNT: 1
	.section	.text._ZL41rocblas_syrkx_herkx_small_restrict_kernelIl19rocblas_complex_numIfELi16ELb1ELb1ELc84ELc85EKS1_S1_EviT_T0_PT6_S3_lS6_S3_lS4_PT7_S3_li,"axG",@progbits,_ZL41rocblas_syrkx_herkx_small_restrict_kernelIl19rocblas_complex_numIfELi16ELb1ELb1ELc84ELc85EKS1_S1_EviT_T0_PT6_S3_lS6_S3_lS4_PT7_S3_li,comdat
	.globl	_ZL41rocblas_syrkx_herkx_small_restrict_kernelIl19rocblas_complex_numIfELi16ELb1ELb1ELc84ELc85EKS1_S1_EviT_T0_PT6_S3_lS6_S3_lS4_PT7_S3_li ; -- Begin function _ZL41rocblas_syrkx_herkx_small_restrict_kernelIl19rocblas_complex_numIfELi16ELb1ELb1ELc84ELc85EKS1_S1_EviT_T0_PT6_S3_lS6_S3_lS4_PT7_S3_li
	.p2align	8
	.type	_ZL41rocblas_syrkx_herkx_small_restrict_kernelIl19rocblas_complex_numIfELi16ELb1ELb1ELc84ELc85EKS1_S1_EviT_T0_PT6_S3_lS6_S3_lS4_PT7_S3_li,@function
_ZL41rocblas_syrkx_herkx_small_restrict_kernelIl19rocblas_complex_numIfELi16ELb1ELb1ELc84ELc85EKS1_S1_EviT_T0_PT6_S3_lS6_S3_lS4_PT7_S3_li: ; @_ZL41rocblas_syrkx_herkx_small_restrict_kernelIl19rocblas_complex_numIfELi16ELb1ELb1ELc84ELc85EKS1_S1_EviT_T0_PT6_S3_lS6_S3_lS4_PT7_S3_li
; %bb.0:
	s_load_b512 s[16:31], s[0:1], 0x8
	v_dual_mov_b32 v12, 0 :: v_dual_and_b32 v3, 0x3ff, v0
	v_bfe_u32 v2, v0, 10, 10
	v_mov_b32_e32 v13, 0
	s_delay_alu instid0(VALU_DEP_3) | instskip(NEXT) | instid1(VALU_DEP_3)
	v_lshl_add_u32 v0, s13, 4, v3
	v_lshl_add_u32 v6, s14, 4, v2
	s_delay_alu instid0(VALU_DEP_2) | instskip(NEXT) | instid1(VALU_DEP_2)
	v_ashrrev_i32_e32 v1, 31, v0
	v_ashrrev_i32_e32 v7, 31, v6
	s_waitcnt lgkmcnt(0)
	v_cmp_lt_i64_e64 s2, s[16:17], 1
	s_delay_alu instid0(VALU_DEP_1)
	s_and_b32 vcc_lo, exec_lo, s2
	s_cbranch_vccnz .LBB1273_3
; %bb.1:
	v_mul_lo_u32 v11, s29, v6
	v_mul_lo_u32 v14, s28, v7
	v_mad_u64_u32 v[4:5], null, s28, v6, 0
	v_lshlrev_b32_e32 v8, 3, v3
	v_mul_lo_u32 v3, s23, v0
	v_mul_lo_u32 v15, s22, v1
	v_mad_u64_u32 v[12:13], null, s22, v0, 0
	s_mul_i32 s2, s31, s15
	v_add3_u32 v5, v5, v14, v11
	s_mul_hi_u32 s3, s30, s15
	s_mul_i32 s4, s25, s15
	s_add_i32 s3, s3, s2
	s_mul_i32 s2, s30, s15
	s_delay_alu instid0(VALU_DEP_2)
	v_add3_u32 v13, v13, v15, v3
	v_lshlrev_b64 v[3:4], 3, v[4:5]
	s_lshl_b64 s[2:3], s[2:3], 3
	s_mul_hi_u32 s5, s24, s15
	v_lshlrev_b32_e32 v10, 7, v2
	v_lshlrev_b64 v[12:13], 3, v[12:13]
	s_add_i32 s5, s5, s4
	s_mul_i32 s4, s24, s15
	v_add_co_u32 v3, vcc_lo, v3, s2
	v_add_co_ci_u32_e32 v4, vcc_lo, s3, v4, vcc_lo
	s_lshl_b64 s[2:3], s[4:5], 3
	v_lshlrev_b32_e32 v2, 3, v2
	v_add_co_u32 v5, vcc_lo, v12, s2
	v_add_co_ci_u32_e32 v12, vcc_lo, s3, v13, vcc_lo
	v_mov_b32_e32 v13, 0
	v_add_co_u32 v3, vcc_lo, v3, v8
	v_add_co_ci_u32_e32 v4, vcc_lo, 0, v4, vcc_lo
	v_add_co_u32 v5, vcc_lo, v5, v2
	v_add_co_ci_u32_e32 v12, vcc_lo, 0, v12, vcc_lo
	v_add_nc_u32_e32 v9, 0x800, v10
	v_add_co_u32 v2, vcc_lo, s26, v3
	v_add_co_ci_u32_e32 v3, vcc_lo, s27, v4, vcc_lo
	v_add_co_u32 v4, vcc_lo, s20, v5
	v_add_nc_u32_e32 v10, v8, v10
	v_add_co_ci_u32_e32 v5, vcc_lo, s21, v12, vcc_lo
	v_dual_mov_b32 v12, 0 :: v_dual_add_nc_u32 v11, v9, v8
	s_mov_b64 s[2:3], 0
.LBB1273_2:                             ; =>This Inner Loop Header: Depth=1
	global_load_b64 v[14:15], v[4:5], off
	global_load_b64 v[16:17], v[2:3], off
	s_add_u32 s2, s2, 16
	v_add_co_u32 v2, vcc_lo, 0x80, v2
	s_addc_u32 s3, s3, 0
	v_add_co_ci_u32_e32 v3, vcc_lo, 0, v3, vcc_lo
	v_cmp_lt_i64_e64 s4, s[2:3], s[16:17]
	v_add_co_u32 v4, vcc_lo, 0x80, v4
	v_add_co_ci_u32_e32 v5, vcc_lo, 0, v5, vcc_lo
	s_waitcnt vmcnt(1)
	ds_store_b64 v10, v[14:15]
	s_waitcnt vmcnt(0)
	ds_store_b64 v11, v[16:17]
	s_waitcnt lgkmcnt(0)
	s_barrier
	buffer_gl0_inv
	ds_load_2addr_b64 v[14:17], v8 offset1:16
	ds_load_b128 v[18:21], v9
	ds_load_b128 v[22:25], v9 offset:16
	ds_load_2addr_b64 v[26:29], v8 offset0:32 offset1:48
	ds_load_2addr_b64 v[30:33], v8 offset0:64 offset1:80
	ds_load_b128 v[34:37], v9 offset:32
	ds_load_b128 v[38:41], v9 offset:48
	ds_load_2addr_b64 v[42:45], v8 offset0:96 offset1:112
	ds_load_2addr_b64 v[46:49], v8 offset0:128 offset1:144
	;; [unrolled: 1-line block ×3, first 2 shown]
	ds_load_b128 v[54:57], v9 offset:64
	ds_load_b128 v[58:61], v9 offset:80
	ds_load_2addr_b64 v[62:65], v8 offset0:192 offset1:208
	ds_load_2addr_b64 v[66:69], v8 offset0:224 offset1:240
	ds_load_b128 v[70:73], v9 offset:96
	ds_load_b128 v[74:77], v9 offset:112
	s_and_b32 vcc_lo, exec_lo, s4
	s_waitcnt lgkmcnt(0)
	s_barrier
	buffer_gl0_inv
	v_dual_mul_f32 v78, v19, v15 :: v_dual_mul_f32 v79, v21, v17
	v_mul_f32_e32 v15, v18, v15
	v_dual_mul_f32 v17, v20, v17 :: v_dual_mul_f32 v80, v23, v27
	v_mul_f32_e32 v27, v22, v27
	v_dual_mul_f32 v81, v25, v29 :: v_dual_mul_f32 v82, v35, v31
	v_fma_f32 v18, v18, v14, -v78
	v_mul_f32_e32 v31, v34, v31
	s_delay_alu instid0(VALU_DEP_4) | instskip(NEXT) | instid1(VALU_DEP_4)
	v_fmac_f32_e32 v27, v23, v26
	v_fma_f32 v23, v24, v28, -v81
	v_fmac_f32_e32 v15, v19, v14
	v_fma_f32 v14, v20, v16, -v79
	v_add_f32_e32 v12, v12, v18
	v_dual_mul_f32 v29, v24, v29 :: v_dual_mul_f32 v84, v39, v43
	v_mul_f32_e32 v43, v38, v43
	v_fma_f32 v22, v22, v26, -v80
	s_delay_alu instid0(VALU_DEP_4) | instskip(SKIP_2) | instid1(VALU_DEP_3)
	v_dual_add_f32 v12, v12, v14 :: v_dual_fmac_f32 v17, v21, v16
	v_dual_mul_f32 v83, v37, v33 :: v_dual_mul_f32 v86, v55, v47
	v_dual_mul_f32 v85, v41, v45 :: v_dual_mul_f32 v18, v74, v67
	v_add_f32_e32 v12, v12, v22
	v_fma_f32 v22, v34, v30, -v82
	v_mul_f32_e32 v16, v57, v49
	v_mul_f32_e32 v19, v56, v49
	v_dual_mul_f32 v33, v36, v33 :: v_dual_mul_f32 v20, v59, v51
	v_add_f32_e32 v12, v12, v23
	v_mul_f32_e32 v21, v58, v51
	v_fma_f32 v23, v36, v32, -v83
	v_mul_f32_e32 v51, v60, v53
	v_fma_f32 v16, v56, v48, -v16
	v_dual_add_f32 v12, v12, v22 :: v_dual_mul_f32 v49, v61, v53
	v_fma_f32 v22, v38, v42, -v84
	v_fma_f32 v20, v58, v50, -v20
	v_mul_f32_e32 v24, v73, v65
	s_delay_alu instid0(VALU_DEP_4) | instskip(SKIP_3) | instid1(VALU_DEP_4)
	v_add_f32_e32 v12, v12, v23
	v_mul_f32_e32 v53, v71, v63
	v_fma_f32 v23, v40, v44, -v85
	v_dual_mul_f32 v47, v54, v47 :: v_dual_mul_f32 v14, v77, v69
	v_add_f32_e32 v12, v12, v22
	v_fma_f32 v22, v54, v46, -v86
	v_fmac_f32_e32 v33, v37, v32
	v_dual_mul_f32 v45, v40, v45 :: v_dual_fmac_f32 v18, v75, v66
	s_delay_alu instid0(VALU_DEP_4) | instskip(SKIP_3) | instid1(VALU_DEP_4)
	v_add_f32_e32 v12, v12, v23
	v_mul_f32_e32 v63, v70, v63
	v_fma_f32 v14, v76, v68, -v14
	v_fmac_f32_e32 v43, v39, v42
	v_dual_fmac_f32 v45, v41, v44 :: v_dual_add_f32 v12, v12, v22
	v_add_f32_e32 v13, v13, v15
	v_fmac_f32_e32 v47, v55, v46
	v_fmac_f32_e32 v19, v57, v48
	s_delay_alu instid0(VALU_DEP_4) | instskip(SKIP_3) | instid1(VALU_DEP_4)
	v_dual_fmac_f32 v21, v59, v50 :: v_dual_add_f32 v12, v12, v16
	v_mul_f32_e32 v15, v75, v67
	v_fma_f32 v16, v60, v52, -v49
	v_fmac_f32_e32 v51, v61, v52
	v_dual_fmac_f32 v63, v71, v62 :: v_dual_add_f32 v12, v12, v20
	v_add_f32_e32 v13, v13, v17
	v_fma_f32 v15, v74, v66, -v15
	v_fmac_f32_e32 v31, v35, v30
	v_mul_f32_e32 v17, v76, v69
	v_add_f32_e32 v12, v12, v16
	v_fmac_f32_e32 v29, v25, v28
	v_fma_f32 v16, v72, v64, -v24
	v_add_f32_e32 v13, v13, v27
	v_mul_f32_e32 v25, v72, v65
	v_fmac_f32_e32 v17, v77, v68
	s_delay_alu instid0(VALU_DEP_3) | instskip(NEXT) | instid1(VALU_DEP_3)
	v_add_f32_e32 v13, v13, v29
	v_fmac_f32_e32 v25, v73, v64
	s_delay_alu instid0(VALU_DEP_2) | instskip(NEXT) | instid1(VALU_DEP_1)
	v_add_f32_e32 v13, v13, v31
	v_add_f32_e32 v13, v13, v33
	s_delay_alu instid0(VALU_DEP_1) | instskip(NEXT) | instid1(VALU_DEP_1)
	v_add_f32_e32 v13, v13, v43
	v_add_f32_e32 v13, v13, v45
	s_delay_alu instid0(VALU_DEP_1) | instskip(NEXT) | instid1(VALU_DEP_1)
	v_add_f32_e32 v13, v13, v47
	v_add_f32_e32 v13, v13, v19
	v_fma_f32 v19, v70, v62, -v53
	s_delay_alu instid0(VALU_DEP_1) | instskip(NEXT) | instid1(VALU_DEP_1)
	v_dual_add_f32 v13, v13, v21 :: v_dual_add_f32 v12, v12, v19
	v_dual_add_f32 v13, v13, v51 :: v_dual_add_f32 v12, v12, v16
	s_delay_alu instid0(VALU_DEP_1) | instskip(NEXT) | instid1(VALU_DEP_1)
	v_add_f32_e32 v13, v13, v63
	v_dual_add_f32 v12, v12, v15 :: v_dual_add_f32 v13, v13, v25
	s_delay_alu instid0(VALU_DEP_1) | instskip(NEXT) | instid1(VALU_DEP_2)
	v_add_f32_e32 v12, v12, v14
	v_add_f32_e32 v13, v13, v18
	s_delay_alu instid0(VALU_DEP_1)
	v_add_f32_e32 v13, v13, v17
	s_cbranch_vccnz .LBB1273_2
.LBB1273_3:
	s_mov_b32 s2, exec_lo
	v_cmpx_le_i32_e64 v0, v6
	s_cbranch_execz .LBB1273_6
; %bb.4:
	s_clause 0x1
	s_load_b128 s[4:7], s[0:1], 0x50
	s_load_b64 s[0:1], s[0:1], 0x60
	v_mul_f32_e32 v10, s19, v13
	v_mul_f32_e32 v4, s18, v13
	s_delay_alu instid0(VALU_DEP_1)
	v_fmac_f32_e32 v4, s19, v12
	s_waitcnt lgkmcnt(0)
	v_mul_lo_u32 v5, v6, s7
	v_mul_lo_u32 v9, v7, s6
	v_mad_u64_u32 v[2:3], null, v6, s6, 0
	s_mul_i32 s1, s15, s1
	s_mul_hi_u32 s2, s15, s0
	v_lshlrev_b64 v[7:8], 3, v[0:1]
	s_mul_i32 s0, s15, s0
	s_add_i32 s1, s2, s1
	s_delay_alu instid0(VALU_DEP_2) | instskip(SKIP_1) | instid1(SALU_CYCLE_1)
	v_add3_u32 v3, v3, v5, v9
	s_lshl_b64 s[0:1], s[0:1], 3
	s_add_u32 s0, s4, s0
	s_addc_u32 s1, s5, s1
	s_delay_alu instid0(VALU_DEP_1) | instskip(SKIP_1) | instid1(VALU_DEP_2)
	v_lshlrev_b64 v[1:2], 3, v[2:3]
	v_fma_f32 v3, v12, s18, -v10
	v_add_co_u32 v1, vcc_lo, s0, v1
	s_delay_alu instid0(VALU_DEP_3) | instskip(NEXT) | instid1(VALU_DEP_2)
	v_add_co_ci_u32_e32 v2, vcc_lo, s1, v2, vcc_lo
	v_add_co_u32 v1, vcc_lo, v1, v7
	s_delay_alu instid0(VALU_DEP_2)
	v_add_co_ci_u32_e32 v2, vcc_lo, v2, v8, vcc_lo
	v_cmp_eq_u32_e32 vcc_lo, v0, v6
	global_store_b64 v[1:2], v[3:4], off
	s_and_b32 exec_lo, exec_lo, vcc_lo
	s_cbranch_execz .LBB1273_6
; %bb.5:
	v_mov_b32_e32 v0, 0
	global_store_b32 v[1:2], v0, off offset:4
.LBB1273_6:
	s_nop 0
	s_sendmsg sendmsg(MSG_DEALLOC_VGPRS)
	s_endpgm
	.section	.rodata,"a",@progbits
	.p2align	6, 0x0
	.amdhsa_kernel _ZL41rocblas_syrkx_herkx_small_restrict_kernelIl19rocblas_complex_numIfELi16ELb1ELb1ELc84ELc85EKS1_S1_EviT_T0_PT6_S3_lS6_S3_lS4_PT7_S3_li
		.amdhsa_group_segment_fixed_size 4096
		.amdhsa_private_segment_fixed_size 0
		.amdhsa_kernarg_size 108
		.amdhsa_user_sgpr_count 13
		.amdhsa_user_sgpr_dispatch_ptr 0
		.amdhsa_user_sgpr_queue_ptr 0
		.amdhsa_user_sgpr_kernarg_segment_ptr 1
		.amdhsa_user_sgpr_dispatch_id 0
		.amdhsa_user_sgpr_private_segment_size 0
		.amdhsa_wavefront_size32 1
		.amdhsa_uses_dynamic_stack 0
		.amdhsa_enable_private_segment 0
		.amdhsa_system_sgpr_workgroup_id_x 1
		.amdhsa_system_sgpr_workgroup_id_y 1
		.amdhsa_system_sgpr_workgroup_id_z 1
		.amdhsa_system_sgpr_workgroup_info 0
		.amdhsa_system_vgpr_workitem_id 1
		.amdhsa_next_free_vgpr 87
		.amdhsa_next_free_sgpr 32
		.amdhsa_reserve_vcc 1
		.amdhsa_float_round_mode_32 0
		.amdhsa_float_round_mode_16_64 0
		.amdhsa_float_denorm_mode_32 3
		.amdhsa_float_denorm_mode_16_64 3
		.amdhsa_dx10_clamp 1
		.amdhsa_ieee_mode 1
		.amdhsa_fp16_overflow 0
		.amdhsa_workgroup_processor_mode 1
		.amdhsa_memory_ordered 1
		.amdhsa_forward_progress 0
		.amdhsa_shared_vgpr_count 0
		.amdhsa_exception_fp_ieee_invalid_op 0
		.amdhsa_exception_fp_denorm_src 0
		.amdhsa_exception_fp_ieee_div_zero 0
		.amdhsa_exception_fp_ieee_overflow 0
		.amdhsa_exception_fp_ieee_underflow 0
		.amdhsa_exception_fp_ieee_inexact 0
		.amdhsa_exception_int_div_zero 0
	.end_amdhsa_kernel
	.section	.text._ZL41rocblas_syrkx_herkx_small_restrict_kernelIl19rocblas_complex_numIfELi16ELb1ELb1ELc84ELc85EKS1_S1_EviT_T0_PT6_S3_lS6_S3_lS4_PT7_S3_li,"axG",@progbits,_ZL41rocblas_syrkx_herkx_small_restrict_kernelIl19rocblas_complex_numIfELi16ELb1ELb1ELc84ELc85EKS1_S1_EviT_T0_PT6_S3_lS6_S3_lS4_PT7_S3_li,comdat
.Lfunc_end1273:
	.size	_ZL41rocblas_syrkx_herkx_small_restrict_kernelIl19rocblas_complex_numIfELi16ELb1ELb1ELc84ELc85EKS1_S1_EviT_T0_PT6_S3_lS6_S3_lS4_PT7_S3_li, .Lfunc_end1273-_ZL41rocblas_syrkx_herkx_small_restrict_kernelIl19rocblas_complex_numIfELi16ELb1ELb1ELc84ELc85EKS1_S1_EviT_T0_PT6_S3_lS6_S3_lS4_PT7_S3_li
                                        ; -- End function
	.section	.AMDGPU.csdata,"",@progbits
; Kernel info:
; codeLenInByte = 1304
; NumSgprs: 34
; NumVgprs: 87
; ScratchSize: 0
; MemoryBound: 0
; FloatMode: 240
; IeeeMode: 1
; LDSByteSize: 4096 bytes/workgroup (compile time only)
; SGPRBlocks: 4
; VGPRBlocks: 10
; NumSGPRsForWavesPerEU: 34
; NumVGPRsForWavesPerEU: 87
; Occupancy: 16
; WaveLimiterHint : 0
; COMPUTE_PGM_RSRC2:SCRATCH_EN: 0
; COMPUTE_PGM_RSRC2:USER_SGPR: 13
; COMPUTE_PGM_RSRC2:TRAP_HANDLER: 0
; COMPUTE_PGM_RSRC2:TGID_X_EN: 1
; COMPUTE_PGM_RSRC2:TGID_Y_EN: 1
; COMPUTE_PGM_RSRC2:TGID_Z_EN: 1
; COMPUTE_PGM_RSRC2:TIDIG_COMP_CNT: 1
	.section	.text._ZL41rocblas_syrkx_herkx_small_restrict_kernelIl19rocblas_complex_numIfELi16ELb1ELb1ELc67ELc85EKS1_S1_EviT_T0_PT6_S3_lS6_S3_lS4_PT7_S3_li,"axG",@progbits,_ZL41rocblas_syrkx_herkx_small_restrict_kernelIl19rocblas_complex_numIfELi16ELb1ELb1ELc67ELc85EKS1_S1_EviT_T0_PT6_S3_lS6_S3_lS4_PT7_S3_li,comdat
	.globl	_ZL41rocblas_syrkx_herkx_small_restrict_kernelIl19rocblas_complex_numIfELi16ELb1ELb1ELc67ELc85EKS1_S1_EviT_T0_PT6_S3_lS6_S3_lS4_PT7_S3_li ; -- Begin function _ZL41rocblas_syrkx_herkx_small_restrict_kernelIl19rocblas_complex_numIfELi16ELb1ELb1ELc67ELc85EKS1_S1_EviT_T0_PT6_S3_lS6_S3_lS4_PT7_S3_li
	.p2align	8
	.type	_ZL41rocblas_syrkx_herkx_small_restrict_kernelIl19rocblas_complex_numIfELi16ELb1ELb1ELc67ELc85EKS1_S1_EviT_T0_PT6_S3_lS6_S3_lS4_PT7_S3_li,@function
_ZL41rocblas_syrkx_herkx_small_restrict_kernelIl19rocblas_complex_numIfELi16ELb1ELb1ELc67ELc85EKS1_S1_EviT_T0_PT6_S3_lS6_S3_lS4_PT7_S3_li: ; @_ZL41rocblas_syrkx_herkx_small_restrict_kernelIl19rocblas_complex_numIfELi16ELb1ELb1ELc67ELc85EKS1_S1_EviT_T0_PT6_S3_lS6_S3_lS4_PT7_S3_li
; %bb.0:
	s_load_b512 s[16:31], s[0:1], 0x8
	v_dual_mov_b32 v12, 0 :: v_dual_and_b32 v3, 0x3ff, v0
	v_bfe_u32 v2, v0, 10, 10
	v_mov_b32_e32 v13, 0
	s_delay_alu instid0(VALU_DEP_3) | instskip(NEXT) | instid1(VALU_DEP_3)
	v_lshl_add_u32 v0, s13, 4, v3
	v_lshl_add_u32 v6, s14, 4, v2
	s_delay_alu instid0(VALU_DEP_2) | instskip(NEXT) | instid1(VALU_DEP_2)
	v_ashrrev_i32_e32 v1, 31, v0
	v_ashrrev_i32_e32 v7, 31, v6
	s_waitcnt lgkmcnt(0)
	v_cmp_lt_i64_e64 s2, s[16:17], 1
	s_delay_alu instid0(VALU_DEP_1)
	s_and_b32 vcc_lo, exec_lo, s2
	s_cbranch_vccnz .LBB1274_3
; %bb.1:
	v_mul_lo_u32 v15, s23, v0
	v_mul_lo_u32 v16, s22, v1
	v_mad_u64_u32 v[12:13], null, s22, v0, 0
	v_mul_lo_u32 v10, s29, v6
	v_mul_lo_u32 v11, s28, v7
	v_mad_u64_u32 v[4:5], null, s28, v6, 0
	s_mul_i32 s4, s25, s15
	s_mul_hi_u32 s5, s24, s15
	s_delay_alu instid0(VALU_DEP_4) | instskip(SKIP_3) | instid1(VALU_DEP_3)
	v_add3_u32 v13, v13, v16, v15
	s_add_i32 s5, s5, s4
	s_mul_i32 s4, s24, s15
	v_lshlrev_b32_e32 v8, 3, v3
	v_add3_u32 v5, v5, v11, v10
	v_lshlrev_b64 v[12:13], 3, v[12:13]
	s_mul_i32 s2, s31, s15
	s_mul_hi_u32 s3, s30, s15
	s_lshl_b64 s[4:5], s[4:5], 3
	v_lshlrev_b64 v[3:4], 3, v[4:5]
	s_add_i32 s3, s3, s2
	s_mul_i32 s2, s30, s15
	v_add_co_u32 v5, vcc_lo, v12, s4
	v_lshlrev_b32_e32 v14, 7, v2
	s_lshl_b64 s[2:3], s[2:3], 3
	v_lshlrev_b32_e32 v2, 3, v2
	v_add_co_ci_u32_e32 v12, vcc_lo, s5, v13, vcc_lo
	v_mov_b32_e32 v13, 0
	v_add_co_u32 v3, vcc_lo, v3, s2
	v_add_co_ci_u32_e32 v4, vcc_lo, s3, v4, vcc_lo
	v_add_co_u32 v2, vcc_lo, v5, v2
	v_add_co_ci_u32_e32 v5, vcc_lo, 0, v12, vcc_lo
	s_delay_alu instid0(VALU_DEP_4) | instskip(NEXT) | instid1(VALU_DEP_4)
	v_add_co_u32 v3, vcc_lo, v3, v8
	v_add_co_ci_u32_e32 v4, vcc_lo, 0, v4, vcc_lo
	s_delay_alu instid0(VALU_DEP_4) | instskip(NEXT) | instid1(VALU_DEP_4)
	v_add_co_u32 v12, vcc_lo, v2, s20
	v_add_co_ci_u32_e32 v5, vcc_lo, s21, v5, vcc_lo
	v_add_nc_u32_e32 v9, 0x800, v14
	v_add_co_u32 v2, vcc_lo, s26, v3
	v_add_co_ci_u32_e32 v3, vcc_lo, s27, v4, vcc_lo
	v_add_co_u32 v4, vcc_lo, v12, 4
	v_mov_b32_e32 v12, 0
	v_add_nc_u32_e32 v10, v8, v14
	v_add_nc_u32_e32 v11, v9, v8
	v_add_co_ci_u32_e32 v5, vcc_lo, 0, v5, vcc_lo
	s_mov_b64 s[2:3], 0
.LBB1274_2:                             ; =>This Inner Loop Header: Depth=1
	global_load_b64 v[14:15], v[4:5], off offset:-4
	global_load_b64 v[16:17], v[2:3], off
	s_add_u32 s2, s2, 16
	v_add_co_u32 v2, vcc_lo, 0x80, v2
	s_addc_u32 s3, s3, 0
	v_add_co_ci_u32_e32 v3, vcc_lo, 0, v3, vcc_lo
	v_cmp_lt_i64_e64 s4, s[2:3], s[16:17]
	v_add_co_u32 v4, vcc_lo, 0x80, v4
	v_add_co_ci_u32_e32 v5, vcc_lo, 0, v5, vcc_lo
	s_delay_alu instid0(VALU_DEP_3)
	s_and_b32 vcc_lo, exec_lo, s4
	s_waitcnt vmcnt(1)
	v_xor_b32_e32 v15, 0x80000000, v15
	ds_store_b64 v10, v[14:15]
	s_waitcnt vmcnt(0)
	ds_store_b64 v11, v[16:17]
	s_waitcnt lgkmcnt(0)
	s_barrier
	buffer_gl0_inv
	ds_load_2addr_b64 v[14:17], v8 offset1:16
	ds_load_b128 v[18:21], v9
	ds_load_b128 v[22:25], v9 offset:16
	ds_load_2addr_b64 v[26:29], v8 offset0:32 offset1:48
	ds_load_2addr_b64 v[30:33], v8 offset0:64 offset1:80
	ds_load_b128 v[34:37], v9 offset:32
	ds_load_b128 v[38:41], v9 offset:48
	ds_load_2addr_b64 v[42:45], v8 offset0:96 offset1:112
	ds_load_2addr_b64 v[46:49], v8 offset0:128 offset1:144
	;; [unrolled: 1-line block ×3, first 2 shown]
	ds_load_b128 v[54:57], v9 offset:64
	ds_load_b128 v[58:61], v9 offset:80
	ds_load_2addr_b64 v[62:65], v8 offset0:192 offset1:208
	ds_load_2addr_b64 v[66:69], v8 offset0:224 offset1:240
	ds_load_b128 v[70:73], v9 offset:96
	ds_load_b128 v[74:77], v9 offset:112
	s_waitcnt lgkmcnt(0)
	s_barrier
	buffer_gl0_inv
	v_dual_mul_f32 v78, v19, v15 :: v_dual_mul_f32 v79, v21, v17
	v_mul_f32_e32 v15, v18, v15
	v_dual_mul_f32 v17, v20, v17 :: v_dual_mul_f32 v80, v23, v27
	v_mul_f32_e32 v27, v22, v27
	v_dual_mul_f32 v81, v25, v29 :: v_dual_mul_f32 v82, v35, v31
	v_fma_f32 v18, v18, v14, -v78
	v_mul_f32_e32 v31, v34, v31
	s_delay_alu instid0(VALU_DEP_4) | instskip(NEXT) | instid1(VALU_DEP_4)
	v_fmac_f32_e32 v27, v23, v26
	v_fma_f32 v23, v24, v28, -v81
	v_fmac_f32_e32 v15, v19, v14
	v_fma_f32 v14, v20, v16, -v79
	v_add_f32_e32 v12, v12, v18
	v_dual_mul_f32 v29, v24, v29 :: v_dual_mul_f32 v84, v39, v43
	v_mul_f32_e32 v43, v38, v43
	v_fma_f32 v22, v22, v26, -v80
	s_delay_alu instid0(VALU_DEP_4) | instskip(SKIP_2) | instid1(VALU_DEP_3)
	v_dual_add_f32 v12, v12, v14 :: v_dual_fmac_f32 v17, v21, v16
	v_dual_mul_f32 v83, v37, v33 :: v_dual_mul_f32 v86, v55, v47
	v_dual_mul_f32 v85, v41, v45 :: v_dual_mul_f32 v18, v74, v67
	v_add_f32_e32 v12, v12, v22
	v_fma_f32 v22, v34, v30, -v82
	v_mul_f32_e32 v16, v57, v49
	v_mul_f32_e32 v19, v56, v49
	v_dual_mul_f32 v33, v36, v33 :: v_dual_mul_f32 v20, v59, v51
	v_add_f32_e32 v12, v12, v23
	v_mul_f32_e32 v21, v58, v51
	v_fma_f32 v23, v36, v32, -v83
	v_mul_f32_e32 v51, v60, v53
	v_fma_f32 v16, v56, v48, -v16
	v_dual_add_f32 v12, v12, v22 :: v_dual_mul_f32 v49, v61, v53
	v_fma_f32 v22, v38, v42, -v84
	v_fma_f32 v20, v58, v50, -v20
	v_mul_f32_e32 v24, v73, v65
	s_delay_alu instid0(VALU_DEP_4) | instskip(SKIP_3) | instid1(VALU_DEP_4)
	v_add_f32_e32 v12, v12, v23
	v_mul_f32_e32 v53, v71, v63
	v_fma_f32 v23, v40, v44, -v85
	v_dual_mul_f32 v47, v54, v47 :: v_dual_mul_f32 v14, v77, v69
	v_add_f32_e32 v12, v12, v22
	v_fma_f32 v22, v54, v46, -v86
	v_fmac_f32_e32 v33, v37, v32
	v_dual_mul_f32 v45, v40, v45 :: v_dual_fmac_f32 v18, v75, v66
	s_delay_alu instid0(VALU_DEP_4) | instskip(SKIP_3) | instid1(VALU_DEP_4)
	v_add_f32_e32 v12, v12, v23
	v_mul_f32_e32 v63, v70, v63
	v_fma_f32 v14, v76, v68, -v14
	v_fmac_f32_e32 v43, v39, v42
	v_dual_fmac_f32 v45, v41, v44 :: v_dual_add_f32 v12, v12, v22
	v_add_f32_e32 v13, v13, v15
	v_fmac_f32_e32 v47, v55, v46
	v_fmac_f32_e32 v19, v57, v48
	s_delay_alu instid0(VALU_DEP_4) | instskip(SKIP_3) | instid1(VALU_DEP_4)
	v_dual_fmac_f32 v21, v59, v50 :: v_dual_add_f32 v12, v12, v16
	v_mul_f32_e32 v15, v75, v67
	v_fma_f32 v16, v60, v52, -v49
	v_fmac_f32_e32 v51, v61, v52
	v_dual_fmac_f32 v63, v71, v62 :: v_dual_add_f32 v12, v12, v20
	v_add_f32_e32 v13, v13, v17
	v_fma_f32 v15, v74, v66, -v15
	v_fmac_f32_e32 v31, v35, v30
	v_mul_f32_e32 v17, v76, v69
	v_add_f32_e32 v12, v12, v16
	v_fmac_f32_e32 v29, v25, v28
	v_fma_f32 v16, v72, v64, -v24
	v_add_f32_e32 v13, v13, v27
	v_mul_f32_e32 v25, v72, v65
	v_fmac_f32_e32 v17, v77, v68
	s_delay_alu instid0(VALU_DEP_3) | instskip(NEXT) | instid1(VALU_DEP_3)
	v_add_f32_e32 v13, v13, v29
	v_fmac_f32_e32 v25, v73, v64
	s_delay_alu instid0(VALU_DEP_2) | instskip(NEXT) | instid1(VALU_DEP_1)
	v_add_f32_e32 v13, v13, v31
	v_add_f32_e32 v13, v13, v33
	s_delay_alu instid0(VALU_DEP_1) | instskip(NEXT) | instid1(VALU_DEP_1)
	v_add_f32_e32 v13, v13, v43
	v_add_f32_e32 v13, v13, v45
	s_delay_alu instid0(VALU_DEP_1) | instskip(NEXT) | instid1(VALU_DEP_1)
	v_add_f32_e32 v13, v13, v47
	v_add_f32_e32 v13, v13, v19
	v_fma_f32 v19, v70, v62, -v53
	s_delay_alu instid0(VALU_DEP_1) | instskip(NEXT) | instid1(VALU_DEP_1)
	v_dual_add_f32 v13, v13, v21 :: v_dual_add_f32 v12, v12, v19
	v_dual_add_f32 v13, v13, v51 :: v_dual_add_f32 v12, v12, v16
	s_delay_alu instid0(VALU_DEP_1) | instskip(NEXT) | instid1(VALU_DEP_1)
	v_add_f32_e32 v13, v13, v63
	v_dual_add_f32 v12, v12, v15 :: v_dual_add_f32 v13, v13, v25
	s_delay_alu instid0(VALU_DEP_1) | instskip(NEXT) | instid1(VALU_DEP_2)
	v_add_f32_e32 v12, v12, v14
	v_add_f32_e32 v13, v13, v18
	s_delay_alu instid0(VALU_DEP_1)
	v_add_f32_e32 v13, v13, v17
	s_cbranch_vccnz .LBB1274_2
.LBB1274_3:
	s_mov_b32 s2, exec_lo
	v_cmpx_le_i32_e64 v0, v6
	s_cbranch_execz .LBB1274_6
; %bb.4:
	s_clause 0x1
	s_load_b128 s[4:7], s[0:1], 0x50
	s_load_b64 s[0:1], s[0:1], 0x60
	v_mul_f32_e32 v10, s19, v13
	v_mul_f32_e32 v4, s18, v13
	s_delay_alu instid0(VALU_DEP_1)
	v_fmac_f32_e32 v4, s19, v12
	s_waitcnt lgkmcnt(0)
	v_mul_lo_u32 v5, v6, s7
	v_mul_lo_u32 v9, v7, s6
	v_mad_u64_u32 v[2:3], null, v6, s6, 0
	s_mul_i32 s1, s15, s1
	s_mul_hi_u32 s2, s15, s0
	v_lshlrev_b64 v[7:8], 3, v[0:1]
	s_mul_i32 s0, s15, s0
	s_add_i32 s1, s2, s1
	s_delay_alu instid0(VALU_DEP_2) | instskip(SKIP_1) | instid1(SALU_CYCLE_1)
	v_add3_u32 v3, v3, v5, v9
	s_lshl_b64 s[0:1], s[0:1], 3
	s_add_u32 s0, s4, s0
	s_addc_u32 s1, s5, s1
	s_delay_alu instid0(VALU_DEP_1) | instskip(SKIP_1) | instid1(VALU_DEP_2)
	v_lshlrev_b64 v[1:2], 3, v[2:3]
	v_fma_f32 v3, v12, s18, -v10
	v_add_co_u32 v1, vcc_lo, s0, v1
	s_delay_alu instid0(VALU_DEP_3) | instskip(NEXT) | instid1(VALU_DEP_2)
	v_add_co_ci_u32_e32 v2, vcc_lo, s1, v2, vcc_lo
	v_add_co_u32 v1, vcc_lo, v1, v7
	s_delay_alu instid0(VALU_DEP_2)
	v_add_co_ci_u32_e32 v2, vcc_lo, v2, v8, vcc_lo
	v_cmp_eq_u32_e32 vcc_lo, v0, v6
	global_store_b64 v[1:2], v[3:4], off
	s_and_b32 exec_lo, exec_lo, vcc_lo
	s_cbranch_execz .LBB1274_6
; %bb.5:
	v_mov_b32_e32 v0, 0
	global_store_b32 v[1:2], v0, off offset:4
.LBB1274_6:
	s_nop 0
	s_sendmsg sendmsg(MSG_DEALLOC_VGPRS)
	s_endpgm
	.section	.rodata,"a",@progbits
	.p2align	6, 0x0
	.amdhsa_kernel _ZL41rocblas_syrkx_herkx_small_restrict_kernelIl19rocblas_complex_numIfELi16ELb1ELb1ELc67ELc85EKS1_S1_EviT_T0_PT6_S3_lS6_S3_lS4_PT7_S3_li
		.amdhsa_group_segment_fixed_size 4096
		.amdhsa_private_segment_fixed_size 0
		.amdhsa_kernarg_size 108
		.amdhsa_user_sgpr_count 13
		.amdhsa_user_sgpr_dispatch_ptr 0
		.amdhsa_user_sgpr_queue_ptr 0
		.amdhsa_user_sgpr_kernarg_segment_ptr 1
		.amdhsa_user_sgpr_dispatch_id 0
		.amdhsa_user_sgpr_private_segment_size 0
		.amdhsa_wavefront_size32 1
		.amdhsa_uses_dynamic_stack 0
		.amdhsa_enable_private_segment 0
		.amdhsa_system_sgpr_workgroup_id_x 1
		.amdhsa_system_sgpr_workgroup_id_y 1
		.amdhsa_system_sgpr_workgroup_id_z 1
		.amdhsa_system_sgpr_workgroup_info 0
		.amdhsa_system_vgpr_workitem_id 1
		.amdhsa_next_free_vgpr 87
		.amdhsa_next_free_sgpr 32
		.amdhsa_reserve_vcc 1
		.amdhsa_float_round_mode_32 0
		.amdhsa_float_round_mode_16_64 0
		.amdhsa_float_denorm_mode_32 3
		.amdhsa_float_denorm_mode_16_64 3
		.amdhsa_dx10_clamp 1
		.amdhsa_ieee_mode 1
		.amdhsa_fp16_overflow 0
		.amdhsa_workgroup_processor_mode 1
		.amdhsa_memory_ordered 1
		.amdhsa_forward_progress 0
		.amdhsa_shared_vgpr_count 0
		.amdhsa_exception_fp_ieee_invalid_op 0
		.amdhsa_exception_fp_denorm_src 0
		.amdhsa_exception_fp_ieee_div_zero 0
		.amdhsa_exception_fp_ieee_overflow 0
		.amdhsa_exception_fp_ieee_underflow 0
		.amdhsa_exception_fp_ieee_inexact 0
		.amdhsa_exception_int_div_zero 0
	.end_amdhsa_kernel
	.section	.text._ZL41rocblas_syrkx_herkx_small_restrict_kernelIl19rocblas_complex_numIfELi16ELb1ELb1ELc67ELc85EKS1_S1_EviT_T0_PT6_S3_lS6_S3_lS4_PT7_S3_li,"axG",@progbits,_ZL41rocblas_syrkx_herkx_small_restrict_kernelIl19rocblas_complex_numIfELi16ELb1ELb1ELc67ELc85EKS1_S1_EviT_T0_PT6_S3_lS6_S3_lS4_PT7_S3_li,comdat
.Lfunc_end1274:
	.size	_ZL41rocblas_syrkx_herkx_small_restrict_kernelIl19rocblas_complex_numIfELi16ELb1ELb1ELc67ELc85EKS1_S1_EviT_T0_PT6_S3_lS6_S3_lS4_PT7_S3_li, .Lfunc_end1274-_ZL41rocblas_syrkx_herkx_small_restrict_kernelIl19rocblas_complex_numIfELi16ELb1ELb1ELc67ELc85EKS1_S1_EviT_T0_PT6_S3_lS6_S3_lS4_PT7_S3_li
                                        ; -- End function
	.section	.AMDGPU.csdata,"",@progbits
; Kernel info:
; codeLenInByte = 1336
; NumSgprs: 34
; NumVgprs: 87
; ScratchSize: 0
; MemoryBound: 0
; FloatMode: 240
; IeeeMode: 1
; LDSByteSize: 4096 bytes/workgroup (compile time only)
; SGPRBlocks: 4
; VGPRBlocks: 10
; NumSGPRsForWavesPerEU: 34
; NumVGPRsForWavesPerEU: 87
; Occupancy: 16
; WaveLimiterHint : 0
; COMPUTE_PGM_RSRC2:SCRATCH_EN: 0
; COMPUTE_PGM_RSRC2:USER_SGPR: 13
; COMPUTE_PGM_RSRC2:TRAP_HANDLER: 0
; COMPUTE_PGM_RSRC2:TGID_X_EN: 1
; COMPUTE_PGM_RSRC2:TGID_Y_EN: 1
; COMPUTE_PGM_RSRC2:TGID_Z_EN: 1
; COMPUTE_PGM_RSRC2:TIDIG_COMP_CNT: 1
	.section	.text._ZL41rocblas_syrkx_herkx_small_restrict_kernelIl19rocblas_complex_numIfELi16ELb1ELb1ELc78ELc85EKS1_S1_EviT_T0_PT6_S3_lS6_S3_lS4_PT7_S3_li,"axG",@progbits,_ZL41rocblas_syrkx_herkx_small_restrict_kernelIl19rocblas_complex_numIfELi16ELb1ELb1ELc78ELc85EKS1_S1_EviT_T0_PT6_S3_lS6_S3_lS4_PT7_S3_li,comdat
	.globl	_ZL41rocblas_syrkx_herkx_small_restrict_kernelIl19rocblas_complex_numIfELi16ELb1ELb1ELc78ELc85EKS1_S1_EviT_T0_PT6_S3_lS6_S3_lS4_PT7_S3_li ; -- Begin function _ZL41rocblas_syrkx_herkx_small_restrict_kernelIl19rocblas_complex_numIfELi16ELb1ELb1ELc78ELc85EKS1_S1_EviT_T0_PT6_S3_lS6_S3_lS4_PT7_S3_li
	.p2align	8
	.type	_ZL41rocblas_syrkx_herkx_small_restrict_kernelIl19rocblas_complex_numIfELi16ELb1ELb1ELc78ELc85EKS1_S1_EviT_T0_PT6_S3_lS6_S3_lS4_PT7_S3_li,@function
_ZL41rocblas_syrkx_herkx_small_restrict_kernelIl19rocblas_complex_numIfELi16ELb1ELb1ELc78ELc85EKS1_S1_EviT_T0_PT6_S3_lS6_S3_lS4_PT7_S3_li: ; @_ZL41rocblas_syrkx_herkx_small_restrict_kernelIl19rocblas_complex_numIfELi16ELb1ELb1ELc78ELc85EKS1_S1_EviT_T0_PT6_S3_lS6_S3_lS4_PT7_S3_li
; %bb.0:
	s_load_b512 s[16:31], s[0:1], 0x8
	v_dual_mov_b32 v12, 0 :: v_dual_and_b32 v5, 0x3ff, v0
	v_bfe_u32 v4, v0, 10, 10
	v_mov_b32_e32 v13, 0
	s_delay_alu instid0(VALU_DEP_3) | instskip(NEXT) | instid1(VALU_DEP_3)
	v_lshl_add_u32 v0, s13, 4, v5
	v_lshl_add_u32 v2, s14, 4, v4
	s_delay_alu instid0(VALU_DEP_2) | instskip(NEXT) | instid1(VALU_DEP_2)
	v_ashrrev_i32_e32 v1, 31, v0
	v_ashrrev_i32_e32 v3, 31, v2
	s_waitcnt lgkmcnt(0)
	v_cmp_lt_i64_e64 s2, s[16:17], 1
	s_delay_alu instid0(VALU_DEP_1)
	s_and_b32 vcc_lo, exec_lo, s2
	s_cbranch_vccnz .LBB1275_3
; %bb.1:
	v_mad_u64_u32 v[6:7], null, s28, v5, 0
	v_mad_u64_u32 v[12:13], null, s22, v4, 0
	v_lshlrev_b32_e32 v8, 3, v5
	v_lshlrev_b32_e32 v11, 7, v4
	s_mul_i32 s3, s31, s15
	s_mul_hi_u32 s5, s30, s15
	s_mul_i32 s2, s30, s15
	s_delay_alu instid0(VALU_DEP_4) | instskip(NEXT) | instid1(VALU_DEP_4)
	v_mad_u64_u32 v[9:10], null, s29, v5, v[7:8]
	v_mov_b32_e32 v5, v13
	s_add_i32 s3, s5, s3
	v_lshlrev_b64 v[14:15], 3, v[2:3]
	s_lshl_b64 s[2:3], s[2:3], 3
	s_mul_i32 s6, s25, s15
	v_mad_u64_u32 v[16:17], null, s23, v4, v[5:6]
	s_delay_alu instid0(VALU_DEP_4)
	v_mov_b32_e32 v7, v9
	s_mul_hi_u32 s7, s24, s15
	s_mul_i32 s4, s24, s15
	s_add_i32 s5, s7, s6
	s_mov_b64 s[6:7], 0
	v_lshlrev_b64 v[4:5], 3, v[6:7]
	s_delay_alu instid0(VALU_DEP_3) | instskip(SKIP_1) | instid1(VALU_DEP_2)
	v_mov_b32_e32 v13, v16
	s_lshl_b64 s[4:5], s[4:5], 3
	v_add_co_u32 v6, vcc_lo, s2, v4
	s_delay_alu instid0(VALU_DEP_3) | instskip(NEXT) | instid1(VALU_DEP_3)
	v_add_co_ci_u32_e32 v7, vcc_lo, s3, v5, vcc_lo
	v_lshlrev_b64 v[4:5], 3, v[12:13]
	s_delay_alu instid0(VALU_DEP_3) | instskip(NEXT) | instid1(VALU_DEP_3)
	v_add_co_u32 v6, vcc_lo, v6, v14
	v_add_co_ci_u32_e32 v7, vcc_lo, v7, v15, vcc_lo
	s_lshl_b64 s[2:3], s[28:29], 7
	s_delay_alu instid0(VALU_DEP_3) | instskip(NEXT) | instid1(VALU_DEP_4)
	v_add_co_u32 v12, vcc_lo, s4, v4
	v_add_co_ci_u32_e32 v13, vcc_lo, s5, v5, vcc_lo
	v_lshlrev_b64 v[4:5], 3, v[0:1]
	v_add_co_u32 v6, vcc_lo, v6, s26
	v_add_co_ci_u32_e32 v7, vcc_lo, s27, v7, vcc_lo
	s_lshl_b64 s[4:5], s[22:23], 7
	s_delay_alu instid0(VALU_DEP_3) | instskip(NEXT) | instid1(VALU_DEP_4)
	v_add_co_u32 v12, vcc_lo, v12, v4
	v_add_co_ci_u32_e32 v13, vcc_lo, v13, v5, vcc_lo
	v_add_co_u32 v4, vcc_lo, v6, 4
	v_add_co_ci_u32_e32 v5, vcc_lo, 0, v7, vcc_lo
	s_delay_alu instid0(VALU_DEP_4)
	v_add_co_u32 v6, vcc_lo, s20, v12
	v_mov_b32_e32 v12, 0
	v_add_nc_u32_e32 v10, v8, v11
	v_add_nc_u32_e32 v9, 0x800, v11
	v_add_co_ci_u32_e32 v7, vcc_lo, s21, v13, vcc_lo
	v_mov_b32_e32 v13, 0
	s_delay_alu instid0(VALU_DEP_3)
	v_add_nc_u32_e32 v11, v9, v8
.LBB1275_2:                             ; =>This Inner Loop Header: Depth=1
	global_load_b64 v[14:15], v[4:5], off offset:-4
	global_load_b64 v[16:17], v[6:7], off
	s_add_u32 s6, s6, 16
	v_add_co_u32 v4, vcc_lo, v4, s2
	s_addc_u32 s7, s7, 0
	v_add_co_ci_u32_e32 v5, vcc_lo, s3, v5, vcc_lo
	v_cmp_lt_i64_e64 s8, s[6:7], s[16:17]
	v_add_co_u32 v6, vcc_lo, v6, s4
	v_add_co_ci_u32_e32 v7, vcc_lo, s5, v7, vcc_lo
	s_delay_alu instid0(VALU_DEP_3)
	s_and_b32 vcc_lo, exec_lo, s8
	s_waitcnt vmcnt(1)
	v_xor_b32_e32 v15, 0x80000000, v15
	s_waitcnt vmcnt(0)
	ds_store_b64 v10, v[16:17]
	ds_store_b64 v11, v[14:15]
	s_waitcnt lgkmcnt(0)
	s_barrier
	buffer_gl0_inv
	ds_load_2addr_b64 v[14:17], v8 offset1:16
	ds_load_b128 v[18:21], v9
	ds_load_b128 v[22:25], v9 offset:16
	ds_load_2addr_b64 v[26:29], v8 offset0:32 offset1:48
	ds_load_2addr_b64 v[30:33], v8 offset0:64 offset1:80
	ds_load_b128 v[34:37], v9 offset:32
	ds_load_b128 v[38:41], v9 offset:48
	ds_load_2addr_b64 v[42:45], v8 offset0:96 offset1:112
	ds_load_2addr_b64 v[46:49], v8 offset0:128 offset1:144
	ds_load_2addr_b64 v[50:53], v8 offset0:160 offset1:176
	ds_load_b128 v[54:57], v9 offset:64
	ds_load_b128 v[58:61], v9 offset:80
	ds_load_2addr_b64 v[62:65], v8 offset0:192 offset1:208
	ds_load_2addr_b64 v[66:69], v8 offset0:224 offset1:240
	ds_load_b128 v[70:73], v9 offset:96
	ds_load_b128 v[74:77], v9 offset:112
	s_waitcnt lgkmcnt(0)
	s_barrier
	buffer_gl0_inv
	v_dual_mul_f32 v78, v19, v15 :: v_dual_mul_f32 v79, v21, v17
	v_mul_f32_e32 v15, v18, v15
	v_dual_mul_f32 v17, v20, v17 :: v_dual_mul_f32 v80, v23, v27
	v_mul_f32_e32 v27, v22, v27
	v_dual_mul_f32 v81, v25, v29 :: v_dual_mul_f32 v82, v35, v31
	v_fma_f32 v18, v18, v14, -v78
	v_mul_f32_e32 v31, v34, v31
	s_delay_alu instid0(VALU_DEP_4) | instskip(NEXT) | instid1(VALU_DEP_4)
	v_fmac_f32_e32 v27, v23, v26
	v_fma_f32 v23, v24, v28, -v81
	v_fmac_f32_e32 v15, v19, v14
	v_fma_f32 v14, v20, v16, -v79
	v_add_f32_e32 v12, v12, v18
	v_dual_mul_f32 v29, v24, v29 :: v_dual_mul_f32 v84, v39, v43
	v_mul_f32_e32 v43, v38, v43
	v_fma_f32 v22, v22, v26, -v80
	s_delay_alu instid0(VALU_DEP_4) | instskip(SKIP_2) | instid1(VALU_DEP_3)
	v_dual_add_f32 v12, v12, v14 :: v_dual_fmac_f32 v17, v21, v16
	v_dual_mul_f32 v83, v37, v33 :: v_dual_mul_f32 v86, v55, v47
	v_dual_mul_f32 v85, v41, v45 :: v_dual_mul_f32 v18, v74, v67
	v_add_f32_e32 v12, v12, v22
	v_fma_f32 v22, v34, v30, -v82
	v_mul_f32_e32 v16, v57, v49
	v_mul_f32_e32 v19, v56, v49
	v_dual_mul_f32 v33, v36, v33 :: v_dual_mul_f32 v20, v59, v51
	v_add_f32_e32 v12, v12, v23
	v_mul_f32_e32 v21, v58, v51
	v_fma_f32 v23, v36, v32, -v83
	v_mul_f32_e32 v51, v60, v53
	v_fma_f32 v16, v56, v48, -v16
	v_dual_add_f32 v12, v12, v22 :: v_dual_mul_f32 v49, v61, v53
	v_fma_f32 v22, v38, v42, -v84
	v_fma_f32 v20, v58, v50, -v20
	v_mul_f32_e32 v24, v73, v65
	s_delay_alu instid0(VALU_DEP_4) | instskip(SKIP_3) | instid1(VALU_DEP_4)
	v_add_f32_e32 v12, v12, v23
	v_mul_f32_e32 v53, v71, v63
	v_fma_f32 v23, v40, v44, -v85
	v_dual_mul_f32 v47, v54, v47 :: v_dual_mul_f32 v14, v77, v69
	v_add_f32_e32 v12, v12, v22
	v_fma_f32 v22, v54, v46, -v86
	v_fmac_f32_e32 v33, v37, v32
	v_dual_mul_f32 v45, v40, v45 :: v_dual_fmac_f32 v18, v75, v66
	s_delay_alu instid0(VALU_DEP_4) | instskip(SKIP_3) | instid1(VALU_DEP_4)
	v_add_f32_e32 v12, v12, v23
	v_mul_f32_e32 v63, v70, v63
	v_fma_f32 v14, v76, v68, -v14
	v_fmac_f32_e32 v43, v39, v42
	v_dual_fmac_f32 v45, v41, v44 :: v_dual_add_f32 v12, v12, v22
	v_add_f32_e32 v13, v13, v15
	v_fmac_f32_e32 v47, v55, v46
	v_fmac_f32_e32 v19, v57, v48
	s_delay_alu instid0(VALU_DEP_4) | instskip(SKIP_3) | instid1(VALU_DEP_4)
	v_dual_fmac_f32 v21, v59, v50 :: v_dual_add_f32 v12, v12, v16
	v_mul_f32_e32 v15, v75, v67
	v_fma_f32 v16, v60, v52, -v49
	v_fmac_f32_e32 v51, v61, v52
	v_dual_fmac_f32 v63, v71, v62 :: v_dual_add_f32 v12, v12, v20
	v_add_f32_e32 v13, v13, v17
	v_fma_f32 v15, v74, v66, -v15
	v_fmac_f32_e32 v31, v35, v30
	v_mul_f32_e32 v17, v76, v69
	v_add_f32_e32 v12, v12, v16
	v_fmac_f32_e32 v29, v25, v28
	v_fma_f32 v16, v72, v64, -v24
	v_add_f32_e32 v13, v13, v27
	v_mul_f32_e32 v25, v72, v65
	v_fmac_f32_e32 v17, v77, v68
	s_delay_alu instid0(VALU_DEP_3) | instskip(NEXT) | instid1(VALU_DEP_3)
	v_add_f32_e32 v13, v13, v29
	v_fmac_f32_e32 v25, v73, v64
	s_delay_alu instid0(VALU_DEP_2) | instskip(NEXT) | instid1(VALU_DEP_1)
	v_add_f32_e32 v13, v13, v31
	v_add_f32_e32 v13, v13, v33
	s_delay_alu instid0(VALU_DEP_1) | instskip(NEXT) | instid1(VALU_DEP_1)
	v_add_f32_e32 v13, v13, v43
	v_add_f32_e32 v13, v13, v45
	s_delay_alu instid0(VALU_DEP_1) | instskip(NEXT) | instid1(VALU_DEP_1)
	v_add_f32_e32 v13, v13, v47
	v_add_f32_e32 v13, v13, v19
	v_fma_f32 v19, v70, v62, -v53
	s_delay_alu instid0(VALU_DEP_1) | instskip(NEXT) | instid1(VALU_DEP_1)
	v_dual_add_f32 v13, v13, v21 :: v_dual_add_f32 v12, v12, v19
	v_dual_add_f32 v13, v13, v51 :: v_dual_add_f32 v12, v12, v16
	s_delay_alu instid0(VALU_DEP_1) | instskip(NEXT) | instid1(VALU_DEP_1)
	v_add_f32_e32 v13, v13, v63
	v_dual_add_f32 v12, v12, v15 :: v_dual_add_f32 v13, v13, v25
	s_delay_alu instid0(VALU_DEP_1) | instskip(NEXT) | instid1(VALU_DEP_2)
	v_add_f32_e32 v12, v12, v14
	v_add_f32_e32 v13, v13, v18
	s_delay_alu instid0(VALU_DEP_1)
	v_add_f32_e32 v13, v13, v17
	s_cbranch_vccnz .LBB1275_2
.LBB1275_3:
	s_mov_b32 s2, exec_lo
	v_cmpx_le_i32_e64 v0, v2
	s_cbranch_execz .LBB1275_6
; %bb.4:
	s_clause 0x1
	s_load_b128 s[4:7], s[0:1], 0x50
	s_load_b64 s[0:1], s[0:1], 0x60
	v_lshlrev_b64 v[7:8], 3, v[0:1]
	v_mul_f32_e32 v10, s19, v13
	v_mul_f32_e32 v6, s18, v13
	s_delay_alu instid0(VALU_DEP_1)
	v_fmac_f32_e32 v6, s19, v12
	s_waitcnt lgkmcnt(0)
	v_mul_lo_u32 v5, v2, s7
	v_mul_lo_u32 v9, v3, s6
	v_mad_u64_u32 v[3:4], null, v2, s6, 0
	s_mul_i32 s1, s15, s1
	s_mul_hi_u32 s2, s15, s0
	s_mul_i32 s0, s15, s0
	s_add_i32 s1, s2, s1
	s_delay_alu instid0(SALU_CYCLE_1) | instskip(NEXT) | instid1(VALU_DEP_1)
	s_lshl_b64 s[0:1], s[0:1], 3
	v_add3_u32 v4, v4, v5, v9
	s_add_u32 s0, s4, s0
	s_addc_u32 s1, s5, s1
	v_fma_f32 v5, v12, s18, -v10
	s_delay_alu instid0(VALU_DEP_2) | instskip(NEXT) | instid1(VALU_DEP_1)
	v_lshlrev_b64 v[3:4], 3, v[3:4]
	v_add_co_u32 v1, vcc_lo, s0, v3
	s_delay_alu instid0(VALU_DEP_2) | instskip(NEXT) | instid1(VALU_DEP_2)
	v_add_co_ci_u32_e32 v4, vcc_lo, s1, v4, vcc_lo
	v_add_co_u32 v3, vcc_lo, v1, v7
	s_delay_alu instid0(VALU_DEP_2)
	v_add_co_ci_u32_e32 v4, vcc_lo, v4, v8, vcc_lo
	v_cmp_eq_u32_e32 vcc_lo, v0, v2
	global_store_b64 v[3:4], v[5:6], off
	s_and_b32 exec_lo, exec_lo, vcc_lo
	s_cbranch_execz .LBB1275_6
; %bb.5:
	v_mov_b32_e32 v0, 0
	global_store_b32 v[3:4], v0, off offset:4
.LBB1275_6:
	s_nop 0
	s_sendmsg sendmsg(MSG_DEALLOC_VGPRS)
	s_endpgm
	.section	.rodata,"a",@progbits
	.p2align	6, 0x0
	.amdhsa_kernel _ZL41rocblas_syrkx_herkx_small_restrict_kernelIl19rocblas_complex_numIfELi16ELb1ELb1ELc78ELc85EKS1_S1_EviT_T0_PT6_S3_lS6_S3_lS4_PT7_S3_li
		.amdhsa_group_segment_fixed_size 4096
		.amdhsa_private_segment_fixed_size 0
		.amdhsa_kernarg_size 108
		.amdhsa_user_sgpr_count 13
		.amdhsa_user_sgpr_dispatch_ptr 0
		.amdhsa_user_sgpr_queue_ptr 0
		.amdhsa_user_sgpr_kernarg_segment_ptr 1
		.amdhsa_user_sgpr_dispatch_id 0
		.amdhsa_user_sgpr_private_segment_size 0
		.amdhsa_wavefront_size32 1
		.amdhsa_uses_dynamic_stack 0
		.amdhsa_enable_private_segment 0
		.amdhsa_system_sgpr_workgroup_id_x 1
		.amdhsa_system_sgpr_workgroup_id_y 1
		.amdhsa_system_sgpr_workgroup_id_z 1
		.amdhsa_system_sgpr_workgroup_info 0
		.amdhsa_system_vgpr_workitem_id 1
		.amdhsa_next_free_vgpr 87
		.amdhsa_next_free_sgpr 32
		.amdhsa_reserve_vcc 1
		.amdhsa_float_round_mode_32 0
		.amdhsa_float_round_mode_16_64 0
		.amdhsa_float_denorm_mode_32 3
		.amdhsa_float_denorm_mode_16_64 3
		.amdhsa_dx10_clamp 1
		.amdhsa_ieee_mode 1
		.amdhsa_fp16_overflow 0
		.amdhsa_workgroup_processor_mode 1
		.amdhsa_memory_ordered 1
		.amdhsa_forward_progress 0
		.amdhsa_shared_vgpr_count 0
		.amdhsa_exception_fp_ieee_invalid_op 0
		.amdhsa_exception_fp_denorm_src 0
		.amdhsa_exception_fp_ieee_div_zero 0
		.amdhsa_exception_fp_ieee_overflow 0
		.amdhsa_exception_fp_ieee_underflow 0
		.amdhsa_exception_fp_ieee_inexact 0
		.amdhsa_exception_int_div_zero 0
	.end_amdhsa_kernel
	.section	.text._ZL41rocblas_syrkx_herkx_small_restrict_kernelIl19rocblas_complex_numIfELi16ELb1ELb1ELc78ELc85EKS1_S1_EviT_T0_PT6_S3_lS6_S3_lS4_PT7_S3_li,"axG",@progbits,_ZL41rocblas_syrkx_herkx_small_restrict_kernelIl19rocblas_complex_numIfELi16ELb1ELb1ELc78ELc85EKS1_S1_EviT_T0_PT6_S3_lS6_S3_lS4_PT7_S3_li,comdat
.Lfunc_end1275:
	.size	_ZL41rocblas_syrkx_herkx_small_restrict_kernelIl19rocblas_complex_numIfELi16ELb1ELb1ELc78ELc85EKS1_S1_EviT_T0_PT6_S3_lS6_S3_lS4_PT7_S3_li, .Lfunc_end1275-_ZL41rocblas_syrkx_herkx_small_restrict_kernelIl19rocblas_complex_numIfELi16ELb1ELb1ELc78ELc85EKS1_S1_EviT_T0_PT6_S3_lS6_S3_lS4_PT7_S3_li
                                        ; -- End function
	.section	.AMDGPU.csdata,"",@progbits
; Kernel info:
; codeLenInByte = 1352
; NumSgprs: 34
; NumVgprs: 87
; ScratchSize: 0
; MemoryBound: 0
; FloatMode: 240
; IeeeMode: 1
; LDSByteSize: 4096 bytes/workgroup (compile time only)
; SGPRBlocks: 4
; VGPRBlocks: 10
; NumSGPRsForWavesPerEU: 34
; NumVGPRsForWavesPerEU: 87
; Occupancy: 16
; WaveLimiterHint : 0
; COMPUTE_PGM_RSRC2:SCRATCH_EN: 0
; COMPUTE_PGM_RSRC2:USER_SGPR: 13
; COMPUTE_PGM_RSRC2:TRAP_HANDLER: 0
; COMPUTE_PGM_RSRC2:TGID_X_EN: 1
; COMPUTE_PGM_RSRC2:TGID_Y_EN: 1
; COMPUTE_PGM_RSRC2:TGID_Z_EN: 1
; COMPUTE_PGM_RSRC2:TIDIG_COMP_CNT: 1
	.section	.text._ZL41rocblas_syrkx_herkx_small_restrict_kernelIl19rocblas_complex_numIfELi16ELb0ELb1ELc84ELc76EKS1_S1_EviT_T0_PT6_S3_lS6_S3_lS4_PT7_S3_li,"axG",@progbits,_ZL41rocblas_syrkx_herkx_small_restrict_kernelIl19rocblas_complex_numIfELi16ELb0ELb1ELc84ELc76EKS1_S1_EviT_T0_PT6_S3_lS6_S3_lS4_PT7_S3_li,comdat
	.globl	_ZL41rocblas_syrkx_herkx_small_restrict_kernelIl19rocblas_complex_numIfELi16ELb0ELb1ELc84ELc76EKS1_S1_EviT_T0_PT6_S3_lS6_S3_lS4_PT7_S3_li ; -- Begin function _ZL41rocblas_syrkx_herkx_small_restrict_kernelIl19rocblas_complex_numIfELi16ELb0ELb1ELc84ELc76EKS1_S1_EviT_T0_PT6_S3_lS6_S3_lS4_PT7_S3_li
	.p2align	8
	.type	_ZL41rocblas_syrkx_herkx_small_restrict_kernelIl19rocblas_complex_numIfELi16ELb0ELb1ELc84ELc76EKS1_S1_EviT_T0_PT6_S3_lS6_S3_lS4_PT7_S3_li,@function
_ZL41rocblas_syrkx_herkx_small_restrict_kernelIl19rocblas_complex_numIfELi16ELb0ELb1ELc84ELc76EKS1_S1_EviT_T0_PT6_S3_lS6_S3_lS4_PT7_S3_li: ; @_ZL41rocblas_syrkx_herkx_small_restrict_kernelIl19rocblas_complex_numIfELi16ELb0ELb1ELc84ELc76EKS1_S1_EviT_T0_PT6_S3_lS6_S3_lS4_PT7_S3_li
; %bb.0:
	s_load_b512 s[16:31], s[0:1], 0x8
	v_dual_mov_b32 v12, 0 :: v_dual_and_b32 v3, 0x3ff, v0
	v_bfe_u32 v2, v0, 10, 10
	v_mov_b32_e32 v13, 0
	s_delay_alu instid0(VALU_DEP_3) | instskip(NEXT) | instid1(VALU_DEP_3)
	v_lshl_add_u32 v0, s13, 4, v3
	v_lshl_add_u32 v6, s14, 4, v2
	s_delay_alu instid0(VALU_DEP_2) | instskip(NEXT) | instid1(VALU_DEP_2)
	v_ashrrev_i32_e32 v1, 31, v0
	v_ashrrev_i32_e32 v7, 31, v6
	s_waitcnt lgkmcnt(0)
	v_cmp_lt_i64_e64 s2, s[16:17], 1
	s_delay_alu instid0(VALU_DEP_1)
	s_and_b32 vcc_lo, exec_lo, s2
	s_cbranch_vccnz .LBB1276_3
; %bb.1:
	v_mul_lo_u32 v11, s29, v6
	v_mul_lo_u32 v14, s28, v7
	v_mad_u64_u32 v[4:5], null, s28, v6, 0
	v_lshlrev_b32_e32 v8, 3, v3
	v_mul_lo_u32 v3, s23, v0
	v_mul_lo_u32 v15, s22, v1
	v_mad_u64_u32 v[12:13], null, s22, v0, 0
	s_mul_i32 s2, s31, s15
	v_add3_u32 v5, v5, v14, v11
	s_mul_hi_u32 s3, s30, s15
	s_mul_i32 s4, s25, s15
	s_add_i32 s3, s3, s2
	s_mul_i32 s2, s30, s15
	s_delay_alu instid0(VALU_DEP_2)
	v_add3_u32 v13, v13, v15, v3
	v_lshlrev_b64 v[3:4], 3, v[4:5]
	s_lshl_b64 s[2:3], s[2:3], 3
	s_mul_hi_u32 s5, s24, s15
	v_lshlrev_b32_e32 v10, 7, v2
	v_lshlrev_b64 v[12:13], 3, v[12:13]
	s_add_i32 s5, s5, s4
	s_mul_i32 s4, s24, s15
	v_add_co_u32 v3, vcc_lo, v3, s2
	v_add_co_ci_u32_e32 v4, vcc_lo, s3, v4, vcc_lo
	s_lshl_b64 s[2:3], s[4:5], 3
	v_lshlrev_b32_e32 v2, 3, v2
	v_add_co_u32 v5, vcc_lo, v12, s2
	v_add_co_ci_u32_e32 v12, vcc_lo, s3, v13, vcc_lo
	v_mov_b32_e32 v13, 0
	v_add_co_u32 v3, vcc_lo, v3, v8
	v_add_co_ci_u32_e32 v4, vcc_lo, 0, v4, vcc_lo
	v_add_co_u32 v5, vcc_lo, v5, v2
	v_add_co_ci_u32_e32 v12, vcc_lo, 0, v12, vcc_lo
	v_add_nc_u32_e32 v9, 0x800, v10
	v_add_co_u32 v2, vcc_lo, s26, v3
	v_add_co_ci_u32_e32 v3, vcc_lo, s27, v4, vcc_lo
	v_add_co_u32 v4, vcc_lo, s20, v5
	v_add_nc_u32_e32 v10, v8, v10
	v_add_co_ci_u32_e32 v5, vcc_lo, s21, v12, vcc_lo
	v_dual_mov_b32 v12, 0 :: v_dual_add_nc_u32 v11, v9, v8
	s_mov_b64 s[2:3], 0
.LBB1276_2:                             ; =>This Inner Loop Header: Depth=1
	global_load_b64 v[14:15], v[4:5], off
	global_load_b64 v[16:17], v[2:3], off
	s_add_u32 s2, s2, 16
	v_add_co_u32 v2, vcc_lo, 0x80, v2
	s_addc_u32 s3, s3, 0
	v_add_co_ci_u32_e32 v3, vcc_lo, 0, v3, vcc_lo
	v_cmp_lt_i64_e64 s4, s[2:3], s[16:17]
	v_add_co_u32 v4, vcc_lo, 0x80, v4
	v_add_co_ci_u32_e32 v5, vcc_lo, 0, v5, vcc_lo
	s_waitcnt vmcnt(1)
	ds_store_b64 v10, v[14:15]
	s_waitcnt vmcnt(0)
	ds_store_b64 v11, v[16:17]
	s_waitcnt lgkmcnt(0)
	s_barrier
	buffer_gl0_inv
	ds_load_2addr_b64 v[14:17], v8 offset1:16
	ds_load_b128 v[18:21], v9
	ds_load_b128 v[22:25], v9 offset:16
	ds_load_2addr_b64 v[26:29], v8 offset0:32 offset1:48
	ds_load_2addr_b64 v[30:33], v8 offset0:64 offset1:80
	ds_load_b128 v[34:37], v9 offset:32
	ds_load_b128 v[38:41], v9 offset:48
	ds_load_2addr_b64 v[42:45], v8 offset0:96 offset1:112
	ds_load_2addr_b64 v[46:49], v8 offset0:128 offset1:144
	;; [unrolled: 1-line block ×3, first 2 shown]
	ds_load_b128 v[54:57], v9 offset:64
	ds_load_b128 v[58:61], v9 offset:80
	ds_load_2addr_b64 v[62:65], v8 offset0:192 offset1:208
	ds_load_2addr_b64 v[66:69], v8 offset0:224 offset1:240
	ds_load_b128 v[70:73], v9 offset:96
	ds_load_b128 v[74:77], v9 offset:112
	s_and_b32 vcc_lo, exec_lo, s4
	s_waitcnt lgkmcnt(0)
	s_barrier
	buffer_gl0_inv
	v_dual_mul_f32 v78, v19, v15 :: v_dual_mul_f32 v79, v21, v17
	v_mul_f32_e32 v15, v18, v15
	v_dual_mul_f32 v17, v20, v17 :: v_dual_mul_f32 v80, v23, v27
	v_mul_f32_e32 v27, v22, v27
	s_delay_alu instid0(VALU_DEP_4) | instskip(SKIP_1) | instid1(VALU_DEP_4)
	v_fma_f32 v18, v18, v14, -v78
	v_dual_mul_f32 v81, v25, v29 :: v_dual_mul_f32 v82, v35, v31
	v_fmac_f32_e32 v17, v21, v16
	s_delay_alu instid0(VALU_DEP_4) | instskip(SKIP_4) | instid1(VALU_DEP_4)
	v_fmac_f32_e32 v27, v23, v26
	v_fmac_f32_e32 v15, v19, v14
	v_mul_f32_e32 v85, v41, v45
	v_dual_mul_f32 v29, v24, v29 :: v_dual_mul_f32 v84, v39, v43
	v_mul_f32_e32 v45, v40, v45
	v_add_f32_e32 v12, v12, v15
	v_mul_f32_e32 v31, v34, v31
	v_dual_add_f32 v13, v13, v18 :: v_dual_mul_f32 v18, v74, v67
	v_mul_f32_e32 v19, v56, v49
	s_delay_alu instid0(VALU_DEP_4) | instskip(SKIP_1) | instid1(VALU_DEP_3)
	v_add_f32_e32 v12, v12, v17
	v_dual_mul_f32 v83, v37, v33 :: v_dual_mul_f32 v86, v55, v47
	v_dual_fmac_f32 v18, v75, v66 :: v_dual_fmac_f32 v19, v57, v48
	s_delay_alu instid0(VALU_DEP_3) | instskip(SKIP_3) | instid1(VALU_DEP_4)
	v_dual_fmac_f32 v29, v25, v28 :: v_dual_add_f32 v12, v12, v27
	v_mul_f32_e32 v33, v36, v33
	v_mul_f32_e32 v47, v54, v47
	v_fmac_f32_e32 v31, v35, v30
	v_dual_mul_f32 v43, v38, v43 :: v_dual_add_f32 v12, v12, v29
	v_fma_f32 v14, v20, v16, -v79
	v_dual_mul_f32 v20, v59, v51 :: v_dual_fmac_f32 v33, v37, v32
	v_mul_f32_e32 v16, v57, v49
	s_delay_alu instid0(VALU_DEP_4) | instskip(SKIP_3) | instid1(VALU_DEP_4)
	v_add_f32_e32 v12, v12, v31
	v_mul_f32_e32 v21, v58, v51
	v_add_f32_e32 v13, v13, v14
	v_dual_mul_f32 v14, v77, v69 :: v_dual_fmac_f32 v43, v39, v42
	v_add_f32_e32 v12, v12, v33
	v_mul_f32_e32 v49, v61, v53
	v_fmac_f32_e32 v45, v41, v44
	v_mul_f32_e32 v51, v60, v53
	s_delay_alu instid0(VALU_DEP_4) | instskip(SKIP_2) | instid1(VALU_DEP_4)
	v_dual_fmac_f32 v47, v55, v46 :: v_dual_add_f32 v12, v12, v43
	v_mul_f32_e32 v53, v71, v63
	v_fmac_f32_e32 v21, v59, v50
	v_fmac_f32_e32 v51, v61, v52
	v_mul_f32_e32 v25, v72, v65
	v_add_f32_e32 v12, v12, v45
	v_fma_f32 v22, v22, v26, -v80
	v_mul_f32_e32 v17, v76, v69
	v_fma_f32 v23, v24, v28, -v81
	s_delay_alu instid0(VALU_DEP_4) | instskip(SKIP_1) | instid1(VALU_DEP_4)
	v_dual_fmac_f32 v25, v73, v64 :: v_dual_add_f32 v12, v12, v47
	v_fma_f32 v16, v56, v48, -v16
	v_fmac_f32_e32 v17, v77, v68
	v_fma_f32 v20, v58, v50, -v20
	v_mul_f32_e32 v24, v73, v65
	v_add_f32_e32 v12, v12, v19
	v_mul_f32_e32 v63, v70, v63
	v_fma_f32 v19, v70, v62, -v53
	v_fma_f32 v14, v76, v68, -v14
	s_delay_alu instid0(VALU_DEP_3) | instskip(NEXT) | instid1(VALU_DEP_1)
	v_dual_add_f32 v12, v12, v21 :: v_dual_fmac_f32 v63, v71, v62
	v_add_f32_e32 v12, v12, v51
	s_delay_alu instid0(VALU_DEP_1) | instskip(NEXT) | instid1(VALU_DEP_1)
	v_add_f32_e32 v12, v12, v63
	v_dual_mul_f32 v15, v75, v67 :: v_dual_add_f32 v12, v12, v25
	s_delay_alu instid0(VALU_DEP_1) | instskip(NEXT) | instid1(VALU_DEP_2)
	v_fma_f32 v15, v74, v66, -v15
	v_add_f32_e32 v12, v12, v18
	v_add_f32_e32 v13, v13, v22
	v_fma_f32 v22, v34, v30, -v82
	s_delay_alu instid0(VALU_DEP_2) | instskip(SKIP_1) | instid1(VALU_DEP_2)
	v_dual_add_f32 v12, v12, v17 :: v_dual_add_f32 v13, v13, v23
	v_fma_f32 v23, v36, v32, -v83
	v_add_f32_e32 v13, v13, v22
	v_fma_f32 v22, v38, v42, -v84
	s_delay_alu instid0(VALU_DEP_2) | instskip(SKIP_1) | instid1(VALU_DEP_2)
	v_add_f32_e32 v13, v13, v23
	v_fma_f32 v23, v40, v44, -v85
	v_add_f32_e32 v13, v13, v22
	v_fma_f32 v22, v54, v46, -v86
	s_delay_alu instid0(VALU_DEP_2) | instskip(NEXT) | instid1(VALU_DEP_1)
	v_add_f32_e32 v13, v13, v23
	v_add_f32_e32 v13, v13, v22
	s_delay_alu instid0(VALU_DEP_1) | instskip(SKIP_1) | instid1(VALU_DEP_2)
	v_add_f32_e32 v13, v13, v16
	v_fma_f32 v16, v60, v52, -v49
	v_add_f32_e32 v13, v13, v20
	s_delay_alu instid0(VALU_DEP_1) | instskip(SKIP_1) | instid1(VALU_DEP_2)
	v_add_f32_e32 v13, v13, v16
	v_fma_f32 v16, v72, v64, -v24
	v_add_f32_e32 v13, v13, v19
	s_delay_alu instid0(VALU_DEP_1) | instskip(NEXT) | instid1(VALU_DEP_1)
	v_add_f32_e32 v13, v13, v16
	v_add_f32_e32 v13, v13, v15
	s_delay_alu instid0(VALU_DEP_1)
	v_add_f32_e32 v13, v13, v14
	s_cbranch_vccnz .LBB1276_2
.LBB1276_3:
	s_load_b256 s[0:7], s[0:1], 0x48
	s_mov_b32 s8, exec_lo
	v_cmpx_le_i32_e64 v6, v0
	s_cbranch_execz .LBB1276_6
; %bb.4:
	s_waitcnt lgkmcnt(0)
	v_mul_lo_u32 v4, v6, s5
	v_mul_lo_u32 v5, v7, s4
	v_mad_u64_u32 v[2:3], null, v6, s4, 0
	s_mul_i32 s5, s15, s7
	s_mul_hi_u32 s7, s15, s6
	s_mul_i32 s4, s15, s6
	s_add_i32 s5, s7, s5
	v_mul_f32_e32 v7, s18, v12
	s_lshl_b64 s[4:5], s[4:5], 3
	s_delay_alu instid0(VALU_DEP_2)
	v_add3_u32 v3, v3, v4, v5
	s_add_u32 s2, s2, s4
	v_lshlrev_b64 v[4:5], 3, v[0:1]
	s_addc_u32 s3, s3, s5
	v_fmac_f32_e32 v7, s19, v13
	v_lshlrev_b64 v[2:3], 3, v[2:3]
	s_delay_alu instid0(VALU_DEP_1) | instskip(NEXT) | instid1(VALU_DEP_2)
	v_add_co_u32 v1, vcc_lo, s2, v2
	v_add_co_ci_u32_e32 v2, vcc_lo, s3, v3, vcc_lo
	s_delay_alu instid0(VALU_DEP_2) | instskip(NEXT) | instid1(VALU_DEP_2)
	v_add_co_u32 v1, vcc_lo, v1, v4
	v_add_co_ci_u32_e32 v2, vcc_lo, v2, v5, vcc_lo
	v_cmp_eq_u32_e32 vcc_lo, v0, v6
	global_load_b64 v[3:4], v[1:2], off
	s_waitcnt vmcnt(0)
	v_mul_f32_e32 v8, s1, v4
	v_mul_f32_e32 v4, s0, v4
	;; [unrolled: 1-line block ×3, first 2 shown]
	s_delay_alu instid0(VALU_DEP_3) | instskip(NEXT) | instid1(VALU_DEP_3)
	v_fma_f32 v8, v3, s0, -v8
	v_fmac_f32_e32 v4, s1, v3
	s_delay_alu instid0(VALU_DEP_3) | instskip(NEXT) | instid1(VALU_DEP_2)
	v_fma_f32 v5, v13, s18, -v5
	v_add_f32_e32 v4, v7, v4
	s_delay_alu instid0(VALU_DEP_2)
	v_add_f32_e32 v3, v5, v8
	global_store_b64 v[1:2], v[3:4], off
	s_and_b32 exec_lo, exec_lo, vcc_lo
	s_cbranch_execz .LBB1276_6
; %bb.5:
	v_mov_b32_e32 v0, 0
	global_store_b32 v[1:2], v0, off offset:4
.LBB1276_6:
	s_nop 0
	s_sendmsg sendmsg(MSG_DEALLOC_VGPRS)
	s_endpgm
	.section	.rodata,"a",@progbits
	.p2align	6, 0x0
	.amdhsa_kernel _ZL41rocblas_syrkx_herkx_small_restrict_kernelIl19rocblas_complex_numIfELi16ELb0ELb1ELc84ELc76EKS1_S1_EviT_T0_PT6_S3_lS6_S3_lS4_PT7_S3_li
		.amdhsa_group_segment_fixed_size 4096
		.amdhsa_private_segment_fixed_size 0
		.amdhsa_kernarg_size 108
		.amdhsa_user_sgpr_count 13
		.amdhsa_user_sgpr_dispatch_ptr 0
		.amdhsa_user_sgpr_queue_ptr 0
		.amdhsa_user_sgpr_kernarg_segment_ptr 1
		.amdhsa_user_sgpr_dispatch_id 0
		.amdhsa_user_sgpr_private_segment_size 0
		.amdhsa_wavefront_size32 1
		.amdhsa_uses_dynamic_stack 0
		.amdhsa_enable_private_segment 0
		.amdhsa_system_sgpr_workgroup_id_x 1
		.amdhsa_system_sgpr_workgroup_id_y 1
		.amdhsa_system_sgpr_workgroup_id_z 1
		.amdhsa_system_sgpr_workgroup_info 0
		.amdhsa_system_vgpr_workitem_id 1
		.amdhsa_next_free_vgpr 87
		.amdhsa_next_free_sgpr 32
		.amdhsa_reserve_vcc 1
		.amdhsa_float_round_mode_32 0
		.amdhsa_float_round_mode_16_64 0
		.amdhsa_float_denorm_mode_32 3
		.amdhsa_float_denorm_mode_16_64 3
		.amdhsa_dx10_clamp 1
		.amdhsa_ieee_mode 1
		.amdhsa_fp16_overflow 0
		.amdhsa_workgroup_processor_mode 1
		.amdhsa_memory_ordered 1
		.amdhsa_forward_progress 0
		.amdhsa_shared_vgpr_count 0
		.amdhsa_exception_fp_ieee_invalid_op 0
		.amdhsa_exception_fp_denorm_src 0
		.amdhsa_exception_fp_ieee_div_zero 0
		.amdhsa_exception_fp_ieee_overflow 0
		.amdhsa_exception_fp_ieee_underflow 0
		.amdhsa_exception_fp_ieee_inexact 0
		.amdhsa_exception_int_div_zero 0
	.end_amdhsa_kernel
	.section	.text._ZL41rocblas_syrkx_herkx_small_restrict_kernelIl19rocblas_complex_numIfELi16ELb0ELb1ELc84ELc76EKS1_S1_EviT_T0_PT6_S3_lS6_S3_lS4_PT7_S3_li,"axG",@progbits,_ZL41rocblas_syrkx_herkx_small_restrict_kernelIl19rocblas_complex_numIfELi16ELb0ELb1ELc84ELc76EKS1_S1_EviT_T0_PT6_S3_lS6_S3_lS4_PT7_S3_li,comdat
.Lfunc_end1276:
	.size	_ZL41rocblas_syrkx_herkx_small_restrict_kernelIl19rocblas_complex_numIfELi16ELb0ELb1ELc84ELc76EKS1_S1_EviT_T0_PT6_S3_lS6_S3_lS4_PT7_S3_li, .Lfunc_end1276-_ZL41rocblas_syrkx_herkx_small_restrict_kernelIl19rocblas_complex_numIfELi16ELb0ELb1ELc84ELc76EKS1_S1_EviT_T0_PT6_S3_lS6_S3_lS4_PT7_S3_li
                                        ; -- End function
	.section	.AMDGPU.csdata,"",@progbits
; Kernel info:
; codeLenInByte = 1352
; NumSgprs: 34
; NumVgprs: 87
; ScratchSize: 0
; MemoryBound: 0
; FloatMode: 240
; IeeeMode: 1
; LDSByteSize: 4096 bytes/workgroup (compile time only)
; SGPRBlocks: 4
; VGPRBlocks: 10
; NumSGPRsForWavesPerEU: 34
; NumVGPRsForWavesPerEU: 87
; Occupancy: 16
; WaveLimiterHint : 0
; COMPUTE_PGM_RSRC2:SCRATCH_EN: 0
; COMPUTE_PGM_RSRC2:USER_SGPR: 13
; COMPUTE_PGM_RSRC2:TRAP_HANDLER: 0
; COMPUTE_PGM_RSRC2:TGID_X_EN: 1
; COMPUTE_PGM_RSRC2:TGID_Y_EN: 1
; COMPUTE_PGM_RSRC2:TGID_Z_EN: 1
; COMPUTE_PGM_RSRC2:TIDIG_COMP_CNT: 1
	.section	.text._ZL41rocblas_syrkx_herkx_small_restrict_kernelIl19rocblas_complex_numIfELi16ELb0ELb1ELc67ELc76EKS1_S1_EviT_T0_PT6_S3_lS6_S3_lS4_PT7_S3_li,"axG",@progbits,_ZL41rocblas_syrkx_herkx_small_restrict_kernelIl19rocblas_complex_numIfELi16ELb0ELb1ELc67ELc76EKS1_S1_EviT_T0_PT6_S3_lS6_S3_lS4_PT7_S3_li,comdat
	.globl	_ZL41rocblas_syrkx_herkx_small_restrict_kernelIl19rocblas_complex_numIfELi16ELb0ELb1ELc67ELc76EKS1_S1_EviT_T0_PT6_S3_lS6_S3_lS4_PT7_S3_li ; -- Begin function _ZL41rocblas_syrkx_herkx_small_restrict_kernelIl19rocblas_complex_numIfELi16ELb0ELb1ELc67ELc76EKS1_S1_EviT_T0_PT6_S3_lS6_S3_lS4_PT7_S3_li
	.p2align	8
	.type	_ZL41rocblas_syrkx_herkx_small_restrict_kernelIl19rocblas_complex_numIfELi16ELb0ELb1ELc67ELc76EKS1_S1_EviT_T0_PT6_S3_lS6_S3_lS4_PT7_S3_li,@function
_ZL41rocblas_syrkx_herkx_small_restrict_kernelIl19rocblas_complex_numIfELi16ELb0ELb1ELc67ELc76EKS1_S1_EviT_T0_PT6_S3_lS6_S3_lS4_PT7_S3_li: ; @_ZL41rocblas_syrkx_herkx_small_restrict_kernelIl19rocblas_complex_numIfELi16ELb0ELb1ELc67ELc76EKS1_S1_EviT_T0_PT6_S3_lS6_S3_lS4_PT7_S3_li
; %bb.0:
	s_load_b512 s[16:31], s[0:1], 0x8
	v_dual_mov_b32 v12, 0 :: v_dual_and_b32 v3, 0x3ff, v0
	v_bfe_u32 v2, v0, 10, 10
	v_mov_b32_e32 v13, 0
	s_delay_alu instid0(VALU_DEP_3) | instskip(NEXT) | instid1(VALU_DEP_3)
	v_lshl_add_u32 v0, s13, 4, v3
	v_lshl_add_u32 v6, s14, 4, v2
	s_delay_alu instid0(VALU_DEP_2) | instskip(NEXT) | instid1(VALU_DEP_2)
	v_ashrrev_i32_e32 v1, 31, v0
	v_ashrrev_i32_e32 v7, 31, v6
	s_waitcnt lgkmcnt(0)
	v_cmp_lt_i64_e64 s2, s[16:17], 1
	s_delay_alu instid0(VALU_DEP_1)
	s_and_b32 vcc_lo, exec_lo, s2
	s_cbranch_vccnz .LBB1277_3
; %bb.1:
	v_mul_lo_u32 v15, s23, v0
	v_mul_lo_u32 v16, s22, v1
	v_mad_u64_u32 v[12:13], null, s22, v0, 0
	v_mul_lo_u32 v10, s29, v6
	v_mul_lo_u32 v11, s28, v7
	v_mad_u64_u32 v[4:5], null, s28, v6, 0
	s_mul_i32 s4, s25, s15
	s_mul_hi_u32 s5, s24, s15
	s_delay_alu instid0(VALU_DEP_4) | instskip(SKIP_3) | instid1(VALU_DEP_3)
	v_add3_u32 v13, v13, v16, v15
	s_add_i32 s5, s5, s4
	s_mul_i32 s4, s24, s15
	v_lshlrev_b32_e32 v8, 3, v3
	v_add3_u32 v5, v5, v11, v10
	v_lshlrev_b64 v[12:13], 3, v[12:13]
	s_mul_i32 s2, s31, s15
	s_mul_hi_u32 s3, s30, s15
	s_lshl_b64 s[4:5], s[4:5], 3
	v_lshlrev_b64 v[3:4], 3, v[4:5]
	s_add_i32 s3, s3, s2
	s_mul_i32 s2, s30, s15
	v_add_co_u32 v5, vcc_lo, v12, s4
	v_lshlrev_b32_e32 v14, 7, v2
	s_lshl_b64 s[2:3], s[2:3], 3
	v_lshlrev_b32_e32 v2, 3, v2
	v_add_co_ci_u32_e32 v12, vcc_lo, s5, v13, vcc_lo
	v_mov_b32_e32 v13, 0
	v_add_co_u32 v3, vcc_lo, v3, s2
	v_add_co_ci_u32_e32 v4, vcc_lo, s3, v4, vcc_lo
	v_add_co_u32 v2, vcc_lo, v5, v2
	v_add_co_ci_u32_e32 v5, vcc_lo, 0, v12, vcc_lo
	s_delay_alu instid0(VALU_DEP_4) | instskip(NEXT) | instid1(VALU_DEP_4)
	v_add_co_u32 v3, vcc_lo, v3, v8
	v_add_co_ci_u32_e32 v4, vcc_lo, 0, v4, vcc_lo
	s_delay_alu instid0(VALU_DEP_4) | instskip(NEXT) | instid1(VALU_DEP_4)
	v_add_co_u32 v12, vcc_lo, v2, s20
	v_add_co_ci_u32_e32 v5, vcc_lo, s21, v5, vcc_lo
	v_add_nc_u32_e32 v9, 0x800, v14
	v_add_co_u32 v2, vcc_lo, s26, v3
	v_add_co_ci_u32_e32 v3, vcc_lo, s27, v4, vcc_lo
	v_add_co_u32 v4, vcc_lo, v12, 4
	v_mov_b32_e32 v12, 0
	v_add_nc_u32_e32 v10, v8, v14
	v_add_nc_u32_e32 v11, v9, v8
	v_add_co_ci_u32_e32 v5, vcc_lo, 0, v5, vcc_lo
	s_mov_b64 s[2:3], 0
.LBB1277_2:                             ; =>This Inner Loop Header: Depth=1
	global_load_b64 v[14:15], v[4:5], off offset:-4
	global_load_b64 v[16:17], v[2:3], off
	s_add_u32 s2, s2, 16
	v_add_co_u32 v2, vcc_lo, 0x80, v2
	s_addc_u32 s3, s3, 0
	v_add_co_ci_u32_e32 v3, vcc_lo, 0, v3, vcc_lo
	v_cmp_lt_i64_e64 s4, s[2:3], s[16:17]
	v_add_co_u32 v4, vcc_lo, 0x80, v4
	v_add_co_ci_u32_e32 v5, vcc_lo, 0, v5, vcc_lo
	s_delay_alu instid0(VALU_DEP_3)
	s_and_b32 vcc_lo, exec_lo, s4
	s_waitcnt vmcnt(1)
	v_xor_b32_e32 v15, 0x80000000, v15
	ds_store_b64 v10, v[14:15]
	s_waitcnt vmcnt(0)
	ds_store_b64 v11, v[16:17]
	s_waitcnt lgkmcnt(0)
	s_barrier
	buffer_gl0_inv
	ds_load_2addr_b64 v[14:17], v8 offset1:16
	ds_load_b128 v[18:21], v9
	ds_load_b128 v[22:25], v9 offset:16
	ds_load_2addr_b64 v[26:29], v8 offset0:32 offset1:48
	ds_load_2addr_b64 v[30:33], v8 offset0:64 offset1:80
	ds_load_b128 v[34:37], v9 offset:32
	ds_load_b128 v[38:41], v9 offset:48
	ds_load_2addr_b64 v[42:45], v8 offset0:96 offset1:112
	ds_load_2addr_b64 v[46:49], v8 offset0:128 offset1:144
	;; [unrolled: 1-line block ×3, first 2 shown]
	ds_load_b128 v[54:57], v9 offset:64
	ds_load_b128 v[58:61], v9 offset:80
	ds_load_2addr_b64 v[62:65], v8 offset0:192 offset1:208
	ds_load_2addr_b64 v[66:69], v8 offset0:224 offset1:240
	ds_load_b128 v[70:73], v9 offset:96
	ds_load_b128 v[74:77], v9 offset:112
	s_waitcnt lgkmcnt(0)
	s_barrier
	buffer_gl0_inv
	v_dual_mul_f32 v78, v19, v15 :: v_dual_mul_f32 v79, v21, v17
	v_mul_f32_e32 v15, v18, v15
	v_dual_mul_f32 v17, v20, v17 :: v_dual_mul_f32 v80, v23, v27
	v_mul_f32_e32 v27, v22, v27
	s_delay_alu instid0(VALU_DEP_4) | instskip(SKIP_1) | instid1(VALU_DEP_4)
	v_fma_f32 v18, v18, v14, -v78
	v_dual_mul_f32 v81, v25, v29 :: v_dual_mul_f32 v82, v35, v31
	v_fmac_f32_e32 v17, v21, v16
	s_delay_alu instid0(VALU_DEP_4) | instskip(SKIP_4) | instid1(VALU_DEP_4)
	v_fmac_f32_e32 v27, v23, v26
	v_fmac_f32_e32 v15, v19, v14
	v_mul_f32_e32 v85, v41, v45
	v_dual_mul_f32 v29, v24, v29 :: v_dual_mul_f32 v84, v39, v43
	v_mul_f32_e32 v45, v40, v45
	v_add_f32_e32 v12, v12, v15
	v_mul_f32_e32 v31, v34, v31
	v_dual_add_f32 v13, v13, v18 :: v_dual_mul_f32 v18, v74, v67
	v_mul_f32_e32 v19, v56, v49
	s_delay_alu instid0(VALU_DEP_4) | instskip(SKIP_1) | instid1(VALU_DEP_3)
	v_add_f32_e32 v12, v12, v17
	v_dual_mul_f32 v83, v37, v33 :: v_dual_mul_f32 v86, v55, v47
	v_dual_fmac_f32 v18, v75, v66 :: v_dual_fmac_f32 v19, v57, v48
	s_delay_alu instid0(VALU_DEP_3) | instskip(SKIP_3) | instid1(VALU_DEP_4)
	v_dual_fmac_f32 v29, v25, v28 :: v_dual_add_f32 v12, v12, v27
	v_mul_f32_e32 v33, v36, v33
	v_mul_f32_e32 v47, v54, v47
	v_fmac_f32_e32 v31, v35, v30
	v_dual_mul_f32 v43, v38, v43 :: v_dual_add_f32 v12, v12, v29
	v_fma_f32 v14, v20, v16, -v79
	v_dual_mul_f32 v20, v59, v51 :: v_dual_fmac_f32 v33, v37, v32
	v_mul_f32_e32 v16, v57, v49
	s_delay_alu instid0(VALU_DEP_4) | instskip(SKIP_3) | instid1(VALU_DEP_4)
	v_add_f32_e32 v12, v12, v31
	v_mul_f32_e32 v21, v58, v51
	v_add_f32_e32 v13, v13, v14
	v_dual_mul_f32 v14, v77, v69 :: v_dual_fmac_f32 v43, v39, v42
	v_add_f32_e32 v12, v12, v33
	v_mul_f32_e32 v49, v61, v53
	v_fmac_f32_e32 v45, v41, v44
	v_mul_f32_e32 v51, v60, v53
	s_delay_alu instid0(VALU_DEP_4) | instskip(SKIP_2) | instid1(VALU_DEP_4)
	v_dual_fmac_f32 v47, v55, v46 :: v_dual_add_f32 v12, v12, v43
	v_mul_f32_e32 v53, v71, v63
	v_fmac_f32_e32 v21, v59, v50
	v_fmac_f32_e32 v51, v61, v52
	v_mul_f32_e32 v25, v72, v65
	v_add_f32_e32 v12, v12, v45
	v_fma_f32 v22, v22, v26, -v80
	v_mul_f32_e32 v17, v76, v69
	v_fma_f32 v23, v24, v28, -v81
	s_delay_alu instid0(VALU_DEP_4) | instskip(SKIP_1) | instid1(VALU_DEP_4)
	v_dual_fmac_f32 v25, v73, v64 :: v_dual_add_f32 v12, v12, v47
	v_fma_f32 v16, v56, v48, -v16
	v_fmac_f32_e32 v17, v77, v68
	v_fma_f32 v20, v58, v50, -v20
	v_mul_f32_e32 v24, v73, v65
	v_add_f32_e32 v12, v12, v19
	v_mul_f32_e32 v63, v70, v63
	v_fma_f32 v19, v70, v62, -v53
	v_fma_f32 v14, v76, v68, -v14
	s_delay_alu instid0(VALU_DEP_3) | instskip(NEXT) | instid1(VALU_DEP_1)
	v_dual_add_f32 v12, v12, v21 :: v_dual_fmac_f32 v63, v71, v62
	v_add_f32_e32 v12, v12, v51
	s_delay_alu instid0(VALU_DEP_1) | instskip(NEXT) | instid1(VALU_DEP_1)
	v_add_f32_e32 v12, v12, v63
	v_dual_mul_f32 v15, v75, v67 :: v_dual_add_f32 v12, v12, v25
	s_delay_alu instid0(VALU_DEP_1) | instskip(NEXT) | instid1(VALU_DEP_2)
	v_fma_f32 v15, v74, v66, -v15
	v_add_f32_e32 v12, v12, v18
	v_add_f32_e32 v13, v13, v22
	v_fma_f32 v22, v34, v30, -v82
	s_delay_alu instid0(VALU_DEP_2) | instskip(SKIP_1) | instid1(VALU_DEP_2)
	v_dual_add_f32 v12, v12, v17 :: v_dual_add_f32 v13, v13, v23
	v_fma_f32 v23, v36, v32, -v83
	v_add_f32_e32 v13, v13, v22
	v_fma_f32 v22, v38, v42, -v84
	s_delay_alu instid0(VALU_DEP_2) | instskip(SKIP_1) | instid1(VALU_DEP_2)
	v_add_f32_e32 v13, v13, v23
	v_fma_f32 v23, v40, v44, -v85
	v_add_f32_e32 v13, v13, v22
	v_fma_f32 v22, v54, v46, -v86
	s_delay_alu instid0(VALU_DEP_2) | instskip(NEXT) | instid1(VALU_DEP_1)
	v_add_f32_e32 v13, v13, v23
	v_add_f32_e32 v13, v13, v22
	s_delay_alu instid0(VALU_DEP_1) | instskip(SKIP_1) | instid1(VALU_DEP_2)
	v_add_f32_e32 v13, v13, v16
	v_fma_f32 v16, v60, v52, -v49
	v_add_f32_e32 v13, v13, v20
	s_delay_alu instid0(VALU_DEP_1) | instskip(SKIP_1) | instid1(VALU_DEP_2)
	v_add_f32_e32 v13, v13, v16
	v_fma_f32 v16, v72, v64, -v24
	v_add_f32_e32 v13, v13, v19
	s_delay_alu instid0(VALU_DEP_1) | instskip(NEXT) | instid1(VALU_DEP_1)
	v_add_f32_e32 v13, v13, v16
	v_add_f32_e32 v13, v13, v15
	s_delay_alu instid0(VALU_DEP_1)
	v_add_f32_e32 v13, v13, v14
	s_cbranch_vccnz .LBB1277_2
.LBB1277_3:
	s_load_b256 s[0:7], s[0:1], 0x48
	s_mov_b32 s8, exec_lo
	v_cmpx_le_i32_e64 v6, v0
	s_cbranch_execz .LBB1277_6
; %bb.4:
	s_waitcnt lgkmcnt(0)
	v_mul_lo_u32 v4, v6, s5
	v_mul_lo_u32 v5, v7, s4
	v_mad_u64_u32 v[2:3], null, v6, s4, 0
	s_mul_i32 s5, s15, s7
	s_mul_hi_u32 s7, s15, s6
	s_mul_i32 s4, s15, s6
	s_add_i32 s5, s7, s5
	v_mul_f32_e32 v7, s18, v12
	s_lshl_b64 s[4:5], s[4:5], 3
	s_delay_alu instid0(VALU_DEP_2)
	v_add3_u32 v3, v3, v4, v5
	s_add_u32 s2, s2, s4
	v_lshlrev_b64 v[4:5], 3, v[0:1]
	s_addc_u32 s3, s3, s5
	v_fmac_f32_e32 v7, s19, v13
	v_lshlrev_b64 v[2:3], 3, v[2:3]
	s_delay_alu instid0(VALU_DEP_1) | instskip(NEXT) | instid1(VALU_DEP_2)
	v_add_co_u32 v1, vcc_lo, s2, v2
	v_add_co_ci_u32_e32 v2, vcc_lo, s3, v3, vcc_lo
	s_delay_alu instid0(VALU_DEP_2) | instskip(NEXT) | instid1(VALU_DEP_2)
	v_add_co_u32 v1, vcc_lo, v1, v4
	v_add_co_ci_u32_e32 v2, vcc_lo, v2, v5, vcc_lo
	v_cmp_eq_u32_e32 vcc_lo, v0, v6
	global_load_b64 v[3:4], v[1:2], off
	s_waitcnt vmcnt(0)
	v_mul_f32_e32 v8, s1, v4
	v_mul_f32_e32 v4, s0, v4
	;; [unrolled: 1-line block ×3, first 2 shown]
	s_delay_alu instid0(VALU_DEP_3) | instskip(NEXT) | instid1(VALU_DEP_3)
	v_fma_f32 v8, v3, s0, -v8
	v_fmac_f32_e32 v4, s1, v3
	s_delay_alu instid0(VALU_DEP_3) | instskip(NEXT) | instid1(VALU_DEP_2)
	v_fma_f32 v5, v13, s18, -v5
	v_add_f32_e32 v4, v7, v4
	s_delay_alu instid0(VALU_DEP_2)
	v_add_f32_e32 v3, v5, v8
	global_store_b64 v[1:2], v[3:4], off
	s_and_b32 exec_lo, exec_lo, vcc_lo
	s_cbranch_execz .LBB1277_6
; %bb.5:
	v_mov_b32_e32 v0, 0
	global_store_b32 v[1:2], v0, off offset:4
.LBB1277_6:
	s_nop 0
	s_sendmsg sendmsg(MSG_DEALLOC_VGPRS)
	s_endpgm
	.section	.rodata,"a",@progbits
	.p2align	6, 0x0
	.amdhsa_kernel _ZL41rocblas_syrkx_herkx_small_restrict_kernelIl19rocblas_complex_numIfELi16ELb0ELb1ELc67ELc76EKS1_S1_EviT_T0_PT6_S3_lS6_S3_lS4_PT7_S3_li
		.amdhsa_group_segment_fixed_size 4096
		.amdhsa_private_segment_fixed_size 0
		.amdhsa_kernarg_size 108
		.amdhsa_user_sgpr_count 13
		.amdhsa_user_sgpr_dispatch_ptr 0
		.amdhsa_user_sgpr_queue_ptr 0
		.amdhsa_user_sgpr_kernarg_segment_ptr 1
		.amdhsa_user_sgpr_dispatch_id 0
		.amdhsa_user_sgpr_private_segment_size 0
		.amdhsa_wavefront_size32 1
		.amdhsa_uses_dynamic_stack 0
		.amdhsa_enable_private_segment 0
		.amdhsa_system_sgpr_workgroup_id_x 1
		.amdhsa_system_sgpr_workgroup_id_y 1
		.amdhsa_system_sgpr_workgroup_id_z 1
		.amdhsa_system_sgpr_workgroup_info 0
		.amdhsa_system_vgpr_workitem_id 1
		.amdhsa_next_free_vgpr 87
		.amdhsa_next_free_sgpr 32
		.amdhsa_reserve_vcc 1
		.amdhsa_float_round_mode_32 0
		.amdhsa_float_round_mode_16_64 0
		.amdhsa_float_denorm_mode_32 3
		.amdhsa_float_denorm_mode_16_64 3
		.amdhsa_dx10_clamp 1
		.amdhsa_ieee_mode 1
		.amdhsa_fp16_overflow 0
		.amdhsa_workgroup_processor_mode 1
		.amdhsa_memory_ordered 1
		.amdhsa_forward_progress 0
		.amdhsa_shared_vgpr_count 0
		.amdhsa_exception_fp_ieee_invalid_op 0
		.amdhsa_exception_fp_denorm_src 0
		.amdhsa_exception_fp_ieee_div_zero 0
		.amdhsa_exception_fp_ieee_overflow 0
		.amdhsa_exception_fp_ieee_underflow 0
		.amdhsa_exception_fp_ieee_inexact 0
		.amdhsa_exception_int_div_zero 0
	.end_amdhsa_kernel
	.section	.text._ZL41rocblas_syrkx_herkx_small_restrict_kernelIl19rocblas_complex_numIfELi16ELb0ELb1ELc67ELc76EKS1_S1_EviT_T0_PT6_S3_lS6_S3_lS4_PT7_S3_li,"axG",@progbits,_ZL41rocblas_syrkx_herkx_small_restrict_kernelIl19rocblas_complex_numIfELi16ELb0ELb1ELc67ELc76EKS1_S1_EviT_T0_PT6_S3_lS6_S3_lS4_PT7_S3_li,comdat
.Lfunc_end1277:
	.size	_ZL41rocblas_syrkx_herkx_small_restrict_kernelIl19rocblas_complex_numIfELi16ELb0ELb1ELc67ELc76EKS1_S1_EviT_T0_PT6_S3_lS6_S3_lS4_PT7_S3_li, .Lfunc_end1277-_ZL41rocblas_syrkx_herkx_small_restrict_kernelIl19rocblas_complex_numIfELi16ELb0ELb1ELc67ELc76EKS1_S1_EviT_T0_PT6_S3_lS6_S3_lS4_PT7_S3_li
                                        ; -- End function
	.section	.AMDGPU.csdata,"",@progbits
; Kernel info:
; codeLenInByte = 1384
; NumSgprs: 34
; NumVgprs: 87
; ScratchSize: 0
; MemoryBound: 0
; FloatMode: 240
; IeeeMode: 1
; LDSByteSize: 4096 bytes/workgroup (compile time only)
; SGPRBlocks: 4
; VGPRBlocks: 10
; NumSGPRsForWavesPerEU: 34
; NumVGPRsForWavesPerEU: 87
; Occupancy: 16
; WaveLimiterHint : 0
; COMPUTE_PGM_RSRC2:SCRATCH_EN: 0
; COMPUTE_PGM_RSRC2:USER_SGPR: 13
; COMPUTE_PGM_RSRC2:TRAP_HANDLER: 0
; COMPUTE_PGM_RSRC2:TGID_X_EN: 1
; COMPUTE_PGM_RSRC2:TGID_Y_EN: 1
; COMPUTE_PGM_RSRC2:TGID_Z_EN: 1
; COMPUTE_PGM_RSRC2:TIDIG_COMP_CNT: 1
	.section	.text._ZL41rocblas_syrkx_herkx_small_restrict_kernelIl19rocblas_complex_numIfELi16ELb0ELb1ELc78ELc76EKS1_S1_EviT_T0_PT6_S3_lS6_S3_lS4_PT7_S3_li,"axG",@progbits,_ZL41rocblas_syrkx_herkx_small_restrict_kernelIl19rocblas_complex_numIfELi16ELb0ELb1ELc78ELc76EKS1_S1_EviT_T0_PT6_S3_lS6_S3_lS4_PT7_S3_li,comdat
	.globl	_ZL41rocblas_syrkx_herkx_small_restrict_kernelIl19rocblas_complex_numIfELi16ELb0ELb1ELc78ELc76EKS1_S1_EviT_T0_PT6_S3_lS6_S3_lS4_PT7_S3_li ; -- Begin function _ZL41rocblas_syrkx_herkx_small_restrict_kernelIl19rocblas_complex_numIfELi16ELb0ELb1ELc78ELc76EKS1_S1_EviT_T0_PT6_S3_lS6_S3_lS4_PT7_S3_li
	.p2align	8
	.type	_ZL41rocblas_syrkx_herkx_small_restrict_kernelIl19rocblas_complex_numIfELi16ELb0ELb1ELc78ELc76EKS1_S1_EviT_T0_PT6_S3_lS6_S3_lS4_PT7_S3_li,@function
_ZL41rocblas_syrkx_herkx_small_restrict_kernelIl19rocblas_complex_numIfELi16ELb0ELb1ELc78ELc76EKS1_S1_EviT_T0_PT6_S3_lS6_S3_lS4_PT7_S3_li: ; @_ZL41rocblas_syrkx_herkx_small_restrict_kernelIl19rocblas_complex_numIfELi16ELb0ELb1ELc78ELc76EKS1_S1_EviT_T0_PT6_S3_lS6_S3_lS4_PT7_S3_li
; %bb.0:
	s_load_b512 s[16:31], s[0:1], 0x8
	v_dual_mov_b32 v12, 0 :: v_dual_and_b32 v5, 0x3ff, v0
	v_bfe_u32 v4, v0, 10, 10
	v_mov_b32_e32 v13, 0
	s_delay_alu instid0(VALU_DEP_3) | instskip(NEXT) | instid1(VALU_DEP_3)
	v_lshl_add_u32 v0, s13, 4, v5
	v_lshl_add_u32 v2, s14, 4, v4
	s_delay_alu instid0(VALU_DEP_2) | instskip(NEXT) | instid1(VALU_DEP_2)
	v_ashrrev_i32_e32 v1, 31, v0
	v_ashrrev_i32_e32 v3, 31, v2
	s_waitcnt lgkmcnt(0)
	v_cmp_lt_i64_e64 s2, s[16:17], 1
	s_delay_alu instid0(VALU_DEP_1)
	s_and_b32 vcc_lo, exec_lo, s2
	s_cbranch_vccnz .LBB1278_3
; %bb.1:
	v_mad_u64_u32 v[6:7], null, s28, v5, 0
	v_mad_u64_u32 v[12:13], null, s22, v4, 0
	v_lshlrev_b32_e32 v8, 3, v5
	v_lshlrev_b32_e32 v11, 7, v4
	s_mul_i32 s3, s31, s15
	s_mul_hi_u32 s5, s30, s15
	s_mul_i32 s2, s30, s15
	s_delay_alu instid0(VALU_DEP_4) | instskip(NEXT) | instid1(VALU_DEP_4)
	v_mad_u64_u32 v[9:10], null, s29, v5, v[7:8]
	v_mov_b32_e32 v5, v13
	s_add_i32 s3, s5, s3
	v_lshlrev_b64 v[14:15], 3, v[2:3]
	s_lshl_b64 s[2:3], s[2:3], 3
	s_mul_i32 s6, s25, s15
	v_mad_u64_u32 v[16:17], null, s23, v4, v[5:6]
	s_delay_alu instid0(VALU_DEP_4)
	v_mov_b32_e32 v7, v9
	s_mul_hi_u32 s7, s24, s15
	s_mul_i32 s4, s24, s15
	s_add_i32 s5, s7, s6
	s_mov_b64 s[6:7], 0
	v_lshlrev_b64 v[4:5], 3, v[6:7]
	s_delay_alu instid0(VALU_DEP_3) | instskip(SKIP_1) | instid1(VALU_DEP_2)
	v_mov_b32_e32 v13, v16
	s_lshl_b64 s[4:5], s[4:5], 3
	v_add_co_u32 v6, vcc_lo, s2, v4
	s_delay_alu instid0(VALU_DEP_3) | instskip(NEXT) | instid1(VALU_DEP_3)
	v_add_co_ci_u32_e32 v7, vcc_lo, s3, v5, vcc_lo
	v_lshlrev_b64 v[4:5], 3, v[12:13]
	s_delay_alu instid0(VALU_DEP_3) | instskip(NEXT) | instid1(VALU_DEP_3)
	v_add_co_u32 v6, vcc_lo, v6, v14
	v_add_co_ci_u32_e32 v7, vcc_lo, v7, v15, vcc_lo
	s_lshl_b64 s[2:3], s[28:29], 7
	s_delay_alu instid0(VALU_DEP_3) | instskip(NEXT) | instid1(VALU_DEP_4)
	v_add_co_u32 v12, vcc_lo, s4, v4
	v_add_co_ci_u32_e32 v13, vcc_lo, s5, v5, vcc_lo
	v_lshlrev_b64 v[4:5], 3, v[0:1]
	v_add_co_u32 v6, vcc_lo, v6, s26
	v_add_co_ci_u32_e32 v7, vcc_lo, s27, v7, vcc_lo
	s_lshl_b64 s[4:5], s[22:23], 7
	s_delay_alu instid0(VALU_DEP_3) | instskip(NEXT) | instid1(VALU_DEP_4)
	v_add_co_u32 v12, vcc_lo, v12, v4
	v_add_co_ci_u32_e32 v13, vcc_lo, v13, v5, vcc_lo
	v_add_co_u32 v4, vcc_lo, v6, 4
	v_add_co_ci_u32_e32 v5, vcc_lo, 0, v7, vcc_lo
	s_delay_alu instid0(VALU_DEP_4)
	v_add_co_u32 v6, vcc_lo, s20, v12
	v_mov_b32_e32 v12, 0
	v_add_nc_u32_e32 v10, v8, v11
	v_add_nc_u32_e32 v9, 0x800, v11
	v_add_co_ci_u32_e32 v7, vcc_lo, s21, v13, vcc_lo
	v_mov_b32_e32 v13, 0
	s_delay_alu instid0(VALU_DEP_3)
	v_add_nc_u32_e32 v11, v9, v8
.LBB1278_2:                             ; =>This Inner Loop Header: Depth=1
	global_load_b64 v[14:15], v[4:5], off offset:-4
	global_load_b64 v[16:17], v[6:7], off
	s_add_u32 s6, s6, 16
	v_add_co_u32 v4, vcc_lo, v4, s2
	s_addc_u32 s7, s7, 0
	v_add_co_ci_u32_e32 v5, vcc_lo, s3, v5, vcc_lo
	v_cmp_lt_i64_e64 s8, s[6:7], s[16:17]
	v_add_co_u32 v6, vcc_lo, v6, s4
	v_add_co_ci_u32_e32 v7, vcc_lo, s5, v7, vcc_lo
	s_delay_alu instid0(VALU_DEP_3)
	s_and_b32 vcc_lo, exec_lo, s8
	s_waitcnt vmcnt(1)
	v_xor_b32_e32 v15, 0x80000000, v15
	s_waitcnt vmcnt(0)
	ds_store_b64 v10, v[16:17]
	ds_store_b64 v11, v[14:15]
	s_waitcnt lgkmcnt(0)
	s_barrier
	buffer_gl0_inv
	ds_load_2addr_b64 v[14:17], v8 offset1:16
	ds_load_b128 v[18:21], v9
	ds_load_b128 v[22:25], v9 offset:16
	ds_load_2addr_b64 v[26:29], v8 offset0:32 offset1:48
	ds_load_2addr_b64 v[30:33], v8 offset0:64 offset1:80
	ds_load_b128 v[34:37], v9 offset:32
	ds_load_b128 v[38:41], v9 offset:48
	ds_load_2addr_b64 v[42:45], v8 offset0:96 offset1:112
	ds_load_2addr_b64 v[46:49], v8 offset0:128 offset1:144
	;; [unrolled: 1-line block ×3, first 2 shown]
	ds_load_b128 v[54:57], v9 offset:64
	ds_load_b128 v[58:61], v9 offset:80
	ds_load_2addr_b64 v[62:65], v8 offset0:192 offset1:208
	ds_load_2addr_b64 v[66:69], v8 offset0:224 offset1:240
	ds_load_b128 v[70:73], v9 offset:96
	ds_load_b128 v[74:77], v9 offset:112
	s_waitcnt lgkmcnt(0)
	s_barrier
	buffer_gl0_inv
	v_dual_mul_f32 v78, v19, v15 :: v_dual_mul_f32 v79, v21, v17
	v_mul_f32_e32 v15, v18, v15
	v_dual_mul_f32 v17, v20, v17 :: v_dual_mul_f32 v80, v23, v27
	v_mul_f32_e32 v27, v22, v27
	s_delay_alu instid0(VALU_DEP_4) | instskip(SKIP_1) | instid1(VALU_DEP_4)
	v_fma_f32 v18, v18, v14, -v78
	v_dual_mul_f32 v81, v25, v29 :: v_dual_mul_f32 v82, v35, v31
	v_fmac_f32_e32 v17, v21, v16
	s_delay_alu instid0(VALU_DEP_4) | instskip(SKIP_4) | instid1(VALU_DEP_4)
	v_fmac_f32_e32 v27, v23, v26
	v_fmac_f32_e32 v15, v19, v14
	v_mul_f32_e32 v85, v41, v45
	v_dual_mul_f32 v29, v24, v29 :: v_dual_mul_f32 v84, v39, v43
	v_mul_f32_e32 v45, v40, v45
	v_add_f32_e32 v12, v12, v15
	v_mul_f32_e32 v31, v34, v31
	v_dual_add_f32 v13, v13, v18 :: v_dual_mul_f32 v18, v74, v67
	v_mul_f32_e32 v19, v56, v49
	s_delay_alu instid0(VALU_DEP_4) | instskip(SKIP_1) | instid1(VALU_DEP_3)
	v_add_f32_e32 v12, v12, v17
	v_dual_mul_f32 v83, v37, v33 :: v_dual_mul_f32 v86, v55, v47
	v_dual_fmac_f32 v18, v75, v66 :: v_dual_fmac_f32 v19, v57, v48
	s_delay_alu instid0(VALU_DEP_3) | instskip(SKIP_3) | instid1(VALU_DEP_4)
	v_dual_fmac_f32 v29, v25, v28 :: v_dual_add_f32 v12, v12, v27
	v_mul_f32_e32 v33, v36, v33
	v_mul_f32_e32 v47, v54, v47
	v_fmac_f32_e32 v31, v35, v30
	v_dual_mul_f32 v43, v38, v43 :: v_dual_add_f32 v12, v12, v29
	v_fma_f32 v14, v20, v16, -v79
	v_dual_mul_f32 v20, v59, v51 :: v_dual_fmac_f32 v33, v37, v32
	v_mul_f32_e32 v16, v57, v49
	s_delay_alu instid0(VALU_DEP_4) | instskip(SKIP_3) | instid1(VALU_DEP_4)
	v_add_f32_e32 v12, v12, v31
	v_mul_f32_e32 v21, v58, v51
	v_add_f32_e32 v13, v13, v14
	v_dual_mul_f32 v14, v77, v69 :: v_dual_fmac_f32 v43, v39, v42
	v_add_f32_e32 v12, v12, v33
	v_mul_f32_e32 v49, v61, v53
	v_fmac_f32_e32 v45, v41, v44
	v_mul_f32_e32 v51, v60, v53
	s_delay_alu instid0(VALU_DEP_4) | instskip(SKIP_2) | instid1(VALU_DEP_4)
	v_dual_fmac_f32 v47, v55, v46 :: v_dual_add_f32 v12, v12, v43
	v_mul_f32_e32 v53, v71, v63
	v_fmac_f32_e32 v21, v59, v50
	v_fmac_f32_e32 v51, v61, v52
	v_mul_f32_e32 v25, v72, v65
	v_add_f32_e32 v12, v12, v45
	v_fma_f32 v22, v22, v26, -v80
	v_mul_f32_e32 v17, v76, v69
	v_fma_f32 v23, v24, v28, -v81
	s_delay_alu instid0(VALU_DEP_4) | instskip(SKIP_1) | instid1(VALU_DEP_4)
	v_dual_fmac_f32 v25, v73, v64 :: v_dual_add_f32 v12, v12, v47
	v_fma_f32 v16, v56, v48, -v16
	v_fmac_f32_e32 v17, v77, v68
	v_fma_f32 v20, v58, v50, -v20
	v_mul_f32_e32 v24, v73, v65
	v_add_f32_e32 v12, v12, v19
	v_mul_f32_e32 v63, v70, v63
	v_fma_f32 v19, v70, v62, -v53
	v_fma_f32 v14, v76, v68, -v14
	s_delay_alu instid0(VALU_DEP_3) | instskip(NEXT) | instid1(VALU_DEP_1)
	v_dual_add_f32 v12, v12, v21 :: v_dual_fmac_f32 v63, v71, v62
	v_add_f32_e32 v12, v12, v51
	s_delay_alu instid0(VALU_DEP_1) | instskip(NEXT) | instid1(VALU_DEP_1)
	v_add_f32_e32 v12, v12, v63
	v_dual_mul_f32 v15, v75, v67 :: v_dual_add_f32 v12, v12, v25
	s_delay_alu instid0(VALU_DEP_1) | instskip(NEXT) | instid1(VALU_DEP_2)
	v_fma_f32 v15, v74, v66, -v15
	v_add_f32_e32 v12, v12, v18
	v_add_f32_e32 v13, v13, v22
	v_fma_f32 v22, v34, v30, -v82
	s_delay_alu instid0(VALU_DEP_2) | instskip(SKIP_1) | instid1(VALU_DEP_2)
	v_dual_add_f32 v12, v12, v17 :: v_dual_add_f32 v13, v13, v23
	v_fma_f32 v23, v36, v32, -v83
	v_add_f32_e32 v13, v13, v22
	v_fma_f32 v22, v38, v42, -v84
	s_delay_alu instid0(VALU_DEP_2) | instskip(SKIP_1) | instid1(VALU_DEP_2)
	v_add_f32_e32 v13, v13, v23
	v_fma_f32 v23, v40, v44, -v85
	v_add_f32_e32 v13, v13, v22
	v_fma_f32 v22, v54, v46, -v86
	s_delay_alu instid0(VALU_DEP_2) | instskip(NEXT) | instid1(VALU_DEP_1)
	v_add_f32_e32 v13, v13, v23
	v_add_f32_e32 v13, v13, v22
	s_delay_alu instid0(VALU_DEP_1) | instskip(SKIP_1) | instid1(VALU_DEP_2)
	v_add_f32_e32 v13, v13, v16
	v_fma_f32 v16, v60, v52, -v49
	v_add_f32_e32 v13, v13, v20
	s_delay_alu instid0(VALU_DEP_1) | instskip(SKIP_1) | instid1(VALU_DEP_2)
	v_add_f32_e32 v13, v13, v16
	v_fma_f32 v16, v72, v64, -v24
	v_add_f32_e32 v13, v13, v19
	s_delay_alu instid0(VALU_DEP_1) | instskip(NEXT) | instid1(VALU_DEP_1)
	v_add_f32_e32 v13, v13, v16
	v_add_f32_e32 v13, v13, v15
	s_delay_alu instid0(VALU_DEP_1)
	v_add_f32_e32 v13, v13, v14
	s_cbranch_vccnz .LBB1278_2
.LBB1278_3:
	s_load_b256 s[0:7], s[0:1], 0x48
	s_mov_b32 s8, exec_lo
	v_cmpx_le_i32_e64 v2, v0
	s_cbranch_execz .LBB1278_6
; %bb.4:
	s_waitcnt lgkmcnt(0)
	v_mul_lo_u32 v5, v2, s5
	v_mul_lo_u32 v6, v3, s4
	v_mad_u64_u32 v[3:4], null, v2, s4, 0
	s_mul_i32 s5, s15, s7
	s_mul_hi_u32 s7, s15, s6
	s_mul_i32 s4, s15, s6
	s_add_i32 s5, s7, s5
	s_delay_alu instid0(SALU_CYCLE_1) | instskip(NEXT) | instid1(VALU_DEP_1)
	s_lshl_b64 s[4:5], s[4:5], 3
	v_add3_u32 v4, v4, v5, v6
	s_add_u32 s2, s2, s4
	v_lshlrev_b64 v[5:6], 3, v[0:1]
	s_addc_u32 s3, s3, s5
	s_delay_alu instid0(VALU_DEP_2) | instskip(NEXT) | instid1(VALU_DEP_1)
	v_lshlrev_b64 v[3:4], 3, v[3:4]
	v_add_co_u32 v1, vcc_lo, s2, v3
	s_delay_alu instid0(VALU_DEP_2) | instskip(NEXT) | instid1(VALU_DEP_2)
	v_add_co_ci_u32_e32 v4, vcc_lo, s3, v4, vcc_lo
	v_add_co_u32 v3, vcc_lo, v1, v5
	s_delay_alu instid0(VALU_DEP_2)
	v_add_co_ci_u32_e32 v4, vcc_lo, v4, v6, vcc_lo
	v_cmp_eq_u32_e32 vcc_lo, v0, v2
	global_load_b64 v[5:6], v[3:4], off
	v_mul_f32_e32 v1, s19, v12
	s_waitcnt vmcnt(0)
	v_dual_mul_f32 v7, s18, v12 :: v_dual_mul_f32 v8, s1, v6
	v_mul_f32_e32 v6, s0, v6
	s_delay_alu instid0(VALU_DEP_3) | instskip(NEXT) | instid1(VALU_DEP_3)
	v_fma_f32 v1, v13, s18, -v1
	v_fmac_f32_e32 v7, s19, v13
	s_delay_alu instid0(VALU_DEP_4) | instskip(NEXT) | instid1(VALU_DEP_1)
	v_fma_f32 v8, v5, s0, -v8
	v_dual_fmac_f32 v6, s1, v5 :: v_dual_add_f32 v5, v1, v8
	s_delay_alu instid0(VALU_DEP_1)
	v_add_f32_e32 v6, v7, v6
	global_store_b64 v[3:4], v[5:6], off
	s_and_b32 exec_lo, exec_lo, vcc_lo
	s_cbranch_execz .LBB1278_6
; %bb.5:
	v_mov_b32_e32 v0, 0
	global_store_b32 v[3:4], v0, off offset:4
.LBB1278_6:
	s_nop 0
	s_sendmsg sendmsg(MSG_DEALLOC_VGPRS)
	s_endpgm
	.section	.rodata,"a",@progbits
	.p2align	6, 0x0
	.amdhsa_kernel _ZL41rocblas_syrkx_herkx_small_restrict_kernelIl19rocblas_complex_numIfELi16ELb0ELb1ELc78ELc76EKS1_S1_EviT_T0_PT6_S3_lS6_S3_lS4_PT7_S3_li
		.amdhsa_group_segment_fixed_size 4096
		.amdhsa_private_segment_fixed_size 0
		.amdhsa_kernarg_size 108
		.amdhsa_user_sgpr_count 13
		.amdhsa_user_sgpr_dispatch_ptr 0
		.amdhsa_user_sgpr_queue_ptr 0
		.amdhsa_user_sgpr_kernarg_segment_ptr 1
		.amdhsa_user_sgpr_dispatch_id 0
		.amdhsa_user_sgpr_private_segment_size 0
		.amdhsa_wavefront_size32 1
		.amdhsa_uses_dynamic_stack 0
		.amdhsa_enable_private_segment 0
		.amdhsa_system_sgpr_workgroup_id_x 1
		.amdhsa_system_sgpr_workgroup_id_y 1
		.amdhsa_system_sgpr_workgroup_id_z 1
		.amdhsa_system_sgpr_workgroup_info 0
		.amdhsa_system_vgpr_workitem_id 1
		.amdhsa_next_free_vgpr 87
		.amdhsa_next_free_sgpr 32
		.amdhsa_reserve_vcc 1
		.amdhsa_float_round_mode_32 0
		.amdhsa_float_round_mode_16_64 0
		.amdhsa_float_denorm_mode_32 3
		.amdhsa_float_denorm_mode_16_64 3
		.amdhsa_dx10_clamp 1
		.amdhsa_ieee_mode 1
		.amdhsa_fp16_overflow 0
		.amdhsa_workgroup_processor_mode 1
		.amdhsa_memory_ordered 1
		.amdhsa_forward_progress 0
		.amdhsa_shared_vgpr_count 0
		.amdhsa_exception_fp_ieee_invalid_op 0
		.amdhsa_exception_fp_denorm_src 0
		.amdhsa_exception_fp_ieee_div_zero 0
		.amdhsa_exception_fp_ieee_overflow 0
		.amdhsa_exception_fp_ieee_underflow 0
		.amdhsa_exception_fp_ieee_inexact 0
		.amdhsa_exception_int_div_zero 0
	.end_amdhsa_kernel
	.section	.text._ZL41rocblas_syrkx_herkx_small_restrict_kernelIl19rocblas_complex_numIfELi16ELb0ELb1ELc78ELc76EKS1_S1_EviT_T0_PT6_S3_lS6_S3_lS4_PT7_S3_li,"axG",@progbits,_ZL41rocblas_syrkx_herkx_small_restrict_kernelIl19rocblas_complex_numIfELi16ELb0ELb1ELc78ELc76EKS1_S1_EviT_T0_PT6_S3_lS6_S3_lS4_PT7_S3_li,comdat
.Lfunc_end1278:
	.size	_ZL41rocblas_syrkx_herkx_small_restrict_kernelIl19rocblas_complex_numIfELi16ELb0ELb1ELc78ELc76EKS1_S1_EviT_T0_PT6_S3_lS6_S3_lS4_PT7_S3_li, .Lfunc_end1278-_ZL41rocblas_syrkx_herkx_small_restrict_kernelIl19rocblas_complex_numIfELi16ELb0ELb1ELc78ELc76EKS1_S1_EviT_T0_PT6_S3_lS6_S3_lS4_PT7_S3_li
                                        ; -- End function
	.section	.AMDGPU.csdata,"",@progbits
; Kernel info:
; codeLenInByte = 1404
; NumSgprs: 34
; NumVgprs: 87
; ScratchSize: 0
; MemoryBound: 0
; FloatMode: 240
; IeeeMode: 1
; LDSByteSize: 4096 bytes/workgroup (compile time only)
; SGPRBlocks: 4
; VGPRBlocks: 10
; NumSGPRsForWavesPerEU: 34
; NumVGPRsForWavesPerEU: 87
; Occupancy: 16
; WaveLimiterHint : 0
; COMPUTE_PGM_RSRC2:SCRATCH_EN: 0
; COMPUTE_PGM_RSRC2:USER_SGPR: 13
; COMPUTE_PGM_RSRC2:TRAP_HANDLER: 0
; COMPUTE_PGM_RSRC2:TGID_X_EN: 1
; COMPUTE_PGM_RSRC2:TGID_Y_EN: 1
; COMPUTE_PGM_RSRC2:TGID_Z_EN: 1
; COMPUTE_PGM_RSRC2:TIDIG_COMP_CNT: 1
	.section	.text._ZL41rocblas_syrkx_herkx_small_restrict_kernelIl19rocblas_complex_numIfELi16ELb0ELb1ELc84ELc85EKS1_S1_EviT_T0_PT6_S3_lS6_S3_lS4_PT7_S3_li,"axG",@progbits,_ZL41rocblas_syrkx_herkx_small_restrict_kernelIl19rocblas_complex_numIfELi16ELb0ELb1ELc84ELc85EKS1_S1_EviT_T0_PT6_S3_lS6_S3_lS4_PT7_S3_li,comdat
	.globl	_ZL41rocblas_syrkx_herkx_small_restrict_kernelIl19rocblas_complex_numIfELi16ELb0ELb1ELc84ELc85EKS1_S1_EviT_T0_PT6_S3_lS6_S3_lS4_PT7_S3_li ; -- Begin function _ZL41rocblas_syrkx_herkx_small_restrict_kernelIl19rocblas_complex_numIfELi16ELb0ELb1ELc84ELc85EKS1_S1_EviT_T0_PT6_S3_lS6_S3_lS4_PT7_S3_li
	.p2align	8
	.type	_ZL41rocblas_syrkx_herkx_small_restrict_kernelIl19rocblas_complex_numIfELi16ELb0ELb1ELc84ELc85EKS1_S1_EviT_T0_PT6_S3_lS6_S3_lS4_PT7_S3_li,@function
_ZL41rocblas_syrkx_herkx_small_restrict_kernelIl19rocblas_complex_numIfELi16ELb0ELb1ELc84ELc85EKS1_S1_EviT_T0_PT6_S3_lS6_S3_lS4_PT7_S3_li: ; @_ZL41rocblas_syrkx_herkx_small_restrict_kernelIl19rocblas_complex_numIfELi16ELb0ELb1ELc84ELc85EKS1_S1_EviT_T0_PT6_S3_lS6_S3_lS4_PT7_S3_li
; %bb.0:
	s_load_b512 s[16:31], s[0:1], 0x8
	v_dual_mov_b32 v12, 0 :: v_dual_and_b32 v3, 0x3ff, v0
	v_bfe_u32 v2, v0, 10, 10
	v_mov_b32_e32 v13, 0
	s_delay_alu instid0(VALU_DEP_3) | instskip(NEXT) | instid1(VALU_DEP_3)
	v_lshl_add_u32 v0, s13, 4, v3
	v_lshl_add_u32 v6, s14, 4, v2
	s_delay_alu instid0(VALU_DEP_2) | instskip(NEXT) | instid1(VALU_DEP_2)
	v_ashrrev_i32_e32 v1, 31, v0
	v_ashrrev_i32_e32 v7, 31, v6
	s_waitcnt lgkmcnt(0)
	v_cmp_lt_i64_e64 s2, s[16:17], 1
	s_delay_alu instid0(VALU_DEP_1)
	s_and_b32 vcc_lo, exec_lo, s2
	s_cbranch_vccnz .LBB1279_3
; %bb.1:
	v_mul_lo_u32 v11, s29, v6
	v_mul_lo_u32 v14, s28, v7
	v_mad_u64_u32 v[4:5], null, s28, v6, 0
	v_lshlrev_b32_e32 v8, 3, v3
	v_mul_lo_u32 v3, s23, v0
	v_mul_lo_u32 v15, s22, v1
	v_mad_u64_u32 v[12:13], null, s22, v0, 0
	s_mul_i32 s2, s31, s15
	v_add3_u32 v5, v5, v14, v11
	s_mul_hi_u32 s3, s30, s15
	s_mul_i32 s4, s25, s15
	s_add_i32 s3, s3, s2
	s_mul_i32 s2, s30, s15
	s_delay_alu instid0(VALU_DEP_2)
	v_add3_u32 v13, v13, v15, v3
	v_lshlrev_b64 v[3:4], 3, v[4:5]
	s_lshl_b64 s[2:3], s[2:3], 3
	s_mul_hi_u32 s5, s24, s15
	v_lshlrev_b32_e32 v10, 7, v2
	v_lshlrev_b64 v[12:13], 3, v[12:13]
	s_add_i32 s5, s5, s4
	s_mul_i32 s4, s24, s15
	v_add_co_u32 v3, vcc_lo, v3, s2
	v_add_co_ci_u32_e32 v4, vcc_lo, s3, v4, vcc_lo
	s_lshl_b64 s[2:3], s[4:5], 3
	v_lshlrev_b32_e32 v2, 3, v2
	v_add_co_u32 v5, vcc_lo, v12, s2
	v_add_co_ci_u32_e32 v12, vcc_lo, s3, v13, vcc_lo
	v_mov_b32_e32 v13, 0
	v_add_co_u32 v3, vcc_lo, v3, v8
	v_add_co_ci_u32_e32 v4, vcc_lo, 0, v4, vcc_lo
	v_add_co_u32 v5, vcc_lo, v5, v2
	v_add_co_ci_u32_e32 v12, vcc_lo, 0, v12, vcc_lo
	v_add_nc_u32_e32 v9, 0x800, v10
	v_add_co_u32 v2, vcc_lo, s26, v3
	v_add_co_ci_u32_e32 v3, vcc_lo, s27, v4, vcc_lo
	v_add_co_u32 v4, vcc_lo, s20, v5
	v_add_nc_u32_e32 v10, v8, v10
	v_add_co_ci_u32_e32 v5, vcc_lo, s21, v12, vcc_lo
	v_dual_mov_b32 v12, 0 :: v_dual_add_nc_u32 v11, v9, v8
	s_mov_b64 s[2:3], 0
.LBB1279_2:                             ; =>This Inner Loop Header: Depth=1
	global_load_b64 v[14:15], v[4:5], off
	global_load_b64 v[16:17], v[2:3], off
	s_add_u32 s2, s2, 16
	v_add_co_u32 v2, vcc_lo, 0x80, v2
	s_addc_u32 s3, s3, 0
	v_add_co_ci_u32_e32 v3, vcc_lo, 0, v3, vcc_lo
	v_cmp_lt_i64_e64 s4, s[2:3], s[16:17]
	v_add_co_u32 v4, vcc_lo, 0x80, v4
	v_add_co_ci_u32_e32 v5, vcc_lo, 0, v5, vcc_lo
	s_waitcnt vmcnt(1)
	ds_store_b64 v10, v[14:15]
	s_waitcnt vmcnt(0)
	ds_store_b64 v11, v[16:17]
	s_waitcnt lgkmcnt(0)
	s_barrier
	buffer_gl0_inv
	ds_load_2addr_b64 v[14:17], v8 offset1:16
	ds_load_b128 v[18:21], v9
	ds_load_b128 v[22:25], v9 offset:16
	ds_load_2addr_b64 v[26:29], v8 offset0:32 offset1:48
	ds_load_2addr_b64 v[30:33], v8 offset0:64 offset1:80
	ds_load_b128 v[34:37], v9 offset:32
	ds_load_b128 v[38:41], v9 offset:48
	ds_load_2addr_b64 v[42:45], v8 offset0:96 offset1:112
	ds_load_2addr_b64 v[46:49], v8 offset0:128 offset1:144
	;; [unrolled: 1-line block ×3, first 2 shown]
	ds_load_b128 v[54:57], v9 offset:64
	ds_load_b128 v[58:61], v9 offset:80
	ds_load_2addr_b64 v[62:65], v8 offset0:192 offset1:208
	ds_load_2addr_b64 v[66:69], v8 offset0:224 offset1:240
	ds_load_b128 v[70:73], v9 offset:96
	ds_load_b128 v[74:77], v9 offset:112
	s_and_b32 vcc_lo, exec_lo, s4
	s_waitcnt lgkmcnt(0)
	s_barrier
	buffer_gl0_inv
	v_dual_mul_f32 v78, v19, v15 :: v_dual_mul_f32 v79, v21, v17
	v_mul_f32_e32 v15, v18, v15
	v_dual_mul_f32 v17, v20, v17 :: v_dual_mul_f32 v80, v23, v27
	v_mul_f32_e32 v27, v22, v27
	s_delay_alu instid0(VALU_DEP_4) | instskip(SKIP_1) | instid1(VALU_DEP_4)
	v_fma_f32 v18, v18, v14, -v78
	v_dual_mul_f32 v81, v25, v29 :: v_dual_mul_f32 v82, v35, v31
	v_fmac_f32_e32 v17, v21, v16
	s_delay_alu instid0(VALU_DEP_4) | instskip(SKIP_4) | instid1(VALU_DEP_4)
	v_fmac_f32_e32 v27, v23, v26
	v_fmac_f32_e32 v15, v19, v14
	v_mul_f32_e32 v85, v41, v45
	v_dual_mul_f32 v29, v24, v29 :: v_dual_mul_f32 v84, v39, v43
	v_mul_f32_e32 v45, v40, v45
	v_add_f32_e32 v12, v12, v15
	v_mul_f32_e32 v31, v34, v31
	v_dual_add_f32 v13, v13, v18 :: v_dual_mul_f32 v18, v74, v67
	v_mul_f32_e32 v19, v56, v49
	s_delay_alu instid0(VALU_DEP_4) | instskip(SKIP_1) | instid1(VALU_DEP_3)
	v_add_f32_e32 v12, v12, v17
	v_dual_mul_f32 v83, v37, v33 :: v_dual_mul_f32 v86, v55, v47
	v_dual_fmac_f32 v18, v75, v66 :: v_dual_fmac_f32 v19, v57, v48
	s_delay_alu instid0(VALU_DEP_3) | instskip(SKIP_3) | instid1(VALU_DEP_4)
	v_dual_fmac_f32 v29, v25, v28 :: v_dual_add_f32 v12, v12, v27
	v_mul_f32_e32 v33, v36, v33
	v_mul_f32_e32 v47, v54, v47
	v_fmac_f32_e32 v31, v35, v30
	v_dual_mul_f32 v43, v38, v43 :: v_dual_add_f32 v12, v12, v29
	v_fma_f32 v14, v20, v16, -v79
	v_dual_mul_f32 v20, v59, v51 :: v_dual_fmac_f32 v33, v37, v32
	v_mul_f32_e32 v16, v57, v49
	s_delay_alu instid0(VALU_DEP_4) | instskip(SKIP_3) | instid1(VALU_DEP_4)
	v_add_f32_e32 v12, v12, v31
	v_mul_f32_e32 v21, v58, v51
	v_add_f32_e32 v13, v13, v14
	v_dual_mul_f32 v14, v77, v69 :: v_dual_fmac_f32 v43, v39, v42
	v_add_f32_e32 v12, v12, v33
	v_mul_f32_e32 v49, v61, v53
	v_fmac_f32_e32 v45, v41, v44
	v_mul_f32_e32 v51, v60, v53
	s_delay_alu instid0(VALU_DEP_4) | instskip(SKIP_2) | instid1(VALU_DEP_4)
	v_dual_fmac_f32 v47, v55, v46 :: v_dual_add_f32 v12, v12, v43
	v_mul_f32_e32 v53, v71, v63
	v_fmac_f32_e32 v21, v59, v50
	v_fmac_f32_e32 v51, v61, v52
	v_mul_f32_e32 v25, v72, v65
	v_add_f32_e32 v12, v12, v45
	v_fma_f32 v22, v22, v26, -v80
	v_mul_f32_e32 v17, v76, v69
	v_fma_f32 v23, v24, v28, -v81
	s_delay_alu instid0(VALU_DEP_4) | instskip(SKIP_1) | instid1(VALU_DEP_4)
	v_dual_fmac_f32 v25, v73, v64 :: v_dual_add_f32 v12, v12, v47
	v_fma_f32 v16, v56, v48, -v16
	v_fmac_f32_e32 v17, v77, v68
	v_fma_f32 v20, v58, v50, -v20
	v_mul_f32_e32 v24, v73, v65
	v_add_f32_e32 v12, v12, v19
	v_mul_f32_e32 v63, v70, v63
	v_fma_f32 v19, v70, v62, -v53
	v_fma_f32 v14, v76, v68, -v14
	s_delay_alu instid0(VALU_DEP_3) | instskip(NEXT) | instid1(VALU_DEP_1)
	v_dual_add_f32 v12, v12, v21 :: v_dual_fmac_f32 v63, v71, v62
	v_add_f32_e32 v12, v12, v51
	s_delay_alu instid0(VALU_DEP_1) | instskip(NEXT) | instid1(VALU_DEP_1)
	v_add_f32_e32 v12, v12, v63
	v_dual_mul_f32 v15, v75, v67 :: v_dual_add_f32 v12, v12, v25
	s_delay_alu instid0(VALU_DEP_1) | instskip(NEXT) | instid1(VALU_DEP_2)
	v_fma_f32 v15, v74, v66, -v15
	v_add_f32_e32 v12, v12, v18
	v_add_f32_e32 v13, v13, v22
	v_fma_f32 v22, v34, v30, -v82
	s_delay_alu instid0(VALU_DEP_2) | instskip(SKIP_1) | instid1(VALU_DEP_2)
	v_dual_add_f32 v12, v12, v17 :: v_dual_add_f32 v13, v13, v23
	v_fma_f32 v23, v36, v32, -v83
	v_add_f32_e32 v13, v13, v22
	v_fma_f32 v22, v38, v42, -v84
	s_delay_alu instid0(VALU_DEP_2) | instskip(SKIP_1) | instid1(VALU_DEP_2)
	v_add_f32_e32 v13, v13, v23
	v_fma_f32 v23, v40, v44, -v85
	v_add_f32_e32 v13, v13, v22
	v_fma_f32 v22, v54, v46, -v86
	s_delay_alu instid0(VALU_DEP_2) | instskip(NEXT) | instid1(VALU_DEP_1)
	v_add_f32_e32 v13, v13, v23
	v_add_f32_e32 v13, v13, v22
	s_delay_alu instid0(VALU_DEP_1) | instskip(SKIP_1) | instid1(VALU_DEP_2)
	v_add_f32_e32 v13, v13, v16
	v_fma_f32 v16, v60, v52, -v49
	v_add_f32_e32 v13, v13, v20
	s_delay_alu instid0(VALU_DEP_1) | instskip(SKIP_1) | instid1(VALU_DEP_2)
	v_add_f32_e32 v13, v13, v16
	v_fma_f32 v16, v72, v64, -v24
	v_add_f32_e32 v13, v13, v19
	s_delay_alu instid0(VALU_DEP_1) | instskip(NEXT) | instid1(VALU_DEP_1)
	v_add_f32_e32 v13, v13, v16
	v_add_f32_e32 v13, v13, v15
	s_delay_alu instid0(VALU_DEP_1)
	v_add_f32_e32 v13, v13, v14
	s_cbranch_vccnz .LBB1279_2
.LBB1279_3:
	s_load_b256 s[0:7], s[0:1], 0x48
	s_mov_b32 s8, exec_lo
	v_cmpx_le_i32_e64 v0, v6
	s_cbranch_execz .LBB1279_6
; %bb.4:
	s_waitcnt lgkmcnt(0)
	v_mul_lo_u32 v4, v6, s5
	v_mul_lo_u32 v5, v7, s4
	v_mad_u64_u32 v[2:3], null, v6, s4, 0
	s_mul_i32 s5, s15, s7
	s_mul_hi_u32 s7, s15, s6
	s_mul_i32 s4, s15, s6
	s_add_i32 s5, s7, s5
	v_mul_f32_e32 v7, s18, v12
	s_lshl_b64 s[4:5], s[4:5], 3
	s_delay_alu instid0(VALU_DEP_2)
	v_add3_u32 v3, v3, v4, v5
	s_add_u32 s2, s2, s4
	v_lshlrev_b64 v[4:5], 3, v[0:1]
	s_addc_u32 s3, s3, s5
	v_fmac_f32_e32 v7, s19, v13
	v_lshlrev_b64 v[2:3], 3, v[2:3]
	s_delay_alu instid0(VALU_DEP_1) | instskip(NEXT) | instid1(VALU_DEP_2)
	v_add_co_u32 v1, vcc_lo, s2, v2
	v_add_co_ci_u32_e32 v2, vcc_lo, s3, v3, vcc_lo
	s_delay_alu instid0(VALU_DEP_2) | instskip(NEXT) | instid1(VALU_DEP_2)
	v_add_co_u32 v1, vcc_lo, v1, v4
	v_add_co_ci_u32_e32 v2, vcc_lo, v2, v5, vcc_lo
	v_cmp_eq_u32_e32 vcc_lo, v0, v6
	global_load_b64 v[3:4], v[1:2], off
	s_waitcnt vmcnt(0)
	v_mul_f32_e32 v8, s1, v4
	v_mul_f32_e32 v4, s0, v4
	;; [unrolled: 1-line block ×3, first 2 shown]
	s_delay_alu instid0(VALU_DEP_3) | instskip(NEXT) | instid1(VALU_DEP_3)
	v_fma_f32 v8, v3, s0, -v8
	v_fmac_f32_e32 v4, s1, v3
	s_delay_alu instid0(VALU_DEP_3) | instskip(NEXT) | instid1(VALU_DEP_2)
	v_fma_f32 v5, v13, s18, -v5
	v_add_f32_e32 v4, v7, v4
	s_delay_alu instid0(VALU_DEP_2)
	v_add_f32_e32 v3, v5, v8
	global_store_b64 v[1:2], v[3:4], off
	s_and_b32 exec_lo, exec_lo, vcc_lo
	s_cbranch_execz .LBB1279_6
; %bb.5:
	v_mov_b32_e32 v0, 0
	global_store_b32 v[1:2], v0, off offset:4
.LBB1279_6:
	s_nop 0
	s_sendmsg sendmsg(MSG_DEALLOC_VGPRS)
	s_endpgm
	.section	.rodata,"a",@progbits
	.p2align	6, 0x0
	.amdhsa_kernel _ZL41rocblas_syrkx_herkx_small_restrict_kernelIl19rocblas_complex_numIfELi16ELb0ELb1ELc84ELc85EKS1_S1_EviT_T0_PT6_S3_lS6_S3_lS4_PT7_S3_li
		.amdhsa_group_segment_fixed_size 4096
		.amdhsa_private_segment_fixed_size 0
		.amdhsa_kernarg_size 108
		.amdhsa_user_sgpr_count 13
		.amdhsa_user_sgpr_dispatch_ptr 0
		.amdhsa_user_sgpr_queue_ptr 0
		.amdhsa_user_sgpr_kernarg_segment_ptr 1
		.amdhsa_user_sgpr_dispatch_id 0
		.amdhsa_user_sgpr_private_segment_size 0
		.amdhsa_wavefront_size32 1
		.amdhsa_uses_dynamic_stack 0
		.amdhsa_enable_private_segment 0
		.amdhsa_system_sgpr_workgroup_id_x 1
		.amdhsa_system_sgpr_workgroup_id_y 1
		.amdhsa_system_sgpr_workgroup_id_z 1
		.amdhsa_system_sgpr_workgroup_info 0
		.amdhsa_system_vgpr_workitem_id 1
		.amdhsa_next_free_vgpr 87
		.amdhsa_next_free_sgpr 32
		.amdhsa_reserve_vcc 1
		.amdhsa_float_round_mode_32 0
		.amdhsa_float_round_mode_16_64 0
		.amdhsa_float_denorm_mode_32 3
		.amdhsa_float_denorm_mode_16_64 3
		.amdhsa_dx10_clamp 1
		.amdhsa_ieee_mode 1
		.amdhsa_fp16_overflow 0
		.amdhsa_workgroup_processor_mode 1
		.amdhsa_memory_ordered 1
		.amdhsa_forward_progress 0
		.amdhsa_shared_vgpr_count 0
		.amdhsa_exception_fp_ieee_invalid_op 0
		.amdhsa_exception_fp_denorm_src 0
		.amdhsa_exception_fp_ieee_div_zero 0
		.amdhsa_exception_fp_ieee_overflow 0
		.amdhsa_exception_fp_ieee_underflow 0
		.amdhsa_exception_fp_ieee_inexact 0
		.amdhsa_exception_int_div_zero 0
	.end_amdhsa_kernel
	.section	.text._ZL41rocblas_syrkx_herkx_small_restrict_kernelIl19rocblas_complex_numIfELi16ELb0ELb1ELc84ELc85EKS1_S1_EviT_T0_PT6_S3_lS6_S3_lS4_PT7_S3_li,"axG",@progbits,_ZL41rocblas_syrkx_herkx_small_restrict_kernelIl19rocblas_complex_numIfELi16ELb0ELb1ELc84ELc85EKS1_S1_EviT_T0_PT6_S3_lS6_S3_lS4_PT7_S3_li,comdat
.Lfunc_end1279:
	.size	_ZL41rocblas_syrkx_herkx_small_restrict_kernelIl19rocblas_complex_numIfELi16ELb0ELb1ELc84ELc85EKS1_S1_EviT_T0_PT6_S3_lS6_S3_lS4_PT7_S3_li, .Lfunc_end1279-_ZL41rocblas_syrkx_herkx_small_restrict_kernelIl19rocblas_complex_numIfELi16ELb0ELb1ELc84ELc85EKS1_S1_EviT_T0_PT6_S3_lS6_S3_lS4_PT7_S3_li
                                        ; -- End function
	.section	.AMDGPU.csdata,"",@progbits
; Kernel info:
; codeLenInByte = 1352
; NumSgprs: 34
; NumVgprs: 87
; ScratchSize: 0
; MemoryBound: 0
; FloatMode: 240
; IeeeMode: 1
; LDSByteSize: 4096 bytes/workgroup (compile time only)
; SGPRBlocks: 4
; VGPRBlocks: 10
; NumSGPRsForWavesPerEU: 34
; NumVGPRsForWavesPerEU: 87
; Occupancy: 16
; WaveLimiterHint : 0
; COMPUTE_PGM_RSRC2:SCRATCH_EN: 0
; COMPUTE_PGM_RSRC2:USER_SGPR: 13
; COMPUTE_PGM_RSRC2:TRAP_HANDLER: 0
; COMPUTE_PGM_RSRC2:TGID_X_EN: 1
; COMPUTE_PGM_RSRC2:TGID_Y_EN: 1
; COMPUTE_PGM_RSRC2:TGID_Z_EN: 1
; COMPUTE_PGM_RSRC2:TIDIG_COMP_CNT: 1
	.section	.text._ZL41rocblas_syrkx_herkx_small_restrict_kernelIl19rocblas_complex_numIfELi16ELb0ELb1ELc67ELc85EKS1_S1_EviT_T0_PT6_S3_lS6_S3_lS4_PT7_S3_li,"axG",@progbits,_ZL41rocblas_syrkx_herkx_small_restrict_kernelIl19rocblas_complex_numIfELi16ELb0ELb1ELc67ELc85EKS1_S1_EviT_T0_PT6_S3_lS6_S3_lS4_PT7_S3_li,comdat
	.globl	_ZL41rocblas_syrkx_herkx_small_restrict_kernelIl19rocblas_complex_numIfELi16ELb0ELb1ELc67ELc85EKS1_S1_EviT_T0_PT6_S3_lS6_S3_lS4_PT7_S3_li ; -- Begin function _ZL41rocblas_syrkx_herkx_small_restrict_kernelIl19rocblas_complex_numIfELi16ELb0ELb1ELc67ELc85EKS1_S1_EviT_T0_PT6_S3_lS6_S3_lS4_PT7_S3_li
	.p2align	8
	.type	_ZL41rocblas_syrkx_herkx_small_restrict_kernelIl19rocblas_complex_numIfELi16ELb0ELb1ELc67ELc85EKS1_S1_EviT_T0_PT6_S3_lS6_S3_lS4_PT7_S3_li,@function
_ZL41rocblas_syrkx_herkx_small_restrict_kernelIl19rocblas_complex_numIfELi16ELb0ELb1ELc67ELc85EKS1_S1_EviT_T0_PT6_S3_lS6_S3_lS4_PT7_S3_li: ; @_ZL41rocblas_syrkx_herkx_small_restrict_kernelIl19rocblas_complex_numIfELi16ELb0ELb1ELc67ELc85EKS1_S1_EviT_T0_PT6_S3_lS6_S3_lS4_PT7_S3_li
; %bb.0:
	s_load_b512 s[16:31], s[0:1], 0x8
	v_dual_mov_b32 v12, 0 :: v_dual_and_b32 v3, 0x3ff, v0
	v_bfe_u32 v2, v0, 10, 10
	v_mov_b32_e32 v13, 0
	s_delay_alu instid0(VALU_DEP_3) | instskip(NEXT) | instid1(VALU_DEP_3)
	v_lshl_add_u32 v0, s13, 4, v3
	v_lshl_add_u32 v6, s14, 4, v2
	s_delay_alu instid0(VALU_DEP_2) | instskip(NEXT) | instid1(VALU_DEP_2)
	v_ashrrev_i32_e32 v1, 31, v0
	v_ashrrev_i32_e32 v7, 31, v6
	s_waitcnt lgkmcnt(0)
	v_cmp_lt_i64_e64 s2, s[16:17], 1
	s_delay_alu instid0(VALU_DEP_1)
	s_and_b32 vcc_lo, exec_lo, s2
	s_cbranch_vccnz .LBB1280_3
; %bb.1:
	v_mul_lo_u32 v15, s23, v0
	v_mul_lo_u32 v16, s22, v1
	v_mad_u64_u32 v[12:13], null, s22, v0, 0
	v_mul_lo_u32 v10, s29, v6
	v_mul_lo_u32 v11, s28, v7
	v_mad_u64_u32 v[4:5], null, s28, v6, 0
	s_mul_i32 s4, s25, s15
	s_mul_hi_u32 s5, s24, s15
	s_delay_alu instid0(VALU_DEP_4) | instskip(SKIP_3) | instid1(VALU_DEP_3)
	v_add3_u32 v13, v13, v16, v15
	s_add_i32 s5, s5, s4
	s_mul_i32 s4, s24, s15
	v_lshlrev_b32_e32 v8, 3, v3
	v_add3_u32 v5, v5, v11, v10
	v_lshlrev_b64 v[12:13], 3, v[12:13]
	s_mul_i32 s2, s31, s15
	s_mul_hi_u32 s3, s30, s15
	s_lshl_b64 s[4:5], s[4:5], 3
	v_lshlrev_b64 v[3:4], 3, v[4:5]
	s_add_i32 s3, s3, s2
	s_mul_i32 s2, s30, s15
	v_add_co_u32 v5, vcc_lo, v12, s4
	v_lshlrev_b32_e32 v14, 7, v2
	s_lshl_b64 s[2:3], s[2:3], 3
	v_lshlrev_b32_e32 v2, 3, v2
	v_add_co_ci_u32_e32 v12, vcc_lo, s5, v13, vcc_lo
	v_mov_b32_e32 v13, 0
	v_add_co_u32 v3, vcc_lo, v3, s2
	v_add_co_ci_u32_e32 v4, vcc_lo, s3, v4, vcc_lo
	v_add_co_u32 v2, vcc_lo, v5, v2
	v_add_co_ci_u32_e32 v5, vcc_lo, 0, v12, vcc_lo
	s_delay_alu instid0(VALU_DEP_4) | instskip(NEXT) | instid1(VALU_DEP_4)
	v_add_co_u32 v3, vcc_lo, v3, v8
	v_add_co_ci_u32_e32 v4, vcc_lo, 0, v4, vcc_lo
	s_delay_alu instid0(VALU_DEP_4) | instskip(NEXT) | instid1(VALU_DEP_4)
	v_add_co_u32 v12, vcc_lo, v2, s20
	v_add_co_ci_u32_e32 v5, vcc_lo, s21, v5, vcc_lo
	v_add_nc_u32_e32 v9, 0x800, v14
	v_add_co_u32 v2, vcc_lo, s26, v3
	v_add_co_ci_u32_e32 v3, vcc_lo, s27, v4, vcc_lo
	v_add_co_u32 v4, vcc_lo, v12, 4
	v_mov_b32_e32 v12, 0
	v_add_nc_u32_e32 v10, v8, v14
	v_add_nc_u32_e32 v11, v9, v8
	v_add_co_ci_u32_e32 v5, vcc_lo, 0, v5, vcc_lo
	s_mov_b64 s[2:3], 0
.LBB1280_2:                             ; =>This Inner Loop Header: Depth=1
	global_load_b64 v[14:15], v[4:5], off offset:-4
	global_load_b64 v[16:17], v[2:3], off
	s_add_u32 s2, s2, 16
	v_add_co_u32 v2, vcc_lo, 0x80, v2
	s_addc_u32 s3, s3, 0
	v_add_co_ci_u32_e32 v3, vcc_lo, 0, v3, vcc_lo
	v_cmp_lt_i64_e64 s4, s[2:3], s[16:17]
	v_add_co_u32 v4, vcc_lo, 0x80, v4
	v_add_co_ci_u32_e32 v5, vcc_lo, 0, v5, vcc_lo
	s_delay_alu instid0(VALU_DEP_3)
	s_and_b32 vcc_lo, exec_lo, s4
	s_waitcnt vmcnt(1)
	v_xor_b32_e32 v15, 0x80000000, v15
	ds_store_b64 v10, v[14:15]
	s_waitcnt vmcnt(0)
	ds_store_b64 v11, v[16:17]
	s_waitcnt lgkmcnt(0)
	s_barrier
	buffer_gl0_inv
	ds_load_2addr_b64 v[14:17], v8 offset1:16
	ds_load_b128 v[18:21], v9
	ds_load_b128 v[22:25], v9 offset:16
	ds_load_2addr_b64 v[26:29], v8 offset0:32 offset1:48
	ds_load_2addr_b64 v[30:33], v8 offset0:64 offset1:80
	ds_load_b128 v[34:37], v9 offset:32
	ds_load_b128 v[38:41], v9 offset:48
	ds_load_2addr_b64 v[42:45], v8 offset0:96 offset1:112
	ds_load_2addr_b64 v[46:49], v8 offset0:128 offset1:144
	;; [unrolled: 1-line block ×3, first 2 shown]
	ds_load_b128 v[54:57], v9 offset:64
	ds_load_b128 v[58:61], v9 offset:80
	ds_load_2addr_b64 v[62:65], v8 offset0:192 offset1:208
	ds_load_2addr_b64 v[66:69], v8 offset0:224 offset1:240
	ds_load_b128 v[70:73], v9 offset:96
	ds_load_b128 v[74:77], v9 offset:112
	s_waitcnt lgkmcnt(0)
	s_barrier
	buffer_gl0_inv
	v_dual_mul_f32 v78, v19, v15 :: v_dual_mul_f32 v79, v21, v17
	v_mul_f32_e32 v15, v18, v15
	v_dual_mul_f32 v17, v20, v17 :: v_dual_mul_f32 v80, v23, v27
	v_mul_f32_e32 v27, v22, v27
	s_delay_alu instid0(VALU_DEP_4) | instskip(SKIP_1) | instid1(VALU_DEP_4)
	v_fma_f32 v18, v18, v14, -v78
	v_dual_mul_f32 v81, v25, v29 :: v_dual_mul_f32 v82, v35, v31
	v_fmac_f32_e32 v17, v21, v16
	s_delay_alu instid0(VALU_DEP_4) | instskip(SKIP_4) | instid1(VALU_DEP_4)
	v_fmac_f32_e32 v27, v23, v26
	v_fmac_f32_e32 v15, v19, v14
	v_mul_f32_e32 v85, v41, v45
	v_dual_mul_f32 v29, v24, v29 :: v_dual_mul_f32 v84, v39, v43
	v_mul_f32_e32 v45, v40, v45
	v_add_f32_e32 v12, v12, v15
	v_mul_f32_e32 v31, v34, v31
	v_dual_add_f32 v13, v13, v18 :: v_dual_mul_f32 v18, v74, v67
	v_mul_f32_e32 v19, v56, v49
	s_delay_alu instid0(VALU_DEP_4) | instskip(SKIP_1) | instid1(VALU_DEP_3)
	v_add_f32_e32 v12, v12, v17
	v_dual_mul_f32 v83, v37, v33 :: v_dual_mul_f32 v86, v55, v47
	v_dual_fmac_f32 v18, v75, v66 :: v_dual_fmac_f32 v19, v57, v48
	s_delay_alu instid0(VALU_DEP_3) | instskip(SKIP_3) | instid1(VALU_DEP_4)
	v_dual_fmac_f32 v29, v25, v28 :: v_dual_add_f32 v12, v12, v27
	v_mul_f32_e32 v33, v36, v33
	v_mul_f32_e32 v47, v54, v47
	v_fmac_f32_e32 v31, v35, v30
	v_dual_mul_f32 v43, v38, v43 :: v_dual_add_f32 v12, v12, v29
	v_fma_f32 v14, v20, v16, -v79
	v_dual_mul_f32 v20, v59, v51 :: v_dual_fmac_f32 v33, v37, v32
	v_mul_f32_e32 v16, v57, v49
	s_delay_alu instid0(VALU_DEP_4) | instskip(SKIP_3) | instid1(VALU_DEP_4)
	v_add_f32_e32 v12, v12, v31
	v_mul_f32_e32 v21, v58, v51
	v_add_f32_e32 v13, v13, v14
	v_dual_mul_f32 v14, v77, v69 :: v_dual_fmac_f32 v43, v39, v42
	v_add_f32_e32 v12, v12, v33
	v_mul_f32_e32 v49, v61, v53
	v_fmac_f32_e32 v45, v41, v44
	v_mul_f32_e32 v51, v60, v53
	s_delay_alu instid0(VALU_DEP_4) | instskip(SKIP_2) | instid1(VALU_DEP_4)
	v_dual_fmac_f32 v47, v55, v46 :: v_dual_add_f32 v12, v12, v43
	v_mul_f32_e32 v53, v71, v63
	v_fmac_f32_e32 v21, v59, v50
	v_fmac_f32_e32 v51, v61, v52
	v_mul_f32_e32 v25, v72, v65
	v_add_f32_e32 v12, v12, v45
	v_fma_f32 v22, v22, v26, -v80
	v_mul_f32_e32 v17, v76, v69
	v_fma_f32 v23, v24, v28, -v81
	s_delay_alu instid0(VALU_DEP_4) | instskip(SKIP_1) | instid1(VALU_DEP_4)
	v_dual_fmac_f32 v25, v73, v64 :: v_dual_add_f32 v12, v12, v47
	v_fma_f32 v16, v56, v48, -v16
	v_fmac_f32_e32 v17, v77, v68
	v_fma_f32 v20, v58, v50, -v20
	v_mul_f32_e32 v24, v73, v65
	v_add_f32_e32 v12, v12, v19
	v_mul_f32_e32 v63, v70, v63
	v_fma_f32 v19, v70, v62, -v53
	v_fma_f32 v14, v76, v68, -v14
	s_delay_alu instid0(VALU_DEP_3) | instskip(NEXT) | instid1(VALU_DEP_1)
	v_dual_add_f32 v12, v12, v21 :: v_dual_fmac_f32 v63, v71, v62
	v_add_f32_e32 v12, v12, v51
	s_delay_alu instid0(VALU_DEP_1) | instskip(NEXT) | instid1(VALU_DEP_1)
	v_add_f32_e32 v12, v12, v63
	v_dual_mul_f32 v15, v75, v67 :: v_dual_add_f32 v12, v12, v25
	s_delay_alu instid0(VALU_DEP_1) | instskip(NEXT) | instid1(VALU_DEP_2)
	v_fma_f32 v15, v74, v66, -v15
	v_add_f32_e32 v12, v12, v18
	v_add_f32_e32 v13, v13, v22
	v_fma_f32 v22, v34, v30, -v82
	s_delay_alu instid0(VALU_DEP_2) | instskip(SKIP_1) | instid1(VALU_DEP_2)
	v_dual_add_f32 v12, v12, v17 :: v_dual_add_f32 v13, v13, v23
	v_fma_f32 v23, v36, v32, -v83
	v_add_f32_e32 v13, v13, v22
	v_fma_f32 v22, v38, v42, -v84
	s_delay_alu instid0(VALU_DEP_2) | instskip(SKIP_1) | instid1(VALU_DEP_2)
	v_add_f32_e32 v13, v13, v23
	v_fma_f32 v23, v40, v44, -v85
	v_add_f32_e32 v13, v13, v22
	v_fma_f32 v22, v54, v46, -v86
	s_delay_alu instid0(VALU_DEP_2) | instskip(NEXT) | instid1(VALU_DEP_1)
	v_add_f32_e32 v13, v13, v23
	v_add_f32_e32 v13, v13, v22
	s_delay_alu instid0(VALU_DEP_1) | instskip(SKIP_1) | instid1(VALU_DEP_2)
	v_add_f32_e32 v13, v13, v16
	v_fma_f32 v16, v60, v52, -v49
	v_add_f32_e32 v13, v13, v20
	s_delay_alu instid0(VALU_DEP_1) | instskip(SKIP_1) | instid1(VALU_DEP_2)
	v_add_f32_e32 v13, v13, v16
	v_fma_f32 v16, v72, v64, -v24
	v_add_f32_e32 v13, v13, v19
	s_delay_alu instid0(VALU_DEP_1) | instskip(NEXT) | instid1(VALU_DEP_1)
	v_add_f32_e32 v13, v13, v16
	v_add_f32_e32 v13, v13, v15
	s_delay_alu instid0(VALU_DEP_1)
	v_add_f32_e32 v13, v13, v14
	s_cbranch_vccnz .LBB1280_2
.LBB1280_3:
	s_load_b256 s[0:7], s[0:1], 0x48
	s_mov_b32 s8, exec_lo
	v_cmpx_le_i32_e64 v0, v6
	s_cbranch_execz .LBB1280_6
; %bb.4:
	s_waitcnt lgkmcnt(0)
	v_mul_lo_u32 v4, v6, s5
	v_mul_lo_u32 v5, v7, s4
	v_mad_u64_u32 v[2:3], null, v6, s4, 0
	s_mul_i32 s5, s15, s7
	s_mul_hi_u32 s7, s15, s6
	s_mul_i32 s4, s15, s6
	s_add_i32 s5, s7, s5
	v_mul_f32_e32 v7, s18, v12
	s_lshl_b64 s[4:5], s[4:5], 3
	s_delay_alu instid0(VALU_DEP_2)
	v_add3_u32 v3, v3, v4, v5
	s_add_u32 s2, s2, s4
	v_lshlrev_b64 v[4:5], 3, v[0:1]
	s_addc_u32 s3, s3, s5
	v_fmac_f32_e32 v7, s19, v13
	v_lshlrev_b64 v[2:3], 3, v[2:3]
	s_delay_alu instid0(VALU_DEP_1) | instskip(NEXT) | instid1(VALU_DEP_2)
	v_add_co_u32 v1, vcc_lo, s2, v2
	v_add_co_ci_u32_e32 v2, vcc_lo, s3, v3, vcc_lo
	s_delay_alu instid0(VALU_DEP_2) | instskip(NEXT) | instid1(VALU_DEP_2)
	v_add_co_u32 v1, vcc_lo, v1, v4
	v_add_co_ci_u32_e32 v2, vcc_lo, v2, v5, vcc_lo
	v_cmp_eq_u32_e32 vcc_lo, v0, v6
	global_load_b64 v[3:4], v[1:2], off
	s_waitcnt vmcnt(0)
	v_mul_f32_e32 v8, s1, v4
	v_mul_f32_e32 v4, s0, v4
	;; [unrolled: 1-line block ×3, first 2 shown]
	s_delay_alu instid0(VALU_DEP_3) | instskip(NEXT) | instid1(VALU_DEP_3)
	v_fma_f32 v8, v3, s0, -v8
	v_fmac_f32_e32 v4, s1, v3
	s_delay_alu instid0(VALU_DEP_3) | instskip(NEXT) | instid1(VALU_DEP_2)
	v_fma_f32 v5, v13, s18, -v5
	v_add_f32_e32 v4, v7, v4
	s_delay_alu instid0(VALU_DEP_2)
	v_add_f32_e32 v3, v5, v8
	global_store_b64 v[1:2], v[3:4], off
	s_and_b32 exec_lo, exec_lo, vcc_lo
	s_cbranch_execz .LBB1280_6
; %bb.5:
	v_mov_b32_e32 v0, 0
	global_store_b32 v[1:2], v0, off offset:4
.LBB1280_6:
	s_nop 0
	s_sendmsg sendmsg(MSG_DEALLOC_VGPRS)
	s_endpgm
	.section	.rodata,"a",@progbits
	.p2align	6, 0x0
	.amdhsa_kernel _ZL41rocblas_syrkx_herkx_small_restrict_kernelIl19rocblas_complex_numIfELi16ELb0ELb1ELc67ELc85EKS1_S1_EviT_T0_PT6_S3_lS6_S3_lS4_PT7_S3_li
		.amdhsa_group_segment_fixed_size 4096
		.amdhsa_private_segment_fixed_size 0
		.amdhsa_kernarg_size 108
		.amdhsa_user_sgpr_count 13
		.amdhsa_user_sgpr_dispatch_ptr 0
		.amdhsa_user_sgpr_queue_ptr 0
		.amdhsa_user_sgpr_kernarg_segment_ptr 1
		.amdhsa_user_sgpr_dispatch_id 0
		.amdhsa_user_sgpr_private_segment_size 0
		.amdhsa_wavefront_size32 1
		.amdhsa_uses_dynamic_stack 0
		.amdhsa_enable_private_segment 0
		.amdhsa_system_sgpr_workgroup_id_x 1
		.amdhsa_system_sgpr_workgroup_id_y 1
		.amdhsa_system_sgpr_workgroup_id_z 1
		.amdhsa_system_sgpr_workgroup_info 0
		.amdhsa_system_vgpr_workitem_id 1
		.amdhsa_next_free_vgpr 87
		.amdhsa_next_free_sgpr 32
		.amdhsa_reserve_vcc 1
		.amdhsa_float_round_mode_32 0
		.amdhsa_float_round_mode_16_64 0
		.amdhsa_float_denorm_mode_32 3
		.amdhsa_float_denorm_mode_16_64 3
		.amdhsa_dx10_clamp 1
		.amdhsa_ieee_mode 1
		.amdhsa_fp16_overflow 0
		.amdhsa_workgroup_processor_mode 1
		.amdhsa_memory_ordered 1
		.amdhsa_forward_progress 0
		.amdhsa_shared_vgpr_count 0
		.amdhsa_exception_fp_ieee_invalid_op 0
		.amdhsa_exception_fp_denorm_src 0
		.amdhsa_exception_fp_ieee_div_zero 0
		.amdhsa_exception_fp_ieee_overflow 0
		.amdhsa_exception_fp_ieee_underflow 0
		.amdhsa_exception_fp_ieee_inexact 0
		.amdhsa_exception_int_div_zero 0
	.end_amdhsa_kernel
	.section	.text._ZL41rocblas_syrkx_herkx_small_restrict_kernelIl19rocblas_complex_numIfELi16ELb0ELb1ELc67ELc85EKS1_S1_EviT_T0_PT6_S3_lS6_S3_lS4_PT7_S3_li,"axG",@progbits,_ZL41rocblas_syrkx_herkx_small_restrict_kernelIl19rocblas_complex_numIfELi16ELb0ELb1ELc67ELc85EKS1_S1_EviT_T0_PT6_S3_lS6_S3_lS4_PT7_S3_li,comdat
.Lfunc_end1280:
	.size	_ZL41rocblas_syrkx_herkx_small_restrict_kernelIl19rocblas_complex_numIfELi16ELb0ELb1ELc67ELc85EKS1_S1_EviT_T0_PT6_S3_lS6_S3_lS4_PT7_S3_li, .Lfunc_end1280-_ZL41rocblas_syrkx_herkx_small_restrict_kernelIl19rocblas_complex_numIfELi16ELb0ELb1ELc67ELc85EKS1_S1_EviT_T0_PT6_S3_lS6_S3_lS4_PT7_S3_li
                                        ; -- End function
	.section	.AMDGPU.csdata,"",@progbits
; Kernel info:
; codeLenInByte = 1384
; NumSgprs: 34
; NumVgprs: 87
; ScratchSize: 0
; MemoryBound: 0
; FloatMode: 240
; IeeeMode: 1
; LDSByteSize: 4096 bytes/workgroup (compile time only)
; SGPRBlocks: 4
; VGPRBlocks: 10
; NumSGPRsForWavesPerEU: 34
; NumVGPRsForWavesPerEU: 87
; Occupancy: 16
; WaveLimiterHint : 0
; COMPUTE_PGM_RSRC2:SCRATCH_EN: 0
; COMPUTE_PGM_RSRC2:USER_SGPR: 13
; COMPUTE_PGM_RSRC2:TRAP_HANDLER: 0
; COMPUTE_PGM_RSRC2:TGID_X_EN: 1
; COMPUTE_PGM_RSRC2:TGID_Y_EN: 1
; COMPUTE_PGM_RSRC2:TGID_Z_EN: 1
; COMPUTE_PGM_RSRC2:TIDIG_COMP_CNT: 1
	.section	.text._ZL41rocblas_syrkx_herkx_small_restrict_kernelIl19rocblas_complex_numIfELi16ELb0ELb1ELc78ELc85EKS1_S1_EviT_T0_PT6_S3_lS6_S3_lS4_PT7_S3_li,"axG",@progbits,_ZL41rocblas_syrkx_herkx_small_restrict_kernelIl19rocblas_complex_numIfELi16ELb0ELb1ELc78ELc85EKS1_S1_EviT_T0_PT6_S3_lS6_S3_lS4_PT7_S3_li,comdat
	.globl	_ZL41rocblas_syrkx_herkx_small_restrict_kernelIl19rocblas_complex_numIfELi16ELb0ELb1ELc78ELc85EKS1_S1_EviT_T0_PT6_S3_lS6_S3_lS4_PT7_S3_li ; -- Begin function _ZL41rocblas_syrkx_herkx_small_restrict_kernelIl19rocblas_complex_numIfELi16ELb0ELb1ELc78ELc85EKS1_S1_EviT_T0_PT6_S3_lS6_S3_lS4_PT7_S3_li
	.p2align	8
	.type	_ZL41rocblas_syrkx_herkx_small_restrict_kernelIl19rocblas_complex_numIfELi16ELb0ELb1ELc78ELc85EKS1_S1_EviT_T0_PT6_S3_lS6_S3_lS4_PT7_S3_li,@function
_ZL41rocblas_syrkx_herkx_small_restrict_kernelIl19rocblas_complex_numIfELi16ELb0ELb1ELc78ELc85EKS1_S1_EviT_T0_PT6_S3_lS6_S3_lS4_PT7_S3_li: ; @_ZL41rocblas_syrkx_herkx_small_restrict_kernelIl19rocblas_complex_numIfELi16ELb0ELb1ELc78ELc85EKS1_S1_EviT_T0_PT6_S3_lS6_S3_lS4_PT7_S3_li
; %bb.0:
	s_load_b512 s[16:31], s[0:1], 0x8
	v_dual_mov_b32 v12, 0 :: v_dual_and_b32 v5, 0x3ff, v0
	v_bfe_u32 v4, v0, 10, 10
	v_mov_b32_e32 v13, 0
	s_delay_alu instid0(VALU_DEP_3) | instskip(NEXT) | instid1(VALU_DEP_3)
	v_lshl_add_u32 v0, s13, 4, v5
	v_lshl_add_u32 v2, s14, 4, v4
	s_delay_alu instid0(VALU_DEP_2) | instskip(NEXT) | instid1(VALU_DEP_2)
	v_ashrrev_i32_e32 v1, 31, v0
	v_ashrrev_i32_e32 v3, 31, v2
	s_waitcnt lgkmcnt(0)
	v_cmp_lt_i64_e64 s2, s[16:17], 1
	s_delay_alu instid0(VALU_DEP_1)
	s_and_b32 vcc_lo, exec_lo, s2
	s_cbranch_vccnz .LBB1281_3
; %bb.1:
	v_mad_u64_u32 v[6:7], null, s28, v5, 0
	v_mad_u64_u32 v[12:13], null, s22, v4, 0
	v_lshlrev_b32_e32 v8, 3, v5
	v_lshlrev_b32_e32 v11, 7, v4
	s_mul_i32 s3, s31, s15
	s_mul_hi_u32 s5, s30, s15
	s_mul_i32 s2, s30, s15
	s_delay_alu instid0(VALU_DEP_4) | instskip(NEXT) | instid1(VALU_DEP_4)
	v_mad_u64_u32 v[9:10], null, s29, v5, v[7:8]
	v_mov_b32_e32 v5, v13
	s_add_i32 s3, s5, s3
	v_lshlrev_b64 v[14:15], 3, v[2:3]
	s_lshl_b64 s[2:3], s[2:3], 3
	s_mul_i32 s6, s25, s15
	v_mad_u64_u32 v[16:17], null, s23, v4, v[5:6]
	s_delay_alu instid0(VALU_DEP_4)
	v_mov_b32_e32 v7, v9
	s_mul_hi_u32 s7, s24, s15
	s_mul_i32 s4, s24, s15
	s_add_i32 s5, s7, s6
	s_mov_b64 s[6:7], 0
	v_lshlrev_b64 v[4:5], 3, v[6:7]
	s_delay_alu instid0(VALU_DEP_3) | instskip(SKIP_1) | instid1(VALU_DEP_2)
	v_mov_b32_e32 v13, v16
	s_lshl_b64 s[4:5], s[4:5], 3
	v_add_co_u32 v6, vcc_lo, s2, v4
	s_delay_alu instid0(VALU_DEP_3) | instskip(NEXT) | instid1(VALU_DEP_3)
	v_add_co_ci_u32_e32 v7, vcc_lo, s3, v5, vcc_lo
	v_lshlrev_b64 v[4:5], 3, v[12:13]
	s_delay_alu instid0(VALU_DEP_3) | instskip(NEXT) | instid1(VALU_DEP_3)
	v_add_co_u32 v6, vcc_lo, v6, v14
	v_add_co_ci_u32_e32 v7, vcc_lo, v7, v15, vcc_lo
	s_lshl_b64 s[2:3], s[28:29], 7
	s_delay_alu instid0(VALU_DEP_3) | instskip(NEXT) | instid1(VALU_DEP_4)
	v_add_co_u32 v12, vcc_lo, s4, v4
	v_add_co_ci_u32_e32 v13, vcc_lo, s5, v5, vcc_lo
	v_lshlrev_b64 v[4:5], 3, v[0:1]
	v_add_co_u32 v6, vcc_lo, v6, s26
	v_add_co_ci_u32_e32 v7, vcc_lo, s27, v7, vcc_lo
	s_lshl_b64 s[4:5], s[22:23], 7
	s_delay_alu instid0(VALU_DEP_3) | instskip(NEXT) | instid1(VALU_DEP_4)
	v_add_co_u32 v12, vcc_lo, v12, v4
	v_add_co_ci_u32_e32 v13, vcc_lo, v13, v5, vcc_lo
	v_add_co_u32 v4, vcc_lo, v6, 4
	v_add_co_ci_u32_e32 v5, vcc_lo, 0, v7, vcc_lo
	s_delay_alu instid0(VALU_DEP_4)
	v_add_co_u32 v6, vcc_lo, s20, v12
	v_mov_b32_e32 v12, 0
	v_add_nc_u32_e32 v10, v8, v11
	v_add_nc_u32_e32 v9, 0x800, v11
	v_add_co_ci_u32_e32 v7, vcc_lo, s21, v13, vcc_lo
	v_mov_b32_e32 v13, 0
	s_delay_alu instid0(VALU_DEP_3)
	v_add_nc_u32_e32 v11, v9, v8
.LBB1281_2:                             ; =>This Inner Loop Header: Depth=1
	global_load_b64 v[14:15], v[4:5], off offset:-4
	global_load_b64 v[16:17], v[6:7], off
	s_add_u32 s6, s6, 16
	v_add_co_u32 v4, vcc_lo, v4, s2
	s_addc_u32 s7, s7, 0
	v_add_co_ci_u32_e32 v5, vcc_lo, s3, v5, vcc_lo
	v_cmp_lt_i64_e64 s8, s[6:7], s[16:17]
	v_add_co_u32 v6, vcc_lo, v6, s4
	v_add_co_ci_u32_e32 v7, vcc_lo, s5, v7, vcc_lo
	s_delay_alu instid0(VALU_DEP_3)
	s_and_b32 vcc_lo, exec_lo, s8
	s_waitcnt vmcnt(1)
	v_xor_b32_e32 v15, 0x80000000, v15
	s_waitcnt vmcnt(0)
	ds_store_b64 v10, v[16:17]
	ds_store_b64 v11, v[14:15]
	s_waitcnt lgkmcnt(0)
	s_barrier
	buffer_gl0_inv
	ds_load_2addr_b64 v[14:17], v8 offset1:16
	ds_load_b128 v[18:21], v9
	ds_load_b128 v[22:25], v9 offset:16
	ds_load_2addr_b64 v[26:29], v8 offset0:32 offset1:48
	ds_load_2addr_b64 v[30:33], v8 offset0:64 offset1:80
	ds_load_b128 v[34:37], v9 offset:32
	ds_load_b128 v[38:41], v9 offset:48
	ds_load_2addr_b64 v[42:45], v8 offset0:96 offset1:112
	ds_load_2addr_b64 v[46:49], v8 offset0:128 offset1:144
	ds_load_2addr_b64 v[50:53], v8 offset0:160 offset1:176
	ds_load_b128 v[54:57], v9 offset:64
	ds_load_b128 v[58:61], v9 offset:80
	ds_load_2addr_b64 v[62:65], v8 offset0:192 offset1:208
	ds_load_2addr_b64 v[66:69], v8 offset0:224 offset1:240
	ds_load_b128 v[70:73], v9 offset:96
	ds_load_b128 v[74:77], v9 offset:112
	s_waitcnt lgkmcnt(0)
	s_barrier
	buffer_gl0_inv
	v_dual_mul_f32 v78, v19, v15 :: v_dual_mul_f32 v79, v21, v17
	v_mul_f32_e32 v15, v18, v15
	v_dual_mul_f32 v17, v20, v17 :: v_dual_mul_f32 v80, v23, v27
	v_mul_f32_e32 v27, v22, v27
	s_delay_alu instid0(VALU_DEP_4) | instskip(SKIP_1) | instid1(VALU_DEP_4)
	v_fma_f32 v18, v18, v14, -v78
	v_dual_mul_f32 v81, v25, v29 :: v_dual_mul_f32 v82, v35, v31
	v_fmac_f32_e32 v17, v21, v16
	s_delay_alu instid0(VALU_DEP_4) | instskip(SKIP_4) | instid1(VALU_DEP_4)
	v_fmac_f32_e32 v27, v23, v26
	v_fmac_f32_e32 v15, v19, v14
	v_mul_f32_e32 v85, v41, v45
	v_dual_mul_f32 v29, v24, v29 :: v_dual_mul_f32 v84, v39, v43
	v_mul_f32_e32 v45, v40, v45
	v_add_f32_e32 v12, v12, v15
	v_mul_f32_e32 v31, v34, v31
	v_dual_add_f32 v13, v13, v18 :: v_dual_mul_f32 v18, v74, v67
	v_mul_f32_e32 v19, v56, v49
	s_delay_alu instid0(VALU_DEP_4) | instskip(SKIP_1) | instid1(VALU_DEP_3)
	v_add_f32_e32 v12, v12, v17
	v_dual_mul_f32 v83, v37, v33 :: v_dual_mul_f32 v86, v55, v47
	v_dual_fmac_f32 v18, v75, v66 :: v_dual_fmac_f32 v19, v57, v48
	s_delay_alu instid0(VALU_DEP_3) | instskip(SKIP_3) | instid1(VALU_DEP_4)
	v_dual_fmac_f32 v29, v25, v28 :: v_dual_add_f32 v12, v12, v27
	v_mul_f32_e32 v33, v36, v33
	v_mul_f32_e32 v47, v54, v47
	v_fmac_f32_e32 v31, v35, v30
	v_dual_mul_f32 v43, v38, v43 :: v_dual_add_f32 v12, v12, v29
	v_fma_f32 v14, v20, v16, -v79
	v_dual_mul_f32 v20, v59, v51 :: v_dual_fmac_f32 v33, v37, v32
	v_mul_f32_e32 v16, v57, v49
	s_delay_alu instid0(VALU_DEP_4) | instskip(SKIP_3) | instid1(VALU_DEP_4)
	v_add_f32_e32 v12, v12, v31
	v_mul_f32_e32 v21, v58, v51
	v_add_f32_e32 v13, v13, v14
	v_dual_mul_f32 v14, v77, v69 :: v_dual_fmac_f32 v43, v39, v42
	v_add_f32_e32 v12, v12, v33
	v_mul_f32_e32 v49, v61, v53
	v_fmac_f32_e32 v45, v41, v44
	v_mul_f32_e32 v51, v60, v53
	s_delay_alu instid0(VALU_DEP_4) | instskip(SKIP_2) | instid1(VALU_DEP_4)
	v_dual_fmac_f32 v47, v55, v46 :: v_dual_add_f32 v12, v12, v43
	v_mul_f32_e32 v53, v71, v63
	v_fmac_f32_e32 v21, v59, v50
	v_fmac_f32_e32 v51, v61, v52
	v_mul_f32_e32 v25, v72, v65
	v_add_f32_e32 v12, v12, v45
	v_fma_f32 v22, v22, v26, -v80
	v_mul_f32_e32 v17, v76, v69
	v_fma_f32 v23, v24, v28, -v81
	s_delay_alu instid0(VALU_DEP_4) | instskip(SKIP_1) | instid1(VALU_DEP_4)
	v_dual_fmac_f32 v25, v73, v64 :: v_dual_add_f32 v12, v12, v47
	v_fma_f32 v16, v56, v48, -v16
	v_fmac_f32_e32 v17, v77, v68
	v_fma_f32 v20, v58, v50, -v20
	v_mul_f32_e32 v24, v73, v65
	v_add_f32_e32 v12, v12, v19
	v_mul_f32_e32 v63, v70, v63
	v_fma_f32 v19, v70, v62, -v53
	v_fma_f32 v14, v76, v68, -v14
	s_delay_alu instid0(VALU_DEP_3) | instskip(NEXT) | instid1(VALU_DEP_1)
	v_dual_add_f32 v12, v12, v21 :: v_dual_fmac_f32 v63, v71, v62
	v_add_f32_e32 v12, v12, v51
	s_delay_alu instid0(VALU_DEP_1) | instskip(NEXT) | instid1(VALU_DEP_1)
	v_add_f32_e32 v12, v12, v63
	v_dual_mul_f32 v15, v75, v67 :: v_dual_add_f32 v12, v12, v25
	s_delay_alu instid0(VALU_DEP_1) | instskip(NEXT) | instid1(VALU_DEP_2)
	v_fma_f32 v15, v74, v66, -v15
	v_add_f32_e32 v12, v12, v18
	v_add_f32_e32 v13, v13, v22
	v_fma_f32 v22, v34, v30, -v82
	s_delay_alu instid0(VALU_DEP_2) | instskip(SKIP_1) | instid1(VALU_DEP_2)
	v_dual_add_f32 v12, v12, v17 :: v_dual_add_f32 v13, v13, v23
	v_fma_f32 v23, v36, v32, -v83
	v_add_f32_e32 v13, v13, v22
	v_fma_f32 v22, v38, v42, -v84
	s_delay_alu instid0(VALU_DEP_2) | instskip(SKIP_1) | instid1(VALU_DEP_2)
	v_add_f32_e32 v13, v13, v23
	v_fma_f32 v23, v40, v44, -v85
	v_add_f32_e32 v13, v13, v22
	v_fma_f32 v22, v54, v46, -v86
	s_delay_alu instid0(VALU_DEP_2) | instskip(NEXT) | instid1(VALU_DEP_1)
	v_add_f32_e32 v13, v13, v23
	v_add_f32_e32 v13, v13, v22
	s_delay_alu instid0(VALU_DEP_1) | instskip(SKIP_1) | instid1(VALU_DEP_2)
	v_add_f32_e32 v13, v13, v16
	v_fma_f32 v16, v60, v52, -v49
	v_add_f32_e32 v13, v13, v20
	s_delay_alu instid0(VALU_DEP_1) | instskip(SKIP_1) | instid1(VALU_DEP_2)
	v_add_f32_e32 v13, v13, v16
	v_fma_f32 v16, v72, v64, -v24
	v_add_f32_e32 v13, v13, v19
	s_delay_alu instid0(VALU_DEP_1) | instskip(NEXT) | instid1(VALU_DEP_1)
	v_add_f32_e32 v13, v13, v16
	v_add_f32_e32 v13, v13, v15
	s_delay_alu instid0(VALU_DEP_1)
	v_add_f32_e32 v13, v13, v14
	s_cbranch_vccnz .LBB1281_2
.LBB1281_3:
	s_load_b256 s[0:7], s[0:1], 0x48
	s_mov_b32 s8, exec_lo
	v_cmpx_le_i32_e64 v0, v2
	s_cbranch_execz .LBB1281_6
; %bb.4:
	s_waitcnt lgkmcnt(0)
	v_mul_lo_u32 v5, v2, s5
	v_mul_lo_u32 v6, v3, s4
	v_mad_u64_u32 v[3:4], null, v2, s4, 0
	s_mul_i32 s5, s15, s7
	s_mul_hi_u32 s7, s15, s6
	s_mul_i32 s4, s15, s6
	s_add_i32 s5, s7, s5
	s_delay_alu instid0(SALU_CYCLE_1) | instskip(NEXT) | instid1(VALU_DEP_1)
	s_lshl_b64 s[4:5], s[4:5], 3
	v_add3_u32 v4, v4, v5, v6
	s_add_u32 s2, s2, s4
	v_lshlrev_b64 v[5:6], 3, v[0:1]
	s_addc_u32 s3, s3, s5
	s_delay_alu instid0(VALU_DEP_2) | instskip(NEXT) | instid1(VALU_DEP_1)
	v_lshlrev_b64 v[3:4], 3, v[3:4]
	v_add_co_u32 v1, vcc_lo, s2, v3
	s_delay_alu instid0(VALU_DEP_2) | instskip(NEXT) | instid1(VALU_DEP_2)
	v_add_co_ci_u32_e32 v4, vcc_lo, s3, v4, vcc_lo
	v_add_co_u32 v3, vcc_lo, v1, v5
	s_delay_alu instid0(VALU_DEP_2)
	v_add_co_ci_u32_e32 v4, vcc_lo, v4, v6, vcc_lo
	v_cmp_eq_u32_e32 vcc_lo, v0, v2
	global_load_b64 v[5:6], v[3:4], off
	v_mul_f32_e32 v1, s19, v12
	s_waitcnt vmcnt(0)
	v_dual_mul_f32 v7, s18, v12 :: v_dual_mul_f32 v8, s1, v6
	v_mul_f32_e32 v6, s0, v6
	s_delay_alu instid0(VALU_DEP_3) | instskip(NEXT) | instid1(VALU_DEP_3)
	v_fma_f32 v1, v13, s18, -v1
	v_fmac_f32_e32 v7, s19, v13
	s_delay_alu instid0(VALU_DEP_4) | instskip(NEXT) | instid1(VALU_DEP_1)
	v_fma_f32 v8, v5, s0, -v8
	v_dual_fmac_f32 v6, s1, v5 :: v_dual_add_f32 v5, v1, v8
	s_delay_alu instid0(VALU_DEP_1)
	v_add_f32_e32 v6, v7, v6
	global_store_b64 v[3:4], v[5:6], off
	s_and_b32 exec_lo, exec_lo, vcc_lo
	s_cbranch_execz .LBB1281_6
; %bb.5:
	v_mov_b32_e32 v0, 0
	global_store_b32 v[3:4], v0, off offset:4
.LBB1281_6:
	s_nop 0
	s_sendmsg sendmsg(MSG_DEALLOC_VGPRS)
	s_endpgm
	.section	.rodata,"a",@progbits
	.p2align	6, 0x0
	.amdhsa_kernel _ZL41rocblas_syrkx_herkx_small_restrict_kernelIl19rocblas_complex_numIfELi16ELb0ELb1ELc78ELc85EKS1_S1_EviT_T0_PT6_S3_lS6_S3_lS4_PT7_S3_li
		.amdhsa_group_segment_fixed_size 4096
		.amdhsa_private_segment_fixed_size 0
		.amdhsa_kernarg_size 108
		.amdhsa_user_sgpr_count 13
		.amdhsa_user_sgpr_dispatch_ptr 0
		.amdhsa_user_sgpr_queue_ptr 0
		.amdhsa_user_sgpr_kernarg_segment_ptr 1
		.amdhsa_user_sgpr_dispatch_id 0
		.amdhsa_user_sgpr_private_segment_size 0
		.amdhsa_wavefront_size32 1
		.amdhsa_uses_dynamic_stack 0
		.amdhsa_enable_private_segment 0
		.amdhsa_system_sgpr_workgroup_id_x 1
		.amdhsa_system_sgpr_workgroup_id_y 1
		.amdhsa_system_sgpr_workgroup_id_z 1
		.amdhsa_system_sgpr_workgroup_info 0
		.amdhsa_system_vgpr_workitem_id 1
		.amdhsa_next_free_vgpr 87
		.amdhsa_next_free_sgpr 32
		.amdhsa_reserve_vcc 1
		.amdhsa_float_round_mode_32 0
		.amdhsa_float_round_mode_16_64 0
		.amdhsa_float_denorm_mode_32 3
		.amdhsa_float_denorm_mode_16_64 3
		.amdhsa_dx10_clamp 1
		.amdhsa_ieee_mode 1
		.amdhsa_fp16_overflow 0
		.amdhsa_workgroup_processor_mode 1
		.amdhsa_memory_ordered 1
		.amdhsa_forward_progress 0
		.amdhsa_shared_vgpr_count 0
		.amdhsa_exception_fp_ieee_invalid_op 0
		.amdhsa_exception_fp_denorm_src 0
		.amdhsa_exception_fp_ieee_div_zero 0
		.amdhsa_exception_fp_ieee_overflow 0
		.amdhsa_exception_fp_ieee_underflow 0
		.amdhsa_exception_fp_ieee_inexact 0
		.amdhsa_exception_int_div_zero 0
	.end_amdhsa_kernel
	.section	.text._ZL41rocblas_syrkx_herkx_small_restrict_kernelIl19rocblas_complex_numIfELi16ELb0ELb1ELc78ELc85EKS1_S1_EviT_T0_PT6_S3_lS6_S3_lS4_PT7_S3_li,"axG",@progbits,_ZL41rocblas_syrkx_herkx_small_restrict_kernelIl19rocblas_complex_numIfELi16ELb0ELb1ELc78ELc85EKS1_S1_EviT_T0_PT6_S3_lS6_S3_lS4_PT7_S3_li,comdat
.Lfunc_end1281:
	.size	_ZL41rocblas_syrkx_herkx_small_restrict_kernelIl19rocblas_complex_numIfELi16ELb0ELb1ELc78ELc85EKS1_S1_EviT_T0_PT6_S3_lS6_S3_lS4_PT7_S3_li, .Lfunc_end1281-_ZL41rocblas_syrkx_herkx_small_restrict_kernelIl19rocblas_complex_numIfELi16ELb0ELb1ELc78ELc85EKS1_S1_EviT_T0_PT6_S3_lS6_S3_lS4_PT7_S3_li
                                        ; -- End function
	.section	.AMDGPU.csdata,"",@progbits
; Kernel info:
; codeLenInByte = 1404
; NumSgprs: 34
; NumVgprs: 87
; ScratchSize: 0
; MemoryBound: 0
; FloatMode: 240
; IeeeMode: 1
; LDSByteSize: 4096 bytes/workgroup (compile time only)
; SGPRBlocks: 4
; VGPRBlocks: 10
; NumSGPRsForWavesPerEU: 34
; NumVGPRsForWavesPerEU: 87
; Occupancy: 16
; WaveLimiterHint : 0
; COMPUTE_PGM_RSRC2:SCRATCH_EN: 0
; COMPUTE_PGM_RSRC2:USER_SGPR: 13
; COMPUTE_PGM_RSRC2:TRAP_HANDLER: 0
; COMPUTE_PGM_RSRC2:TGID_X_EN: 1
; COMPUTE_PGM_RSRC2:TGID_Y_EN: 1
; COMPUTE_PGM_RSRC2:TGID_Z_EN: 1
; COMPUTE_PGM_RSRC2:TIDIG_COMP_CNT: 1
	.section	.text._ZL32rocblas_syrkx_herkx_small_kernelIl19rocblas_complex_numIfELi16ELb1ELb1ELc84ELc76EKS1_S1_EviT_T0_PT6_S3_lS6_S3_lS4_PT7_S3_li,"axG",@progbits,_ZL32rocblas_syrkx_herkx_small_kernelIl19rocblas_complex_numIfELi16ELb1ELb1ELc84ELc76EKS1_S1_EviT_T0_PT6_S3_lS6_S3_lS4_PT7_S3_li,comdat
	.globl	_ZL32rocblas_syrkx_herkx_small_kernelIl19rocblas_complex_numIfELi16ELb1ELb1ELc84ELc76EKS1_S1_EviT_T0_PT6_S3_lS6_S3_lS4_PT7_S3_li ; -- Begin function _ZL32rocblas_syrkx_herkx_small_kernelIl19rocblas_complex_numIfELi16ELb1ELb1ELc84ELc76EKS1_S1_EviT_T0_PT6_S3_lS6_S3_lS4_PT7_S3_li
	.p2align	8
	.type	_ZL32rocblas_syrkx_herkx_small_kernelIl19rocblas_complex_numIfELi16ELb1ELb1ELc84ELc76EKS1_S1_EviT_T0_PT6_S3_lS6_S3_lS4_PT7_S3_li,@function
_ZL32rocblas_syrkx_herkx_small_kernelIl19rocblas_complex_numIfELi16ELb1ELb1ELc84ELc76EKS1_S1_EviT_T0_PT6_S3_lS6_S3_lS4_PT7_S3_li: ; @_ZL32rocblas_syrkx_herkx_small_kernelIl19rocblas_complex_numIfELi16ELb1ELb1ELc84ELc76EKS1_S1_EviT_T0_PT6_S3_lS6_S3_lS4_PT7_S3_li
; %bb.0:
	s_clause 0x1
	s_load_b512 s[16:31], s[0:1], 0x8
	s_load_b32 s6, s[0:1], 0x0
	v_dual_mov_b32 v17, 0 :: v_dual_and_b32 v10, 0x3ff, v0
	v_bfe_u32 v11, v0, 10, 10
	v_mov_b32_e32 v16, 0
	s_delay_alu instid0(VALU_DEP_3) | instskip(NEXT) | instid1(VALU_DEP_3)
	v_lshl_add_u32 v0, s13, 4, v10
	v_lshl_add_u32 v8, s14, 4, v11
	s_delay_alu instid0(VALU_DEP_2) | instskip(NEXT) | instid1(VALU_DEP_2)
	v_ashrrev_i32_e32 v1, 31, v0
	v_ashrrev_i32_e32 v9, 31, v8
	s_waitcnt lgkmcnt(0)
	v_cmp_lt_i64_e64 s3, s[16:17], 1
	v_cmp_gt_i32_e64 s2, s6, v0
	s_delay_alu instid0(VALU_DEP_2)
	s_and_b32 vcc_lo, exec_lo, s3
	s_cbranch_vccnz .LBB1282_11
; %bb.1:
	v_dual_mov_b32 v2, 0 :: v_dual_lshlrev_b32 v5, 7, v11
	v_lshlrev_b32_e32 v12, 3, v10
	v_mul_lo_u32 v7, s29, v8
	v_mul_lo_u32 v15, s28, v9
	v_mad_u64_u32 v[3:4], null, s28, v8, 0
	s_delay_alu instid0(VALU_DEP_4)
	v_add_nc_u32_e32 v13, v12, v5
	v_add_nc_u32_e32 v14, 0x800, v5
	v_mul_lo_u32 v16, s23, v0
	v_mul_lo_u32 v17, s22, v1
	v_mad_u64_u32 v[5:6], null, s22, v0, 0
	v_add3_u32 v4, v4, v15, v7
	s_mul_i32 s3, s31, s15
	s_mul_hi_u32 s4, s30, s15
	s_mul_hi_u32 s7, s24, s15
	s_add_i32 s5, s4, s3
	v_lshlrev_b64 v[3:4], 3, v[3:4]
	s_delay_alu instid0(VALU_DEP_3)
	v_add3_u32 v6, v6, v17, v16
	s_mul_i32 s4, s30, s15
	s_mul_i32 s3, s25, s15
	s_lshl_b64 s[4:5], s[4:5], 3
	s_add_i32 s9, s7, s3
	v_lshlrev_b64 v[5:6], 3, v[5:6]
	s_mul_i32 s8, s24, s15
	v_add_co_u32 v3, s3, v3, s4
	s_delay_alu instid0(VALU_DEP_1) | instskip(SKIP_3) | instid1(VALU_DEP_1)
	v_add_co_ci_u32_e64 v4, s3, s5, v4, s3
	s_lshl_b64 s[4:5], s[8:9], 3
	v_lshlrev_b32_e32 v7, 3, v11
	v_add_co_u32 v5, s3, v5, s4
	v_add_co_ci_u32_e64 v6, s3, s5, v6, s3
	v_add_co_u32 v3, s3, v3, v12
	s_delay_alu instid0(VALU_DEP_1) | instskip(NEXT) | instid1(VALU_DEP_4)
	v_add_co_ci_u32_e64 v16, s3, 0, v4, s3
	v_add_co_u32 v7, s3, v5, v7
	s_delay_alu instid0(VALU_DEP_1) | instskip(NEXT) | instid1(VALU_DEP_4)
	v_add_co_ci_u32_e64 v17, s3, 0, v6, s3
	v_add_co_u32 v4, s3, s26, v3
	s_delay_alu instid0(VALU_DEP_1) | instskip(SKIP_3) | instid1(VALU_DEP_1)
	v_add_co_ci_u32_e64 v5, s3, s27, v16, s3
	v_mov_b32_e32 v16, 0
	v_cmp_gt_i32_e32 vcc_lo, s6, v8
	v_add_co_u32 v6, s3, s20, v7
	v_add_co_ci_u32_e64 v7, s3, s21, v17, s3
	v_mov_b32_e32 v17, 0
	v_add_nc_u32_e32 v15, v14, v12
	s_mov_b64 s[4:5], 0
	s_xor_b32 s2, s2, -1
	s_xor_b32 s3, vcc_lo, -1
	s_branch .LBB1282_3
.LBB1282_2:                             ;   in Loop: Header=BB1282_3 Depth=1
	s_or_b32 exec_lo, exec_lo, s7
	s_waitcnt lgkmcnt(0)
	s_barrier
	buffer_gl0_inv
	ds_load_2addr_b64 v[18:21], v12 offset1:16
	ds_load_b128 v[22:25], v14
	ds_load_b128 v[26:29], v14 offset:16
	ds_load_2addr_b64 v[30:33], v12 offset0:32 offset1:48
	ds_load_2addr_b64 v[34:37], v12 offset0:64 offset1:80
	ds_load_b128 v[38:41], v14 offset:32
	ds_load_b128 v[42:45], v14 offset:48
	ds_load_2addr_b64 v[46:49], v12 offset0:96 offset1:112
	ds_load_2addr_b64 v[50:53], v12 offset0:128 offset1:144
	;; [unrolled: 1-line block ×3, first 2 shown]
	ds_load_b128 v[58:61], v14 offset:64
	ds_load_b128 v[62:65], v14 offset:80
	s_add_u32 s4, s4, 16
	s_addc_u32 s5, s5, 0
	v_add_co_u32 v4, vcc_lo, 0x80, v4
	v_cmp_ge_i64_e64 s7, s[4:5], s[16:17]
	v_add_co_ci_u32_e32 v5, vcc_lo, 0, v5, vcc_lo
	v_add_co_u32 v6, vcc_lo, 0x80, v6
	s_waitcnt lgkmcnt(10)
	v_dual_mul_f32 v3, v23, v19 :: v_dual_mul_f32 v66, v25, v21
	s_waitcnt lgkmcnt(8)
	v_dual_mul_f32 v19, v22, v19 :: v_dual_mul_f32 v68, v29, v33
	v_mul_f32_e32 v67, v27, v31
	s_delay_alu instid0(VALU_DEP_3) | instskip(SKIP_1) | instid1(VALU_DEP_3)
	v_fma_f32 v3, v22, v18, -v3
	s_waitcnt lgkmcnt(6)
	v_dual_mul_f32 v22, v41, v37 :: v_dual_fmac_f32 v19, v23, v18
	v_mul_f32_e32 v21, v24, v21
	v_dual_mul_f32 v31, v26, v31 :: v_dual_mul_f32 v18, v40, v37
	v_add_f32_e32 v3, v16, v3
	s_delay_alu instid0(VALU_DEP_4) | instskip(NEXT) | instid1(VALU_DEP_4)
	v_add_f32_e32 v16, v17, v19
	v_fmac_f32_e32 v21, v25, v20
	v_mul_f32_e32 v33, v28, v33
	v_mul_f32_e32 v69, v39, v35
	v_fma_f32 v23, v24, v20, -v66
	s_waitcnt lgkmcnt(1)
	v_dual_fmac_f32 v31, v27, v30 :: v_dual_mul_f32 v24, v58, v51
	v_add_f32_e32 v16, v16, v21
	v_dual_mul_f32 v20, v42, v47 :: v_dual_fmac_f32 v33, v29, v32
	v_fma_f32 v21, v28, v32, -v68
	v_fmac_f32_e32 v18, v41, v36
	s_delay_alu instid0(VALU_DEP_4) | instskip(NEXT) | instid1(VALU_DEP_4)
	v_add_f32_e32 v16, v16, v31
	v_dual_fmac_f32 v20, v43, v46 :: v_dual_mul_f32 v35, v38, v35
	s_waitcnt lgkmcnt(0)
	v_mul_f32_e32 v32, v62, v55
	v_fma_f32 v19, v26, v30, -v67
	v_add_f32_e32 v16, v16, v33
	v_mul_f32_e32 v27, v60, v53
	v_fmac_f32_e32 v35, v39, v34
	v_fma_f32 v22, v40, v36, -v22
	v_add_co_ci_u32_e32 v7, vcc_lo, 0, v7, vcc_lo
	s_delay_alu instid0(VALU_DEP_3)
	v_dual_fmac_f32 v27, v61, v52 :: v_dual_add_f32 v16, v16, v35
	v_mul_f32_e32 v17, v43, v47
	v_fmac_f32_e32 v24, v59, v50
	v_mul_f32_e32 v26, v61, v53
	s_and_b32 vcc_lo, exec_lo, s7
	v_dual_add_f32 v16, v16, v18 :: v_dual_add_f32 v3, v3, v23
	v_fma_f32 v23, v38, v34, -v69
	v_fma_f32 v17, v42, v46, -v17
	v_fmac_f32_e32 v32, v63, v54
	s_delay_alu instid0(VALU_DEP_4) | instskip(SKIP_2) | instid1(VALU_DEP_3)
	v_dual_add_f32 v20, v16, v20 :: v_dual_add_f32 v3, v3, v19
	v_mul_f32_e32 v19, v45, v49
	v_mul_f32_e32 v36, v64, v57
	v_add_f32_e32 v3, v3, v21
	s_delay_alu instid0(VALU_DEP_2) | instskip(NEXT) | instid1(VALU_DEP_1)
	v_dual_mul_f32 v21, v44, v49 :: v_dual_fmac_f32 v36, v65, v56
	v_fmac_f32_e32 v21, v45, v48
	s_delay_alu instid0(VALU_DEP_1) | instskip(NEXT) | instid1(VALU_DEP_1)
	v_add_f32_e32 v25, v20, v21
	v_dual_add_f32 v24, v25, v24 :: v_dual_add_f32 v3, v3, v23
	v_fma_f32 v25, v60, v52, -v26
	v_mul_f32_e32 v26, v63, v55
	s_delay_alu instid0(VALU_DEP_3) | instskip(NEXT) | instid1(VALU_DEP_4)
	v_add_f32_e32 v33, v24, v27
	v_add_f32_e32 v3, v3, v22
	v_mul_f32_e32 v23, v59, v51
	v_fma_f32 v22, v44, v48, -v19
	v_fma_f32 v34, v62, v54, -v26
	s_delay_alu instid0(VALU_DEP_4) | instskip(SKIP_3) | instid1(VALU_DEP_1)
	v_dual_add_f32 v32, v33, v32 :: v_dual_add_f32 v3, v3, v17
	ds_load_2addr_b64 v[16:19], v12 offset0:192 offset1:208
	v_fma_f32 v23, v58, v50, -v23
	v_dual_add_f32 v32, v32, v36 :: v_dual_add_f32 v3, v3, v22
	v_add_f32_e32 v3, v3, v23
	ds_load_b128 v[20:23], v14 offset:96
	v_add_f32_e32 v3, v3, v25
	ds_load_2addr_b64 v[24:27], v12 offset0:224 offset1:240
	ds_load_b128 v[28:31], v14 offset:112
	v_mul_f32_e32 v35, v65, v57
	s_waitcnt lgkmcnt(0)
	s_barrier
	v_add_f32_e32 v3, v3, v34
	buffer_gl0_inv
	v_fma_f32 v33, v64, v56, -v35
	s_delay_alu instid0(VALU_DEP_1) | instskip(SKIP_2) | instid1(VALU_DEP_2)
	v_add_f32_e32 v3, v3, v33
	v_mul_f32_e32 v34, v21, v17
	v_mul_f32_e32 v17, v20, v17
	v_fma_f32 v20, v20, v16, -v34
	s_delay_alu instid0(VALU_DEP_2) | instskip(SKIP_1) | instid1(VALU_DEP_3)
	v_dual_fmac_f32 v17, v21, v16 :: v_dual_mul_f32 v16, v23, v19
	v_mul_f32_e32 v19, v22, v19
	v_add_f32_e32 v3, v3, v20
	s_delay_alu instid0(VALU_DEP_3) | instskip(NEXT) | instid1(VALU_DEP_4)
	v_add_f32_e32 v17, v32, v17
	v_fma_f32 v16, v22, v18, -v16
	s_delay_alu instid0(VALU_DEP_4) | instskip(NEXT) | instid1(VALU_DEP_2)
	v_dual_fmac_f32 v19, v23, v18 :: v_dual_mul_f32 v18, v29, v25
	v_dual_mul_f32 v20, v28, v25 :: v_dual_add_f32 v3, v3, v16
	s_delay_alu instid0(VALU_DEP_2) | instskip(NEXT) | instid1(VALU_DEP_3)
	v_add_f32_e32 v16, v17, v19
	v_fma_f32 v17, v28, v24, -v18
	v_mul_f32_e32 v18, v31, v27
	s_delay_alu instid0(VALU_DEP_4) | instskip(NEXT) | instid1(VALU_DEP_3)
	v_dual_fmac_f32 v20, v29, v24 :: v_dual_mul_f32 v19, v30, v27
	v_add_f32_e32 v3, v3, v17
	s_delay_alu instid0(VALU_DEP_2) | instskip(NEXT) | instid1(VALU_DEP_4)
	v_add_f32_e32 v17, v16, v20
	v_fma_f32 v16, v30, v26, -v18
	s_delay_alu instid0(VALU_DEP_4) | instskip(NEXT) | instid1(VALU_DEP_1)
	v_fmac_f32_e32 v19, v31, v26
	v_dual_add_f32 v16, v3, v16 :: v_dual_add_f32 v17, v17, v19
	s_cbranch_vccnz .LBB1282_11
.LBB1282_3:                             ; =>This Inner Loop Header: Depth=1
	v_add_co_u32 v18, s7, v11, s4
	s_delay_alu instid0(VALU_DEP_1) | instskip(NEXT) | instid1(VALU_DEP_1)
	v_add_co_ci_u32_e64 v19, null, 0, s5, s7
	v_cmp_le_i64_e32 vcc_lo, s[16:17], v[18:19]
	s_or_b32 s7, s2, vcc_lo
	s_delay_alu instid0(SALU_CYCLE_1) | instskip(NEXT) | instid1(SALU_CYCLE_1)
	s_and_saveexec_b32 s8, s7
	s_xor_b32 s7, exec_lo, s8
	s_cbranch_execz .LBB1282_5
; %bb.4:                                ;   in Loop: Header=BB1282_3 Depth=1
	v_mov_b32_e32 v3, v2
	ds_store_b64 v13, v[2:3]
.LBB1282_5:                             ;   in Loop: Header=BB1282_3 Depth=1
	s_and_not1_saveexec_b32 s7, s7
	s_cbranch_execz .LBB1282_7
; %bb.6:                                ;   in Loop: Header=BB1282_3 Depth=1
	global_load_b64 v[18:19], v[6:7], off
	s_waitcnt vmcnt(0)
	ds_store_b64 v13, v[18:19]
.LBB1282_7:                             ;   in Loop: Header=BB1282_3 Depth=1
	s_or_b32 exec_lo, exec_lo, s7
	v_add_co_u32 v18, s7, v10, s4
	s_delay_alu instid0(VALU_DEP_1) | instskip(NEXT) | instid1(VALU_DEP_1)
	v_add_co_ci_u32_e64 v19, null, 0, s5, s7
	v_cmp_le_i64_e32 vcc_lo, s[16:17], v[18:19]
	s_or_b32 s7, s3, vcc_lo
	s_delay_alu instid0(SALU_CYCLE_1) | instskip(NEXT) | instid1(SALU_CYCLE_1)
	s_and_saveexec_b32 s8, s7
	s_xor_b32 s7, exec_lo, s8
	s_cbranch_execz .LBB1282_9
; %bb.8:                                ;   in Loop: Header=BB1282_3 Depth=1
	v_mov_b32_e32 v3, v2
	ds_store_b64 v15, v[2:3]
.LBB1282_9:                             ;   in Loop: Header=BB1282_3 Depth=1
	s_and_not1_saveexec_b32 s7, s7
	s_cbranch_execz .LBB1282_2
; %bb.10:                               ;   in Loop: Header=BB1282_3 Depth=1
	global_load_b64 v[18:19], v[4:5], off
	s_waitcnt vmcnt(0)
	ds_store_b64 v15, v[18:19]
	s_branch .LBB1282_2
.LBB1282_11:
	v_cmp_le_i32_e32 vcc_lo, v8, v0
	v_cmp_gt_i32_e64 s2, s6, v0
	s_delay_alu instid0(VALU_DEP_1) | instskip(NEXT) | instid1(SALU_CYCLE_1)
	s_and_b32 s2, vcc_lo, s2
	s_and_saveexec_b32 s3, s2
	s_cbranch_execz .LBB1282_14
; %bb.12:
	s_clause 0x1
	s_load_b128 s[4:7], s[0:1], 0x50
	s_load_b64 s[0:1], s[0:1], 0x60
	v_lshlrev_b64 v[5:6], 3, v[0:1]
	v_mul_f32_e32 v10, s19, v17
	v_mul_f32_e32 v4, s18, v17
	s_delay_alu instid0(VALU_DEP_1)
	v_fmac_f32_e32 v4, s19, v16
	s_waitcnt lgkmcnt(0)
	v_mul_lo_u32 v7, v8, s7
	v_mul_lo_u32 v9, v9, s6
	v_mad_u64_u32 v[2:3], null, v8, s6, 0
	s_mul_i32 s1, s15, s1
	s_mul_hi_u32 s2, s15, s0
	s_mul_i32 s0, s15, s0
	s_add_i32 s1, s2, s1
	s_delay_alu instid0(SALU_CYCLE_1) | instskip(NEXT) | instid1(VALU_DEP_1)
	s_lshl_b64 s[0:1], s[0:1], 3
	v_add3_u32 v3, v3, v7, v9
	s_add_u32 s0, s4, s0
	s_addc_u32 s1, s5, s1
	s_delay_alu instid0(VALU_DEP_1) | instskip(SKIP_1) | instid1(VALU_DEP_2)
	v_lshlrev_b64 v[1:2], 3, v[2:3]
	v_fma_f32 v3, v16, s18, -v10
	v_add_co_u32 v1, vcc_lo, s0, v1
	s_delay_alu instid0(VALU_DEP_3) | instskip(NEXT) | instid1(VALU_DEP_2)
	v_add_co_ci_u32_e32 v2, vcc_lo, s1, v2, vcc_lo
	v_add_co_u32 v1, vcc_lo, v1, v5
	s_delay_alu instid0(VALU_DEP_2)
	v_add_co_ci_u32_e32 v2, vcc_lo, v2, v6, vcc_lo
	v_cmp_eq_u32_e32 vcc_lo, v0, v8
	global_store_b64 v[1:2], v[3:4], off
	s_and_b32 exec_lo, exec_lo, vcc_lo
	s_cbranch_execz .LBB1282_14
; %bb.13:
	v_mov_b32_e32 v0, 0
	global_store_b32 v[1:2], v0, off offset:4
.LBB1282_14:
	s_nop 0
	s_sendmsg sendmsg(MSG_DEALLOC_VGPRS)
	s_endpgm
	.section	.rodata,"a",@progbits
	.p2align	6, 0x0
	.amdhsa_kernel _ZL32rocblas_syrkx_herkx_small_kernelIl19rocblas_complex_numIfELi16ELb1ELb1ELc84ELc76EKS1_S1_EviT_T0_PT6_S3_lS6_S3_lS4_PT7_S3_li
		.amdhsa_group_segment_fixed_size 4096
		.amdhsa_private_segment_fixed_size 0
		.amdhsa_kernarg_size 108
		.amdhsa_user_sgpr_count 13
		.amdhsa_user_sgpr_dispatch_ptr 0
		.amdhsa_user_sgpr_queue_ptr 0
		.amdhsa_user_sgpr_kernarg_segment_ptr 1
		.amdhsa_user_sgpr_dispatch_id 0
		.amdhsa_user_sgpr_private_segment_size 0
		.amdhsa_wavefront_size32 1
		.amdhsa_uses_dynamic_stack 0
		.amdhsa_enable_private_segment 0
		.amdhsa_system_sgpr_workgroup_id_x 1
		.amdhsa_system_sgpr_workgroup_id_y 1
		.amdhsa_system_sgpr_workgroup_id_z 1
		.amdhsa_system_sgpr_workgroup_info 0
		.amdhsa_system_vgpr_workitem_id 1
		.amdhsa_next_free_vgpr 70
		.amdhsa_next_free_sgpr 32
		.amdhsa_reserve_vcc 1
		.amdhsa_float_round_mode_32 0
		.amdhsa_float_round_mode_16_64 0
		.amdhsa_float_denorm_mode_32 3
		.amdhsa_float_denorm_mode_16_64 3
		.amdhsa_dx10_clamp 1
		.amdhsa_ieee_mode 1
		.amdhsa_fp16_overflow 0
		.amdhsa_workgroup_processor_mode 1
		.amdhsa_memory_ordered 1
		.amdhsa_forward_progress 0
		.amdhsa_shared_vgpr_count 0
		.amdhsa_exception_fp_ieee_invalid_op 0
		.amdhsa_exception_fp_denorm_src 0
		.amdhsa_exception_fp_ieee_div_zero 0
		.amdhsa_exception_fp_ieee_overflow 0
		.amdhsa_exception_fp_ieee_underflow 0
		.amdhsa_exception_fp_ieee_inexact 0
		.amdhsa_exception_int_div_zero 0
	.end_amdhsa_kernel
	.section	.text._ZL32rocblas_syrkx_herkx_small_kernelIl19rocblas_complex_numIfELi16ELb1ELb1ELc84ELc76EKS1_S1_EviT_T0_PT6_S3_lS6_S3_lS4_PT7_S3_li,"axG",@progbits,_ZL32rocblas_syrkx_herkx_small_kernelIl19rocblas_complex_numIfELi16ELb1ELb1ELc84ELc76EKS1_S1_EviT_T0_PT6_S3_lS6_S3_lS4_PT7_S3_li,comdat
.Lfunc_end1282:
	.size	_ZL32rocblas_syrkx_herkx_small_kernelIl19rocblas_complex_numIfELi16ELb1ELb1ELc84ELc76EKS1_S1_EviT_T0_PT6_S3_lS6_S3_lS4_PT7_S3_li, .Lfunc_end1282-_ZL32rocblas_syrkx_herkx_small_kernelIl19rocblas_complex_numIfELi16ELb1ELb1ELc84ELc76EKS1_S1_EviT_T0_PT6_S3_lS6_S3_lS4_PT7_S3_li
                                        ; -- End function
	.section	.AMDGPU.csdata,"",@progbits
; Kernel info:
; codeLenInByte = 1576
; NumSgprs: 34
; NumVgprs: 70
; ScratchSize: 0
; MemoryBound: 1
; FloatMode: 240
; IeeeMode: 1
; LDSByteSize: 4096 bytes/workgroup (compile time only)
; SGPRBlocks: 4
; VGPRBlocks: 8
; NumSGPRsForWavesPerEU: 34
; NumVGPRsForWavesPerEU: 70
; Occupancy: 16
; WaveLimiterHint : 0
; COMPUTE_PGM_RSRC2:SCRATCH_EN: 0
; COMPUTE_PGM_RSRC2:USER_SGPR: 13
; COMPUTE_PGM_RSRC2:TRAP_HANDLER: 0
; COMPUTE_PGM_RSRC2:TGID_X_EN: 1
; COMPUTE_PGM_RSRC2:TGID_Y_EN: 1
; COMPUTE_PGM_RSRC2:TGID_Z_EN: 1
; COMPUTE_PGM_RSRC2:TIDIG_COMP_CNT: 1
	.section	.text._ZL32rocblas_syrkx_herkx_small_kernelIl19rocblas_complex_numIfELi16ELb1ELb1ELc67ELc76EKS1_S1_EviT_T0_PT6_S3_lS6_S3_lS4_PT7_S3_li,"axG",@progbits,_ZL32rocblas_syrkx_herkx_small_kernelIl19rocblas_complex_numIfELi16ELb1ELb1ELc67ELc76EKS1_S1_EviT_T0_PT6_S3_lS6_S3_lS4_PT7_S3_li,comdat
	.globl	_ZL32rocblas_syrkx_herkx_small_kernelIl19rocblas_complex_numIfELi16ELb1ELb1ELc67ELc76EKS1_S1_EviT_T0_PT6_S3_lS6_S3_lS4_PT7_S3_li ; -- Begin function _ZL32rocblas_syrkx_herkx_small_kernelIl19rocblas_complex_numIfELi16ELb1ELb1ELc67ELc76EKS1_S1_EviT_T0_PT6_S3_lS6_S3_lS4_PT7_S3_li
	.p2align	8
	.type	_ZL32rocblas_syrkx_herkx_small_kernelIl19rocblas_complex_numIfELi16ELb1ELb1ELc67ELc76EKS1_S1_EviT_T0_PT6_S3_lS6_S3_lS4_PT7_S3_li,@function
_ZL32rocblas_syrkx_herkx_small_kernelIl19rocblas_complex_numIfELi16ELb1ELb1ELc67ELc76EKS1_S1_EviT_T0_PT6_S3_lS6_S3_lS4_PT7_S3_li: ; @_ZL32rocblas_syrkx_herkx_small_kernelIl19rocblas_complex_numIfELi16ELb1ELb1ELc67ELc76EKS1_S1_EviT_T0_PT6_S3_lS6_S3_lS4_PT7_S3_li
; %bb.0:
	s_clause 0x1
	s_load_b512 s[16:31], s[0:1], 0x8
	s_load_b32 s6, s[0:1], 0x0
	v_dual_mov_b32 v17, 0 :: v_dual_and_b32 v10, 0x3ff, v0
	v_bfe_u32 v11, v0, 10, 10
	v_mov_b32_e32 v16, 0
	s_delay_alu instid0(VALU_DEP_3) | instskip(NEXT) | instid1(VALU_DEP_3)
	v_lshl_add_u32 v0, s13, 4, v10
	v_lshl_add_u32 v8, s14, 4, v11
	s_delay_alu instid0(VALU_DEP_2) | instskip(NEXT) | instid1(VALU_DEP_2)
	v_ashrrev_i32_e32 v1, 31, v0
	v_ashrrev_i32_e32 v9, 31, v8
	s_waitcnt lgkmcnt(0)
	v_cmp_lt_i64_e64 s3, s[16:17], 1
	v_cmp_gt_i32_e64 s2, s6, v0
	s_delay_alu instid0(VALU_DEP_2)
	s_and_b32 vcc_lo, exec_lo, s3
	s_cbranch_vccnz .LBB1283_11
; %bb.1:
	v_mul_lo_u32 v2, s29, v8
	v_mul_lo_u32 v5, s28, v9
	v_mad_u64_u32 v[3:4], null, s28, v8, 0
	v_mul_lo_u32 v16, s23, v0
	v_mul_lo_u32 v17, s22, v1
	s_mul_i32 s3, s31, s15
	s_mul_hi_u32 s4, s30, s15
	s_mul_hi_u32 s7, s24, s15
	s_add_i32 s5, s4, s3
	s_delay_alu instid0(VALU_DEP_3)
	v_add3_u32 v4, v4, v5, v2
	v_mad_u64_u32 v[5:6], null, s22, v0, 0
	s_mul_i32 s3, s25, s15
	v_dual_mov_b32 v2, 0 :: v_dual_lshlrev_b32 v7, 7, v11
	v_lshlrev_b32_e32 v12, 3, v10
	s_add_i32 s9, s7, s3
	s_mul_i32 s8, s24, s15
	s_delay_alu instid0(VALU_DEP_3)
	v_add3_u32 v6, v6, v17, v16
	v_lshlrev_b64 v[3:4], 3, v[3:4]
	s_lshl_b64 s[8:9], s[8:9], 3
	s_mul_i32 s4, s30, s15
	v_add_nc_u32_e32 v13, 0x800, v7
	v_lshlrev_b64 v[5:6], 3, v[5:6]
	v_add_nc_u32_e32 v14, v12, v7
	s_lshl_b64 s[4:5], s[4:5], 3
	v_lshlrev_b32_e32 v7, 3, v11
	v_cmp_gt_i32_e32 vcc_lo, s6, v8
	s_xor_b32 s2, s2, -1
	v_add_co_u32 v5, s3, v5, s8
	s_delay_alu instid0(VALU_DEP_1) | instskip(SKIP_1) | instid1(VALU_DEP_1)
	v_add_co_ci_u32_e64 v6, s3, s9, v6, s3
	v_add_co_u32 v3, s3, v3, s4
	v_add_co_ci_u32_e64 v4, s3, s5, v4, s3
	s_delay_alu instid0(VALU_DEP_4) | instskip(NEXT) | instid1(VALU_DEP_1)
	v_add_co_u32 v5, s3, v5, v7
	v_add_co_ci_u32_e64 v6, s3, 0, v6, s3
	s_delay_alu instid0(VALU_DEP_4) | instskip(NEXT) | instid1(VALU_DEP_1)
	;; [unrolled: 3-line block ×4, first 2 shown]
	v_add_co_u32 v4, s3, s26, v3
	v_add_co_ci_u32_e64 v5, s3, s27, v7, s3
	s_delay_alu instid0(VALU_DEP_4)
	v_add_co_u32 v6, s3, v16, 4
	v_mov_b32_e32 v16, 0
	v_add_co_ci_u32_e64 v7, s3, 0, v17, s3
	v_mov_b32_e32 v17, 0
	v_add_nc_u32_e32 v15, v13, v12
	s_mov_b64 s[4:5], 0
	s_xor_b32 s3, vcc_lo, -1
	s_branch .LBB1283_3
.LBB1283_2:                             ;   in Loop: Header=BB1283_3 Depth=1
	s_or_b32 exec_lo, exec_lo, s7
	s_waitcnt lgkmcnt(0)
	s_barrier
	buffer_gl0_inv
	ds_load_2addr_b64 v[18:21], v12 offset1:16
	ds_load_b128 v[22:25], v13
	ds_load_b128 v[26:29], v13 offset:16
	ds_load_2addr_b64 v[30:33], v12 offset0:32 offset1:48
	ds_load_2addr_b64 v[34:37], v12 offset0:64 offset1:80
	ds_load_b128 v[38:41], v13 offset:32
	ds_load_b128 v[42:45], v13 offset:48
	ds_load_2addr_b64 v[46:49], v12 offset0:96 offset1:112
	ds_load_2addr_b64 v[50:53], v12 offset0:128 offset1:144
	;; [unrolled: 1-line block ×3, first 2 shown]
	ds_load_b128 v[58:61], v13 offset:64
	ds_load_b128 v[62:65], v13 offset:80
	s_add_u32 s4, s4, 16
	s_addc_u32 s5, s5, 0
	v_add_co_u32 v4, vcc_lo, 0x80, v4
	v_cmp_ge_i64_e64 s7, s[4:5], s[16:17]
	v_add_co_ci_u32_e32 v5, vcc_lo, 0, v5, vcc_lo
	v_add_co_u32 v6, vcc_lo, 0x80, v6
	s_waitcnt lgkmcnt(10)
	v_dual_mul_f32 v3, v23, v19 :: v_dual_mul_f32 v66, v25, v21
	s_waitcnt lgkmcnt(8)
	v_dual_mul_f32 v19, v22, v19 :: v_dual_mul_f32 v68, v29, v33
	v_mul_f32_e32 v67, v27, v31
	s_delay_alu instid0(VALU_DEP_3) | instskip(SKIP_1) | instid1(VALU_DEP_3)
	v_fma_f32 v3, v22, v18, -v3
	s_waitcnt lgkmcnt(6)
	v_dual_mul_f32 v22, v41, v37 :: v_dual_fmac_f32 v19, v23, v18
	v_mul_f32_e32 v21, v24, v21
	v_dual_mul_f32 v31, v26, v31 :: v_dual_mul_f32 v18, v40, v37
	v_add_f32_e32 v3, v16, v3
	s_delay_alu instid0(VALU_DEP_4) | instskip(NEXT) | instid1(VALU_DEP_4)
	v_add_f32_e32 v16, v17, v19
	v_fmac_f32_e32 v21, v25, v20
	v_mul_f32_e32 v33, v28, v33
	v_mul_f32_e32 v69, v39, v35
	v_fma_f32 v23, v24, v20, -v66
	s_waitcnt lgkmcnt(1)
	v_dual_fmac_f32 v31, v27, v30 :: v_dual_mul_f32 v24, v58, v51
	v_add_f32_e32 v16, v16, v21
	v_dual_mul_f32 v20, v42, v47 :: v_dual_fmac_f32 v33, v29, v32
	v_fma_f32 v21, v28, v32, -v68
	v_fmac_f32_e32 v18, v41, v36
	s_delay_alu instid0(VALU_DEP_4) | instskip(NEXT) | instid1(VALU_DEP_4)
	v_add_f32_e32 v16, v16, v31
	v_dual_fmac_f32 v20, v43, v46 :: v_dual_mul_f32 v35, v38, v35
	s_waitcnt lgkmcnt(0)
	v_mul_f32_e32 v32, v62, v55
	v_fma_f32 v19, v26, v30, -v67
	v_add_f32_e32 v16, v16, v33
	v_mul_f32_e32 v27, v60, v53
	v_fmac_f32_e32 v35, v39, v34
	v_fma_f32 v22, v40, v36, -v22
	v_add_co_ci_u32_e32 v7, vcc_lo, 0, v7, vcc_lo
	s_delay_alu instid0(VALU_DEP_3)
	v_dual_fmac_f32 v27, v61, v52 :: v_dual_add_f32 v16, v16, v35
	v_mul_f32_e32 v17, v43, v47
	v_fmac_f32_e32 v24, v59, v50
	v_mul_f32_e32 v26, v61, v53
	s_and_b32 vcc_lo, exec_lo, s7
	v_dual_add_f32 v16, v16, v18 :: v_dual_add_f32 v3, v3, v23
	v_fma_f32 v23, v38, v34, -v69
	v_fma_f32 v17, v42, v46, -v17
	v_fmac_f32_e32 v32, v63, v54
	s_delay_alu instid0(VALU_DEP_4) | instskip(SKIP_2) | instid1(VALU_DEP_3)
	v_dual_add_f32 v20, v16, v20 :: v_dual_add_f32 v3, v3, v19
	v_mul_f32_e32 v19, v45, v49
	v_mul_f32_e32 v36, v64, v57
	v_add_f32_e32 v3, v3, v21
	s_delay_alu instid0(VALU_DEP_2) | instskip(NEXT) | instid1(VALU_DEP_1)
	v_dual_mul_f32 v21, v44, v49 :: v_dual_fmac_f32 v36, v65, v56
	v_fmac_f32_e32 v21, v45, v48
	s_delay_alu instid0(VALU_DEP_1) | instskip(NEXT) | instid1(VALU_DEP_1)
	v_add_f32_e32 v25, v20, v21
	v_dual_add_f32 v24, v25, v24 :: v_dual_add_f32 v3, v3, v23
	v_fma_f32 v25, v60, v52, -v26
	v_mul_f32_e32 v26, v63, v55
	s_delay_alu instid0(VALU_DEP_3) | instskip(NEXT) | instid1(VALU_DEP_4)
	v_add_f32_e32 v33, v24, v27
	v_add_f32_e32 v3, v3, v22
	v_mul_f32_e32 v23, v59, v51
	v_fma_f32 v22, v44, v48, -v19
	v_fma_f32 v34, v62, v54, -v26
	s_delay_alu instid0(VALU_DEP_4) | instskip(SKIP_3) | instid1(VALU_DEP_1)
	v_dual_add_f32 v32, v33, v32 :: v_dual_add_f32 v3, v3, v17
	ds_load_2addr_b64 v[16:19], v12 offset0:192 offset1:208
	v_fma_f32 v23, v58, v50, -v23
	v_dual_add_f32 v32, v32, v36 :: v_dual_add_f32 v3, v3, v22
	v_add_f32_e32 v3, v3, v23
	ds_load_b128 v[20:23], v13 offset:96
	v_add_f32_e32 v3, v3, v25
	ds_load_2addr_b64 v[24:27], v12 offset0:224 offset1:240
	ds_load_b128 v[28:31], v13 offset:112
	v_mul_f32_e32 v35, v65, v57
	s_waitcnt lgkmcnt(0)
	s_barrier
	v_add_f32_e32 v3, v3, v34
	buffer_gl0_inv
	v_fma_f32 v33, v64, v56, -v35
	s_delay_alu instid0(VALU_DEP_1) | instskip(SKIP_2) | instid1(VALU_DEP_2)
	v_add_f32_e32 v3, v3, v33
	v_mul_f32_e32 v34, v21, v17
	v_mul_f32_e32 v17, v20, v17
	v_fma_f32 v20, v20, v16, -v34
	s_delay_alu instid0(VALU_DEP_2) | instskip(SKIP_1) | instid1(VALU_DEP_3)
	v_dual_fmac_f32 v17, v21, v16 :: v_dual_mul_f32 v16, v23, v19
	v_mul_f32_e32 v19, v22, v19
	v_add_f32_e32 v3, v3, v20
	s_delay_alu instid0(VALU_DEP_3) | instskip(NEXT) | instid1(VALU_DEP_4)
	v_add_f32_e32 v17, v32, v17
	v_fma_f32 v16, v22, v18, -v16
	s_delay_alu instid0(VALU_DEP_4) | instskip(NEXT) | instid1(VALU_DEP_2)
	v_dual_fmac_f32 v19, v23, v18 :: v_dual_mul_f32 v18, v29, v25
	v_dual_mul_f32 v20, v28, v25 :: v_dual_add_f32 v3, v3, v16
	s_delay_alu instid0(VALU_DEP_2) | instskip(NEXT) | instid1(VALU_DEP_3)
	v_add_f32_e32 v16, v17, v19
	v_fma_f32 v17, v28, v24, -v18
	v_mul_f32_e32 v18, v31, v27
	s_delay_alu instid0(VALU_DEP_4) | instskip(NEXT) | instid1(VALU_DEP_3)
	v_dual_fmac_f32 v20, v29, v24 :: v_dual_mul_f32 v19, v30, v27
	v_add_f32_e32 v3, v3, v17
	s_delay_alu instid0(VALU_DEP_2) | instskip(NEXT) | instid1(VALU_DEP_4)
	v_add_f32_e32 v17, v16, v20
	v_fma_f32 v16, v30, v26, -v18
	s_delay_alu instid0(VALU_DEP_4) | instskip(NEXT) | instid1(VALU_DEP_1)
	v_fmac_f32_e32 v19, v31, v26
	v_dual_add_f32 v16, v3, v16 :: v_dual_add_f32 v17, v17, v19
	s_cbranch_vccnz .LBB1283_11
.LBB1283_3:                             ; =>This Inner Loop Header: Depth=1
	v_add_co_u32 v18, s7, v11, s4
	s_delay_alu instid0(VALU_DEP_1) | instskip(NEXT) | instid1(VALU_DEP_1)
	v_add_co_ci_u32_e64 v19, null, 0, s5, s7
                                        ; implicit-def: $sgpr8
	v_cmp_le_i64_e32 vcc_lo, s[16:17], v[18:19]
	s_or_b32 s7, s2, vcc_lo
	s_delay_alu instid0(SALU_CYCLE_1) | instskip(NEXT) | instid1(SALU_CYCLE_1)
	s_and_saveexec_b32 s9, s7
	s_xor_b32 s7, exec_lo, s9
	s_cbranch_execz .LBB1283_5
; %bb.4:                                ;   in Loop: Header=BB1283_3 Depth=1
	s_mov_b32 s8, 0
	ds_store_b32 v14, v2
.LBB1283_5:                             ;   in Loop: Header=BB1283_3 Depth=1
	s_or_saveexec_b32 s7, s7
	v_mov_b32_e32 v3, s8
	s_xor_b32 exec_lo, exec_lo, s7
	s_cbranch_execz .LBB1283_7
; %bb.6:                                ;   in Loop: Header=BB1283_3 Depth=1
	global_load_b64 v[18:19], v[6:7], off offset:-4
	s_waitcnt vmcnt(0)
	v_xor_b32_e32 v3, 0x80000000, v19
	ds_store_b32 v14, v18
.LBB1283_7:                             ;   in Loop: Header=BB1283_3 Depth=1
	s_or_b32 exec_lo, exec_lo, s7
	v_add_co_u32 v18, s7, v10, s4
	s_delay_alu instid0(VALU_DEP_1) | instskip(SKIP_3) | instid1(SALU_CYCLE_1)
	v_add_co_ci_u32_e64 v19, null, 0, s5, s7
	ds_store_b32 v14, v3 offset:4
	v_cmp_le_i64_e32 vcc_lo, s[16:17], v[18:19]
	s_or_b32 s7, s3, vcc_lo
	s_and_saveexec_b32 s8, s7
	s_delay_alu instid0(SALU_CYCLE_1)
	s_xor_b32 s7, exec_lo, s8
	s_cbranch_execz .LBB1283_9
; %bb.8:                                ;   in Loop: Header=BB1283_3 Depth=1
	v_mov_b32_e32 v3, v2
	ds_store_b64 v15, v[2:3]
.LBB1283_9:                             ;   in Loop: Header=BB1283_3 Depth=1
	s_and_not1_saveexec_b32 s7, s7
	s_cbranch_execz .LBB1283_2
; %bb.10:                               ;   in Loop: Header=BB1283_3 Depth=1
	global_load_b64 v[18:19], v[4:5], off
	s_waitcnt vmcnt(0)
	ds_store_b64 v15, v[18:19]
	s_branch .LBB1283_2
.LBB1283_11:
	v_cmp_le_i32_e32 vcc_lo, v8, v0
	v_cmp_gt_i32_e64 s2, s6, v0
	s_delay_alu instid0(VALU_DEP_1) | instskip(NEXT) | instid1(SALU_CYCLE_1)
	s_and_b32 s2, vcc_lo, s2
	s_and_saveexec_b32 s3, s2
	s_cbranch_execz .LBB1283_14
; %bb.12:
	s_clause 0x1
	s_load_b128 s[4:7], s[0:1], 0x50
	s_load_b64 s[0:1], s[0:1], 0x60
	v_lshlrev_b64 v[5:6], 3, v[0:1]
	v_mul_f32_e32 v10, s19, v17
	v_mul_f32_e32 v4, s18, v17
	s_delay_alu instid0(VALU_DEP_1)
	v_fmac_f32_e32 v4, s19, v16
	s_waitcnt lgkmcnt(0)
	v_mul_lo_u32 v7, v8, s7
	v_mul_lo_u32 v9, v9, s6
	v_mad_u64_u32 v[2:3], null, v8, s6, 0
	s_mul_i32 s1, s15, s1
	s_mul_hi_u32 s2, s15, s0
	s_mul_i32 s0, s15, s0
	s_add_i32 s1, s2, s1
	s_delay_alu instid0(SALU_CYCLE_1) | instskip(NEXT) | instid1(VALU_DEP_1)
	s_lshl_b64 s[0:1], s[0:1], 3
	v_add3_u32 v3, v3, v7, v9
	s_add_u32 s0, s4, s0
	s_addc_u32 s1, s5, s1
	s_delay_alu instid0(VALU_DEP_1) | instskip(SKIP_1) | instid1(VALU_DEP_2)
	v_lshlrev_b64 v[1:2], 3, v[2:3]
	v_fma_f32 v3, v16, s18, -v10
	v_add_co_u32 v1, vcc_lo, s0, v1
	s_delay_alu instid0(VALU_DEP_3) | instskip(NEXT) | instid1(VALU_DEP_2)
	v_add_co_ci_u32_e32 v2, vcc_lo, s1, v2, vcc_lo
	v_add_co_u32 v1, vcc_lo, v1, v5
	s_delay_alu instid0(VALU_DEP_2)
	v_add_co_ci_u32_e32 v2, vcc_lo, v2, v6, vcc_lo
	v_cmp_eq_u32_e32 vcc_lo, v0, v8
	global_store_b64 v[1:2], v[3:4], off
	s_and_b32 exec_lo, exec_lo, vcc_lo
	s_cbranch_execz .LBB1283_14
; %bb.13:
	v_mov_b32_e32 v0, 0
	global_store_b32 v[1:2], v0, off offset:4
.LBB1283_14:
	s_nop 0
	s_sendmsg sendmsg(MSG_DEALLOC_VGPRS)
	s_endpgm
	.section	.rodata,"a",@progbits
	.p2align	6, 0x0
	.amdhsa_kernel _ZL32rocblas_syrkx_herkx_small_kernelIl19rocblas_complex_numIfELi16ELb1ELb1ELc67ELc76EKS1_S1_EviT_T0_PT6_S3_lS6_S3_lS4_PT7_S3_li
		.amdhsa_group_segment_fixed_size 4096
		.amdhsa_private_segment_fixed_size 0
		.amdhsa_kernarg_size 108
		.amdhsa_user_sgpr_count 13
		.amdhsa_user_sgpr_dispatch_ptr 0
		.amdhsa_user_sgpr_queue_ptr 0
		.amdhsa_user_sgpr_kernarg_segment_ptr 1
		.amdhsa_user_sgpr_dispatch_id 0
		.amdhsa_user_sgpr_private_segment_size 0
		.amdhsa_wavefront_size32 1
		.amdhsa_uses_dynamic_stack 0
		.amdhsa_enable_private_segment 0
		.amdhsa_system_sgpr_workgroup_id_x 1
		.amdhsa_system_sgpr_workgroup_id_y 1
		.amdhsa_system_sgpr_workgroup_id_z 1
		.amdhsa_system_sgpr_workgroup_info 0
		.amdhsa_system_vgpr_workitem_id 1
		.amdhsa_next_free_vgpr 70
		.amdhsa_next_free_sgpr 32
		.amdhsa_reserve_vcc 1
		.amdhsa_float_round_mode_32 0
		.amdhsa_float_round_mode_16_64 0
		.amdhsa_float_denorm_mode_32 3
		.amdhsa_float_denorm_mode_16_64 3
		.amdhsa_dx10_clamp 1
		.amdhsa_ieee_mode 1
		.amdhsa_fp16_overflow 0
		.amdhsa_workgroup_processor_mode 1
		.amdhsa_memory_ordered 1
		.amdhsa_forward_progress 0
		.amdhsa_shared_vgpr_count 0
		.amdhsa_exception_fp_ieee_invalid_op 0
		.amdhsa_exception_fp_denorm_src 0
		.amdhsa_exception_fp_ieee_div_zero 0
		.amdhsa_exception_fp_ieee_overflow 0
		.amdhsa_exception_fp_ieee_underflow 0
		.amdhsa_exception_fp_ieee_inexact 0
		.amdhsa_exception_int_div_zero 0
	.end_amdhsa_kernel
	.section	.text._ZL32rocblas_syrkx_herkx_small_kernelIl19rocblas_complex_numIfELi16ELb1ELb1ELc67ELc76EKS1_S1_EviT_T0_PT6_S3_lS6_S3_lS4_PT7_S3_li,"axG",@progbits,_ZL32rocblas_syrkx_herkx_small_kernelIl19rocblas_complex_numIfELi16ELb1ELb1ELc67ELc76EKS1_S1_EviT_T0_PT6_S3_lS6_S3_lS4_PT7_S3_li,comdat
.Lfunc_end1283:
	.size	_ZL32rocblas_syrkx_herkx_small_kernelIl19rocblas_complex_numIfELi16ELb1ELb1ELc67ELc76EKS1_S1_EviT_T0_PT6_S3_lS6_S3_lS4_PT7_S3_li, .Lfunc_end1283-_ZL32rocblas_syrkx_herkx_small_kernelIl19rocblas_complex_numIfELi16ELb1ELb1ELc67ELc76EKS1_S1_EviT_T0_PT6_S3_lS6_S3_lS4_PT7_S3_li
                                        ; -- End function
	.section	.AMDGPU.csdata,"",@progbits
; Kernel info:
; codeLenInByte = 1624
; NumSgprs: 34
; NumVgprs: 70
; ScratchSize: 0
; MemoryBound: 1
; FloatMode: 240
; IeeeMode: 1
; LDSByteSize: 4096 bytes/workgroup (compile time only)
; SGPRBlocks: 4
; VGPRBlocks: 8
; NumSGPRsForWavesPerEU: 34
; NumVGPRsForWavesPerEU: 70
; Occupancy: 16
; WaveLimiterHint : 0
; COMPUTE_PGM_RSRC2:SCRATCH_EN: 0
; COMPUTE_PGM_RSRC2:USER_SGPR: 13
; COMPUTE_PGM_RSRC2:TRAP_HANDLER: 0
; COMPUTE_PGM_RSRC2:TGID_X_EN: 1
; COMPUTE_PGM_RSRC2:TGID_Y_EN: 1
; COMPUTE_PGM_RSRC2:TGID_Z_EN: 1
; COMPUTE_PGM_RSRC2:TIDIG_COMP_CNT: 1
	.section	.text._ZL32rocblas_syrkx_herkx_small_kernelIl19rocblas_complex_numIfELi16ELb1ELb1ELc78ELc76EKS1_S1_EviT_T0_PT6_S3_lS6_S3_lS4_PT7_S3_li,"axG",@progbits,_ZL32rocblas_syrkx_herkx_small_kernelIl19rocblas_complex_numIfELi16ELb1ELb1ELc78ELc76EKS1_S1_EviT_T0_PT6_S3_lS6_S3_lS4_PT7_S3_li,comdat
	.globl	_ZL32rocblas_syrkx_herkx_small_kernelIl19rocblas_complex_numIfELi16ELb1ELb1ELc78ELc76EKS1_S1_EviT_T0_PT6_S3_lS6_S3_lS4_PT7_S3_li ; -- Begin function _ZL32rocblas_syrkx_herkx_small_kernelIl19rocblas_complex_numIfELi16ELb1ELb1ELc78ELc76EKS1_S1_EviT_T0_PT6_S3_lS6_S3_lS4_PT7_S3_li
	.p2align	8
	.type	_ZL32rocblas_syrkx_herkx_small_kernelIl19rocblas_complex_numIfELi16ELb1ELb1ELc78ELc76EKS1_S1_EviT_T0_PT6_S3_lS6_S3_lS4_PT7_S3_li,@function
_ZL32rocblas_syrkx_herkx_small_kernelIl19rocblas_complex_numIfELi16ELb1ELb1ELc78ELc76EKS1_S1_EviT_T0_PT6_S3_lS6_S3_lS4_PT7_S3_li: ; @_ZL32rocblas_syrkx_herkx_small_kernelIl19rocblas_complex_numIfELi16ELb1ELb1ELc78ELc76EKS1_S1_EviT_T0_PT6_S3_lS6_S3_lS4_PT7_S3_li
; %bb.0:
	s_clause 0x1
	s_load_b512 s[16:31], s[0:1], 0x8
	s_load_b32 s10, s[0:1], 0x0
	v_dual_mov_b32 v17, 0 :: v_dual_and_b32 v10, 0x3ff, v0
	v_bfe_u32 v11, v0, 10, 10
	v_mov_b32_e32 v16, 0
	s_delay_alu instid0(VALU_DEP_3) | instskip(NEXT) | instid1(VALU_DEP_3)
	v_lshl_add_u32 v0, s13, 4, v10
	v_lshl_add_u32 v2, s14, 4, v11
	s_delay_alu instid0(VALU_DEP_2) | instskip(NEXT) | instid1(VALU_DEP_2)
	v_ashrrev_i32_e32 v1, 31, v0
	v_ashrrev_i32_e32 v3, 31, v2
	s_waitcnt lgkmcnt(0)
	v_cmp_lt_i64_e64 s3, s[16:17], 1
	v_cmp_gt_i32_e64 s2, s10, v0
	s_delay_alu instid0(VALU_DEP_2)
	s_and_b32 vcc_lo, exec_lo, s3
	s_cbranch_vccnz .LBB1284_11
; %bb.1:
	v_mad_u64_u32 v[5:6], null, s28, v10, 0
	s_mul_i32 s3, s31, s15
	s_mul_hi_u32 s5, s30, s15
	s_mul_i32 s4, s30, s15
	s_add_i32 s5, s5, s3
	v_lshlrev_b64 v[16:17], 3, v[2:3]
	s_lshl_b64 s[4:5], s[4:5], 3
	s_delay_alu instid0(VALU_DEP_2)
	v_mad_u64_u32 v[7:8], null, s29, v10, v[6:7]
	v_mad_u64_u32 v[8:9], null, s22, v11, 0
	v_mov_b32_e32 v4, 0
	s_mul_i32 s7, s25, s15
	s_mul_hi_u32 s8, s24, s15
	s_mul_i32 s6, s24, s15
	s_delay_alu instid0(VALU_DEP_3) | instskip(SKIP_1) | instid1(VALU_DEP_3)
	v_mov_b32_e32 v6, v7
	s_add_i32 s7, s8, s7
	v_dual_mov_b32 v7, v9 :: v_dual_lshlrev_b32 v12, 3, v10
	v_cmp_gt_i32_e32 vcc_lo, s10, v2
	s_mov_b64 s[8:9], 0
	s_xor_b32 s2, s2, -1
	s_delay_alu instid0(VALU_DEP_2) | instskip(NEXT) | instid1(VALU_DEP_1)
	v_mad_u64_u32 v[18:19], null, s23, v11, v[7:8]
	v_dual_mov_b32 v9, v18 :: v_dual_lshlrev_b32 v14, 7, v11
	s_delay_alu instid0(VALU_DEP_1) | instskip(SKIP_1) | instid1(VALU_DEP_1)
	v_add_nc_u32_e32 v13, 0x800, v14
	v_lshlrev_b64 v[5:6], 3, v[5:6]
	v_add_co_u32 v5, s3, s4, v5
	s_delay_alu instid0(VALU_DEP_1) | instskip(SKIP_1) | instid1(VALU_DEP_2)
	v_add_co_ci_u32_e64 v6, s3, s5, v6, s3
	s_lshl_b64 s[4:5], s[6:7], 3
	v_add_co_u32 v7, s3, v5, v16
	s_delay_alu instid0(VALU_DEP_1) | instskip(SKIP_1) | instid1(VALU_DEP_3)
	v_add_co_ci_u32_e64 v16, s3, v6, v17, s3
	v_lshlrev_b64 v[5:6], 3, v[8:9]
	v_add_co_u32 v7, s3, v7, s26
	s_delay_alu instid0(VALU_DEP_1) | instskip(SKIP_1) | instid1(VALU_DEP_4)
	v_add_co_ci_u32_e64 v16, s3, s27, v16, s3
	v_lshlrev_b64 v[8:9], 3, v[0:1]
	v_add_co_u32 v5, s3, s4, v5
	s_delay_alu instid0(VALU_DEP_1) | instskip(SKIP_1) | instid1(VALU_DEP_1)
	v_add_co_ci_u32_e64 v17, s3, s5, v6, s3
	v_add_co_u32 v6, s3, v7, 4
	v_add_co_ci_u32_e64 v7, s3, 0, v16, s3
	s_delay_alu instid0(VALU_DEP_4) | instskip(NEXT) | instid1(VALU_DEP_1)
	v_add_co_u32 v5, s3, v5, v8
	v_add_co_ci_u32_e64 v9, s3, v17, v9, s3
	v_mov_b32_e32 v17, 0
	s_delay_alu instid0(VALU_DEP_3)
	v_add_co_u32 v8, s3, s20, v5
	v_add_nc_u32_e32 v14, v12, v14
	v_dual_mov_b32 v16, 0 :: v_dual_add_nc_u32 v15, v13, v12
	v_add_co_ci_u32_e64 v9, s3, s21, v9, s3
	s_lshl_b64 s[4:5], s[28:29], 7
	s_lshl_b64 s[6:7], s[22:23], 7
	s_xor_b32 s3, vcc_lo, -1
	s_branch .LBB1284_3
.LBB1284_2:                             ;   in Loop: Header=BB1284_3 Depth=1
	s_or_b32 exec_lo, exec_lo, s11
	ds_store_b32 v15, v5 offset:4
	s_waitcnt lgkmcnt(0)
	s_barrier
	buffer_gl0_inv
	ds_load_2addr_b64 v[18:21], v12 offset1:16
	ds_load_b128 v[22:25], v13
	ds_load_b128 v[26:29], v13 offset:16
	ds_load_2addr_b64 v[30:33], v12 offset0:32 offset1:48
	ds_load_2addr_b64 v[34:37], v12 offset0:64 offset1:80
	ds_load_b128 v[38:41], v13 offset:32
	ds_load_b128 v[42:45], v13 offset:48
	ds_load_2addr_b64 v[46:49], v12 offset0:96 offset1:112
	ds_load_2addr_b64 v[50:53], v12 offset0:128 offset1:144
	;; [unrolled: 1-line block ×3, first 2 shown]
	ds_load_b128 v[58:61], v13 offset:64
	ds_load_b128 v[62:65], v13 offset:80
	s_add_u32 s8, s8, 16
	s_addc_u32 s9, s9, 0
	v_add_co_u32 v6, vcc_lo, v6, s4
	v_cmp_ge_i64_e64 s11, s[8:9], s[16:17]
	v_add_co_ci_u32_e32 v7, vcc_lo, s5, v7, vcc_lo
	v_add_co_u32 v8, vcc_lo, v8, s6
	s_waitcnt lgkmcnt(10)
	v_dual_mul_f32 v5, v23, v19 :: v_dual_mul_f32 v66, v25, v21
	s_waitcnt lgkmcnt(8)
	v_dual_mul_f32 v19, v22, v19 :: v_dual_mul_f32 v68, v29, v33
	v_mul_f32_e32 v67, v27, v31
	s_delay_alu instid0(VALU_DEP_3)
	v_fma_f32 v5, v22, v18, -v5
	s_waitcnt lgkmcnt(6)
	v_dual_mul_f32 v21, v24, v21 :: v_dual_mul_f32 v22, v38, v35
	v_mul_f32_e32 v33, v28, v33
	v_mul_f32_e32 v31, v26, v31
	v_add_f32_e32 v5, v16, v5
	v_dual_mul_f32 v16, v40, v37 :: v_dual_mul_f32 v69, v39, v35
	v_fmac_f32_e32 v21, v25, v20
	s_waitcnt lgkmcnt(1)
	v_mul_f32_e32 v25, v61, v53
	v_dual_mul_f32 v35, v41, v37 :: v_dual_fmac_f32 v22, v39, v34
	v_dual_fmac_f32 v16, v41, v36 :: v_dual_fmac_f32 v19, v23, v18
	v_fma_f32 v18, v24, v20, -v66
	v_mul_f32_e32 v24, v58, v51
	v_fma_f32 v20, v28, v32, -v68
	v_fma_f32 v23, v40, v36, -v35
	v_add_f32_e32 v17, v17, v19
	v_fma_f32 v19, v26, v30, -v67
	v_fmac_f32_e32 v24, v59, v50
	v_dual_add_f32 v5, v5, v18 :: v_dual_mul_f32 v18, v43, v47
	s_waitcnt lgkmcnt(0)
	v_dual_fmac_f32 v33, v29, v32 :: v_dual_mul_f32 v32, v62, v55
	v_add_f32_e32 v17, v17, v21
	s_delay_alu instid0(VALU_DEP_3) | instskip(SKIP_2) | instid1(VALU_DEP_3)
	v_add_f32_e32 v5, v5, v19
	v_fma_f32 v21, v38, v34, -v69
	v_dual_mul_f32 v19, v42, v47 :: v_dual_mul_f32 v36, v64, v57
	v_dual_fmac_f32 v32, v63, v54 :: v_dual_add_f32 v5, v5, v20
	s_delay_alu instid0(VALU_DEP_2) | instskip(NEXT) | instid1(VALU_DEP_3)
	v_dual_mul_f32 v20, v45, v49 :: v_dual_fmac_f32 v19, v43, v46
	v_fmac_f32_e32 v36, v65, v56
	v_fma_f32 v18, v42, v46, -v18
	s_delay_alu instid0(VALU_DEP_4) | instskip(SKIP_4) | instid1(VALU_DEP_4)
	v_add_f32_e32 v5, v5, v21
	v_mul_f32_e32 v21, v44, v49
	v_fma_f32 v25, v60, v52, -v25
	v_mul_f32_e32 v35, v65, v57
	v_add_co_ci_u32_e32 v9, vcc_lo, s7, v9, vcc_lo
	v_fmac_f32_e32 v21, v45, v48
	v_fmac_f32_e32 v31, v27, v30
	v_add_f32_e32 v5, v5, v23
	s_and_b32 vcc_lo, exec_lo, s11
	s_delay_alu instid0(VALU_DEP_2) | instskip(NEXT) | instid1(VALU_DEP_2)
	v_add_f32_e32 v17, v17, v31
	v_add_f32_e32 v5, v5, v18
	s_delay_alu instid0(VALU_DEP_2) | instskip(NEXT) | instid1(VALU_DEP_1)
	v_add_f32_e32 v17, v17, v33
	v_dual_add_f32 v17, v17, v22 :: v_dual_mul_f32 v22, v59, v51
	s_delay_alu instid0(VALU_DEP_1) | instskip(SKIP_1) | instid1(VALU_DEP_3)
	v_add_f32_e32 v16, v17, v16
	v_fma_f32 v17, v44, v48, -v20
	v_fma_f32 v18, v58, v50, -v22
	s_delay_alu instid0(VALU_DEP_2) | instskip(NEXT) | instid1(VALU_DEP_1)
	v_dual_add_f32 v16, v16, v19 :: v_dual_add_f32 v5, v5, v17
	v_dual_add_f32 v26, v16, v21 :: v_dual_add_f32 v5, v5, v18
	ds_load_2addr_b64 v[16:19], v12 offset0:192 offset1:208
	ds_load_b128 v[20:23], v13 offset:96
	v_add_f32_e32 v24, v26, v24
	v_dual_mul_f32 v26, v63, v55 :: v_dual_add_f32 v5, v5, v25
	s_delay_alu instid0(VALU_DEP_1) | instskip(NEXT) | instid1(VALU_DEP_1)
	v_fma_f32 v34, v62, v54, -v26
	v_add_f32_e32 v5, v5, v34
	s_waitcnt lgkmcnt(0)
	v_mul_f32_e32 v34, v21, v17
	v_mul_f32_e32 v17, v20, v17
	s_delay_alu instid0(VALU_DEP_2) | instskip(NEXT) | instid1(VALU_DEP_2)
	v_fma_f32 v20, v20, v16, -v34
	v_dual_fmac_f32 v17, v21, v16 :: v_dual_mul_f32 v16, v23, v19
	v_mul_f32_e32 v19, v22, v19
	s_delay_alu instid0(VALU_DEP_2) | instskip(NEXT) | instid1(VALU_DEP_2)
	v_fma_f32 v16, v22, v18, -v16
	v_fmac_f32_e32 v19, v23, v18
	v_mul_f32_e32 v27, v60, v53
	s_delay_alu instid0(VALU_DEP_1) | instskip(NEXT) | instid1(VALU_DEP_1)
	v_fmac_f32_e32 v27, v61, v52
	v_add_f32_e32 v33, v24, v27
	ds_load_2addr_b64 v[24:27], v12 offset0:224 offset1:240
	ds_load_b128 v[28:31], v13 offset:112
	s_waitcnt lgkmcnt(0)
	s_barrier
	buffer_gl0_inv
	v_mul_f32_e32 v18, v29, v25
	v_add_f32_e32 v32, v33, v32
	v_fma_f32 v33, v64, v56, -v35
	s_delay_alu instid0(VALU_DEP_1) | instskip(NEXT) | instid1(VALU_DEP_1)
	v_dual_add_f32 v32, v32, v36 :: v_dual_add_f32 v5, v5, v33
	v_add_f32_e32 v17, v32, v17
	s_delay_alu instid0(VALU_DEP_2) | instskip(NEXT) | instid1(VALU_DEP_1)
	v_dual_add_f32 v5, v5, v20 :: v_dual_mul_f32 v20, v28, v25
	v_add_f32_e32 v5, v5, v16
	s_delay_alu instid0(VALU_DEP_3) | instskip(SKIP_1) | instid1(VALU_DEP_4)
	v_add_f32_e32 v16, v17, v19
	v_fma_f32 v17, v28, v24, -v18
	v_fmac_f32_e32 v20, v29, v24
	v_mul_f32_e32 v18, v31, v27
	v_mul_f32_e32 v19, v30, v27
	s_delay_alu instid0(VALU_DEP_4) | instskip(NEXT) | instid1(VALU_DEP_4)
	v_add_f32_e32 v5, v5, v17
	v_add_f32_e32 v17, v16, v20
	s_delay_alu instid0(VALU_DEP_4) | instskip(NEXT) | instid1(VALU_DEP_1)
	v_fma_f32 v16, v30, v26, -v18
	v_dual_fmac_f32 v19, v31, v26 :: v_dual_add_f32 v16, v5, v16
	s_delay_alu instid0(VALU_DEP_1)
	v_add_f32_e32 v17, v17, v19
	s_cbranch_vccnz .LBB1284_11
.LBB1284_3:                             ; =>This Inner Loop Header: Depth=1
	v_add_co_u32 v18, s11, v11, s8
	s_delay_alu instid0(VALU_DEP_1) | instskip(NEXT) | instid1(VALU_DEP_1)
	v_add_co_ci_u32_e64 v19, null, 0, s9, s11
	v_cmp_le_i64_e32 vcc_lo, s[16:17], v[18:19]
	s_or_b32 s11, s2, vcc_lo
	s_delay_alu instid0(SALU_CYCLE_1) | instskip(NEXT) | instid1(SALU_CYCLE_1)
	s_and_saveexec_b32 s12, s11
	s_xor_b32 s11, exec_lo, s12
	s_cbranch_execz .LBB1284_5
; %bb.4:                                ;   in Loop: Header=BB1284_3 Depth=1
	v_mov_b32_e32 v5, v4
	ds_store_b64 v14, v[4:5]
.LBB1284_5:                             ;   in Loop: Header=BB1284_3 Depth=1
	s_and_not1_saveexec_b32 s11, s11
	s_cbranch_execz .LBB1284_7
; %bb.6:                                ;   in Loop: Header=BB1284_3 Depth=1
	global_load_b64 v[18:19], v[8:9], off
	s_waitcnt vmcnt(0)
	ds_store_b64 v14, v[18:19]
.LBB1284_7:                             ;   in Loop: Header=BB1284_3 Depth=1
	s_or_b32 exec_lo, exec_lo, s11
	v_add_co_u32 v18, s11, v10, s8
	s_delay_alu instid0(VALU_DEP_1) | instskip(NEXT) | instid1(VALU_DEP_1)
	v_add_co_ci_u32_e64 v19, null, 0, s9, s11
                                        ; implicit-def: $sgpr12
	v_cmp_le_i64_e32 vcc_lo, s[16:17], v[18:19]
	s_or_b32 s11, s3, vcc_lo
	s_delay_alu instid0(SALU_CYCLE_1) | instskip(NEXT) | instid1(SALU_CYCLE_1)
	s_and_saveexec_b32 s13, s11
	s_xor_b32 s11, exec_lo, s13
	s_cbranch_execz .LBB1284_9
; %bb.8:                                ;   in Loop: Header=BB1284_3 Depth=1
	s_mov_b32 s12, 0
	ds_store_b32 v15, v4
.LBB1284_9:                             ;   in Loop: Header=BB1284_3 Depth=1
	s_or_saveexec_b32 s11, s11
	v_mov_b32_e32 v5, s12
	s_xor_b32 exec_lo, exec_lo, s11
	s_cbranch_execz .LBB1284_2
; %bb.10:                               ;   in Loop: Header=BB1284_3 Depth=1
	global_load_b64 v[18:19], v[6:7], off offset:-4
	s_waitcnt vmcnt(0)
	v_xor_b32_e32 v5, 0x80000000, v19
	ds_store_b32 v15, v18
	s_branch .LBB1284_2
.LBB1284_11:
	v_cmp_le_i32_e32 vcc_lo, v2, v0
	v_cmp_gt_i32_e64 s2, s10, v0
	s_delay_alu instid0(VALU_DEP_1) | instskip(NEXT) | instid1(SALU_CYCLE_1)
	s_and_b32 s2, vcc_lo, s2
	s_and_saveexec_b32 s3, s2
	s_cbranch_execz .LBB1284_14
; %bb.12:
	s_clause 0x1
	s_load_b128 s[4:7], s[0:1], 0x50
	s_load_b64 s[0:1], s[0:1], 0x60
	v_lshlrev_b64 v[7:8], 3, v[0:1]
	v_mul_f32_e32 v10, s19, v17
	v_mul_f32_e32 v6, s18, v17
	s_delay_alu instid0(VALU_DEP_1)
	v_fmac_f32_e32 v6, s19, v16
	s_waitcnt lgkmcnt(0)
	v_mul_lo_u32 v5, v2, s7
	v_mul_lo_u32 v9, v3, s6
	v_mad_u64_u32 v[3:4], null, v2, s6, 0
	s_mul_i32 s1, s15, s1
	s_mul_hi_u32 s2, s15, s0
	s_mul_i32 s0, s15, s0
	s_add_i32 s1, s2, s1
	s_delay_alu instid0(SALU_CYCLE_1) | instskip(NEXT) | instid1(VALU_DEP_1)
	s_lshl_b64 s[0:1], s[0:1], 3
	v_add3_u32 v4, v4, v5, v9
	s_add_u32 s0, s4, s0
	s_addc_u32 s1, s5, s1
	v_fma_f32 v5, v16, s18, -v10
	s_delay_alu instid0(VALU_DEP_2) | instskip(NEXT) | instid1(VALU_DEP_1)
	v_lshlrev_b64 v[3:4], 3, v[3:4]
	v_add_co_u32 v1, vcc_lo, s0, v3
	s_delay_alu instid0(VALU_DEP_2) | instskip(NEXT) | instid1(VALU_DEP_2)
	v_add_co_ci_u32_e32 v4, vcc_lo, s1, v4, vcc_lo
	v_add_co_u32 v3, vcc_lo, v1, v7
	s_delay_alu instid0(VALU_DEP_2)
	v_add_co_ci_u32_e32 v4, vcc_lo, v4, v8, vcc_lo
	v_cmp_eq_u32_e32 vcc_lo, v0, v2
	global_store_b64 v[3:4], v[5:6], off
	s_and_b32 exec_lo, exec_lo, vcc_lo
	s_cbranch_execz .LBB1284_14
; %bb.13:
	v_mov_b32_e32 v0, 0
	global_store_b32 v[3:4], v0, off offset:4
.LBB1284_14:
	s_nop 0
	s_sendmsg sendmsg(MSG_DEALLOC_VGPRS)
	s_endpgm
	.section	.rodata,"a",@progbits
	.p2align	6, 0x0
	.amdhsa_kernel _ZL32rocblas_syrkx_herkx_small_kernelIl19rocblas_complex_numIfELi16ELb1ELb1ELc78ELc76EKS1_S1_EviT_T0_PT6_S3_lS6_S3_lS4_PT7_S3_li
		.amdhsa_group_segment_fixed_size 4096
		.amdhsa_private_segment_fixed_size 0
		.amdhsa_kernarg_size 108
		.amdhsa_user_sgpr_count 13
		.amdhsa_user_sgpr_dispatch_ptr 0
		.amdhsa_user_sgpr_queue_ptr 0
		.amdhsa_user_sgpr_kernarg_segment_ptr 1
		.amdhsa_user_sgpr_dispatch_id 0
		.amdhsa_user_sgpr_private_segment_size 0
		.amdhsa_wavefront_size32 1
		.amdhsa_uses_dynamic_stack 0
		.amdhsa_enable_private_segment 0
		.amdhsa_system_sgpr_workgroup_id_x 1
		.amdhsa_system_sgpr_workgroup_id_y 1
		.amdhsa_system_sgpr_workgroup_id_z 1
		.amdhsa_system_sgpr_workgroup_info 0
		.amdhsa_system_vgpr_workitem_id 1
		.amdhsa_next_free_vgpr 70
		.amdhsa_next_free_sgpr 32
		.amdhsa_reserve_vcc 1
		.amdhsa_float_round_mode_32 0
		.amdhsa_float_round_mode_16_64 0
		.amdhsa_float_denorm_mode_32 3
		.amdhsa_float_denorm_mode_16_64 3
		.amdhsa_dx10_clamp 1
		.amdhsa_ieee_mode 1
		.amdhsa_fp16_overflow 0
		.amdhsa_workgroup_processor_mode 1
		.amdhsa_memory_ordered 1
		.amdhsa_forward_progress 0
		.amdhsa_shared_vgpr_count 0
		.amdhsa_exception_fp_ieee_invalid_op 0
		.amdhsa_exception_fp_denorm_src 0
		.amdhsa_exception_fp_ieee_div_zero 0
		.amdhsa_exception_fp_ieee_overflow 0
		.amdhsa_exception_fp_ieee_underflow 0
		.amdhsa_exception_fp_ieee_inexact 0
		.amdhsa_exception_int_div_zero 0
	.end_amdhsa_kernel
	.section	.text._ZL32rocblas_syrkx_herkx_small_kernelIl19rocblas_complex_numIfELi16ELb1ELb1ELc78ELc76EKS1_S1_EviT_T0_PT6_S3_lS6_S3_lS4_PT7_S3_li,"axG",@progbits,_ZL32rocblas_syrkx_herkx_small_kernelIl19rocblas_complex_numIfELi16ELb1ELb1ELc78ELc76EKS1_S1_EviT_T0_PT6_S3_lS6_S3_lS4_PT7_S3_li,comdat
.Lfunc_end1284:
	.size	_ZL32rocblas_syrkx_herkx_small_kernelIl19rocblas_complex_numIfELi16ELb1ELb1ELc78ELc76EKS1_S1_EviT_T0_PT6_S3_lS6_S3_lS4_PT7_S3_li, .Lfunc_end1284-_ZL32rocblas_syrkx_herkx_small_kernelIl19rocblas_complex_numIfELi16ELb1ELb1ELc78ELc76EKS1_S1_EviT_T0_PT6_S3_lS6_S3_lS4_PT7_S3_li
                                        ; -- End function
	.section	.AMDGPU.csdata,"",@progbits
; Kernel info:
; codeLenInByte = 1632
; NumSgprs: 34
; NumVgprs: 70
; ScratchSize: 0
; MemoryBound: 1
; FloatMode: 240
; IeeeMode: 1
; LDSByteSize: 4096 bytes/workgroup (compile time only)
; SGPRBlocks: 4
; VGPRBlocks: 8
; NumSGPRsForWavesPerEU: 34
; NumVGPRsForWavesPerEU: 70
; Occupancy: 16
; WaveLimiterHint : 0
; COMPUTE_PGM_RSRC2:SCRATCH_EN: 0
; COMPUTE_PGM_RSRC2:USER_SGPR: 13
; COMPUTE_PGM_RSRC2:TRAP_HANDLER: 0
; COMPUTE_PGM_RSRC2:TGID_X_EN: 1
; COMPUTE_PGM_RSRC2:TGID_Y_EN: 1
; COMPUTE_PGM_RSRC2:TGID_Z_EN: 1
; COMPUTE_PGM_RSRC2:TIDIG_COMP_CNT: 1
	.section	.text._ZL32rocblas_syrkx_herkx_small_kernelIl19rocblas_complex_numIfELi16ELb1ELb1ELc84ELc85EKS1_S1_EviT_T0_PT6_S3_lS6_S3_lS4_PT7_S3_li,"axG",@progbits,_ZL32rocblas_syrkx_herkx_small_kernelIl19rocblas_complex_numIfELi16ELb1ELb1ELc84ELc85EKS1_S1_EviT_T0_PT6_S3_lS6_S3_lS4_PT7_S3_li,comdat
	.globl	_ZL32rocblas_syrkx_herkx_small_kernelIl19rocblas_complex_numIfELi16ELb1ELb1ELc84ELc85EKS1_S1_EviT_T0_PT6_S3_lS6_S3_lS4_PT7_S3_li ; -- Begin function _ZL32rocblas_syrkx_herkx_small_kernelIl19rocblas_complex_numIfELi16ELb1ELb1ELc84ELc85EKS1_S1_EviT_T0_PT6_S3_lS6_S3_lS4_PT7_S3_li
	.p2align	8
	.type	_ZL32rocblas_syrkx_herkx_small_kernelIl19rocblas_complex_numIfELi16ELb1ELb1ELc84ELc85EKS1_S1_EviT_T0_PT6_S3_lS6_S3_lS4_PT7_S3_li,@function
_ZL32rocblas_syrkx_herkx_small_kernelIl19rocblas_complex_numIfELi16ELb1ELb1ELc84ELc85EKS1_S1_EviT_T0_PT6_S3_lS6_S3_lS4_PT7_S3_li: ; @_ZL32rocblas_syrkx_herkx_small_kernelIl19rocblas_complex_numIfELi16ELb1ELb1ELc84ELc85EKS1_S1_EviT_T0_PT6_S3_lS6_S3_lS4_PT7_S3_li
; %bb.0:
	s_clause 0x1
	s_load_b512 s[16:31], s[0:1], 0x8
	s_load_b32 s6, s[0:1], 0x0
	v_dual_mov_b32 v17, 0 :: v_dual_and_b32 v10, 0x3ff, v0
	v_bfe_u32 v11, v0, 10, 10
	v_mov_b32_e32 v16, 0
	s_delay_alu instid0(VALU_DEP_3) | instskip(NEXT) | instid1(VALU_DEP_3)
	v_lshl_add_u32 v0, s13, 4, v10
	v_lshl_add_u32 v8, s14, 4, v11
	s_delay_alu instid0(VALU_DEP_2) | instskip(NEXT) | instid1(VALU_DEP_2)
	v_ashrrev_i32_e32 v1, 31, v0
	v_ashrrev_i32_e32 v9, 31, v8
	s_waitcnt lgkmcnt(0)
	v_cmp_lt_i64_e64 s3, s[16:17], 1
	v_cmp_gt_i32_e64 s2, s6, v8
	s_delay_alu instid0(VALU_DEP_2)
	s_and_b32 vcc_lo, exec_lo, s3
	s_cbranch_vccnz .LBB1285_11
; %bb.1:
	v_mul_lo_u32 v15, s29, v8
	v_mul_lo_u32 v16, s28, v9
	v_mad_u64_u32 v[3:4], null, s28, v8, 0
	v_mul_lo_u32 v17, s23, v0
	v_mul_lo_u32 v18, s22, v1
	v_mad_u64_u32 v[5:6], null, s22, v0, 0
	s_mul_i32 s3, s31, s15
	s_mul_hi_u32 s4, s30, s15
	s_delay_alu instid0(VALU_DEP_4) | instskip(SKIP_3) | instid1(VALU_DEP_2)
	v_add3_u32 v4, v4, v16, v15
	s_add_i32 s5, s4, s3
	s_mul_i32 s4, s30, s15
	s_mul_i32 s3, s25, s15
	v_add3_u32 v6, v6, v18, v17
	v_lshlrev_b64 v[3:4], 3, v[3:4]
	s_lshl_b64 s[4:5], s[4:5], 3
	s_mul_hi_u32 s7, s24, s15
	v_dual_mov_b32 v2, 0 :: v_dual_lshlrev_b32 v7, 7, v11
	v_lshlrev_b64 v[5:6], 3, v[5:6]
	v_lshlrev_b32_e32 v12, 3, v10
	s_add_i32 s9, s7, s3
	s_mul_i32 s8, s24, s15
	v_add_co_u32 v3, s3, v3, s4
	s_delay_alu instid0(VALU_DEP_1)
	v_add_co_ci_u32_e64 v4, s3, s5, v4, s3
	s_lshl_b64 s[4:5], s[8:9], 3
	v_add_nc_u32_e32 v13, 0x800, v7
	v_add_co_u32 v5, s3, v5, s4
	v_add_nc_u32_e32 v14, v12, v7
	v_lshlrev_b32_e32 v7, 3, v11
	v_add_co_ci_u32_e64 v6, s3, s5, v6, s3
	v_add_co_u32 v3, s3, v3, v12
	s_delay_alu instid0(VALU_DEP_1) | instskip(NEXT) | instid1(VALU_DEP_4)
	v_add_co_ci_u32_e64 v16, s3, 0, v4, s3
	v_add_co_u32 v7, s3, v5, v7
	s_delay_alu instid0(VALU_DEP_1) | instskip(NEXT) | instid1(VALU_DEP_4)
	v_add_co_ci_u32_e64 v17, s3, 0, v6, s3
	v_add_co_u32 v4, s3, s26, v3
	s_delay_alu instid0(VALU_DEP_1) | instskip(SKIP_3) | instid1(VALU_DEP_1)
	v_add_co_ci_u32_e64 v5, s3, s27, v16, s3
	v_mov_b32_e32 v16, 0
	v_cmp_gt_i32_e32 vcc_lo, s6, v0
	v_add_co_u32 v6, s3, s20, v7
	v_add_co_ci_u32_e64 v7, s3, s21, v17, s3
	v_mov_b32_e32 v17, 0
	v_add_nc_u32_e32 v15, v13, v12
	s_mov_b64 s[4:5], 0
	s_xor_b32 s3, vcc_lo, -1
	s_xor_b32 s2, s2, -1
	s_branch .LBB1285_3
.LBB1285_2:                             ;   in Loop: Header=BB1285_3 Depth=1
	s_or_b32 exec_lo, exec_lo, s7
	s_waitcnt lgkmcnt(0)
	s_barrier
	buffer_gl0_inv
	ds_load_2addr_b64 v[18:21], v12 offset1:16
	ds_load_b128 v[22:25], v13
	ds_load_b128 v[26:29], v13 offset:16
	ds_load_2addr_b64 v[30:33], v12 offset0:32 offset1:48
	ds_load_2addr_b64 v[34:37], v12 offset0:64 offset1:80
	ds_load_b128 v[38:41], v13 offset:32
	ds_load_b128 v[42:45], v13 offset:48
	ds_load_2addr_b64 v[46:49], v12 offset0:96 offset1:112
	ds_load_2addr_b64 v[50:53], v12 offset0:128 offset1:144
	;; [unrolled: 1-line block ×3, first 2 shown]
	ds_load_b128 v[58:61], v13 offset:64
	ds_load_b128 v[62:65], v13 offset:80
	s_add_u32 s4, s4, 16
	s_addc_u32 s5, s5, 0
	v_add_co_u32 v4, vcc_lo, 0x80, v4
	v_cmp_ge_i64_e64 s7, s[4:5], s[16:17]
	v_add_co_ci_u32_e32 v5, vcc_lo, 0, v5, vcc_lo
	v_add_co_u32 v6, vcc_lo, 0x80, v6
	s_waitcnt lgkmcnt(10)
	v_dual_mul_f32 v3, v23, v19 :: v_dual_mul_f32 v66, v25, v21
	s_waitcnt lgkmcnt(8)
	v_dual_mul_f32 v19, v22, v19 :: v_dual_mul_f32 v68, v29, v33
	v_mul_f32_e32 v67, v27, v31
	s_delay_alu instid0(VALU_DEP_3) | instskip(SKIP_1) | instid1(VALU_DEP_3)
	v_fma_f32 v3, v22, v18, -v3
	s_waitcnt lgkmcnt(6)
	v_dual_mul_f32 v22, v41, v37 :: v_dual_fmac_f32 v19, v23, v18
	v_mul_f32_e32 v21, v24, v21
	v_dual_mul_f32 v31, v26, v31 :: v_dual_mul_f32 v18, v40, v37
	v_add_f32_e32 v3, v16, v3
	s_delay_alu instid0(VALU_DEP_4) | instskip(NEXT) | instid1(VALU_DEP_4)
	v_add_f32_e32 v16, v17, v19
	v_fmac_f32_e32 v21, v25, v20
	v_mul_f32_e32 v33, v28, v33
	v_mul_f32_e32 v69, v39, v35
	v_fma_f32 v23, v24, v20, -v66
	s_waitcnt lgkmcnt(1)
	v_dual_fmac_f32 v31, v27, v30 :: v_dual_mul_f32 v24, v58, v51
	v_add_f32_e32 v16, v16, v21
	v_dual_mul_f32 v20, v42, v47 :: v_dual_fmac_f32 v33, v29, v32
	v_fma_f32 v21, v28, v32, -v68
	v_fmac_f32_e32 v18, v41, v36
	s_delay_alu instid0(VALU_DEP_4) | instskip(NEXT) | instid1(VALU_DEP_4)
	v_add_f32_e32 v16, v16, v31
	v_dual_fmac_f32 v20, v43, v46 :: v_dual_mul_f32 v35, v38, v35
	s_waitcnt lgkmcnt(0)
	v_mul_f32_e32 v32, v62, v55
	v_fma_f32 v19, v26, v30, -v67
	v_add_f32_e32 v16, v16, v33
	v_mul_f32_e32 v27, v60, v53
	v_fmac_f32_e32 v35, v39, v34
	v_fma_f32 v22, v40, v36, -v22
	v_add_co_ci_u32_e32 v7, vcc_lo, 0, v7, vcc_lo
	s_delay_alu instid0(VALU_DEP_3)
	v_dual_fmac_f32 v27, v61, v52 :: v_dual_add_f32 v16, v16, v35
	v_mul_f32_e32 v17, v43, v47
	v_fmac_f32_e32 v24, v59, v50
	v_mul_f32_e32 v26, v61, v53
	s_and_b32 vcc_lo, exec_lo, s7
	v_dual_add_f32 v16, v16, v18 :: v_dual_add_f32 v3, v3, v23
	v_fma_f32 v23, v38, v34, -v69
	v_fma_f32 v17, v42, v46, -v17
	v_fmac_f32_e32 v32, v63, v54
	s_delay_alu instid0(VALU_DEP_4) | instskip(SKIP_2) | instid1(VALU_DEP_3)
	v_dual_add_f32 v20, v16, v20 :: v_dual_add_f32 v3, v3, v19
	v_mul_f32_e32 v19, v45, v49
	v_mul_f32_e32 v36, v64, v57
	v_add_f32_e32 v3, v3, v21
	s_delay_alu instid0(VALU_DEP_2) | instskip(NEXT) | instid1(VALU_DEP_1)
	v_dual_mul_f32 v21, v44, v49 :: v_dual_fmac_f32 v36, v65, v56
	v_fmac_f32_e32 v21, v45, v48
	s_delay_alu instid0(VALU_DEP_1) | instskip(NEXT) | instid1(VALU_DEP_1)
	v_add_f32_e32 v25, v20, v21
	v_dual_add_f32 v24, v25, v24 :: v_dual_add_f32 v3, v3, v23
	v_fma_f32 v25, v60, v52, -v26
	v_mul_f32_e32 v26, v63, v55
	s_delay_alu instid0(VALU_DEP_3) | instskip(NEXT) | instid1(VALU_DEP_4)
	v_add_f32_e32 v33, v24, v27
	v_add_f32_e32 v3, v3, v22
	v_mul_f32_e32 v23, v59, v51
	v_fma_f32 v22, v44, v48, -v19
	v_fma_f32 v34, v62, v54, -v26
	s_delay_alu instid0(VALU_DEP_4) | instskip(SKIP_3) | instid1(VALU_DEP_1)
	v_dual_add_f32 v32, v33, v32 :: v_dual_add_f32 v3, v3, v17
	ds_load_2addr_b64 v[16:19], v12 offset0:192 offset1:208
	v_fma_f32 v23, v58, v50, -v23
	v_dual_add_f32 v32, v32, v36 :: v_dual_add_f32 v3, v3, v22
	v_add_f32_e32 v3, v3, v23
	ds_load_b128 v[20:23], v13 offset:96
	v_add_f32_e32 v3, v3, v25
	ds_load_2addr_b64 v[24:27], v12 offset0:224 offset1:240
	ds_load_b128 v[28:31], v13 offset:112
	v_mul_f32_e32 v35, v65, v57
	s_waitcnt lgkmcnt(0)
	s_barrier
	v_add_f32_e32 v3, v3, v34
	buffer_gl0_inv
	v_fma_f32 v33, v64, v56, -v35
	s_delay_alu instid0(VALU_DEP_1) | instskip(SKIP_2) | instid1(VALU_DEP_2)
	v_add_f32_e32 v3, v3, v33
	v_mul_f32_e32 v34, v21, v17
	v_mul_f32_e32 v17, v20, v17
	v_fma_f32 v20, v20, v16, -v34
	s_delay_alu instid0(VALU_DEP_2) | instskip(SKIP_1) | instid1(VALU_DEP_3)
	v_dual_fmac_f32 v17, v21, v16 :: v_dual_mul_f32 v16, v23, v19
	v_mul_f32_e32 v19, v22, v19
	v_add_f32_e32 v3, v3, v20
	s_delay_alu instid0(VALU_DEP_3) | instskip(NEXT) | instid1(VALU_DEP_4)
	v_add_f32_e32 v17, v32, v17
	v_fma_f32 v16, v22, v18, -v16
	s_delay_alu instid0(VALU_DEP_4) | instskip(NEXT) | instid1(VALU_DEP_2)
	v_dual_fmac_f32 v19, v23, v18 :: v_dual_mul_f32 v18, v29, v25
	v_dual_mul_f32 v20, v28, v25 :: v_dual_add_f32 v3, v3, v16
	s_delay_alu instid0(VALU_DEP_2) | instskip(NEXT) | instid1(VALU_DEP_3)
	v_add_f32_e32 v16, v17, v19
	v_fma_f32 v17, v28, v24, -v18
	v_mul_f32_e32 v18, v31, v27
	s_delay_alu instid0(VALU_DEP_4) | instskip(NEXT) | instid1(VALU_DEP_3)
	v_dual_fmac_f32 v20, v29, v24 :: v_dual_mul_f32 v19, v30, v27
	v_add_f32_e32 v3, v3, v17
	s_delay_alu instid0(VALU_DEP_2) | instskip(NEXT) | instid1(VALU_DEP_4)
	v_add_f32_e32 v17, v16, v20
	v_fma_f32 v16, v30, v26, -v18
	s_delay_alu instid0(VALU_DEP_4) | instskip(NEXT) | instid1(VALU_DEP_1)
	v_fmac_f32_e32 v19, v31, v26
	v_dual_add_f32 v16, v3, v16 :: v_dual_add_f32 v17, v17, v19
	s_cbranch_vccnz .LBB1285_11
.LBB1285_3:                             ; =>This Inner Loop Header: Depth=1
	v_add_co_u32 v18, s7, v11, s4
	s_delay_alu instid0(VALU_DEP_1) | instskip(NEXT) | instid1(VALU_DEP_1)
	v_add_co_ci_u32_e64 v19, null, 0, s5, s7
	v_cmp_le_i64_e32 vcc_lo, s[16:17], v[18:19]
	s_or_b32 s7, s3, vcc_lo
	s_delay_alu instid0(SALU_CYCLE_1) | instskip(NEXT) | instid1(SALU_CYCLE_1)
	s_and_saveexec_b32 s8, s7
	s_xor_b32 s7, exec_lo, s8
	s_cbranch_execz .LBB1285_5
; %bb.4:                                ;   in Loop: Header=BB1285_3 Depth=1
	v_mov_b32_e32 v3, v2
	ds_store_b64 v14, v[2:3]
.LBB1285_5:                             ;   in Loop: Header=BB1285_3 Depth=1
	s_and_not1_saveexec_b32 s7, s7
	s_cbranch_execz .LBB1285_7
; %bb.6:                                ;   in Loop: Header=BB1285_3 Depth=1
	global_load_b64 v[18:19], v[6:7], off
	s_waitcnt vmcnt(0)
	ds_store_b64 v14, v[18:19]
.LBB1285_7:                             ;   in Loop: Header=BB1285_3 Depth=1
	s_or_b32 exec_lo, exec_lo, s7
	v_add_co_u32 v18, s7, v10, s4
	s_delay_alu instid0(VALU_DEP_1) | instskip(NEXT) | instid1(VALU_DEP_1)
	v_add_co_ci_u32_e64 v19, null, 0, s5, s7
	v_cmp_le_i64_e32 vcc_lo, s[16:17], v[18:19]
	s_or_b32 s7, s2, vcc_lo
	s_delay_alu instid0(SALU_CYCLE_1) | instskip(NEXT) | instid1(SALU_CYCLE_1)
	s_and_saveexec_b32 s8, s7
	s_xor_b32 s7, exec_lo, s8
	s_cbranch_execz .LBB1285_9
; %bb.8:                                ;   in Loop: Header=BB1285_3 Depth=1
	v_mov_b32_e32 v3, v2
	ds_store_b64 v15, v[2:3]
.LBB1285_9:                             ;   in Loop: Header=BB1285_3 Depth=1
	s_and_not1_saveexec_b32 s7, s7
	s_cbranch_execz .LBB1285_2
; %bb.10:                               ;   in Loop: Header=BB1285_3 Depth=1
	global_load_b64 v[18:19], v[4:5], off
	s_waitcnt vmcnt(0)
	ds_store_b64 v15, v[18:19]
	s_branch .LBB1285_2
.LBB1285_11:
	v_cmp_le_i32_e32 vcc_lo, v0, v8
	v_cmp_gt_i32_e64 s2, s6, v8
	s_delay_alu instid0(VALU_DEP_1) | instskip(NEXT) | instid1(SALU_CYCLE_1)
	s_and_b32 s2, vcc_lo, s2
	s_and_saveexec_b32 s3, s2
	s_cbranch_execz .LBB1285_14
; %bb.12:
	s_clause 0x1
	s_load_b128 s[4:7], s[0:1], 0x50
	s_load_b64 s[0:1], s[0:1], 0x60
	v_lshlrev_b64 v[5:6], 3, v[0:1]
	v_mul_f32_e32 v10, s19, v17
	v_mul_f32_e32 v4, s18, v17
	s_delay_alu instid0(VALU_DEP_1)
	v_fmac_f32_e32 v4, s19, v16
	s_waitcnt lgkmcnt(0)
	v_mul_lo_u32 v7, v8, s7
	v_mul_lo_u32 v9, v9, s6
	v_mad_u64_u32 v[2:3], null, v8, s6, 0
	s_mul_i32 s1, s15, s1
	s_mul_hi_u32 s2, s15, s0
	s_mul_i32 s0, s15, s0
	s_add_i32 s1, s2, s1
	s_delay_alu instid0(SALU_CYCLE_1) | instskip(NEXT) | instid1(VALU_DEP_1)
	s_lshl_b64 s[0:1], s[0:1], 3
	v_add3_u32 v3, v3, v7, v9
	s_add_u32 s0, s4, s0
	s_addc_u32 s1, s5, s1
	s_delay_alu instid0(VALU_DEP_1) | instskip(SKIP_1) | instid1(VALU_DEP_2)
	v_lshlrev_b64 v[1:2], 3, v[2:3]
	v_fma_f32 v3, v16, s18, -v10
	v_add_co_u32 v1, vcc_lo, s0, v1
	s_delay_alu instid0(VALU_DEP_3) | instskip(NEXT) | instid1(VALU_DEP_2)
	v_add_co_ci_u32_e32 v2, vcc_lo, s1, v2, vcc_lo
	v_add_co_u32 v1, vcc_lo, v1, v5
	s_delay_alu instid0(VALU_DEP_2)
	v_add_co_ci_u32_e32 v2, vcc_lo, v2, v6, vcc_lo
	v_cmp_eq_u32_e32 vcc_lo, v0, v8
	global_store_b64 v[1:2], v[3:4], off
	s_and_b32 exec_lo, exec_lo, vcc_lo
	s_cbranch_execz .LBB1285_14
; %bb.13:
	v_mov_b32_e32 v0, 0
	global_store_b32 v[1:2], v0, off offset:4
.LBB1285_14:
	s_nop 0
	s_sendmsg sendmsg(MSG_DEALLOC_VGPRS)
	s_endpgm
	.section	.rodata,"a",@progbits
	.p2align	6, 0x0
	.amdhsa_kernel _ZL32rocblas_syrkx_herkx_small_kernelIl19rocblas_complex_numIfELi16ELb1ELb1ELc84ELc85EKS1_S1_EviT_T0_PT6_S3_lS6_S3_lS4_PT7_S3_li
		.amdhsa_group_segment_fixed_size 4096
		.amdhsa_private_segment_fixed_size 0
		.amdhsa_kernarg_size 108
		.amdhsa_user_sgpr_count 13
		.amdhsa_user_sgpr_dispatch_ptr 0
		.amdhsa_user_sgpr_queue_ptr 0
		.amdhsa_user_sgpr_kernarg_segment_ptr 1
		.amdhsa_user_sgpr_dispatch_id 0
		.amdhsa_user_sgpr_private_segment_size 0
		.amdhsa_wavefront_size32 1
		.amdhsa_uses_dynamic_stack 0
		.amdhsa_enable_private_segment 0
		.amdhsa_system_sgpr_workgroup_id_x 1
		.amdhsa_system_sgpr_workgroup_id_y 1
		.amdhsa_system_sgpr_workgroup_id_z 1
		.amdhsa_system_sgpr_workgroup_info 0
		.amdhsa_system_vgpr_workitem_id 1
		.amdhsa_next_free_vgpr 70
		.amdhsa_next_free_sgpr 32
		.amdhsa_reserve_vcc 1
		.amdhsa_float_round_mode_32 0
		.amdhsa_float_round_mode_16_64 0
		.amdhsa_float_denorm_mode_32 3
		.amdhsa_float_denorm_mode_16_64 3
		.amdhsa_dx10_clamp 1
		.amdhsa_ieee_mode 1
		.amdhsa_fp16_overflow 0
		.amdhsa_workgroup_processor_mode 1
		.amdhsa_memory_ordered 1
		.amdhsa_forward_progress 0
		.amdhsa_shared_vgpr_count 0
		.amdhsa_exception_fp_ieee_invalid_op 0
		.amdhsa_exception_fp_denorm_src 0
		.amdhsa_exception_fp_ieee_div_zero 0
		.amdhsa_exception_fp_ieee_overflow 0
		.amdhsa_exception_fp_ieee_underflow 0
		.amdhsa_exception_fp_ieee_inexact 0
		.amdhsa_exception_int_div_zero 0
	.end_amdhsa_kernel
	.section	.text._ZL32rocblas_syrkx_herkx_small_kernelIl19rocblas_complex_numIfELi16ELb1ELb1ELc84ELc85EKS1_S1_EviT_T0_PT6_S3_lS6_S3_lS4_PT7_S3_li,"axG",@progbits,_ZL32rocblas_syrkx_herkx_small_kernelIl19rocblas_complex_numIfELi16ELb1ELb1ELc84ELc85EKS1_S1_EviT_T0_PT6_S3_lS6_S3_lS4_PT7_S3_li,comdat
.Lfunc_end1285:
	.size	_ZL32rocblas_syrkx_herkx_small_kernelIl19rocblas_complex_numIfELi16ELb1ELb1ELc84ELc85EKS1_S1_EviT_T0_PT6_S3_lS6_S3_lS4_PT7_S3_li, .Lfunc_end1285-_ZL32rocblas_syrkx_herkx_small_kernelIl19rocblas_complex_numIfELi16ELb1ELb1ELc84ELc85EKS1_S1_EviT_T0_PT6_S3_lS6_S3_lS4_PT7_S3_li
                                        ; -- End function
	.section	.AMDGPU.csdata,"",@progbits
; Kernel info:
; codeLenInByte = 1572
; NumSgprs: 34
; NumVgprs: 70
; ScratchSize: 0
; MemoryBound: 1
; FloatMode: 240
; IeeeMode: 1
; LDSByteSize: 4096 bytes/workgroup (compile time only)
; SGPRBlocks: 4
; VGPRBlocks: 8
; NumSGPRsForWavesPerEU: 34
; NumVGPRsForWavesPerEU: 70
; Occupancy: 16
; WaveLimiterHint : 0
; COMPUTE_PGM_RSRC2:SCRATCH_EN: 0
; COMPUTE_PGM_RSRC2:USER_SGPR: 13
; COMPUTE_PGM_RSRC2:TRAP_HANDLER: 0
; COMPUTE_PGM_RSRC2:TGID_X_EN: 1
; COMPUTE_PGM_RSRC2:TGID_Y_EN: 1
; COMPUTE_PGM_RSRC2:TGID_Z_EN: 1
; COMPUTE_PGM_RSRC2:TIDIG_COMP_CNT: 1
	.section	.text._ZL32rocblas_syrkx_herkx_small_kernelIl19rocblas_complex_numIfELi16ELb1ELb1ELc67ELc85EKS1_S1_EviT_T0_PT6_S3_lS6_S3_lS4_PT7_S3_li,"axG",@progbits,_ZL32rocblas_syrkx_herkx_small_kernelIl19rocblas_complex_numIfELi16ELb1ELb1ELc67ELc85EKS1_S1_EviT_T0_PT6_S3_lS6_S3_lS4_PT7_S3_li,comdat
	.globl	_ZL32rocblas_syrkx_herkx_small_kernelIl19rocblas_complex_numIfELi16ELb1ELb1ELc67ELc85EKS1_S1_EviT_T0_PT6_S3_lS6_S3_lS4_PT7_S3_li ; -- Begin function _ZL32rocblas_syrkx_herkx_small_kernelIl19rocblas_complex_numIfELi16ELb1ELb1ELc67ELc85EKS1_S1_EviT_T0_PT6_S3_lS6_S3_lS4_PT7_S3_li
	.p2align	8
	.type	_ZL32rocblas_syrkx_herkx_small_kernelIl19rocblas_complex_numIfELi16ELb1ELb1ELc67ELc85EKS1_S1_EviT_T0_PT6_S3_lS6_S3_lS4_PT7_S3_li,@function
_ZL32rocblas_syrkx_herkx_small_kernelIl19rocblas_complex_numIfELi16ELb1ELb1ELc67ELc85EKS1_S1_EviT_T0_PT6_S3_lS6_S3_lS4_PT7_S3_li: ; @_ZL32rocblas_syrkx_herkx_small_kernelIl19rocblas_complex_numIfELi16ELb1ELb1ELc67ELc85EKS1_S1_EviT_T0_PT6_S3_lS6_S3_lS4_PT7_S3_li
; %bb.0:
	s_clause 0x1
	s_load_b512 s[16:31], s[0:1], 0x8
	s_load_b32 s6, s[0:1], 0x0
	v_dual_mov_b32 v17, 0 :: v_dual_and_b32 v10, 0x3ff, v0
	v_bfe_u32 v11, v0, 10, 10
	v_mov_b32_e32 v16, 0
	s_delay_alu instid0(VALU_DEP_3) | instskip(NEXT) | instid1(VALU_DEP_3)
	v_lshl_add_u32 v0, s13, 4, v10
	v_lshl_add_u32 v8, s14, 4, v11
	s_delay_alu instid0(VALU_DEP_2) | instskip(NEXT) | instid1(VALU_DEP_2)
	v_ashrrev_i32_e32 v1, 31, v0
	v_ashrrev_i32_e32 v9, 31, v8
	s_waitcnt lgkmcnt(0)
	v_cmp_lt_i64_e64 s3, s[16:17], 1
	v_cmp_gt_i32_e64 s2, s6, v8
	s_delay_alu instid0(VALU_DEP_2)
	s_and_b32 vcc_lo, exec_lo, s3
	s_cbranch_vccnz .LBB1286_11
; %bb.1:
	v_mul_lo_u32 v2, s29, v8
	v_mul_lo_u32 v5, s28, v9
	v_mad_u64_u32 v[3:4], null, s28, v8, 0
	v_mul_lo_u32 v16, s23, v0
	v_mul_lo_u32 v17, s22, v1
	s_mul_i32 s3, s31, s15
	s_mul_hi_u32 s4, s30, s15
	s_mul_hi_u32 s7, s24, s15
	s_add_i32 s5, s4, s3
	s_delay_alu instid0(VALU_DEP_3)
	v_add3_u32 v4, v4, v5, v2
	v_mad_u64_u32 v[5:6], null, s22, v0, 0
	s_mul_i32 s3, s25, s15
	v_dual_mov_b32 v2, 0 :: v_dual_lshlrev_b32 v7, 7, v11
	v_lshlrev_b32_e32 v12, 3, v10
	s_add_i32 s9, s7, s3
	s_mul_i32 s8, s24, s15
	s_delay_alu instid0(VALU_DEP_3)
	v_add3_u32 v6, v6, v17, v16
	v_lshlrev_b64 v[3:4], 3, v[3:4]
	s_lshl_b64 s[8:9], s[8:9], 3
	s_mul_i32 s4, s30, s15
	v_add_nc_u32_e32 v13, 0x800, v7
	v_lshlrev_b64 v[5:6], 3, v[5:6]
	v_add_nc_u32_e32 v14, v12, v7
	s_lshl_b64 s[4:5], s[4:5], 3
	v_lshlrev_b32_e32 v7, 3, v11
	v_cmp_gt_i32_e32 vcc_lo, s6, v0
	s_xor_b32 s2, s2, -1
	v_add_co_u32 v5, s3, v5, s8
	s_delay_alu instid0(VALU_DEP_1) | instskip(SKIP_1) | instid1(VALU_DEP_1)
	v_add_co_ci_u32_e64 v6, s3, s9, v6, s3
	v_add_co_u32 v3, s3, v3, s4
	v_add_co_ci_u32_e64 v4, s3, s5, v4, s3
	s_delay_alu instid0(VALU_DEP_4) | instskip(NEXT) | instid1(VALU_DEP_1)
	v_add_co_u32 v5, s3, v5, v7
	v_add_co_ci_u32_e64 v6, s3, 0, v6, s3
	s_delay_alu instid0(VALU_DEP_4) | instskip(NEXT) | instid1(VALU_DEP_1)
	v_add_co_u32 v3, s3, v3, v12
	v_add_co_ci_u32_e64 v7, s3, 0, v4, s3
	s_delay_alu instid0(VALU_DEP_4) | instskip(NEXT) | instid1(VALU_DEP_1)
	v_add_co_u32 v16, s3, v5, s20
	v_add_co_ci_u32_e64 v17, s3, s21, v6, s3
	s_delay_alu instid0(VALU_DEP_4) | instskip(NEXT) | instid1(VALU_DEP_1)
	v_add_co_u32 v4, s3, s26, v3
	v_add_co_ci_u32_e64 v5, s3, s27, v7, s3
	s_delay_alu instid0(VALU_DEP_4)
	v_add_co_u32 v6, s3, v16, 4
	v_mov_b32_e32 v16, 0
	v_add_co_ci_u32_e64 v7, s3, 0, v17, s3
	v_mov_b32_e32 v17, 0
	v_add_nc_u32_e32 v15, v13, v12
	s_mov_b64 s[4:5], 0
	s_xor_b32 s3, vcc_lo, -1
	s_branch .LBB1286_3
.LBB1286_2:                             ;   in Loop: Header=BB1286_3 Depth=1
	s_or_b32 exec_lo, exec_lo, s7
	s_waitcnt lgkmcnt(0)
	s_barrier
	buffer_gl0_inv
	ds_load_2addr_b64 v[18:21], v12 offset1:16
	ds_load_b128 v[22:25], v13
	ds_load_b128 v[26:29], v13 offset:16
	ds_load_2addr_b64 v[30:33], v12 offset0:32 offset1:48
	ds_load_2addr_b64 v[34:37], v12 offset0:64 offset1:80
	ds_load_b128 v[38:41], v13 offset:32
	ds_load_b128 v[42:45], v13 offset:48
	ds_load_2addr_b64 v[46:49], v12 offset0:96 offset1:112
	ds_load_2addr_b64 v[50:53], v12 offset0:128 offset1:144
	ds_load_2addr_b64 v[54:57], v12 offset0:160 offset1:176
	ds_load_b128 v[58:61], v13 offset:64
	ds_load_b128 v[62:65], v13 offset:80
	s_add_u32 s4, s4, 16
	s_addc_u32 s5, s5, 0
	v_add_co_u32 v4, vcc_lo, 0x80, v4
	v_cmp_ge_i64_e64 s7, s[4:5], s[16:17]
	v_add_co_ci_u32_e32 v5, vcc_lo, 0, v5, vcc_lo
	v_add_co_u32 v6, vcc_lo, 0x80, v6
	s_waitcnt lgkmcnt(10)
	v_dual_mul_f32 v3, v23, v19 :: v_dual_mul_f32 v66, v25, v21
	s_waitcnt lgkmcnt(8)
	v_dual_mul_f32 v19, v22, v19 :: v_dual_mul_f32 v68, v29, v33
	v_mul_f32_e32 v67, v27, v31
	s_delay_alu instid0(VALU_DEP_3) | instskip(SKIP_1) | instid1(VALU_DEP_3)
	v_fma_f32 v3, v22, v18, -v3
	s_waitcnt lgkmcnt(6)
	v_dual_mul_f32 v22, v41, v37 :: v_dual_fmac_f32 v19, v23, v18
	v_mul_f32_e32 v21, v24, v21
	v_dual_mul_f32 v31, v26, v31 :: v_dual_mul_f32 v18, v40, v37
	v_add_f32_e32 v3, v16, v3
	s_delay_alu instid0(VALU_DEP_4) | instskip(NEXT) | instid1(VALU_DEP_4)
	v_add_f32_e32 v16, v17, v19
	v_fmac_f32_e32 v21, v25, v20
	v_mul_f32_e32 v33, v28, v33
	v_mul_f32_e32 v69, v39, v35
	v_fma_f32 v23, v24, v20, -v66
	s_waitcnt lgkmcnt(1)
	v_dual_fmac_f32 v31, v27, v30 :: v_dual_mul_f32 v24, v58, v51
	v_add_f32_e32 v16, v16, v21
	v_dual_mul_f32 v20, v42, v47 :: v_dual_fmac_f32 v33, v29, v32
	v_fma_f32 v21, v28, v32, -v68
	v_fmac_f32_e32 v18, v41, v36
	s_delay_alu instid0(VALU_DEP_4) | instskip(NEXT) | instid1(VALU_DEP_4)
	v_add_f32_e32 v16, v16, v31
	v_dual_fmac_f32 v20, v43, v46 :: v_dual_mul_f32 v35, v38, v35
	s_waitcnt lgkmcnt(0)
	v_mul_f32_e32 v32, v62, v55
	v_fma_f32 v19, v26, v30, -v67
	v_add_f32_e32 v16, v16, v33
	v_mul_f32_e32 v27, v60, v53
	v_fmac_f32_e32 v35, v39, v34
	v_fma_f32 v22, v40, v36, -v22
	v_add_co_ci_u32_e32 v7, vcc_lo, 0, v7, vcc_lo
	s_delay_alu instid0(VALU_DEP_3)
	v_dual_fmac_f32 v27, v61, v52 :: v_dual_add_f32 v16, v16, v35
	v_mul_f32_e32 v17, v43, v47
	v_fmac_f32_e32 v24, v59, v50
	v_mul_f32_e32 v26, v61, v53
	s_and_b32 vcc_lo, exec_lo, s7
	v_dual_add_f32 v16, v16, v18 :: v_dual_add_f32 v3, v3, v23
	v_fma_f32 v23, v38, v34, -v69
	v_fma_f32 v17, v42, v46, -v17
	v_fmac_f32_e32 v32, v63, v54
	s_delay_alu instid0(VALU_DEP_4) | instskip(SKIP_2) | instid1(VALU_DEP_3)
	v_dual_add_f32 v20, v16, v20 :: v_dual_add_f32 v3, v3, v19
	v_mul_f32_e32 v19, v45, v49
	v_mul_f32_e32 v36, v64, v57
	v_add_f32_e32 v3, v3, v21
	s_delay_alu instid0(VALU_DEP_2) | instskip(NEXT) | instid1(VALU_DEP_1)
	v_dual_mul_f32 v21, v44, v49 :: v_dual_fmac_f32 v36, v65, v56
	v_fmac_f32_e32 v21, v45, v48
	s_delay_alu instid0(VALU_DEP_1) | instskip(NEXT) | instid1(VALU_DEP_1)
	v_add_f32_e32 v25, v20, v21
	v_dual_add_f32 v24, v25, v24 :: v_dual_add_f32 v3, v3, v23
	v_fma_f32 v25, v60, v52, -v26
	v_mul_f32_e32 v26, v63, v55
	s_delay_alu instid0(VALU_DEP_3) | instskip(NEXT) | instid1(VALU_DEP_4)
	v_add_f32_e32 v33, v24, v27
	v_add_f32_e32 v3, v3, v22
	v_mul_f32_e32 v23, v59, v51
	v_fma_f32 v22, v44, v48, -v19
	v_fma_f32 v34, v62, v54, -v26
	s_delay_alu instid0(VALU_DEP_4) | instskip(SKIP_3) | instid1(VALU_DEP_1)
	v_dual_add_f32 v32, v33, v32 :: v_dual_add_f32 v3, v3, v17
	ds_load_2addr_b64 v[16:19], v12 offset0:192 offset1:208
	v_fma_f32 v23, v58, v50, -v23
	v_dual_add_f32 v32, v32, v36 :: v_dual_add_f32 v3, v3, v22
	v_add_f32_e32 v3, v3, v23
	ds_load_b128 v[20:23], v13 offset:96
	v_add_f32_e32 v3, v3, v25
	ds_load_2addr_b64 v[24:27], v12 offset0:224 offset1:240
	ds_load_b128 v[28:31], v13 offset:112
	v_mul_f32_e32 v35, v65, v57
	s_waitcnt lgkmcnt(0)
	s_barrier
	v_add_f32_e32 v3, v3, v34
	buffer_gl0_inv
	v_fma_f32 v33, v64, v56, -v35
	s_delay_alu instid0(VALU_DEP_1) | instskip(SKIP_2) | instid1(VALU_DEP_2)
	v_add_f32_e32 v3, v3, v33
	v_mul_f32_e32 v34, v21, v17
	v_mul_f32_e32 v17, v20, v17
	v_fma_f32 v20, v20, v16, -v34
	s_delay_alu instid0(VALU_DEP_2) | instskip(SKIP_1) | instid1(VALU_DEP_3)
	v_dual_fmac_f32 v17, v21, v16 :: v_dual_mul_f32 v16, v23, v19
	v_mul_f32_e32 v19, v22, v19
	v_add_f32_e32 v3, v3, v20
	s_delay_alu instid0(VALU_DEP_3) | instskip(NEXT) | instid1(VALU_DEP_4)
	v_add_f32_e32 v17, v32, v17
	v_fma_f32 v16, v22, v18, -v16
	s_delay_alu instid0(VALU_DEP_4) | instskip(NEXT) | instid1(VALU_DEP_2)
	v_dual_fmac_f32 v19, v23, v18 :: v_dual_mul_f32 v18, v29, v25
	v_dual_mul_f32 v20, v28, v25 :: v_dual_add_f32 v3, v3, v16
	s_delay_alu instid0(VALU_DEP_2) | instskip(NEXT) | instid1(VALU_DEP_3)
	v_add_f32_e32 v16, v17, v19
	v_fma_f32 v17, v28, v24, -v18
	v_mul_f32_e32 v18, v31, v27
	s_delay_alu instid0(VALU_DEP_4) | instskip(NEXT) | instid1(VALU_DEP_3)
	v_dual_fmac_f32 v20, v29, v24 :: v_dual_mul_f32 v19, v30, v27
	v_add_f32_e32 v3, v3, v17
	s_delay_alu instid0(VALU_DEP_2) | instskip(NEXT) | instid1(VALU_DEP_4)
	v_add_f32_e32 v17, v16, v20
	v_fma_f32 v16, v30, v26, -v18
	s_delay_alu instid0(VALU_DEP_4) | instskip(NEXT) | instid1(VALU_DEP_1)
	v_fmac_f32_e32 v19, v31, v26
	v_dual_add_f32 v16, v3, v16 :: v_dual_add_f32 v17, v17, v19
	s_cbranch_vccnz .LBB1286_11
.LBB1286_3:                             ; =>This Inner Loop Header: Depth=1
	v_add_co_u32 v18, s7, v11, s4
	s_delay_alu instid0(VALU_DEP_1) | instskip(NEXT) | instid1(VALU_DEP_1)
	v_add_co_ci_u32_e64 v19, null, 0, s5, s7
                                        ; implicit-def: $sgpr8
	v_cmp_le_i64_e32 vcc_lo, s[16:17], v[18:19]
	s_or_b32 s7, s3, vcc_lo
	s_delay_alu instid0(SALU_CYCLE_1) | instskip(NEXT) | instid1(SALU_CYCLE_1)
	s_and_saveexec_b32 s9, s7
	s_xor_b32 s7, exec_lo, s9
	s_cbranch_execz .LBB1286_5
; %bb.4:                                ;   in Loop: Header=BB1286_3 Depth=1
	s_mov_b32 s8, 0
	ds_store_b32 v14, v2
.LBB1286_5:                             ;   in Loop: Header=BB1286_3 Depth=1
	s_or_saveexec_b32 s7, s7
	v_mov_b32_e32 v3, s8
	s_xor_b32 exec_lo, exec_lo, s7
	s_cbranch_execz .LBB1286_7
; %bb.6:                                ;   in Loop: Header=BB1286_3 Depth=1
	global_load_b64 v[18:19], v[6:7], off offset:-4
	s_waitcnt vmcnt(0)
	v_xor_b32_e32 v3, 0x80000000, v19
	ds_store_b32 v14, v18
.LBB1286_7:                             ;   in Loop: Header=BB1286_3 Depth=1
	s_or_b32 exec_lo, exec_lo, s7
	v_add_co_u32 v18, s7, v10, s4
	s_delay_alu instid0(VALU_DEP_1) | instskip(SKIP_3) | instid1(SALU_CYCLE_1)
	v_add_co_ci_u32_e64 v19, null, 0, s5, s7
	ds_store_b32 v14, v3 offset:4
	v_cmp_le_i64_e32 vcc_lo, s[16:17], v[18:19]
	s_or_b32 s7, s2, vcc_lo
	s_and_saveexec_b32 s8, s7
	s_delay_alu instid0(SALU_CYCLE_1)
	s_xor_b32 s7, exec_lo, s8
	s_cbranch_execz .LBB1286_9
; %bb.8:                                ;   in Loop: Header=BB1286_3 Depth=1
	v_mov_b32_e32 v3, v2
	ds_store_b64 v15, v[2:3]
.LBB1286_9:                             ;   in Loop: Header=BB1286_3 Depth=1
	s_and_not1_saveexec_b32 s7, s7
	s_cbranch_execz .LBB1286_2
; %bb.10:                               ;   in Loop: Header=BB1286_3 Depth=1
	global_load_b64 v[18:19], v[4:5], off
	s_waitcnt vmcnt(0)
	ds_store_b64 v15, v[18:19]
	s_branch .LBB1286_2
.LBB1286_11:
	v_cmp_le_i32_e32 vcc_lo, v0, v8
	v_cmp_gt_i32_e64 s2, s6, v8
	s_delay_alu instid0(VALU_DEP_1) | instskip(NEXT) | instid1(SALU_CYCLE_1)
	s_and_b32 s2, vcc_lo, s2
	s_and_saveexec_b32 s3, s2
	s_cbranch_execz .LBB1286_14
; %bb.12:
	s_clause 0x1
	s_load_b128 s[4:7], s[0:1], 0x50
	s_load_b64 s[0:1], s[0:1], 0x60
	v_lshlrev_b64 v[5:6], 3, v[0:1]
	v_mul_f32_e32 v10, s19, v17
	v_mul_f32_e32 v4, s18, v17
	s_delay_alu instid0(VALU_DEP_1)
	v_fmac_f32_e32 v4, s19, v16
	s_waitcnt lgkmcnt(0)
	v_mul_lo_u32 v7, v8, s7
	v_mul_lo_u32 v9, v9, s6
	v_mad_u64_u32 v[2:3], null, v8, s6, 0
	s_mul_i32 s1, s15, s1
	s_mul_hi_u32 s2, s15, s0
	s_mul_i32 s0, s15, s0
	s_add_i32 s1, s2, s1
	s_delay_alu instid0(SALU_CYCLE_1) | instskip(NEXT) | instid1(VALU_DEP_1)
	s_lshl_b64 s[0:1], s[0:1], 3
	v_add3_u32 v3, v3, v7, v9
	s_add_u32 s0, s4, s0
	s_addc_u32 s1, s5, s1
	s_delay_alu instid0(VALU_DEP_1) | instskip(SKIP_1) | instid1(VALU_DEP_2)
	v_lshlrev_b64 v[1:2], 3, v[2:3]
	v_fma_f32 v3, v16, s18, -v10
	v_add_co_u32 v1, vcc_lo, s0, v1
	s_delay_alu instid0(VALU_DEP_3) | instskip(NEXT) | instid1(VALU_DEP_2)
	v_add_co_ci_u32_e32 v2, vcc_lo, s1, v2, vcc_lo
	v_add_co_u32 v1, vcc_lo, v1, v5
	s_delay_alu instid0(VALU_DEP_2)
	v_add_co_ci_u32_e32 v2, vcc_lo, v2, v6, vcc_lo
	v_cmp_eq_u32_e32 vcc_lo, v0, v8
	global_store_b64 v[1:2], v[3:4], off
	s_and_b32 exec_lo, exec_lo, vcc_lo
	s_cbranch_execz .LBB1286_14
; %bb.13:
	v_mov_b32_e32 v0, 0
	global_store_b32 v[1:2], v0, off offset:4
.LBB1286_14:
	s_nop 0
	s_sendmsg sendmsg(MSG_DEALLOC_VGPRS)
	s_endpgm
	.section	.rodata,"a",@progbits
	.p2align	6, 0x0
	.amdhsa_kernel _ZL32rocblas_syrkx_herkx_small_kernelIl19rocblas_complex_numIfELi16ELb1ELb1ELc67ELc85EKS1_S1_EviT_T0_PT6_S3_lS6_S3_lS4_PT7_S3_li
		.amdhsa_group_segment_fixed_size 4096
		.amdhsa_private_segment_fixed_size 0
		.amdhsa_kernarg_size 108
		.amdhsa_user_sgpr_count 13
		.amdhsa_user_sgpr_dispatch_ptr 0
		.amdhsa_user_sgpr_queue_ptr 0
		.amdhsa_user_sgpr_kernarg_segment_ptr 1
		.amdhsa_user_sgpr_dispatch_id 0
		.amdhsa_user_sgpr_private_segment_size 0
		.amdhsa_wavefront_size32 1
		.amdhsa_uses_dynamic_stack 0
		.amdhsa_enable_private_segment 0
		.amdhsa_system_sgpr_workgroup_id_x 1
		.amdhsa_system_sgpr_workgroup_id_y 1
		.amdhsa_system_sgpr_workgroup_id_z 1
		.amdhsa_system_sgpr_workgroup_info 0
		.amdhsa_system_vgpr_workitem_id 1
		.amdhsa_next_free_vgpr 70
		.amdhsa_next_free_sgpr 32
		.amdhsa_reserve_vcc 1
		.amdhsa_float_round_mode_32 0
		.amdhsa_float_round_mode_16_64 0
		.amdhsa_float_denorm_mode_32 3
		.amdhsa_float_denorm_mode_16_64 3
		.amdhsa_dx10_clamp 1
		.amdhsa_ieee_mode 1
		.amdhsa_fp16_overflow 0
		.amdhsa_workgroup_processor_mode 1
		.amdhsa_memory_ordered 1
		.amdhsa_forward_progress 0
		.amdhsa_shared_vgpr_count 0
		.amdhsa_exception_fp_ieee_invalid_op 0
		.amdhsa_exception_fp_denorm_src 0
		.amdhsa_exception_fp_ieee_div_zero 0
		.amdhsa_exception_fp_ieee_overflow 0
		.amdhsa_exception_fp_ieee_underflow 0
		.amdhsa_exception_fp_ieee_inexact 0
		.amdhsa_exception_int_div_zero 0
	.end_amdhsa_kernel
	.section	.text._ZL32rocblas_syrkx_herkx_small_kernelIl19rocblas_complex_numIfELi16ELb1ELb1ELc67ELc85EKS1_S1_EviT_T0_PT6_S3_lS6_S3_lS4_PT7_S3_li,"axG",@progbits,_ZL32rocblas_syrkx_herkx_small_kernelIl19rocblas_complex_numIfELi16ELb1ELb1ELc67ELc85EKS1_S1_EviT_T0_PT6_S3_lS6_S3_lS4_PT7_S3_li,comdat
.Lfunc_end1286:
	.size	_ZL32rocblas_syrkx_herkx_small_kernelIl19rocblas_complex_numIfELi16ELb1ELb1ELc67ELc85EKS1_S1_EviT_T0_PT6_S3_lS6_S3_lS4_PT7_S3_li, .Lfunc_end1286-_ZL32rocblas_syrkx_herkx_small_kernelIl19rocblas_complex_numIfELi16ELb1ELb1ELc67ELc85EKS1_S1_EviT_T0_PT6_S3_lS6_S3_lS4_PT7_S3_li
                                        ; -- End function
	.section	.AMDGPU.csdata,"",@progbits
; Kernel info:
; codeLenInByte = 1624
; NumSgprs: 34
; NumVgprs: 70
; ScratchSize: 0
; MemoryBound: 1
; FloatMode: 240
; IeeeMode: 1
; LDSByteSize: 4096 bytes/workgroup (compile time only)
; SGPRBlocks: 4
; VGPRBlocks: 8
; NumSGPRsForWavesPerEU: 34
; NumVGPRsForWavesPerEU: 70
; Occupancy: 16
; WaveLimiterHint : 0
; COMPUTE_PGM_RSRC2:SCRATCH_EN: 0
; COMPUTE_PGM_RSRC2:USER_SGPR: 13
; COMPUTE_PGM_RSRC2:TRAP_HANDLER: 0
; COMPUTE_PGM_RSRC2:TGID_X_EN: 1
; COMPUTE_PGM_RSRC2:TGID_Y_EN: 1
; COMPUTE_PGM_RSRC2:TGID_Z_EN: 1
; COMPUTE_PGM_RSRC2:TIDIG_COMP_CNT: 1
	.section	.text._ZL32rocblas_syrkx_herkx_small_kernelIl19rocblas_complex_numIfELi16ELb1ELb1ELc78ELc85EKS1_S1_EviT_T0_PT6_S3_lS6_S3_lS4_PT7_S3_li,"axG",@progbits,_ZL32rocblas_syrkx_herkx_small_kernelIl19rocblas_complex_numIfELi16ELb1ELb1ELc78ELc85EKS1_S1_EviT_T0_PT6_S3_lS6_S3_lS4_PT7_S3_li,comdat
	.globl	_ZL32rocblas_syrkx_herkx_small_kernelIl19rocblas_complex_numIfELi16ELb1ELb1ELc78ELc85EKS1_S1_EviT_T0_PT6_S3_lS6_S3_lS4_PT7_S3_li ; -- Begin function _ZL32rocblas_syrkx_herkx_small_kernelIl19rocblas_complex_numIfELi16ELb1ELb1ELc78ELc85EKS1_S1_EviT_T0_PT6_S3_lS6_S3_lS4_PT7_S3_li
	.p2align	8
	.type	_ZL32rocblas_syrkx_herkx_small_kernelIl19rocblas_complex_numIfELi16ELb1ELb1ELc78ELc85EKS1_S1_EviT_T0_PT6_S3_lS6_S3_lS4_PT7_S3_li,@function
_ZL32rocblas_syrkx_herkx_small_kernelIl19rocblas_complex_numIfELi16ELb1ELb1ELc78ELc85EKS1_S1_EviT_T0_PT6_S3_lS6_S3_lS4_PT7_S3_li: ; @_ZL32rocblas_syrkx_herkx_small_kernelIl19rocblas_complex_numIfELi16ELb1ELb1ELc78ELc85EKS1_S1_EviT_T0_PT6_S3_lS6_S3_lS4_PT7_S3_li
; %bb.0:
	s_clause 0x1
	s_load_b512 s[16:31], s[0:1], 0x8
	s_load_b32 s10, s[0:1], 0x0
	v_dual_mov_b32 v17, 0 :: v_dual_and_b32 v10, 0x3ff, v0
	v_bfe_u32 v11, v0, 10, 10
	v_mov_b32_e32 v16, 0
	s_delay_alu instid0(VALU_DEP_3) | instskip(NEXT) | instid1(VALU_DEP_3)
	v_lshl_add_u32 v0, s13, 4, v10
	v_lshl_add_u32 v2, s14, 4, v11
	s_delay_alu instid0(VALU_DEP_2) | instskip(NEXT) | instid1(VALU_DEP_2)
	v_ashrrev_i32_e32 v1, 31, v0
	v_ashrrev_i32_e32 v3, 31, v2
	s_waitcnt lgkmcnt(0)
	v_cmp_lt_i64_e64 s3, s[16:17], 1
	v_cmp_gt_i32_e64 s2, s10, v2
	s_delay_alu instid0(VALU_DEP_2)
	s_and_b32 vcc_lo, exec_lo, s3
	s_cbranch_vccnz .LBB1287_11
; %bb.1:
	v_mad_u64_u32 v[5:6], null, s28, v10, 0
	s_mul_i32 s3, s31, s15
	s_mul_hi_u32 s5, s30, s15
	s_mul_i32 s4, s30, s15
	s_add_i32 s5, s5, s3
	v_lshlrev_b64 v[16:17], 3, v[2:3]
	s_lshl_b64 s[4:5], s[4:5], 3
	s_delay_alu instid0(VALU_DEP_2)
	v_mad_u64_u32 v[7:8], null, s29, v10, v[6:7]
	v_mad_u64_u32 v[8:9], null, s22, v11, 0
	v_mov_b32_e32 v4, 0
	s_mul_i32 s7, s25, s15
	s_mul_hi_u32 s8, s24, s15
	s_mul_i32 s6, s24, s15
	s_delay_alu instid0(VALU_DEP_3) | instskip(SKIP_1) | instid1(VALU_DEP_3)
	v_mov_b32_e32 v6, v7
	s_add_i32 s7, s8, s7
	v_dual_mov_b32 v7, v9 :: v_dual_lshlrev_b32 v12, 3, v10
	v_cmp_gt_i32_e32 vcc_lo, s10, v0
	s_mov_b64 s[8:9], 0
	s_xor_b32 s2, s2, -1
	s_delay_alu instid0(VALU_DEP_2) | instskip(NEXT) | instid1(VALU_DEP_1)
	v_mad_u64_u32 v[18:19], null, s23, v11, v[7:8]
	v_dual_mov_b32 v9, v18 :: v_dual_lshlrev_b32 v14, 7, v11
	s_delay_alu instid0(VALU_DEP_1) | instskip(SKIP_1) | instid1(VALU_DEP_1)
	v_add_nc_u32_e32 v13, 0x800, v14
	v_lshlrev_b64 v[5:6], 3, v[5:6]
	v_add_co_u32 v5, s3, s4, v5
	s_delay_alu instid0(VALU_DEP_1) | instskip(SKIP_1) | instid1(VALU_DEP_2)
	v_add_co_ci_u32_e64 v6, s3, s5, v6, s3
	s_lshl_b64 s[4:5], s[6:7], 3
	v_add_co_u32 v7, s3, v5, v16
	s_delay_alu instid0(VALU_DEP_1) | instskip(SKIP_1) | instid1(VALU_DEP_3)
	v_add_co_ci_u32_e64 v16, s3, v6, v17, s3
	v_lshlrev_b64 v[5:6], 3, v[8:9]
	v_add_co_u32 v7, s3, v7, s26
	s_delay_alu instid0(VALU_DEP_1) | instskip(SKIP_1) | instid1(VALU_DEP_4)
	v_add_co_ci_u32_e64 v16, s3, s27, v16, s3
	v_lshlrev_b64 v[8:9], 3, v[0:1]
	v_add_co_u32 v5, s3, s4, v5
	s_delay_alu instid0(VALU_DEP_1) | instskip(SKIP_1) | instid1(VALU_DEP_1)
	v_add_co_ci_u32_e64 v17, s3, s5, v6, s3
	v_add_co_u32 v6, s3, v7, 4
	v_add_co_ci_u32_e64 v7, s3, 0, v16, s3
	s_delay_alu instid0(VALU_DEP_4) | instskip(NEXT) | instid1(VALU_DEP_1)
	v_add_co_u32 v5, s3, v5, v8
	v_add_co_ci_u32_e64 v9, s3, v17, v9, s3
	v_mov_b32_e32 v17, 0
	s_delay_alu instid0(VALU_DEP_3)
	v_add_co_u32 v8, s3, s20, v5
	v_add_nc_u32_e32 v14, v12, v14
	v_dual_mov_b32 v16, 0 :: v_dual_add_nc_u32 v15, v13, v12
	v_add_co_ci_u32_e64 v9, s3, s21, v9, s3
	s_lshl_b64 s[4:5], s[28:29], 7
	s_lshl_b64 s[6:7], s[22:23], 7
	s_xor_b32 s3, vcc_lo, -1
	s_branch .LBB1287_3
.LBB1287_2:                             ;   in Loop: Header=BB1287_3 Depth=1
	s_or_b32 exec_lo, exec_lo, s11
	ds_store_b32 v15, v5 offset:4
	s_waitcnt lgkmcnt(0)
	s_barrier
	buffer_gl0_inv
	ds_load_2addr_b64 v[18:21], v12 offset1:16
	ds_load_b128 v[22:25], v13
	ds_load_b128 v[26:29], v13 offset:16
	ds_load_2addr_b64 v[30:33], v12 offset0:32 offset1:48
	ds_load_2addr_b64 v[34:37], v12 offset0:64 offset1:80
	ds_load_b128 v[38:41], v13 offset:32
	ds_load_b128 v[42:45], v13 offset:48
	ds_load_2addr_b64 v[46:49], v12 offset0:96 offset1:112
	ds_load_2addr_b64 v[50:53], v12 offset0:128 offset1:144
	;; [unrolled: 1-line block ×3, first 2 shown]
	ds_load_b128 v[58:61], v13 offset:64
	ds_load_b128 v[62:65], v13 offset:80
	s_add_u32 s8, s8, 16
	s_addc_u32 s9, s9, 0
	v_add_co_u32 v6, vcc_lo, v6, s4
	v_cmp_ge_i64_e64 s11, s[8:9], s[16:17]
	v_add_co_ci_u32_e32 v7, vcc_lo, s5, v7, vcc_lo
	v_add_co_u32 v8, vcc_lo, v8, s6
	s_waitcnt lgkmcnt(10)
	v_dual_mul_f32 v5, v23, v19 :: v_dual_mul_f32 v66, v25, v21
	s_waitcnt lgkmcnt(8)
	v_dual_mul_f32 v19, v22, v19 :: v_dual_mul_f32 v68, v29, v33
	v_mul_f32_e32 v67, v27, v31
	s_delay_alu instid0(VALU_DEP_3)
	v_fma_f32 v5, v22, v18, -v5
	s_waitcnt lgkmcnt(6)
	v_dual_mul_f32 v21, v24, v21 :: v_dual_mul_f32 v22, v38, v35
	v_mul_f32_e32 v33, v28, v33
	v_mul_f32_e32 v31, v26, v31
	v_add_f32_e32 v5, v16, v5
	v_dual_mul_f32 v16, v40, v37 :: v_dual_mul_f32 v69, v39, v35
	v_fmac_f32_e32 v21, v25, v20
	s_waitcnt lgkmcnt(1)
	v_mul_f32_e32 v25, v61, v53
	v_dual_mul_f32 v35, v41, v37 :: v_dual_fmac_f32 v22, v39, v34
	v_dual_fmac_f32 v16, v41, v36 :: v_dual_fmac_f32 v19, v23, v18
	v_fma_f32 v18, v24, v20, -v66
	v_mul_f32_e32 v24, v58, v51
	v_fma_f32 v20, v28, v32, -v68
	v_fma_f32 v23, v40, v36, -v35
	v_add_f32_e32 v17, v17, v19
	v_fma_f32 v19, v26, v30, -v67
	v_fmac_f32_e32 v24, v59, v50
	v_dual_add_f32 v5, v5, v18 :: v_dual_mul_f32 v18, v43, v47
	s_waitcnt lgkmcnt(0)
	v_dual_fmac_f32 v33, v29, v32 :: v_dual_mul_f32 v32, v62, v55
	v_add_f32_e32 v17, v17, v21
	s_delay_alu instid0(VALU_DEP_3) | instskip(SKIP_2) | instid1(VALU_DEP_3)
	v_add_f32_e32 v5, v5, v19
	v_fma_f32 v21, v38, v34, -v69
	v_dual_mul_f32 v19, v42, v47 :: v_dual_mul_f32 v36, v64, v57
	v_dual_fmac_f32 v32, v63, v54 :: v_dual_add_f32 v5, v5, v20
	s_delay_alu instid0(VALU_DEP_2) | instskip(NEXT) | instid1(VALU_DEP_3)
	v_dual_mul_f32 v20, v45, v49 :: v_dual_fmac_f32 v19, v43, v46
	v_fmac_f32_e32 v36, v65, v56
	v_fma_f32 v18, v42, v46, -v18
	s_delay_alu instid0(VALU_DEP_4) | instskip(SKIP_4) | instid1(VALU_DEP_4)
	v_add_f32_e32 v5, v5, v21
	v_mul_f32_e32 v21, v44, v49
	v_fma_f32 v25, v60, v52, -v25
	v_mul_f32_e32 v35, v65, v57
	v_add_co_ci_u32_e32 v9, vcc_lo, s7, v9, vcc_lo
	v_fmac_f32_e32 v21, v45, v48
	v_fmac_f32_e32 v31, v27, v30
	v_add_f32_e32 v5, v5, v23
	s_and_b32 vcc_lo, exec_lo, s11
	s_delay_alu instid0(VALU_DEP_2) | instskip(NEXT) | instid1(VALU_DEP_2)
	v_add_f32_e32 v17, v17, v31
	v_add_f32_e32 v5, v5, v18
	s_delay_alu instid0(VALU_DEP_2) | instskip(NEXT) | instid1(VALU_DEP_1)
	v_add_f32_e32 v17, v17, v33
	v_dual_add_f32 v17, v17, v22 :: v_dual_mul_f32 v22, v59, v51
	s_delay_alu instid0(VALU_DEP_1) | instskip(SKIP_1) | instid1(VALU_DEP_3)
	v_add_f32_e32 v16, v17, v16
	v_fma_f32 v17, v44, v48, -v20
	v_fma_f32 v18, v58, v50, -v22
	s_delay_alu instid0(VALU_DEP_2) | instskip(NEXT) | instid1(VALU_DEP_1)
	v_dual_add_f32 v16, v16, v19 :: v_dual_add_f32 v5, v5, v17
	v_dual_add_f32 v26, v16, v21 :: v_dual_add_f32 v5, v5, v18
	ds_load_2addr_b64 v[16:19], v12 offset0:192 offset1:208
	ds_load_b128 v[20:23], v13 offset:96
	v_add_f32_e32 v24, v26, v24
	v_dual_mul_f32 v26, v63, v55 :: v_dual_add_f32 v5, v5, v25
	s_delay_alu instid0(VALU_DEP_1) | instskip(NEXT) | instid1(VALU_DEP_1)
	v_fma_f32 v34, v62, v54, -v26
	v_add_f32_e32 v5, v5, v34
	s_waitcnt lgkmcnt(0)
	v_mul_f32_e32 v34, v21, v17
	v_mul_f32_e32 v17, v20, v17
	s_delay_alu instid0(VALU_DEP_2) | instskip(NEXT) | instid1(VALU_DEP_2)
	v_fma_f32 v20, v20, v16, -v34
	v_dual_fmac_f32 v17, v21, v16 :: v_dual_mul_f32 v16, v23, v19
	v_mul_f32_e32 v19, v22, v19
	s_delay_alu instid0(VALU_DEP_2) | instskip(NEXT) | instid1(VALU_DEP_2)
	v_fma_f32 v16, v22, v18, -v16
	v_fmac_f32_e32 v19, v23, v18
	v_mul_f32_e32 v27, v60, v53
	s_delay_alu instid0(VALU_DEP_1) | instskip(NEXT) | instid1(VALU_DEP_1)
	v_fmac_f32_e32 v27, v61, v52
	v_add_f32_e32 v33, v24, v27
	ds_load_2addr_b64 v[24:27], v12 offset0:224 offset1:240
	ds_load_b128 v[28:31], v13 offset:112
	s_waitcnt lgkmcnt(0)
	s_barrier
	buffer_gl0_inv
	v_mul_f32_e32 v18, v29, v25
	v_add_f32_e32 v32, v33, v32
	v_fma_f32 v33, v64, v56, -v35
	s_delay_alu instid0(VALU_DEP_1) | instskip(NEXT) | instid1(VALU_DEP_1)
	v_dual_add_f32 v32, v32, v36 :: v_dual_add_f32 v5, v5, v33
	v_add_f32_e32 v17, v32, v17
	s_delay_alu instid0(VALU_DEP_2) | instskip(NEXT) | instid1(VALU_DEP_1)
	v_dual_add_f32 v5, v5, v20 :: v_dual_mul_f32 v20, v28, v25
	v_add_f32_e32 v5, v5, v16
	s_delay_alu instid0(VALU_DEP_3) | instskip(SKIP_1) | instid1(VALU_DEP_4)
	v_add_f32_e32 v16, v17, v19
	v_fma_f32 v17, v28, v24, -v18
	v_fmac_f32_e32 v20, v29, v24
	v_mul_f32_e32 v18, v31, v27
	v_mul_f32_e32 v19, v30, v27
	s_delay_alu instid0(VALU_DEP_4) | instskip(NEXT) | instid1(VALU_DEP_4)
	v_add_f32_e32 v5, v5, v17
	v_add_f32_e32 v17, v16, v20
	s_delay_alu instid0(VALU_DEP_4) | instskip(NEXT) | instid1(VALU_DEP_1)
	v_fma_f32 v16, v30, v26, -v18
	v_dual_fmac_f32 v19, v31, v26 :: v_dual_add_f32 v16, v5, v16
	s_delay_alu instid0(VALU_DEP_1)
	v_add_f32_e32 v17, v17, v19
	s_cbranch_vccnz .LBB1287_11
.LBB1287_3:                             ; =>This Inner Loop Header: Depth=1
	v_add_co_u32 v18, s11, v11, s8
	s_delay_alu instid0(VALU_DEP_1) | instskip(NEXT) | instid1(VALU_DEP_1)
	v_add_co_ci_u32_e64 v19, null, 0, s9, s11
	v_cmp_le_i64_e32 vcc_lo, s[16:17], v[18:19]
	s_or_b32 s11, s3, vcc_lo
	s_delay_alu instid0(SALU_CYCLE_1) | instskip(NEXT) | instid1(SALU_CYCLE_1)
	s_and_saveexec_b32 s12, s11
	s_xor_b32 s11, exec_lo, s12
	s_cbranch_execz .LBB1287_5
; %bb.4:                                ;   in Loop: Header=BB1287_3 Depth=1
	v_mov_b32_e32 v5, v4
	ds_store_b64 v14, v[4:5]
.LBB1287_5:                             ;   in Loop: Header=BB1287_3 Depth=1
	s_and_not1_saveexec_b32 s11, s11
	s_cbranch_execz .LBB1287_7
; %bb.6:                                ;   in Loop: Header=BB1287_3 Depth=1
	global_load_b64 v[18:19], v[8:9], off
	s_waitcnt vmcnt(0)
	ds_store_b64 v14, v[18:19]
.LBB1287_7:                             ;   in Loop: Header=BB1287_3 Depth=1
	s_or_b32 exec_lo, exec_lo, s11
	v_add_co_u32 v18, s11, v10, s8
	s_delay_alu instid0(VALU_DEP_1) | instskip(NEXT) | instid1(VALU_DEP_1)
	v_add_co_ci_u32_e64 v19, null, 0, s9, s11
                                        ; implicit-def: $sgpr12
	v_cmp_le_i64_e32 vcc_lo, s[16:17], v[18:19]
	s_or_b32 s11, s2, vcc_lo
	s_delay_alu instid0(SALU_CYCLE_1) | instskip(NEXT) | instid1(SALU_CYCLE_1)
	s_and_saveexec_b32 s13, s11
	s_xor_b32 s11, exec_lo, s13
	s_cbranch_execz .LBB1287_9
; %bb.8:                                ;   in Loop: Header=BB1287_3 Depth=1
	s_mov_b32 s12, 0
	ds_store_b32 v15, v4
.LBB1287_9:                             ;   in Loop: Header=BB1287_3 Depth=1
	s_or_saveexec_b32 s11, s11
	v_mov_b32_e32 v5, s12
	s_xor_b32 exec_lo, exec_lo, s11
	s_cbranch_execz .LBB1287_2
; %bb.10:                               ;   in Loop: Header=BB1287_3 Depth=1
	global_load_b64 v[18:19], v[6:7], off offset:-4
	s_waitcnt vmcnt(0)
	v_xor_b32_e32 v5, 0x80000000, v19
	ds_store_b32 v15, v18
	s_branch .LBB1287_2
.LBB1287_11:
	v_cmp_le_i32_e32 vcc_lo, v0, v2
	v_cmp_gt_i32_e64 s2, s10, v2
	s_delay_alu instid0(VALU_DEP_1) | instskip(NEXT) | instid1(SALU_CYCLE_1)
	s_and_b32 s2, vcc_lo, s2
	s_and_saveexec_b32 s3, s2
	s_cbranch_execz .LBB1287_14
; %bb.12:
	s_clause 0x1
	s_load_b128 s[4:7], s[0:1], 0x50
	s_load_b64 s[0:1], s[0:1], 0x60
	v_lshlrev_b64 v[7:8], 3, v[0:1]
	v_mul_f32_e32 v10, s19, v17
	v_mul_f32_e32 v6, s18, v17
	s_delay_alu instid0(VALU_DEP_1)
	v_fmac_f32_e32 v6, s19, v16
	s_waitcnt lgkmcnt(0)
	v_mul_lo_u32 v5, v2, s7
	v_mul_lo_u32 v9, v3, s6
	v_mad_u64_u32 v[3:4], null, v2, s6, 0
	s_mul_i32 s1, s15, s1
	s_mul_hi_u32 s2, s15, s0
	s_mul_i32 s0, s15, s0
	s_add_i32 s1, s2, s1
	s_delay_alu instid0(SALU_CYCLE_1) | instskip(NEXT) | instid1(VALU_DEP_1)
	s_lshl_b64 s[0:1], s[0:1], 3
	v_add3_u32 v4, v4, v5, v9
	s_add_u32 s0, s4, s0
	s_addc_u32 s1, s5, s1
	v_fma_f32 v5, v16, s18, -v10
	s_delay_alu instid0(VALU_DEP_2) | instskip(NEXT) | instid1(VALU_DEP_1)
	v_lshlrev_b64 v[3:4], 3, v[3:4]
	v_add_co_u32 v1, vcc_lo, s0, v3
	s_delay_alu instid0(VALU_DEP_2) | instskip(NEXT) | instid1(VALU_DEP_2)
	v_add_co_ci_u32_e32 v4, vcc_lo, s1, v4, vcc_lo
	v_add_co_u32 v3, vcc_lo, v1, v7
	s_delay_alu instid0(VALU_DEP_2)
	v_add_co_ci_u32_e32 v4, vcc_lo, v4, v8, vcc_lo
	v_cmp_eq_u32_e32 vcc_lo, v0, v2
	global_store_b64 v[3:4], v[5:6], off
	s_and_b32 exec_lo, exec_lo, vcc_lo
	s_cbranch_execz .LBB1287_14
; %bb.13:
	v_mov_b32_e32 v0, 0
	global_store_b32 v[3:4], v0, off offset:4
.LBB1287_14:
	s_nop 0
	s_sendmsg sendmsg(MSG_DEALLOC_VGPRS)
	s_endpgm
	.section	.rodata,"a",@progbits
	.p2align	6, 0x0
	.amdhsa_kernel _ZL32rocblas_syrkx_herkx_small_kernelIl19rocblas_complex_numIfELi16ELb1ELb1ELc78ELc85EKS1_S1_EviT_T0_PT6_S3_lS6_S3_lS4_PT7_S3_li
		.amdhsa_group_segment_fixed_size 4096
		.amdhsa_private_segment_fixed_size 0
		.amdhsa_kernarg_size 108
		.amdhsa_user_sgpr_count 13
		.amdhsa_user_sgpr_dispatch_ptr 0
		.amdhsa_user_sgpr_queue_ptr 0
		.amdhsa_user_sgpr_kernarg_segment_ptr 1
		.amdhsa_user_sgpr_dispatch_id 0
		.amdhsa_user_sgpr_private_segment_size 0
		.amdhsa_wavefront_size32 1
		.amdhsa_uses_dynamic_stack 0
		.amdhsa_enable_private_segment 0
		.amdhsa_system_sgpr_workgroup_id_x 1
		.amdhsa_system_sgpr_workgroup_id_y 1
		.amdhsa_system_sgpr_workgroup_id_z 1
		.amdhsa_system_sgpr_workgroup_info 0
		.amdhsa_system_vgpr_workitem_id 1
		.amdhsa_next_free_vgpr 70
		.amdhsa_next_free_sgpr 32
		.amdhsa_reserve_vcc 1
		.amdhsa_float_round_mode_32 0
		.amdhsa_float_round_mode_16_64 0
		.amdhsa_float_denorm_mode_32 3
		.amdhsa_float_denorm_mode_16_64 3
		.amdhsa_dx10_clamp 1
		.amdhsa_ieee_mode 1
		.amdhsa_fp16_overflow 0
		.amdhsa_workgroup_processor_mode 1
		.amdhsa_memory_ordered 1
		.amdhsa_forward_progress 0
		.amdhsa_shared_vgpr_count 0
		.amdhsa_exception_fp_ieee_invalid_op 0
		.amdhsa_exception_fp_denorm_src 0
		.amdhsa_exception_fp_ieee_div_zero 0
		.amdhsa_exception_fp_ieee_overflow 0
		.amdhsa_exception_fp_ieee_underflow 0
		.amdhsa_exception_fp_ieee_inexact 0
		.amdhsa_exception_int_div_zero 0
	.end_amdhsa_kernel
	.section	.text._ZL32rocblas_syrkx_herkx_small_kernelIl19rocblas_complex_numIfELi16ELb1ELb1ELc78ELc85EKS1_S1_EviT_T0_PT6_S3_lS6_S3_lS4_PT7_S3_li,"axG",@progbits,_ZL32rocblas_syrkx_herkx_small_kernelIl19rocblas_complex_numIfELi16ELb1ELb1ELc78ELc85EKS1_S1_EviT_T0_PT6_S3_lS6_S3_lS4_PT7_S3_li,comdat
.Lfunc_end1287:
	.size	_ZL32rocblas_syrkx_herkx_small_kernelIl19rocblas_complex_numIfELi16ELb1ELb1ELc78ELc85EKS1_S1_EviT_T0_PT6_S3_lS6_S3_lS4_PT7_S3_li, .Lfunc_end1287-_ZL32rocblas_syrkx_herkx_small_kernelIl19rocblas_complex_numIfELi16ELb1ELb1ELc78ELc85EKS1_S1_EviT_T0_PT6_S3_lS6_S3_lS4_PT7_S3_li
                                        ; -- End function
	.section	.AMDGPU.csdata,"",@progbits
; Kernel info:
; codeLenInByte = 1632
; NumSgprs: 34
; NumVgprs: 70
; ScratchSize: 0
; MemoryBound: 1
; FloatMode: 240
; IeeeMode: 1
; LDSByteSize: 4096 bytes/workgroup (compile time only)
; SGPRBlocks: 4
; VGPRBlocks: 8
; NumSGPRsForWavesPerEU: 34
; NumVGPRsForWavesPerEU: 70
; Occupancy: 16
; WaveLimiterHint : 0
; COMPUTE_PGM_RSRC2:SCRATCH_EN: 0
; COMPUTE_PGM_RSRC2:USER_SGPR: 13
; COMPUTE_PGM_RSRC2:TRAP_HANDLER: 0
; COMPUTE_PGM_RSRC2:TGID_X_EN: 1
; COMPUTE_PGM_RSRC2:TGID_Y_EN: 1
; COMPUTE_PGM_RSRC2:TGID_Z_EN: 1
; COMPUTE_PGM_RSRC2:TIDIG_COMP_CNT: 1
	.section	.text._ZL32rocblas_syrkx_herkx_small_kernelIl19rocblas_complex_numIfELi16ELb0ELb1ELc84ELc76EKS1_S1_EviT_T0_PT6_S3_lS6_S3_lS4_PT7_S3_li,"axG",@progbits,_ZL32rocblas_syrkx_herkx_small_kernelIl19rocblas_complex_numIfELi16ELb0ELb1ELc84ELc76EKS1_S1_EviT_T0_PT6_S3_lS6_S3_lS4_PT7_S3_li,comdat
	.globl	_ZL32rocblas_syrkx_herkx_small_kernelIl19rocblas_complex_numIfELi16ELb0ELb1ELc84ELc76EKS1_S1_EviT_T0_PT6_S3_lS6_S3_lS4_PT7_S3_li ; -- Begin function _ZL32rocblas_syrkx_herkx_small_kernelIl19rocblas_complex_numIfELi16ELb0ELb1ELc84ELc76EKS1_S1_EviT_T0_PT6_S3_lS6_S3_lS4_PT7_S3_li
	.p2align	8
	.type	_ZL32rocblas_syrkx_herkx_small_kernelIl19rocblas_complex_numIfELi16ELb0ELb1ELc84ELc76EKS1_S1_EviT_T0_PT6_S3_lS6_S3_lS4_PT7_S3_li,@function
_ZL32rocblas_syrkx_herkx_small_kernelIl19rocblas_complex_numIfELi16ELb0ELb1ELc84ELc76EKS1_S1_EviT_T0_PT6_S3_lS6_S3_lS4_PT7_S3_li: ; @_ZL32rocblas_syrkx_herkx_small_kernelIl19rocblas_complex_numIfELi16ELb0ELb1ELc84ELc76EKS1_S1_EviT_T0_PT6_S3_lS6_S3_lS4_PT7_S3_li
; %bb.0:
	s_clause 0x1
	s_load_b512 s[16:31], s[0:1], 0x8
	s_load_b32 s12, s[0:1], 0x0
	v_dual_mov_b32 v17, 0 :: v_dual_and_b32 v10, 0x3ff, v0
	v_bfe_u32 v11, v0, 10, 10
	v_mov_b32_e32 v16, 0
	s_delay_alu instid0(VALU_DEP_3) | instskip(NEXT) | instid1(VALU_DEP_3)
	v_lshl_add_u32 v0, s13, 4, v10
	v_lshl_add_u32 v8, s14, 4, v11
	s_delay_alu instid0(VALU_DEP_2) | instskip(NEXT) | instid1(VALU_DEP_2)
	v_ashrrev_i32_e32 v1, 31, v0
	v_ashrrev_i32_e32 v9, 31, v8
	s_waitcnt lgkmcnt(0)
	v_cmp_lt_i64_e64 s3, s[16:17], 1
	v_cmp_gt_i32_e64 s2, s12, v0
	s_delay_alu instid0(VALU_DEP_2)
	s_and_b32 vcc_lo, exec_lo, s3
	s_cbranch_vccnz .LBB1288_11
; %bb.1:
	v_dual_mov_b32 v2, 0 :: v_dual_lshlrev_b32 v5, 7, v11
	v_lshlrev_b32_e32 v12, 3, v10
	v_mul_lo_u32 v7, s29, v8
	v_mul_lo_u32 v15, s28, v9
	v_mad_u64_u32 v[3:4], null, s28, v8, 0
	s_delay_alu instid0(VALU_DEP_4)
	v_add_nc_u32_e32 v13, v12, v5
	v_add_nc_u32_e32 v14, 0x800, v5
	v_mul_lo_u32 v16, s23, v0
	v_mul_lo_u32 v17, s22, v1
	v_mad_u64_u32 v[5:6], null, s22, v0, 0
	v_add3_u32 v4, v4, v15, v7
	s_mul_i32 s3, s31, s15
	s_mul_hi_u32 s4, s30, s15
	s_mul_hi_u32 s6, s24, s15
	s_add_i32 s5, s4, s3
	v_lshlrev_b64 v[3:4], 3, v[3:4]
	s_delay_alu instid0(VALU_DEP_3)
	v_add3_u32 v6, v6, v17, v16
	s_mul_i32 s4, s30, s15
	s_mul_i32 s3, s25, s15
	s_lshl_b64 s[4:5], s[4:5], 3
	s_add_i32 s7, s6, s3
	v_lshlrev_b64 v[5:6], 3, v[5:6]
	s_mul_i32 s6, s24, s15
	v_add_co_u32 v3, s3, v3, s4
	s_delay_alu instid0(VALU_DEP_1) | instskip(SKIP_3) | instid1(VALU_DEP_1)
	v_add_co_ci_u32_e64 v4, s3, s5, v4, s3
	s_lshl_b64 s[4:5], s[6:7], 3
	v_lshlrev_b32_e32 v7, 3, v11
	v_add_co_u32 v5, s3, v5, s4
	v_add_co_ci_u32_e64 v6, s3, s5, v6, s3
	v_add_co_u32 v3, s3, v3, v12
	s_delay_alu instid0(VALU_DEP_1) | instskip(NEXT) | instid1(VALU_DEP_4)
	v_add_co_ci_u32_e64 v16, s3, 0, v4, s3
	v_add_co_u32 v7, s3, v5, v7
	s_delay_alu instid0(VALU_DEP_1) | instskip(NEXT) | instid1(VALU_DEP_4)
	v_add_co_ci_u32_e64 v17, s3, 0, v6, s3
	v_add_co_u32 v4, s3, s26, v3
	s_delay_alu instid0(VALU_DEP_1) | instskip(SKIP_3) | instid1(VALU_DEP_1)
	v_add_co_ci_u32_e64 v5, s3, s27, v16, s3
	v_mov_b32_e32 v16, 0
	v_cmp_gt_i32_e32 vcc_lo, s12, v8
	v_add_co_u32 v6, s3, s20, v7
	v_add_co_ci_u32_e64 v7, s3, s21, v17, s3
	v_mov_b32_e32 v17, 0
	v_add_nc_u32_e32 v15, v14, v12
	s_mov_b64 s[4:5], 0
	s_xor_b32 s2, s2, -1
	s_xor_b32 s3, vcc_lo, -1
	s_branch .LBB1288_3
.LBB1288_2:                             ;   in Loop: Header=BB1288_3 Depth=1
	s_or_b32 exec_lo, exec_lo, s6
	s_waitcnt lgkmcnt(0)
	s_barrier
	buffer_gl0_inv
	ds_load_2addr_b64 v[18:21], v12 offset1:16
	ds_load_b128 v[22:25], v14
	ds_load_b128 v[26:29], v14 offset:16
	ds_load_2addr_b64 v[30:33], v12 offset0:32 offset1:48
	ds_load_2addr_b64 v[34:37], v12 offset0:64 offset1:80
	ds_load_b128 v[38:41], v14 offset:32
	ds_load_b128 v[42:45], v14 offset:48
	ds_load_2addr_b64 v[46:49], v12 offset0:96 offset1:112
	ds_load_2addr_b64 v[50:53], v12 offset0:128 offset1:144
	ds_load_2addr_b64 v[54:57], v12 offset0:160 offset1:176
	ds_load_b128 v[58:61], v14 offset:64
	ds_load_b128 v[62:65], v14 offset:80
	s_add_u32 s4, s4, 16
	s_addc_u32 s5, s5, 0
	v_add_co_u32 v4, vcc_lo, 0x80, v4
	v_cmp_ge_i64_e64 s6, s[4:5], s[16:17]
	v_add_co_ci_u32_e32 v5, vcc_lo, 0, v5, vcc_lo
	v_add_co_u32 v6, vcc_lo, 0x80, v6
	s_waitcnt lgkmcnt(10)
	v_dual_mul_f32 v3, v23, v19 :: v_dual_mul_f32 v66, v25, v21
	s_waitcnt lgkmcnt(8)
	v_dual_mul_f32 v19, v22, v19 :: v_dual_mul_f32 v68, v29, v33
	v_mul_f32_e32 v21, v24, v21
	v_mul_f32_e32 v67, v27, v31
	;; [unrolled: 1-line block ×3, first 2 shown]
	s_delay_alu instid0(VALU_DEP_4)
	v_fmac_f32_e32 v19, v23, v18
	v_fma_f32 v3, v22, v18, -v3
	s_waitcnt lgkmcnt(6)
	v_dual_fmac_f32 v21, v25, v20 :: v_dual_mul_f32 v18, v40, v37
	v_mul_f32_e32 v33, v28, v33
	v_add_f32_e32 v16, v16, v19
	v_mul_f32_e32 v69, v39, v35
	v_fmac_f32_e32 v31, v27, v30
	v_fma_f32 v23, v24, v20, -v66
	v_fmac_f32_e32 v18, v41, v36
	v_dual_add_f32 v16, v16, v21 :: v_dual_fmac_f32 v33, v29, v32
	s_waitcnt lgkmcnt(1)
	v_mul_f32_e32 v24, v58, v51
	v_mul_f32_e32 v20, v42, v47
	v_add_f32_e32 v3, v17, v3
	v_add_f32_e32 v16, v16, v31
	v_mul_f32_e32 v35, v38, v35
	v_fma_f32 v21, v28, v32, -v68
	s_waitcnt lgkmcnt(0)
	v_mul_f32_e32 v32, v62, v55
	v_mul_f32_e32 v22, v41, v37
	v_dual_add_f32 v16, v16, v33 :: v_dual_fmac_f32 v35, v39, v34
	v_fma_f32 v19, v26, v30, -v67
	v_dual_fmac_f32 v20, v43, v46 :: v_dual_mul_f32 v27, v60, v53
	s_delay_alu instid0(VALU_DEP_4) | instskip(NEXT) | instid1(VALU_DEP_4)
	v_fma_f32 v22, v40, v36, -v22
	v_add_f32_e32 v16, v16, v35
	v_mul_f32_e32 v17, v43, v47
	v_add_co_ci_u32_e32 v7, vcc_lo, 0, v7, vcc_lo
	v_fmac_f32_e32 v24, v59, v50
	s_delay_alu instid0(VALU_DEP_4) | instskip(SKIP_3) | instid1(VALU_DEP_4)
	v_dual_add_f32 v16, v16, v18 :: v_dual_add_f32 v3, v3, v23
	v_mul_f32_e32 v26, v61, v53
	v_fma_f32 v23, v38, v34, -v69
	v_fmac_f32_e32 v27, v61, v52
	v_dual_add_f32 v20, v16, v20 :: v_dual_add_f32 v3, v3, v19
	v_mul_f32_e32 v19, v45, v49
	v_fma_f32 v17, v42, v46, -v17
	v_fmac_f32_e32 v32, v63, v54
	s_and_b32 vcc_lo, exec_lo, s6
	v_add_f32_e32 v3, v3, v21
	v_mul_f32_e32 v21, v44, v49
	s_delay_alu instid0(VALU_DEP_1) | instskip(NEXT) | instid1(VALU_DEP_1)
	v_dual_mul_f32 v36, v64, v57 :: v_dual_fmac_f32 v21, v45, v48
	v_dual_fmac_f32 v36, v65, v56 :: v_dual_add_f32 v25, v20, v21
	s_delay_alu instid0(VALU_DEP_1) | instskip(SKIP_2) | instid1(VALU_DEP_3)
	v_dual_add_f32 v24, v25, v24 :: v_dual_add_f32 v3, v3, v23
	v_fma_f32 v25, v60, v52, -v26
	v_mul_f32_e32 v26, v63, v55
	v_add_f32_e32 v33, v24, v27
	s_delay_alu instid0(VALU_DEP_4) | instskip(SKIP_3) | instid1(VALU_DEP_4)
	v_add_f32_e32 v3, v3, v22
	v_mul_f32_e32 v23, v59, v51
	v_fma_f32 v22, v44, v48, -v19
	v_fma_f32 v34, v62, v54, -v26
	v_dual_add_f32 v32, v33, v32 :: v_dual_add_f32 v3, v3, v17
	ds_load_2addr_b64 v[16:19], v12 offset0:192 offset1:208
	v_fma_f32 v23, v58, v50, -v23
	v_dual_add_f32 v32, v32, v36 :: v_dual_add_f32 v3, v3, v22
	s_delay_alu instid0(VALU_DEP_1)
	v_add_f32_e32 v3, v3, v23
	ds_load_b128 v[20:23], v14 offset:96
	v_add_f32_e32 v3, v3, v25
	ds_load_2addr_b64 v[24:27], v12 offset0:224 offset1:240
	ds_load_b128 v[28:31], v14 offset:112
	v_mul_f32_e32 v35, v65, v57
	s_waitcnt lgkmcnt(0)
	s_barrier
	v_add_f32_e32 v3, v3, v34
	buffer_gl0_inv
	v_fma_f32 v33, v64, v56, -v35
	s_delay_alu instid0(VALU_DEP_1) | instskip(SKIP_2) | instid1(VALU_DEP_2)
	v_add_f32_e32 v3, v3, v33
	v_mul_f32_e32 v34, v21, v17
	v_mul_f32_e32 v17, v20, v17
	v_fma_f32 v20, v20, v16, -v34
	s_delay_alu instid0(VALU_DEP_2) | instskip(SKIP_1) | instid1(VALU_DEP_3)
	v_dual_fmac_f32 v17, v21, v16 :: v_dual_mul_f32 v16, v23, v19
	v_mul_f32_e32 v19, v22, v19
	v_add_f32_e32 v3, v3, v20
	s_delay_alu instid0(VALU_DEP_3) | instskip(NEXT) | instid1(VALU_DEP_4)
	v_add_f32_e32 v17, v32, v17
	v_fma_f32 v16, v22, v18, -v16
	s_delay_alu instid0(VALU_DEP_4) | instskip(NEXT) | instid1(VALU_DEP_2)
	v_dual_fmac_f32 v19, v23, v18 :: v_dual_mul_f32 v18, v29, v25
	v_dual_mul_f32 v20, v28, v25 :: v_dual_add_f32 v3, v3, v16
	s_delay_alu instid0(VALU_DEP_2) | instskip(NEXT) | instid1(VALU_DEP_3)
	v_add_f32_e32 v16, v17, v19
	v_fma_f32 v17, v28, v24, -v18
	s_delay_alu instid0(VALU_DEP_3) | instskip(SKIP_2) | instid1(VALU_DEP_3)
	v_fmac_f32_e32 v20, v29, v24
	v_mul_f32_e32 v18, v31, v27
	v_mul_f32_e32 v19, v30, v27
	v_dual_add_f32 v3, v3, v17 :: v_dual_add_f32 v16, v16, v20
	s_delay_alu instid0(VALU_DEP_3) | instskip(NEXT) | instid1(VALU_DEP_3)
	v_fma_f32 v17, v30, v26, -v18
	v_fmac_f32_e32 v19, v31, v26
	s_delay_alu instid0(VALU_DEP_1)
	v_dual_add_f32 v17, v3, v17 :: v_dual_add_f32 v16, v16, v19
	s_cbranch_vccnz .LBB1288_11
.LBB1288_3:                             ; =>This Inner Loop Header: Depth=1
	v_add_co_u32 v18, s6, v11, s4
	s_delay_alu instid0(VALU_DEP_1) | instskip(NEXT) | instid1(VALU_DEP_1)
	v_add_co_ci_u32_e64 v19, null, 0, s5, s6
	v_cmp_le_i64_e32 vcc_lo, s[16:17], v[18:19]
	s_or_b32 s6, s2, vcc_lo
	s_delay_alu instid0(SALU_CYCLE_1) | instskip(NEXT) | instid1(SALU_CYCLE_1)
	s_and_saveexec_b32 s7, s6
	s_xor_b32 s6, exec_lo, s7
	s_cbranch_execz .LBB1288_5
; %bb.4:                                ;   in Loop: Header=BB1288_3 Depth=1
	v_mov_b32_e32 v3, v2
	ds_store_b64 v13, v[2:3]
.LBB1288_5:                             ;   in Loop: Header=BB1288_3 Depth=1
	s_and_not1_saveexec_b32 s6, s6
	s_cbranch_execz .LBB1288_7
; %bb.6:                                ;   in Loop: Header=BB1288_3 Depth=1
	global_load_b64 v[18:19], v[6:7], off
	s_waitcnt vmcnt(0)
	ds_store_b64 v13, v[18:19]
.LBB1288_7:                             ;   in Loop: Header=BB1288_3 Depth=1
	s_or_b32 exec_lo, exec_lo, s6
	v_add_co_u32 v18, s6, v10, s4
	s_delay_alu instid0(VALU_DEP_1) | instskip(NEXT) | instid1(VALU_DEP_1)
	v_add_co_ci_u32_e64 v19, null, 0, s5, s6
	v_cmp_le_i64_e32 vcc_lo, s[16:17], v[18:19]
	s_or_b32 s6, s3, vcc_lo
	s_delay_alu instid0(SALU_CYCLE_1) | instskip(NEXT) | instid1(SALU_CYCLE_1)
	s_and_saveexec_b32 s7, s6
	s_xor_b32 s6, exec_lo, s7
	s_cbranch_execz .LBB1288_9
; %bb.8:                                ;   in Loop: Header=BB1288_3 Depth=1
	v_mov_b32_e32 v3, v2
	ds_store_b64 v15, v[2:3]
.LBB1288_9:                             ;   in Loop: Header=BB1288_3 Depth=1
	s_and_not1_saveexec_b32 s6, s6
	s_cbranch_execz .LBB1288_2
; %bb.10:                               ;   in Loop: Header=BB1288_3 Depth=1
	global_load_b64 v[18:19], v[4:5], off
	s_waitcnt vmcnt(0)
	ds_store_b64 v15, v[18:19]
	s_branch .LBB1288_2
.LBB1288_11:
	s_load_b256 s[4:11], s[0:1], 0x48
	v_cmp_le_i32_e32 vcc_lo, v8, v0
	v_cmp_gt_i32_e64 s0, s12, v0
	s_delay_alu instid0(VALU_DEP_1) | instskip(NEXT) | instid1(SALU_CYCLE_1)
	s_and_b32 s0, vcc_lo, s0
	s_and_saveexec_b32 s1, s0
	s_cbranch_execz .LBB1288_14
; %bb.12:
	s_waitcnt lgkmcnt(0)
	v_mul_lo_u32 v4, v8, s9
	v_mul_lo_u32 v5, v9, s8
	v_mad_u64_u32 v[2:3], null, v8, s8, 0
	s_mul_i32 s1, s15, s11
	s_mul_hi_u32 s2, s15, s10
	s_mul_i32 s0, s15, s10
	s_add_i32 s1, s2, s1
	s_delay_alu instid0(SALU_CYCLE_1) | instskip(NEXT) | instid1(VALU_DEP_1)
	s_lshl_b64 s[0:1], s[0:1], 3
	v_add3_u32 v3, v3, v4, v5
	s_add_u32 s0, s6, s0
	v_lshlrev_b64 v[4:5], 3, v[0:1]
	s_addc_u32 s1, s7, s1
	s_delay_alu instid0(VALU_DEP_2) | instskip(NEXT) | instid1(VALU_DEP_1)
	v_lshlrev_b64 v[2:3], 3, v[2:3]
	v_add_co_u32 v1, vcc_lo, s0, v2
	s_delay_alu instid0(VALU_DEP_2) | instskip(NEXT) | instid1(VALU_DEP_2)
	v_add_co_ci_u32_e32 v2, vcc_lo, s1, v3, vcc_lo
	v_add_co_u32 v1, vcc_lo, v1, v4
	s_delay_alu instid0(VALU_DEP_2)
	v_add_co_ci_u32_e32 v2, vcc_lo, v2, v5, vcc_lo
	v_cmp_eq_u32_e32 vcc_lo, v0, v8
	global_load_b64 v[3:4], v[1:2], off
	s_waitcnt vmcnt(0)
	v_mul_f32_e32 v7, s5, v4
	v_mul_f32_e32 v4, s4, v4
	s_delay_alu instid0(VALU_DEP_1) | instskip(NEXT) | instid1(VALU_DEP_3)
	v_fmac_f32_e32 v4, s5, v3
	v_fma_f32 v7, v3, s4, -v7
	v_mul_f32_e32 v6, s18, v16
	s_delay_alu instid0(VALU_DEP_1) | instskip(NEXT) | instid1(VALU_DEP_1)
	v_dual_mul_f32 v5, s19, v16 :: v_dual_fmac_f32 v6, s19, v17
	v_fma_f32 v5, v17, s18, -v5
	s_delay_alu instid0(VALU_DEP_1)
	v_dual_add_f32 v4, v6, v4 :: v_dual_add_f32 v3, v5, v7
	global_store_b64 v[1:2], v[3:4], off
	s_and_b32 exec_lo, exec_lo, vcc_lo
	s_cbranch_execz .LBB1288_14
; %bb.13:
	v_mov_b32_e32 v0, 0
	global_store_b32 v[1:2], v0, off offset:4
.LBB1288_14:
	s_nop 0
	s_sendmsg sendmsg(MSG_DEALLOC_VGPRS)
	s_endpgm
	.section	.rodata,"a",@progbits
	.p2align	6, 0x0
	.amdhsa_kernel _ZL32rocblas_syrkx_herkx_small_kernelIl19rocblas_complex_numIfELi16ELb0ELb1ELc84ELc76EKS1_S1_EviT_T0_PT6_S3_lS6_S3_lS4_PT7_S3_li
		.amdhsa_group_segment_fixed_size 4096
		.amdhsa_private_segment_fixed_size 0
		.amdhsa_kernarg_size 108
		.amdhsa_user_sgpr_count 13
		.amdhsa_user_sgpr_dispatch_ptr 0
		.amdhsa_user_sgpr_queue_ptr 0
		.amdhsa_user_sgpr_kernarg_segment_ptr 1
		.amdhsa_user_sgpr_dispatch_id 0
		.amdhsa_user_sgpr_private_segment_size 0
		.amdhsa_wavefront_size32 1
		.amdhsa_uses_dynamic_stack 0
		.amdhsa_enable_private_segment 0
		.amdhsa_system_sgpr_workgroup_id_x 1
		.amdhsa_system_sgpr_workgroup_id_y 1
		.amdhsa_system_sgpr_workgroup_id_z 1
		.amdhsa_system_sgpr_workgroup_info 0
		.amdhsa_system_vgpr_workitem_id 1
		.amdhsa_next_free_vgpr 70
		.amdhsa_next_free_sgpr 32
		.amdhsa_reserve_vcc 1
		.amdhsa_float_round_mode_32 0
		.amdhsa_float_round_mode_16_64 0
		.amdhsa_float_denorm_mode_32 3
		.amdhsa_float_denorm_mode_16_64 3
		.amdhsa_dx10_clamp 1
		.amdhsa_ieee_mode 1
		.amdhsa_fp16_overflow 0
		.amdhsa_workgroup_processor_mode 1
		.amdhsa_memory_ordered 1
		.amdhsa_forward_progress 0
		.amdhsa_shared_vgpr_count 0
		.amdhsa_exception_fp_ieee_invalid_op 0
		.amdhsa_exception_fp_denorm_src 0
		.amdhsa_exception_fp_ieee_div_zero 0
		.amdhsa_exception_fp_ieee_overflow 0
		.amdhsa_exception_fp_ieee_underflow 0
		.amdhsa_exception_fp_ieee_inexact 0
		.amdhsa_exception_int_div_zero 0
	.end_amdhsa_kernel
	.section	.text._ZL32rocblas_syrkx_herkx_small_kernelIl19rocblas_complex_numIfELi16ELb0ELb1ELc84ELc76EKS1_S1_EviT_T0_PT6_S3_lS6_S3_lS4_PT7_S3_li,"axG",@progbits,_ZL32rocblas_syrkx_herkx_small_kernelIl19rocblas_complex_numIfELi16ELb0ELb1ELc84ELc76EKS1_S1_EviT_T0_PT6_S3_lS6_S3_lS4_PT7_S3_li,comdat
.Lfunc_end1288:
	.size	_ZL32rocblas_syrkx_herkx_small_kernelIl19rocblas_complex_numIfELi16ELb0ELb1ELc84ELc76EKS1_S1_EviT_T0_PT6_S3_lS6_S3_lS4_PT7_S3_li, .Lfunc_end1288-_ZL32rocblas_syrkx_herkx_small_kernelIl19rocblas_complex_numIfELi16ELb0ELb1ELc84ELc76EKS1_S1_EviT_T0_PT6_S3_lS6_S3_lS4_PT7_S3_li
                                        ; -- End function
	.section	.AMDGPU.csdata,"",@progbits
; Kernel info:
; codeLenInByte = 1604
; NumSgprs: 34
; NumVgprs: 70
; ScratchSize: 0
; MemoryBound: 1
; FloatMode: 240
; IeeeMode: 1
; LDSByteSize: 4096 bytes/workgroup (compile time only)
; SGPRBlocks: 4
; VGPRBlocks: 8
; NumSGPRsForWavesPerEU: 34
; NumVGPRsForWavesPerEU: 70
; Occupancy: 16
; WaveLimiterHint : 0
; COMPUTE_PGM_RSRC2:SCRATCH_EN: 0
; COMPUTE_PGM_RSRC2:USER_SGPR: 13
; COMPUTE_PGM_RSRC2:TRAP_HANDLER: 0
; COMPUTE_PGM_RSRC2:TGID_X_EN: 1
; COMPUTE_PGM_RSRC2:TGID_Y_EN: 1
; COMPUTE_PGM_RSRC2:TGID_Z_EN: 1
; COMPUTE_PGM_RSRC2:TIDIG_COMP_CNT: 1
	.section	.text._ZL32rocblas_syrkx_herkx_small_kernelIl19rocblas_complex_numIfELi16ELb0ELb1ELc67ELc76EKS1_S1_EviT_T0_PT6_S3_lS6_S3_lS4_PT7_S3_li,"axG",@progbits,_ZL32rocblas_syrkx_herkx_small_kernelIl19rocblas_complex_numIfELi16ELb0ELb1ELc67ELc76EKS1_S1_EviT_T0_PT6_S3_lS6_S3_lS4_PT7_S3_li,comdat
	.globl	_ZL32rocblas_syrkx_herkx_small_kernelIl19rocblas_complex_numIfELi16ELb0ELb1ELc67ELc76EKS1_S1_EviT_T0_PT6_S3_lS6_S3_lS4_PT7_S3_li ; -- Begin function _ZL32rocblas_syrkx_herkx_small_kernelIl19rocblas_complex_numIfELi16ELb0ELb1ELc67ELc76EKS1_S1_EviT_T0_PT6_S3_lS6_S3_lS4_PT7_S3_li
	.p2align	8
	.type	_ZL32rocblas_syrkx_herkx_small_kernelIl19rocblas_complex_numIfELi16ELb0ELb1ELc67ELc76EKS1_S1_EviT_T0_PT6_S3_lS6_S3_lS4_PT7_S3_li,@function
_ZL32rocblas_syrkx_herkx_small_kernelIl19rocblas_complex_numIfELi16ELb0ELb1ELc67ELc76EKS1_S1_EviT_T0_PT6_S3_lS6_S3_lS4_PT7_S3_li: ; @_ZL32rocblas_syrkx_herkx_small_kernelIl19rocblas_complex_numIfELi16ELb0ELb1ELc67ELc76EKS1_S1_EviT_T0_PT6_S3_lS6_S3_lS4_PT7_S3_li
; %bb.0:
	s_clause 0x1
	s_load_b512 s[16:31], s[0:1], 0x8
	s_load_b32 s12, s[0:1], 0x0
	v_dual_mov_b32 v17, 0 :: v_dual_and_b32 v10, 0x3ff, v0
	v_bfe_u32 v11, v0, 10, 10
	v_mov_b32_e32 v16, 0
	s_delay_alu instid0(VALU_DEP_3) | instskip(NEXT) | instid1(VALU_DEP_3)
	v_lshl_add_u32 v0, s13, 4, v10
	v_lshl_add_u32 v8, s14, 4, v11
	s_delay_alu instid0(VALU_DEP_2) | instskip(NEXT) | instid1(VALU_DEP_2)
	v_ashrrev_i32_e32 v1, 31, v0
	v_ashrrev_i32_e32 v9, 31, v8
	s_waitcnt lgkmcnt(0)
	v_cmp_lt_i64_e64 s3, s[16:17], 1
	v_cmp_gt_i32_e64 s2, s12, v0
	s_delay_alu instid0(VALU_DEP_2)
	s_and_b32 vcc_lo, exec_lo, s3
	s_cbranch_vccnz .LBB1289_11
; %bb.1:
	v_mul_lo_u32 v2, s29, v8
	v_mul_lo_u32 v5, s28, v9
	v_mad_u64_u32 v[3:4], null, s28, v8, 0
	v_mul_lo_u32 v16, s23, v0
	v_mul_lo_u32 v17, s22, v1
	s_mul_i32 s3, s31, s15
	s_mul_hi_u32 s4, s30, s15
	s_mul_hi_u32 s6, s24, s15
	s_add_i32 s5, s4, s3
	s_delay_alu instid0(VALU_DEP_3)
	v_add3_u32 v4, v4, v5, v2
	v_mad_u64_u32 v[5:6], null, s22, v0, 0
	s_mul_i32 s3, s25, s15
	v_dual_mov_b32 v2, 0 :: v_dual_lshlrev_b32 v7, 7, v11
	v_lshlrev_b32_e32 v12, 3, v10
	s_add_i32 s7, s6, s3
	s_mul_i32 s6, s24, s15
	s_delay_alu instid0(VALU_DEP_3)
	v_add3_u32 v6, v6, v17, v16
	v_lshlrev_b64 v[3:4], 3, v[3:4]
	s_lshl_b64 s[6:7], s[6:7], 3
	s_mul_i32 s4, s30, s15
	v_add_nc_u32_e32 v13, 0x800, v7
	v_lshlrev_b64 v[5:6], 3, v[5:6]
	v_add_nc_u32_e32 v14, v12, v7
	s_lshl_b64 s[4:5], s[4:5], 3
	v_lshlrev_b32_e32 v7, 3, v11
	v_cmp_gt_i32_e32 vcc_lo, s12, v8
	s_xor_b32 s2, s2, -1
	v_add_co_u32 v5, s3, v5, s6
	s_delay_alu instid0(VALU_DEP_1) | instskip(SKIP_1) | instid1(VALU_DEP_1)
	v_add_co_ci_u32_e64 v6, s3, s7, v6, s3
	v_add_co_u32 v3, s3, v3, s4
	v_add_co_ci_u32_e64 v4, s3, s5, v4, s3
	s_delay_alu instid0(VALU_DEP_4) | instskip(NEXT) | instid1(VALU_DEP_1)
	v_add_co_u32 v5, s3, v5, v7
	v_add_co_ci_u32_e64 v6, s3, 0, v6, s3
	s_delay_alu instid0(VALU_DEP_4) | instskip(NEXT) | instid1(VALU_DEP_1)
	;; [unrolled: 3-line block ×4, first 2 shown]
	v_add_co_u32 v4, s3, s26, v3
	v_add_co_ci_u32_e64 v5, s3, s27, v7, s3
	s_delay_alu instid0(VALU_DEP_4)
	v_add_co_u32 v6, s3, v16, 4
	v_mov_b32_e32 v16, 0
	v_add_co_ci_u32_e64 v7, s3, 0, v17, s3
	v_mov_b32_e32 v17, 0
	v_add_nc_u32_e32 v15, v13, v12
	s_mov_b64 s[4:5], 0
	s_xor_b32 s3, vcc_lo, -1
	s_branch .LBB1289_3
.LBB1289_2:                             ;   in Loop: Header=BB1289_3 Depth=1
	s_or_b32 exec_lo, exec_lo, s6
	s_waitcnt lgkmcnt(0)
	s_barrier
	buffer_gl0_inv
	ds_load_2addr_b64 v[18:21], v12 offset1:16
	ds_load_b128 v[22:25], v13
	ds_load_b128 v[26:29], v13 offset:16
	ds_load_2addr_b64 v[30:33], v12 offset0:32 offset1:48
	ds_load_2addr_b64 v[34:37], v12 offset0:64 offset1:80
	ds_load_b128 v[38:41], v13 offset:32
	ds_load_b128 v[42:45], v13 offset:48
	ds_load_2addr_b64 v[46:49], v12 offset0:96 offset1:112
	ds_load_2addr_b64 v[50:53], v12 offset0:128 offset1:144
	;; [unrolled: 1-line block ×3, first 2 shown]
	ds_load_b128 v[58:61], v13 offset:64
	ds_load_b128 v[62:65], v13 offset:80
	s_add_u32 s4, s4, 16
	s_addc_u32 s5, s5, 0
	v_add_co_u32 v4, vcc_lo, 0x80, v4
	v_cmp_ge_i64_e64 s6, s[4:5], s[16:17]
	v_add_co_ci_u32_e32 v5, vcc_lo, 0, v5, vcc_lo
	v_add_co_u32 v6, vcc_lo, 0x80, v6
	s_waitcnt lgkmcnt(10)
	v_dual_mul_f32 v3, v23, v19 :: v_dual_mul_f32 v66, v25, v21
	s_waitcnt lgkmcnt(8)
	v_dual_mul_f32 v19, v22, v19 :: v_dual_mul_f32 v68, v29, v33
	v_mul_f32_e32 v21, v24, v21
	v_mul_f32_e32 v67, v27, v31
	;; [unrolled: 1-line block ×3, first 2 shown]
	s_delay_alu instid0(VALU_DEP_4)
	v_fmac_f32_e32 v19, v23, v18
	v_fma_f32 v3, v22, v18, -v3
	s_waitcnt lgkmcnt(6)
	v_dual_fmac_f32 v21, v25, v20 :: v_dual_mul_f32 v18, v40, v37
	v_mul_f32_e32 v33, v28, v33
	v_add_f32_e32 v16, v16, v19
	v_mul_f32_e32 v69, v39, v35
	v_fmac_f32_e32 v31, v27, v30
	v_fma_f32 v23, v24, v20, -v66
	v_fmac_f32_e32 v18, v41, v36
	v_dual_add_f32 v16, v16, v21 :: v_dual_fmac_f32 v33, v29, v32
	s_waitcnt lgkmcnt(1)
	v_mul_f32_e32 v24, v58, v51
	v_mul_f32_e32 v20, v42, v47
	v_add_f32_e32 v3, v17, v3
	v_add_f32_e32 v16, v16, v31
	v_mul_f32_e32 v35, v38, v35
	v_fma_f32 v21, v28, v32, -v68
	s_waitcnt lgkmcnt(0)
	v_mul_f32_e32 v32, v62, v55
	v_mul_f32_e32 v22, v41, v37
	v_dual_add_f32 v16, v16, v33 :: v_dual_fmac_f32 v35, v39, v34
	v_fma_f32 v19, v26, v30, -v67
	v_dual_fmac_f32 v20, v43, v46 :: v_dual_mul_f32 v27, v60, v53
	s_delay_alu instid0(VALU_DEP_4) | instskip(NEXT) | instid1(VALU_DEP_4)
	v_fma_f32 v22, v40, v36, -v22
	v_add_f32_e32 v16, v16, v35
	v_mul_f32_e32 v17, v43, v47
	v_add_co_ci_u32_e32 v7, vcc_lo, 0, v7, vcc_lo
	v_fmac_f32_e32 v24, v59, v50
	s_delay_alu instid0(VALU_DEP_4) | instskip(SKIP_3) | instid1(VALU_DEP_4)
	v_dual_add_f32 v16, v16, v18 :: v_dual_add_f32 v3, v3, v23
	v_mul_f32_e32 v26, v61, v53
	v_fma_f32 v23, v38, v34, -v69
	v_fmac_f32_e32 v27, v61, v52
	v_dual_add_f32 v20, v16, v20 :: v_dual_add_f32 v3, v3, v19
	v_mul_f32_e32 v19, v45, v49
	v_fma_f32 v17, v42, v46, -v17
	v_fmac_f32_e32 v32, v63, v54
	s_and_b32 vcc_lo, exec_lo, s6
	v_add_f32_e32 v3, v3, v21
	v_mul_f32_e32 v21, v44, v49
	s_delay_alu instid0(VALU_DEP_1) | instskip(NEXT) | instid1(VALU_DEP_1)
	v_dual_mul_f32 v36, v64, v57 :: v_dual_fmac_f32 v21, v45, v48
	v_dual_fmac_f32 v36, v65, v56 :: v_dual_add_f32 v25, v20, v21
	s_delay_alu instid0(VALU_DEP_1) | instskip(SKIP_2) | instid1(VALU_DEP_3)
	v_dual_add_f32 v24, v25, v24 :: v_dual_add_f32 v3, v3, v23
	v_fma_f32 v25, v60, v52, -v26
	v_mul_f32_e32 v26, v63, v55
	v_add_f32_e32 v33, v24, v27
	s_delay_alu instid0(VALU_DEP_4) | instskip(SKIP_3) | instid1(VALU_DEP_4)
	v_add_f32_e32 v3, v3, v22
	v_mul_f32_e32 v23, v59, v51
	v_fma_f32 v22, v44, v48, -v19
	v_fma_f32 v34, v62, v54, -v26
	v_dual_add_f32 v32, v33, v32 :: v_dual_add_f32 v3, v3, v17
	ds_load_2addr_b64 v[16:19], v12 offset0:192 offset1:208
	v_fma_f32 v23, v58, v50, -v23
	v_dual_add_f32 v32, v32, v36 :: v_dual_add_f32 v3, v3, v22
	s_delay_alu instid0(VALU_DEP_1)
	v_add_f32_e32 v3, v3, v23
	ds_load_b128 v[20:23], v13 offset:96
	v_add_f32_e32 v3, v3, v25
	ds_load_2addr_b64 v[24:27], v12 offset0:224 offset1:240
	ds_load_b128 v[28:31], v13 offset:112
	v_mul_f32_e32 v35, v65, v57
	s_waitcnt lgkmcnt(0)
	s_barrier
	v_add_f32_e32 v3, v3, v34
	buffer_gl0_inv
	v_fma_f32 v33, v64, v56, -v35
	s_delay_alu instid0(VALU_DEP_1) | instskip(SKIP_2) | instid1(VALU_DEP_2)
	v_add_f32_e32 v3, v3, v33
	v_mul_f32_e32 v34, v21, v17
	v_mul_f32_e32 v17, v20, v17
	v_fma_f32 v20, v20, v16, -v34
	s_delay_alu instid0(VALU_DEP_2) | instskip(SKIP_1) | instid1(VALU_DEP_3)
	v_dual_fmac_f32 v17, v21, v16 :: v_dual_mul_f32 v16, v23, v19
	v_mul_f32_e32 v19, v22, v19
	v_add_f32_e32 v3, v3, v20
	s_delay_alu instid0(VALU_DEP_3) | instskip(NEXT) | instid1(VALU_DEP_4)
	v_add_f32_e32 v17, v32, v17
	v_fma_f32 v16, v22, v18, -v16
	s_delay_alu instid0(VALU_DEP_4) | instskip(NEXT) | instid1(VALU_DEP_2)
	v_dual_fmac_f32 v19, v23, v18 :: v_dual_mul_f32 v18, v29, v25
	v_dual_mul_f32 v20, v28, v25 :: v_dual_add_f32 v3, v3, v16
	s_delay_alu instid0(VALU_DEP_2) | instskip(NEXT) | instid1(VALU_DEP_3)
	v_add_f32_e32 v16, v17, v19
	v_fma_f32 v17, v28, v24, -v18
	s_delay_alu instid0(VALU_DEP_3) | instskip(SKIP_2) | instid1(VALU_DEP_3)
	v_fmac_f32_e32 v20, v29, v24
	v_mul_f32_e32 v18, v31, v27
	v_mul_f32_e32 v19, v30, v27
	v_dual_add_f32 v3, v3, v17 :: v_dual_add_f32 v16, v16, v20
	s_delay_alu instid0(VALU_DEP_3) | instskip(NEXT) | instid1(VALU_DEP_3)
	v_fma_f32 v17, v30, v26, -v18
	v_fmac_f32_e32 v19, v31, v26
	s_delay_alu instid0(VALU_DEP_1)
	v_dual_add_f32 v17, v3, v17 :: v_dual_add_f32 v16, v16, v19
	s_cbranch_vccnz .LBB1289_11
.LBB1289_3:                             ; =>This Inner Loop Header: Depth=1
	v_add_co_u32 v18, s6, v11, s4
	s_delay_alu instid0(VALU_DEP_1) | instskip(NEXT) | instid1(VALU_DEP_1)
	v_add_co_ci_u32_e64 v19, null, 0, s5, s6
                                        ; implicit-def: $sgpr7
	v_cmp_le_i64_e32 vcc_lo, s[16:17], v[18:19]
	s_or_b32 s6, s2, vcc_lo
	s_delay_alu instid0(SALU_CYCLE_1) | instskip(NEXT) | instid1(SALU_CYCLE_1)
	s_and_saveexec_b32 s8, s6
	s_xor_b32 s6, exec_lo, s8
	s_cbranch_execz .LBB1289_5
; %bb.4:                                ;   in Loop: Header=BB1289_3 Depth=1
	s_mov_b32 s7, 0
	ds_store_b32 v14, v2
.LBB1289_5:                             ;   in Loop: Header=BB1289_3 Depth=1
	s_or_saveexec_b32 s6, s6
	v_mov_b32_e32 v3, s7
	s_xor_b32 exec_lo, exec_lo, s6
	s_cbranch_execz .LBB1289_7
; %bb.6:                                ;   in Loop: Header=BB1289_3 Depth=1
	global_load_b64 v[18:19], v[6:7], off offset:-4
	s_waitcnt vmcnt(0)
	v_xor_b32_e32 v3, 0x80000000, v19
	ds_store_b32 v14, v18
.LBB1289_7:                             ;   in Loop: Header=BB1289_3 Depth=1
	s_or_b32 exec_lo, exec_lo, s6
	v_add_co_u32 v18, s6, v10, s4
	s_delay_alu instid0(VALU_DEP_1) | instskip(SKIP_3) | instid1(SALU_CYCLE_1)
	v_add_co_ci_u32_e64 v19, null, 0, s5, s6
	ds_store_b32 v14, v3 offset:4
	v_cmp_le_i64_e32 vcc_lo, s[16:17], v[18:19]
	s_or_b32 s6, s3, vcc_lo
	s_and_saveexec_b32 s7, s6
	s_delay_alu instid0(SALU_CYCLE_1)
	s_xor_b32 s6, exec_lo, s7
	s_cbranch_execz .LBB1289_9
; %bb.8:                                ;   in Loop: Header=BB1289_3 Depth=1
	v_mov_b32_e32 v3, v2
	ds_store_b64 v15, v[2:3]
.LBB1289_9:                             ;   in Loop: Header=BB1289_3 Depth=1
	s_and_not1_saveexec_b32 s6, s6
	s_cbranch_execz .LBB1289_2
; %bb.10:                               ;   in Loop: Header=BB1289_3 Depth=1
	global_load_b64 v[18:19], v[4:5], off
	s_waitcnt vmcnt(0)
	ds_store_b64 v15, v[18:19]
	s_branch .LBB1289_2
.LBB1289_11:
	s_load_b256 s[4:11], s[0:1], 0x48
	v_cmp_le_i32_e32 vcc_lo, v8, v0
	v_cmp_gt_i32_e64 s0, s12, v0
	s_delay_alu instid0(VALU_DEP_1) | instskip(NEXT) | instid1(SALU_CYCLE_1)
	s_and_b32 s0, vcc_lo, s0
	s_and_saveexec_b32 s1, s0
	s_cbranch_execz .LBB1289_14
; %bb.12:
	s_waitcnt lgkmcnt(0)
	v_mul_lo_u32 v4, v8, s9
	v_mul_lo_u32 v5, v9, s8
	v_mad_u64_u32 v[2:3], null, v8, s8, 0
	s_mul_i32 s1, s15, s11
	s_mul_hi_u32 s2, s15, s10
	s_mul_i32 s0, s15, s10
	s_add_i32 s1, s2, s1
	s_delay_alu instid0(SALU_CYCLE_1) | instskip(NEXT) | instid1(VALU_DEP_1)
	s_lshl_b64 s[0:1], s[0:1], 3
	v_add3_u32 v3, v3, v4, v5
	s_add_u32 s0, s6, s0
	v_lshlrev_b64 v[4:5], 3, v[0:1]
	s_addc_u32 s1, s7, s1
	s_delay_alu instid0(VALU_DEP_2) | instskip(NEXT) | instid1(VALU_DEP_1)
	v_lshlrev_b64 v[2:3], 3, v[2:3]
	v_add_co_u32 v1, vcc_lo, s0, v2
	s_delay_alu instid0(VALU_DEP_2) | instskip(NEXT) | instid1(VALU_DEP_2)
	v_add_co_ci_u32_e32 v2, vcc_lo, s1, v3, vcc_lo
	v_add_co_u32 v1, vcc_lo, v1, v4
	s_delay_alu instid0(VALU_DEP_2)
	v_add_co_ci_u32_e32 v2, vcc_lo, v2, v5, vcc_lo
	v_cmp_eq_u32_e32 vcc_lo, v0, v8
	global_load_b64 v[3:4], v[1:2], off
	s_waitcnt vmcnt(0)
	v_mul_f32_e32 v7, s5, v4
	v_mul_f32_e32 v4, s4, v4
	s_delay_alu instid0(VALU_DEP_1) | instskip(NEXT) | instid1(VALU_DEP_3)
	v_fmac_f32_e32 v4, s5, v3
	v_fma_f32 v7, v3, s4, -v7
	v_mul_f32_e32 v6, s18, v16
	s_delay_alu instid0(VALU_DEP_1) | instskip(NEXT) | instid1(VALU_DEP_1)
	v_dual_mul_f32 v5, s19, v16 :: v_dual_fmac_f32 v6, s19, v17
	v_fma_f32 v5, v17, s18, -v5
	s_delay_alu instid0(VALU_DEP_1)
	v_dual_add_f32 v4, v6, v4 :: v_dual_add_f32 v3, v5, v7
	global_store_b64 v[1:2], v[3:4], off
	s_and_b32 exec_lo, exec_lo, vcc_lo
	s_cbranch_execz .LBB1289_14
; %bb.13:
	v_mov_b32_e32 v0, 0
	global_store_b32 v[1:2], v0, off offset:4
.LBB1289_14:
	s_nop 0
	s_sendmsg sendmsg(MSG_DEALLOC_VGPRS)
	s_endpgm
	.section	.rodata,"a",@progbits
	.p2align	6, 0x0
	.amdhsa_kernel _ZL32rocblas_syrkx_herkx_small_kernelIl19rocblas_complex_numIfELi16ELb0ELb1ELc67ELc76EKS1_S1_EviT_T0_PT6_S3_lS6_S3_lS4_PT7_S3_li
		.amdhsa_group_segment_fixed_size 4096
		.amdhsa_private_segment_fixed_size 0
		.amdhsa_kernarg_size 108
		.amdhsa_user_sgpr_count 13
		.amdhsa_user_sgpr_dispatch_ptr 0
		.amdhsa_user_sgpr_queue_ptr 0
		.amdhsa_user_sgpr_kernarg_segment_ptr 1
		.amdhsa_user_sgpr_dispatch_id 0
		.amdhsa_user_sgpr_private_segment_size 0
		.amdhsa_wavefront_size32 1
		.amdhsa_uses_dynamic_stack 0
		.amdhsa_enable_private_segment 0
		.amdhsa_system_sgpr_workgroup_id_x 1
		.amdhsa_system_sgpr_workgroup_id_y 1
		.amdhsa_system_sgpr_workgroup_id_z 1
		.amdhsa_system_sgpr_workgroup_info 0
		.amdhsa_system_vgpr_workitem_id 1
		.amdhsa_next_free_vgpr 70
		.amdhsa_next_free_sgpr 32
		.amdhsa_reserve_vcc 1
		.amdhsa_float_round_mode_32 0
		.amdhsa_float_round_mode_16_64 0
		.amdhsa_float_denorm_mode_32 3
		.amdhsa_float_denorm_mode_16_64 3
		.amdhsa_dx10_clamp 1
		.amdhsa_ieee_mode 1
		.amdhsa_fp16_overflow 0
		.amdhsa_workgroup_processor_mode 1
		.amdhsa_memory_ordered 1
		.amdhsa_forward_progress 0
		.amdhsa_shared_vgpr_count 0
		.amdhsa_exception_fp_ieee_invalid_op 0
		.amdhsa_exception_fp_denorm_src 0
		.amdhsa_exception_fp_ieee_div_zero 0
		.amdhsa_exception_fp_ieee_overflow 0
		.amdhsa_exception_fp_ieee_underflow 0
		.amdhsa_exception_fp_ieee_inexact 0
		.amdhsa_exception_int_div_zero 0
	.end_amdhsa_kernel
	.section	.text._ZL32rocblas_syrkx_herkx_small_kernelIl19rocblas_complex_numIfELi16ELb0ELb1ELc67ELc76EKS1_S1_EviT_T0_PT6_S3_lS6_S3_lS4_PT7_S3_li,"axG",@progbits,_ZL32rocblas_syrkx_herkx_small_kernelIl19rocblas_complex_numIfELi16ELb0ELb1ELc67ELc76EKS1_S1_EviT_T0_PT6_S3_lS6_S3_lS4_PT7_S3_li,comdat
.Lfunc_end1289:
	.size	_ZL32rocblas_syrkx_herkx_small_kernelIl19rocblas_complex_numIfELi16ELb0ELb1ELc67ELc76EKS1_S1_EviT_T0_PT6_S3_lS6_S3_lS4_PT7_S3_li, .Lfunc_end1289-_ZL32rocblas_syrkx_herkx_small_kernelIl19rocblas_complex_numIfELi16ELb0ELb1ELc67ELc76EKS1_S1_EviT_T0_PT6_S3_lS6_S3_lS4_PT7_S3_li
                                        ; -- End function
	.section	.AMDGPU.csdata,"",@progbits
; Kernel info:
; codeLenInByte = 1652
; NumSgprs: 34
; NumVgprs: 70
; ScratchSize: 0
; MemoryBound: 1
; FloatMode: 240
; IeeeMode: 1
; LDSByteSize: 4096 bytes/workgroup (compile time only)
; SGPRBlocks: 4
; VGPRBlocks: 8
; NumSGPRsForWavesPerEU: 34
; NumVGPRsForWavesPerEU: 70
; Occupancy: 16
; WaveLimiterHint : 0
; COMPUTE_PGM_RSRC2:SCRATCH_EN: 0
; COMPUTE_PGM_RSRC2:USER_SGPR: 13
; COMPUTE_PGM_RSRC2:TRAP_HANDLER: 0
; COMPUTE_PGM_RSRC2:TGID_X_EN: 1
; COMPUTE_PGM_RSRC2:TGID_Y_EN: 1
; COMPUTE_PGM_RSRC2:TGID_Z_EN: 1
; COMPUTE_PGM_RSRC2:TIDIG_COMP_CNT: 1
	.section	.text._ZL32rocblas_syrkx_herkx_small_kernelIl19rocblas_complex_numIfELi16ELb0ELb1ELc78ELc76EKS1_S1_EviT_T0_PT6_S3_lS6_S3_lS4_PT7_S3_li,"axG",@progbits,_ZL32rocblas_syrkx_herkx_small_kernelIl19rocblas_complex_numIfELi16ELb0ELb1ELc78ELc76EKS1_S1_EviT_T0_PT6_S3_lS6_S3_lS4_PT7_S3_li,comdat
	.globl	_ZL32rocblas_syrkx_herkx_small_kernelIl19rocblas_complex_numIfELi16ELb0ELb1ELc78ELc76EKS1_S1_EviT_T0_PT6_S3_lS6_S3_lS4_PT7_S3_li ; -- Begin function _ZL32rocblas_syrkx_herkx_small_kernelIl19rocblas_complex_numIfELi16ELb0ELb1ELc78ELc76EKS1_S1_EviT_T0_PT6_S3_lS6_S3_lS4_PT7_S3_li
	.p2align	8
	.type	_ZL32rocblas_syrkx_herkx_small_kernelIl19rocblas_complex_numIfELi16ELb0ELb1ELc78ELc76EKS1_S1_EviT_T0_PT6_S3_lS6_S3_lS4_PT7_S3_li,@function
_ZL32rocblas_syrkx_herkx_small_kernelIl19rocblas_complex_numIfELi16ELb0ELb1ELc78ELc76EKS1_S1_EviT_T0_PT6_S3_lS6_S3_lS4_PT7_S3_li: ; @_ZL32rocblas_syrkx_herkx_small_kernelIl19rocblas_complex_numIfELi16ELb0ELb1ELc78ELc76EKS1_S1_EviT_T0_PT6_S3_lS6_S3_lS4_PT7_S3_li
; %bb.0:
	s_clause 0x1
	s_load_b512 s[16:31], s[0:1], 0x8
	s_load_b32 s12, s[0:1], 0x0
	v_dual_mov_b32 v17, 0 :: v_dual_and_b32 v10, 0x3ff, v0
	v_bfe_u32 v11, v0, 10, 10
	v_mov_b32_e32 v16, 0
	s_delay_alu instid0(VALU_DEP_3) | instskip(NEXT) | instid1(VALU_DEP_3)
	v_lshl_add_u32 v0, s13, 4, v10
	v_lshl_add_u32 v2, s14, 4, v11
	s_delay_alu instid0(VALU_DEP_2) | instskip(NEXT) | instid1(VALU_DEP_2)
	v_ashrrev_i32_e32 v1, 31, v0
	v_ashrrev_i32_e32 v3, 31, v2
	s_waitcnt lgkmcnt(0)
	v_cmp_lt_i64_e64 s3, s[16:17], 1
	v_cmp_gt_i32_e64 s2, s12, v0
	s_delay_alu instid0(VALU_DEP_2)
	s_and_b32 vcc_lo, exec_lo, s3
	s_cbranch_vccnz .LBB1290_11
; %bb.1:
	v_mad_u64_u32 v[5:6], null, s28, v10, 0
	s_mul_i32 s3, s31, s15
	s_mul_hi_u32 s5, s30, s15
	s_mul_i32 s4, s30, s15
	s_add_i32 s5, s5, s3
	v_lshlrev_b64 v[16:17], 3, v[2:3]
	s_lshl_b64 s[4:5], s[4:5], 3
	s_delay_alu instid0(VALU_DEP_2)
	v_mad_u64_u32 v[7:8], null, s29, v10, v[6:7]
	v_mad_u64_u32 v[8:9], null, s22, v11, 0
	v_mov_b32_e32 v4, 0
	s_mul_i32 s7, s25, s15
	s_mul_hi_u32 s8, s24, s15
	s_mul_i32 s6, s24, s15
	s_delay_alu instid0(VALU_DEP_3) | instskip(SKIP_1) | instid1(VALU_DEP_3)
	v_mov_b32_e32 v6, v7
	s_add_i32 s7, s8, s7
	v_dual_mov_b32 v7, v9 :: v_dual_lshlrev_b32 v12, 3, v10
	v_cmp_gt_i32_e32 vcc_lo, s12, v2
	s_mov_b64 s[8:9], 0
	s_xor_b32 s2, s2, -1
	s_delay_alu instid0(VALU_DEP_2) | instskip(NEXT) | instid1(VALU_DEP_1)
	v_mad_u64_u32 v[18:19], null, s23, v11, v[7:8]
	v_dual_mov_b32 v9, v18 :: v_dual_lshlrev_b32 v14, 7, v11
	s_delay_alu instid0(VALU_DEP_1) | instskip(SKIP_1) | instid1(VALU_DEP_1)
	v_add_nc_u32_e32 v13, 0x800, v14
	v_lshlrev_b64 v[5:6], 3, v[5:6]
	v_add_co_u32 v5, s3, s4, v5
	s_delay_alu instid0(VALU_DEP_1) | instskip(SKIP_1) | instid1(VALU_DEP_2)
	v_add_co_ci_u32_e64 v6, s3, s5, v6, s3
	s_lshl_b64 s[4:5], s[6:7], 3
	v_add_co_u32 v7, s3, v5, v16
	s_delay_alu instid0(VALU_DEP_1) | instskip(SKIP_1) | instid1(VALU_DEP_3)
	v_add_co_ci_u32_e64 v16, s3, v6, v17, s3
	v_lshlrev_b64 v[5:6], 3, v[8:9]
	v_add_co_u32 v7, s3, v7, s26
	s_delay_alu instid0(VALU_DEP_1) | instskip(SKIP_1) | instid1(VALU_DEP_4)
	v_add_co_ci_u32_e64 v16, s3, s27, v16, s3
	v_lshlrev_b64 v[8:9], 3, v[0:1]
	v_add_co_u32 v5, s3, s4, v5
	s_delay_alu instid0(VALU_DEP_1) | instskip(SKIP_1) | instid1(VALU_DEP_1)
	v_add_co_ci_u32_e64 v17, s3, s5, v6, s3
	v_add_co_u32 v6, s3, v7, 4
	v_add_co_ci_u32_e64 v7, s3, 0, v16, s3
	s_delay_alu instid0(VALU_DEP_4) | instskip(NEXT) | instid1(VALU_DEP_1)
	v_add_co_u32 v5, s3, v5, v8
	v_add_co_ci_u32_e64 v9, s3, v17, v9, s3
	v_mov_b32_e32 v16, 0
	s_delay_alu instid0(VALU_DEP_3) | instskip(NEXT) | instid1(VALU_DEP_1)
	v_add_co_u32 v8, s3, s20, v5
	v_add_co_ci_u32_e64 v9, s3, s21, v9, s3
	v_dual_mov_b32 v17, 0 :: v_dual_add_nc_u32 v14, v12, v14
	v_add_nc_u32_e32 v15, v13, v12
	s_lshl_b64 s[4:5], s[28:29], 7
	s_lshl_b64 s[6:7], s[22:23], 7
	s_xor_b32 s3, vcc_lo, -1
	s_branch .LBB1290_3
.LBB1290_2:                             ;   in Loop: Header=BB1290_3 Depth=1
	s_or_b32 exec_lo, exec_lo, s10
	ds_store_b32 v15, v5 offset:4
	s_waitcnt lgkmcnt(0)
	s_barrier
	buffer_gl0_inv
	ds_load_2addr_b64 v[18:21], v12 offset1:16
	ds_load_b128 v[22:25], v13
	ds_load_b128 v[26:29], v13 offset:16
	ds_load_2addr_b64 v[30:33], v12 offset0:32 offset1:48
	ds_load_2addr_b64 v[34:37], v12 offset0:64 offset1:80
	ds_load_b128 v[38:41], v13 offset:32
	ds_load_b128 v[42:45], v13 offset:48
	ds_load_2addr_b64 v[46:49], v12 offset0:96 offset1:112
	ds_load_2addr_b64 v[50:53], v12 offset0:128 offset1:144
	;; [unrolled: 1-line block ×3, first 2 shown]
	ds_load_b128 v[58:61], v13 offset:64
	ds_load_b128 v[62:65], v13 offset:80
	s_add_u32 s8, s8, 16
	s_addc_u32 s9, s9, 0
	v_add_co_u32 v6, vcc_lo, v6, s4
	v_cmp_ge_i64_e64 s10, s[8:9], s[16:17]
	v_add_co_ci_u32_e32 v7, vcc_lo, s5, v7, vcc_lo
	v_add_co_u32 v8, vcc_lo, v8, s6
	s_waitcnt lgkmcnt(10)
	v_dual_mul_f32 v5, v23, v19 :: v_dual_mul_f32 v66, v25, v21
	s_waitcnt lgkmcnt(8)
	v_dual_mul_f32 v19, v22, v19 :: v_dual_mul_f32 v68, v29, v33
	v_mul_f32_e32 v21, v24, v21
	s_delay_alu instid0(VALU_DEP_3) | instskip(SKIP_1) | instid1(VALU_DEP_3)
	v_fma_f32 v5, v22, v18, -v5
	s_waitcnt lgkmcnt(6)
	v_dual_mul_f32 v22, v38, v35 :: v_dual_fmac_f32 v19, v23, v18
	v_fma_f32 v18, v24, v20, -v66
	v_fmac_f32_e32 v21, v25, v20
	v_add_f32_e32 v5, v17, v5
	v_fma_f32 v20, v28, v32, -v68
	v_add_f32_e32 v16, v16, v19
	v_mul_f32_e32 v67, v27, v31
	v_mul_f32_e32 v31, v26, v31
	v_add_f32_e32 v5, v5, v18
	s_waitcnt lgkmcnt(4)
	v_dual_mul_f32 v33, v28, v33 :: v_dual_mul_f32 v18, v43, v47
	v_add_f32_e32 v16, v16, v21
	v_fma_f32 v19, v26, v30, -v67
	v_mul_f32_e32 v17, v40, v37
	s_waitcnt lgkmcnt(1)
	v_dual_fmac_f32 v33, v29, v32 :: v_dual_mul_f32 v24, v58, v51
	v_fma_f32 v18, v42, v46, -v18
	v_add_f32_e32 v5, v5, v19
	v_dual_mul_f32 v25, v61, v53 :: v_dual_fmac_f32 v22, v39, v34
	s_delay_alu instid0(VALU_DEP_4) | instskip(SKIP_1) | instid1(VALU_DEP_4)
	v_fmac_f32_e32 v24, v59, v50
	v_add_co_ci_u32_e32 v9, vcc_lo, s7, v9, vcc_lo
	v_add_f32_e32 v5, v5, v20
	v_dual_mul_f32 v20, v45, v49 :: v_dual_fmac_f32 v31, v27, v30
	v_fma_f32 v25, v60, v52, -v25
	s_and_b32 vcc_lo, exec_lo, s10
	s_waitcnt lgkmcnt(0)
	v_mul_f32_e32 v32, v62, v55
	v_add_f32_e32 v16, v16, v31
	v_mul_f32_e32 v69, v39, v35
	s_delay_alu instid0(VALU_DEP_3) | instskip(NEXT) | instid1(VALU_DEP_3)
	v_dual_mul_f32 v35, v41, v37 :: v_dual_fmac_f32 v32, v63, v54
	v_add_f32_e32 v16, v16, v33
	s_delay_alu instid0(VALU_DEP_3) | instskip(NEXT) | instid1(VALU_DEP_3)
	v_fma_f32 v21, v38, v34, -v69
	v_fma_f32 v23, v40, v36, -v35
	s_delay_alu instid0(VALU_DEP_3) | instskip(NEXT) | instid1(VALU_DEP_3)
	v_dual_mul_f32 v35, v65, v57 :: v_dual_add_f32 v16, v16, v22
	v_add_f32_e32 v5, v5, v21
	v_dual_mul_f32 v21, v44, v49 :: v_dual_mul_f32 v22, v59, v51
	v_dual_fmac_f32 v17, v41, v36 :: v_dual_mul_f32 v36, v64, v57
	v_mul_f32_e32 v27, v60, v53
	s_delay_alu instid0(VALU_DEP_3) | instskip(NEXT) | instid1(VALU_DEP_3)
	v_fmac_f32_e32 v21, v45, v48
	v_dual_mul_f32 v19, v42, v47 :: v_dual_add_f32 v16, v16, v17
	v_fma_f32 v17, v44, v48, -v20
	v_fmac_f32_e32 v36, v65, v56
	v_fmac_f32_e32 v27, v61, v52
	s_delay_alu instid0(VALU_DEP_4) | instskip(NEXT) | instid1(VALU_DEP_1)
	v_fmac_f32_e32 v19, v43, v46
	v_add_f32_e32 v16, v16, v19
	s_delay_alu instid0(VALU_DEP_1) | instskip(NEXT) | instid1(VALU_DEP_1)
	v_add_f32_e32 v26, v16, v21
	v_dual_add_f32 v24, v26, v24 :: v_dual_add_f32 v5, v5, v23
	v_mul_f32_e32 v26, v63, v55
	s_delay_alu instid0(VALU_DEP_2) | instskip(NEXT) | instid1(VALU_DEP_2)
	v_add_f32_e32 v33, v24, v27
	v_fma_f32 v34, v62, v54, -v26
	s_delay_alu instid0(VALU_DEP_2) | instskip(SKIP_3) | instid1(VALU_DEP_3)
	v_add_f32_e32 v32, v33, v32
	v_add_f32_e32 v5, v5, v18
	v_fma_f32 v18, v58, v50, -v22
	v_fma_f32 v33, v64, v56, -v35
	v_dual_add_f32 v32, v32, v36 :: v_dual_add_f32 v5, v5, v17
	s_delay_alu instid0(VALU_DEP_1)
	v_add_f32_e32 v5, v5, v18
	ds_load_2addr_b64 v[16:19], v12 offset0:192 offset1:208
	ds_load_b128 v[20:23], v13 offset:96
	v_add_f32_e32 v5, v5, v25
	ds_load_2addr_b64 v[24:27], v12 offset0:224 offset1:240
	ds_load_b128 v[28:31], v13 offset:112
	s_waitcnt lgkmcnt(0)
	s_barrier
	buffer_gl0_inv
	v_add_f32_e32 v5, v5, v34
	s_delay_alu instid0(VALU_DEP_1) | instskip(SKIP_2) | instid1(VALU_DEP_2)
	v_add_f32_e32 v5, v5, v33
	v_mul_f32_e32 v34, v21, v17
	v_mul_f32_e32 v17, v20, v17
	v_fma_f32 v20, v20, v16, -v34
	s_delay_alu instid0(VALU_DEP_1) | instskip(NEXT) | instid1(VALU_DEP_1)
	v_dual_add_f32 v5, v5, v20 :: v_dual_mul_f32 v20, v28, v25
	v_fmac_f32_e32 v20, v29, v24
	s_delay_alu instid0(VALU_DEP_4) | instskip(SKIP_1) | instid1(VALU_DEP_2)
	v_dual_fmac_f32 v17, v21, v16 :: v_dual_mul_f32 v16, v23, v19
	v_mul_f32_e32 v19, v22, v19
	v_add_f32_e32 v17, v32, v17
	s_delay_alu instid0(VALU_DEP_3) | instskip(NEXT) | instid1(VALU_DEP_3)
	v_fma_f32 v16, v22, v18, -v16
	v_dual_fmac_f32 v19, v23, v18 :: v_dual_mul_f32 v18, v29, v25
	s_delay_alu instid0(VALU_DEP_2) | instskip(NEXT) | instid1(VALU_DEP_2)
	v_add_f32_e32 v5, v5, v16
	v_add_f32_e32 v16, v17, v19
	s_delay_alu instid0(VALU_DEP_3) | instskip(SKIP_2) | instid1(VALU_DEP_3)
	v_fma_f32 v17, v28, v24, -v18
	v_mul_f32_e32 v18, v31, v27
	v_mul_f32_e32 v19, v30, v27
	v_add_f32_e32 v5, v5, v17
	s_delay_alu instid0(VALU_DEP_3) | instskip(NEXT) | instid1(VALU_DEP_3)
	v_fma_f32 v17, v30, v26, -v18
	v_dual_fmac_f32 v19, v31, v26 :: v_dual_add_f32 v16, v16, v20
	s_delay_alu instid0(VALU_DEP_1)
	v_dual_add_f32 v17, v5, v17 :: v_dual_add_f32 v16, v16, v19
	s_cbranch_vccnz .LBB1290_11
.LBB1290_3:                             ; =>This Inner Loop Header: Depth=1
	v_add_co_u32 v18, s10, v11, s8
	s_delay_alu instid0(VALU_DEP_1) | instskip(NEXT) | instid1(VALU_DEP_1)
	v_add_co_ci_u32_e64 v19, null, 0, s9, s10
	v_cmp_le_i64_e32 vcc_lo, s[16:17], v[18:19]
	s_or_b32 s10, s2, vcc_lo
	s_delay_alu instid0(SALU_CYCLE_1) | instskip(NEXT) | instid1(SALU_CYCLE_1)
	s_and_saveexec_b32 s11, s10
	s_xor_b32 s10, exec_lo, s11
	s_cbranch_execz .LBB1290_5
; %bb.4:                                ;   in Loop: Header=BB1290_3 Depth=1
	v_mov_b32_e32 v5, v4
	ds_store_b64 v14, v[4:5]
.LBB1290_5:                             ;   in Loop: Header=BB1290_3 Depth=1
	s_and_not1_saveexec_b32 s10, s10
	s_cbranch_execz .LBB1290_7
; %bb.6:                                ;   in Loop: Header=BB1290_3 Depth=1
	global_load_b64 v[18:19], v[8:9], off
	s_waitcnt vmcnt(0)
	ds_store_b64 v14, v[18:19]
.LBB1290_7:                             ;   in Loop: Header=BB1290_3 Depth=1
	s_or_b32 exec_lo, exec_lo, s10
	v_add_co_u32 v18, s10, v10, s8
	s_delay_alu instid0(VALU_DEP_1) | instskip(NEXT) | instid1(VALU_DEP_1)
	v_add_co_ci_u32_e64 v19, null, 0, s9, s10
                                        ; implicit-def: $sgpr11
	v_cmp_le_i64_e32 vcc_lo, s[16:17], v[18:19]
	s_or_b32 s10, s3, vcc_lo
	s_delay_alu instid0(SALU_CYCLE_1) | instskip(NEXT) | instid1(SALU_CYCLE_1)
	s_and_saveexec_b32 s13, s10
	s_xor_b32 s10, exec_lo, s13
	s_cbranch_execz .LBB1290_9
; %bb.8:                                ;   in Loop: Header=BB1290_3 Depth=1
	s_mov_b32 s11, 0
	ds_store_b32 v15, v4
.LBB1290_9:                             ;   in Loop: Header=BB1290_3 Depth=1
	s_or_saveexec_b32 s10, s10
	v_mov_b32_e32 v5, s11
	s_xor_b32 exec_lo, exec_lo, s10
	s_cbranch_execz .LBB1290_2
; %bb.10:                               ;   in Loop: Header=BB1290_3 Depth=1
	global_load_b64 v[18:19], v[6:7], off offset:-4
	s_waitcnt vmcnt(0)
	v_xor_b32_e32 v5, 0x80000000, v19
	ds_store_b32 v15, v18
	s_branch .LBB1290_2
.LBB1290_11:
	s_load_b256 s[4:11], s[0:1], 0x48
	v_cmp_le_i32_e32 vcc_lo, v2, v0
	v_cmp_gt_i32_e64 s0, s12, v0
	s_delay_alu instid0(VALU_DEP_1) | instskip(NEXT) | instid1(SALU_CYCLE_1)
	s_and_b32 s0, vcc_lo, s0
	s_and_saveexec_b32 s1, s0
	s_cbranch_execz .LBB1290_14
; %bb.12:
	s_waitcnt lgkmcnt(0)
	v_mul_lo_u32 v5, v2, s9
	v_mul_lo_u32 v6, v3, s8
	v_mad_u64_u32 v[3:4], null, v2, s8, 0
	s_mul_i32 s1, s15, s11
	s_mul_hi_u32 s2, s15, s10
	s_mul_i32 s0, s15, s10
	s_add_i32 s1, s2, s1
	s_delay_alu instid0(SALU_CYCLE_1) | instskip(NEXT) | instid1(VALU_DEP_1)
	s_lshl_b64 s[0:1], s[0:1], 3
	v_add3_u32 v4, v4, v5, v6
	s_add_u32 s0, s6, s0
	v_lshlrev_b64 v[5:6], 3, v[0:1]
	s_addc_u32 s1, s7, s1
	s_delay_alu instid0(VALU_DEP_2) | instskip(NEXT) | instid1(VALU_DEP_1)
	v_lshlrev_b64 v[3:4], 3, v[3:4]
	v_add_co_u32 v1, vcc_lo, s0, v3
	s_delay_alu instid0(VALU_DEP_2) | instskip(NEXT) | instid1(VALU_DEP_2)
	v_add_co_ci_u32_e32 v4, vcc_lo, s1, v4, vcc_lo
	v_add_co_u32 v3, vcc_lo, v1, v5
	s_delay_alu instid0(VALU_DEP_2)
	v_add_co_ci_u32_e32 v4, vcc_lo, v4, v6, vcc_lo
	v_cmp_eq_u32_e32 vcc_lo, v0, v2
	global_load_b64 v[5:6], v[3:4], off
	v_mul_f32_e32 v1, s19, v16
	s_waitcnt vmcnt(0)
	v_dual_mul_f32 v7, s18, v16 :: v_dual_mul_f32 v8, s5, v6
	v_mul_f32_e32 v6, s4, v6
	s_delay_alu instid0(VALU_DEP_3) | instskip(NEXT) | instid1(VALU_DEP_3)
	v_fma_f32 v1, v17, s18, -v1
	v_fmac_f32_e32 v7, s19, v17
	s_delay_alu instid0(VALU_DEP_4) | instskip(NEXT) | instid1(VALU_DEP_1)
	v_fma_f32 v8, v5, s4, -v8
	v_dual_fmac_f32 v6, s5, v5 :: v_dual_add_f32 v5, v1, v8
	s_delay_alu instid0(VALU_DEP_1)
	v_add_f32_e32 v6, v7, v6
	global_store_b64 v[3:4], v[5:6], off
	s_and_b32 exec_lo, exec_lo, vcc_lo
	s_cbranch_execz .LBB1290_14
; %bb.13:
	v_mov_b32_e32 v0, 0
	global_store_b32 v[3:4], v0, off offset:4
.LBB1290_14:
	s_nop 0
	s_sendmsg sendmsg(MSG_DEALLOC_VGPRS)
	s_endpgm
	.section	.rodata,"a",@progbits
	.p2align	6, 0x0
	.amdhsa_kernel _ZL32rocblas_syrkx_herkx_small_kernelIl19rocblas_complex_numIfELi16ELb0ELb1ELc78ELc76EKS1_S1_EviT_T0_PT6_S3_lS6_S3_lS4_PT7_S3_li
		.amdhsa_group_segment_fixed_size 4096
		.amdhsa_private_segment_fixed_size 0
		.amdhsa_kernarg_size 108
		.amdhsa_user_sgpr_count 13
		.amdhsa_user_sgpr_dispatch_ptr 0
		.amdhsa_user_sgpr_queue_ptr 0
		.amdhsa_user_sgpr_kernarg_segment_ptr 1
		.amdhsa_user_sgpr_dispatch_id 0
		.amdhsa_user_sgpr_private_segment_size 0
		.amdhsa_wavefront_size32 1
		.amdhsa_uses_dynamic_stack 0
		.amdhsa_enable_private_segment 0
		.amdhsa_system_sgpr_workgroup_id_x 1
		.amdhsa_system_sgpr_workgroup_id_y 1
		.amdhsa_system_sgpr_workgroup_id_z 1
		.amdhsa_system_sgpr_workgroup_info 0
		.amdhsa_system_vgpr_workitem_id 1
		.amdhsa_next_free_vgpr 70
		.amdhsa_next_free_sgpr 32
		.amdhsa_reserve_vcc 1
		.amdhsa_float_round_mode_32 0
		.amdhsa_float_round_mode_16_64 0
		.amdhsa_float_denorm_mode_32 3
		.amdhsa_float_denorm_mode_16_64 3
		.amdhsa_dx10_clamp 1
		.amdhsa_ieee_mode 1
		.amdhsa_fp16_overflow 0
		.amdhsa_workgroup_processor_mode 1
		.amdhsa_memory_ordered 1
		.amdhsa_forward_progress 0
		.amdhsa_shared_vgpr_count 0
		.amdhsa_exception_fp_ieee_invalid_op 0
		.amdhsa_exception_fp_denorm_src 0
		.amdhsa_exception_fp_ieee_div_zero 0
		.amdhsa_exception_fp_ieee_overflow 0
		.amdhsa_exception_fp_ieee_underflow 0
		.amdhsa_exception_fp_ieee_inexact 0
		.amdhsa_exception_int_div_zero 0
	.end_amdhsa_kernel
	.section	.text._ZL32rocblas_syrkx_herkx_small_kernelIl19rocblas_complex_numIfELi16ELb0ELb1ELc78ELc76EKS1_S1_EviT_T0_PT6_S3_lS6_S3_lS4_PT7_S3_li,"axG",@progbits,_ZL32rocblas_syrkx_herkx_small_kernelIl19rocblas_complex_numIfELi16ELb0ELb1ELc78ELc76EKS1_S1_EviT_T0_PT6_S3_lS6_S3_lS4_PT7_S3_li,comdat
.Lfunc_end1290:
	.size	_ZL32rocblas_syrkx_herkx_small_kernelIl19rocblas_complex_numIfELi16ELb0ELb1ELc78ELc76EKS1_S1_EviT_T0_PT6_S3_lS6_S3_lS4_PT7_S3_li, .Lfunc_end1290-_ZL32rocblas_syrkx_herkx_small_kernelIl19rocblas_complex_numIfELi16ELb0ELb1ELc78ELc76EKS1_S1_EviT_T0_PT6_S3_lS6_S3_lS4_PT7_S3_li
                                        ; -- End function
	.section	.AMDGPU.csdata,"",@progbits
; Kernel info:
; codeLenInByte = 1672
; NumSgprs: 34
; NumVgprs: 70
; ScratchSize: 0
; MemoryBound: 1
; FloatMode: 240
; IeeeMode: 1
; LDSByteSize: 4096 bytes/workgroup (compile time only)
; SGPRBlocks: 4
; VGPRBlocks: 8
; NumSGPRsForWavesPerEU: 34
; NumVGPRsForWavesPerEU: 70
; Occupancy: 16
; WaveLimiterHint : 0
; COMPUTE_PGM_RSRC2:SCRATCH_EN: 0
; COMPUTE_PGM_RSRC2:USER_SGPR: 13
; COMPUTE_PGM_RSRC2:TRAP_HANDLER: 0
; COMPUTE_PGM_RSRC2:TGID_X_EN: 1
; COMPUTE_PGM_RSRC2:TGID_Y_EN: 1
; COMPUTE_PGM_RSRC2:TGID_Z_EN: 1
; COMPUTE_PGM_RSRC2:TIDIG_COMP_CNT: 1
	.section	.text._ZL32rocblas_syrkx_herkx_small_kernelIl19rocblas_complex_numIfELi16ELb0ELb1ELc84ELc85EKS1_S1_EviT_T0_PT6_S3_lS6_S3_lS4_PT7_S3_li,"axG",@progbits,_ZL32rocblas_syrkx_herkx_small_kernelIl19rocblas_complex_numIfELi16ELb0ELb1ELc84ELc85EKS1_S1_EviT_T0_PT6_S3_lS6_S3_lS4_PT7_S3_li,comdat
	.globl	_ZL32rocblas_syrkx_herkx_small_kernelIl19rocblas_complex_numIfELi16ELb0ELb1ELc84ELc85EKS1_S1_EviT_T0_PT6_S3_lS6_S3_lS4_PT7_S3_li ; -- Begin function _ZL32rocblas_syrkx_herkx_small_kernelIl19rocblas_complex_numIfELi16ELb0ELb1ELc84ELc85EKS1_S1_EviT_T0_PT6_S3_lS6_S3_lS4_PT7_S3_li
	.p2align	8
	.type	_ZL32rocblas_syrkx_herkx_small_kernelIl19rocblas_complex_numIfELi16ELb0ELb1ELc84ELc85EKS1_S1_EviT_T0_PT6_S3_lS6_S3_lS4_PT7_S3_li,@function
_ZL32rocblas_syrkx_herkx_small_kernelIl19rocblas_complex_numIfELi16ELb0ELb1ELc84ELc85EKS1_S1_EviT_T0_PT6_S3_lS6_S3_lS4_PT7_S3_li: ; @_ZL32rocblas_syrkx_herkx_small_kernelIl19rocblas_complex_numIfELi16ELb0ELb1ELc84ELc85EKS1_S1_EviT_T0_PT6_S3_lS6_S3_lS4_PT7_S3_li
; %bb.0:
	s_clause 0x1
	s_load_b512 s[16:31], s[0:1], 0x8
	s_load_b32 s12, s[0:1], 0x0
	v_dual_mov_b32 v17, 0 :: v_dual_and_b32 v10, 0x3ff, v0
	v_bfe_u32 v11, v0, 10, 10
	v_mov_b32_e32 v16, 0
	s_delay_alu instid0(VALU_DEP_3) | instskip(NEXT) | instid1(VALU_DEP_3)
	v_lshl_add_u32 v0, s13, 4, v10
	v_lshl_add_u32 v8, s14, 4, v11
	s_delay_alu instid0(VALU_DEP_2) | instskip(NEXT) | instid1(VALU_DEP_2)
	v_ashrrev_i32_e32 v1, 31, v0
	v_ashrrev_i32_e32 v9, 31, v8
	s_waitcnt lgkmcnt(0)
	v_cmp_lt_i64_e64 s3, s[16:17], 1
	v_cmp_gt_i32_e64 s2, s12, v8
	s_delay_alu instid0(VALU_DEP_2)
	s_and_b32 vcc_lo, exec_lo, s3
	s_cbranch_vccnz .LBB1291_11
; %bb.1:
	v_mul_lo_u32 v15, s29, v8
	v_mul_lo_u32 v16, s28, v9
	v_mad_u64_u32 v[3:4], null, s28, v8, 0
	v_mul_lo_u32 v17, s23, v0
	v_mul_lo_u32 v18, s22, v1
	v_mad_u64_u32 v[5:6], null, s22, v0, 0
	s_mul_i32 s3, s31, s15
	s_mul_hi_u32 s4, s30, s15
	s_delay_alu instid0(VALU_DEP_4) | instskip(SKIP_3) | instid1(VALU_DEP_2)
	v_add3_u32 v4, v4, v16, v15
	s_add_i32 s5, s4, s3
	s_mul_i32 s4, s30, s15
	s_mul_i32 s3, s25, s15
	v_add3_u32 v6, v6, v18, v17
	v_lshlrev_b64 v[3:4], 3, v[3:4]
	s_lshl_b64 s[4:5], s[4:5], 3
	s_mul_hi_u32 s6, s24, s15
	v_dual_mov_b32 v2, 0 :: v_dual_lshlrev_b32 v7, 7, v11
	v_lshlrev_b64 v[5:6], 3, v[5:6]
	v_lshlrev_b32_e32 v12, 3, v10
	s_add_i32 s7, s6, s3
	s_mul_i32 s6, s24, s15
	v_add_co_u32 v3, s3, v3, s4
	s_delay_alu instid0(VALU_DEP_1)
	v_add_co_ci_u32_e64 v4, s3, s5, v4, s3
	s_lshl_b64 s[4:5], s[6:7], 3
	v_add_nc_u32_e32 v13, 0x800, v7
	v_add_co_u32 v5, s3, v5, s4
	v_add_nc_u32_e32 v14, v12, v7
	v_lshlrev_b32_e32 v7, 3, v11
	v_add_co_ci_u32_e64 v6, s3, s5, v6, s3
	v_add_co_u32 v3, s3, v3, v12
	s_delay_alu instid0(VALU_DEP_1) | instskip(NEXT) | instid1(VALU_DEP_4)
	v_add_co_ci_u32_e64 v16, s3, 0, v4, s3
	v_add_co_u32 v7, s3, v5, v7
	s_delay_alu instid0(VALU_DEP_1) | instskip(NEXT) | instid1(VALU_DEP_4)
	v_add_co_ci_u32_e64 v17, s3, 0, v6, s3
	v_add_co_u32 v4, s3, s26, v3
	s_delay_alu instid0(VALU_DEP_1) | instskip(SKIP_3) | instid1(VALU_DEP_1)
	v_add_co_ci_u32_e64 v5, s3, s27, v16, s3
	v_mov_b32_e32 v16, 0
	v_cmp_gt_i32_e32 vcc_lo, s12, v0
	v_add_co_u32 v6, s3, s20, v7
	v_add_co_ci_u32_e64 v7, s3, s21, v17, s3
	v_mov_b32_e32 v17, 0
	v_add_nc_u32_e32 v15, v13, v12
	s_mov_b64 s[4:5], 0
	s_xor_b32 s3, vcc_lo, -1
	s_xor_b32 s2, s2, -1
	s_branch .LBB1291_3
.LBB1291_2:                             ;   in Loop: Header=BB1291_3 Depth=1
	s_or_b32 exec_lo, exec_lo, s6
	s_waitcnt lgkmcnt(0)
	s_barrier
	buffer_gl0_inv
	ds_load_2addr_b64 v[18:21], v12 offset1:16
	ds_load_b128 v[22:25], v13
	ds_load_b128 v[26:29], v13 offset:16
	ds_load_2addr_b64 v[30:33], v12 offset0:32 offset1:48
	ds_load_2addr_b64 v[34:37], v12 offset0:64 offset1:80
	ds_load_b128 v[38:41], v13 offset:32
	ds_load_b128 v[42:45], v13 offset:48
	ds_load_2addr_b64 v[46:49], v12 offset0:96 offset1:112
	ds_load_2addr_b64 v[50:53], v12 offset0:128 offset1:144
	;; [unrolled: 1-line block ×3, first 2 shown]
	ds_load_b128 v[58:61], v13 offset:64
	ds_load_b128 v[62:65], v13 offset:80
	s_add_u32 s4, s4, 16
	s_addc_u32 s5, s5, 0
	v_add_co_u32 v4, vcc_lo, 0x80, v4
	v_cmp_ge_i64_e64 s6, s[4:5], s[16:17]
	v_add_co_ci_u32_e32 v5, vcc_lo, 0, v5, vcc_lo
	v_add_co_u32 v6, vcc_lo, 0x80, v6
	s_waitcnt lgkmcnt(10)
	v_dual_mul_f32 v3, v23, v19 :: v_dual_mul_f32 v66, v25, v21
	s_waitcnt lgkmcnt(8)
	v_dual_mul_f32 v19, v22, v19 :: v_dual_mul_f32 v68, v29, v33
	v_mul_f32_e32 v21, v24, v21
	v_mul_f32_e32 v67, v27, v31
	;; [unrolled: 1-line block ×3, first 2 shown]
	s_delay_alu instid0(VALU_DEP_4)
	v_fmac_f32_e32 v19, v23, v18
	v_fma_f32 v3, v22, v18, -v3
	s_waitcnt lgkmcnt(6)
	v_dual_fmac_f32 v21, v25, v20 :: v_dual_mul_f32 v18, v40, v37
	v_mul_f32_e32 v33, v28, v33
	v_add_f32_e32 v16, v16, v19
	v_mul_f32_e32 v69, v39, v35
	v_fmac_f32_e32 v31, v27, v30
	v_fma_f32 v23, v24, v20, -v66
	v_fmac_f32_e32 v18, v41, v36
	v_dual_add_f32 v16, v16, v21 :: v_dual_fmac_f32 v33, v29, v32
	s_waitcnt lgkmcnt(1)
	v_mul_f32_e32 v24, v58, v51
	v_mul_f32_e32 v20, v42, v47
	v_add_f32_e32 v3, v17, v3
	v_add_f32_e32 v16, v16, v31
	v_mul_f32_e32 v35, v38, v35
	v_fma_f32 v21, v28, v32, -v68
	s_waitcnt lgkmcnt(0)
	v_mul_f32_e32 v32, v62, v55
	v_mul_f32_e32 v22, v41, v37
	v_dual_add_f32 v16, v16, v33 :: v_dual_fmac_f32 v35, v39, v34
	v_fma_f32 v19, v26, v30, -v67
	v_dual_fmac_f32 v20, v43, v46 :: v_dual_mul_f32 v27, v60, v53
	s_delay_alu instid0(VALU_DEP_4) | instskip(NEXT) | instid1(VALU_DEP_4)
	v_fma_f32 v22, v40, v36, -v22
	v_add_f32_e32 v16, v16, v35
	v_mul_f32_e32 v17, v43, v47
	v_add_co_ci_u32_e32 v7, vcc_lo, 0, v7, vcc_lo
	v_fmac_f32_e32 v24, v59, v50
	s_delay_alu instid0(VALU_DEP_4) | instskip(SKIP_3) | instid1(VALU_DEP_4)
	v_dual_add_f32 v16, v16, v18 :: v_dual_add_f32 v3, v3, v23
	v_mul_f32_e32 v26, v61, v53
	v_fma_f32 v23, v38, v34, -v69
	v_fmac_f32_e32 v27, v61, v52
	v_dual_add_f32 v20, v16, v20 :: v_dual_add_f32 v3, v3, v19
	v_mul_f32_e32 v19, v45, v49
	v_fma_f32 v17, v42, v46, -v17
	v_fmac_f32_e32 v32, v63, v54
	s_and_b32 vcc_lo, exec_lo, s6
	v_add_f32_e32 v3, v3, v21
	v_mul_f32_e32 v21, v44, v49
	s_delay_alu instid0(VALU_DEP_1) | instskip(NEXT) | instid1(VALU_DEP_1)
	v_dual_mul_f32 v36, v64, v57 :: v_dual_fmac_f32 v21, v45, v48
	v_dual_fmac_f32 v36, v65, v56 :: v_dual_add_f32 v25, v20, v21
	s_delay_alu instid0(VALU_DEP_1) | instskip(SKIP_2) | instid1(VALU_DEP_3)
	v_dual_add_f32 v24, v25, v24 :: v_dual_add_f32 v3, v3, v23
	v_fma_f32 v25, v60, v52, -v26
	v_mul_f32_e32 v26, v63, v55
	v_add_f32_e32 v33, v24, v27
	s_delay_alu instid0(VALU_DEP_4) | instskip(SKIP_3) | instid1(VALU_DEP_4)
	v_add_f32_e32 v3, v3, v22
	v_mul_f32_e32 v23, v59, v51
	v_fma_f32 v22, v44, v48, -v19
	v_fma_f32 v34, v62, v54, -v26
	v_dual_add_f32 v32, v33, v32 :: v_dual_add_f32 v3, v3, v17
	ds_load_2addr_b64 v[16:19], v12 offset0:192 offset1:208
	v_fma_f32 v23, v58, v50, -v23
	v_dual_add_f32 v32, v32, v36 :: v_dual_add_f32 v3, v3, v22
	s_delay_alu instid0(VALU_DEP_1)
	v_add_f32_e32 v3, v3, v23
	ds_load_b128 v[20:23], v13 offset:96
	v_add_f32_e32 v3, v3, v25
	ds_load_2addr_b64 v[24:27], v12 offset0:224 offset1:240
	ds_load_b128 v[28:31], v13 offset:112
	v_mul_f32_e32 v35, v65, v57
	s_waitcnt lgkmcnt(0)
	s_barrier
	v_add_f32_e32 v3, v3, v34
	buffer_gl0_inv
	v_fma_f32 v33, v64, v56, -v35
	s_delay_alu instid0(VALU_DEP_1) | instskip(SKIP_2) | instid1(VALU_DEP_2)
	v_add_f32_e32 v3, v3, v33
	v_mul_f32_e32 v34, v21, v17
	v_mul_f32_e32 v17, v20, v17
	v_fma_f32 v20, v20, v16, -v34
	s_delay_alu instid0(VALU_DEP_2) | instskip(SKIP_1) | instid1(VALU_DEP_3)
	v_dual_fmac_f32 v17, v21, v16 :: v_dual_mul_f32 v16, v23, v19
	v_mul_f32_e32 v19, v22, v19
	v_add_f32_e32 v3, v3, v20
	s_delay_alu instid0(VALU_DEP_3) | instskip(NEXT) | instid1(VALU_DEP_4)
	v_add_f32_e32 v17, v32, v17
	v_fma_f32 v16, v22, v18, -v16
	s_delay_alu instid0(VALU_DEP_4) | instskip(NEXT) | instid1(VALU_DEP_2)
	v_dual_fmac_f32 v19, v23, v18 :: v_dual_mul_f32 v18, v29, v25
	v_dual_mul_f32 v20, v28, v25 :: v_dual_add_f32 v3, v3, v16
	s_delay_alu instid0(VALU_DEP_2) | instskip(NEXT) | instid1(VALU_DEP_3)
	v_add_f32_e32 v16, v17, v19
	v_fma_f32 v17, v28, v24, -v18
	s_delay_alu instid0(VALU_DEP_3) | instskip(SKIP_2) | instid1(VALU_DEP_3)
	v_fmac_f32_e32 v20, v29, v24
	v_mul_f32_e32 v18, v31, v27
	v_mul_f32_e32 v19, v30, v27
	v_dual_add_f32 v3, v3, v17 :: v_dual_add_f32 v16, v16, v20
	s_delay_alu instid0(VALU_DEP_3) | instskip(NEXT) | instid1(VALU_DEP_3)
	v_fma_f32 v17, v30, v26, -v18
	v_fmac_f32_e32 v19, v31, v26
	s_delay_alu instid0(VALU_DEP_1)
	v_dual_add_f32 v17, v3, v17 :: v_dual_add_f32 v16, v16, v19
	s_cbranch_vccnz .LBB1291_11
.LBB1291_3:                             ; =>This Inner Loop Header: Depth=1
	v_add_co_u32 v18, s6, v11, s4
	s_delay_alu instid0(VALU_DEP_1) | instskip(NEXT) | instid1(VALU_DEP_1)
	v_add_co_ci_u32_e64 v19, null, 0, s5, s6
	v_cmp_le_i64_e32 vcc_lo, s[16:17], v[18:19]
	s_or_b32 s6, s3, vcc_lo
	s_delay_alu instid0(SALU_CYCLE_1) | instskip(NEXT) | instid1(SALU_CYCLE_1)
	s_and_saveexec_b32 s7, s6
	s_xor_b32 s6, exec_lo, s7
	s_cbranch_execz .LBB1291_5
; %bb.4:                                ;   in Loop: Header=BB1291_3 Depth=1
	v_mov_b32_e32 v3, v2
	ds_store_b64 v14, v[2:3]
.LBB1291_5:                             ;   in Loop: Header=BB1291_3 Depth=1
	s_and_not1_saveexec_b32 s6, s6
	s_cbranch_execz .LBB1291_7
; %bb.6:                                ;   in Loop: Header=BB1291_3 Depth=1
	global_load_b64 v[18:19], v[6:7], off
	s_waitcnt vmcnt(0)
	ds_store_b64 v14, v[18:19]
.LBB1291_7:                             ;   in Loop: Header=BB1291_3 Depth=1
	s_or_b32 exec_lo, exec_lo, s6
	v_add_co_u32 v18, s6, v10, s4
	s_delay_alu instid0(VALU_DEP_1) | instskip(NEXT) | instid1(VALU_DEP_1)
	v_add_co_ci_u32_e64 v19, null, 0, s5, s6
	v_cmp_le_i64_e32 vcc_lo, s[16:17], v[18:19]
	s_or_b32 s6, s2, vcc_lo
	s_delay_alu instid0(SALU_CYCLE_1) | instskip(NEXT) | instid1(SALU_CYCLE_1)
	s_and_saveexec_b32 s7, s6
	s_xor_b32 s6, exec_lo, s7
	s_cbranch_execz .LBB1291_9
; %bb.8:                                ;   in Loop: Header=BB1291_3 Depth=1
	v_mov_b32_e32 v3, v2
	ds_store_b64 v15, v[2:3]
.LBB1291_9:                             ;   in Loop: Header=BB1291_3 Depth=1
	s_and_not1_saveexec_b32 s6, s6
	s_cbranch_execz .LBB1291_2
; %bb.10:                               ;   in Loop: Header=BB1291_3 Depth=1
	global_load_b64 v[18:19], v[4:5], off
	s_waitcnt vmcnt(0)
	ds_store_b64 v15, v[18:19]
	s_branch .LBB1291_2
.LBB1291_11:
	s_load_b256 s[4:11], s[0:1], 0x48
	v_cmp_le_i32_e32 vcc_lo, v0, v8
	v_cmp_gt_i32_e64 s0, s12, v8
	s_delay_alu instid0(VALU_DEP_1) | instskip(NEXT) | instid1(SALU_CYCLE_1)
	s_and_b32 s0, vcc_lo, s0
	s_and_saveexec_b32 s1, s0
	s_cbranch_execz .LBB1291_14
; %bb.12:
	s_waitcnt lgkmcnt(0)
	v_mul_lo_u32 v4, v8, s9
	v_mul_lo_u32 v5, v9, s8
	v_mad_u64_u32 v[2:3], null, v8, s8, 0
	s_mul_i32 s1, s15, s11
	s_mul_hi_u32 s2, s15, s10
	s_mul_i32 s0, s15, s10
	s_add_i32 s1, s2, s1
	s_delay_alu instid0(SALU_CYCLE_1) | instskip(NEXT) | instid1(VALU_DEP_1)
	s_lshl_b64 s[0:1], s[0:1], 3
	v_add3_u32 v3, v3, v4, v5
	s_add_u32 s0, s6, s0
	v_lshlrev_b64 v[4:5], 3, v[0:1]
	s_addc_u32 s1, s7, s1
	s_delay_alu instid0(VALU_DEP_2) | instskip(NEXT) | instid1(VALU_DEP_1)
	v_lshlrev_b64 v[2:3], 3, v[2:3]
	v_add_co_u32 v1, vcc_lo, s0, v2
	s_delay_alu instid0(VALU_DEP_2) | instskip(NEXT) | instid1(VALU_DEP_2)
	v_add_co_ci_u32_e32 v2, vcc_lo, s1, v3, vcc_lo
	v_add_co_u32 v1, vcc_lo, v1, v4
	s_delay_alu instid0(VALU_DEP_2)
	v_add_co_ci_u32_e32 v2, vcc_lo, v2, v5, vcc_lo
	v_cmp_eq_u32_e32 vcc_lo, v0, v8
	global_load_b64 v[3:4], v[1:2], off
	s_waitcnt vmcnt(0)
	v_mul_f32_e32 v7, s5, v4
	v_mul_f32_e32 v4, s4, v4
	s_delay_alu instid0(VALU_DEP_1) | instskip(NEXT) | instid1(VALU_DEP_3)
	v_fmac_f32_e32 v4, s5, v3
	v_fma_f32 v7, v3, s4, -v7
	v_mul_f32_e32 v6, s18, v16
	s_delay_alu instid0(VALU_DEP_1) | instskip(NEXT) | instid1(VALU_DEP_1)
	v_dual_mul_f32 v5, s19, v16 :: v_dual_fmac_f32 v6, s19, v17
	v_fma_f32 v5, v17, s18, -v5
	s_delay_alu instid0(VALU_DEP_1)
	v_dual_add_f32 v4, v6, v4 :: v_dual_add_f32 v3, v5, v7
	global_store_b64 v[1:2], v[3:4], off
	s_and_b32 exec_lo, exec_lo, vcc_lo
	s_cbranch_execz .LBB1291_14
; %bb.13:
	v_mov_b32_e32 v0, 0
	global_store_b32 v[1:2], v0, off offset:4
.LBB1291_14:
	s_nop 0
	s_sendmsg sendmsg(MSG_DEALLOC_VGPRS)
	s_endpgm
	.section	.rodata,"a",@progbits
	.p2align	6, 0x0
	.amdhsa_kernel _ZL32rocblas_syrkx_herkx_small_kernelIl19rocblas_complex_numIfELi16ELb0ELb1ELc84ELc85EKS1_S1_EviT_T0_PT6_S3_lS6_S3_lS4_PT7_S3_li
		.amdhsa_group_segment_fixed_size 4096
		.amdhsa_private_segment_fixed_size 0
		.amdhsa_kernarg_size 108
		.amdhsa_user_sgpr_count 13
		.amdhsa_user_sgpr_dispatch_ptr 0
		.amdhsa_user_sgpr_queue_ptr 0
		.amdhsa_user_sgpr_kernarg_segment_ptr 1
		.amdhsa_user_sgpr_dispatch_id 0
		.amdhsa_user_sgpr_private_segment_size 0
		.amdhsa_wavefront_size32 1
		.amdhsa_uses_dynamic_stack 0
		.amdhsa_enable_private_segment 0
		.amdhsa_system_sgpr_workgroup_id_x 1
		.amdhsa_system_sgpr_workgroup_id_y 1
		.amdhsa_system_sgpr_workgroup_id_z 1
		.amdhsa_system_sgpr_workgroup_info 0
		.amdhsa_system_vgpr_workitem_id 1
		.amdhsa_next_free_vgpr 70
		.amdhsa_next_free_sgpr 32
		.amdhsa_reserve_vcc 1
		.amdhsa_float_round_mode_32 0
		.amdhsa_float_round_mode_16_64 0
		.amdhsa_float_denorm_mode_32 3
		.amdhsa_float_denorm_mode_16_64 3
		.amdhsa_dx10_clamp 1
		.amdhsa_ieee_mode 1
		.amdhsa_fp16_overflow 0
		.amdhsa_workgroup_processor_mode 1
		.amdhsa_memory_ordered 1
		.amdhsa_forward_progress 0
		.amdhsa_shared_vgpr_count 0
		.amdhsa_exception_fp_ieee_invalid_op 0
		.amdhsa_exception_fp_denorm_src 0
		.amdhsa_exception_fp_ieee_div_zero 0
		.amdhsa_exception_fp_ieee_overflow 0
		.amdhsa_exception_fp_ieee_underflow 0
		.amdhsa_exception_fp_ieee_inexact 0
		.amdhsa_exception_int_div_zero 0
	.end_amdhsa_kernel
	.section	.text._ZL32rocblas_syrkx_herkx_small_kernelIl19rocblas_complex_numIfELi16ELb0ELb1ELc84ELc85EKS1_S1_EviT_T0_PT6_S3_lS6_S3_lS4_PT7_S3_li,"axG",@progbits,_ZL32rocblas_syrkx_herkx_small_kernelIl19rocblas_complex_numIfELi16ELb0ELb1ELc84ELc85EKS1_S1_EviT_T0_PT6_S3_lS6_S3_lS4_PT7_S3_li,comdat
.Lfunc_end1291:
	.size	_ZL32rocblas_syrkx_herkx_small_kernelIl19rocblas_complex_numIfELi16ELb0ELb1ELc84ELc85EKS1_S1_EviT_T0_PT6_S3_lS6_S3_lS4_PT7_S3_li, .Lfunc_end1291-_ZL32rocblas_syrkx_herkx_small_kernelIl19rocblas_complex_numIfELi16ELb0ELb1ELc84ELc85EKS1_S1_EviT_T0_PT6_S3_lS6_S3_lS4_PT7_S3_li
                                        ; -- End function
	.section	.AMDGPU.csdata,"",@progbits
; Kernel info:
; codeLenInByte = 1600
; NumSgprs: 34
; NumVgprs: 70
; ScratchSize: 0
; MemoryBound: 1
; FloatMode: 240
; IeeeMode: 1
; LDSByteSize: 4096 bytes/workgroup (compile time only)
; SGPRBlocks: 4
; VGPRBlocks: 8
; NumSGPRsForWavesPerEU: 34
; NumVGPRsForWavesPerEU: 70
; Occupancy: 16
; WaveLimiterHint : 0
; COMPUTE_PGM_RSRC2:SCRATCH_EN: 0
; COMPUTE_PGM_RSRC2:USER_SGPR: 13
; COMPUTE_PGM_RSRC2:TRAP_HANDLER: 0
; COMPUTE_PGM_RSRC2:TGID_X_EN: 1
; COMPUTE_PGM_RSRC2:TGID_Y_EN: 1
; COMPUTE_PGM_RSRC2:TGID_Z_EN: 1
; COMPUTE_PGM_RSRC2:TIDIG_COMP_CNT: 1
	.section	.text._ZL32rocblas_syrkx_herkx_small_kernelIl19rocblas_complex_numIfELi16ELb0ELb1ELc67ELc85EKS1_S1_EviT_T0_PT6_S3_lS6_S3_lS4_PT7_S3_li,"axG",@progbits,_ZL32rocblas_syrkx_herkx_small_kernelIl19rocblas_complex_numIfELi16ELb0ELb1ELc67ELc85EKS1_S1_EviT_T0_PT6_S3_lS6_S3_lS4_PT7_S3_li,comdat
	.globl	_ZL32rocblas_syrkx_herkx_small_kernelIl19rocblas_complex_numIfELi16ELb0ELb1ELc67ELc85EKS1_S1_EviT_T0_PT6_S3_lS6_S3_lS4_PT7_S3_li ; -- Begin function _ZL32rocblas_syrkx_herkx_small_kernelIl19rocblas_complex_numIfELi16ELb0ELb1ELc67ELc85EKS1_S1_EviT_T0_PT6_S3_lS6_S3_lS4_PT7_S3_li
	.p2align	8
	.type	_ZL32rocblas_syrkx_herkx_small_kernelIl19rocblas_complex_numIfELi16ELb0ELb1ELc67ELc85EKS1_S1_EviT_T0_PT6_S3_lS6_S3_lS4_PT7_S3_li,@function
_ZL32rocblas_syrkx_herkx_small_kernelIl19rocblas_complex_numIfELi16ELb0ELb1ELc67ELc85EKS1_S1_EviT_T0_PT6_S3_lS6_S3_lS4_PT7_S3_li: ; @_ZL32rocblas_syrkx_herkx_small_kernelIl19rocblas_complex_numIfELi16ELb0ELb1ELc67ELc85EKS1_S1_EviT_T0_PT6_S3_lS6_S3_lS4_PT7_S3_li
; %bb.0:
	s_clause 0x1
	s_load_b512 s[16:31], s[0:1], 0x8
	s_load_b32 s12, s[0:1], 0x0
	v_dual_mov_b32 v17, 0 :: v_dual_and_b32 v10, 0x3ff, v0
	v_bfe_u32 v11, v0, 10, 10
	v_mov_b32_e32 v16, 0
	s_delay_alu instid0(VALU_DEP_3) | instskip(NEXT) | instid1(VALU_DEP_3)
	v_lshl_add_u32 v0, s13, 4, v10
	v_lshl_add_u32 v8, s14, 4, v11
	s_delay_alu instid0(VALU_DEP_2) | instskip(NEXT) | instid1(VALU_DEP_2)
	v_ashrrev_i32_e32 v1, 31, v0
	v_ashrrev_i32_e32 v9, 31, v8
	s_waitcnt lgkmcnt(0)
	v_cmp_lt_i64_e64 s3, s[16:17], 1
	v_cmp_gt_i32_e64 s2, s12, v8
	s_delay_alu instid0(VALU_DEP_2)
	s_and_b32 vcc_lo, exec_lo, s3
	s_cbranch_vccnz .LBB1292_11
; %bb.1:
	v_mul_lo_u32 v2, s29, v8
	v_mul_lo_u32 v5, s28, v9
	v_mad_u64_u32 v[3:4], null, s28, v8, 0
	v_mul_lo_u32 v16, s23, v0
	v_mul_lo_u32 v17, s22, v1
	s_mul_i32 s3, s31, s15
	s_mul_hi_u32 s4, s30, s15
	s_mul_hi_u32 s6, s24, s15
	s_add_i32 s5, s4, s3
	s_delay_alu instid0(VALU_DEP_3)
	v_add3_u32 v4, v4, v5, v2
	v_mad_u64_u32 v[5:6], null, s22, v0, 0
	s_mul_i32 s3, s25, s15
	v_dual_mov_b32 v2, 0 :: v_dual_lshlrev_b32 v7, 7, v11
	v_lshlrev_b32_e32 v12, 3, v10
	s_add_i32 s7, s6, s3
	s_mul_i32 s6, s24, s15
	s_delay_alu instid0(VALU_DEP_3)
	v_add3_u32 v6, v6, v17, v16
	v_lshlrev_b64 v[3:4], 3, v[3:4]
	s_lshl_b64 s[6:7], s[6:7], 3
	s_mul_i32 s4, s30, s15
	v_add_nc_u32_e32 v13, 0x800, v7
	v_lshlrev_b64 v[5:6], 3, v[5:6]
	v_add_nc_u32_e32 v14, v12, v7
	s_lshl_b64 s[4:5], s[4:5], 3
	v_lshlrev_b32_e32 v7, 3, v11
	v_cmp_gt_i32_e32 vcc_lo, s12, v0
	s_xor_b32 s2, s2, -1
	v_add_co_u32 v5, s3, v5, s6
	s_delay_alu instid0(VALU_DEP_1) | instskip(SKIP_1) | instid1(VALU_DEP_1)
	v_add_co_ci_u32_e64 v6, s3, s7, v6, s3
	v_add_co_u32 v3, s3, v3, s4
	v_add_co_ci_u32_e64 v4, s3, s5, v4, s3
	s_delay_alu instid0(VALU_DEP_4) | instskip(NEXT) | instid1(VALU_DEP_1)
	v_add_co_u32 v5, s3, v5, v7
	v_add_co_ci_u32_e64 v6, s3, 0, v6, s3
	s_delay_alu instid0(VALU_DEP_4) | instskip(NEXT) | instid1(VALU_DEP_1)
	;; [unrolled: 3-line block ×4, first 2 shown]
	v_add_co_u32 v4, s3, s26, v3
	v_add_co_ci_u32_e64 v5, s3, s27, v7, s3
	s_delay_alu instid0(VALU_DEP_4)
	v_add_co_u32 v6, s3, v16, 4
	v_mov_b32_e32 v16, 0
	v_add_co_ci_u32_e64 v7, s3, 0, v17, s3
	v_mov_b32_e32 v17, 0
	v_add_nc_u32_e32 v15, v13, v12
	s_mov_b64 s[4:5], 0
	s_xor_b32 s3, vcc_lo, -1
	s_branch .LBB1292_3
.LBB1292_2:                             ;   in Loop: Header=BB1292_3 Depth=1
	s_or_b32 exec_lo, exec_lo, s6
	s_waitcnt lgkmcnt(0)
	s_barrier
	buffer_gl0_inv
	ds_load_2addr_b64 v[18:21], v12 offset1:16
	ds_load_b128 v[22:25], v13
	ds_load_b128 v[26:29], v13 offset:16
	ds_load_2addr_b64 v[30:33], v12 offset0:32 offset1:48
	ds_load_2addr_b64 v[34:37], v12 offset0:64 offset1:80
	ds_load_b128 v[38:41], v13 offset:32
	ds_load_b128 v[42:45], v13 offset:48
	ds_load_2addr_b64 v[46:49], v12 offset0:96 offset1:112
	ds_load_2addr_b64 v[50:53], v12 offset0:128 offset1:144
	;; [unrolled: 1-line block ×3, first 2 shown]
	ds_load_b128 v[58:61], v13 offset:64
	ds_load_b128 v[62:65], v13 offset:80
	s_add_u32 s4, s4, 16
	s_addc_u32 s5, s5, 0
	v_add_co_u32 v4, vcc_lo, 0x80, v4
	v_cmp_ge_i64_e64 s6, s[4:5], s[16:17]
	v_add_co_ci_u32_e32 v5, vcc_lo, 0, v5, vcc_lo
	v_add_co_u32 v6, vcc_lo, 0x80, v6
	s_waitcnt lgkmcnt(10)
	v_dual_mul_f32 v3, v23, v19 :: v_dual_mul_f32 v66, v25, v21
	s_waitcnt lgkmcnt(8)
	v_dual_mul_f32 v19, v22, v19 :: v_dual_mul_f32 v68, v29, v33
	v_mul_f32_e32 v21, v24, v21
	v_mul_f32_e32 v67, v27, v31
	;; [unrolled: 1-line block ×3, first 2 shown]
	s_delay_alu instid0(VALU_DEP_4)
	v_fmac_f32_e32 v19, v23, v18
	v_fma_f32 v3, v22, v18, -v3
	s_waitcnt lgkmcnt(6)
	v_dual_fmac_f32 v21, v25, v20 :: v_dual_mul_f32 v18, v40, v37
	v_mul_f32_e32 v33, v28, v33
	v_add_f32_e32 v16, v16, v19
	v_mul_f32_e32 v69, v39, v35
	v_fmac_f32_e32 v31, v27, v30
	v_fma_f32 v23, v24, v20, -v66
	v_fmac_f32_e32 v18, v41, v36
	v_dual_add_f32 v16, v16, v21 :: v_dual_fmac_f32 v33, v29, v32
	s_waitcnt lgkmcnt(1)
	v_mul_f32_e32 v24, v58, v51
	v_mul_f32_e32 v20, v42, v47
	v_add_f32_e32 v3, v17, v3
	v_add_f32_e32 v16, v16, v31
	v_mul_f32_e32 v35, v38, v35
	v_fma_f32 v21, v28, v32, -v68
	s_waitcnt lgkmcnt(0)
	v_mul_f32_e32 v32, v62, v55
	v_mul_f32_e32 v22, v41, v37
	v_dual_add_f32 v16, v16, v33 :: v_dual_fmac_f32 v35, v39, v34
	v_fma_f32 v19, v26, v30, -v67
	v_dual_fmac_f32 v20, v43, v46 :: v_dual_mul_f32 v27, v60, v53
	s_delay_alu instid0(VALU_DEP_4) | instskip(NEXT) | instid1(VALU_DEP_4)
	v_fma_f32 v22, v40, v36, -v22
	v_add_f32_e32 v16, v16, v35
	v_mul_f32_e32 v17, v43, v47
	v_add_co_ci_u32_e32 v7, vcc_lo, 0, v7, vcc_lo
	v_fmac_f32_e32 v24, v59, v50
	s_delay_alu instid0(VALU_DEP_4) | instskip(SKIP_3) | instid1(VALU_DEP_4)
	v_dual_add_f32 v16, v16, v18 :: v_dual_add_f32 v3, v3, v23
	v_mul_f32_e32 v26, v61, v53
	v_fma_f32 v23, v38, v34, -v69
	v_fmac_f32_e32 v27, v61, v52
	v_dual_add_f32 v20, v16, v20 :: v_dual_add_f32 v3, v3, v19
	v_mul_f32_e32 v19, v45, v49
	v_fma_f32 v17, v42, v46, -v17
	v_fmac_f32_e32 v32, v63, v54
	s_and_b32 vcc_lo, exec_lo, s6
	v_add_f32_e32 v3, v3, v21
	v_mul_f32_e32 v21, v44, v49
	s_delay_alu instid0(VALU_DEP_1) | instskip(NEXT) | instid1(VALU_DEP_1)
	v_dual_mul_f32 v36, v64, v57 :: v_dual_fmac_f32 v21, v45, v48
	v_dual_fmac_f32 v36, v65, v56 :: v_dual_add_f32 v25, v20, v21
	s_delay_alu instid0(VALU_DEP_1) | instskip(SKIP_2) | instid1(VALU_DEP_3)
	v_dual_add_f32 v24, v25, v24 :: v_dual_add_f32 v3, v3, v23
	v_fma_f32 v25, v60, v52, -v26
	v_mul_f32_e32 v26, v63, v55
	v_add_f32_e32 v33, v24, v27
	s_delay_alu instid0(VALU_DEP_4) | instskip(SKIP_3) | instid1(VALU_DEP_4)
	v_add_f32_e32 v3, v3, v22
	v_mul_f32_e32 v23, v59, v51
	v_fma_f32 v22, v44, v48, -v19
	v_fma_f32 v34, v62, v54, -v26
	v_dual_add_f32 v32, v33, v32 :: v_dual_add_f32 v3, v3, v17
	ds_load_2addr_b64 v[16:19], v12 offset0:192 offset1:208
	v_fma_f32 v23, v58, v50, -v23
	v_dual_add_f32 v32, v32, v36 :: v_dual_add_f32 v3, v3, v22
	s_delay_alu instid0(VALU_DEP_1)
	v_add_f32_e32 v3, v3, v23
	ds_load_b128 v[20:23], v13 offset:96
	v_add_f32_e32 v3, v3, v25
	ds_load_2addr_b64 v[24:27], v12 offset0:224 offset1:240
	ds_load_b128 v[28:31], v13 offset:112
	v_mul_f32_e32 v35, v65, v57
	s_waitcnt lgkmcnt(0)
	s_barrier
	v_add_f32_e32 v3, v3, v34
	buffer_gl0_inv
	v_fma_f32 v33, v64, v56, -v35
	s_delay_alu instid0(VALU_DEP_1) | instskip(SKIP_2) | instid1(VALU_DEP_2)
	v_add_f32_e32 v3, v3, v33
	v_mul_f32_e32 v34, v21, v17
	v_mul_f32_e32 v17, v20, v17
	v_fma_f32 v20, v20, v16, -v34
	s_delay_alu instid0(VALU_DEP_2) | instskip(SKIP_1) | instid1(VALU_DEP_3)
	v_dual_fmac_f32 v17, v21, v16 :: v_dual_mul_f32 v16, v23, v19
	v_mul_f32_e32 v19, v22, v19
	v_add_f32_e32 v3, v3, v20
	s_delay_alu instid0(VALU_DEP_3) | instskip(NEXT) | instid1(VALU_DEP_4)
	v_add_f32_e32 v17, v32, v17
	v_fma_f32 v16, v22, v18, -v16
	s_delay_alu instid0(VALU_DEP_4) | instskip(NEXT) | instid1(VALU_DEP_2)
	v_dual_fmac_f32 v19, v23, v18 :: v_dual_mul_f32 v18, v29, v25
	v_dual_mul_f32 v20, v28, v25 :: v_dual_add_f32 v3, v3, v16
	s_delay_alu instid0(VALU_DEP_2) | instskip(NEXT) | instid1(VALU_DEP_3)
	v_add_f32_e32 v16, v17, v19
	v_fma_f32 v17, v28, v24, -v18
	s_delay_alu instid0(VALU_DEP_3) | instskip(SKIP_2) | instid1(VALU_DEP_3)
	v_fmac_f32_e32 v20, v29, v24
	v_mul_f32_e32 v18, v31, v27
	v_mul_f32_e32 v19, v30, v27
	v_dual_add_f32 v3, v3, v17 :: v_dual_add_f32 v16, v16, v20
	s_delay_alu instid0(VALU_DEP_3) | instskip(NEXT) | instid1(VALU_DEP_3)
	v_fma_f32 v17, v30, v26, -v18
	v_fmac_f32_e32 v19, v31, v26
	s_delay_alu instid0(VALU_DEP_1)
	v_dual_add_f32 v17, v3, v17 :: v_dual_add_f32 v16, v16, v19
	s_cbranch_vccnz .LBB1292_11
.LBB1292_3:                             ; =>This Inner Loop Header: Depth=1
	v_add_co_u32 v18, s6, v11, s4
	s_delay_alu instid0(VALU_DEP_1) | instskip(NEXT) | instid1(VALU_DEP_1)
	v_add_co_ci_u32_e64 v19, null, 0, s5, s6
                                        ; implicit-def: $sgpr7
	v_cmp_le_i64_e32 vcc_lo, s[16:17], v[18:19]
	s_or_b32 s6, s3, vcc_lo
	s_delay_alu instid0(SALU_CYCLE_1) | instskip(NEXT) | instid1(SALU_CYCLE_1)
	s_and_saveexec_b32 s8, s6
	s_xor_b32 s6, exec_lo, s8
	s_cbranch_execz .LBB1292_5
; %bb.4:                                ;   in Loop: Header=BB1292_3 Depth=1
	s_mov_b32 s7, 0
	ds_store_b32 v14, v2
.LBB1292_5:                             ;   in Loop: Header=BB1292_3 Depth=1
	s_or_saveexec_b32 s6, s6
	v_mov_b32_e32 v3, s7
	s_xor_b32 exec_lo, exec_lo, s6
	s_cbranch_execz .LBB1292_7
; %bb.6:                                ;   in Loop: Header=BB1292_3 Depth=1
	global_load_b64 v[18:19], v[6:7], off offset:-4
	s_waitcnt vmcnt(0)
	v_xor_b32_e32 v3, 0x80000000, v19
	ds_store_b32 v14, v18
.LBB1292_7:                             ;   in Loop: Header=BB1292_3 Depth=1
	s_or_b32 exec_lo, exec_lo, s6
	v_add_co_u32 v18, s6, v10, s4
	s_delay_alu instid0(VALU_DEP_1) | instskip(SKIP_3) | instid1(SALU_CYCLE_1)
	v_add_co_ci_u32_e64 v19, null, 0, s5, s6
	ds_store_b32 v14, v3 offset:4
	v_cmp_le_i64_e32 vcc_lo, s[16:17], v[18:19]
	s_or_b32 s6, s2, vcc_lo
	s_and_saveexec_b32 s7, s6
	s_delay_alu instid0(SALU_CYCLE_1)
	s_xor_b32 s6, exec_lo, s7
	s_cbranch_execz .LBB1292_9
; %bb.8:                                ;   in Loop: Header=BB1292_3 Depth=1
	v_mov_b32_e32 v3, v2
	ds_store_b64 v15, v[2:3]
.LBB1292_9:                             ;   in Loop: Header=BB1292_3 Depth=1
	s_and_not1_saveexec_b32 s6, s6
	s_cbranch_execz .LBB1292_2
; %bb.10:                               ;   in Loop: Header=BB1292_3 Depth=1
	global_load_b64 v[18:19], v[4:5], off
	s_waitcnt vmcnt(0)
	ds_store_b64 v15, v[18:19]
	s_branch .LBB1292_2
.LBB1292_11:
	s_load_b256 s[4:11], s[0:1], 0x48
	v_cmp_le_i32_e32 vcc_lo, v0, v8
	v_cmp_gt_i32_e64 s0, s12, v8
	s_delay_alu instid0(VALU_DEP_1) | instskip(NEXT) | instid1(SALU_CYCLE_1)
	s_and_b32 s0, vcc_lo, s0
	s_and_saveexec_b32 s1, s0
	s_cbranch_execz .LBB1292_14
; %bb.12:
	s_waitcnt lgkmcnt(0)
	v_mul_lo_u32 v4, v8, s9
	v_mul_lo_u32 v5, v9, s8
	v_mad_u64_u32 v[2:3], null, v8, s8, 0
	s_mul_i32 s1, s15, s11
	s_mul_hi_u32 s2, s15, s10
	s_mul_i32 s0, s15, s10
	s_add_i32 s1, s2, s1
	s_delay_alu instid0(SALU_CYCLE_1) | instskip(NEXT) | instid1(VALU_DEP_1)
	s_lshl_b64 s[0:1], s[0:1], 3
	v_add3_u32 v3, v3, v4, v5
	s_add_u32 s0, s6, s0
	v_lshlrev_b64 v[4:5], 3, v[0:1]
	s_addc_u32 s1, s7, s1
	s_delay_alu instid0(VALU_DEP_2) | instskip(NEXT) | instid1(VALU_DEP_1)
	v_lshlrev_b64 v[2:3], 3, v[2:3]
	v_add_co_u32 v1, vcc_lo, s0, v2
	s_delay_alu instid0(VALU_DEP_2) | instskip(NEXT) | instid1(VALU_DEP_2)
	v_add_co_ci_u32_e32 v2, vcc_lo, s1, v3, vcc_lo
	v_add_co_u32 v1, vcc_lo, v1, v4
	s_delay_alu instid0(VALU_DEP_2)
	v_add_co_ci_u32_e32 v2, vcc_lo, v2, v5, vcc_lo
	v_cmp_eq_u32_e32 vcc_lo, v0, v8
	global_load_b64 v[3:4], v[1:2], off
	s_waitcnt vmcnt(0)
	v_mul_f32_e32 v7, s5, v4
	v_mul_f32_e32 v4, s4, v4
	s_delay_alu instid0(VALU_DEP_1) | instskip(NEXT) | instid1(VALU_DEP_3)
	v_fmac_f32_e32 v4, s5, v3
	v_fma_f32 v7, v3, s4, -v7
	v_mul_f32_e32 v6, s18, v16
	s_delay_alu instid0(VALU_DEP_1) | instskip(NEXT) | instid1(VALU_DEP_1)
	v_dual_mul_f32 v5, s19, v16 :: v_dual_fmac_f32 v6, s19, v17
	v_fma_f32 v5, v17, s18, -v5
	s_delay_alu instid0(VALU_DEP_1)
	v_dual_add_f32 v4, v6, v4 :: v_dual_add_f32 v3, v5, v7
	global_store_b64 v[1:2], v[3:4], off
	s_and_b32 exec_lo, exec_lo, vcc_lo
	s_cbranch_execz .LBB1292_14
; %bb.13:
	v_mov_b32_e32 v0, 0
	global_store_b32 v[1:2], v0, off offset:4
.LBB1292_14:
	s_nop 0
	s_sendmsg sendmsg(MSG_DEALLOC_VGPRS)
	s_endpgm
	.section	.rodata,"a",@progbits
	.p2align	6, 0x0
	.amdhsa_kernel _ZL32rocblas_syrkx_herkx_small_kernelIl19rocblas_complex_numIfELi16ELb0ELb1ELc67ELc85EKS1_S1_EviT_T0_PT6_S3_lS6_S3_lS4_PT7_S3_li
		.amdhsa_group_segment_fixed_size 4096
		.amdhsa_private_segment_fixed_size 0
		.amdhsa_kernarg_size 108
		.amdhsa_user_sgpr_count 13
		.amdhsa_user_sgpr_dispatch_ptr 0
		.amdhsa_user_sgpr_queue_ptr 0
		.amdhsa_user_sgpr_kernarg_segment_ptr 1
		.amdhsa_user_sgpr_dispatch_id 0
		.amdhsa_user_sgpr_private_segment_size 0
		.amdhsa_wavefront_size32 1
		.amdhsa_uses_dynamic_stack 0
		.amdhsa_enable_private_segment 0
		.amdhsa_system_sgpr_workgroup_id_x 1
		.amdhsa_system_sgpr_workgroup_id_y 1
		.amdhsa_system_sgpr_workgroup_id_z 1
		.amdhsa_system_sgpr_workgroup_info 0
		.amdhsa_system_vgpr_workitem_id 1
		.amdhsa_next_free_vgpr 70
		.amdhsa_next_free_sgpr 32
		.amdhsa_reserve_vcc 1
		.amdhsa_float_round_mode_32 0
		.amdhsa_float_round_mode_16_64 0
		.amdhsa_float_denorm_mode_32 3
		.amdhsa_float_denorm_mode_16_64 3
		.amdhsa_dx10_clamp 1
		.amdhsa_ieee_mode 1
		.amdhsa_fp16_overflow 0
		.amdhsa_workgroup_processor_mode 1
		.amdhsa_memory_ordered 1
		.amdhsa_forward_progress 0
		.amdhsa_shared_vgpr_count 0
		.amdhsa_exception_fp_ieee_invalid_op 0
		.amdhsa_exception_fp_denorm_src 0
		.amdhsa_exception_fp_ieee_div_zero 0
		.amdhsa_exception_fp_ieee_overflow 0
		.amdhsa_exception_fp_ieee_underflow 0
		.amdhsa_exception_fp_ieee_inexact 0
		.amdhsa_exception_int_div_zero 0
	.end_amdhsa_kernel
	.section	.text._ZL32rocblas_syrkx_herkx_small_kernelIl19rocblas_complex_numIfELi16ELb0ELb1ELc67ELc85EKS1_S1_EviT_T0_PT6_S3_lS6_S3_lS4_PT7_S3_li,"axG",@progbits,_ZL32rocblas_syrkx_herkx_small_kernelIl19rocblas_complex_numIfELi16ELb0ELb1ELc67ELc85EKS1_S1_EviT_T0_PT6_S3_lS6_S3_lS4_PT7_S3_li,comdat
.Lfunc_end1292:
	.size	_ZL32rocblas_syrkx_herkx_small_kernelIl19rocblas_complex_numIfELi16ELb0ELb1ELc67ELc85EKS1_S1_EviT_T0_PT6_S3_lS6_S3_lS4_PT7_S3_li, .Lfunc_end1292-_ZL32rocblas_syrkx_herkx_small_kernelIl19rocblas_complex_numIfELi16ELb0ELb1ELc67ELc85EKS1_S1_EviT_T0_PT6_S3_lS6_S3_lS4_PT7_S3_li
                                        ; -- End function
	.section	.AMDGPU.csdata,"",@progbits
; Kernel info:
; codeLenInByte = 1652
; NumSgprs: 34
; NumVgprs: 70
; ScratchSize: 0
; MemoryBound: 1
; FloatMode: 240
; IeeeMode: 1
; LDSByteSize: 4096 bytes/workgroup (compile time only)
; SGPRBlocks: 4
; VGPRBlocks: 8
; NumSGPRsForWavesPerEU: 34
; NumVGPRsForWavesPerEU: 70
; Occupancy: 16
; WaveLimiterHint : 0
; COMPUTE_PGM_RSRC2:SCRATCH_EN: 0
; COMPUTE_PGM_RSRC2:USER_SGPR: 13
; COMPUTE_PGM_RSRC2:TRAP_HANDLER: 0
; COMPUTE_PGM_RSRC2:TGID_X_EN: 1
; COMPUTE_PGM_RSRC2:TGID_Y_EN: 1
; COMPUTE_PGM_RSRC2:TGID_Z_EN: 1
; COMPUTE_PGM_RSRC2:TIDIG_COMP_CNT: 1
	.section	.text._ZL32rocblas_syrkx_herkx_small_kernelIl19rocblas_complex_numIfELi16ELb0ELb1ELc78ELc85EKS1_S1_EviT_T0_PT6_S3_lS6_S3_lS4_PT7_S3_li,"axG",@progbits,_ZL32rocblas_syrkx_herkx_small_kernelIl19rocblas_complex_numIfELi16ELb0ELb1ELc78ELc85EKS1_S1_EviT_T0_PT6_S3_lS6_S3_lS4_PT7_S3_li,comdat
	.globl	_ZL32rocblas_syrkx_herkx_small_kernelIl19rocblas_complex_numIfELi16ELb0ELb1ELc78ELc85EKS1_S1_EviT_T0_PT6_S3_lS6_S3_lS4_PT7_S3_li ; -- Begin function _ZL32rocblas_syrkx_herkx_small_kernelIl19rocblas_complex_numIfELi16ELb0ELb1ELc78ELc85EKS1_S1_EviT_T0_PT6_S3_lS6_S3_lS4_PT7_S3_li
	.p2align	8
	.type	_ZL32rocblas_syrkx_herkx_small_kernelIl19rocblas_complex_numIfELi16ELb0ELb1ELc78ELc85EKS1_S1_EviT_T0_PT6_S3_lS6_S3_lS4_PT7_S3_li,@function
_ZL32rocblas_syrkx_herkx_small_kernelIl19rocblas_complex_numIfELi16ELb0ELb1ELc78ELc85EKS1_S1_EviT_T0_PT6_S3_lS6_S3_lS4_PT7_S3_li: ; @_ZL32rocblas_syrkx_herkx_small_kernelIl19rocblas_complex_numIfELi16ELb0ELb1ELc78ELc85EKS1_S1_EviT_T0_PT6_S3_lS6_S3_lS4_PT7_S3_li
; %bb.0:
	s_clause 0x1
	s_load_b512 s[16:31], s[0:1], 0x8
	s_load_b32 s12, s[0:1], 0x0
	v_dual_mov_b32 v17, 0 :: v_dual_and_b32 v10, 0x3ff, v0
	v_bfe_u32 v11, v0, 10, 10
	v_mov_b32_e32 v16, 0
	s_delay_alu instid0(VALU_DEP_3) | instskip(NEXT) | instid1(VALU_DEP_3)
	v_lshl_add_u32 v0, s13, 4, v10
	v_lshl_add_u32 v2, s14, 4, v11
	s_delay_alu instid0(VALU_DEP_2) | instskip(NEXT) | instid1(VALU_DEP_2)
	v_ashrrev_i32_e32 v1, 31, v0
	v_ashrrev_i32_e32 v3, 31, v2
	s_waitcnt lgkmcnt(0)
	v_cmp_lt_i64_e64 s3, s[16:17], 1
	v_cmp_gt_i32_e64 s2, s12, v2
	s_delay_alu instid0(VALU_DEP_2)
	s_and_b32 vcc_lo, exec_lo, s3
	s_cbranch_vccnz .LBB1293_11
; %bb.1:
	v_mad_u64_u32 v[5:6], null, s28, v10, 0
	s_mul_i32 s3, s31, s15
	s_mul_hi_u32 s5, s30, s15
	s_mul_i32 s4, s30, s15
	s_add_i32 s5, s5, s3
	v_lshlrev_b64 v[16:17], 3, v[2:3]
	s_lshl_b64 s[4:5], s[4:5], 3
	s_delay_alu instid0(VALU_DEP_2)
	v_mad_u64_u32 v[7:8], null, s29, v10, v[6:7]
	v_mad_u64_u32 v[8:9], null, s22, v11, 0
	v_mov_b32_e32 v4, 0
	s_mul_i32 s7, s25, s15
	s_mul_hi_u32 s8, s24, s15
	s_mul_i32 s6, s24, s15
	s_delay_alu instid0(VALU_DEP_3) | instskip(SKIP_1) | instid1(VALU_DEP_3)
	v_mov_b32_e32 v6, v7
	s_add_i32 s7, s8, s7
	v_dual_mov_b32 v7, v9 :: v_dual_lshlrev_b32 v12, 3, v10
	v_cmp_gt_i32_e32 vcc_lo, s12, v0
	s_mov_b64 s[8:9], 0
	s_xor_b32 s2, s2, -1
	s_delay_alu instid0(VALU_DEP_2) | instskip(NEXT) | instid1(VALU_DEP_1)
	v_mad_u64_u32 v[18:19], null, s23, v11, v[7:8]
	v_dual_mov_b32 v9, v18 :: v_dual_lshlrev_b32 v14, 7, v11
	s_delay_alu instid0(VALU_DEP_1) | instskip(SKIP_1) | instid1(VALU_DEP_1)
	v_add_nc_u32_e32 v13, 0x800, v14
	v_lshlrev_b64 v[5:6], 3, v[5:6]
	v_add_co_u32 v5, s3, s4, v5
	s_delay_alu instid0(VALU_DEP_1) | instskip(SKIP_1) | instid1(VALU_DEP_2)
	v_add_co_ci_u32_e64 v6, s3, s5, v6, s3
	s_lshl_b64 s[4:5], s[6:7], 3
	v_add_co_u32 v7, s3, v5, v16
	s_delay_alu instid0(VALU_DEP_1) | instskip(SKIP_1) | instid1(VALU_DEP_3)
	v_add_co_ci_u32_e64 v16, s3, v6, v17, s3
	v_lshlrev_b64 v[5:6], 3, v[8:9]
	v_add_co_u32 v7, s3, v7, s26
	s_delay_alu instid0(VALU_DEP_1) | instskip(SKIP_1) | instid1(VALU_DEP_4)
	v_add_co_ci_u32_e64 v16, s3, s27, v16, s3
	v_lshlrev_b64 v[8:9], 3, v[0:1]
	v_add_co_u32 v5, s3, s4, v5
	s_delay_alu instid0(VALU_DEP_1) | instskip(SKIP_1) | instid1(VALU_DEP_1)
	v_add_co_ci_u32_e64 v17, s3, s5, v6, s3
	v_add_co_u32 v6, s3, v7, 4
	v_add_co_ci_u32_e64 v7, s3, 0, v16, s3
	s_delay_alu instid0(VALU_DEP_4) | instskip(NEXT) | instid1(VALU_DEP_1)
	v_add_co_u32 v5, s3, v5, v8
	v_add_co_ci_u32_e64 v9, s3, v17, v9, s3
	v_mov_b32_e32 v16, 0
	s_delay_alu instid0(VALU_DEP_3) | instskip(NEXT) | instid1(VALU_DEP_1)
	v_add_co_u32 v8, s3, s20, v5
	v_add_co_ci_u32_e64 v9, s3, s21, v9, s3
	v_dual_mov_b32 v17, 0 :: v_dual_add_nc_u32 v14, v12, v14
	v_add_nc_u32_e32 v15, v13, v12
	s_lshl_b64 s[4:5], s[28:29], 7
	s_lshl_b64 s[6:7], s[22:23], 7
	s_xor_b32 s3, vcc_lo, -1
	s_branch .LBB1293_3
.LBB1293_2:                             ;   in Loop: Header=BB1293_3 Depth=1
	s_or_b32 exec_lo, exec_lo, s10
	ds_store_b32 v15, v5 offset:4
	s_waitcnt lgkmcnt(0)
	s_barrier
	buffer_gl0_inv
	ds_load_2addr_b64 v[18:21], v12 offset1:16
	ds_load_b128 v[22:25], v13
	ds_load_b128 v[26:29], v13 offset:16
	ds_load_2addr_b64 v[30:33], v12 offset0:32 offset1:48
	ds_load_2addr_b64 v[34:37], v12 offset0:64 offset1:80
	ds_load_b128 v[38:41], v13 offset:32
	ds_load_b128 v[42:45], v13 offset:48
	ds_load_2addr_b64 v[46:49], v12 offset0:96 offset1:112
	ds_load_2addr_b64 v[50:53], v12 offset0:128 offset1:144
	;; [unrolled: 1-line block ×3, first 2 shown]
	ds_load_b128 v[58:61], v13 offset:64
	ds_load_b128 v[62:65], v13 offset:80
	s_add_u32 s8, s8, 16
	s_addc_u32 s9, s9, 0
	v_add_co_u32 v6, vcc_lo, v6, s4
	v_cmp_ge_i64_e64 s10, s[8:9], s[16:17]
	v_add_co_ci_u32_e32 v7, vcc_lo, s5, v7, vcc_lo
	v_add_co_u32 v8, vcc_lo, v8, s6
	s_waitcnt lgkmcnt(10)
	v_dual_mul_f32 v5, v23, v19 :: v_dual_mul_f32 v66, v25, v21
	s_waitcnt lgkmcnt(8)
	v_dual_mul_f32 v19, v22, v19 :: v_dual_mul_f32 v68, v29, v33
	v_mul_f32_e32 v21, v24, v21
	s_delay_alu instid0(VALU_DEP_3) | instskip(SKIP_1) | instid1(VALU_DEP_3)
	v_fma_f32 v5, v22, v18, -v5
	s_waitcnt lgkmcnt(6)
	v_dual_mul_f32 v22, v38, v35 :: v_dual_fmac_f32 v19, v23, v18
	v_fma_f32 v18, v24, v20, -v66
	v_fmac_f32_e32 v21, v25, v20
	v_add_f32_e32 v5, v17, v5
	v_fma_f32 v20, v28, v32, -v68
	v_add_f32_e32 v16, v16, v19
	v_mul_f32_e32 v67, v27, v31
	v_mul_f32_e32 v31, v26, v31
	v_add_f32_e32 v5, v5, v18
	s_waitcnt lgkmcnt(4)
	v_dual_mul_f32 v33, v28, v33 :: v_dual_mul_f32 v18, v43, v47
	v_add_f32_e32 v16, v16, v21
	v_fma_f32 v19, v26, v30, -v67
	v_mul_f32_e32 v17, v40, v37
	s_waitcnt lgkmcnt(1)
	v_dual_fmac_f32 v33, v29, v32 :: v_dual_mul_f32 v24, v58, v51
	v_fma_f32 v18, v42, v46, -v18
	v_add_f32_e32 v5, v5, v19
	v_dual_mul_f32 v25, v61, v53 :: v_dual_fmac_f32 v22, v39, v34
	s_delay_alu instid0(VALU_DEP_4) | instskip(SKIP_1) | instid1(VALU_DEP_4)
	v_fmac_f32_e32 v24, v59, v50
	v_add_co_ci_u32_e32 v9, vcc_lo, s7, v9, vcc_lo
	v_add_f32_e32 v5, v5, v20
	v_dual_mul_f32 v20, v45, v49 :: v_dual_fmac_f32 v31, v27, v30
	v_fma_f32 v25, v60, v52, -v25
	s_and_b32 vcc_lo, exec_lo, s10
	s_waitcnt lgkmcnt(0)
	v_mul_f32_e32 v32, v62, v55
	v_add_f32_e32 v16, v16, v31
	v_mul_f32_e32 v69, v39, v35
	s_delay_alu instid0(VALU_DEP_3) | instskip(NEXT) | instid1(VALU_DEP_3)
	v_dual_mul_f32 v35, v41, v37 :: v_dual_fmac_f32 v32, v63, v54
	v_add_f32_e32 v16, v16, v33
	s_delay_alu instid0(VALU_DEP_3) | instskip(NEXT) | instid1(VALU_DEP_3)
	v_fma_f32 v21, v38, v34, -v69
	v_fma_f32 v23, v40, v36, -v35
	s_delay_alu instid0(VALU_DEP_3) | instskip(NEXT) | instid1(VALU_DEP_3)
	v_dual_mul_f32 v35, v65, v57 :: v_dual_add_f32 v16, v16, v22
	v_add_f32_e32 v5, v5, v21
	v_dual_mul_f32 v21, v44, v49 :: v_dual_mul_f32 v22, v59, v51
	v_dual_fmac_f32 v17, v41, v36 :: v_dual_mul_f32 v36, v64, v57
	v_mul_f32_e32 v27, v60, v53
	s_delay_alu instid0(VALU_DEP_3) | instskip(NEXT) | instid1(VALU_DEP_3)
	v_fmac_f32_e32 v21, v45, v48
	v_dual_mul_f32 v19, v42, v47 :: v_dual_add_f32 v16, v16, v17
	v_fma_f32 v17, v44, v48, -v20
	v_fmac_f32_e32 v36, v65, v56
	v_fmac_f32_e32 v27, v61, v52
	s_delay_alu instid0(VALU_DEP_4) | instskip(NEXT) | instid1(VALU_DEP_1)
	v_fmac_f32_e32 v19, v43, v46
	v_add_f32_e32 v16, v16, v19
	s_delay_alu instid0(VALU_DEP_1) | instskip(NEXT) | instid1(VALU_DEP_1)
	v_add_f32_e32 v26, v16, v21
	v_dual_add_f32 v24, v26, v24 :: v_dual_add_f32 v5, v5, v23
	v_mul_f32_e32 v26, v63, v55
	s_delay_alu instid0(VALU_DEP_2) | instskip(NEXT) | instid1(VALU_DEP_2)
	v_add_f32_e32 v33, v24, v27
	v_fma_f32 v34, v62, v54, -v26
	s_delay_alu instid0(VALU_DEP_2) | instskip(SKIP_3) | instid1(VALU_DEP_3)
	v_add_f32_e32 v32, v33, v32
	v_add_f32_e32 v5, v5, v18
	v_fma_f32 v18, v58, v50, -v22
	v_fma_f32 v33, v64, v56, -v35
	v_dual_add_f32 v32, v32, v36 :: v_dual_add_f32 v5, v5, v17
	s_delay_alu instid0(VALU_DEP_1)
	v_add_f32_e32 v5, v5, v18
	ds_load_2addr_b64 v[16:19], v12 offset0:192 offset1:208
	ds_load_b128 v[20:23], v13 offset:96
	v_add_f32_e32 v5, v5, v25
	ds_load_2addr_b64 v[24:27], v12 offset0:224 offset1:240
	ds_load_b128 v[28:31], v13 offset:112
	s_waitcnt lgkmcnt(0)
	s_barrier
	buffer_gl0_inv
	v_add_f32_e32 v5, v5, v34
	s_delay_alu instid0(VALU_DEP_1) | instskip(SKIP_2) | instid1(VALU_DEP_2)
	v_add_f32_e32 v5, v5, v33
	v_mul_f32_e32 v34, v21, v17
	v_mul_f32_e32 v17, v20, v17
	v_fma_f32 v20, v20, v16, -v34
	s_delay_alu instid0(VALU_DEP_1) | instskip(NEXT) | instid1(VALU_DEP_1)
	v_dual_add_f32 v5, v5, v20 :: v_dual_mul_f32 v20, v28, v25
	v_fmac_f32_e32 v20, v29, v24
	s_delay_alu instid0(VALU_DEP_4) | instskip(SKIP_1) | instid1(VALU_DEP_2)
	v_dual_fmac_f32 v17, v21, v16 :: v_dual_mul_f32 v16, v23, v19
	v_mul_f32_e32 v19, v22, v19
	v_add_f32_e32 v17, v32, v17
	s_delay_alu instid0(VALU_DEP_3) | instskip(NEXT) | instid1(VALU_DEP_3)
	v_fma_f32 v16, v22, v18, -v16
	v_dual_fmac_f32 v19, v23, v18 :: v_dual_mul_f32 v18, v29, v25
	s_delay_alu instid0(VALU_DEP_2) | instskip(NEXT) | instid1(VALU_DEP_2)
	v_add_f32_e32 v5, v5, v16
	v_add_f32_e32 v16, v17, v19
	s_delay_alu instid0(VALU_DEP_3) | instskip(SKIP_2) | instid1(VALU_DEP_3)
	v_fma_f32 v17, v28, v24, -v18
	v_mul_f32_e32 v18, v31, v27
	v_mul_f32_e32 v19, v30, v27
	v_add_f32_e32 v5, v5, v17
	s_delay_alu instid0(VALU_DEP_3) | instskip(NEXT) | instid1(VALU_DEP_3)
	v_fma_f32 v17, v30, v26, -v18
	v_dual_fmac_f32 v19, v31, v26 :: v_dual_add_f32 v16, v16, v20
	s_delay_alu instid0(VALU_DEP_1)
	v_dual_add_f32 v17, v5, v17 :: v_dual_add_f32 v16, v16, v19
	s_cbranch_vccnz .LBB1293_11
.LBB1293_3:                             ; =>This Inner Loop Header: Depth=1
	v_add_co_u32 v18, s10, v11, s8
	s_delay_alu instid0(VALU_DEP_1) | instskip(NEXT) | instid1(VALU_DEP_1)
	v_add_co_ci_u32_e64 v19, null, 0, s9, s10
	v_cmp_le_i64_e32 vcc_lo, s[16:17], v[18:19]
	s_or_b32 s10, s3, vcc_lo
	s_delay_alu instid0(SALU_CYCLE_1) | instskip(NEXT) | instid1(SALU_CYCLE_1)
	s_and_saveexec_b32 s11, s10
	s_xor_b32 s10, exec_lo, s11
	s_cbranch_execz .LBB1293_5
; %bb.4:                                ;   in Loop: Header=BB1293_3 Depth=1
	v_mov_b32_e32 v5, v4
	ds_store_b64 v14, v[4:5]
.LBB1293_5:                             ;   in Loop: Header=BB1293_3 Depth=1
	s_and_not1_saveexec_b32 s10, s10
	s_cbranch_execz .LBB1293_7
; %bb.6:                                ;   in Loop: Header=BB1293_3 Depth=1
	global_load_b64 v[18:19], v[8:9], off
	s_waitcnt vmcnt(0)
	ds_store_b64 v14, v[18:19]
.LBB1293_7:                             ;   in Loop: Header=BB1293_3 Depth=1
	s_or_b32 exec_lo, exec_lo, s10
	v_add_co_u32 v18, s10, v10, s8
	s_delay_alu instid0(VALU_DEP_1) | instskip(NEXT) | instid1(VALU_DEP_1)
	v_add_co_ci_u32_e64 v19, null, 0, s9, s10
                                        ; implicit-def: $sgpr11
	v_cmp_le_i64_e32 vcc_lo, s[16:17], v[18:19]
	s_or_b32 s10, s2, vcc_lo
	s_delay_alu instid0(SALU_CYCLE_1) | instskip(NEXT) | instid1(SALU_CYCLE_1)
	s_and_saveexec_b32 s13, s10
	s_xor_b32 s10, exec_lo, s13
	s_cbranch_execz .LBB1293_9
; %bb.8:                                ;   in Loop: Header=BB1293_3 Depth=1
	s_mov_b32 s11, 0
	ds_store_b32 v15, v4
.LBB1293_9:                             ;   in Loop: Header=BB1293_3 Depth=1
	s_or_saveexec_b32 s10, s10
	v_mov_b32_e32 v5, s11
	s_xor_b32 exec_lo, exec_lo, s10
	s_cbranch_execz .LBB1293_2
; %bb.10:                               ;   in Loop: Header=BB1293_3 Depth=1
	global_load_b64 v[18:19], v[6:7], off offset:-4
	s_waitcnt vmcnt(0)
	v_xor_b32_e32 v5, 0x80000000, v19
	ds_store_b32 v15, v18
	s_branch .LBB1293_2
.LBB1293_11:
	s_load_b256 s[4:11], s[0:1], 0x48
	v_cmp_le_i32_e32 vcc_lo, v0, v2
	v_cmp_gt_i32_e64 s0, s12, v2
	s_delay_alu instid0(VALU_DEP_1) | instskip(NEXT) | instid1(SALU_CYCLE_1)
	s_and_b32 s0, vcc_lo, s0
	s_and_saveexec_b32 s1, s0
	s_cbranch_execz .LBB1293_14
; %bb.12:
	s_waitcnt lgkmcnt(0)
	v_mul_lo_u32 v5, v2, s9
	v_mul_lo_u32 v6, v3, s8
	v_mad_u64_u32 v[3:4], null, v2, s8, 0
	s_mul_i32 s1, s15, s11
	s_mul_hi_u32 s2, s15, s10
	s_mul_i32 s0, s15, s10
	s_add_i32 s1, s2, s1
	s_delay_alu instid0(SALU_CYCLE_1) | instskip(NEXT) | instid1(VALU_DEP_1)
	s_lshl_b64 s[0:1], s[0:1], 3
	v_add3_u32 v4, v4, v5, v6
	s_add_u32 s0, s6, s0
	v_lshlrev_b64 v[5:6], 3, v[0:1]
	s_addc_u32 s1, s7, s1
	s_delay_alu instid0(VALU_DEP_2) | instskip(NEXT) | instid1(VALU_DEP_1)
	v_lshlrev_b64 v[3:4], 3, v[3:4]
	v_add_co_u32 v1, vcc_lo, s0, v3
	s_delay_alu instid0(VALU_DEP_2) | instskip(NEXT) | instid1(VALU_DEP_2)
	v_add_co_ci_u32_e32 v4, vcc_lo, s1, v4, vcc_lo
	v_add_co_u32 v3, vcc_lo, v1, v5
	s_delay_alu instid0(VALU_DEP_2)
	v_add_co_ci_u32_e32 v4, vcc_lo, v4, v6, vcc_lo
	v_cmp_eq_u32_e32 vcc_lo, v0, v2
	global_load_b64 v[5:6], v[3:4], off
	v_mul_f32_e32 v1, s19, v16
	s_waitcnt vmcnt(0)
	v_dual_mul_f32 v7, s18, v16 :: v_dual_mul_f32 v8, s5, v6
	v_mul_f32_e32 v6, s4, v6
	s_delay_alu instid0(VALU_DEP_3) | instskip(NEXT) | instid1(VALU_DEP_3)
	v_fma_f32 v1, v17, s18, -v1
	v_fmac_f32_e32 v7, s19, v17
	s_delay_alu instid0(VALU_DEP_4) | instskip(NEXT) | instid1(VALU_DEP_1)
	v_fma_f32 v8, v5, s4, -v8
	v_dual_fmac_f32 v6, s5, v5 :: v_dual_add_f32 v5, v1, v8
	s_delay_alu instid0(VALU_DEP_1)
	v_add_f32_e32 v6, v7, v6
	global_store_b64 v[3:4], v[5:6], off
	s_and_b32 exec_lo, exec_lo, vcc_lo
	s_cbranch_execz .LBB1293_14
; %bb.13:
	v_mov_b32_e32 v0, 0
	global_store_b32 v[3:4], v0, off offset:4
.LBB1293_14:
	s_nop 0
	s_sendmsg sendmsg(MSG_DEALLOC_VGPRS)
	s_endpgm
	.section	.rodata,"a",@progbits
	.p2align	6, 0x0
	.amdhsa_kernel _ZL32rocblas_syrkx_herkx_small_kernelIl19rocblas_complex_numIfELi16ELb0ELb1ELc78ELc85EKS1_S1_EviT_T0_PT6_S3_lS6_S3_lS4_PT7_S3_li
		.amdhsa_group_segment_fixed_size 4096
		.amdhsa_private_segment_fixed_size 0
		.amdhsa_kernarg_size 108
		.amdhsa_user_sgpr_count 13
		.amdhsa_user_sgpr_dispatch_ptr 0
		.amdhsa_user_sgpr_queue_ptr 0
		.amdhsa_user_sgpr_kernarg_segment_ptr 1
		.amdhsa_user_sgpr_dispatch_id 0
		.amdhsa_user_sgpr_private_segment_size 0
		.amdhsa_wavefront_size32 1
		.amdhsa_uses_dynamic_stack 0
		.amdhsa_enable_private_segment 0
		.amdhsa_system_sgpr_workgroup_id_x 1
		.amdhsa_system_sgpr_workgroup_id_y 1
		.amdhsa_system_sgpr_workgroup_id_z 1
		.amdhsa_system_sgpr_workgroup_info 0
		.amdhsa_system_vgpr_workitem_id 1
		.amdhsa_next_free_vgpr 70
		.amdhsa_next_free_sgpr 32
		.amdhsa_reserve_vcc 1
		.amdhsa_float_round_mode_32 0
		.amdhsa_float_round_mode_16_64 0
		.amdhsa_float_denorm_mode_32 3
		.amdhsa_float_denorm_mode_16_64 3
		.amdhsa_dx10_clamp 1
		.amdhsa_ieee_mode 1
		.amdhsa_fp16_overflow 0
		.amdhsa_workgroup_processor_mode 1
		.amdhsa_memory_ordered 1
		.amdhsa_forward_progress 0
		.amdhsa_shared_vgpr_count 0
		.amdhsa_exception_fp_ieee_invalid_op 0
		.amdhsa_exception_fp_denorm_src 0
		.amdhsa_exception_fp_ieee_div_zero 0
		.amdhsa_exception_fp_ieee_overflow 0
		.amdhsa_exception_fp_ieee_underflow 0
		.amdhsa_exception_fp_ieee_inexact 0
		.amdhsa_exception_int_div_zero 0
	.end_amdhsa_kernel
	.section	.text._ZL32rocblas_syrkx_herkx_small_kernelIl19rocblas_complex_numIfELi16ELb0ELb1ELc78ELc85EKS1_S1_EviT_T0_PT6_S3_lS6_S3_lS4_PT7_S3_li,"axG",@progbits,_ZL32rocblas_syrkx_herkx_small_kernelIl19rocblas_complex_numIfELi16ELb0ELb1ELc78ELc85EKS1_S1_EviT_T0_PT6_S3_lS6_S3_lS4_PT7_S3_li,comdat
.Lfunc_end1293:
	.size	_ZL32rocblas_syrkx_herkx_small_kernelIl19rocblas_complex_numIfELi16ELb0ELb1ELc78ELc85EKS1_S1_EviT_T0_PT6_S3_lS6_S3_lS4_PT7_S3_li, .Lfunc_end1293-_ZL32rocblas_syrkx_herkx_small_kernelIl19rocblas_complex_numIfELi16ELb0ELb1ELc78ELc85EKS1_S1_EviT_T0_PT6_S3_lS6_S3_lS4_PT7_S3_li
                                        ; -- End function
	.section	.AMDGPU.csdata,"",@progbits
; Kernel info:
; codeLenInByte = 1672
; NumSgprs: 34
; NumVgprs: 70
; ScratchSize: 0
; MemoryBound: 1
; FloatMode: 240
; IeeeMode: 1
; LDSByteSize: 4096 bytes/workgroup (compile time only)
; SGPRBlocks: 4
; VGPRBlocks: 8
; NumSGPRsForWavesPerEU: 34
; NumVGPRsForWavesPerEU: 70
; Occupancy: 16
; WaveLimiterHint : 0
; COMPUTE_PGM_RSRC2:SCRATCH_EN: 0
; COMPUTE_PGM_RSRC2:USER_SGPR: 13
; COMPUTE_PGM_RSRC2:TRAP_HANDLER: 0
; COMPUTE_PGM_RSRC2:TGID_X_EN: 1
; COMPUTE_PGM_RSRC2:TGID_Y_EN: 1
; COMPUTE_PGM_RSRC2:TGID_Z_EN: 1
; COMPUTE_PGM_RSRC2:TIDIG_COMP_CNT: 1
	.section	.text._ZL34rocblas_syrkx_herkx_general_kernelIl19rocblas_complex_numIfELi16ELi32ELi8ELb1ELb1ELc84ELc76EKS1_S1_EviT_T0_PT8_S3_lS6_S3_lS4_PT9_S3_li,"axG",@progbits,_ZL34rocblas_syrkx_herkx_general_kernelIl19rocblas_complex_numIfELi16ELi32ELi8ELb1ELb1ELc84ELc76EKS1_S1_EviT_T0_PT8_S3_lS6_S3_lS4_PT9_S3_li,comdat
	.globl	_ZL34rocblas_syrkx_herkx_general_kernelIl19rocblas_complex_numIfELi16ELi32ELi8ELb1ELb1ELc84ELc76EKS1_S1_EviT_T0_PT8_S3_lS6_S3_lS4_PT9_S3_li ; -- Begin function _ZL34rocblas_syrkx_herkx_general_kernelIl19rocblas_complex_numIfELi16ELi32ELi8ELb1ELb1ELc84ELc76EKS1_S1_EviT_T0_PT8_S3_lS6_S3_lS4_PT9_S3_li
	.p2align	8
	.type	_ZL34rocblas_syrkx_herkx_general_kernelIl19rocblas_complex_numIfELi16ELi32ELi8ELb1ELb1ELc84ELc76EKS1_S1_EviT_T0_PT8_S3_lS6_S3_lS4_PT9_S3_li,@function
_ZL34rocblas_syrkx_herkx_general_kernelIl19rocblas_complex_numIfELi16ELi32ELi8ELb1ELb1ELc84ELc76EKS1_S1_EviT_T0_PT8_S3_lS6_S3_lS4_PT9_S3_li: ; @_ZL34rocblas_syrkx_herkx_general_kernelIl19rocblas_complex_numIfELi16ELi32ELi8ELb1ELb1ELc84ELc76EKS1_S1_EviT_T0_PT8_S3_lS6_S3_lS4_PT9_S3_li
; %bb.0:
	s_clause 0x1
	s_load_b512 s[16:31], s[0:1], 0x8
	s_load_b32 s8, s[0:1], 0x0
	v_dual_mov_b32 v20, 0 :: v_dual_mov_b32 v21, 0
	v_dual_mov_b32 v18, 0 :: v_dual_mov_b32 v19, 0
	;; [unrolled: 1-line block ×4, first 2 shown]
	v_and_b32_e32 v6, 0x3ff, v0
	v_bfe_u32 v7, v0, 10, 10
	s_lshl_b32 s9, s13, 5
	s_lshl_b32 s10, s14, 5
	s_waitcnt lgkmcnt(0)
	v_cmp_lt_i64_e64 s2, s[16:17], 1
	s_delay_alu instid0(VALU_DEP_1)
	s_and_b32 vcc_lo, exec_lo, s2
	s_cbranch_vccnz .LBB1294_11
; %bb.1:
	v_lshl_add_u32 v1, v7, 4, v6
	v_mov_b32_e32 v0, 0
	v_and_b32_e32 v8, 7, v6
	s_mul_i32 s3, s25, s15
	s_mul_hi_u32 s4, s24, s15
	v_and_b32_e32 v3, 31, v1
	v_lshrrev_b32_e32 v5, 3, v1
	v_lshrrev_b32_e32 v11, 5, v1
	v_lshlrev_b32_e32 v15, 3, v8
	s_mul_i32 s2, s24, s15
	v_add_nc_u32_e32 v4, s9, v3
	v_add_nc_u32_e32 v13, s10, v5
	v_or_b32_e32 v16, s9, v3
	v_dual_mov_b32 v20, 0 :: v_dual_lshlrev_b32 v17, 3, v3
	s_delay_alu instid0(VALU_DEP_4) | instskip(SKIP_3) | instid1(VALU_DEP_4)
	v_ashrrev_i32_e32 v12, 31, v4
	v_mul_lo_u32 v14, s23, v4
	v_mad_u64_u32 v[1:2], null, s22, v4, 0
	v_cmp_gt_i32_e32 vcc_lo, s8, v16
	v_mul_lo_u32 v12, s22, v12
	v_mov_b32_e32 v16, 0
	v_ashrrev_i32_e32 v18, 31, v13
	v_mul_lo_u32 v19, s29, v13
	v_mad_u64_u32 v[3:4], null, s28, v13, 0
	s_add_i32 s3, s4, s3
	v_lshlrev_b32_e32 v9, 3, v6
	v_add3_u32 v2, v2, v12, v14
	v_mul_lo_u32 v14, s28, v18
	v_mov_b32_e32 v18, 0
	v_lshl_or_b32 v5, v5, 6, v15
	s_lshl_b64 s[4:5], s[2:3], 3
	v_lshlrev_b64 v[1:2], 3, v[1:2]
	v_cmp_gt_i32_e64 s2, s8, v13
	v_lshl_add_u32 v10, v7, 6, 0x800
	v_add_nc_u32_e32 v13, 0x800, v5
	v_add3_u32 v4, v4, v14, v19
	v_lshl_or_b32 v12, v11, 8, v17
	v_add_co_u32 v5, s3, v1, s4
	s_delay_alu instid0(VALU_DEP_1)
	v_add_co_ci_u32_e64 v14, s3, s5, v2, s3
	s_mul_i32 s3, s31, s15
	s_mul_hi_u32 s4, s30, s15
	v_lshlrev_b64 v[1:2], 3, v[3:4]
	s_add_i32 s5, s4, s3
	s_mul_i32 s4, s30, s15
	v_lshlrev_b32_e32 v3, 3, v11
	s_lshl_b64 s[4:5], s[4:5], 3
	v_mov_b32_e32 v17, 0
	v_add_co_u32 v1, s3, v1, s4
	s_delay_alu instid0(VALU_DEP_1) | instskip(SKIP_1) | instid1(VALU_DEP_1)
	v_add_co_ci_u32_e64 v2, s3, s5, v2, s3
	v_add_co_u32 v3, s3, v5, v3
	v_add_co_ci_u32_e64 v4, s3, 0, v14, s3
	v_mov_b32_e32 v14, 0
	v_add_co_u32 v1, s3, v1, v15
	s_delay_alu instid0(VALU_DEP_1) | instskip(SKIP_1) | instid1(VALU_DEP_1)
	v_add_co_ci_u32_e64 v5, s3, 0, v2, s3
	v_add_co_u32 v2, s3, s20, v3
	v_add_co_ci_u32_e64 v3, s3, s21, v4, s3
	s_delay_alu instid0(VALU_DEP_4) | instskip(NEXT) | instid1(VALU_DEP_1)
	v_add_co_u32 v4, s3, s26, v1
	v_add_co_ci_u32_e64 v5, s3, s27, v5, s3
	v_mov_b32_e32 v15, 0
	v_mov_b32_e32 v19, 0
	;; [unrolled: 1-line block ×3, first 2 shown]
	s_mov_b64 s[4:5], 0
	s_xor_b32 s3, vcc_lo, -1
	s_xor_b32 s2, s2, -1
	s_branch .LBB1294_3
.LBB1294_2:                             ;   in Loop: Header=BB1294_3 Depth=1
	s_or_b32 exec_lo, exec_lo, s6
	s_waitcnt lgkmcnt(0)
	s_barrier
	buffer_gl0_inv
	ds_load_2addr_b64 v[22:25], v9 offset1:16
	ds_load_b128 v[26:29], v10
	ds_load_b128 v[30:33], v10 offset:1024
	ds_load_b128 v[34:37], v10 offset:16
	;; [unrolled: 1-line block ×4, first 2 shown]
	ds_load_2addr_b64 v[46:49], v9 offset0:32 offset1:48
	ds_load_b128 v[50:53], v10 offset:1040
	s_add_u32 s4, s4, 8
	s_addc_u32 s5, s5, 0
	v_add_co_u32 v2, vcc_lo, v2, 64
	v_cmp_ge_i64_e64 s6, s[4:5], s[16:17]
	v_add_co_ci_u32_e32 v3, vcc_lo, 0, v3, vcc_lo
	v_add_co_u32 v4, vcc_lo, v4, 64
	v_add_co_ci_u32_e32 v5, vcc_lo, 0, v5, vcc_lo
	s_delay_alu instid0(VALU_DEP_4)
	s_and_b32 vcc_lo, exec_lo, s6
	s_waitcnt lgkmcnt(6)
	v_dual_mul_f32 v1, v27, v23 :: v_dual_mul_f32 v56, v26, v25
	v_dual_mul_f32 v54, v26, v23 :: v_dual_mul_f32 v55, v27, v25
	s_waitcnt lgkmcnt(5)
	v_mul_f32_e32 v58, v31, v25
	s_delay_alu instid0(VALU_DEP_3) | instskip(SKIP_3) | instid1(VALU_DEP_4)
	v_fma_f32 v1, v26, v22, -v1
	v_dual_mul_f32 v25, v30, v25 :: v_dual_fmac_f32 v56, v27, v24
	v_fmac_f32_e32 v54, v27, v22
	v_fma_f32 v26, v26, v24, -v55
	v_add_f32_e32 v1, v20, v1
	v_mul_f32_e32 v57, v31, v23
	s_delay_alu instid0(VALU_DEP_4) | instskip(SKIP_2) | instid1(VALU_DEP_4)
	v_dual_mul_f32 v23, v30, v23 :: v_dual_add_f32 v20, v21, v54
	v_fmac_f32_e32 v25, v31, v24
	v_dual_add_f32 v21, v18, v26 :: v_dual_add_f32 v26, v19, v56
	v_fma_f32 v27, v30, v22, -v57
	s_delay_alu instid0(VALU_DEP_4) | instskip(SKIP_3) | instid1(VALU_DEP_2)
	v_fmac_f32_e32 v23, v31, v22
	v_fma_f32 v22, v30, v24, -v58
	s_waitcnt lgkmcnt(1)
	v_mul_f32_e32 v30, v29, v47
	v_dual_add_f32 v27, v16, v27 :: v_dual_add_f32 v14, v14, v22
	v_dual_mul_f32 v22, v28, v47 :: v_dual_add_f32 v15, v15, v25
	v_mul_f32_e32 v25, v28, v49
	s_delay_alu instid0(VALU_DEP_4) | instskip(NEXT) | instid1(VALU_DEP_3)
	v_fma_f32 v24, v28, v46, -v30
	v_fmac_f32_e32 v22, v29, v46
	v_add_f32_e32 v23, v17, v23
	ds_load_2addr_b64 v[16:19], v9 offset0:64 offset1:80
	v_mul_f32_e32 v30, v29, v49
	v_fmac_f32_e32 v25, v29, v48
	v_add_f32_e32 v1, v1, v24
	s_delay_alu instid0(VALU_DEP_2) | instskip(SKIP_1) | instid1(VALU_DEP_1)
	v_add_f32_e32 v25, v26, v25
	v_mul_f32_e32 v26, v32, v49
	v_fmac_f32_e32 v26, v33, v48
	s_waitcnt lgkmcnt(0)
	s_delay_alu instid0(VALU_DEP_1) | instskip(SKIP_1) | instid1(VALU_DEP_2)
	v_dual_add_f32 v26, v15, v26 :: v_dual_mul_f32 v29, v34, v17
	v_mul_f32_e32 v15, v34, v19
	v_fmac_f32_e32 v29, v35, v16
	v_fma_f32 v24, v28, v48, -v30
	v_mul_f32_e32 v28, v33, v47
	v_add_f32_e32 v30, v20, v22
	v_mul_f32_e32 v20, v32, v47
	v_mul_f32_e32 v22, v33, v49
	v_add_f32_e32 v24, v21, v24
	v_fma_f32 v21, v32, v46, -v28
	s_delay_alu instid0(VALU_DEP_4) | instskip(SKIP_1) | instid1(VALU_DEP_3)
	v_dual_add_f32 v29, v30, v29 :: v_dual_fmac_f32 v20, v33, v46
	v_fmac_f32_e32 v15, v35, v18
	v_add_f32_e32 v27, v27, v21
	v_fma_f32 v21, v32, v48, -v22
	v_mul_f32_e32 v22, v35, v17
	v_mul_f32_e32 v32, v35, v19
	v_add_f32_e32 v28, v23, v20
	s_delay_alu instid0(VALU_DEP_4) | instskip(NEXT) | instid1(VALU_DEP_4)
	v_add_f32_e32 v14, v14, v21
	v_fma_f32 v31, v34, v16, -v22
	ds_load_2addr_b64 v[20:23], v9 offset0:96 offset1:112
	v_add_f32_e32 v1, v1, v31
	v_fma_f32 v31, v34, v18, -v32
	s_delay_alu instid0(VALU_DEP_1) | instskip(SKIP_3) | instid1(VALU_DEP_3)
	v_add_f32_e32 v24, v24, v31
	v_mul_f32_e32 v31, v51, v19
	v_mul_f32_e32 v19, v50, v19
	v_add_f32_e32 v32, v25, v15
	v_fma_f32 v15, v50, v18, -v31
	s_delay_alu instid0(VALU_DEP_3)
	v_fmac_f32_e32 v19, v51, v18
	v_mul_f32_e32 v30, v51, v17
	v_mul_f32_e32 v17, v50, v17
	s_waitcnt lgkmcnt(0)
	v_dual_mul_f32 v18, v37, v21 :: v_dual_add_f32 v31, v14, v15
	v_add_f32_e32 v33, v26, v19
	v_fma_f32 v30, v50, v16, -v30
	v_fmac_f32_e32 v17, v51, v16
	s_delay_alu instid0(VALU_DEP_4) | instskip(SKIP_1) | instid1(VALU_DEP_4)
	v_fma_f32 v18, v36, v20, -v18
	v_mul_f32_e32 v25, v36, v21
	v_dual_mul_f32 v19, v36, v23 :: v_dual_add_f32 v30, v27, v30
	s_delay_alu instid0(VALU_DEP_4) | instskip(SKIP_4) | instid1(VALU_DEP_2)
	v_add_f32_e32 v28, v28, v17
	ds_load_2addr_b64 v[14:17], v9 offset0:128 offset1:144
	v_add_f32_e32 v1, v1, v18
	v_mul_f32_e32 v18, v53, v21
	v_fmac_f32_e32 v19, v37, v22
	v_fma_f32 v18, v52, v20, -v18
	v_mul_f32_e32 v27, v37, v23
	s_delay_alu instid0(VALU_DEP_1) | instskip(NEXT) | instid1(VALU_DEP_3)
	v_fma_f32 v26, v36, v22, -v27
	v_add_f32_e32 v36, v30, v18
	s_waitcnt lgkmcnt(0)
	s_delay_alu instid0(VALU_DEP_2) | instskip(SKIP_2) | instid1(VALU_DEP_3)
	v_dual_add_f32 v35, v24, v26 :: v_dual_mul_f32 v46, v38, v15
	v_dual_fmac_f32 v25, v37, v20 :: v_dual_add_f32 v32, v32, v19
	v_mul_f32_e32 v18, v39, v15
	v_fmac_f32_e32 v46, v39, v14
	s_delay_alu instid0(VALU_DEP_3)
	v_add_f32_e32 v34, v29, v25
	v_mul_f32_e32 v29, v53, v23
	v_mul_f32_e32 v23, v52, v23
	ds_load_b128 v[24:27], v10 offset:1056
	v_add_f32_e32 v34, v34, v46
	v_fma_f32 v19, v52, v22, -v29
	v_mul_f32_e32 v21, v52, v21
	v_fmac_f32_e32 v23, v53, v22
	v_mul_f32_e32 v29, v39, v17
	s_delay_alu instid0(VALU_DEP_3) | instskip(NEXT) | instid1(VALU_DEP_3)
	v_dual_add_f32 v22, v31, v19 :: v_dual_fmac_f32 v21, v53, v20
	v_add_f32_e32 v23, v33, v23
	s_delay_alu instid0(VALU_DEP_2) | instskip(SKIP_4) | instid1(VALU_DEP_2)
	v_add_f32_e32 v37, v28, v21
	v_fma_f32 v28, v38, v14, -v18
	ds_load_2addr_b64 v[18:21], v9 offset0:160 offset1:176
	v_mul_f32_e32 v33, v38, v17
	v_fma_f32 v38, v38, v16, -v29
	v_fmac_f32_e32 v33, v39, v16
	s_delay_alu instid0(VALU_DEP_1)
	v_dual_add_f32 v35, v35, v38 :: v_dual_add_f32 v32, v32, v33
	v_add_f32_e32 v1, v1, v28
	ds_load_b128 v[28:31], v10 offset:1072
	s_waitcnt lgkmcnt(2)
	v_mul_f32_e32 v47, v25, v15
	v_mul_f32_e32 v15, v24, v15
	;; [unrolled: 1-line block ×4, first 2 shown]
	s_delay_alu instid0(VALU_DEP_4) | instskip(NEXT) | instid1(VALU_DEP_4)
	v_fma_f32 v38, v24, v14, -v47
	v_fmac_f32_e32 v15, v25, v14
	s_delay_alu instid0(VALU_DEP_4)
	v_fma_f32 v14, v24, v16, -v39
	s_waitcnt lgkmcnt(1)
	v_mul_f32_e32 v17, v41, v19
	v_dual_fmac_f32 v33, v25, v16 :: v_dual_add_f32 v36, v36, v38
	v_add_f32_e32 v24, v37, v15
	v_add_f32_e32 v22, v22, v14
	s_delay_alu instid0(VALU_DEP_4) | instskip(SKIP_2) | instid1(VALU_DEP_1)
	v_fma_f32 v37, v40, v18, -v17
	ds_load_2addr_b64 v[14:17], v9 offset0:192 offset1:208
	v_dual_mul_f32 v25, v40, v19 :: v_dual_mul_f32 v38, v41, v21
	v_fmac_f32_e32 v25, v41, v18
	s_delay_alu instid0(VALU_DEP_1) | instskip(SKIP_4) | instid1(VALU_DEP_3)
	v_add_f32_e32 v34, v34, v25
	v_add_f32_e32 v33, v23, v33
	v_mul_f32_e32 v23, v40, v21
	v_mul_f32_e32 v25, v27, v19
	;; [unrolled: 1-line block ×3, first 2 shown]
	v_fmac_f32_e32 v23, v41, v20
	s_delay_alu instid0(VALU_DEP_3) | instskip(NEXT) | instid1(VALU_DEP_2)
	v_fma_f32 v25, v26, v18, -v25
	v_dual_fmac_f32 v19, v27, v18 :: v_dual_add_f32 v18, v32, v23
	s_waitcnt lgkmcnt(0)
	v_dual_mul_f32 v32, v43, v15 :: v_dual_add_f32 v1, v1, v37
	v_fma_f32 v37, v40, v20, -v38
	s_delay_alu instid0(VALU_DEP_3) | instskip(NEXT) | instid1(VALU_DEP_3)
	v_add_f32_e32 v19, v24, v19
	v_fma_f32 v32, v42, v14, -v32
	s_delay_alu instid0(VALU_DEP_1) | instskip(NEXT) | instid1(VALU_DEP_4)
	v_add_f32_e32 v1, v1, v32
	v_add_f32_e32 v35, v35, v37
	v_mul_f32_e32 v37, v27, v21
	v_dual_mul_f32 v21, v26, v21 :: v_dual_mul_f32 v32, v29, v15
	s_delay_alu instid0(VALU_DEP_2) | instskip(NEXT) | instid1(VALU_DEP_2)
	v_fma_f32 v23, v26, v20, -v37
	v_dual_add_f32 v26, v36, v25 :: v_dual_fmac_f32 v21, v27, v20
	v_mul_f32_e32 v27, v42, v15
	v_mul_f32_e32 v15, v28, v15
	s_delay_alu instid0(VALU_DEP_4)
	v_add_f32_e32 v20, v22, v23
	ds_load_2addr_b64 v[22:25], v9 offset0:224 offset1:240
	v_fma_f32 v32, v28, v14, -v32
	v_dual_fmac_f32 v27, v43, v14 :: v_dual_mul_f32 v36, v42, v17
	v_fmac_f32_e32 v15, v29, v14
	s_waitcnt lgkmcnt(0)
	s_delay_alu instid0(VALU_DEP_3) | instskip(NEXT) | instid1(VALU_DEP_3)
	v_add_f32_e32 v14, v26, v32
	v_dual_add_f32 v27, v34, v27 :: v_dual_fmac_f32 v36, v43, v16
	s_delay_alu instid0(VALU_DEP_3)
	v_dual_mul_f32 v34, v29, v17 :: v_dual_add_f32 v15, v19, v15
	s_barrier
	buffer_gl0_inv
	v_mul_f32_e32 v26, v45, v23
	v_add_f32_e32 v21, v33, v21
	v_mul_f32_e32 v33, v43, v17
	v_mul_f32_e32 v17, v28, v17
	;; [unrolled: 1-line block ×3, first 2 shown]
	s_delay_alu instid0(VALU_DEP_3) | instskip(NEXT) | instid1(VALU_DEP_3)
	v_fma_f32 v33, v42, v16, -v33
	v_fmac_f32_e32 v17, v29, v16
	s_delay_alu instid0(VALU_DEP_3) | instskip(NEXT) | instid1(VALU_DEP_3)
	v_fmac_f32_e32 v19, v45, v24
	v_add_f32_e32 v33, v35, v33
	v_add_f32_e32 v35, v18, v36
	v_fma_f32 v18, v28, v16, -v34
	v_fma_f32 v16, v44, v22, -v26
	v_mul_f32_e32 v28, v44, v23
	v_dual_add_f32 v26, v21, v17 :: v_dual_mul_f32 v17, v30, v23
	s_delay_alu instid0(VALU_DEP_4) | instskip(NEXT) | instid1(VALU_DEP_4)
	v_dual_add_f32 v29, v20, v18 :: v_dual_mul_f32 v18, v45, v25
	v_add_f32_e32 v20, v1, v16
	v_mul_f32_e32 v16, v31, v23
	v_mul_f32_e32 v23, v31, v25
	;; [unrolled: 1-line block ×3, first 2 shown]
	v_fma_f32 v1, v44, v24, -v18
	v_fmac_f32_e32 v28, v45, v22
	v_fmac_f32_e32 v17, v31, v22
	v_add_f32_e32 v19, v35, v19
	s_delay_alu instid0(VALU_DEP_4)
	v_dual_fmac_f32 v25, v31, v24 :: v_dual_add_f32 v18, v33, v1
	v_fma_f32 v1, v30, v22, -v16
	v_fma_f32 v22, v30, v24, -v23
	v_add_f32_e32 v21, v27, v28
	v_add_f32_e32 v17, v15, v17
	;; [unrolled: 1-line block ×5, first 2 shown]
	s_cbranch_vccnz .LBB1294_11
.LBB1294_3:                             ; =>This Inner Loop Header: Depth=1
	v_add_co_u32 v22, s6, v11, s4
	s_delay_alu instid0(VALU_DEP_1) | instskip(NEXT) | instid1(VALU_DEP_1)
	v_add_co_ci_u32_e64 v23, null, 0, s5, s6
	v_cmp_le_i64_e32 vcc_lo, s[16:17], v[22:23]
	s_or_b32 s6, s3, vcc_lo
	s_delay_alu instid0(SALU_CYCLE_1) | instskip(NEXT) | instid1(SALU_CYCLE_1)
	s_and_saveexec_b32 s7, s6
	s_xor_b32 s6, exec_lo, s7
	s_cbranch_execz .LBB1294_5
; %bb.4:                                ;   in Loop: Header=BB1294_3 Depth=1
	v_mov_b32_e32 v1, v0
	ds_store_b64 v12, v[0:1]
.LBB1294_5:                             ;   in Loop: Header=BB1294_3 Depth=1
	s_and_not1_saveexec_b32 s6, s6
	s_cbranch_execz .LBB1294_7
; %bb.6:                                ;   in Loop: Header=BB1294_3 Depth=1
	global_load_b64 v[22:23], v[2:3], off
	s_waitcnt vmcnt(0)
	ds_store_b64 v12, v[22:23]
.LBB1294_7:                             ;   in Loop: Header=BB1294_3 Depth=1
	s_or_b32 exec_lo, exec_lo, s6
	v_add_co_u32 v22, s6, v8, s4
	s_delay_alu instid0(VALU_DEP_1) | instskip(NEXT) | instid1(VALU_DEP_1)
	v_add_co_ci_u32_e64 v23, null, 0, s5, s6
	v_cmp_le_i64_e32 vcc_lo, s[16:17], v[22:23]
	s_or_b32 s6, vcc_lo, s2
	s_delay_alu instid0(SALU_CYCLE_1) | instskip(NEXT) | instid1(SALU_CYCLE_1)
	s_and_saveexec_b32 s7, s6
	s_xor_b32 s6, exec_lo, s7
	s_cbranch_execz .LBB1294_9
; %bb.8:                                ;   in Loop: Header=BB1294_3 Depth=1
	v_mov_b32_e32 v1, v0
	ds_store_b64 v13, v[0:1]
.LBB1294_9:                             ;   in Loop: Header=BB1294_3 Depth=1
	s_and_not1_saveexec_b32 s6, s6
	s_cbranch_execz .LBB1294_2
; %bb.10:                               ;   in Loop: Header=BB1294_3 Depth=1
	global_load_b64 v[22:23], v[4:5], off
	s_waitcnt vmcnt(0)
	ds_store_b64 v13, v[22:23]
	s_branch .LBB1294_2
.LBB1294_11:
	s_clause 0x1
	s_load_b128 s[4:7], s[0:1], 0x50
	s_load_b64 s[2:3], s[0:1], 0x60
	v_add_nc_u32_e32 v5, s10, v7
	s_delay_alu instid0(VALU_DEP_1) | instskip(SKIP_1) | instid1(VALU_DEP_1)
	v_ashrrev_i32_e32 v0, 31, v5
	s_waitcnt lgkmcnt(0)
	v_mul_lo_u32 v3, v0, s6
	v_mul_lo_u32 v4, v5, s7
	v_mad_u64_u32 v[1:2], null, v5, s6, 0
	s_mul_i32 s1, s15, s3
	s_mul_hi_u32 s3, s15, s2
	s_mul_i32 s2, s15, s2
	s_add_i32 s3, s3, s1
	v_add_nc_u32_e32 v0, s9, v6
	s_lshl_b64 s[2:3], s[2:3], 3
	s_delay_alu instid0(VALU_DEP_2)
	v_add3_u32 v2, v2, v4, v3
	s_add_u32 s2, s4, s2
	s_addc_u32 s3, s5, s3
	v_cmp_le_i32_e64 s0, v5, v0
	v_cmp_gt_i32_e32 vcc_lo, s8, v0
	v_lshlrev_b64 v[1:2], 3, v[1:2]
	s_delay_alu instid0(VALU_DEP_3) | instskip(NEXT) | instid1(VALU_DEP_1)
	s_and_b32 s0, s0, vcc_lo
	v_add_co_u32 v4, s1, s2, v1
	s_delay_alu instid0(VALU_DEP_1)
	v_add_co_ci_u32_e64 v6, s1, s3, v2, s1
	s_and_saveexec_b32 s1, s0
	s_cbranch_execz .LBB1294_14
; %bb.12:
	v_ashrrev_i32_e32 v1, 31, v0
	v_mul_f32_e32 v8, s18, v21
	v_mul_f32_e32 v3, s19, v21
	s_delay_alu instid0(VALU_DEP_3) | instskip(NEXT) | instid1(VALU_DEP_3)
	v_lshlrev_b64 v[1:2], 3, v[0:1]
	v_fmac_f32_e32 v8, s19, v20
	s_delay_alu instid0(VALU_DEP_3) | instskip(NEXT) | instid1(VALU_DEP_3)
	v_fma_f32 v7, v20, s18, -v3
	v_add_co_u32 v1, s0, v4, v1
	s_delay_alu instid0(VALU_DEP_1)
	v_add_co_ci_u32_e64 v2, s0, v6, v2, s0
	v_cmp_eq_u32_e64 s0, v5, v0
	global_store_b64 v[1:2], v[7:8], off
	s_and_b32 exec_lo, exec_lo, s0
	s_cbranch_execz .LBB1294_14
; %bb.13:
	v_mov_b32_e32 v3, 0
	global_store_b32 v[1:2], v3, off offset:4
.LBB1294_14:
	s_or_b32 exec_lo, exec_lo, s1
	v_add_nc_u32_e32 v2, 16, v0
	s_delay_alu instid0(VALU_DEP_1) | instskip(SKIP_1) | instid1(VALU_DEP_1)
	v_cmp_le_i32_e64 s1, v5, v2
	v_cmp_gt_i32_e64 s0, s8, v2
	s_and_b32 s1, s1, s0
	s_delay_alu instid0(SALU_CYCLE_1)
	s_and_saveexec_b32 s4, s1
	s_cbranch_execz .LBB1294_17
; %bb.15:
	v_ashrrev_i32_e32 v3, 31, v2
	v_mul_f32_e32 v8, s18, v19
	v_mul_f32_e32 v1, s19, v19
	s_delay_alu instid0(VALU_DEP_3) | instskip(NEXT) | instid1(VALU_DEP_3)
	v_lshlrev_b64 v[9:10], 3, v[2:3]
	v_fmac_f32_e32 v8, s19, v18
	s_delay_alu instid0(VALU_DEP_3) | instskip(NEXT) | instid1(VALU_DEP_3)
	v_fma_f32 v7, v18, s18, -v1
	v_add_co_u32 v3, s1, v4, v9
	s_delay_alu instid0(VALU_DEP_1)
	v_add_co_ci_u32_e64 v4, s1, v6, v10, s1
	v_cmp_eq_u32_e64 s1, v5, v2
	global_store_b64 v[3:4], v[7:8], off
	s_and_b32 exec_lo, exec_lo, s1
	s_cbranch_execz .LBB1294_17
; %bb.16:
	v_mov_b32_e32 v1, 0
	global_store_b32 v[3:4], v1, off offset:4
.LBB1294_17:
	s_or_b32 exec_lo, exec_lo, s4
	v_add_nc_u32_e32 v8, 16, v5
	s_delay_alu instid0(VALU_DEP_1) | instskip(SKIP_3) | instid1(VALU_DEP_4)
	v_ashrrev_i32_e32 v1, 31, v8
	v_mul_lo_u32 v6, v8, s7
	v_mad_u64_u32 v[3:4], null, v8, s6, 0
	v_cmp_le_i32_e64 s1, v8, v0
	v_mul_lo_u32 v1, v1, s6
	s_delay_alu instid0(VALU_DEP_1) | instskip(NEXT) | instid1(VALU_DEP_1)
	v_add3_u32 v4, v4, v6, v1
	v_lshlrev_b64 v[3:4], 3, v[3:4]
	s_delay_alu instid0(VALU_DEP_1) | instskip(NEXT) | instid1(VALU_DEP_1)
	v_add_co_u32 v6, s2, s2, v3
	v_add_co_ci_u32_e64 v7, s2, s3, v4, s2
	s_and_b32 s2, s1, vcc_lo
	s_delay_alu instid0(SALU_CYCLE_1)
	s_and_saveexec_b32 s1, s2
	s_cbranch_execz .LBB1294_20
; %bb.18:
	v_ashrrev_i32_e32 v1, 31, v0
	v_mul_f32_e32 v10, s18, v17
	v_mul_f32_e32 v9, s19, v17
	s_delay_alu instid0(VALU_DEP_3) | instskip(NEXT) | instid1(VALU_DEP_3)
	v_lshlrev_b64 v[3:4], 3, v[0:1]
	v_fmac_f32_e32 v10, s19, v16
	s_delay_alu instid0(VALU_DEP_3) | instskip(NEXT) | instid1(VALU_DEP_3)
	v_fma_f32 v9, v16, s18, -v9
	v_add_co_u32 v3, vcc_lo, v6, v3
	s_delay_alu instid0(VALU_DEP_4)
	v_add_co_ci_u32_e32 v4, vcc_lo, v7, v4, vcc_lo
	v_cmp_eq_u32_e32 vcc_lo, v8, v0
	global_store_b64 v[3:4], v[9:10], off
	s_and_b32 exec_lo, exec_lo, vcc_lo
	s_cbranch_execz .LBB1294_20
; %bb.19:
	v_mov_b32_e32 v1, 0
	global_store_b32 v[3:4], v1, off offset:4
.LBB1294_20:
	s_or_b32 exec_lo, exec_lo, s1
	v_cmp_le_i32_e32 vcc_lo, v8, v2
	s_and_b32 s0, vcc_lo, s0
	s_delay_alu instid0(SALU_CYCLE_1)
	s_and_saveexec_b32 s1, s0
	s_cbranch_execz .LBB1294_23
; %bb.21:
	v_ashrrev_i32_e32 v3, 31, v2
	v_mul_f32_e32 v8, s19, v15
	v_mul_f32_e32 v4, s18, v15
	s_delay_alu instid0(VALU_DEP_3) | instskip(NEXT) | instid1(VALU_DEP_3)
	v_lshlrev_b64 v[1:2], 3, v[2:3]
	v_fma_f32 v3, v14, s18, -v8
	s_delay_alu instid0(VALU_DEP_3) | instskip(NEXT) | instid1(VALU_DEP_3)
	v_fmac_f32_e32 v4, s19, v14
	v_add_co_u32 v1, vcc_lo, v6, v1
	s_delay_alu instid0(VALU_DEP_4)
	v_add_co_ci_u32_e32 v2, vcc_lo, v7, v2, vcc_lo
	v_cmp_eq_u32_e32 vcc_lo, v5, v0
	global_store_b64 v[1:2], v[3:4], off
	s_and_b32 exec_lo, exec_lo, vcc_lo
	s_cbranch_execz .LBB1294_23
; %bb.22:
	v_mov_b32_e32 v0, 0
	global_store_b32 v[1:2], v0, off offset:4
.LBB1294_23:
	s_nop 0
	s_sendmsg sendmsg(MSG_DEALLOC_VGPRS)
	s_endpgm
	.section	.rodata,"a",@progbits
	.p2align	6, 0x0
	.amdhsa_kernel _ZL34rocblas_syrkx_herkx_general_kernelIl19rocblas_complex_numIfELi16ELi32ELi8ELb1ELb1ELc84ELc76EKS1_S1_EviT_T0_PT8_S3_lS6_S3_lS4_PT9_S3_li
		.amdhsa_group_segment_fixed_size 4096
		.amdhsa_private_segment_fixed_size 0
		.amdhsa_kernarg_size 108
		.amdhsa_user_sgpr_count 13
		.amdhsa_user_sgpr_dispatch_ptr 0
		.amdhsa_user_sgpr_queue_ptr 0
		.amdhsa_user_sgpr_kernarg_segment_ptr 1
		.amdhsa_user_sgpr_dispatch_id 0
		.amdhsa_user_sgpr_private_segment_size 0
		.amdhsa_wavefront_size32 1
		.amdhsa_uses_dynamic_stack 0
		.amdhsa_enable_private_segment 0
		.amdhsa_system_sgpr_workgroup_id_x 1
		.amdhsa_system_sgpr_workgroup_id_y 1
		.amdhsa_system_sgpr_workgroup_id_z 1
		.amdhsa_system_sgpr_workgroup_info 0
		.amdhsa_system_vgpr_workitem_id 1
		.amdhsa_next_free_vgpr 59
		.amdhsa_next_free_sgpr 32
		.amdhsa_reserve_vcc 1
		.amdhsa_float_round_mode_32 0
		.amdhsa_float_round_mode_16_64 0
		.amdhsa_float_denorm_mode_32 3
		.amdhsa_float_denorm_mode_16_64 3
		.amdhsa_dx10_clamp 1
		.amdhsa_ieee_mode 1
		.amdhsa_fp16_overflow 0
		.amdhsa_workgroup_processor_mode 1
		.amdhsa_memory_ordered 1
		.amdhsa_forward_progress 0
		.amdhsa_shared_vgpr_count 0
		.amdhsa_exception_fp_ieee_invalid_op 0
		.amdhsa_exception_fp_denorm_src 0
		.amdhsa_exception_fp_ieee_div_zero 0
		.amdhsa_exception_fp_ieee_overflow 0
		.amdhsa_exception_fp_ieee_underflow 0
		.amdhsa_exception_fp_ieee_inexact 0
		.amdhsa_exception_int_div_zero 0
	.end_amdhsa_kernel
	.section	.text._ZL34rocblas_syrkx_herkx_general_kernelIl19rocblas_complex_numIfELi16ELi32ELi8ELb1ELb1ELc84ELc76EKS1_S1_EviT_T0_PT8_S3_lS6_S3_lS4_PT9_S3_li,"axG",@progbits,_ZL34rocblas_syrkx_herkx_general_kernelIl19rocblas_complex_numIfELi16ELi32ELi8ELb1ELb1ELc84ELc76EKS1_S1_EviT_T0_PT8_S3_lS6_S3_lS4_PT9_S3_li,comdat
.Lfunc_end1294:
	.size	_ZL34rocblas_syrkx_herkx_general_kernelIl19rocblas_complex_numIfELi16ELi32ELi8ELb1ELb1ELc84ELc76EKS1_S1_EviT_T0_PT8_S3_lS6_S3_lS4_PT9_S3_li, .Lfunc_end1294-_ZL34rocblas_syrkx_herkx_general_kernelIl19rocblas_complex_numIfELi16ELi32ELi8ELb1ELb1ELc84ELc76EKS1_S1_EviT_T0_PT8_S3_lS6_S3_lS4_PT9_S3_li
                                        ; -- End function
	.section	.AMDGPU.csdata,"",@progbits
; Kernel info:
; codeLenInByte = 2664
; NumSgprs: 34
; NumVgprs: 59
; ScratchSize: 0
; MemoryBound: 1
; FloatMode: 240
; IeeeMode: 1
; LDSByteSize: 4096 bytes/workgroup (compile time only)
; SGPRBlocks: 4
; VGPRBlocks: 7
; NumSGPRsForWavesPerEU: 34
; NumVGPRsForWavesPerEU: 59
; Occupancy: 16
; WaveLimiterHint : 0
; COMPUTE_PGM_RSRC2:SCRATCH_EN: 0
; COMPUTE_PGM_RSRC2:USER_SGPR: 13
; COMPUTE_PGM_RSRC2:TRAP_HANDLER: 0
; COMPUTE_PGM_RSRC2:TGID_X_EN: 1
; COMPUTE_PGM_RSRC2:TGID_Y_EN: 1
; COMPUTE_PGM_RSRC2:TGID_Z_EN: 1
; COMPUTE_PGM_RSRC2:TIDIG_COMP_CNT: 1
	.section	.text._ZL34rocblas_syrkx_herkx_general_kernelIl19rocblas_complex_numIfELi16ELi32ELi8ELb1ELb1ELc67ELc76EKS1_S1_EviT_T0_PT8_S3_lS6_S3_lS4_PT9_S3_li,"axG",@progbits,_ZL34rocblas_syrkx_herkx_general_kernelIl19rocblas_complex_numIfELi16ELi32ELi8ELb1ELb1ELc67ELc76EKS1_S1_EviT_T0_PT8_S3_lS6_S3_lS4_PT9_S3_li,comdat
	.globl	_ZL34rocblas_syrkx_herkx_general_kernelIl19rocblas_complex_numIfELi16ELi32ELi8ELb1ELb1ELc67ELc76EKS1_S1_EviT_T0_PT8_S3_lS6_S3_lS4_PT9_S3_li ; -- Begin function _ZL34rocblas_syrkx_herkx_general_kernelIl19rocblas_complex_numIfELi16ELi32ELi8ELb1ELb1ELc67ELc76EKS1_S1_EviT_T0_PT8_S3_lS6_S3_lS4_PT9_S3_li
	.p2align	8
	.type	_ZL34rocblas_syrkx_herkx_general_kernelIl19rocblas_complex_numIfELi16ELi32ELi8ELb1ELb1ELc67ELc76EKS1_S1_EviT_T0_PT8_S3_lS6_S3_lS4_PT9_S3_li,@function
_ZL34rocblas_syrkx_herkx_general_kernelIl19rocblas_complex_numIfELi16ELi32ELi8ELb1ELb1ELc67ELc76EKS1_S1_EviT_T0_PT8_S3_lS6_S3_lS4_PT9_S3_li: ; @_ZL34rocblas_syrkx_herkx_general_kernelIl19rocblas_complex_numIfELi16ELi32ELi8ELb1ELb1ELc67ELc76EKS1_S1_EviT_T0_PT8_S3_lS6_S3_lS4_PT9_S3_li
; %bb.0:
	s_clause 0x1
	s_load_b512 s[16:31], s[0:1], 0x8
	s_load_b32 s8, s[0:1], 0x0
	v_dual_mov_b32 v20, 0 :: v_dual_mov_b32 v21, 0
	v_dual_mov_b32 v18, 0 :: v_dual_mov_b32 v19, 0
	;; [unrolled: 1-line block ×4, first 2 shown]
	v_and_b32_e32 v6, 0x3ff, v0
	v_bfe_u32 v7, v0, 10, 10
	s_lshl_b32 s9, s13, 5
	s_lshl_b32 s10, s14, 5
	s_waitcnt lgkmcnt(0)
	v_cmp_lt_i64_e64 s2, s[16:17], 1
	s_delay_alu instid0(VALU_DEP_1)
	s_and_b32 vcc_lo, exec_lo, s2
	s_cbranch_vccnz .LBB1295_11
; %bb.1:
	v_lshl_add_u32 v1, v7, 4, v6
	v_mov_b32_e32 v0, 0
	v_and_b32_e32 v8, 7, v6
	s_mul_i32 s3, s25, s15
	s_mul_hi_u32 s4, s24, s15
	v_and_b32_e32 v3, 31, v1
	v_lshrrev_b32_e32 v5, 3, v1
	v_lshrrev_b32_e32 v11, 5, v1
	v_lshlrev_b32_e32 v15, 3, v8
	s_mul_i32 s2, s24, s15
	v_add_nc_u32_e32 v4, s9, v3
	v_add_nc_u32_e32 v13, s10, v5
	v_or_b32_e32 v16, s9, v3
	v_dual_mov_b32 v20, 0 :: v_dual_lshlrev_b32 v17, 3, v3
	s_delay_alu instid0(VALU_DEP_4) | instskip(SKIP_3) | instid1(VALU_DEP_4)
	v_ashrrev_i32_e32 v12, 31, v4
	v_mul_lo_u32 v14, s23, v4
	v_mad_u64_u32 v[1:2], null, s22, v4, 0
	v_ashrrev_i32_e32 v18, 31, v13
	v_mul_lo_u32 v12, s22, v12
	v_mul_lo_u32 v19, s29, v13
	v_mad_u64_u32 v[3:4], null, s28, v13, 0
	s_add_i32 s3, s4, s3
	v_cmp_gt_i32_e32 vcc_lo, s8, v16
	s_lshl_b64 s[4:5], s[2:3], 3
	v_cmp_gt_i32_e64 s2, s8, v13
	v_add3_u32 v2, v2, v12, v14
	v_mul_lo_u32 v14, s28, v18
	v_mov_b32_e32 v18, 0
	v_lshl_or_b32 v5, v5, 6, v15
	v_lshlrev_b32_e32 v16, 3, v11
	v_lshlrev_b64 v[1:2], 3, v[1:2]
	v_lshlrev_b32_e32 v9, 3, v6
	v_lshl_add_u32 v10, v7, 6, 0x800
	v_add_nc_u32_e32 v13, 0x800, v5
	v_add3_u32 v4, v4, v14, v19
	v_mov_b32_e32 v19, 0
	v_add_co_u32 v5, s3, v1, s4
	s_delay_alu instid0(VALU_DEP_1)
	v_add_co_ci_u32_e64 v14, s3, s5, v2, s3
	s_mul_i32 s3, s31, s15
	s_mul_hi_u32 s4, s30, s15
	v_lshlrev_b64 v[1:2], 3, v[3:4]
	s_add_i32 s5, s4, s3
	s_mul_i32 s4, s30, s15
	v_add_co_u32 v3, s3, v5, v16
	s_lshl_b64 s[4:5], s[4:5], 3
	v_add_co_ci_u32_e64 v4, s3, 0, v14, s3
	v_mov_b32_e32 v14, 0
	v_add_co_u32 v1, s3, v1, s4
	s_delay_alu instid0(VALU_DEP_1) | instskip(SKIP_1) | instid1(VALU_DEP_1)
	v_add_co_ci_u32_e64 v2, s3, s5, v2, s3
	v_add_co_u32 v3, s3, v3, s20
	v_add_co_ci_u32_e64 v4, s3, s21, v4, s3
	s_delay_alu instid0(VALU_DEP_4) | instskip(NEXT) | instid1(VALU_DEP_1)
	v_add_co_u32 v1, s3, v1, v15
	v_add_co_ci_u32_e64 v5, s3, 0, v2, s3
	s_delay_alu instid0(VALU_DEP_4) | instskip(NEXT) | instid1(VALU_DEP_1)
	v_add_co_u32 v2, s3, v3, 4
	v_add_co_ci_u32_e64 v3, s3, 0, v4, s3
	s_delay_alu instid0(VALU_DEP_4)
	v_add_co_u32 v4, s3, s26, v1
	v_lshl_or_b32 v12, v11, 8, v17
	v_add_co_ci_u32_e64 v5, s3, s27, v5, s3
	v_mov_b32_e32 v15, 0
	v_dual_mov_b32 v17, 0 :: v_dual_mov_b32 v16, 0
	v_mov_b32_e32 v21, 0
	s_mov_b64 s[4:5], 0
	s_xor_b32 s3, vcc_lo, -1
	s_xor_b32 s2, s2, -1
	s_branch .LBB1295_3
.LBB1295_2:                             ;   in Loop: Header=BB1295_3 Depth=1
	s_or_b32 exec_lo, exec_lo, s6
	s_waitcnt lgkmcnt(0)
	s_barrier
	buffer_gl0_inv
	ds_load_2addr_b64 v[22:25], v9 offset1:16
	ds_load_b128 v[26:29], v10
	ds_load_b128 v[30:33], v10 offset:1024
	ds_load_b128 v[34:37], v10 offset:16
	;; [unrolled: 1-line block ×4, first 2 shown]
	ds_load_2addr_b64 v[46:49], v9 offset0:32 offset1:48
	ds_load_b128 v[50:53], v10 offset:1040
	s_add_u32 s4, s4, 8
	s_addc_u32 s5, s5, 0
	v_add_co_u32 v2, vcc_lo, v2, 64
	v_cmp_ge_i64_e64 s6, s[4:5], s[16:17]
	v_add_co_ci_u32_e32 v3, vcc_lo, 0, v3, vcc_lo
	v_add_co_u32 v4, vcc_lo, v4, 64
	v_add_co_ci_u32_e32 v5, vcc_lo, 0, v5, vcc_lo
	s_delay_alu instid0(VALU_DEP_4)
	s_and_b32 vcc_lo, exec_lo, s6
	s_waitcnt lgkmcnt(6)
	v_dual_mul_f32 v1, v27, v23 :: v_dual_mul_f32 v56, v26, v25
	v_dual_mul_f32 v54, v26, v23 :: v_dual_mul_f32 v55, v27, v25
	s_waitcnt lgkmcnt(5)
	v_mul_f32_e32 v58, v31, v25
	s_delay_alu instid0(VALU_DEP_3) | instskip(SKIP_3) | instid1(VALU_DEP_4)
	v_fma_f32 v1, v26, v22, -v1
	v_dual_mul_f32 v25, v30, v25 :: v_dual_fmac_f32 v56, v27, v24
	v_fmac_f32_e32 v54, v27, v22
	v_fma_f32 v26, v26, v24, -v55
	v_add_f32_e32 v1, v20, v1
	v_mul_f32_e32 v57, v31, v23
	s_delay_alu instid0(VALU_DEP_4) | instskip(SKIP_2) | instid1(VALU_DEP_4)
	v_dual_mul_f32 v23, v30, v23 :: v_dual_add_f32 v20, v21, v54
	v_fmac_f32_e32 v25, v31, v24
	v_dual_add_f32 v21, v18, v26 :: v_dual_add_f32 v26, v19, v56
	v_fma_f32 v27, v30, v22, -v57
	s_delay_alu instid0(VALU_DEP_4) | instskip(SKIP_3) | instid1(VALU_DEP_2)
	v_fmac_f32_e32 v23, v31, v22
	v_fma_f32 v22, v30, v24, -v58
	s_waitcnt lgkmcnt(1)
	v_mul_f32_e32 v30, v29, v47
	v_dual_add_f32 v27, v16, v27 :: v_dual_add_f32 v14, v14, v22
	v_dual_mul_f32 v22, v28, v47 :: v_dual_add_f32 v15, v15, v25
	v_mul_f32_e32 v25, v28, v49
	s_delay_alu instid0(VALU_DEP_4) | instskip(NEXT) | instid1(VALU_DEP_3)
	v_fma_f32 v24, v28, v46, -v30
	v_fmac_f32_e32 v22, v29, v46
	v_add_f32_e32 v23, v17, v23
	ds_load_2addr_b64 v[16:19], v9 offset0:64 offset1:80
	v_mul_f32_e32 v30, v29, v49
	v_fmac_f32_e32 v25, v29, v48
	v_add_f32_e32 v1, v1, v24
	s_delay_alu instid0(VALU_DEP_2) | instskip(SKIP_1) | instid1(VALU_DEP_1)
	v_add_f32_e32 v25, v26, v25
	v_mul_f32_e32 v26, v32, v49
	v_fmac_f32_e32 v26, v33, v48
	s_waitcnt lgkmcnt(0)
	s_delay_alu instid0(VALU_DEP_1) | instskip(SKIP_1) | instid1(VALU_DEP_2)
	v_dual_add_f32 v26, v15, v26 :: v_dual_mul_f32 v29, v34, v17
	v_mul_f32_e32 v15, v34, v19
	v_fmac_f32_e32 v29, v35, v16
	v_fma_f32 v24, v28, v48, -v30
	v_mul_f32_e32 v28, v33, v47
	v_add_f32_e32 v30, v20, v22
	v_mul_f32_e32 v20, v32, v47
	v_mul_f32_e32 v22, v33, v49
	v_add_f32_e32 v24, v21, v24
	v_fma_f32 v21, v32, v46, -v28
	s_delay_alu instid0(VALU_DEP_4) | instskip(SKIP_1) | instid1(VALU_DEP_3)
	v_dual_add_f32 v29, v30, v29 :: v_dual_fmac_f32 v20, v33, v46
	v_fmac_f32_e32 v15, v35, v18
	v_add_f32_e32 v27, v27, v21
	v_fma_f32 v21, v32, v48, -v22
	v_mul_f32_e32 v22, v35, v17
	v_mul_f32_e32 v32, v35, v19
	v_add_f32_e32 v28, v23, v20
	s_delay_alu instid0(VALU_DEP_4) | instskip(NEXT) | instid1(VALU_DEP_4)
	v_add_f32_e32 v14, v14, v21
	v_fma_f32 v31, v34, v16, -v22
	ds_load_2addr_b64 v[20:23], v9 offset0:96 offset1:112
	v_add_f32_e32 v1, v1, v31
	v_fma_f32 v31, v34, v18, -v32
	s_delay_alu instid0(VALU_DEP_1) | instskip(SKIP_3) | instid1(VALU_DEP_3)
	v_add_f32_e32 v24, v24, v31
	v_mul_f32_e32 v31, v51, v19
	v_mul_f32_e32 v19, v50, v19
	v_add_f32_e32 v32, v25, v15
	v_fma_f32 v15, v50, v18, -v31
	s_delay_alu instid0(VALU_DEP_3)
	v_fmac_f32_e32 v19, v51, v18
	v_mul_f32_e32 v30, v51, v17
	v_mul_f32_e32 v17, v50, v17
	s_waitcnt lgkmcnt(0)
	v_dual_mul_f32 v18, v37, v21 :: v_dual_add_f32 v31, v14, v15
	v_add_f32_e32 v33, v26, v19
	v_fma_f32 v30, v50, v16, -v30
	v_fmac_f32_e32 v17, v51, v16
	s_delay_alu instid0(VALU_DEP_4) | instskip(SKIP_1) | instid1(VALU_DEP_4)
	v_fma_f32 v18, v36, v20, -v18
	v_mul_f32_e32 v25, v36, v21
	v_dual_mul_f32 v19, v36, v23 :: v_dual_add_f32 v30, v27, v30
	s_delay_alu instid0(VALU_DEP_4) | instskip(SKIP_4) | instid1(VALU_DEP_2)
	v_add_f32_e32 v28, v28, v17
	ds_load_2addr_b64 v[14:17], v9 offset0:128 offset1:144
	v_add_f32_e32 v1, v1, v18
	v_mul_f32_e32 v18, v53, v21
	v_fmac_f32_e32 v19, v37, v22
	v_fma_f32 v18, v52, v20, -v18
	v_mul_f32_e32 v27, v37, v23
	s_delay_alu instid0(VALU_DEP_1) | instskip(NEXT) | instid1(VALU_DEP_3)
	v_fma_f32 v26, v36, v22, -v27
	v_add_f32_e32 v36, v30, v18
	s_waitcnt lgkmcnt(0)
	s_delay_alu instid0(VALU_DEP_2) | instskip(SKIP_2) | instid1(VALU_DEP_3)
	v_dual_add_f32 v35, v24, v26 :: v_dual_mul_f32 v46, v38, v15
	v_dual_fmac_f32 v25, v37, v20 :: v_dual_add_f32 v32, v32, v19
	v_mul_f32_e32 v18, v39, v15
	v_fmac_f32_e32 v46, v39, v14
	s_delay_alu instid0(VALU_DEP_3)
	v_add_f32_e32 v34, v29, v25
	v_mul_f32_e32 v29, v53, v23
	v_mul_f32_e32 v23, v52, v23
	ds_load_b128 v[24:27], v10 offset:1056
	v_add_f32_e32 v34, v34, v46
	v_fma_f32 v19, v52, v22, -v29
	v_mul_f32_e32 v21, v52, v21
	v_fmac_f32_e32 v23, v53, v22
	v_mul_f32_e32 v29, v39, v17
	s_delay_alu instid0(VALU_DEP_3) | instskip(NEXT) | instid1(VALU_DEP_3)
	v_dual_add_f32 v22, v31, v19 :: v_dual_fmac_f32 v21, v53, v20
	v_add_f32_e32 v23, v33, v23
	s_delay_alu instid0(VALU_DEP_2) | instskip(SKIP_4) | instid1(VALU_DEP_2)
	v_add_f32_e32 v37, v28, v21
	v_fma_f32 v28, v38, v14, -v18
	ds_load_2addr_b64 v[18:21], v9 offset0:160 offset1:176
	v_mul_f32_e32 v33, v38, v17
	v_fma_f32 v38, v38, v16, -v29
	v_fmac_f32_e32 v33, v39, v16
	s_delay_alu instid0(VALU_DEP_1)
	v_dual_add_f32 v35, v35, v38 :: v_dual_add_f32 v32, v32, v33
	v_add_f32_e32 v1, v1, v28
	ds_load_b128 v[28:31], v10 offset:1072
	s_waitcnt lgkmcnt(2)
	v_mul_f32_e32 v47, v25, v15
	v_mul_f32_e32 v15, v24, v15
	;; [unrolled: 1-line block ×4, first 2 shown]
	s_delay_alu instid0(VALU_DEP_4) | instskip(NEXT) | instid1(VALU_DEP_4)
	v_fma_f32 v38, v24, v14, -v47
	v_fmac_f32_e32 v15, v25, v14
	s_delay_alu instid0(VALU_DEP_4)
	v_fma_f32 v14, v24, v16, -v39
	s_waitcnt lgkmcnt(1)
	v_mul_f32_e32 v17, v41, v19
	v_dual_fmac_f32 v33, v25, v16 :: v_dual_add_f32 v36, v36, v38
	v_add_f32_e32 v24, v37, v15
	v_add_f32_e32 v22, v22, v14
	s_delay_alu instid0(VALU_DEP_4) | instskip(SKIP_2) | instid1(VALU_DEP_1)
	v_fma_f32 v37, v40, v18, -v17
	ds_load_2addr_b64 v[14:17], v9 offset0:192 offset1:208
	v_dual_mul_f32 v25, v40, v19 :: v_dual_mul_f32 v38, v41, v21
	v_fmac_f32_e32 v25, v41, v18
	s_delay_alu instid0(VALU_DEP_1) | instskip(SKIP_4) | instid1(VALU_DEP_3)
	v_add_f32_e32 v34, v34, v25
	v_add_f32_e32 v33, v23, v33
	v_mul_f32_e32 v23, v40, v21
	v_mul_f32_e32 v25, v27, v19
	;; [unrolled: 1-line block ×3, first 2 shown]
	v_fmac_f32_e32 v23, v41, v20
	s_delay_alu instid0(VALU_DEP_3) | instskip(NEXT) | instid1(VALU_DEP_2)
	v_fma_f32 v25, v26, v18, -v25
	v_dual_fmac_f32 v19, v27, v18 :: v_dual_add_f32 v18, v32, v23
	s_waitcnt lgkmcnt(0)
	v_dual_mul_f32 v32, v43, v15 :: v_dual_add_f32 v1, v1, v37
	v_fma_f32 v37, v40, v20, -v38
	s_delay_alu instid0(VALU_DEP_3) | instskip(NEXT) | instid1(VALU_DEP_3)
	v_add_f32_e32 v19, v24, v19
	v_fma_f32 v32, v42, v14, -v32
	s_delay_alu instid0(VALU_DEP_1) | instskip(NEXT) | instid1(VALU_DEP_4)
	v_add_f32_e32 v1, v1, v32
	v_add_f32_e32 v35, v35, v37
	v_mul_f32_e32 v37, v27, v21
	v_dual_mul_f32 v21, v26, v21 :: v_dual_mul_f32 v32, v29, v15
	s_delay_alu instid0(VALU_DEP_2) | instskip(NEXT) | instid1(VALU_DEP_2)
	v_fma_f32 v23, v26, v20, -v37
	v_dual_add_f32 v26, v36, v25 :: v_dual_fmac_f32 v21, v27, v20
	v_mul_f32_e32 v27, v42, v15
	v_mul_f32_e32 v15, v28, v15
	s_delay_alu instid0(VALU_DEP_4)
	v_add_f32_e32 v20, v22, v23
	ds_load_2addr_b64 v[22:25], v9 offset0:224 offset1:240
	v_fma_f32 v32, v28, v14, -v32
	v_dual_fmac_f32 v27, v43, v14 :: v_dual_mul_f32 v36, v42, v17
	v_fmac_f32_e32 v15, v29, v14
	s_waitcnt lgkmcnt(0)
	s_delay_alu instid0(VALU_DEP_3) | instskip(NEXT) | instid1(VALU_DEP_3)
	v_add_f32_e32 v14, v26, v32
	v_dual_add_f32 v27, v34, v27 :: v_dual_fmac_f32 v36, v43, v16
	s_delay_alu instid0(VALU_DEP_3)
	v_dual_mul_f32 v34, v29, v17 :: v_dual_add_f32 v15, v19, v15
	s_barrier
	buffer_gl0_inv
	v_mul_f32_e32 v26, v45, v23
	v_add_f32_e32 v21, v33, v21
	v_mul_f32_e32 v33, v43, v17
	v_mul_f32_e32 v17, v28, v17
	;; [unrolled: 1-line block ×3, first 2 shown]
	s_delay_alu instid0(VALU_DEP_3) | instskip(NEXT) | instid1(VALU_DEP_3)
	v_fma_f32 v33, v42, v16, -v33
	v_fmac_f32_e32 v17, v29, v16
	s_delay_alu instid0(VALU_DEP_3) | instskip(NEXT) | instid1(VALU_DEP_3)
	v_fmac_f32_e32 v19, v45, v24
	v_add_f32_e32 v33, v35, v33
	v_add_f32_e32 v35, v18, v36
	v_fma_f32 v18, v28, v16, -v34
	v_fma_f32 v16, v44, v22, -v26
	v_mul_f32_e32 v28, v44, v23
	v_dual_add_f32 v26, v21, v17 :: v_dual_mul_f32 v17, v30, v23
	s_delay_alu instid0(VALU_DEP_4) | instskip(NEXT) | instid1(VALU_DEP_4)
	v_dual_add_f32 v29, v20, v18 :: v_dual_mul_f32 v18, v45, v25
	v_add_f32_e32 v20, v1, v16
	v_mul_f32_e32 v16, v31, v23
	v_mul_f32_e32 v23, v31, v25
	;; [unrolled: 1-line block ×3, first 2 shown]
	v_fma_f32 v1, v44, v24, -v18
	v_fmac_f32_e32 v28, v45, v22
	v_fmac_f32_e32 v17, v31, v22
	v_add_f32_e32 v19, v35, v19
	s_delay_alu instid0(VALU_DEP_4)
	v_dual_fmac_f32 v25, v31, v24 :: v_dual_add_f32 v18, v33, v1
	v_fma_f32 v1, v30, v22, -v16
	v_fma_f32 v22, v30, v24, -v23
	v_add_f32_e32 v21, v27, v28
	v_add_f32_e32 v17, v15, v17
	;; [unrolled: 1-line block ×5, first 2 shown]
	s_cbranch_vccnz .LBB1295_11
.LBB1295_3:                             ; =>This Inner Loop Header: Depth=1
	v_add_co_u32 v22, s6, v11, s4
	s_delay_alu instid0(VALU_DEP_1) | instskip(NEXT) | instid1(VALU_DEP_1)
	v_add_co_ci_u32_e64 v23, null, 0, s5, s6
                                        ; implicit-def: $sgpr7
	v_cmp_le_i64_e32 vcc_lo, s[16:17], v[22:23]
	s_or_b32 s6, s3, vcc_lo
	s_delay_alu instid0(SALU_CYCLE_1) | instskip(NEXT) | instid1(SALU_CYCLE_1)
	s_and_saveexec_b32 s11, s6
	s_xor_b32 s6, exec_lo, s11
	s_cbranch_execz .LBB1295_5
; %bb.4:                                ;   in Loop: Header=BB1295_3 Depth=1
	s_mov_b32 s7, 0
	ds_store_b32 v12, v0
.LBB1295_5:                             ;   in Loop: Header=BB1295_3 Depth=1
	s_or_saveexec_b32 s6, s6
	v_mov_b32_e32 v1, s7
	s_xor_b32 exec_lo, exec_lo, s6
	s_cbranch_execz .LBB1295_7
; %bb.6:                                ;   in Loop: Header=BB1295_3 Depth=1
	global_load_b64 v[22:23], v[2:3], off offset:-4
	s_waitcnt vmcnt(0)
	v_xor_b32_e32 v1, 0x80000000, v23
	ds_store_b32 v12, v22
.LBB1295_7:                             ;   in Loop: Header=BB1295_3 Depth=1
	s_or_b32 exec_lo, exec_lo, s6
	v_add_co_u32 v22, s6, v8, s4
	s_delay_alu instid0(VALU_DEP_1) | instskip(SKIP_3) | instid1(SALU_CYCLE_1)
	v_add_co_ci_u32_e64 v23, null, 0, s5, s6
	ds_store_b32 v12, v1 offset:4
	v_cmp_le_i64_e32 vcc_lo, s[16:17], v[22:23]
	s_or_b32 s6, vcc_lo, s2
	s_and_saveexec_b32 s7, s6
	s_delay_alu instid0(SALU_CYCLE_1)
	s_xor_b32 s6, exec_lo, s7
	s_cbranch_execz .LBB1295_9
; %bb.8:                                ;   in Loop: Header=BB1295_3 Depth=1
	v_mov_b32_e32 v1, v0
	ds_store_b64 v13, v[0:1]
.LBB1295_9:                             ;   in Loop: Header=BB1295_3 Depth=1
	s_and_not1_saveexec_b32 s6, s6
	s_cbranch_execz .LBB1295_2
; %bb.10:                               ;   in Loop: Header=BB1295_3 Depth=1
	global_load_b64 v[22:23], v[4:5], off
	s_waitcnt vmcnt(0)
	ds_store_b64 v13, v[22:23]
	s_branch .LBB1295_2
.LBB1295_11:
	s_clause 0x1
	s_load_b128 s[4:7], s[0:1], 0x50
	s_load_b64 s[2:3], s[0:1], 0x60
	v_add_nc_u32_e32 v5, s10, v7
	s_delay_alu instid0(VALU_DEP_1) | instskip(SKIP_1) | instid1(VALU_DEP_1)
	v_ashrrev_i32_e32 v0, 31, v5
	s_waitcnt lgkmcnt(0)
	v_mul_lo_u32 v3, v0, s6
	v_mul_lo_u32 v4, v5, s7
	v_mad_u64_u32 v[1:2], null, v5, s6, 0
	s_mul_i32 s1, s15, s3
	s_mul_hi_u32 s3, s15, s2
	s_mul_i32 s2, s15, s2
	s_add_i32 s3, s3, s1
	v_add_nc_u32_e32 v0, s9, v6
	s_lshl_b64 s[2:3], s[2:3], 3
	s_delay_alu instid0(VALU_DEP_2)
	v_add3_u32 v2, v2, v4, v3
	s_add_u32 s2, s4, s2
	s_addc_u32 s3, s5, s3
	v_cmp_le_i32_e64 s0, v5, v0
	v_cmp_gt_i32_e32 vcc_lo, s8, v0
	v_lshlrev_b64 v[1:2], 3, v[1:2]
	s_delay_alu instid0(VALU_DEP_3) | instskip(NEXT) | instid1(VALU_DEP_1)
	s_and_b32 s0, s0, vcc_lo
	v_add_co_u32 v4, s1, s2, v1
	s_delay_alu instid0(VALU_DEP_1)
	v_add_co_ci_u32_e64 v6, s1, s3, v2, s1
	s_and_saveexec_b32 s1, s0
	s_cbranch_execz .LBB1295_14
; %bb.12:
	v_ashrrev_i32_e32 v1, 31, v0
	v_mul_f32_e32 v8, s18, v21
	v_mul_f32_e32 v3, s19, v21
	s_delay_alu instid0(VALU_DEP_3) | instskip(NEXT) | instid1(VALU_DEP_3)
	v_lshlrev_b64 v[1:2], 3, v[0:1]
	v_fmac_f32_e32 v8, s19, v20
	s_delay_alu instid0(VALU_DEP_3) | instskip(NEXT) | instid1(VALU_DEP_3)
	v_fma_f32 v7, v20, s18, -v3
	v_add_co_u32 v1, s0, v4, v1
	s_delay_alu instid0(VALU_DEP_1)
	v_add_co_ci_u32_e64 v2, s0, v6, v2, s0
	v_cmp_eq_u32_e64 s0, v5, v0
	global_store_b64 v[1:2], v[7:8], off
	s_and_b32 exec_lo, exec_lo, s0
	s_cbranch_execz .LBB1295_14
; %bb.13:
	v_mov_b32_e32 v3, 0
	global_store_b32 v[1:2], v3, off offset:4
.LBB1295_14:
	s_or_b32 exec_lo, exec_lo, s1
	v_add_nc_u32_e32 v2, 16, v0
	s_delay_alu instid0(VALU_DEP_1) | instskip(SKIP_1) | instid1(VALU_DEP_1)
	v_cmp_le_i32_e64 s1, v5, v2
	v_cmp_gt_i32_e64 s0, s8, v2
	s_and_b32 s1, s1, s0
	s_delay_alu instid0(SALU_CYCLE_1)
	s_and_saveexec_b32 s4, s1
	s_cbranch_execz .LBB1295_17
; %bb.15:
	v_ashrrev_i32_e32 v3, 31, v2
	v_mul_f32_e32 v8, s18, v19
	v_mul_f32_e32 v1, s19, v19
	s_delay_alu instid0(VALU_DEP_3) | instskip(NEXT) | instid1(VALU_DEP_3)
	v_lshlrev_b64 v[9:10], 3, v[2:3]
	v_fmac_f32_e32 v8, s19, v18
	s_delay_alu instid0(VALU_DEP_3) | instskip(NEXT) | instid1(VALU_DEP_3)
	v_fma_f32 v7, v18, s18, -v1
	v_add_co_u32 v3, s1, v4, v9
	s_delay_alu instid0(VALU_DEP_1)
	v_add_co_ci_u32_e64 v4, s1, v6, v10, s1
	v_cmp_eq_u32_e64 s1, v5, v2
	global_store_b64 v[3:4], v[7:8], off
	s_and_b32 exec_lo, exec_lo, s1
	s_cbranch_execz .LBB1295_17
; %bb.16:
	v_mov_b32_e32 v1, 0
	global_store_b32 v[3:4], v1, off offset:4
.LBB1295_17:
	s_or_b32 exec_lo, exec_lo, s4
	v_add_nc_u32_e32 v8, 16, v5
	s_delay_alu instid0(VALU_DEP_1) | instskip(SKIP_3) | instid1(VALU_DEP_4)
	v_ashrrev_i32_e32 v1, 31, v8
	v_mul_lo_u32 v6, v8, s7
	v_mad_u64_u32 v[3:4], null, v8, s6, 0
	v_cmp_le_i32_e64 s1, v8, v0
	v_mul_lo_u32 v1, v1, s6
	s_delay_alu instid0(VALU_DEP_1) | instskip(NEXT) | instid1(VALU_DEP_1)
	v_add3_u32 v4, v4, v6, v1
	v_lshlrev_b64 v[3:4], 3, v[3:4]
	s_delay_alu instid0(VALU_DEP_1) | instskip(NEXT) | instid1(VALU_DEP_1)
	v_add_co_u32 v6, s2, s2, v3
	v_add_co_ci_u32_e64 v7, s2, s3, v4, s2
	s_and_b32 s2, s1, vcc_lo
	s_delay_alu instid0(SALU_CYCLE_1)
	s_and_saveexec_b32 s1, s2
	s_cbranch_execz .LBB1295_20
; %bb.18:
	v_ashrrev_i32_e32 v1, 31, v0
	v_mul_f32_e32 v10, s18, v17
	v_mul_f32_e32 v9, s19, v17
	s_delay_alu instid0(VALU_DEP_3) | instskip(NEXT) | instid1(VALU_DEP_3)
	v_lshlrev_b64 v[3:4], 3, v[0:1]
	v_fmac_f32_e32 v10, s19, v16
	s_delay_alu instid0(VALU_DEP_3) | instskip(NEXT) | instid1(VALU_DEP_3)
	v_fma_f32 v9, v16, s18, -v9
	v_add_co_u32 v3, vcc_lo, v6, v3
	s_delay_alu instid0(VALU_DEP_4)
	v_add_co_ci_u32_e32 v4, vcc_lo, v7, v4, vcc_lo
	v_cmp_eq_u32_e32 vcc_lo, v8, v0
	global_store_b64 v[3:4], v[9:10], off
	s_and_b32 exec_lo, exec_lo, vcc_lo
	s_cbranch_execz .LBB1295_20
; %bb.19:
	v_mov_b32_e32 v1, 0
	global_store_b32 v[3:4], v1, off offset:4
.LBB1295_20:
	s_or_b32 exec_lo, exec_lo, s1
	v_cmp_le_i32_e32 vcc_lo, v8, v2
	s_and_b32 s0, vcc_lo, s0
	s_delay_alu instid0(SALU_CYCLE_1)
	s_and_saveexec_b32 s1, s0
	s_cbranch_execz .LBB1295_23
; %bb.21:
	v_ashrrev_i32_e32 v3, 31, v2
	v_mul_f32_e32 v8, s19, v15
	v_mul_f32_e32 v4, s18, v15
	s_delay_alu instid0(VALU_DEP_3) | instskip(NEXT) | instid1(VALU_DEP_3)
	v_lshlrev_b64 v[1:2], 3, v[2:3]
	v_fma_f32 v3, v14, s18, -v8
	s_delay_alu instid0(VALU_DEP_3) | instskip(NEXT) | instid1(VALU_DEP_3)
	v_fmac_f32_e32 v4, s19, v14
	v_add_co_u32 v1, vcc_lo, v6, v1
	s_delay_alu instid0(VALU_DEP_4)
	v_add_co_ci_u32_e32 v2, vcc_lo, v7, v2, vcc_lo
	v_cmp_eq_u32_e32 vcc_lo, v5, v0
	global_store_b64 v[1:2], v[3:4], off
	s_and_b32 exec_lo, exec_lo, vcc_lo
	s_cbranch_execz .LBB1295_23
; %bb.22:
	v_mov_b32_e32 v0, 0
	global_store_b32 v[1:2], v0, off offset:4
.LBB1295_23:
	s_nop 0
	s_sendmsg sendmsg(MSG_DEALLOC_VGPRS)
	s_endpgm
	.section	.rodata,"a",@progbits
	.p2align	6, 0x0
	.amdhsa_kernel _ZL34rocblas_syrkx_herkx_general_kernelIl19rocblas_complex_numIfELi16ELi32ELi8ELb1ELb1ELc67ELc76EKS1_S1_EviT_T0_PT8_S3_lS6_S3_lS4_PT9_S3_li
		.amdhsa_group_segment_fixed_size 4096
		.amdhsa_private_segment_fixed_size 0
		.amdhsa_kernarg_size 108
		.amdhsa_user_sgpr_count 13
		.amdhsa_user_sgpr_dispatch_ptr 0
		.amdhsa_user_sgpr_queue_ptr 0
		.amdhsa_user_sgpr_kernarg_segment_ptr 1
		.amdhsa_user_sgpr_dispatch_id 0
		.amdhsa_user_sgpr_private_segment_size 0
		.amdhsa_wavefront_size32 1
		.amdhsa_uses_dynamic_stack 0
		.amdhsa_enable_private_segment 0
		.amdhsa_system_sgpr_workgroup_id_x 1
		.amdhsa_system_sgpr_workgroup_id_y 1
		.amdhsa_system_sgpr_workgroup_id_z 1
		.amdhsa_system_sgpr_workgroup_info 0
		.amdhsa_system_vgpr_workitem_id 1
		.amdhsa_next_free_vgpr 59
		.amdhsa_next_free_sgpr 32
		.amdhsa_reserve_vcc 1
		.amdhsa_float_round_mode_32 0
		.amdhsa_float_round_mode_16_64 0
		.amdhsa_float_denorm_mode_32 3
		.amdhsa_float_denorm_mode_16_64 3
		.amdhsa_dx10_clamp 1
		.amdhsa_ieee_mode 1
		.amdhsa_fp16_overflow 0
		.amdhsa_workgroup_processor_mode 1
		.amdhsa_memory_ordered 1
		.amdhsa_forward_progress 0
		.amdhsa_shared_vgpr_count 0
		.amdhsa_exception_fp_ieee_invalid_op 0
		.amdhsa_exception_fp_denorm_src 0
		.amdhsa_exception_fp_ieee_div_zero 0
		.amdhsa_exception_fp_ieee_overflow 0
		.amdhsa_exception_fp_ieee_underflow 0
		.amdhsa_exception_fp_ieee_inexact 0
		.amdhsa_exception_int_div_zero 0
	.end_amdhsa_kernel
	.section	.text._ZL34rocblas_syrkx_herkx_general_kernelIl19rocblas_complex_numIfELi16ELi32ELi8ELb1ELb1ELc67ELc76EKS1_S1_EviT_T0_PT8_S3_lS6_S3_lS4_PT9_S3_li,"axG",@progbits,_ZL34rocblas_syrkx_herkx_general_kernelIl19rocblas_complex_numIfELi16ELi32ELi8ELb1ELb1ELc67ELc76EKS1_S1_EviT_T0_PT8_S3_lS6_S3_lS4_PT9_S3_li,comdat
.Lfunc_end1295:
	.size	_ZL34rocblas_syrkx_herkx_general_kernelIl19rocblas_complex_numIfELi16ELi32ELi8ELb1ELb1ELc67ELc76EKS1_S1_EviT_T0_PT8_S3_lS6_S3_lS4_PT9_S3_li, .Lfunc_end1295-_ZL34rocblas_syrkx_herkx_general_kernelIl19rocblas_complex_numIfELi16ELi32ELi8ELb1ELb1ELc67ELc76EKS1_S1_EviT_T0_PT8_S3_lS6_S3_lS4_PT9_S3_li
                                        ; -- End function
	.section	.AMDGPU.csdata,"",@progbits
; Kernel info:
; codeLenInByte = 2708
; NumSgprs: 34
; NumVgprs: 59
; ScratchSize: 0
; MemoryBound: 1
; FloatMode: 240
; IeeeMode: 1
; LDSByteSize: 4096 bytes/workgroup (compile time only)
; SGPRBlocks: 4
; VGPRBlocks: 7
; NumSGPRsForWavesPerEU: 34
; NumVGPRsForWavesPerEU: 59
; Occupancy: 16
; WaveLimiterHint : 0
; COMPUTE_PGM_RSRC2:SCRATCH_EN: 0
; COMPUTE_PGM_RSRC2:USER_SGPR: 13
; COMPUTE_PGM_RSRC2:TRAP_HANDLER: 0
; COMPUTE_PGM_RSRC2:TGID_X_EN: 1
; COMPUTE_PGM_RSRC2:TGID_Y_EN: 1
; COMPUTE_PGM_RSRC2:TGID_Z_EN: 1
; COMPUTE_PGM_RSRC2:TIDIG_COMP_CNT: 1
	.section	.text._ZL34rocblas_syrkx_herkx_general_kernelIl19rocblas_complex_numIfELi16ELi32ELi8ELb1ELb1ELc78ELc76EKS1_S1_EviT_T0_PT8_S3_lS6_S3_lS4_PT9_S3_li,"axG",@progbits,_ZL34rocblas_syrkx_herkx_general_kernelIl19rocblas_complex_numIfELi16ELi32ELi8ELb1ELb1ELc78ELc76EKS1_S1_EviT_T0_PT8_S3_lS6_S3_lS4_PT9_S3_li,comdat
	.globl	_ZL34rocblas_syrkx_herkx_general_kernelIl19rocblas_complex_numIfELi16ELi32ELi8ELb1ELb1ELc78ELc76EKS1_S1_EviT_T0_PT8_S3_lS6_S3_lS4_PT9_S3_li ; -- Begin function _ZL34rocblas_syrkx_herkx_general_kernelIl19rocblas_complex_numIfELi16ELi32ELi8ELb1ELb1ELc78ELc76EKS1_S1_EviT_T0_PT8_S3_lS6_S3_lS4_PT9_S3_li
	.p2align	8
	.type	_ZL34rocblas_syrkx_herkx_general_kernelIl19rocblas_complex_numIfELi16ELi32ELi8ELb1ELb1ELc78ELc76EKS1_S1_EviT_T0_PT8_S3_lS6_S3_lS4_PT9_S3_li,@function
_ZL34rocblas_syrkx_herkx_general_kernelIl19rocblas_complex_numIfELi16ELi32ELi8ELb1ELb1ELc78ELc76EKS1_S1_EviT_T0_PT8_S3_lS6_S3_lS4_PT9_S3_li: ; @_ZL34rocblas_syrkx_herkx_general_kernelIl19rocblas_complex_numIfELi16ELi32ELi8ELb1ELb1ELc78ELc76EKS1_S1_EviT_T0_PT8_S3_lS6_S3_lS4_PT9_S3_li
; %bb.0:
	s_clause 0x1
	s_load_b512 s[16:31], s[0:1], 0x8
	s_load_b32 s10, s[0:1], 0x0
	v_dual_mov_b32 v20, 0 :: v_dual_mov_b32 v21, 0
	v_dual_mov_b32 v18, 0 :: v_dual_mov_b32 v19, 0
	;; [unrolled: 1-line block ×4, first 2 shown]
	v_and_b32_e32 v6, 0x3ff, v0
	v_bfe_u32 v7, v0, 10, 10
	s_lshl_b32 s11, s13, 5
	s_lshl_b32 s12, s14, 5
	s_waitcnt lgkmcnt(0)
	v_cmp_lt_i64_e64 s2, s[16:17], 1
	s_delay_alu instid0(VALU_DEP_1)
	s_and_b32 vcc_lo, exec_lo, s2
	s_cbranch_vccnz .LBB1296_11
; %bb.1:
	v_lshl_add_u32 v5, v7, 4, v6
	v_and_b32_e32 v8, 7, v6
	v_mov_b32_e32 v0, 0
	s_mul_i32 s3, s25, s15
	s_mul_hi_u32 s4, s24, s15
	v_lshrrev_b32_e32 v9, 5, v5
	v_mad_u64_u32 v[3:4], null, s28, v8, 0
	v_lshrrev_b32_e32 v15, 3, v5
	v_and_b32_e32 v5, 31, v5
	s_delay_alu instid0(VALU_DEP_4) | instskip(SKIP_1) | instid1(VALU_DEP_3)
	v_mad_u64_u32 v[1:2], null, s22, v9, 0
	s_mul_i32 s2, s24, s15
	v_dual_mov_b32 v21, 0 :: v_dual_add_nc_u32 v14, s12, v15
	s_delay_alu instid0(VALU_DEP_3) | instskip(SKIP_1) | instid1(VALU_DEP_3)
	v_mad_u64_u32 v[18:19], null, s29, v8, v[4:5]
	s_add_i32 s3, s4, s3
	v_mad_u64_u32 v[12:13], null, s23, v9, v[2:3]
	v_dual_mov_b32 v19, 0 :: v_dual_lshlrev_b32 v2, 3, v8
	v_lshlrev_b32_e32 v17, 3, v5
	v_or_b32_e32 v13, s11, v5
	s_lshl_b64 s[4:5], s[2:3], 3
	s_delay_alu instid0(VALU_DEP_3) | instskip(SKIP_3) | instid1(VALU_DEP_4)
	v_lshl_or_b32 v15, v15, 6, v2
	v_mov_b32_e32 v2, v12
	v_add_nc_u32_e32 v16, s11, v5
	v_cmp_gt_i32_e32 vcc_lo, s10, v13
	v_dual_mov_b32 v4, v18 :: v_dual_add_nc_u32 v13, 0x800, v15
	s_delay_alu instid0(VALU_DEP_4)
	v_lshlrev_b64 v[1:2], 3, v[1:2]
	s_mul_i32 s6, s31, s15
	v_lshl_or_b32 v12, v9, 8, v17
	v_ashrrev_i32_e32 v17, 31, v16
	v_ashrrev_i32_e32 v15, 31, v14
	v_cmp_gt_i32_e64 s2, s10, v14
	v_add_co_u32 v5, s3, v1, s4
	s_delay_alu instid0(VALU_DEP_1)
	v_add_co_ci_u32_e64 v18, s3, s5, v2, s3
	s_mul_hi_u32 s3, s30, s15
	v_lshlrev_b64 v[1:2], 3, v[3:4]
	s_add_i32 s5, s3, s6
	s_mul_i32 s4, s30, s15
	v_lshlrev_b64 v[3:4], 3, v[16:17]
	s_lshl_b64 s[4:5], s[4:5], 3
	v_lshlrev_b32_e32 v10, 3, v6
	v_add_co_u32 v16, s3, s4, v1
	s_delay_alu instid0(VALU_DEP_1) | instskip(SKIP_2) | instid1(VALU_DEP_1)
	v_add_co_ci_u32_e64 v17, s3, s5, v2, s3
	v_lshlrev_b64 v[1:2], 3, v[14:15]
	v_add_co_u32 v3, s3, v5, v3
	v_add_co_ci_u32_e64 v4, s3, v18, v4, s3
	v_lshl_add_u32 v11, v7, 6, 0x800
	s_delay_alu instid0(VALU_DEP_4) | instskip(NEXT) | instid1(VALU_DEP_1)
	v_add_co_u32 v1, s3, v16, v1
	v_add_co_ci_u32_e64 v5, s3, v17, v2, s3
	v_mov_b32_e32 v17, 0
	v_add_co_u32 v2, s3, s20, v3
	s_delay_alu instid0(VALU_DEP_1) | instskip(SKIP_1) | instid1(VALU_DEP_1)
	v_add_co_ci_u32_e64 v3, s3, s21, v4, s3
	v_add_co_u32 v1, s3, v1, s26
	v_add_co_ci_u32_e64 v5, s3, s27, v5, s3
	v_mov_b32_e32 v15, 0
	s_delay_alu instid0(VALU_DEP_3) | instskip(NEXT) | instid1(VALU_DEP_1)
	v_add_co_u32 v4, s3, v1, 4
	v_add_co_ci_u32_e64 v5, s3, 0, v5, s3
	v_mov_b32_e32 v14, 0
	v_mov_b32_e32 v16, 0
	;; [unrolled: 1-line block ×4, first 2 shown]
	s_lshl_b64 s[4:5], s[22:23], 6
	s_lshl_b64 s[6:7], s[28:29], 6
	s_mov_b64 s[8:9], 0
	s_xor_b32 s3, vcc_lo, -1
	s_xor_b32 s2, s2, -1
	s_branch .LBB1296_3
.LBB1296_2:                             ;   in Loop: Header=BB1296_3 Depth=1
	s_or_b32 exec_lo, exec_lo, s13
	ds_store_b32 v13, v1 offset:4
	s_waitcnt lgkmcnt(0)
	s_barrier
	buffer_gl0_inv
	ds_load_2addr_b64 v[22:25], v10 offset1:16
	ds_load_b128 v[26:29], v11
	ds_load_b128 v[30:33], v11 offset:1024
	ds_load_b128 v[34:37], v11 offset:16
	;; [unrolled: 1-line block ×4, first 2 shown]
	ds_load_2addr_b64 v[46:49], v10 offset0:32 offset1:48
	ds_load_b128 v[50:53], v11 offset:1040
	s_add_u32 s8, s8, 8
	s_addc_u32 s9, s9, 0
	v_add_co_u32 v2, vcc_lo, v2, s4
	v_cmp_ge_i64_e64 s13, s[8:9], s[16:17]
	v_add_co_ci_u32_e32 v3, vcc_lo, s5, v3, vcc_lo
	v_add_co_u32 v4, vcc_lo, v4, s6
	v_add_co_ci_u32_e32 v5, vcc_lo, s7, v5, vcc_lo
	s_delay_alu instid0(VALU_DEP_4)
	s_and_b32 vcc_lo, exec_lo, s13
	s_waitcnt lgkmcnt(6)
	v_dual_mul_f32 v1, v27, v23 :: v_dual_mul_f32 v56, v26, v25
	v_dual_mul_f32 v54, v26, v23 :: v_dual_mul_f32 v55, v27, v25
	s_waitcnt lgkmcnt(5)
	v_mul_f32_e32 v58, v31, v25
	s_delay_alu instid0(VALU_DEP_3) | instskip(SKIP_3) | instid1(VALU_DEP_4)
	v_fma_f32 v1, v26, v22, -v1
	v_dual_mul_f32 v25, v30, v25 :: v_dual_fmac_f32 v56, v27, v24
	v_fmac_f32_e32 v54, v27, v22
	v_fma_f32 v26, v26, v24, -v55
	v_add_f32_e32 v1, v20, v1
	v_mul_f32_e32 v57, v31, v23
	s_delay_alu instid0(VALU_DEP_4) | instskip(SKIP_2) | instid1(VALU_DEP_4)
	v_dual_mul_f32 v23, v30, v23 :: v_dual_add_f32 v20, v21, v54
	v_fmac_f32_e32 v25, v31, v24
	v_dual_add_f32 v21, v18, v26 :: v_dual_add_f32 v26, v19, v56
	v_fma_f32 v27, v30, v22, -v57
	s_delay_alu instid0(VALU_DEP_4) | instskip(SKIP_3) | instid1(VALU_DEP_2)
	v_fmac_f32_e32 v23, v31, v22
	v_fma_f32 v22, v30, v24, -v58
	s_waitcnt lgkmcnt(1)
	v_mul_f32_e32 v30, v29, v47
	v_dual_add_f32 v27, v16, v27 :: v_dual_add_f32 v14, v14, v22
	v_dual_mul_f32 v22, v28, v47 :: v_dual_add_f32 v15, v15, v25
	v_mul_f32_e32 v25, v28, v49
	s_delay_alu instid0(VALU_DEP_4) | instskip(NEXT) | instid1(VALU_DEP_3)
	v_fma_f32 v24, v28, v46, -v30
	v_fmac_f32_e32 v22, v29, v46
	v_add_f32_e32 v23, v17, v23
	ds_load_2addr_b64 v[16:19], v10 offset0:64 offset1:80
	v_mul_f32_e32 v30, v29, v49
	v_fmac_f32_e32 v25, v29, v48
	v_add_f32_e32 v1, v1, v24
	s_delay_alu instid0(VALU_DEP_2) | instskip(SKIP_1) | instid1(VALU_DEP_1)
	v_add_f32_e32 v25, v26, v25
	v_mul_f32_e32 v26, v32, v49
	v_fmac_f32_e32 v26, v33, v48
	s_waitcnt lgkmcnt(0)
	s_delay_alu instid0(VALU_DEP_1) | instskip(SKIP_1) | instid1(VALU_DEP_2)
	v_dual_add_f32 v26, v15, v26 :: v_dual_mul_f32 v29, v34, v17
	v_mul_f32_e32 v15, v34, v19
	v_fmac_f32_e32 v29, v35, v16
	v_fma_f32 v24, v28, v48, -v30
	v_mul_f32_e32 v28, v33, v47
	v_add_f32_e32 v30, v20, v22
	v_mul_f32_e32 v20, v32, v47
	v_mul_f32_e32 v22, v33, v49
	v_add_f32_e32 v24, v21, v24
	v_fma_f32 v21, v32, v46, -v28
	s_delay_alu instid0(VALU_DEP_4) | instskip(SKIP_1) | instid1(VALU_DEP_3)
	v_dual_add_f32 v29, v30, v29 :: v_dual_fmac_f32 v20, v33, v46
	v_fmac_f32_e32 v15, v35, v18
	v_add_f32_e32 v27, v27, v21
	v_fma_f32 v21, v32, v48, -v22
	v_mul_f32_e32 v22, v35, v17
	v_mul_f32_e32 v32, v35, v19
	v_add_f32_e32 v28, v23, v20
	s_delay_alu instid0(VALU_DEP_4) | instskip(NEXT) | instid1(VALU_DEP_4)
	v_add_f32_e32 v14, v14, v21
	v_fma_f32 v31, v34, v16, -v22
	ds_load_2addr_b64 v[20:23], v10 offset0:96 offset1:112
	v_add_f32_e32 v1, v1, v31
	v_fma_f32 v31, v34, v18, -v32
	s_delay_alu instid0(VALU_DEP_1) | instskip(SKIP_3) | instid1(VALU_DEP_3)
	v_add_f32_e32 v24, v24, v31
	v_mul_f32_e32 v31, v51, v19
	v_mul_f32_e32 v19, v50, v19
	v_add_f32_e32 v32, v25, v15
	v_fma_f32 v15, v50, v18, -v31
	s_delay_alu instid0(VALU_DEP_3)
	v_fmac_f32_e32 v19, v51, v18
	v_mul_f32_e32 v30, v51, v17
	v_mul_f32_e32 v17, v50, v17
	s_waitcnt lgkmcnt(0)
	v_dual_mul_f32 v18, v37, v21 :: v_dual_add_f32 v31, v14, v15
	v_add_f32_e32 v33, v26, v19
	v_fma_f32 v30, v50, v16, -v30
	v_fmac_f32_e32 v17, v51, v16
	s_delay_alu instid0(VALU_DEP_4) | instskip(SKIP_1) | instid1(VALU_DEP_4)
	v_fma_f32 v18, v36, v20, -v18
	v_mul_f32_e32 v25, v36, v21
	v_dual_mul_f32 v19, v36, v23 :: v_dual_add_f32 v30, v27, v30
	s_delay_alu instid0(VALU_DEP_4) | instskip(SKIP_4) | instid1(VALU_DEP_2)
	v_add_f32_e32 v28, v28, v17
	ds_load_2addr_b64 v[14:17], v10 offset0:128 offset1:144
	v_add_f32_e32 v1, v1, v18
	v_mul_f32_e32 v18, v53, v21
	v_fmac_f32_e32 v19, v37, v22
	v_fma_f32 v18, v52, v20, -v18
	v_mul_f32_e32 v27, v37, v23
	s_delay_alu instid0(VALU_DEP_1) | instskip(NEXT) | instid1(VALU_DEP_3)
	v_fma_f32 v26, v36, v22, -v27
	v_add_f32_e32 v36, v30, v18
	s_waitcnt lgkmcnt(0)
	s_delay_alu instid0(VALU_DEP_2) | instskip(SKIP_2) | instid1(VALU_DEP_3)
	v_dual_add_f32 v35, v24, v26 :: v_dual_mul_f32 v46, v38, v15
	v_dual_fmac_f32 v25, v37, v20 :: v_dual_add_f32 v32, v32, v19
	v_mul_f32_e32 v18, v39, v15
	v_fmac_f32_e32 v46, v39, v14
	s_delay_alu instid0(VALU_DEP_3)
	v_add_f32_e32 v34, v29, v25
	v_mul_f32_e32 v29, v53, v23
	v_mul_f32_e32 v23, v52, v23
	ds_load_b128 v[24:27], v11 offset:1056
	v_add_f32_e32 v34, v34, v46
	v_fma_f32 v19, v52, v22, -v29
	v_mul_f32_e32 v21, v52, v21
	v_fmac_f32_e32 v23, v53, v22
	v_mul_f32_e32 v29, v39, v17
	s_delay_alu instid0(VALU_DEP_3) | instskip(NEXT) | instid1(VALU_DEP_3)
	v_dual_add_f32 v22, v31, v19 :: v_dual_fmac_f32 v21, v53, v20
	v_add_f32_e32 v23, v33, v23
	s_delay_alu instid0(VALU_DEP_2) | instskip(SKIP_4) | instid1(VALU_DEP_2)
	v_add_f32_e32 v37, v28, v21
	v_fma_f32 v28, v38, v14, -v18
	ds_load_2addr_b64 v[18:21], v10 offset0:160 offset1:176
	v_mul_f32_e32 v33, v38, v17
	v_fma_f32 v38, v38, v16, -v29
	v_fmac_f32_e32 v33, v39, v16
	s_delay_alu instid0(VALU_DEP_1)
	v_dual_add_f32 v35, v35, v38 :: v_dual_add_f32 v32, v32, v33
	v_add_f32_e32 v1, v1, v28
	ds_load_b128 v[28:31], v11 offset:1072
	s_waitcnt lgkmcnt(2)
	v_mul_f32_e32 v47, v25, v15
	v_mul_f32_e32 v15, v24, v15
	;; [unrolled: 1-line block ×4, first 2 shown]
	s_delay_alu instid0(VALU_DEP_4) | instskip(NEXT) | instid1(VALU_DEP_4)
	v_fma_f32 v38, v24, v14, -v47
	v_fmac_f32_e32 v15, v25, v14
	s_delay_alu instid0(VALU_DEP_4)
	v_fma_f32 v14, v24, v16, -v39
	s_waitcnt lgkmcnt(1)
	v_mul_f32_e32 v17, v41, v19
	v_dual_fmac_f32 v33, v25, v16 :: v_dual_add_f32 v36, v36, v38
	v_add_f32_e32 v24, v37, v15
	v_add_f32_e32 v22, v22, v14
	s_delay_alu instid0(VALU_DEP_4) | instskip(SKIP_2) | instid1(VALU_DEP_1)
	v_fma_f32 v37, v40, v18, -v17
	ds_load_2addr_b64 v[14:17], v10 offset0:192 offset1:208
	v_dual_mul_f32 v25, v40, v19 :: v_dual_mul_f32 v38, v41, v21
	v_fmac_f32_e32 v25, v41, v18
	s_delay_alu instid0(VALU_DEP_1) | instskip(SKIP_4) | instid1(VALU_DEP_3)
	v_add_f32_e32 v34, v34, v25
	v_add_f32_e32 v33, v23, v33
	v_mul_f32_e32 v23, v40, v21
	v_mul_f32_e32 v25, v27, v19
	;; [unrolled: 1-line block ×3, first 2 shown]
	v_fmac_f32_e32 v23, v41, v20
	s_delay_alu instid0(VALU_DEP_3) | instskip(NEXT) | instid1(VALU_DEP_2)
	v_fma_f32 v25, v26, v18, -v25
	v_dual_fmac_f32 v19, v27, v18 :: v_dual_add_f32 v18, v32, v23
	s_waitcnt lgkmcnt(0)
	v_dual_mul_f32 v32, v43, v15 :: v_dual_add_f32 v1, v1, v37
	v_fma_f32 v37, v40, v20, -v38
	s_delay_alu instid0(VALU_DEP_3) | instskip(NEXT) | instid1(VALU_DEP_3)
	v_add_f32_e32 v19, v24, v19
	v_fma_f32 v32, v42, v14, -v32
	s_delay_alu instid0(VALU_DEP_1) | instskip(NEXT) | instid1(VALU_DEP_4)
	v_add_f32_e32 v1, v1, v32
	v_add_f32_e32 v35, v35, v37
	v_mul_f32_e32 v37, v27, v21
	v_dual_mul_f32 v21, v26, v21 :: v_dual_mul_f32 v32, v29, v15
	s_delay_alu instid0(VALU_DEP_2) | instskip(NEXT) | instid1(VALU_DEP_2)
	v_fma_f32 v23, v26, v20, -v37
	v_dual_add_f32 v26, v36, v25 :: v_dual_fmac_f32 v21, v27, v20
	v_mul_f32_e32 v27, v42, v15
	v_mul_f32_e32 v15, v28, v15
	s_delay_alu instid0(VALU_DEP_4)
	v_add_f32_e32 v20, v22, v23
	ds_load_2addr_b64 v[22:25], v10 offset0:224 offset1:240
	v_fma_f32 v32, v28, v14, -v32
	v_dual_fmac_f32 v27, v43, v14 :: v_dual_mul_f32 v36, v42, v17
	v_fmac_f32_e32 v15, v29, v14
	s_waitcnt lgkmcnt(0)
	s_delay_alu instid0(VALU_DEP_3) | instskip(NEXT) | instid1(VALU_DEP_3)
	v_add_f32_e32 v14, v26, v32
	v_dual_add_f32 v27, v34, v27 :: v_dual_fmac_f32 v36, v43, v16
	s_delay_alu instid0(VALU_DEP_3)
	v_dual_mul_f32 v34, v29, v17 :: v_dual_add_f32 v15, v19, v15
	s_barrier
	buffer_gl0_inv
	v_mul_f32_e32 v26, v45, v23
	v_add_f32_e32 v21, v33, v21
	v_mul_f32_e32 v33, v43, v17
	v_mul_f32_e32 v17, v28, v17
	;; [unrolled: 1-line block ×3, first 2 shown]
	s_delay_alu instid0(VALU_DEP_3) | instskip(NEXT) | instid1(VALU_DEP_3)
	v_fma_f32 v33, v42, v16, -v33
	v_fmac_f32_e32 v17, v29, v16
	s_delay_alu instid0(VALU_DEP_3) | instskip(NEXT) | instid1(VALU_DEP_3)
	v_fmac_f32_e32 v19, v45, v24
	v_add_f32_e32 v33, v35, v33
	v_add_f32_e32 v35, v18, v36
	v_fma_f32 v18, v28, v16, -v34
	v_fma_f32 v16, v44, v22, -v26
	v_mul_f32_e32 v28, v44, v23
	v_dual_add_f32 v26, v21, v17 :: v_dual_mul_f32 v17, v30, v23
	s_delay_alu instid0(VALU_DEP_4) | instskip(NEXT) | instid1(VALU_DEP_4)
	v_dual_add_f32 v29, v20, v18 :: v_dual_mul_f32 v18, v45, v25
	v_add_f32_e32 v20, v1, v16
	v_mul_f32_e32 v16, v31, v23
	v_mul_f32_e32 v23, v31, v25
	;; [unrolled: 1-line block ×3, first 2 shown]
	v_fma_f32 v1, v44, v24, -v18
	v_fmac_f32_e32 v28, v45, v22
	v_fmac_f32_e32 v17, v31, v22
	v_add_f32_e32 v19, v35, v19
	s_delay_alu instid0(VALU_DEP_4)
	v_dual_fmac_f32 v25, v31, v24 :: v_dual_add_f32 v18, v33, v1
	v_fma_f32 v1, v30, v22, -v16
	v_fma_f32 v22, v30, v24, -v23
	v_add_f32_e32 v21, v27, v28
	v_add_f32_e32 v17, v15, v17
	;; [unrolled: 1-line block ×5, first 2 shown]
	s_cbranch_vccnz .LBB1296_11
.LBB1296_3:                             ; =>This Inner Loop Header: Depth=1
	v_add_co_u32 v22, s13, v9, s8
	s_delay_alu instid0(VALU_DEP_1) | instskip(NEXT) | instid1(VALU_DEP_1)
	v_add_co_ci_u32_e64 v23, null, 0, s9, s13
	v_cmp_le_i64_e32 vcc_lo, s[16:17], v[22:23]
	s_or_b32 s13, s3, vcc_lo
	s_delay_alu instid0(SALU_CYCLE_1) | instskip(NEXT) | instid1(SALU_CYCLE_1)
	s_and_saveexec_b32 s14, s13
	s_xor_b32 s13, exec_lo, s14
	s_cbranch_execz .LBB1296_5
; %bb.4:                                ;   in Loop: Header=BB1296_3 Depth=1
	v_mov_b32_e32 v1, v0
	ds_store_b64 v12, v[0:1]
.LBB1296_5:                             ;   in Loop: Header=BB1296_3 Depth=1
	s_and_not1_saveexec_b32 s13, s13
	s_cbranch_execz .LBB1296_7
; %bb.6:                                ;   in Loop: Header=BB1296_3 Depth=1
	global_load_b64 v[22:23], v[2:3], off
	s_waitcnt vmcnt(0)
	ds_store_b64 v12, v[22:23]
.LBB1296_7:                             ;   in Loop: Header=BB1296_3 Depth=1
	s_or_b32 exec_lo, exec_lo, s13
	v_add_co_u32 v22, s13, v8, s8
	s_delay_alu instid0(VALU_DEP_1) | instskip(NEXT) | instid1(VALU_DEP_1)
	v_add_co_ci_u32_e64 v23, null, 0, s9, s13
                                        ; implicit-def: $sgpr14
	v_cmp_le_i64_e32 vcc_lo, s[16:17], v[22:23]
	s_or_b32 s13, vcc_lo, s2
	s_delay_alu instid0(SALU_CYCLE_1) | instskip(NEXT) | instid1(SALU_CYCLE_1)
	s_and_saveexec_b32 s20, s13
	s_xor_b32 s13, exec_lo, s20
	s_cbranch_execz .LBB1296_9
; %bb.8:                                ;   in Loop: Header=BB1296_3 Depth=1
	s_mov_b32 s14, 0
	ds_store_b32 v13, v0
.LBB1296_9:                             ;   in Loop: Header=BB1296_3 Depth=1
	s_or_saveexec_b32 s13, s13
	v_mov_b32_e32 v1, s14
	s_xor_b32 exec_lo, exec_lo, s13
	s_cbranch_execz .LBB1296_2
; %bb.10:                               ;   in Loop: Header=BB1296_3 Depth=1
	global_load_b64 v[22:23], v[4:5], off offset:-4
	s_waitcnt vmcnt(0)
	v_xor_b32_e32 v1, 0x80000000, v23
	ds_store_b32 v13, v22
	s_branch .LBB1296_2
.LBB1296_11:
	s_clause 0x1
	s_load_b128 s[4:7], s[0:1], 0x50
	s_load_b64 s[2:3], s[0:1], 0x60
	v_add_nc_u32_e32 v5, s12, v7
	s_delay_alu instid0(VALU_DEP_1) | instskip(SKIP_1) | instid1(VALU_DEP_1)
	v_ashrrev_i32_e32 v0, 31, v5
	s_waitcnt lgkmcnt(0)
	v_mul_lo_u32 v3, v0, s6
	v_mul_lo_u32 v4, v5, s7
	v_mad_u64_u32 v[1:2], null, v5, s6, 0
	s_mul_i32 s1, s15, s3
	s_mul_hi_u32 s3, s15, s2
	s_mul_i32 s2, s15, s2
	s_add_i32 s3, s3, s1
	v_add_nc_u32_e32 v0, s11, v6
	s_lshl_b64 s[2:3], s[2:3], 3
	s_delay_alu instid0(VALU_DEP_2)
	v_add3_u32 v2, v2, v4, v3
	s_add_u32 s2, s4, s2
	s_addc_u32 s3, s5, s3
	v_cmp_le_i32_e64 s0, v5, v0
	v_cmp_gt_i32_e32 vcc_lo, s10, v0
	v_lshlrev_b64 v[1:2], 3, v[1:2]
	s_delay_alu instid0(VALU_DEP_3) | instskip(NEXT) | instid1(VALU_DEP_1)
	s_and_b32 s0, s0, vcc_lo
	v_add_co_u32 v4, s1, s2, v1
	s_delay_alu instid0(VALU_DEP_1)
	v_add_co_ci_u32_e64 v6, s1, s3, v2, s1
	s_and_saveexec_b32 s1, s0
	s_cbranch_execz .LBB1296_14
; %bb.12:
	v_ashrrev_i32_e32 v1, 31, v0
	v_mul_f32_e32 v8, s18, v21
	v_mul_f32_e32 v3, s19, v21
	s_delay_alu instid0(VALU_DEP_3) | instskip(NEXT) | instid1(VALU_DEP_3)
	v_lshlrev_b64 v[1:2], 3, v[0:1]
	v_fmac_f32_e32 v8, s19, v20
	s_delay_alu instid0(VALU_DEP_3) | instskip(NEXT) | instid1(VALU_DEP_3)
	v_fma_f32 v7, v20, s18, -v3
	v_add_co_u32 v1, s0, v4, v1
	s_delay_alu instid0(VALU_DEP_1)
	v_add_co_ci_u32_e64 v2, s0, v6, v2, s0
	v_cmp_eq_u32_e64 s0, v5, v0
	global_store_b64 v[1:2], v[7:8], off
	s_and_b32 exec_lo, exec_lo, s0
	s_cbranch_execz .LBB1296_14
; %bb.13:
	v_mov_b32_e32 v3, 0
	global_store_b32 v[1:2], v3, off offset:4
.LBB1296_14:
	s_or_b32 exec_lo, exec_lo, s1
	v_add_nc_u32_e32 v2, 16, v0
	s_delay_alu instid0(VALU_DEP_1) | instskip(SKIP_1) | instid1(VALU_DEP_1)
	v_cmp_le_i32_e64 s1, v5, v2
	v_cmp_gt_i32_e64 s0, s10, v2
	s_and_b32 s1, s1, s0
	s_delay_alu instid0(SALU_CYCLE_1)
	s_and_saveexec_b32 s4, s1
	s_cbranch_execz .LBB1296_17
; %bb.15:
	v_ashrrev_i32_e32 v3, 31, v2
	v_mul_f32_e32 v8, s18, v19
	v_mul_f32_e32 v1, s19, v19
	s_delay_alu instid0(VALU_DEP_3) | instskip(NEXT) | instid1(VALU_DEP_3)
	v_lshlrev_b64 v[9:10], 3, v[2:3]
	v_fmac_f32_e32 v8, s19, v18
	s_delay_alu instid0(VALU_DEP_3) | instskip(NEXT) | instid1(VALU_DEP_3)
	v_fma_f32 v7, v18, s18, -v1
	v_add_co_u32 v3, s1, v4, v9
	s_delay_alu instid0(VALU_DEP_1)
	v_add_co_ci_u32_e64 v4, s1, v6, v10, s1
	v_cmp_eq_u32_e64 s1, v5, v2
	global_store_b64 v[3:4], v[7:8], off
	s_and_b32 exec_lo, exec_lo, s1
	s_cbranch_execz .LBB1296_17
; %bb.16:
	v_mov_b32_e32 v1, 0
	global_store_b32 v[3:4], v1, off offset:4
.LBB1296_17:
	s_or_b32 exec_lo, exec_lo, s4
	v_add_nc_u32_e32 v8, 16, v5
	s_delay_alu instid0(VALU_DEP_1) | instskip(SKIP_3) | instid1(VALU_DEP_4)
	v_ashrrev_i32_e32 v1, 31, v8
	v_mul_lo_u32 v6, v8, s7
	v_mad_u64_u32 v[3:4], null, v8, s6, 0
	v_cmp_le_i32_e64 s1, v8, v0
	v_mul_lo_u32 v1, v1, s6
	s_delay_alu instid0(VALU_DEP_1) | instskip(NEXT) | instid1(VALU_DEP_1)
	v_add3_u32 v4, v4, v6, v1
	v_lshlrev_b64 v[3:4], 3, v[3:4]
	s_delay_alu instid0(VALU_DEP_1) | instskip(NEXT) | instid1(VALU_DEP_1)
	v_add_co_u32 v6, s2, s2, v3
	v_add_co_ci_u32_e64 v7, s2, s3, v4, s2
	s_and_b32 s2, s1, vcc_lo
	s_delay_alu instid0(SALU_CYCLE_1)
	s_and_saveexec_b32 s1, s2
	s_cbranch_execz .LBB1296_20
; %bb.18:
	v_ashrrev_i32_e32 v1, 31, v0
	v_mul_f32_e32 v10, s18, v17
	v_mul_f32_e32 v9, s19, v17
	s_delay_alu instid0(VALU_DEP_3) | instskip(NEXT) | instid1(VALU_DEP_3)
	v_lshlrev_b64 v[3:4], 3, v[0:1]
	v_fmac_f32_e32 v10, s19, v16
	s_delay_alu instid0(VALU_DEP_3) | instskip(NEXT) | instid1(VALU_DEP_3)
	v_fma_f32 v9, v16, s18, -v9
	v_add_co_u32 v3, vcc_lo, v6, v3
	s_delay_alu instid0(VALU_DEP_4)
	v_add_co_ci_u32_e32 v4, vcc_lo, v7, v4, vcc_lo
	v_cmp_eq_u32_e32 vcc_lo, v8, v0
	global_store_b64 v[3:4], v[9:10], off
	s_and_b32 exec_lo, exec_lo, vcc_lo
	s_cbranch_execz .LBB1296_20
; %bb.19:
	v_mov_b32_e32 v1, 0
	global_store_b32 v[3:4], v1, off offset:4
.LBB1296_20:
	s_or_b32 exec_lo, exec_lo, s1
	v_cmp_le_i32_e32 vcc_lo, v8, v2
	s_and_b32 s0, vcc_lo, s0
	s_delay_alu instid0(SALU_CYCLE_1)
	s_and_saveexec_b32 s1, s0
	s_cbranch_execz .LBB1296_23
; %bb.21:
	v_ashrrev_i32_e32 v3, 31, v2
	v_mul_f32_e32 v8, s19, v15
	v_mul_f32_e32 v4, s18, v15
	s_delay_alu instid0(VALU_DEP_3) | instskip(NEXT) | instid1(VALU_DEP_3)
	v_lshlrev_b64 v[1:2], 3, v[2:3]
	v_fma_f32 v3, v14, s18, -v8
	s_delay_alu instid0(VALU_DEP_3) | instskip(NEXT) | instid1(VALU_DEP_3)
	v_fmac_f32_e32 v4, s19, v14
	v_add_co_u32 v1, vcc_lo, v6, v1
	s_delay_alu instid0(VALU_DEP_4)
	v_add_co_ci_u32_e32 v2, vcc_lo, v7, v2, vcc_lo
	v_cmp_eq_u32_e32 vcc_lo, v5, v0
	global_store_b64 v[1:2], v[3:4], off
	s_and_b32 exec_lo, exec_lo, vcc_lo
	s_cbranch_execz .LBB1296_23
; %bb.22:
	v_mov_b32_e32 v0, 0
	global_store_b32 v[1:2], v0, off offset:4
.LBB1296_23:
	s_nop 0
	s_sendmsg sendmsg(MSG_DEALLOC_VGPRS)
	s_endpgm
	.section	.rodata,"a",@progbits
	.p2align	6, 0x0
	.amdhsa_kernel _ZL34rocblas_syrkx_herkx_general_kernelIl19rocblas_complex_numIfELi16ELi32ELi8ELb1ELb1ELc78ELc76EKS1_S1_EviT_T0_PT8_S3_lS6_S3_lS4_PT9_S3_li
		.amdhsa_group_segment_fixed_size 4096
		.amdhsa_private_segment_fixed_size 0
		.amdhsa_kernarg_size 108
		.amdhsa_user_sgpr_count 13
		.amdhsa_user_sgpr_dispatch_ptr 0
		.amdhsa_user_sgpr_queue_ptr 0
		.amdhsa_user_sgpr_kernarg_segment_ptr 1
		.amdhsa_user_sgpr_dispatch_id 0
		.amdhsa_user_sgpr_private_segment_size 0
		.amdhsa_wavefront_size32 1
		.amdhsa_uses_dynamic_stack 0
		.amdhsa_enable_private_segment 0
		.amdhsa_system_sgpr_workgroup_id_x 1
		.amdhsa_system_sgpr_workgroup_id_y 1
		.amdhsa_system_sgpr_workgroup_id_z 1
		.amdhsa_system_sgpr_workgroup_info 0
		.amdhsa_system_vgpr_workitem_id 1
		.amdhsa_next_free_vgpr 59
		.amdhsa_next_free_sgpr 32
		.amdhsa_reserve_vcc 1
		.amdhsa_float_round_mode_32 0
		.amdhsa_float_round_mode_16_64 0
		.amdhsa_float_denorm_mode_32 3
		.amdhsa_float_denorm_mode_16_64 3
		.amdhsa_dx10_clamp 1
		.amdhsa_ieee_mode 1
		.amdhsa_fp16_overflow 0
		.amdhsa_workgroup_processor_mode 1
		.amdhsa_memory_ordered 1
		.amdhsa_forward_progress 0
		.amdhsa_shared_vgpr_count 0
		.amdhsa_exception_fp_ieee_invalid_op 0
		.amdhsa_exception_fp_denorm_src 0
		.amdhsa_exception_fp_ieee_div_zero 0
		.amdhsa_exception_fp_ieee_overflow 0
		.amdhsa_exception_fp_ieee_underflow 0
		.amdhsa_exception_fp_ieee_inexact 0
		.amdhsa_exception_int_div_zero 0
	.end_amdhsa_kernel
	.section	.text._ZL34rocblas_syrkx_herkx_general_kernelIl19rocblas_complex_numIfELi16ELi32ELi8ELb1ELb1ELc78ELc76EKS1_S1_EviT_T0_PT8_S3_lS6_S3_lS4_PT9_S3_li,"axG",@progbits,_ZL34rocblas_syrkx_herkx_general_kernelIl19rocblas_complex_numIfELi16ELi32ELi8ELb1ELb1ELc78ELc76EKS1_S1_EviT_T0_PT8_S3_lS6_S3_lS4_PT9_S3_li,comdat
.Lfunc_end1296:
	.size	_ZL34rocblas_syrkx_herkx_general_kernelIl19rocblas_complex_numIfELi16ELi32ELi8ELb1ELb1ELc78ELc76EKS1_S1_EviT_T0_PT8_S3_lS6_S3_lS4_PT9_S3_li, .Lfunc_end1296-_ZL34rocblas_syrkx_herkx_general_kernelIl19rocblas_complex_numIfELi16ELi32ELi8ELb1ELb1ELc78ELc76EKS1_S1_EviT_T0_PT8_S3_lS6_S3_lS4_PT9_S3_li
                                        ; -- End function
	.section	.AMDGPU.csdata,"",@progbits
; Kernel info:
; codeLenInByte = 2716
; NumSgprs: 34
; NumVgprs: 59
; ScratchSize: 0
; MemoryBound: 1
; FloatMode: 240
; IeeeMode: 1
; LDSByteSize: 4096 bytes/workgroup (compile time only)
; SGPRBlocks: 4
; VGPRBlocks: 7
; NumSGPRsForWavesPerEU: 34
; NumVGPRsForWavesPerEU: 59
; Occupancy: 16
; WaveLimiterHint : 0
; COMPUTE_PGM_RSRC2:SCRATCH_EN: 0
; COMPUTE_PGM_RSRC2:USER_SGPR: 13
; COMPUTE_PGM_RSRC2:TRAP_HANDLER: 0
; COMPUTE_PGM_RSRC2:TGID_X_EN: 1
; COMPUTE_PGM_RSRC2:TGID_Y_EN: 1
; COMPUTE_PGM_RSRC2:TGID_Z_EN: 1
; COMPUTE_PGM_RSRC2:TIDIG_COMP_CNT: 1
	.section	.text._ZL34rocblas_syrkx_herkx_general_kernelIl19rocblas_complex_numIfELi16ELi32ELi8ELb1ELb1ELc84ELc85EKS1_S1_EviT_T0_PT8_S3_lS6_S3_lS4_PT9_S3_li,"axG",@progbits,_ZL34rocblas_syrkx_herkx_general_kernelIl19rocblas_complex_numIfELi16ELi32ELi8ELb1ELb1ELc84ELc85EKS1_S1_EviT_T0_PT8_S3_lS6_S3_lS4_PT9_S3_li,comdat
	.globl	_ZL34rocblas_syrkx_herkx_general_kernelIl19rocblas_complex_numIfELi16ELi32ELi8ELb1ELb1ELc84ELc85EKS1_S1_EviT_T0_PT8_S3_lS6_S3_lS4_PT9_S3_li ; -- Begin function _ZL34rocblas_syrkx_herkx_general_kernelIl19rocblas_complex_numIfELi16ELi32ELi8ELb1ELb1ELc84ELc85EKS1_S1_EviT_T0_PT8_S3_lS6_S3_lS4_PT9_S3_li
	.p2align	8
	.type	_ZL34rocblas_syrkx_herkx_general_kernelIl19rocblas_complex_numIfELi16ELi32ELi8ELb1ELb1ELc84ELc85EKS1_S1_EviT_T0_PT8_S3_lS6_S3_lS4_PT9_S3_li,@function
_ZL34rocblas_syrkx_herkx_general_kernelIl19rocblas_complex_numIfELi16ELi32ELi8ELb1ELb1ELc84ELc85EKS1_S1_EviT_T0_PT8_S3_lS6_S3_lS4_PT9_S3_li: ; @_ZL34rocblas_syrkx_herkx_general_kernelIl19rocblas_complex_numIfELi16ELi32ELi8ELb1ELb1ELc84ELc85EKS1_S1_EviT_T0_PT8_S3_lS6_S3_lS4_PT9_S3_li
; %bb.0:
	s_clause 0x1
	s_load_b512 s[16:31], s[0:1], 0x8
	s_load_b32 s8, s[0:1], 0x0
	v_dual_mov_b32 v20, 0 :: v_dual_mov_b32 v21, 0
	v_dual_mov_b32 v18, 0 :: v_dual_mov_b32 v19, 0
	;; [unrolled: 1-line block ×4, first 2 shown]
	v_and_b32_e32 v6, 0x3ff, v0
	v_bfe_u32 v7, v0, 10, 10
	s_lshl_b32 s9, s13, 5
	s_lshl_b32 s10, s14, 5
	s_waitcnt lgkmcnt(0)
	v_cmp_lt_i64_e64 s2, s[16:17], 1
	s_delay_alu instid0(VALU_DEP_1)
	s_and_b32 vcc_lo, exec_lo, s2
	s_cbranch_vccnz .LBB1297_11
; %bb.1:
	v_lshl_add_u32 v1, v7, 4, v6
	v_mov_b32_e32 v0, 0
	v_and_b32_e32 v8, 7, v6
	s_mul_i32 s3, s25, s15
	s_mul_hi_u32 s4, s24, s15
	v_and_b32_e32 v3, 31, v1
	v_lshrrev_b32_e32 v5, 3, v1
	v_lshrrev_b32_e32 v11, 5, v1
	v_lshlrev_b32_e32 v15, 3, v8
	s_mul_i32 s2, s24, s15
	v_add_nc_u32_e32 v4, s9, v3
	v_add_nc_u32_e32 v13, s10, v5
	v_or_b32_e32 v16, s9, v3
	v_dual_mov_b32 v20, 0 :: v_dual_lshlrev_b32 v17, 3, v3
	s_delay_alu instid0(VALU_DEP_4) | instskip(SKIP_3) | instid1(VALU_DEP_4)
	v_ashrrev_i32_e32 v12, 31, v4
	v_mul_lo_u32 v14, s23, v4
	v_mad_u64_u32 v[1:2], null, s22, v4, 0
	v_cmp_gt_i32_e32 vcc_lo, s8, v16
	v_mul_lo_u32 v12, s22, v12
	v_mov_b32_e32 v16, 0
	v_ashrrev_i32_e32 v18, 31, v13
	v_mul_lo_u32 v19, s29, v13
	v_mad_u64_u32 v[3:4], null, s28, v13, 0
	s_add_i32 s3, s4, s3
	v_lshlrev_b32_e32 v9, 3, v6
	v_add3_u32 v2, v2, v12, v14
	v_mul_lo_u32 v14, s28, v18
	v_mov_b32_e32 v18, 0
	v_lshl_or_b32 v5, v5, 6, v15
	s_lshl_b64 s[4:5], s[2:3], 3
	v_lshlrev_b64 v[1:2], 3, v[1:2]
	v_cmp_gt_i32_e64 s2, s8, v13
	v_lshl_add_u32 v10, v7, 6, 0x800
	v_add_nc_u32_e32 v13, 0x800, v5
	v_add3_u32 v4, v4, v14, v19
	v_lshl_or_b32 v12, v11, 8, v17
	v_add_co_u32 v5, s3, v1, s4
	s_delay_alu instid0(VALU_DEP_1)
	v_add_co_ci_u32_e64 v14, s3, s5, v2, s3
	s_mul_i32 s3, s31, s15
	s_mul_hi_u32 s4, s30, s15
	v_lshlrev_b64 v[1:2], 3, v[3:4]
	s_add_i32 s5, s4, s3
	s_mul_i32 s4, s30, s15
	v_lshlrev_b32_e32 v3, 3, v11
	s_lshl_b64 s[4:5], s[4:5], 3
	v_mov_b32_e32 v17, 0
	v_add_co_u32 v1, s3, v1, s4
	s_delay_alu instid0(VALU_DEP_1) | instskip(SKIP_1) | instid1(VALU_DEP_1)
	v_add_co_ci_u32_e64 v2, s3, s5, v2, s3
	v_add_co_u32 v3, s3, v5, v3
	v_add_co_ci_u32_e64 v4, s3, 0, v14, s3
	v_mov_b32_e32 v14, 0
	v_add_co_u32 v1, s3, v1, v15
	s_delay_alu instid0(VALU_DEP_1) | instskip(SKIP_1) | instid1(VALU_DEP_1)
	v_add_co_ci_u32_e64 v5, s3, 0, v2, s3
	v_add_co_u32 v2, s3, s20, v3
	v_add_co_ci_u32_e64 v3, s3, s21, v4, s3
	s_delay_alu instid0(VALU_DEP_4) | instskip(NEXT) | instid1(VALU_DEP_1)
	v_add_co_u32 v4, s3, s26, v1
	v_add_co_ci_u32_e64 v5, s3, s27, v5, s3
	v_mov_b32_e32 v15, 0
	v_mov_b32_e32 v19, 0
	;; [unrolled: 1-line block ×3, first 2 shown]
	s_mov_b64 s[4:5], 0
	s_xor_b32 s3, vcc_lo, -1
	s_xor_b32 s2, s2, -1
	s_branch .LBB1297_3
.LBB1297_2:                             ;   in Loop: Header=BB1297_3 Depth=1
	s_or_b32 exec_lo, exec_lo, s6
	s_waitcnt lgkmcnt(0)
	s_barrier
	buffer_gl0_inv
	ds_load_2addr_b64 v[22:25], v9 offset1:16
	ds_load_b128 v[26:29], v10
	ds_load_b128 v[30:33], v10 offset:1024
	ds_load_b128 v[34:37], v10 offset:16
	;; [unrolled: 1-line block ×4, first 2 shown]
	ds_load_2addr_b64 v[46:49], v9 offset0:32 offset1:48
	ds_load_b128 v[50:53], v10 offset:1040
	s_add_u32 s4, s4, 8
	s_addc_u32 s5, s5, 0
	v_add_co_u32 v2, vcc_lo, v2, 64
	v_cmp_ge_i64_e64 s6, s[4:5], s[16:17]
	v_add_co_ci_u32_e32 v3, vcc_lo, 0, v3, vcc_lo
	v_add_co_u32 v4, vcc_lo, v4, 64
	v_add_co_ci_u32_e32 v5, vcc_lo, 0, v5, vcc_lo
	s_delay_alu instid0(VALU_DEP_4)
	s_and_b32 vcc_lo, exec_lo, s6
	s_waitcnt lgkmcnt(6)
	v_dual_mul_f32 v1, v27, v23 :: v_dual_mul_f32 v56, v26, v25
	v_dual_mul_f32 v54, v26, v23 :: v_dual_mul_f32 v55, v27, v25
	s_waitcnt lgkmcnt(5)
	v_mul_f32_e32 v58, v31, v25
	s_delay_alu instid0(VALU_DEP_3) | instskip(SKIP_3) | instid1(VALU_DEP_4)
	v_fma_f32 v1, v26, v22, -v1
	v_dual_mul_f32 v25, v30, v25 :: v_dual_fmac_f32 v56, v27, v24
	v_fmac_f32_e32 v54, v27, v22
	v_fma_f32 v26, v26, v24, -v55
	v_add_f32_e32 v1, v20, v1
	v_mul_f32_e32 v57, v31, v23
	s_delay_alu instid0(VALU_DEP_4) | instskip(SKIP_2) | instid1(VALU_DEP_4)
	v_dual_mul_f32 v23, v30, v23 :: v_dual_add_f32 v20, v21, v54
	v_fmac_f32_e32 v25, v31, v24
	v_dual_add_f32 v21, v18, v26 :: v_dual_add_f32 v26, v19, v56
	v_fma_f32 v27, v30, v22, -v57
	s_delay_alu instid0(VALU_DEP_4) | instskip(SKIP_3) | instid1(VALU_DEP_2)
	v_fmac_f32_e32 v23, v31, v22
	v_fma_f32 v22, v30, v24, -v58
	s_waitcnt lgkmcnt(1)
	v_mul_f32_e32 v30, v29, v47
	v_dual_add_f32 v27, v16, v27 :: v_dual_add_f32 v14, v14, v22
	v_dual_mul_f32 v22, v28, v47 :: v_dual_add_f32 v15, v15, v25
	v_mul_f32_e32 v25, v28, v49
	s_delay_alu instid0(VALU_DEP_4) | instskip(NEXT) | instid1(VALU_DEP_3)
	v_fma_f32 v24, v28, v46, -v30
	v_fmac_f32_e32 v22, v29, v46
	v_add_f32_e32 v23, v17, v23
	ds_load_2addr_b64 v[16:19], v9 offset0:64 offset1:80
	v_mul_f32_e32 v30, v29, v49
	v_fmac_f32_e32 v25, v29, v48
	v_add_f32_e32 v1, v1, v24
	s_delay_alu instid0(VALU_DEP_2) | instskip(SKIP_1) | instid1(VALU_DEP_1)
	v_add_f32_e32 v25, v26, v25
	v_mul_f32_e32 v26, v32, v49
	v_fmac_f32_e32 v26, v33, v48
	s_waitcnt lgkmcnt(0)
	s_delay_alu instid0(VALU_DEP_1) | instskip(SKIP_1) | instid1(VALU_DEP_2)
	v_dual_add_f32 v26, v15, v26 :: v_dual_mul_f32 v29, v34, v17
	v_mul_f32_e32 v15, v34, v19
	v_fmac_f32_e32 v29, v35, v16
	v_fma_f32 v24, v28, v48, -v30
	v_mul_f32_e32 v28, v33, v47
	v_add_f32_e32 v30, v20, v22
	v_mul_f32_e32 v20, v32, v47
	v_mul_f32_e32 v22, v33, v49
	v_add_f32_e32 v24, v21, v24
	v_fma_f32 v21, v32, v46, -v28
	s_delay_alu instid0(VALU_DEP_4) | instskip(SKIP_1) | instid1(VALU_DEP_3)
	v_dual_add_f32 v29, v30, v29 :: v_dual_fmac_f32 v20, v33, v46
	v_fmac_f32_e32 v15, v35, v18
	v_add_f32_e32 v27, v27, v21
	v_fma_f32 v21, v32, v48, -v22
	v_mul_f32_e32 v22, v35, v17
	v_mul_f32_e32 v32, v35, v19
	v_add_f32_e32 v28, v23, v20
	s_delay_alu instid0(VALU_DEP_4) | instskip(NEXT) | instid1(VALU_DEP_4)
	v_add_f32_e32 v14, v14, v21
	v_fma_f32 v31, v34, v16, -v22
	ds_load_2addr_b64 v[20:23], v9 offset0:96 offset1:112
	v_add_f32_e32 v1, v1, v31
	v_fma_f32 v31, v34, v18, -v32
	s_delay_alu instid0(VALU_DEP_1) | instskip(SKIP_3) | instid1(VALU_DEP_3)
	v_add_f32_e32 v24, v24, v31
	v_mul_f32_e32 v31, v51, v19
	v_mul_f32_e32 v19, v50, v19
	v_add_f32_e32 v32, v25, v15
	v_fma_f32 v15, v50, v18, -v31
	s_delay_alu instid0(VALU_DEP_3)
	v_fmac_f32_e32 v19, v51, v18
	v_mul_f32_e32 v30, v51, v17
	v_mul_f32_e32 v17, v50, v17
	s_waitcnt lgkmcnt(0)
	v_dual_mul_f32 v18, v37, v21 :: v_dual_add_f32 v31, v14, v15
	v_add_f32_e32 v33, v26, v19
	v_fma_f32 v30, v50, v16, -v30
	v_fmac_f32_e32 v17, v51, v16
	s_delay_alu instid0(VALU_DEP_4) | instskip(SKIP_1) | instid1(VALU_DEP_4)
	v_fma_f32 v18, v36, v20, -v18
	v_mul_f32_e32 v25, v36, v21
	v_dual_mul_f32 v19, v36, v23 :: v_dual_add_f32 v30, v27, v30
	s_delay_alu instid0(VALU_DEP_4) | instskip(SKIP_4) | instid1(VALU_DEP_2)
	v_add_f32_e32 v28, v28, v17
	ds_load_2addr_b64 v[14:17], v9 offset0:128 offset1:144
	v_add_f32_e32 v1, v1, v18
	v_mul_f32_e32 v18, v53, v21
	v_fmac_f32_e32 v19, v37, v22
	v_fma_f32 v18, v52, v20, -v18
	v_mul_f32_e32 v27, v37, v23
	s_delay_alu instid0(VALU_DEP_1) | instskip(NEXT) | instid1(VALU_DEP_3)
	v_fma_f32 v26, v36, v22, -v27
	v_add_f32_e32 v36, v30, v18
	s_waitcnt lgkmcnt(0)
	s_delay_alu instid0(VALU_DEP_2) | instskip(SKIP_2) | instid1(VALU_DEP_3)
	v_dual_add_f32 v35, v24, v26 :: v_dual_mul_f32 v46, v38, v15
	v_dual_fmac_f32 v25, v37, v20 :: v_dual_add_f32 v32, v32, v19
	v_mul_f32_e32 v18, v39, v15
	v_fmac_f32_e32 v46, v39, v14
	s_delay_alu instid0(VALU_DEP_3)
	v_add_f32_e32 v34, v29, v25
	v_mul_f32_e32 v29, v53, v23
	v_mul_f32_e32 v23, v52, v23
	ds_load_b128 v[24:27], v10 offset:1056
	v_add_f32_e32 v34, v34, v46
	v_fma_f32 v19, v52, v22, -v29
	v_mul_f32_e32 v21, v52, v21
	v_fmac_f32_e32 v23, v53, v22
	v_mul_f32_e32 v29, v39, v17
	s_delay_alu instid0(VALU_DEP_3) | instskip(NEXT) | instid1(VALU_DEP_3)
	v_dual_add_f32 v22, v31, v19 :: v_dual_fmac_f32 v21, v53, v20
	v_add_f32_e32 v23, v33, v23
	s_delay_alu instid0(VALU_DEP_2) | instskip(SKIP_4) | instid1(VALU_DEP_2)
	v_add_f32_e32 v37, v28, v21
	v_fma_f32 v28, v38, v14, -v18
	ds_load_2addr_b64 v[18:21], v9 offset0:160 offset1:176
	v_mul_f32_e32 v33, v38, v17
	v_fma_f32 v38, v38, v16, -v29
	v_fmac_f32_e32 v33, v39, v16
	s_delay_alu instid0(VALU_DEP_1)
	v_dual_add_f32 v35, v35, v38 :: v_dual_add_f32 v32, v32, v33
	v_add_f32_e32 v1, v1, v28
	ds_load_b128 v[28:31], v10 offset:1072
	s_waitcnt lgkmcnt(2)
	v_mul_f32_e32 v47, v25, v15
	v_mul_f32_e32 v15, v24, v15
	;; [unrolled: 1-line block ×4, first 2 shown]
	s_delay_alu instid0(VALU_DEP_4) | instskip(NEXT) | instid1(VALU_DEP_4)
	v_fma_f32 v38, v24, v14, -v47
	v_fmac_f32_e32 v15, v25, v14
	s_delay_alu instid0(VALU_DEP_4)
	v_fma_f32 v14, v24, v16, -v39
	s_waitcnt lgkmcnt(1)
	v_mul_f32_e32 v17, v41, v19
	v_dual_fmac_f32 v33, v25, v16 :: v_dual_add_f32 v36, v36, v38
	v_add_f32_e32 v24, v37, v15
	v_add_f32_e32 v22, v22, v14
	s_delay_alu instid0(VALU_DEP_4) | instskip(SKIP_2) | instid1(VALU_DEP_1)
	v_fma_f32 v37, v40, v18, -v17
	ds_load_2addr_b64 v[14:17], v9 offset0:192 offset1:208
	v_dual_mul_f32 v25, v40, v19 :: v_dual_mul_f32 v38, v41, v21
	v_fmac_f32_e32 v25, v41, v18
	s_delay_alu instid0(VALU_DEP_1) | instskip(SKIP_4) | instid1(VALU_DEP_3)
	v_add_f32_e32 v34, v34, v25
	v_add_f32_e32 v33, v23, v33
	v_mul_f32_e32 v23, v40, v21
	v_mul_f32_e32 v25, v27, v19
	v_mul_f32_e32 v19, v26, v19
	v_fmac_f32_e32 v23, v41, v20
	s_delay_alu instid0(VALU_DEP_3) | instskip(NEXT) | instid1(VALU_DEP_2)
	v_fma_f32 v25, v26, v18, -v25
	v_dual_fmac_f32 v19, v27, v18 :: v_dual_add_f32 v18, v32, v23
	s_waitcnt lgkmcnt(0)
	v_dual_mul_f32 v32, v43, v15 :: v_dual_add_f32 v1, v1, v37
	v_fma_f32 v37, v40, v20, -v38
	s_delay_alu instid0(VALU_DEP_3) | instskip(NEXT) | instid1(VALU_DEP_3)
	v_add_f32_e32 v19, v24, v19
	v_fma_f32 v32, v42, v14, -v32
	s_delay_alu instid0(VALU_DEP_1) | instskip(NEXT) | instid1(VALU_DEP_4)
	v_add_f32_e32 v1, v1, v32
	v_add_f32_e32 v35, v35, v37
	v_mul_f32_e32 v37, v27, v21
	v_dual_mul_f32 v21, v26, v21 :: v_dual_mul_f32 v32, v29, v15
	s_delay_alu instid0(VALU_DEP_2) | instskip(NEXT) | instid1(VALU_DEP_2)
	v_fma_f32 v23, v26, v20, -v37
	v_dual_add_f32 v26, v36, v25 :: v_dual_fmac_f32 v21, v27, v20
	v_mul_f32_e32 v27, v42, v15
	v_mul_f32_e32 v15, v28, v15
	s_delay_alu instid0(VALU_DEP_4)
	v_add_f32_e32 v20, v22, v23
	ds_load_2addr_b64 v[22:25], v9 offset0:224 offset1:240
	v_fma_f32 v32, v28, v14, -v32
	v_dual_fmac_f32 v27, v43, v14 :: v_dual_mul_f32 v36, v42, v17
	v_fmac_f32_e32 v15, v29, v14
	s_waitcnt lgkmcnt(0)
	s_delay_alu instid0(VALU_DEP_3) | instskip(NEXT) | instid1(VALU_DEP_3)
	v_add_f32_e32 v14, v26, v32
	v_dual_add_f32 v27, v34, v27 :: v_dual_fmac_f32 v36, v43, v16
	s_delay_alu instid0(VALU_DEP_3)
	v_dual_mul_f32 v34, v29, v17 :: v_dual_add_f32 v15, v19, v15
	s_barrier
	buffer_gl0_inv
	v_mul_f32_e32 v26, v45, v23
	v_add_f32_e32 v21, v33, v21
	v_mul_f32_e32 v33, v43, v17
	v_mul_f32_e32 v17, v28, v17
	;; [unrolled: 1-line block ×3, first 2 shown]
	s_delay_alu instid0(VALU_DEP_3) | instskip(NEXT) | instid1(VALU_DEP_3)
	v_fma_f32 v33, v42, v16, -v33
	v_fmac_f32_e32 v17, v29, v16
	s_delay_alu instid0(VALU_DEP_3) | instskip(NEXT) | instid1(VALU_DEP_3)
	v_fmac_f32_e32 v19, v45, v24
	v_add_f32_e32 v33, v35, v33
	v_add_f32_e32 v35, v18, v36
	v_fma_f32 v18, v28, v16, -v34
	v_fma_f32 v16, v44, v22, -v26
	v_mul_f32_e32 v28, v44, v23
	v_dual_add_f32 v26, v21, v17 :: v_dual_mul_f32 v17, v30, v23
	s_delay_alu instid0(VALU_DEP_4) | instskip(NEXT) | instid1(VALU_DEP_4)
	v_dual_add_f32 v29, v20, v18 :: v_dual_mul_f32 v18, v45, v25
	v_add_f32_e32 v20, v1, v16
	v_mul_f32_e32 v16, v31, v23
	v_mul_f32_e32 v23, v31, v25
	;; [unrolled: 1-line block ×3, first 2 shown]
	v_fma_f32 v1, v44, v24, -v18
	v_fmac_f32_e32 v28, v45, v22
	v_fmac_f32_e32 v17, v31, v22
	v_add_f32_e32 v19, v35, v19
	s_delay_alu instid0(VALU_DEP_4)
	v_dual_fmac_f32 v25, v31, v24 :: v_dual_add_f32 v18, v33, v1
	v_fma_f32 v1, v30, v22, -v16
	v_fma_f32 v22, v30, v24, -v23
	v_add_f32_e32 v21, v27, v28
	v_add_f32_e32 v17, v15, v17
	;; [unrolled: 1-line block ×5, first 2 shown]
	s_cbranch_vccnz .LBB1297_11
.LBB1297_3:                             ; =>This Inner Loop Header: Depth=1
	v_add_co_u32 v22, s6, v11, s4
	s_delay_alu instid0(VALU_DEP_1) | instskip(NEXT) | instid1(VALU_DEP_1)
	v_add_co_ci_u32_e64 v23, null, 0, s5, s6
	v_cmp_le_i64_e32 vcc_lo, s[16:17], v[22:23]
	s_or_b32 s6, s3, vcc_lo
	s_delay_alu instid0(SALU_CYCLE_1) | instskip(NEXT) | instid1(SALU_CYCLE_1)
	s_and_saveexec_b32 s7, s6
	s_xor_b32 s6, exec_lo, s7
	s_cbranch_execz .LBB1297_5
; %bb.4:                                ;   in Loop: Header=BB1297_3 Depth=1
	v_mov_b32_e32 v1, v0
	ds_store_b64 v12, v[0:1]
.LBB1297_5:                             ;   in Loop: Header=BB1297_3 Depth=1
	s_and_not1_saveexec_b32 s6, s6
	s_cbranch_execz .LBB1297_7
; %bb.6:                                ;   in Loop: Header=BB1297_3 Depth=1
	global_load_b64 v[22:23], v[2:3], off
	s_waitcnt vmcnt(0)
	ds_store_b64 v12, v[22:23]
.LBB1297_7:                             ;   in Loop: Header=BB1297_3 Depth=1
	s_or_b32 exec_lo, exec_lo, s6
	v_add_co_u32 v22, s6, v8, s4
	s_delay_alu instid0(VALU_DEP_1) | instskip(NEXT) | instid1(VALU_DEP_1)
	v_add_co_ci_u32_e64 v23, null, 0, s5, s6
	v_cmp_le_i64_e32 vcc_lo, s[16:17], v[22:23]
	s_or_b32 s6, vcc_lo, s2
	s_delay_alu instid0(SALU_CYCLE_1) | instskip(NEXT) | instid1(SALU_CYCLE_1)
	s_and_saveexec_b32 s7, s6
	s_xor_b32 s6, exec_lo, s7
	s_cbranch_execz .LBB1297_9
; %bb.8:                                ;   in Loop: Header=BB1297_3 Depth=1
	v_mov_b32_e32 v1, v0
	ds_store_b64 v13, v[0:1]
.LBB1297_9:                             ;   in Loop: Header=BB1297_3 Depth=1
	s_and_not1_saveexec_b32 s6, s6
	s_cbranch_execz .LBB1297_2
; %bb.10:                               ;   in Loop: Header=BB1297_3 Depth=1
	global_load_b64 v[22:23], v[4:5], off
	s_waitcnt vmcnt(0)
	ds_store_b64 v13, v[22:23]
	s_branch .LBB1297_2
.LBB1297_11:
	s_load_b128 s[4:7], s[0:1], 0x50
	v_add_nc_u32_e32 v5, s10, v7
	s_load_b64 s[0:1], s[0:1], 0x60
	s_delay_alu instid0(VALU_DEP_1) | instskip(SKIP_2) | instid1(VALU_DEP_2)
	v_ashrrev_i32_e32 v0, 31, v5
	v_cmp_gt_i32_e32 vcc_lo, s8, v5
	s_waitcnt lgkmcnt(0)
	v_mul_lo_u32 v3, v0, s6
	v_mul_lo_u32 v4, v5, s7
	v_mad_u64_u32 v[1:2], null, v5, s6, 0
	s_mul_i32 s1, s15, s1
	s_mul_hi_u32 s2, s15, s0
	s_mul_i32 s0, s15, s0
	s_add_i32 s1, s2, s1
	v_add_nc_u32_e32 v0, s9, v6
	s_lshl_b64 s[2:3], s[0:1], 3
	s_delay_alu instid0(VALU_DEP_2) | instskip(SKIP_3) | instid1(VALU_DEP_2)
	v_add3_u32 v2, v2, v4, v3
	s_add_u32 s2, s4, s2
	s_addc_u32 s3, s5, s3
	v_cmp_le_i32_e64 s0, v0, v5
	v_lshlrev_b64 v[1:2], 3, v[1:2]
	s_delay_alu instid0(VALU_DEP_2) | instskip(NEXT) | instid1(VALU_DEP_1)
	s_and_b32 s0, vcc_lo, s0
	v_add_co_u32 v4, s1, s2, v1
	s_delay_alu instid0(VALU_DEP_1)
	v_add_co_ci_u32_e64 v6, s1, s3, v2, s1
	s_and_saveexec_b32 s1, s0
	s_cbranch_execz .LBB1297_14
; %bb.12:
	v_ashrrev_i32_e32 v1, 31, v0
	v_mul_f32_e32 v8, s18, v21
	v_mul_f32_e32 v3, s19, v21
	s_delay_alu instid0(VALU_DEP_3) | instskip(NEXT) | instid1(VALU_DEP_3)
	v_lshlrev_b64 v[1:2], 3, v[0:1]
	v_fmac_f32_e32 v8, s19, v20
	s_delay_alu instid0(VALU_DEP_3) | instskip(NEXT) | instid1(VALU_DEP_3)
	v_fma_f32 v7, v20, s18, -v3
	v_add_co_u32 v1, s0, v4, v1
	s_delay_alu instid0(VALU_DEP_1)
	v_add_co_ci_u32_e64 v2, s0, v6, v2, s0
	v_cmp_eq_u32_e64 s0, v5, v0
	global_store_b64 v[1:2], v[7:8], off
	s_and_b32 exec_lo, exec_lo, s0
	s_cbranch_execz .LBB1297_14
; %bb.13:
	v_mov_b32_e32 v3, 0
	global_store_b32 v[1:2], v3, off offset:4
.LBB1297_14:
	s_or_b32 exec_lo, exec_lo, s1
	v_add_nc_u32_e32 v2, 16, v0
	s_delay_alu instid0(VALU_DEP_1) | instskip(NEXT) | instid1(VALU_DEP_1)
	v_cmp_le_i32_e64 s0, v2, v5
	s_and_b32 s1, vcc_lo, s0
	s_delay_alu instid0(SALU_CYCLE_1)
	s_and_saveexec_b32 s0, s1
	s_cbranch_execz .LBB1297_17
; %bb.15:
	v_ashrrev_i32_e32 v3, 31, v2
	v_mul_f32_e32 v8, s18, v19
	v_mul_f32_e32 v1, s19, v19
	s_delay_alu instid0(VALU_DEP_3) | instskip(NEXT) | instid1(VALU_DEP_3)
	v_lshlrev_b64 v[9:10], 3, v[2:3]
	v_fmac_f32_e32 v8, s19, v18
	s_delay_alu instid0(VALU_DEP_3) | instskip(NEXT) | instid1(VALU_DEP_3)
	v_fma_f32 v7, v18, s18, -v1
	v_add_co_u32 v3, vcc_lo, v4, v9
	s_delay_alu instid0(VALU_DEP_4)
	v_add_co_ci_u32_e32 v4, vcc_lo, v6, v10, vcc_lo
	v_cmp_eq_u32_e32 vcc_lo, v5, v2
	global_store_b64 v[3:4], v[7:8], off
	s_and_b32 exec_lo, exec_lo, vcc_lo
	s_cbranch_execz .LBB1297_17
; %bb.16:
	v_mov_b32_e32 v1, 0
	global_store_b32 v[3:4], v1, off offset:4
.LBB1297_17:
	s_or_b32 exec_lo, exec_lo, s0
	v_add_nc_u32_e32 v8, 16, v5
	s_delay_alu instid0(VALU_DEP_1) | instskip(SKIP_3) | instid1(VALU_DEP_4)
	v_ashrrev_i32_e32 v1, 31, v8
	v_mul_lo_u32 v6, v8, s7
	v_mad_u64_u32 v[3:4], null, v8, s6, 0
	v_cmp_gt_i32_e32 vcc_lo, s8, v8
	v_mul_lo_u32 v1, v1, s6
	v_cmp_le_i32_e64 s0, v0, v8
	s_delay_alu instid0(VALU_DEP_1) | instskip(NEXT) | instid1(VALU_DEP_2)
	s_and_b32 s0, vcc_lo, s0
	v_add3_u32 v4, v4, v6, v1
	s_delay_alu instid0(VALU_DEP_1) | instskip(NEXT) | instid1(VALU_DEP_1)
	v_lshlrev_b64 v[3:4], 3, v[3:4]
	v_add_co_u32 v6, s1, s2, v3
	s_delay_alu instid0(VALU_DEP_1)
	v_add_co_ci_u32_e64 v7, s1, s3, v4, s1
	s_and_saveexec_b32 s1, s0
	s_cbranch_execz .LBB1297_20
; %bb.18:
	v_ashrrev_i32_e32 v1, 31, v0
	v_mul_f32_e32 v10, s18, v17
	v_mul_f32_e32 v9, s19, v17
	s_delay_alu instid0(VALU_DEP_3) | instskip(NEXT) | instid1(VALU_DEP_3)
	v_lshlrev_b64 v[3:4], 3, v[0:1]
	v_fmac_f32_e32 v10, s19, v16
	s_delay_alu instid0(VALU_DEP_3) | instskip(NEXT) | instid1(VALU_DEP_3)
	v_fma_f32 v9, v16, s18, -v9
	v_add_co_u32 v3, s0, v6, v3
	s_delay_alu instid0(VALU_DEP_1)
	v_add_co_ci_u32_e64 v4, s0, v7, v4, s0
	v_cmp_eq_u32_e64 s0, v8, v0
	global_store_b64 v[3:4], v[9:10], off
	s_and_b32 exec_lo, exec_lo, s0
	s_cbranch_execz .LBB1297_20
; %bb.19:
	v_mov_b32_e32 v1, 0
	global_store_b32 v[3:4], v1, off offset:4
.LBB1297_20:
	s_or_b32 exec_lo, exec_lo, s1
	v_cmp_le_i32_e64 s0, v2, v8
	s_delay_alu instid0(VALU_DEP_1) | instskip(NEXT) | instid1(SALU_CYCLE_1)
	s_and_b32 s0, vcc_lo, s0
	s_and_saveexec_b32 s1, s0
	s_cbranch_execz .LBB1297_23
; %bb.21:
	v_ashrrev_i32_e32 v3, 31, v2
	v_mul_f32_e32 v8, s19, v15
	v_mul_f32_e32 v4, s18, v15
	s_delay_alu instid0(VALU_DEP_3) | instskip(NEXT) | instid1(VALU_DEP_3)
	v_lshlrev_b64 v[1:2], 3, v[2:3]
	v_fma_f32 v3, v14, s18, -v8
	s_delay_alu instid0(VALU_DEP_3) | instskip(NEXT) | instid1(VALU_DEP_3)
	v_fmac_f32_e32 v4, s19, v14
	v_add_co_u32 v1, vcc_lo, v6, v1
	s_delay_alu instid0(VALU_DEP_4)
	v_add_co_ci_u32_e32 v2, vcc_lo, v7, v2, vcc_lo
	v_cmp_eq_u32_e32 vcc_lo, v5, v0
	global_store_b64 v[1:2], v[3:4], off
	s_and_b32 exec_lo, exec_lo, vcc_lo
	s_cbranch_execz .LBB1297_23
; %bb.22:
	v_mov_b32_e32 v0, 0
	global_store_b32 v[1:2], v0, off offset:4
.LBB1297_23:
	s_nop 0
	s_sendmsg sendmsg(MSG_DEALLOC_VGPRS)
	s_endpgm
	.section	.rodata,"a",@progbits
	.p2align	6, 0x0
	.amdhsa_kernel _ZL34rocblas_syrkx_herkx_general_kernelIl19rocblas_complex_numIfELi16ELi32ELi8ELb1ELb1ELc84ELc85EKS1_S1_EviT_T0_PT8_S3_lS6_S3_lS4_PT9_S3_li
		.amdhsa_group_segment_fixed_size 4096
		.amdhsa_private_segment_fixed_size 0
		.amdhsa_kernarg_size 108
		.amdhsa_user_sgpr_count 13
		.amdhsa_user_sgpr_dispatch_ptr 0
		.amdhsa_user_sgpr_queue_ptr 0
		.amdhsa_user_sgpr_kernarg_segment_ptr 1
		.amdhsa_user_sgpr_dispatch_id 0
		.amdhsa_user_sgpr_private_segment_size 0
		.amdhsa_wavefront_size32 1
		.amdhsa_uses_dynamic_stack 0
		.amdhsa_enable_private_segment 0
		.amdhsa_system_sgpr_workgroup_id_x 1
		.amdhsa_system_sgpr_workgroup_id_y 1
		.amdhsa_system_sgpr_workgroup_id_z 1
		.amdhsa_system_sgpr_workgroup_info 0
		.amdhsa_system_vgpr_workitem_id 1
		.amdhsa_next_free_vgpr 59
		.amdhsa_next_free_sgpr 32
		.amdhsa_reserve_vcc 1
		.amdhsa_float_round_mode_32 0
		.amdhsa_float_round_mode_16_64 0
		.amdhsa_float_denorm_mode_32 3
		.amdhsa_float_denorm_mode_16_64 3
		.amdhsa_dx10_clamp 1
		.amdhsa_ieee_mode 1
		.amdhsa_fp16_overflow 0
		.amdhsa_workgroup_processor_mode 1
		.amdhsa_memory_ordered 1
		.amdhsa_forward_progress 0
		.amdhsa_shared_vgpr_count 0
		.amdhsa_exception_fp_ieee_invalid_op 0
		.amdhsa_exception_fp_denorm_src 0
		.amdhsa_exception_fp_ieee_div_zero 0
		.amdhsa_exception_fp_ieee_overflow 0
		.amdhsa_exception_fp_ieee_underflow 0
		.amdhsa_exception_fp_ieee_inexact 0
		.amdhsa_exception_int_div_zero 0
	.end_amdhsa_kernel
	.section	.text._ZL34rocblas_syrkx_herkx_general_kernelIl19rocblas_complex_numIfELi16ELi32ELi8ELb1ELb1ELc84ELc85EKS1_S1_EviT_T0_PT8_S3_lS6_S3_lS4_PT9_S3_li,"axG",@progbits,_ZL34rocblas_syrkx_herkx_general_kernelIl19rocblas_complex_numIfELi16ELi32ELi8ELb1ELb1ELc84ELc85EKS1_S1_EviT_T0_PT8_S3_lS6_S3_lS4_PT9_S3_li,comdat
.Lfunc_end1297:
	.size	_ZL34rocblas_syrkx_herkx_general_kernelIl19rocblas_complex_numIfELi16ELi32ELi8ELb1ELb1ELc84ELc85EKS1_S1_EviT_T0_PT8_S3_lS6_S3_lS4_PT9_S3_li, .Lfunc_end1297-_ZL34rocblas_syrkx_herkx_general_kernelIl19rocblas_complex_numIfELi16ELi32ELi8ELb1ELb1ELc84ELc85EKS1_S1_EviT_T0_PT8_S3_lS6_S3_lS4_PT9_S3_li
                                        ; -- End function
	.section	.AMDGPU.csdata,"",@progbits
; Kernel info:
; codeLenInByte = 2660
; NumSgprs: 34
; NumVgprs: 59
; ScratchSize: 0
; MemoryBound: 1
; FloatMode: 240
; IeeeMode: 1
; LDSByteSize: 4096 bytes/workgroup (compile time only)
; SGPRBlocks: 4
; VGPRBlocks: 7
; NumSGPRsForWavesPerEU: 34
; NumVGPRsForWavesPerEU: 59
; Occupancy: 16
; WaveLimiterHint : 0
; COMPUTE_PGM_RSRC2:SCRATCH_EN: 0
; COMPUTE_PGM_RSRC2:USER_SGPR: 13
; COMPUTE_PGM_RSRC2:TRAP_HANDLER: 0
; COMPUTE_PGM_RSRC2:TGID_X_EN: 1
; COMPUTE_PGM_RSRC2:TGID_Y_EN: 1
; COMPUTE_PGM_RSRC2:TGID_Z_EN: 1
; COMPUTE_PGM_RSRC2:TIDIG_COMP_CNT: 1
	.section	.text._ZL34rocblas_syrkx_herkx_general_kernelIl19rocblas_complex_numIfELi16ELi32ELi8ELb1ELb1ELc67ELc85EKS1_S1_EviT_T0_PT8_S3_lS6_S3_lS4_PT9_S3_li,"axG",@progbits,_ZL34rocblas_syrkx_herkx_general_kernelIl19rocblas_complex_numIfELi16ELi32ELi8ELb1ELb1ELc67ELc85EKS1_S1_EviT_T0_PT8_S3_lS6_S3_lS4_PT9_S3_li,comdat
	.globl	_ZL34rocblas_syrkx_herkx_general_kernelIl19rocblas_complex_numIfELi16ELi32ELi8ELb1ELb1ELc67ELc85EKS1_S1_EviT_T0_PT8_S3_lS6_S3_lS4_PT9_S3_li ; -- Begin function _ZL34rocblas_syrkx_herkx_general_kernelIl19rocblas_complex_numIfELi16ELi32ELi8ELb1ELb1ELc67ELc85EKS1_S1_EviT_T0_PT8_S3_lS6_S3_lS4_PT9_S3_li
	.p2align	8
	.type	_ZL34rocblas_syrkx_herkx_general_kernelIl19rocblas_complex_numIfELi16ELi32ELi8ELb1ELb1ELc67ELc85EKS1_S1_EviT_T0_PT8_S3_lS6_S3_lS4_PT9_S3_li,@function
_ZL34rocblas_syrkx_herkx_general_kernelIl19rocblas_complex_numIfELi16ELi32ELi8ELb1ELb1ELc67ELc85EKS1_S1_EviT_T0_PT8_S3_lS6_S3_lS4_PT9_S3_li: ; @_ZL34rocblas_syrkx_herkx_general_kernelIl19rocblas_complex_numIfELi16ELi32ELi8ELb1ELb1ELc67ELc85EKS1_S1_EviT_T0_PT8_S3_lS6_S3_lS4_PT9_S3_li
; %bb.0:
	s_clause 0x1
	s_load_b512 s[16:31], s[0:1], 0x8
	s_load_b32 s8, s[0:1], 0x0
	v_dual_mov_b32 v20, 0 :: v_dual_mov_b32 v21, 0
	v_dual_mov_b32 v18, 0 :: v_dual_mov_b32 v19, 0
	;; [unrolled: 1-line block ×4, first 2 shown]
	v_and_b32_e32 v6, 0x3ff, v0
	v_bfe_u32 v7, v0, 10, 10
	s_lshl_b32 s9, s13, 5
	s_lshl_b32 s10, s14, 5
	s_waitcnt lgkmcnt(0)
	v_cmp_lt_i64_e64 s2, s[16:17], 1
	s_delay_alu instid0(VALU_DEP_1)
	s_and_b32 vcc_lo, exec_lo, s2
	s_cbranch_vccnz .LBB1298_11
; %bb.1:
	v_lshl_add_u32 v1, v7, 4, v6
	v_mov_b32_e32 v0, 0
	v_and_b32_e32 v8, 7, v6
	s_mul_i32 s3, s25, s15
	s_mul_hi_u32 s4, s24, s15
	v_and_b32_e32 v3, 31, v1
	v_lshrrev_b32_e32 v5, 3, v1
	v_lshrrev_b32_e32 v11, 5, v1
	v_lshlrev_b32_e32 v15, 3, v8
	s_mul_i32 s2, s24, s15
	v_add_nc_u32_e32 v4, s9, v3
	v_add_nc_u32_e32 v13, s10, v5
	v_or_b32_e32 v16, s9, v3
	v_dual_mov_b32 v20, 0 :: v_dual_lshlrev_b32 v17, 3, v3
	s_delay_alu instid0(VALU_DEP_4) | instskip(SKIP_3) | instid1(VALU_DEP_4)
	v_ashrrev_i32_e32 v12, 31, v4
	v_mul_lo_u32 v14, s23, v4
	v_mad_u64_u32 v[1:2], null, s22, v4, 0
	v_ashrrev_i32_e32 v18, 31, v13
	v_mul_lo_u32 v12, s22, v12
	v_mul_lo_u32 v19, s29, v13
	v_mad_u64_u32 v[3:4], null, s28, v13, 0
	s_add_i32 s3, s4, s3
	v_cmp_gt_i32_e32 vcc_lo, s8, v16
	s_lshl_b64 s[4:5], s[2:3], 3
	v_cmp_gt_i32_e64 s2, s8, v13
	v_add3_u32 v2, v2, v12, v14
	v_mul_lo_u32 v14, s28, v18
	v_mov_b32_e32 v18, 0
	v_lshl_or_b32 v5, v5, 6, v15
	v_lshlrev_b32_e32 v16, 3, v11
	v_lshlrev_b64 v[1:2], 3, v[1:2]
	v_lshlrev_b32_e32 v9, 3, v6
	v_lshl_add_u32 v10, v7, 6, 0x800
	v_add_nc_u32_e32 v13, 0x800, v5
	v_add3_u32 v4, v4, v14, v19
	v_mov_b32_e32 v19, 0
	v_add_co_u32 v5, s3, v1, s4
	s_delay_alu instid0(VALU_DEP_1)
	v_add_co_ci_u32_e64 v14, s3, s5, v2, s3
	s_mul_i32 s3, s31, s15
	s_mul_hi_u32 s4, s30, s15
	v_lshlrev_b64 v[1:2], 3, v[3:4]
	s_add_i32 s5, s4, s3
	s_mul_i32 s4, s30, s15
	v_add_co_u32 v3, s3, v5, v16
	s_lshl_b64 s[4:5], s[4:5], 3
	v_add_co_ci_u32_e64 v4, s3, 0, v14, s3
	v_mov_b32_e32 v14, 0
	v_add_co_u32 v1, s3, v1, s4
	s_delay_alu instid0(VALU_DEP_1) | instskip(SKIP_1) | instid1(VALU_DEP_1)
	v_add_co_ci_u32_e64 v2, s3, s5, v2, s3
	v_add_co_u32 v3, s3, v3, s20
	v_add_co_ci_u32_e64 v4, s3, s21, v4, s3
	s_delay_alu instid0(VALU_DEP_4) | instskip(NEXT) | instid1(VALU_DEP_1)
	v_add_co_u32 v1, s3, v1, v15
	v_add_co_ci_u32_e64 v5, s3, 0, v2, s3
	s_delay_alu instid0(VALU_DEP_4) | instskip(NEXT) | instid1(VALU_DEP_1)
	v_add_co_u32 v2, s3, v3, 4
	v_add_co_ci_u32_e64 v3, s3, 0, v4, s3
	s_delay_alu instid0(VALU_DEP_4)
	v_add_co_u32 v4, s3, s26, v1
	v_lshl_or_b32 v12, v11, 8, v17
	v_add_co_ci_u32_e64 v5, s3, s27, v5, s3
	v_mov_b32_e32 v15, 0
	v_dual_mov_b32 v17, 0 :: v_dual_mov_b32 v16, 0
	v_mov_b32_e32 v21, 0
	s_mov_b64 s[4:5], 0
	s_xor_b32 s3, vcc_lo, -1
	s_xor_b32 s2, s2, -1
	s_branch .LBB1298_3
.LBB1298_2:                             ;   in Loop: Header=BB1298_3 Depth=1
	s_or_b32 exec_lo, exec_lo, s6
	s_waitcnt lgkmcnt(0)
	s_barrier
	buffer_gl0_inv
	ds_load_2addr_b64 v[22:25], v9 offset1:16
	ds_load_b128 v[26:29], v10
	ds_load_b128 v[30:33], v10 offset:1024
	ds_load_b128 v[34:37], v10 offset:16
	;; [unrolled: 1-line block ×4, first 2 shown]
	ds_load_2addr_b64 v[46:49], v9 offset0:32 offset1:48
	ds_load_b128 v[50:53], v10 offset:1040
	s_add_u32 s4, s4, 8
	s_addc_u32 s5, s5, 0
	v_add_co_u32 v2, vcc_lo, v2, 64
	v_cmp_ge_i64_e64 s6, s[4:5], s[16:17]
	v_add_co_ci_u32_e32 v3, vcc_lo, 0, v3, vcc_lo
	v_add_co_u32 v4, vcc_lo, v4, 64
	v_add_co_ci_u32_e32 v5, vcc_lo, 0, v5, vcc_lo
	s_delay_alu instid0(VALU_DEP_4)
	s_and_b32 vcc_lo, exec_lo, s6
	s_waitcnt lgkmcnt(6)
	v_dual_mul_f32 v1, v27, v23 :: v_dual_mul_f32 v56, v26, v25
	v_dual_mul_f32 v54, v26, v23 :: v_dual_mul_f32 v55, v27, v25
	s_waitcnt lgkmcnt(5)
	v_mul_f32_e32 v58, v31, v25
	s_delay_alu instid0(VALU_DEP_3) | instskip(SKIP_3) | instid1(VALU_DEP_4)
	v_fma_f32 v1, v26, v22, -v1
	v_dual_mul_f32 v25, v30, v25 :: v_dual_fmac_f32 v56, v27, v24
	v_fmac_f32_e32 v54, v27, v22
	v_fma_f32 v26, v26, v24, -v55
	v_add_f32_e32 v1, v20, v1
	v_mul_f32_e32 v57, v31, v23
	s_delay_alu instid0(VALU_DEP_4) | instskip(SKIP_2) | instid1(VALU_DEP_4)
	v_dual_mul_f32 v23, v30, v23 :: v_dual_add_f32 v20, v21, v54
	v_fmac_f32_e32 v25, v31, v24
	v_dual_add_f32 v21, v18, v26 :: v_dual_add_f32 v26, v19, v56
	v_fma_f32 v27, v30, v22, -v57
	s_delay_alu instid0(VALU_DEP_4) | instskip(SKIP_3) | instid1(VALU_DEP_2)
	v_fmac_f32_e32 v23, v31, v22
	v_fma_f32 v22, v30, v24, -v58
	s_waitcnt lgkmcnt(1)
	v_mul_f32_e32 v30, v29, v47
	v_dual_add_f32 v27, v16, v27 :: v_dual_add_f32 v14, v14, v22
	v_dual_mul_f32 v22, v28, v47 :: v_dual_add_f32 v15, v15, v25
	v_mul_f32_e32 v25, v28, v49
	s_delay_alu instid0(VALU_DEP_4) | instskip(NEXT) | instid1(VALU_DEP_3)
	v_fma_f32 v24, v28, v46, -v30
	v_fmac_f32_e32 v22, v29, v46
	v_add_f32_e32 v23, v17, v23
	ds_load_2addr_b64 v[16:19], v9 offset0:64 offset1:80
	v_mul_f32_e32 v30, v29, v49
	v_fmac_f32_e32 v25, v29, v48
	v_add_f32_e32 v1, v1, v24
	s_delay_alu instid0(VALU_DEP_2) | instskip(SKIP_1) | instid1(VALU_DEP_1)
	v_add_f32_e32 v25, v26, v25
	v_mul_f32_e32 v26, v32, v49
	v_fmac_f32_e32 v26, v33, v48
	s_waitcnt lgkmcnt(0)
	s_delay_alu instid0(VALU_DEP_1) | instskip(SKIP_1) | instid1(VALU_DEP_2)
	v_dual_add_f32 v26, v15, v26 :: v_dual_mul_f32 v29, v34, v17
	v_mul_f32_e32 v15, v34, v19
	v_fmac_f32_e32 v29, v35, v16
	v_fma_f32 v24, v28, v48, -v30
	v_mul_f32_e32 v28, v33, v47
	v_add_f32_e32 v30, v20, v22
	v_mul_f32_e32 v20, v32, v47
	v_mul_f32_e32 v22, v33, v49
	v_add_f32_e32 v24, v21, v24
	v_fma_f32 v21, v32, v46, -v28
	s_delay_alu instid0(VALU_DEP_4) | instskip(SKIP_1) | instid1(VALU_DEP_3)
	v_dual_add_f32 v29, v30, v29 :: v_dual_fmac_f32 v20, v33, v46
	v_fmac_f32_e32 v15, v35, v18
	v_add_f32_e32 v27, v27, v21
	v_fma_f32 v21, v32, v48, -v22
	v_mul_f32_e32 v22, v35, v17
	v_mul_f32_e32 v32, v35, v19
	v_add_f32_e32 v28, v23, v20
	s_delay_alu instid0(VALU_DEP_4) | instskip(NEXT) | instid1(VALU_DEP_4)
	v_add_f32_e32 v14, v14, v21
	v_fma_f32 v31, v34, v16, -v22
	ds_load_2addr_b64 v[20:23], v9 offset0:96 offset1:112
	v_add_f32_e32 v1, v1, v31
	v_fma_f32 v31, v34, v18, -v32
	s_delay_alu instid0(VALU_DEP_1) | instskip(SKIP_3) | instid1(VALU_DEP_3)
	v_add_f32_e32 v24, v24, v31
	v_mul_f32_e32 v31, v51, v19
	v_mul_f32_e32 v19, v50, v19
	v_add_f32_e32 v32, v25, v15
	v_fma_f32 v15, v50, v18, -v31
	s_delay_alu instid0(VALU_DEP_3)
	v_fmac_f32_e32 v19, v51, v18
	v_mul_f32_e32 v30, v51, v17
	v_mul_f32_e32 v17, v50, v17
	s_waitcnt lgkmcnt(0)
	v_dual_mul_f32 v18, v37, v21 :: v_dual_add_f32 v31, v14, v15
	v_add_f32_e32 v33, v26, v19
	v_fma_f32 v30, v50, v16, -v30
	v_fmac_f32_e32 v17, v51, v16
	s_delay_alu instid0(VALU_DEP_4) | instskip(SKIP_1) | instid1(VALU_DEP_4)
	v_fma_f32 v18, v36, v20, -v18
	v_mul_f32_e32 v25, v36, v21
	v_dual_mul_f32 v19, v36, v23 :: v_dual_add_f32 v30, v27, v30
	s_delay_alu instid0(VALU_DEP_4) | instskip(SKIP_4) | instid1(VALU_DEP_2)
	v_add_f32_e32 v28, v28, v17
	ds_load_2addr_b64 v[14:17], v9 offset0:128 offset1:144
	v_add_f32_e32 v1, v1, v18
	v_mul_f32_e32 v18, v53, v21
	v_fmac_f32_e32 v19, v37, v22
	v_fma_f32 v18, v52, v20, -v18
	v_mul_f32_e32 v27, v37, v23
	s_delay_alu instid0(VALU_DEP_1) | instskip(NEXT) | instid1(VALU_DEP_3)
	v_fma_f32 v26, v36, v22, -v27
	v_add_f32_e32 v36, v30, v18
	s_waitcnt lgkmcnt(0)
	s_delay_alu instid0(VALU_DEP_2) | instskip(SKIP_2) | instid1(VALU_DEP_3)
	v_dual_add_f32 v35, v24, v26 :: v_dual_mul_f32 v46, v38, v15
	v_dual_fmac_f32 v25, v37, v20 :: v_dual_add_f32 v32, v32, v19
	v_mul_f32_e32 v18, v39, v15
	v_fmac_f32_e32 v46, v39, v14
	s_delay_alu instid0(VALU_DEP_3)
	v_add_f32_e32 v34, v29, v25
	v_mul_f32_e32 v29, v53, v23
	v_mul_f32_e32 v23, v52, v23
	ds_load_b128 v[24:27], v10 offset:1056
	v_add_f32_e32 v34, v34, v46
	v_fma_f32 v19, v52, v22, -v29
	v_mul_f32_e32 v21, v52, v21
	v_fmac_f32_e32 v23, v53, v22
	v_mul_f32_e32 v29, v39, v17
	s_delay_alu instid0(VALU_DEP_3) | instskip(NEXT) | instid1(VALU_DEP_3)
	v_dual_add_f32 v22, v31, v19 :: v_dual_fmac_f32 v21, v53, v20
	v_add_f32_e32 v23, v33, v23
	s_delay_alu instid0(VALU_DEP_2) | instskip(SKIP_4) | instid1(VALU_DEP_2)
	v_add_f32_e32 v37, v28, v21
	v_fma_f32 v28, v38, v14, -v18
	ds_load_2addr_b64 v[18:21], v9 offset0:160 offset1:176
	v_mul_f32_e32 v33, v38, v17
	v_fma_f32 v38, v38, v16, -v29
	v_fmac_f32_e32 v33, v39, v16
	s_delay_alu instid0(VALU_DEP_1)
	v_dual_add_f32 v35, v35, v38 :: v_dual_add_f32 v32, v32, v33
	v_add_f32_e32 v1, v1, v28
	ds_load_b128 v[28:31], v10 offset:1072
	s_waitcnt lgkmcnt(2)
	v_mul_f32_e32 v47, v25, v15
	v_mul_f32_e32 v15, v24, v15
	;; [unrolled: 1-line block ×4, first 2 shown]
	s_delay_alu instid0(VALU_DEP_4) | instskip(NEXT) | instid1(VALU_DEP_4)
	v_fma_f32 v38, v24, v14, -v47
	v_fmac_f32_e32 v15, v25, v14
	s_delay_alu instid0(VALU_DEP_4)
	v_fma_f32 v14, v24, v16, -v39
	s_waitcnt lgkmcnt(1)
	v_mul_f32_e32 v17, v41, v19
	v_dual_fmac_f32 v33, v25, v16 :: v_dual_add_f32 v36, v36, v38
	v_add_f32_e32 v24, v37, v15
	v_add_f32_e32 v22, v22, v14
	s_delay_alu instid0(VALU_DEP_4) | instskip(SKIP_2) | instid1(VALU_DEP_1)
	v_fma_f32 v37, v40, v18, -v17
	ds_load_2addr_b64 v[14:17], v9 offset0:192 offset1:208
	v_dual_mul_f32 v25, v40, v19 :: v_dual_mul_f32 v38, v41, v21
	v_fmac_f32_e32 v25, v41, v18
	s_delay_alu instid0(VALU_DEP_1) | instskip(SKIP_4) | instid1(VALU_DEP_3)
	v_add_f32_e32 v34, v34, v25
	v_add_f32_e32 v33, v23, v33
	v_mul_f32_e32 v23, v40, v21
	v_mul_f32_e32 v25, v27, v19
	v_mul_f32_e32 v19, v26, v19
	v_fmac_f32_e32 v23, v41, v20
	s_delay_alu instid0(VALU_DEP_3) | instskip(NEXT) | instid1(VALU_DEP_2)
	v_fma_f32 v25, v26, v18, -v25
	v_dual_fmac_f32 v19, v27, v18 :: v_dual_add_f32 v18, v32, v23
	s_waitcnt lgkmcnt(0)
	v_dual_mul_f32 v32, v43, v15 :: v_dual_add_f32 v1, v1, v37
	v_fma_f32 v37, v40, v20, -v38
	s_delay_alu instid0(VALU_DEP_3) | instskip(NEXT) | instid1(VALU_DEP_3)
	v_add_f32_e32 v19, v24, v19
	v_fma_f32 v32, v42, v14, -v32
	s_delay_alu instid0(VALU_DEP_1) | instskip(NEXT) | instid1(VALU_DEP_4)
	v_add_f32_e32 v1, v1, v32
	v_add_f32_e32 v35, v35, v37
	v_mul_f32_e32 v37, v27, v21
	v_dual_mul_f32 v21, v26, v21 :: v_dual_mul_f32 v32, v29, v15
	s_delay_alu instid0(VALU_DEP_2) | instskip(NEXT) | instid1(VALU_DEP_2)
	v_fma_f32 v23, v26, v20, -v37
	v_dual_add_f32 v26, v36, v25 :: v_dual_fmac_f32 v21, v27, v20
	v_mul_f32_e32 v27, v42, v15
	v_mul_f32_e32 v15, v28, v15
	s_delay_alu instid0(VALU_DEP_4)
	v_add_f32_e32 v20, v22, v23
	ds_load_2addr_b64 v[22:25], v9 offset0:224 offset1:240
	v_fma_f32 v32, v28, v14, -v32
	v_dual_fmac_f32 v27, v43, v14 :: v_dual_mul_f32 v36, v42, v17
	v_fmac_f32_e32 v15, v29, v14
	s_waitcnt lgkmcnt(0)
	s_delay_alu instid0(VALU_DEP_3) | instskip(NEXT) | instid1(VALU_DEP_3)
	v_add_f32_e32 v14, v26, v32
	v_dual_add_f32 v27, v34, v27 :: v_dual_fmac_f32 v36, v43, v16
	s_delay_alu instid0(VALU_DEP_3)
	v_dual_mul_f32 v34, v29, v17 :: v_dual_add_f32 v15, v19, v15
	s_barrier
	buffer_gl0_inv
	v_mul_f32_e32 v26, v45, v23
	v_add_f32_e32 v21, v33, v21
	v_mul_f32_e32 v33, v43, v17
	v_mul_f32_e32 v17, v28, v17
	;; [unrolled: 1-line block ×3, first 2 shown]
	s_delay_alu instid0(VALU_DEP_3) | instskip(NEXT) | instid1(VALU_DEP_3)
	v_fma_f32 v33, v42, v16, -v33
	v_fmac_f32_e32 v17, v29, v16
	s_delay_alu instid0(VALU_DEP_3) | instskip(NEXT) | instid1(VALU_DEP_3)
	v_fmac_f32_e32 v19, v45, v24
	v_add_f32_e32 v33, v35, v33
	v_add_f32_e32 v35, v18, v36
	v_fma_f32 v18, v28, v16, -v34
	v_fma_f32 v16, v44, v22, -v26
	v_mul_f32_e32 v28, v44, v23
	v_dual_add_f32 v26, v21, v17 :: v_dual_mul_f32 v17, v30, v23
	s_delay_alu instid0(VALU_DEP_4) | instskip(NEXT) | instid1(VALU_DEP_4)
	v_dual_add_f32 v29, v20, v18 :: v_dual_mul_f32 v18, v45, v25
	v_add_f32_e32 v20, v1, v16
	v_mul_f32_e32 v16, v31, v23
	v_mul_f32_e32 v23, v31, v25
	;; [unrolled: 1-line block ×3, first 2 shown]
	v_fma_f32 v1, v44, v24, -v18
	v_fmac_f32_e32 v28, v45, v22
	v_fmac_f32_e32 v17, v31, v22
	v_add_f32_e32 v19, v35, v19
	s_delay_alu instid0(VALU_DEP_4)
	v_dual_fmac_f32 v25, v31, v24 :: v_dual_add_f32 v18, v33, v1
	v_fma_f32 v1, v30, v22, -v16
	v_fma_f32 v22, v30, v24, -v23
	v_add_f32_e32 v21, v27, v28
	v_add_f32_e32 v17, v15, v17
	;; [unrolled: 1-line block ×5, first 2 shown]
	s_cbranch_vccnz .LBB1298_11
.LBB1298_3:                             ; =>This Inner Loop Header: Depth=1
	v_add_co_u32 v22, s6, v11, s4
	s_delay_alu instid0(VALU_DEP_1) | instskip(NEXT) | instid1(VALU_DEP_1)
	v_add_co_ci_u32_e64 v23, null, 0, s5, s6
                                        ; implicit-def: $sgpr7
	v_cmp_le_i64_e32 vcc_lo, s[16:17], v[22:23]
	s_or_b32 s6, s3, vcc_lo
	s_delay_alu instid0(SALU_CYCLE_1) | instskip(NEXT) | instid1(SALU_CYCLE_1)
	s_and_saveexec_b32 s11, s6
	s_xor_b32 s6, exec_lo, s11
	s_cbranch_execz .LBB1298_5
; %bb.4:                                ;   in Loop: Header=BB1298_3 Depth=1
	s_mov_b32 s7, 0
	ds_store_b32 v12, v0
.LBB1298_5:                             ;   in Loop: Header=BB1298_3 Depth=1
	s_or_saveexec_b32 s6, s6
	v_mov_b32_e32 v1, s7
	s_xor_b32 exec_lo, exec_lo, s6
	s_cbranch_execz .LBB1298_7
; %bb.6:                                ;   in Loop: Header=BB1298_3 Depth=1
	global_load_b64 v[22:23], v[2:3], off offset:-4
	s_waitcnt vmcnt(0)
	v_xor_b32_e32 v1, 0x80000000, v23
	ds_store_b32 v12, v22
.LBB1298_7:                             ;   in Loop: Header=BB1298_3 Depth=1
	s_or_b32 exec_lo, exec_lo, s6
	v_add_co_u32 v22, s6, v8, s4
	s_delay_alu instid0(VALU_DEP_1) | instskip(SKIP_3) | instid1(SALU_CYCLE_1)
	v_add_co_ci_u32_e64 v23, null, 0, s5, s6
	ds_store_b32 v12, v1 offset:4
	v_cmp_le_i64_e32 vcc_lo, s[16:17], v[22:23]
	s_or_b32 s6, vcc_lo, s2
	s_and_saveexec_b32 s7, s6
	s_delay_alu instid0(SALU_CYCLE_1)
	s_xor_b32 s6, exec_lo, s7
	s_cbranch_execz .LBB1298_9
; %bb.8:                                ;   in Loop: Header=BB1298_3 Depth=1
	v_mov_b32_e32 v1, v0
	ds_store_b64 v13, v[0:1]
.LBB1298_9:                             ;   in Loop: Header=BB1298_3 Depth=1
	s_and_not1_saveexec_b32 s6, s6
	s_cbranch_execz .LBB1298_2
; %bb.10:                               ;   in Loop: Header=BB1298_3 Depth=1
	global_load_b64 v[22:23], v[4:5], off
	s_waitcnt vmcnt(0)
	ds_store_b64 v13, v[22:23]
	s_branch .LBB1298_2
.LBB1298_11:
	s_load_b128 s[4:7], s[0:1], 0x50
	v_add_nc_u32_e32 v5, s10, v7
	s_load_b64 s[0:1], s[0:1], 0x60
	s_delay_alu instid0(VALU_DEP_1) | instskip(SKIP_2) | instid1(VALU_DEP_2)
	v_ashrrev_i32_e32 v0, 31, v5
	v_cmp_gt_i32_e32 vcc_lo, s8, v5
	s_waitcnt lgkmcnt(0)
	v_mul_lo_u32 v3, v0, s6
	v_mul_lo_u32 v4, v5, s7
	v_mad_u64_u32 v[1:2], null, v5, s6, 0
	s_mul_i32 s1, s15, s1
	s_mul_hi_u32 s2, s15, s0
	s_mul_i32 s0, s15, s0
	s_add_i32 s1, s2, s1
	v_add_nc_u32_e32 v0, s9, v6
	s_lshl_b64 s[2:3], s[0:1], 3
	s_delay_alu instid0(VALU_DEP_2) | instskip(SKIP_3) | instid1(VALU_DEP_2)
	v_add3_u32 v2, v2, v4, v3
	s_add_u32 s2, s4, s2
	s_addc_u32 s3, s5, s3
	v_cmp_le_i32_e64 s0, v0, v5
	v_lshlrev_b64 v[1:2], 3, v[1:2]
	s_delay_alu instid0(VALU_DEP_2) | instskip(NEXT) | instid1(VALU_DEP_1)
	s_and_b32 s0, vcc_lo, s0
	v_add_co_u32 v4, s1, s2, v1
	s_delay_alu instid0(VALU_DEP_1)
	v_add_co_ci_u32_e64 v6, s1, s3, v2, s1
	s_and_saveexec_b32 s1, s0
	s_cbranch_execz .LBB1298_14
; %bb.12:
	v_ashrrev_i32_e32 v1, 31, v0
	v_mul_f32_e32 v8, s18, v21
	v_mul_f32_e32 v3, s19, v21
	s_delay_alu instid0(VALU_DEP_3) | instskip(NEXT) | instid1(VALU_DEP_3)
	v_lshlrev_b64 v[1:2], 3, v[0:1]
	v_fmac_f32_e32 v8, s19, v20
	s_delay_alu instid0(VALU_DEP_3) | instskip(NEXT) | instid1(VALU_DEP_3)
	v_fma_f32 v7, v20, s18, -v3
	v_add_co_u32 v1, s0, v4, v1
	s_delay_alu instid0(VALU_DEP_1)
	v_add_co_ci_u32_e64 v2, s0, v6, v2, s0
	v_cmp_eq_u32_e64 s0, v5, v0
	global_store_b64 v[1:2], v[7:8], off
	s_and_b32 exec_lo, exec_lo, s0
	s_cbranch_execz .LBB1298_14
; %bb.13:
	v_mov_b32_e32 v3, 0
	global_store_b32 v[1:2], v3, off offset:4
.LBB1298_14:
	s_or_b32 exec_lo, exec_lo, s1
	v_add_nc_u32_e32 v2, 16, v0
	s_delay_alu instid0(VALU_DEP_1) | instskip(NEXT) | instid1(VALU_DEP_1)
	v_cmp_le_i32_e64 s0, v2, v5
	s_and_b32 s1, vcc_lo, s0
	s_delay_alu instid0(SALU_CYCLE_1)
	s_and_saveexec_b32 s0, s1
	s_cbranch_execz .LBB1298_17
; %bb.15:
	v_ashrrev_i32_e32 v3, 31, v2
	v_mul_f32_e32 v8, s18, v19
	v_mul_f32_e32 v1, s19, v19
	s_delay_alu instid0(VALU_DEP_3) | instskip(NEXT) | instid1(VALU_DEP_3)
	v_lshlrev_b64 v[9:10], 3, v[2:3]
	v_fmac_f32_e32 v8, s19, v18
	s_delay_alu instid0(VALU_DEP_3) | instskip(NEXT) | instid1(VALU_DEP_3)
	v_fma_f32 v7, v18, s18, -v1
	v_add_co_u32 v3, vcc_lo, v4, v9
	s_delay_alu instid0(VALU_DEP_4)
	v_add_co_ci_u32_e32 v4, vcc_lo, v6, v10, vcc_lo
	v_cmp_eq_u32_e32 vcc_lo, v5, v2
	global_store_b64 v[3:4], v[7:8], off
	s_and_b32 exec_lo, exec_lo, vcc_lo
	s_cbranch_execz .LBB1298_17
; %bb.16:
	v_mov_b32_e32 v1, 0
	global_store_b32 v[3:4], v1, off offset:4
.LBB1298_17:
	s_or_b32 exec_lo, exec_lo, s0
	v_add_nc_u32_e32 v8, 16, v5
	s_delay_alu instid0(VALU_DEP_1) | instskip(SKIP_3) | instid1(VALU_DEP_4)
	v_ashrrev_i32_e32 v1, 31, v8
	v_mul_lo_u32 v6, v8, s7
	v_mad_u64_u32 v[3:4], null, v8, s6, 0
	v_cmp_gt_i32_e32 vcc_lo, s8, v8
	v_mul_lo_u32 v1, v1, s6
	v_cmp_le_i32_e64 s0, v0, v8
	s_delay_alu instid0(VALU_DEP_1) | instskip(NEXT) | instid1(VALU_DEP_2)
	s_and_b32 s0, vcc_lo, s0
	v_add3_u32 v4, v4, v6, v1
	s_delay_alu instid0(VALU_DEP_1) | instskip(NEXT) | instid1(VALU_DEP_1)
	v_lshlrev_b64 v[3:4], 3, v[3:4]
	v_add_co_u32 v6, s1, s2, v3
	s_delay_alu instid0(VALU_DEP_1)
	v_add_co_ci_u32_e64 v7, s1, s3, v4, s1
	s_and_saveexec_b32 s1, s0
	s_cbranch_execz .LBB1298_20
; %bb.18:
	v_ashrrev_i32_e32 v1, 31, v0
	v_mul_f32_e32 v10, s18, v17
	v_mul_f32_e32 v9, s19, v17
	s_delay_alu instid0(VALU_DEP_3) | instskip(NEXT) | instid1(VALU_DEP_3)
	v_lshlrev_b64 v[3:4], 3, v[0:1]
	v_fmac_f32_e32 v10, s19, v16
	s_delay_alu instid0(VALU_DEP_3) | instskip(NEXT) | instid1(VALU_DEP_3)
	v_fma_f32 v9, v16, s18, -v9
	v_add_co_u32 v3, s0, v6, v3
	s_delay_alu instid0(VALU_DEP_1)
	v_add_co_ci_u32_e64 v4, s0, v7, v4, s0
	v_cmp_eq_u32_e64 s0, v8, v0
	global_store_b64 v[3:4], v[9:10], off
	s_and_b32 exec_lo, exec_lo, s0
	s_cbranch_execz .LBB1298_20
; %bb.19:
	v_mov_b32_e32 v1, 0
	global_store_b32 v[3:4], v1, off offset:4
.LBB1298_20:
	s_or_b32 exec_lo, exec_lo, s1
	v_cmp_le_i32_e64 s0, v2, v8
	s_delay_alu instid0(VALU_DEP_1) | instskip(NEXT) | instid1(SALU_CYCLE_1)
	s_and_b32 s0, vcc_lo, s0
	s_and_saveexec_b32 s1, s0
	s_cbranch_execz .LBB1298_23
; %bb.21:
	v_ashrrev_i32_e32 v3, 31, v2
	v_mul_f32_e32 v8, s19, v15
	v_mul_f32_e32 v4, s18, v15
	s_delay_alu instid0(VALU_DEP_3) | instskip(NEXT) | instid1(VALU_DEP_3)
	v_lshlrev_b64 v[1:2], 3, v[2:3]
	v_fma_f32 v3, v14, s18, -v8
	s_delay_alu instid0(VALU_DEP_3) | instskip(NEXT) | instid1(VALU_DEP_3)
	v_fmac_f32_e32 v4, s19, v14
	v_add_co_u32 v1, vcc_lo, v6, v1
	s_delay_alu instid0(VALU_DEP_4)
	v_add_co_ci_u32_e32 v2, vcc_lo, v7, v2, vcc_lo
	v_cmp_eq_u32_e32 vcc_lo, v5, v0
	global_store_b64 v[1:2], v[3:4], off
	s_and_b32 exec_lo, exec_lo, vcc_lo
	s_cbranch_execz .LBB1298_23
; %bb.22:
	v_mov_b32_e32 v0, 0
	global_store_b32 v[1:2], v0, off offset:4
.LBB1298_23:
	s_nop 0
	s_sendmsg sendmsg(MSG_DEALLOC_VGPRS)
	s_endpgm
	.section	.rodata,"a",@progbits
	.p2align	6, 0x0
	.amdhsa_kernel _ZL34rocblas_syrkx_herkx_general_kernelIl19rocblas_complex_numIfELi16ELi32ELi8ELb1ELb1ELc67ELc85EKS1_S1_EviT_T0_PT8_S3_lS6_S3_lS4_PT9_S3_li
		.amdhsa_group_segment_fixed_size 4096
		.amdhsa_private_segment_fixed_size 0
		.amdhsa_kernarg_size 108
		.amdhsa_user_sgpr_count 13
		.amdhsa_user_sgpr_dispatch_ptr 0
		.amdhsa_user_sgpr_queue_ptr 0
		.amdhsa_user_sgpr_kernarg_segment_ptr 1
		.amdhsa_user_sgpr_dispatch_id 0
		.amdhsa_user_sgpr_private_segment_size 0
		.amdhsa_wavefront_size32 1
		.amdhsa_uses_dynamic_stack 0
		.amdhsa_enable_private_segment 0
		.amdhsa_system_sgpr_workgroup_id_x 1
		.amdhsa_system_sgpr_workgroup_id_y 1
		.amdhsa_system_sgpr_workgroup_id_z 1
		.amdhsa_system_sgpr_workgroup_info 0
		.amdhsa_system_vgpr_workitem_id 1
		.amdhsa_next_free_vgpr 59
		.amdhsa_next_free_sgpr 32
		.amdhsa_reserve_vcc 1
		.amdhsa_float_round_mode_32 0
		.amdhsa_float_round_mode_16_64 0
		.amdhsa_float_denorm_mode_32 3
		.amdhsa_float_denorm_mode_16_64 3
		.amdhsa_dx10_clamp 1
		.amdhsa_ieee_mode 1
		.amdhsa_fp16_overflow 0
		.amdhsa_workgroup_processor_mode 1
		.amdhsa_memory_ordered 1
		.amdhsa_forward_progress 0
		.amdhsa_shared_vgpr_count 0
		.amdhsa_exception_fp_ieee_invalid_op 0
		.amdhsa_exception_fp_denorm_src 0
		.amdhsa_exception_fp_ieee_div_zero 0
		.amdhsa_exception_fp_ieee_overflow 0
		.amdhsa_exception_fp_ieee_underflow 0
		.amdhsa_exception_fp_ieee_inexact 0
		.amdhsa_exception_int_div_zero 0
	.end_amdhsa_kernel
	.section	.text._ZL34rocblas_syrkx_herkx_general_kernelIl19rocblas_complex_numIfELi16ELi32ELi8ELb1ELb1ELc67ELc85EKS1_S1_EviT_T0_PT8_S3_lS6_S3_lS4_PT9_S3_li,"axG",@progbits,_ZL34rocblas_syrkx_herkx_general_kernelIl19rocblas_complex_numIfELi16ELi32ELi8ELb1ELb1ELc67ELc85EKS1_S1_EviT_T0_PT8_S3_lS6_S3_lS4_PT9_S3_li,comdat
.Lfunc_end1298:
	.size	_ZL34rocblas_syrkx_herkx_general_kernelIl19rocblas_complex_numIfELi16ELi32ELi8ELb1ELb1ELc67ELc85EKS1_S1_EviT_T0_PT8_S3_lS6_S3_lS4_PT9_S3_li, .Lfunc_end1298-_ZL34rocblas_syrkx_herkx_general_kernelIl19rocblas_complex_numIfELi16ELi32ELi8ELb1ELb1ELc67ELc85EKS1_S1_EviT_T0_PT8_S3_lS6_S3_lS4_PT9_S3_li
                                        ; -- End function
	.section	.AMDGPU.csdata,"",@progbits
; Kernel info:
; codeLenInByte = 2704
; NumSgprs: 34
; NumVgprs: 59
; ScratchSize: 0
; MemoryBound: 1
; FloatMode: 240
; IeeeMode: 1
; LDSByteSize: 4096 bytes/workgroup (compile time only)
; SGPRBlocks: 4
; VGPRBlocks: 7
; NumSGPRsForWavesPerEU: 34
; NumVGPRsForWavesPerEU: 59
; Occupancy: 16
; WaveLimiterHint : 0
; COMPUTE_PGM_RSRC2:SCRATCH_EN: 0
; COMPUTE_PGM_RSRC2:USER_SGPR: 13
; COMPUTE_PGM_RSRC2:TRAP_HANDLER: 0
; COMPUTE_PGM_RSRC2:TGID_X_EN: 1
; COMPUTE_PGM_RSRC2:TGID_Y_EN: 1
; COMPUTE_PGM_RSRC2:TGID_Z_EN: 1
; COMPUTE_PGM_RSRC2:TIDIG_COMP_CNT: 1
	.section	.text._ZL34rocblas_syrkx_herkx_general_kernelIl19rocblas_complex_numIfELi16ELi32ELi8ELb1ELb1ELc78ELc85EKS1_S1_EviT_T0_PT8_S3_lS6_S3_lS4_PT9_S3_li,"axG",@progbits,_ZL34rocblas_syrkx_herkx_general_kernelIl19rocblas_complex_numIfELi16ELi32ELi8ELb1ELb1ELc78ELc85EKS1_S1_EviT_T0_PT8_S3_lS6_S3_lS4_PT9_S3_li,comdat
	.globl	_ZL34rocblas_syrkx_herkx_general_kernelIl19rocblas_complex_numIfELi16ELi32ELi8ELb1ELb1ELc78ELc85EKS1_S1_EviT_T0_PT8_S3_lS6_S3_lS4_PT9_S3_li ; -- Begin function _ZL34rocblas_syrkx_herkx_general_kernelIl19rocblas_complex_numIfELi16ELi32ELi8ELb1ELb1ELc78ELc85EKS1_S1_EviT_T0_PT8_S3_lS6_S3_lS4_PT9_S3_li
	.p2align	8
	.type	_ZL34rocblas_syrkx_herkx_general_kernelIl19rocblas_complex_numIfELi16ELi32ELi8ELb1ELb1ELc78ELc85EKS1_S1_EviT_T0_PT8_S3_lS6_S3_lS4_PT9_S3_li,@function
_ZL34rocblas_syrkx_herkx_general_kernelIl19rocblas_complex_numIfELi16ELi32ELi8ELb1ELb1ELc78ELc85EKS1_S1_EviT_T0_PT8_S3_lS6_S3_lS4_PT9_S3_li: ; @_ZL34rocblas_syrkx_herkx_general_kernelIl19rocblas_complex_numIfELi16ELi32ELi8ELb1ELb1ELc78ELc85EKS1_S1_EviT_T0_PT8_S3_lS6_S3_lS4_PT9_S3_li
; %bb.0:
	s_clause 0x1
	s_load_b512 s[16:31], s[0:1], 0x8
	s_load_b32 s10, s[0:1], 0x0
	v_dual_mov_b32 v20, 0 :: v_dual_mov_b32 v21, 0
	v_dual_mov_b32 v18, 0 :: v_dual_mov_b32 v19, 0
	;; [unrolled: 1-line block ×4, first 2 shown]
	v_and_b32_e32 v6, 0x3ff, v0
	v_bfe_u32 v7, v0, 10, 10
	s_lshl_b32 s11, s13, 5
	s_lshl_b32 s12, s14, 5
	s_waitcnt lgkmcnt(0)
	v_cmp_lt_i64_e64 s2, s[16:17], 1
	s_delay_alu instid0(VALU_DEP_1)
	s_and_b32 vcc_lo, exec_lo, s2
	s_cbranch_vccnz .LBB1299_11
; %bb.1:
	v_lshl_add_u32 v5, v7, 4, v6
	v_and_b32_e32 v8, 7, v6
	v_mov_b32_e32 v0, 0
	s_mul_i32 s3, s25, s15
	s_mul_hi_u32 s4, s24, s15
	v_lshrrev_b32_e32 v9, 5, v5
	v_mad_u64_u32 v[3:4], null, s28, v8, 0
	v_lshrrev_b32_e32 v15, 3, v5
	v_and_b32_e32 v5, 31, v5
	s_delay_alu instid0(VALU_DEP_4) | instskip(SKIP_1) | instid1(VALU_DEP_3)
	v_mad_u64_u32 v[1:2], null, s22, v9, 0
	s_mul_i32 s2, s24, s15
	v_dual_mov_b32 v21, 0 :: v_dual_add_nc_u32 v14, s12, v15
	s_delay_alu instid0(VALU_DEP_3) | instskip(SKIP_1) | instid1(VALU_DEP_3)
	v_mad_u64_u32 v[18:19], null, s29, v8, v[4:5]
	s_add_i32 s3, s4, s3
	v_mad_u64_u32 v[12:13], null, s23, v9, v[2:3]
	v_dual_mov_b32 v19, 0 :: v_dual_lshlrev_b32 v2, 3, v8
	v_lshlrev_b32_e32 v17, 3, v5
	v_or_b32_e32 v13, s11, v5
	s_lshl_b64 s[4:5], s[2:3], 3
	s_delay_alu instid0(VALU_DEP_3) | instskip(SKIP_3) | instid1(VALU_DEP_4)
	v_lshl_or_b32 v15, v15, 6, v2
	v_mov_b32_e32 v2, v12
	v_add_nc_u32_e32 v16, s11, v5
	v_cmp_gt_i32_e32 vcc_lo, s10, v13
	v_dual_mov_b32 v4, v18 :: v_dual_add_nc_u32 v13, 0x800, v15
	s_delay_alu instid0(VALU_DEP_4)
	v_lshlrev_b64 v[1:2], 3, v[1:2]
	s_mul_i32 s6, s31, s15
	v_lshl_or_b32 v12, v9, 8, v17
	v_ashrrev_i32_e32 v17, 31, v16
	v_ashrrev_i32_e32 v15, 31, v14
	v_cmp_gt_i32_e64 s2, s10, v14
	v_add_co_u32 v5, s3, v1, s4
	s_delay_alu instid0(VALU_DEP_1)
	v_add_co_ci_u32_e64 v18, s3, s5, v2, s3
	s_mul_hi_u32 s3, s30, s15
	v_lshlrev_b64 v[1:2], 3, v[3:4]
	s_add_i32 s5, s3, s6
	s_mul_i32 s4, s30, s15
	v_lshlrev_b64 v[3:4], 3, v[16:17]
	s_lshl_b64 s[4:5], s[4:5], 3
	v_lshlrev_b32_e32 v10, 3, v6
	v_add_co_u32 v16, s3, s4, v1
	s_delay_alu instid0(VALU_DEP_1) | instskip(SKIP_2) | instid1(VALU_DEP_1)
	v_add_co_ci_u32_e64 v17, s3, s5, v2, s3
	v_lshlrev_b64 v[1:2], 3, v[14:15]
	v_add_co_u32 v3, s3, v5, v3
	v_add_co_ci_u32_e64 v4, s3, v18, v4, s3
	v_lshl_add_u32 v11, v7, 6, 0x800
	s_delay_alu instid0(VALU_DEP_4) | instskip(NEXT) | instid1(VALU_DEP_1)
	v_add_co_u32 v1, s3, v16, v1
	v_add_co_ci_u32_e64 v5, s3, v17, v2, s3
	v_mov_b32_e32 v17, 0
	v_add_co_u32 v2, s3, s20, v3
	s_delay_alu instid0(VALU_DEP_1) | instskip(SKIP_1) | instid1(VALU_DEP_1)
	v_add_co_ci_u32_e64 v3, s3, s21, v4, s3
	v_add_co_u32 v1, s3, v1, s26
	v_add_co_ci_u32_e64 v5, s3, s27, v5, s3
	v_mov_b32_e32 v15, 0
	s_delay_alu instid0(VALU_DEP_3) | instskip(NEXT) | instid1(VALU_DEP_1)
	v_add_co_u32 v4, s3, v1, 4
	v_add_co_ci_u32_e64 v5, s3, 0, v5, s3
	v_mov_b32_e32 v14, 0
	v_mov_b32_e32 v16, 0
	;; [unrolled: 1-line block ×4, first 2 shown]
	s_lshl_b64 s[4:5], s[22:23], 6
	s_lshl_b64 s[6:7], s[28:29], 6
	s_mov_b64 s[8:9], 0
	s_xor_b32 s3, vcc_lo, -1
	s_xor_b32 s2, s2, -1
	s_branch .LBB1299_3
.LBB1299_2:                             ;   in Loop: Header=BB1299_3 Depth=1
	s_or_b32 exec_lo, exec_lo, s13
	ds_store_b32 v13, v1 offset:4
	s_waitcnt lgkmcnt(0)
	s_barrier
	buffer_gl0_inv
	ds_load_2addr_b64 v[22:25], v10 offset1:16
	ds_load_b128 v[26:29], v11
	ds_load_b128 v[30:33], v11 offset:1024
	ds_load_b128 v[34:37], v11 offset:16
	;; [unrolled: 1-line block ×4, first 2 shown]
	ds_load_2addr_b64 v[46:49], v10 offset0:32 offset1:48
	ds_load_b128 v[50:53], v11 offset:1040
	s_add_u32 s8, s8, 8
	s_addc_u32 s9, s9, 0
	v_add_co_u32 v2, vcc_lo, v2, s4
	v_cmp_ge_i64_e64 s13, s[8:9], s[16:17]
	v_add_co_ci_u32_e32 v3, vcc_lo, s5, v3, vcc_lo
	v_add_co_u32 v4, vcc_lo, v4, s6
	v_add_co_ci_u32_e32 v5, vcc_lo, s7, v5, vcc_lo
	s_delay_alu instid0(VALU_DEP_4)
	s_and_b32 vcc_lo, exec_lo, s13
	s_waitcnt lgkmcnt(6)
	v_dual_mul_f32 v1, v27, v23 :: v_dual_mul_f32 v56, v26, v25
	v_dual_mul_f32 v54, v26, v23 :: v_dual_mul_f32 v55, v27, v25
	s_waitcnt lgkmcnt(5)
	v_mul_f32_e32 v58, v31, v25
	s_delay_alu instid0(VALU_DEP_3) | instskip(SKIP_3) | instid1(VALU_DEP_4)
	v_fma_f32 v1, v26, v22, -v1
	v_dual_mul_f32 v25, v30, v25 :: v_dual_fmac_f32 v56, v27, v24
	v_fmac_f32_e32 v54, v27, v22
	v_fma_f32 v26, v26, v24, -v55
	v_add_f32_e32 v1, v20, v1
	v_mul_f32_e32 v57, v31, v23
	s_delay_alu instid0(VALU_DEP_4) | instskip(SKIP_2) | instid1(VALU_DEP_4)
	v_dual_mul_f32 v23, v30, v23 :: v_dual_add_f32 v20, v21, v54
	v_fmac_f32_e32 v25, v31, v24
	v_dual_add_f32 v21, v18, v26 :: v_dual_add_f32 v26, v19, v56
	v_fma_f32 v27, v30, v22, -v57
	s_delay_alu instid0(VALU_DEP_4) | instskip(SKIP_3) | instid1(VALU_DEP_2)
	v_fmac_f32_e32 v23, v31, v22
	v_fma_f32 v22, v30, v24, -v58
	s_waitcnt lgkmcnt(1)
	v_mul_f32_e32 v30, v29, v47
	v_dual_add_f32 v27, v16, v27 :: v_dual_add_f32 v14, v14, v22
	v_dual_mul_f32 v22, v28, v47 :: v_dual_add_f32 v15, v15, v25
	v_mul_f32_e32 v25, v28, v49
	s_delay_alu instid0(VALU_DEP_4) | instskip(NEXT) | instid1(VALU_DEP_3)
	v_fma_f32 v24, v28, v46, -v30
	v_fmac_f32_e32 v22, v29, v46
	v_add_f32_e32 v23, v17, v23
	ds_load_2addr_b64 v[16:19], v10 offset0:64 offset1:80
	v_mul_f32_e32 v30, v29, v49
	v_fmac_f32_e32 v25, v29, v48
	v_add_f32_e32 v1, v1, v24
	s_delay_alu instid0(VALU_DEP_2) | instskip(SKIP_1) | instid1(VALU_DEP_1)
	v_add_f32_e32 v25, v26, v25
	v_mul_f32_e32 v26, v32, v49
	v_fmac_f32_e32 v26, v33, v48
	s_waitcnt lgkmcnt(0)
	s_delay_alu instid0(VALU_DEP_1) | instskip(SKIP_1) | instid1(VALU_DEP_2)
	v_dual_add_f32 v26, v15, v26 :: v_dual_mul_f32 v29, v34, v17
	v_mul_f32_e32 v15, v34, v19
	v_fmac_f32_e32 v29, v35, v16
	v_fma_f32 v24, v28, v48, -v30
	v_mul_f32_e32 v28, v33, v47
	v_add_f32_e32 v30, v20, v22
	v_mul_f32_e32 v20, v32, v47
	v_mul_f32_e32 v22, v33, v49
	v_add_f32_e32 v24, v21, v24
	v_fma_f32 v21, v32, v46, -v28
	s_delay_alu instid0(VALU_DEP_4) | instskip(SKIP_1) | instid1(VALU_DEP_3)
	v_dual_add_f32 v29, v30, v29 :: v_dual_fmac_f32 v20, v33, v46
	v_fmac_f32_e32 v15, v35, v18
	v_add_f32_e32 v27, v27, v21
	v_fma_f32 v21, v32, v48, -v22
	v_mul_f32_e32 v22, v35, v17
	v_mul_f32_e32 v32, v35, v19
	v_add_f32_e32 v28, v23, v20
	s_delay_alu instid0(VALU_DEP_4) | instskip(NEXT) | instid1(VALU_DEP_4)
	v_add_f32_e32 v14, v14, v21
	v_fma_f32 v31, v34, v16, -v22
	ds_load_2addr_b64 v[20:23], v10 offset0:96 offset1:112
	v_add_f32_e32 v1, v1, v31
	v_fma_f32 v31, v34, v18, -v32
	s_delay_alu instid0(VALU_DEP_1) | instskip(SKIP_3) | instid1(VALU_DEP_3)
	v_add_f32_e32 v24, v24, v31
	v_mul_f32_e32 v31, v51, v19
	v_mul_f32_e32 v19, v50, v19
	v_add_f32_e32 v32, v25, v15
	v_fma_f32 v15, v50, v18, -v31
	s_delay_alu instid0(VALU_DEP_3)
	v_fmac_f32_e32 v19, v51, v18
	v_mul_f32_e32 v30, v51, v17
	v_mul_f32_e32 v17, v50, v17
	s_waitcnt lgkmcnt(0)
	v_dual_mul_f32 v18, v37, v21 :: v_dual_add_f32 v31, v14, v15
	v_add_f32_e32 v33, v26, v19
	v_fma_f32 v30, v50, v16, -v30
	v_fmac_f32_e32 v17, v51, v16
	s_delay_alu instid0(VALU_DEP_4) | instskip(SKIP_1) | instid1(VALU_DEP_4)
	v_fma_f32 v18, v36, v20, -v18
	v_mul_f32_e32 v25, v36, v21
	v_dual_mul_f32 v19, v36, v23 :: v_dual_add_f32 v30, v27, v30
	s_delay_alu instid0(VALU_DEP_4) | instskip(SKIP_4) | instid1(VALU_DEP_2)
	v_add_f32_e32 v28, v28, v17
	ds_load_2addr_b64 v[14:17], v10 offset0:128 offset1:144
	v_add_f32_e32 v1, v1, v18
	v_mul_f32_e32 v18, v53, v21
	v_fmac_f32_e32 v19, v37, v22
	v_fma_f32 v18, v52, v20, -v18
	v_mul_f32_e32 v27, v37, v23
	s_delay_alu instid0(VALU_DEP_1) | instskip(NEXT) | instid1(VALU_DEP_3)
	v_fma_f32 v26, v36, v22, -v27
	v_add_f32_e32 v36, v30, v18
	s_waitcnt lgkmcnt(0)
	s_delay_alu instid0(VALU_DEP_2) | instskip(SKIP_2) | instid1(VALU_DEP_3)
	v_dual_add_f32 v35, v24, v26 :: v_dual_mul_f32 v46, v38, v15
	v_dual_fmac_f32 v25, v37, v20 :: v_dual_add_f32 v32, v32, v19
	v_mul_f32_e32 v18, v39, v15
	v_fmac_f32_e32 v46, v39, v14
	s_delay_alu instid0(VALU_DEP_3)
	v_add_f32_e32 v34, v29, v25
	v_mul_f32_e32 v29, v53, v23
	v_mul_f32_e32 v23, v52, v23
	ds_load_b128 v[24:27], v11 offset:1056
	v_add_f32_e32 v34, v34, v46
	v_fma_f32 v19, v52, v22, -v29
	v_mul_f32_e32 v21, v52, v21
	v_fmac_f32_e32 v23, v53, v22
	v_mul_f32_e32 v29, v39, v17
	s_delay_alu instid0(VALU_DEP_3) | instskip(NEXT) | instid1(VALU_DEP_3)
	v_dual_add_f32 v22, v31, v19 :: v_dual_fmac_f32 v21, v53, v20
	v_add_f32_e32 v23, v33, v23
	s_delay_alu instid0(VALU_DEP_2) | instskip(SKIP_4) | instid1(VALU_DEP_2)
	v_add_f32_e32 v37, v28, v21
	v_fma_f32 v28, v38, v14, -v18
	ds_load_2addr_b64 v[18:21], v10 offset0:160 offset1:176
	v_mul_f32_e32 v33, v38, v17
	v_fma_f32 v38, v38, v16, -v29
	v_fmac_f32_e32 v33, v39, v16
	s_delay_alu instid0(VALU_DEP_1)
	v_dual_add_f32 v35, v35, v38 :: v_dual_add_f32 v32, v32, v33
	v_add_f32_e32 v1, v1, v28
	ds_load_b128 v[28:31], v11 offset:1072
	s_waitcnt lgkmcnt(2)
	v_mul_f32_e32 v47, v25, v15
	v_mul_f32_e32 v15, v24, v15
	;; [unrolled: 1-line block ×4, first 2 shown]
	s_delay_alu instid0(VALU_DEP_4) | instskip(NEXT) | instid1(VALU_DEP_4)
	v_fma_f32 v38, v24, v14, -v47
	v_fmac_f32_e32 v15, v25, v14
	s_delay_alu instid0(VALU_DEP_4)
	v_fma_f32 v14, v24, v16, -v39
	s_waitcnt lgkmcnt(1)
	v_mul_f32_e32 v17, v41, v19
	v_dual_fmac_f32 v33, v25, v16 :: v_dual_add_f32 v36, v36, v38
	v_add_f32_e32 v24, v37, v15
	v_add_f32_e32 v22, v22, v14
	s_delay_alu instid0(VALU_DEP_4) | instskip(SKIP_2) | instid1(VALU_DEP_1)
	v_fma_f32 v37, v40, v18, -v17
	ds_load_2addr_b64 v[14:17], v10 offset0:192 offset1:208
	v_dual_mul_f32 v25, v40, v19 :: v_dual_mul_f32 v38, v41, v21
	v_fmac_f32_e32 v25, v41, v18
	s_delay_alu instid0(VALU_DEP_1) | instskip(SKIP_4) | instid1(VALU_DEP_3)
	v_add_f32_e32 v34, v34, v25
	v_add_f32_e32 v33, v23, v33
	v_mul_f32_e32 v23, v40, v21
	v_mul_f32_e32 v25, v27, v19
	;; [unrolled: 1-line block ×3, first 2 shown]
	v_fmac_f32_e32 v23, v41, v20
	s_delay_alu instid0(VALU_DEP_3) | instskip(NEXT) | instid1(VALU_DEP_2)
	v_fma_f32 v25, v26, v18, -v25
	v_dual_fmac_f32 v19, v27, v18 :: v_dual_add_f32 v18, v32, v23
	s_waitcnt lgkmcnt(0)
	v_dual_mul_f32 v32, v43, v15 :: v_dual_add_f32 v1, v1, v37
	v_fma_f32 v37, v40, v20, -v38
	s_delay_alu instid0(VALU_DEP_3) | instskip(NEXT) | instid1(VALU_DEP_3)
	v_add_f32_e32 v19, v24, v19
	v_fma_f32 v32, v42, v14, -v32
	s_delay_alu instid0(VALU_DEP_1) | instskip(NEXT) | instid1(VALU_DEP_4)
	v_add_f32_e32 v1, v1, v32
	v_add_f32_e32 v35, v35, v37
	v_mul_f32_e32 v37, v27, v21
	v_dual_mul_f32 v21, v26, v21 :: v_dual_mul_f32 v32, v29, v15
	s_delay_alu instid0(VALU_DEP_2) | instskip(NEXT) | instid1(VALU_DEP_2)
	v_fma_f32 v23, v26, v20, -v37
	v_dual_add_f32 v26, v36, v25 :: v_dual_fmac_f32 v21, v27, v20
	v_mul_f32_e32 v27, v42, v15
	v_mul_f32_e32 v15, v28, v15
	s_delay_alu instid0(VALU_DEP_4)
	v_add_f32_e32 v20, v22, v23
	ds_load_2addr_b64 v[22:25], v10 offset0:224 offset1:240
	v_fma_f32 v32, v28, v14, -v32
	v_dual_fmac_f32 v27, v43, v14 :: v_dual_mul_f32 v36, v42, v17
	v_fmac_f32_e32 v15, v29, v14
	s_waitcnt lgkmcnt(0)
	s_delay_alu instid0(VALU_DEP_3) | instskip(NEXT) | instid1(VALU_DEP_3)
	v_add_f32_e32 v14, v26, v32
	v_dual_add_f32 v27, v34, v27 :: v_dual_fmac_f32 v36, v43, v16
	s_delay_alu instid0(VALU_DEP_3)
	v_dual_mul_f32 v34, v29, v17 :: v_dual_add_f32 v15, v19, v15
	s_barrier
	buffer_gl0_inv
	v_mul_f32_e32 v26, v45, v23
	v_add_f32_e32 v21, v33, v21
	v_mul_f32_e32 v33, v43, v17
	v_mul_f32_e32 v17, v28, v17
	;; [unrolled: 1-line block ×3, first 2 shown]
	s_delay_alu instid0(VALU_DEP_3) | instskip(NEXT) | instid1(VALU_DEP_3)
	v_fma_f32 v33, v42, v16, -v33
	v_fmac_f32_e32 v17, v29, v16
	s_delay_alu instid0(VALU_DEP_3) | instskip(NEXT) | instid1(VALU_DEP_3)
	v_fmac_f32_e32 v19, v45, v24
	v_add_f32_e32 v33, v35, v33
	v_add_f32_e32 v35, v18, v36
	v_fma_f32 v18, v28, v16, -v34
	v_fma_f32 v16, v44, v22, -v26
	v_mul_f32_e32 v28, v44, v23
	v_dual_add_f32 v26, v21, v17 :: v_dual_mul_f32 v17, v30, v23
	s_delay_alu instid0(VALU_DEP_4) | instskip(NEXT) | instid1(VALU_DEP_4)
	v_dual_add_f32 v29, v20, v18 :: v_dual_mul_f32 v18, v45, v25
	v_add_f32_e32 v20, v1, v16
	v_mul_f32_e32 v16, v31, v23
	v_mul_f32_e32 v23, v31, v25
	;; [unrolled: 1-line block ×3, first 2 shown]
	v_fma_f32 v1, v44, v24, -v18
	v_fmac_f32_e32 v28, v45, v22
	v_fmac_f32_e32 v17, v31, v22
	v_add_f32_e32 v19, v35, v19
	s_delay_alu instid0(VALU_DEP_4)
	v_dual_fmac_f32 v25, v31, v24 :: v_dual_add_f32 v18, v33, v1
	v_fma_f32 v1, v30, v22, -v16
	v_fma_f32 v22, v30, v24, -v23
	v_add_f32_e32 v21, v27, v28
	v_add_f32_e32 v17, v15, v17
	;; [unrolled: 1-line block ×5, first 2 shown]
	s_cbranch_vccnz .LBB1299_11
.LBB1299_3:                             ; =>This Inner Loop Header: Depth=1
	v_add_co_u32 v22, s13, v9, s8
	s_delay_alu instid0(VALU_DEP_1) | instskip(NEXT) | instid1(VALU_DEP_1)
	v_add_co_ci_u32_e64 v23, null, 0, s9, s13
	v_cmp_le_i64_e32 vcc_lo, s[16:17], v[22:23]
	s_or_b32 s13, s3, vcc_lo
	s_delay_alu instid0(SALU_CYCLE_1) | instskip(NEXT) | instid1(SALU_CYCLE_1)
	s_and_saveexec_b32 s14, s13
	s_xor_b32 s13, exec_lo, s14
	s_cbranch_execz .LBB1299_5
; %bb.4:                                ;   in Loop: Header=BB1299_3 Depth=1
	v_mov_b32_e32 v1, v0
	ds_store_b64 v12, v[0:1]
.LBB1299_5:                             ;   in Loop: Header=BB1299_3 Depth=1
	s_and_not1_saveexec_b32 s13, s13
	s_cbranch_execz .LBB1299_7
; %bb.6:                                ;   in Loop: Header=BB1299_3 Depth=1
	global_load_b64 v[22:23], v[2:3], off
	s_waitcnt vmcnt(0)
	ds_store_b64 v12, v[22:23]
.LBB1299_7:                             ;   in Loop: Header=BB1299_3 Depth=1
	s_or_b32 exec_lo, exec_lo, s13
	v_add_co_u32 v22, s13, v8, s8
	s_delay_alu instid0(VALU_DEP_1) | instskip(NEXT) | instid1(VALU_DEP_1)
	v_add_co_ci_u32_e64 v23, null, 0, s9, s13
                                        ; implicit-def: $sgpr14
	v_cmp_le_i64_e32 vcc_lo, s[16:17], v[22:23]
	s_or_b32 s13, vcc_lo, s2
	s_delay_alu instid0(SALU_CYCLE_1) | instskip(NEXT) | instid1(SALU_CYCLE_1)
	s_and_saveexec_b32 s20, s13
	s_xor_b32 s13, exec_lo, s20
	s_cbranch_execz .LBB1299_9
; %bb.8:                                ;   in Loop: Header=BB1299_3 Depth=1
	s_mov_b32 s14, 0
	ds_store_b32 v13, v0
.LBB1299_9:                             ;   in Loop: Header=BB1299_3 Depth=1
	s_or_saveexec_b32 s13, s13
	v_mov_b32_e32 v1, s14
	s_xor_b32 exec_lo, exec_lo, s13
	s_cbranch_execz .LBB1299_2
; %bb.10:                               ;   in Loop: Header=BB1299_3 Depth=1
	global_load_b64 v[22:23], v[4:5], off offset:-4
	s_waitcnt vmcnt(0)
	v_xor_b32_e32 v1, 0x80000000, v23
	ds_store_b32 v13, v22
	s_branch .LBB1299_2
.LBB1299_11:
	s_load_b128 s[4:7], s[0:1], 0x50
	v_add_nc_u32_e32 v5, s12, v7
	s_load_b64 s[0:1], s[0:1], 0x60
	s_delay_alu instid0(VALU_DEP_1) | instskip(SKIP_2) | instid1(VALU_DEP_2)
	v_ashrrev_i32_e32 v0, 31, v5
	v_cmp_gt_i32_e32 vcc_lo, s10, v5
	s_waitcnt lgkmcnt(0)
	v_mul_lo_u32 v3, v0, s6
	v_mul_lo_u32 v4, v5, s7
	v_mad_u64_u32 v[1:2], null, v5, s6, 0
	s_mul_i32 s1, s15, s1
	s_mul_hi_u32 s2, s15, s0
	s_mul_i32 s0, s15, s0
	s_add_i32 s1, s2, s1
	v_add_nc_u32_e32 v0, s11, v6
	s_lshl_b64 s[2:3], s[0:1], 3
	s_delay_alu instid0(VALU_DEP_2) | instskip(SKIP_3) | instid1(VALU_DEP_2)
	v_add3_u32 v2, v2, v4, v3
	s_add_u32 s2, s4, s2
	s_addc_u32 s3, s5, s3
	v_cmp_le_i32_e64 s0, v0, v5
	v_lshlrev_b64 v[1:2], 3, v[1:2]
	s_delay_alu instid0(VALU_DEP_2) | instskip(NEXT) | instid1(VALU_DEP_1)
	s_and_b32 s0, vcc_lo, s0
	v_add_co_u32 v4, s1, s2, v1
	s_delay_alu instid0(VALU_DEP_1)
	v_add_co_ci_u32_e64 v6, s1, s3, v2, s1
	s_and_saveexec_b32 s1, s0
	s_cbranch_execz .LBB1299_14
; %bb.12:
	v_ashrrev_i32_e32 v1, 31, v0
	v_mul_f32_e32 v8, s18, v21
	v_mul_f32_e32 v3, s19, v21
	s_delay_alu instid0(VALU_DEP_3) | instskip(NEXT) | instid1(VALU_DEP_3)
	v_lshlrev_b64 v[1:2], 3, v[0:1]
	v_fmac_f32_e32 v8, s19, v20
	s_delay_alu instid0(VALU_DEP_3) | instskip(NEXT) | instid1(VALU_DEP_3)
	v_fma_f32 v7, v20, s18, -v3
	v_add_co_u32 v1, s0, v4, v1
	s_delay_alu instid0(VALU_DEP_1)
	v_add_co_ci_u32_e64 v2, s0, v6, v2, s0
	v_cmp_eq_u32_e64 s0, v5, v0
	global_store_b64 v[1:2], v[7:8], off
	s_and_b32 exec_lo, exec_lo, s0
	s_cbranch_execz .LBB1299_14
; %bb.13:
	v_mov_b32_e32 v3, 0
	global_store_b32 v[1:2], v3, off offset:4
.LBB1299_14:
	s_or_b32 exec_lo, exec_lo, s1
	v_add_nc_u32_e32 v2, 16, v0
	s_delay_alu instid0(VALU_DEP_1) | instskip(NEXT) | instid1(VALU_DEP_1)
	v_cmp_le_i32_e64 s0, v2, v5
	s_and_b32 s1, vcc_lo, s0
	s_delay_alu instid0(SALU_CYCLE_1)
	s_and_saveexec_b32 s0, s1
	s_cbranch_execz .LBB1299_17
; %bb.15:
	v_ashrrev_i32_e32 v3, 31, v2
	v_mul_f32_e32 v8, s18, v19
	v_mul_f32_e32 v1, s19, v19
	s_delay_alu instid0(VALU_DEP_3) | instskip(NEXT) | instid1(VALU_DEP_3)
	v_lshlrev_b64 v[9:10], 3, v[2:3]
	v_fmac_f32_e32 v8, s19, v18
	s_delay_alu instid0(VALU_DEP_3) | instskip(NEXT) | instid1(VALU_DEP_3)
	v_fma_f32 v7, v18, s18, -v1
	v_add_co_u32 v3, vcc_lo, v4, v9
	s_delay_alu instid0(VALU_DEP_4)
	v_add_co_ci_u32_e32 v4, vcc_lo, v6, v10, vcc_lo
	v_cmp_eq_u32_e32 vcc_lo, v5, v2
	global_store_b64 v[3:4], v[7:8], off
	s_and_b32 exec_lo, exec_lo, vcc_lo
	s_cbranch_execz .LBB1299_17
; %bb.16:
	v_mov_b32_e32 v1, 0
	global_store_b32 v[3:4], v1, off offset:4
.LBB1299_17:
	s_or_b32 exec_lo, exec_lo, s0
	v_add_nc_u32_e32 v8, 16, v5
	s_delay_alu instid0(VALU_DEP_1) | instskip(SKIP_3) | instid1(VALU_DEP_4)
	v_ashrrev_i32_e32 v1, 31, v8
	v_mul_lo_u32 v6, v8, s7
	v_mad_u64_u32 v[3:4], null, v8, s6, 0
	v_cmp_gt_i32_e32 vcc_lo, s10, v8
	v_mul_lo_u32 v1, v1, s6
	v_cmp_le_i32_e64 s0, v0, v8
	s_delay_alu instid0(VALU_DEP_1) | instskip(NEXT) | instid1(VALU_DEP_2)
	s_and_b32 s0, vcc_lo, s0
	v_add3_u32 v4, v4, v6, v1
	s_delay_alu instid0(VALU_DEP_1) | instskip(NEXT) | instid1(VALU_DEP_1)
	v_lshlrev_b64 v[3:4], 3, v[3:4]
	v_add_co_u32 v6, s1, s2, v3
	s_delay_alu instid0(VALU_DEP_1)
	v_add_co_ci_u32_e64 v7, s1, s3, v4, s1
	s_and_saveexec_b32 s1, s0
	s_cbranch_execz .LBB1299_20
; %bb.18:
	v_ashrrev_i32_e32 v1, 31, v0
	v_mul_f32_e32 v10, s18, v17
	v_mul_f32_e32 v9, s19, v17
	s_delay_alu instid0(VALU_DEP_3) | instskip(NEXT) | instid1(VALU_DEP_3)
	v_lshlrev_b64 v[3:4], 3, v[0:1]
	v_fmac_f32_e32 v10, s19, v16
	s_delay_alu instid0(VALU_DEP_3) | instskip(NEXT) | instid1(VALU_DEP_3)
	v_fma_f32 v9, v16, s18, -v9
	v_add_co_u32 v3, s0, v6, v3
	s_delay_alu instid0(VALU_DEP_1)
	v_add_co_ci_u32_e64 v4, s0, v7, v4, s0
	v_cmp_eq_u32_e64 s0, v8, v0
	global_store_b64 v[3:4], v[9:10], off
	s_and_b32 exec_lo, exec_lo, s0
	s_cbranch_execz .LBB1299_20
; %bb.19:
	v_mov_b32_e32 v1, 0
	global_store_b32 v[3:4], v1, off offset:4
.LBB1299_20:
	s_or_b32 exec_lo, exec_lo, s1
	v_cmp_le_i32_e64 s0, v2, v8
	s_delay_alu instid0(VALU_DEP_1) | instskip(NEXT) | instid1(SALU_CYCLE_1)
	s_and_b32 s0, vcc_lo, s0
	s_and_saveexec_b32 s1, s0
	s_cbranch_execz .LBB1299_23
; %bb.21:
	v_ashrrev_i32_e32 v3, 31, v2
	v_mul_f32_e32 v8, s19, v15
	v_mul_f32_e32 v4, s18, v15
	s_delay_alu instid0(VALU_DEP_3) | instskip(NEXT) | instid1(VALU_DEP_3)
	v_lshlrev_b64 v[1:2], 3, v[2:3]
	v_fma_f32 v3, v14, s18, -v8
	s_delay_alu instid0(VALU_DEP_3) | instskip(NEXT) | instid1(VALU_DEP_3)
	v_fmac_f32_e32 v4, s19, v14
	v_add_co_u32 v1, vcc_lo, v6, v1
	s_delay_alu instid0(VALU_DEP_4)
	v_add_co_ci_u32_e32 v2, vcc_lo, v7, v2, vcc_lo
	v_cmp_eq_u32_e32 vcc_lo, v5, v0
	global_store_b64 v[1:2], v[3:4], off
	s_and_b32 exec_lo, exec_lo, vcc_lo
	s_cbranch_execz .LBB1299_23
; %bb.22:
	v_mov_b32_e32 v0, 0
	global_store_b32 v[1:2], v0, off offset:4
.LBB1299_23:
	s_nop 0
	s_sendmsg sendmsg(MSG_DEALLOC_VGPRS)
	s_endpgm
	.section	.rodata,"a",@progbits
	.p2align	6, 0x0
	.amdhsa_kernel _ZL34rocblas_syrkx_herkx_general_kernelIl19rocblas_complex_numIfELi16ELi32ELi8ELb1ELb1ELc78ELc85EKS1_S1_EviT_T0_PT8_S3_lS6_S3_lS4_PT9_S3_li
		.amdhsa_group_segment_fixed_size 4096
		.amdhsa_private_segment_fixed_size 0
		.amdhsa_kernarg_size 108
		.amdhsa_user_sgpr_count 13
		.amdhsa_user_sgpr_dispatch_ptr 0
		.amdhsa_user_sgpr_queue_ptr 0
		.amdhsa_user_sgpr_kernarg_segment_ptr 1
		.amdhsa_user_sgpr_dispatch_id 0
		.amdhsa_user_sgpr_private_segment_size 0
		.amdhsa_wavefront_size32 1
		.amdhsa_uses_dynamic_stack 0
		.amdhsa_enable_private_segment 0
		.amdhsa_system_sgpr_workgroup_id_x 1
		.amdhsa_system_sgpr_workgroup_id_y 1
		.amdhsa_system_sgpr_workgroup_id_z 1
		.amdhsa_system_sgpr_workgroup_info 0
		.amdhsa_system_vgpr_workitem_id 1
		.amdhsa_next_free_vgpr 59
		.amdhsa_next_free_sgpr 32
		.amdhsa_reserve_vcc 1
		.amdhsa_float_round_mode_32 0
		.amdhsa_float_round_mode_16_64 0
		.amdhsa_float_denorm_mode_32 3
		.amdhsa_float_denorm_mode_16_64 3
		.amdhsa_dx10_clamp 1
		.amdhsa_ieee_mode 1
		.amdhsa_fp16_overflow 0
		.amdhsa_workgroup_processor_mode 1
		.amdhsa_memory_ordered 1
		.amdhsa_forward_progress 0
		.amdhsa_shared_vgpr_count 0
		.amdhsa_exception_fp_ieee_invalid_op 0
		.amdhsa_exception_fp_denorm_src 0
		.amdhsa_exception_fp_ieee_div_zero 0
		.amdhsa_exception_fp_ieee_overflow 0
		.amdhsa_exception_fp_ieee_underflow 0
		.amdhsa_exception_fp_ieee_inexact 0
		.amdhsa_exception_int_div_zero 0
	.end_amdhsa_kernel
	.section	.text._ZL34rocblas_syrkx_herkx_general_kernelIl19rocblas_complex_numIfELi16ELi32ELi8ELb1ELb1ELc78ELc85EKS1_S1_EviT_T0_PT8_S3_lS6_S3_lS4_PT9_S3_li,"axG",@progbits,_ZL34rocblas_syrkx_herkx_general_kernelIl19rocblas_complex_numIfELi16ELi32ELi8ELb1ELb1ELc78ELc85EKS1_S1_EviT_T0_PT8_S3_lS6_S3_lS4_PT9_S3_li,comdat
.Lfunc_end1299:
	.size	_ZL34rocblas_syrkx_herkx_general_kernelIl19rocblas_complex_numIfELi16ELi32ELi8ELb1ELb1ELc78ELc85EKS1_S1_EviT_T0_PT8_S3_lS6_S3_lS4_PT9_S3_li, .Lfunc_end1299-_ZL34rocblas_syrkx_herkx_general_kernelIl19rocblas_complex_numIfELi16ELi32ELi8ELb1ELb1ELc78ELc85EKS1_S1_EviT_T0_PT8_S3_lS6_S3_lS4_PT9_S3_li
                                        ; -- End function
	.section	.AMDGPU.csdata,"",@progbits
; Kernel info:
; codeLenInByte = 2712
; NumSgprs: 34
; NumVgprs: 59
; ScratchSize: 0
; MemoryBound: 1
; FloatMode: 240
; IeeeMode: 1
; LDSByteSize: 4096 bytes/workgroup (compile time only)
; SGPRBlocks: 4
; VGPRBlocks: 7
; NumSGPRsForWavesPerEU: 34
; NumVGPRsForWavesPerEU: 59
; Occupancy: 16
; WaveLimiterHint : 0
; COMPUTE_PGM_RSRC2:SCRATCH_EN: 0
; COMPUTE_PGM_RSRC2:USER_SGPR: 13
; COMPUTE_PGM_RSRC2:TRAP_HANDLER: 0
; COMPUTE_PGM_RSRC2:TGID_X_EN: 1
; COMPUTE_PGM_RSRC2:TGID_Y_EN: 1
; COMPUTE_PGM_RSRC2:TGID_Z_EN: 1
; COMPUTE_PGM_RSRC2:TIDIG_COMP_CNT: 1
	.section	.text._ZL34rocblas_syrkx_herkx_general_kernelIl19rocblas_complex_numIfELi16ELi32ELi8ELb0ELb1ELc84ELc76EKS1_S1_EviT_T0_PT8_S3_lS6_S3_lS4_PT9_S3_li,"axG",@progbits,_ZL34rocblas_syrkx_herkx_general_kernelIl19rocblas_complex_numIfELi16ELi32ELi8ELb0ELb1ELc84ELc76EKS1_S1_EviT_T0_PT8_S3_lS6_S3_lS4_PT9_S3_li,comdat
	.globl	_ZL34rocblas_syrkx_herkx_general_kernelIl19rocblas_complex_numIfELi16ELi32ELi8ELb0ELb1ELc84ELc76EKS1_S1_EviT_T0_PT8_S3_lS6_S3_lS4_PT9_S3_li ; -- Begin function _ZL34rocblas_syrkx_herkx_general_kernelIl19rocblas_complex_numIfELi16ELi32ELi8ELb0ELb1ELc84ELc76EKS1_S1_EviT_T0_PT8_S3_lS6_S3_lS4_PT9_S3_li
	.p2align	8
	.type	_ZL34rocblas_syrkx_herkx_general_kernelIl19rocblas_complex_numIfELi16ELi32ELi8ELb0ELb1ELc84ELc76EKS1_S1_EviT_T0_PT8_S3_lS6_S3_lS4_PT9_S3_li,@function
_ZL34rocblas_syrkx_herkx_general_kernelIl19rocblas_complex_numIfELi16ELi32ELi8ELb0ELb1ELc84ELc76EKS1_S1_EviT_T0_PT8_S3_lS6_S3_lS4_PT9_S3_li: ; @_ZL34rocblas_syrkx_herkx_general_kernelIl19rocblas_complex_numIfELi16ELi32ELi8ELb0ELb1ELc84ELc76EKS1_S1_EviT_T0_PT8_S3_lS6_S3_lS4_PT9_S3_li
; %bb.0:
	s_clause 0x1
	s_load_b512 s[16:31], s[0:1], 0x8
	s_load_b32 s12, s[0:1], 0x0
	v_dual_mov_b32 v20, 0 :: v_dual_mov_b32 v21, 0
	v_dual_mov_b32 v18, 0 :: v_dual_mov_b32 v19, 0
	;; [unrolled: 1-line block ×4, first 2 shown]
	v_and_b32_e32 v6, 0x3ff, v0
	v_bfe_u32 v7, v0, 10, 10
	s_lshl_b32 s13, s13, 5
	s_lshl_b32 s14, s14, 5
	s_waitcnt lgkmcnt(0)
	v_cmp_lt_i64_e64 s2, s[16:17], 1
	s_delay_alu instid0(VALU_DEP_1)
	s_and_b32 vcc_lo, exec_lo, s2
	s_cbranch_vccnz .LBB1300_11
; %bb.1:
	v_lshl_add_u32 v1, v7, 4, v6
	v_mov_b32_e32 v0, 0
	v_and_b32_e32 v8, 7, v6
	s_mul_i32 s3, s25, s15
	s_mul_hi_u32 s4, s24, s15
	v_and_b32_e32 v3, 31, v1
	v_lshrrev_b32_e32 v5, 3, v1
	v_lshrrev_b32_e32 v11, 5, v1
	v_lshlrev_b32_e32 v15, 3, v8
	s_mul_i32 s2, s24, s15
	v_add_nc_u32_e32 v4, s13, v3
	v_add_nc_u32_e32 v13, s14, v5
	v_or_b32_e32 v16, s13, v3
	v_dual_mov_b32 v20, 0 :: v_dual_lshlrev_b32 v17, 3, v3
	s_delay_alu instid0(VALU_DEP_4) | instskip(SKIP_3) | instid1(VALU_DEP_4)
	v_ashrrev_i32_e32 v12, 31, v4
	v_mul_lo_u32 v14, s23, v4
	v_mad_u64_u32 v[1:2], null, s22, v4, 0
	v_cmp_gt_i32_e32 vcc_lo, s12, v16
	v_mul_lo_u32 v12, s22, v12
	v_mov_b32_e32 v16, 0
	v_ashrrev_i32_e32 v18, 31, v13
	v_mul_lo_u32 v19, s29, v13
	v_mad_u64_u32 v[3:4], null, s28, v13, 0
	s_add_i32 s3, s4, s3
	v_lshlrev_b32_e32 v9, 3, v6
	v_add3_u32 v2, v2, v12, v14
	v_mul_lo_u32 v14, s28, v18
	v_mov_b32_e32 v18, 0
	v_lshl_or_b32 v5, v5, 6, v15
	s_lshl_b64 s[4:5], s[2:3], 3
	v_lshlrev_b64 v[1:2], 3, v[1:2]
	v_cmp_gt_i32_e64 s2, s12, v13
	v_lshl_add_u32 v10, v7, 6, 0x800
	v_add_nc_u32_e32 v13, 0x800, v5
	v_add3_u32 v4, v4, v14, v19
	v_lshl_or_b32 v12, v11, 8, v17
	v_add_co_u32 v5, s3, v1, s4
	s_delay_alu instid0(VALU_DEP_1)
	v_add_co_ci_u32_e64 v14, s3, s5, v2, s3
	s_mul_i32 s3, s31, s15
	s_mul_hi_u32 s4, s30, s15
	v_lshlrev_b64 v[1:2], 3, v[3:4]
	s_add_i32 s5, s4, s3
	s_mul_i32 s4, s30, s15
	v_lshlrev_b32_e32 v3, 3, v11
	s_lshl_b64 s[4:5], s[4:5], 3
	v_mov_b32_e32 v17, 0
	v_add_co_u32 v1, s3, v1, s4
	s_delay_alu instid0(VALU_DEP_1) | instskip(SKIP_1) | instid1(VALU_DEP_1)
	v_add_co_ci_u32_e64 v2, s3, s5, v2, s3
	v_add_co_u32 v3, s3, v5, v3
	v_add_co_ci_u32_e64 v4, s3, 0, v14, s3
	v_mov_b32_e32 v14, 0
	v_add_co_u32 v1, s3, v1, v15
	s_delay_alu instid0(VALU_DEP_1) | instskip(SKIP_1) | instid1(VALU_DEP_1)
	v_add_co_ci_u32_e64 v5, s3, 0, v2, s3
	v_add_co_u32 v2, s3, s20, v3
	v_add_co_ci_u32_e64 v3, s3, s21, v4, s3
	s_delay_alu instid0(VALU_DEP_4) | instskip(NEXT) | instid1(VALU_DEP_1)
	v_add_co_u32 v4, s3, s26, v1
	v_add_co_ci_u32_e64 v5, s3, s27, v5, s3
	v_mov_b32_e32 v15, 0
	v_mov_b32_e32 v19, 0
	;; [unrolled: 1-line block ×3, first 2 shown]
	s_mov_b64 s[4:5], 0
	s_xor_b32 s3, vcc_lo, -1
	s_xor_b32 s2, s2, -1
	s_branch .LBB1300_3
.LBB1300_2:                             ;   in Loop: Header=BB1300_3 Depth=1
	s_or_b32 exec_lo, exec_lo, s6
	s_waitcnt lgkmcnt(0)
	s_barrier
	buffer_gl0_inv
	ds_load_2addr_b64 v[22:25], v9 offset1:16
	ds_load_b128 v[26:29], v10
	ds_load_b128 v[30:33], v10 offset:1024
	ds_load_b128 v[34:37], v10 offset:16
	;; [unrolled: 1-line block ×4, first 2 shown]
	ds_load_2addr_b64 v[46:49], v9 offset0:32 offset1:48
	ds_load_b128 v[50:53], v10 offset:1040
	s_add_u32 s4, s4, 8
	s_addc_u32 s5, s5, 0
	v_add_co_u32 v2, vcc_lo, v2, 64
	v_cmp_ge_i64_e64 s6, s[4:5], s[16:17]
	v_add_co_ci_u32_e32 v3, vcc_lo, 0, v3, vcc_lo
	v_add_co_u32 v4, vcc_lo, v4, 64
	v_add_co_ci_u32_e32 v5, vcc_lo, 0, v5, vcc_lo
	s_delay_alu instid0(VALU_DEP_4)
	s_and_b32 vcc_lo, exec_lo, s6
	s_waitcnt lgkmcnt(6)
	v_dual_mul_f32 v1, v27, v23 :: v_dual_mul_f32 v56, v26, v25
	v_dual_mul_f32 v54, v26, v23 :: v_dual_mul_f32 v55, v27, v25
	s_waitcnt lgkmcnt(5)
	v_mul_f32_e32 v58, v31, v25
	s_delay_alu instid0(VALU_DEP_3) | instskip(SKIP_3) | instid1(VALU_DEP_4)
	v_fma_f32 v1, v26, v22, -v1
	v_dual_mul_f32 v25, v30, v25 :: v_dual_fmac_f32 v56, v27, v24
	v_fmac_f32_e32 v54, v27, v22
	v_fma_f32 v26, v26, v24, -v55
	v_add_f32_e32 v1, v20, v1
	v_mul_f32_e32 v57, v31, v23
	s_delay_alu instid0(VALU_DEP_4) | instskip(SKIP_2) | instid1(VALU_DEP_4)
	v_dual_mul_f32 v23, v30, v23 :: v_dual_add_f32 v20, v21, v54
	v_fmac_f32_e32 v25, v31, v24
	v_dual_add_f32 v21, v18, v26 :: v_dual_add_f32 v26, v19, v56
	v_fma_f32 v27, v30, v22, -v57
	s_delay_alu instid0(VALU_DEP_4) | instskip(SKIP_3) | instid1(VALU_DEP_2)
	v_fmac_f32_e32 v23, v31, v22
	v_fma_f32 v22, v30, v24, -v58
	s_waitcnt lgkmcnt(1)
	v_mul_f32_e32 v30, v29, v47
	v_dual_add_f32 v27, v16, v27 :: v_dual_add_f32 v14, v14, v22
	v_dual_mul_f32 v22, v28, v47 :: v_dual_add_f32 v15, v15, v25
	v_mul_f32_e32 v25, v28, v49
	s_delay_alu instid0(VALU_DEP_4) | instskip(NEXT) | instid1(VALU_DEP_3)
	v_fma_f32 v24, v28, v46, -v30
	v_fmac_f32_e32 v22, v29, v46
	v_add_f32_e32 v23, v17, v23
	ds_load_2addr_b64 v[16:19], v9 offset0:64 offset1:80
	v_mul_f32_e32 v30, v29, v49
	v_fmac_f32_e32 v25, v29, v48
	v_add_f32_e32 v1, v1, v24
	s_delay_alu instid0(VALU_DEP_2) | instskip(SKIP_1) | instid1(VALU_DEP_1)
	v_add_f32_e32 v25, v26, v25
	v_mul_f32_e32 v26, v32, v49
	v_fmac_f32_e32 v26, v33, v48
	s_waitcnt lgkmcnt(0)
	s_delay_alu instid0(VALU_DEP_1) | instskip(SKIP_1) | instid1(VALU_DEP_2)
	v_dual_add_f32 v26, v15, v26 :: v_dual_mul_f32 v29, v34, v17
	v_mul_f32_e32 v15, v34, v19
	v_fmac_f32_e32 v29, v35, v16
	v_fma_f32 v24, v28, v48, -v30
	v_mul_f32_e32 v28, v33, v47
	v_add_f32_e32 v30, v20, v22
	v_mul_f32_e32 v20, v32, v47
	v_mul_f32_e32 v22, v33, v49
	v_add_f32_e32 v24, v21, v24
	v_fma_f32 v21, v32, v46, -v28
	s_delay_alu instid0(VALU_DEP_4) | instskip(SKIP_1) | instid1(VALU_DEP_3)
	v_dual_add_f32 v29, v30, v29 :: v_dual_fmac_f32 v20, v33, v46
	v_fmac_f32_e32 v15, v35, v18
	v_add_f32_e32 v27, v27, v21
	v_fma_f32 v21, v32, v48, -v22
	v_mul_f32_e32 v22, v35, v17
	v_mul_f32_e32 v32, v35, v19
	v_add_f32_e32 v28, v23, v20
	s_delay_alu instid0(VALU_DEP_4) | instskip(NEXT) | instid1(VALU_DEP_4)
	v_add_f32_e32 v14, v14, v21
	v_fma_f32 v31, v34, v16, -v22
	ds_load_2addr_b64 v[20:23], v9 offset0:96 offset1:112
	v_add_f32_e32 v1, v1, v31
	v_fma_f32 v31, v34, v18, -v32
	s_delay_alu instid0(VALU_DEP_1) | instskip(SKIP_3) | instid1(VALU_DEP_3)
	v_add_f32_e32 v24, v24, v31
	v_mul_f32_e32 v31, v51, v19
	v_mul_f32_e32 v19, v50, v19
	v_add_f32_e32 v32, v25, v15
	v_fma_f32 v15, v50, v18, -v31
	s_delay_alu instid0(VALU_DEP_3)
	v_fmac_f32_e32 v19, v51, v18
	v_mul_f32_e32 v30, v51, v17
	v_mul_f32_e32 v17, v50, v17
	s_waitcnt lgkmcnt(0)
	v_dual_mul_f32 v18, v37, v21 :: v_dual_add_f32 v31, v14, v15
	v_add_f32_e32 v33, v26, v19
	v_fma_f32 v30, v50, v16, -v30
	v_fmac_f32_e32 v17, v51, v16
	s_delay_alu instid0(VALU_DEP_4) | instskip(SKIP_1) | instid1(VALU_DEP_4)
	v_fma_f32 v18, v36, v20, -v18
	v_mul_f32_e32 v25, v36, v21
	v_dual_mul_f32 v19, v36, v23 :: v_dual_add_f32 v30, v27, v30
	s_delay_alu instid0(VALU_DEP_4) | instskip(SKIP_4) | instid1(VALU_DEP_2)
	v_add_f32_e32 v28, v28, v17
	ds_load_2addr_b64 v[14:17], v9 offset0:128 offset1:144
	v_add_f32_e32 v1, v1, v18
	v_mul_f32_e32 v18, v53, v21
	v_fmac_f32_e32 v19, v37, v22
	v_fma_f32 v18, v52, v20, -v18
	v_mul_f32_e32 v27, v37, v23
	s_delay_alu instid0(VALU_DEP_1) | instskip(NEXT) | instid1(VALU_DEP_3)
	v_fma_f32 v26, v36, v22, -v27
	v_add_f32_e32 v36, v30, v18
	s_waitcnt lgkmcnt(0)
	s_delay_alu instid0(VALU_DEP_2) | instskip(SKIP_2) | instid1(VALU_DEP_3)
	v_dual_add_f32 v35, v24, v26 :: v_dual_mul_f32 v46, v38, v15
	v_dual_fmac_f32 v25, v37, v20 :: v_dual_add_f32 v32, v32, v19
	v_mul_f32_e32 v18, v39, v15
	v_fmac_f32_e32 v46, v39, v14
	s_delay_alu instid0(VALU_DEP_3)
	v_add_f32_e32 v34, v29, v25
	v_mul_f32_e32 v29, v53, v23
	v_mul_f32_e32 v23, v52, v23
	ds_load_b128 v[24:27], v10 offset:1056
	v_add_f32_e32 v34, v34, v46
	v_fma_f32 v19, v52, v22, -v29
	v_mul_f32_e32 v21, v52, v21
	v_fmac_f32_e32 v23, v53, v22
	v_mul_f32_e32 v29, v39, v17
	s_delay_alu instid0(VALU_DEP_3) | instskip(NEXT) | instid1(VALU_DEP_3)
	v_dual_add_f32 v22, v31, v19 :: v_dual_fmac_f32 v21, v53, v20
	v_add_f32_e32 v23, v33, v23
	s_delay_alu instid0(VALU_DEP_2) | instskip(SKIP_4) | instid1(VALU_DEP_2)
	v_add_f32_e32 v37, v28, v21
	v_fma_f32 v28, v38, v14, -v18
	ds_load_2addr_b64 v[18:21], v9 offset0:160 offset1:176
	v_mul_f32_e32 v33, v38, v17
	v_fma_f32 v38, v38, v16, -v29
	v_fmac_f32_e32 v33, v39, v16
	s_delay_alu instid0(VALU_DEP_1)
	v_dual_add_f32 v35, v35, v38 :: v_dual_add_f32 v32, v32, v33
	v_add_f32_e32 v1, v1, v28
	ds_load_b128 v[28:31], v10 offset:1072
	s_waitcnt lgkmcnt(2)
	v_mul_f32_e32 v47, v25, v15
	v_mul_f32_e32 v15, v24, v15
	;; [unrolled: 1-line block ×4, first 2 shown]
	s_delay_alu instid0(VALU_DEP_4) | instskip(NEXT) | instid1(VALU_DEP_4)
	v_fma_f32 v38, v24, v14, -v47
	v_fmac_f32_e32 v15, v25, v14
	s_delay_alu instid0(VALU_DEP_4)
	v_fma_f32 v14, v24, v16, -v39
	s_waitcnt lgkmcnt(1)
	v_mul_f32_e32 v17, v41, v19
	v_dual_fmac_f32 v33, v25, v16 :: v_dual_add_f32 v36, v36, v38
	v_add_f32_e32 v24, v37, v15
	v_add_f32_e32 v22, v22, v14
	s_delay_alu instid0(VALU_DEP_4) | instskip(SKIP_2) | instid1(VALU_DEP_1)
	v_fma_f32 v37, v40, v18, -v17
	ds_load_2addr_b64 v[14:17], v9 offset0:192 offset1:208
	v_dual_mul_f32 v25, v40, v19 :: v_dual_mul_f32 v38, v41, v21
	v_fmac_f32_e32 v25, v41, v18
	s_delay_alu instid0(VALU_DEP_1) | instskip(SKIP_4) | instid1(VALU_DEP_3)
	v_add_f32_e32 v34, v34, v25
	v_add_f32_e32 v33, v23, v33
	v_mul_f32_e32 v23, v40, v21
	v_mul_f32_e32 v25, v27, v19
	;; [unrolled: 1-line block ×3, first 2 shown]
	v_fmac_f32_e32 v23, v41, v20
	s_delay_alu instid0(VALU_DEP_3) | instskip(NEXT) | instid1(VALU_DEP_2)
	v_fma_f32 v25, v26, v18, -v25
	v_dual_fmac_f32 v19, v27, v18 :: v_dual_add_f32 v18, v32, v23
	s_waitcnt lgkmcnt(0)
	v_dual_mul_f32 v32, v43, v15 :: v_dual_add_f32 v1, v1, v37
	v_fma_f32 v37, v40, v20, -v38
	s_delay_alu instid0(VALU_DEP_3) | instskip(NEXT) | instid1(VALU_DEP_3)
	v_add_f32_e32 v19, v24, v19
	v_fma_f32 v32, v42, v14, -v32
	s_delay_alu instid0(VALU_DEP_1) | instskip(NEXT) | instid1(VALU_DEP_4)
	v_add_f32_e32 v1, v1, v32
	v_add_f32_e32 v35, v35, v37
	v_mul_f32_e32 v37, v27, v21
	v_dual_mul_f32 v21, v26, v21 :: v_dual_mul_f32 v32, v29, v15
	s_delay_alu instid0(VALU_DEP_2) | instskip(NEXT) | instid1(VALU_DEP_2)
	v_fma_f32 v23, v26, v20, -v37
	v_dual_add_f32 v26, v36, v25 :: v_dual_fmac_f32 v21, v27, v20
	v_mul_f32_e32 v27, v42, v15
	v_mul_f32_e32 v15, v28, v15
	s_delay_alu instid0(VALU_DEP_4)
	v_add_f32_e32 v20, v22, v23
	ds_load_2addr_b64 v[22:25], v9 offset0:224 offset1:240
	v_fma_f32 v32, v28, v14, -v32
	v_dual_fmac_f32 v27, v43, v14 :: v_dual_mul_f32 v36, v42, v17
	v_fmac_f32_e32 v15, v29, v14
	s_waitcnt lgkmcnt(0)
	s_delay_alu instid0(VALU_DEP_3) | instskip(NEXT) | instid1(VALU_DEP_3)
	v_add_f32_e32 v14, v26, v32
	v_dual_add_f32 v27, v34, v27 :: v_dual_fmac_f32 v36, v43, v16
	s_delay_alu instid0(VALU_DEP_3)
	v_dual_mul_f32 v34, v29, v17 :: v_dual_add_f32 v15, v19, v15
	s_barrier
	buffer_gl0_inv
	v_mul_f32_e32 v26, v45, v23
	v_add_f32_e32 v21, v33, v21
	v_mul_f32_e32 v33, v43, v17
	v_mul_f32_e32 v17, v28, v17
	;; [unrolled: 1-line block ×3, first 2 shown]
	s_delay_alu instid0(VALU_DEP_3) | instskip(NEXT) | instid1(VALU_DEP_3)
	v_fma_f32 v33, v42, v16, -v33
	v_fmac_f32_e32 v17, v29, v16
	s_delay_alu instid0(VALU_DEP_3) | instskip(NEXT) | instid1(VALU_DEP_3)
	v_fmac_f32_e32 v19, v45, v24
	v_add_f32_e32 v33, v35, v33
	v_add_f32_e32 v35, v18, v36
	v_fma_f32 v18, v28, v16, -v34
	v_fma_f32 v16, v44, v22, -v26
	v_mul_f32_e32 v28, v44, v23
	v_dual_add_f32 v26, v21, v17 :: v_dual_mul_f32 v17, v30, v23
	s_delay_alu instid0(VALU_DEP_4) | instskip(NEXT) | instid1(VALU_DEP_4)
	v_dual_add_f32 v29, v20, v18 :: v_dual_mul_f32 v18, v45, v25
	v_add_f32_e32 v20, v1, v16
	v_mul_f32_e32 v16, v31, v23
	v_mul_f32_e32 v23, v31, v25
	;; [unrolled: 1-line block ×3, first 2 shown]
	v_fma_f32 v1, v44, v24, -v18
	v_fmac_f32_e32 v28, v45, v22
	v_fmac_f32_e32 v17, v31, v22
	v_add_f32_e32 v19, v35, v19
	s_delay_alu instid0(VALU_DEP_4)
	v_dual_fmac_f32 v25, v31, v24 :: v_dual_add_f32 v18, v33, v1
	v_fma_f32 v1, v30, v22, -v16
	v_fma_f32 v22, v30, v24, -v23
	v_add_f32_e32 v21, v27, v28
	v_add_f32_e32 v17, v15, v17
	;; [unrolled: 1-line block ×5, first 2 shown]
	s_cbranch_vccnz .LBB1300_11
.LBB1300_3:                             ; =>This Inner Loop Header: Depth=1
	v_add_co_u32 v22, s6, v11, s4
	s_delay_alu instid0(VALU_DEP_1) | instskip(NEXT) | instid1(VALU_DEP_1)
	v_add_co_ci_u32_e64 v23, null, 0, s5, s6
	v_cmp_le_i64_e32 vcc_lo, s[16:17], v[22:23]
	s_or_b32 s6, s3, vcc_lo
	s_delay_alu instid0(SALU_CYCLE_1) | instskip(NEXT) | instid1(SALU_CYCLE_1)
	s_and_saveexec_b32 s7, s6
	s_xor_b32 s6, exec_lo, s7
	s_cbranch_execz .LBB1300_5
; %bb.4:                                ;   in Loop: Header=BB1300_3 Depth=1
	v_mov_b32_e32 v1, v0
	ds_store_b64 v12, v[0:1]
.LBB1300_5:                             ;   in Loop: Header=BB1300_3 Depth=1
	s_and_not1_saveexec_b32 s6, s6
	s_cbranch_execz .LBB1300_7
; %bb.6:                                ;   in Loop: Header=BB1300_3 Depth=1
	global_load_b64 v[22:23], v[2:3], off
	s_waitcnt vmcnt(0)
	ds_store_b64 v12, v[22:23]
.LBB1300_7:                             ;   in Loop: Header=BB1300_3 Depth=1
	s_or_b32 exec_lo, exec_lo, s6
	v_add_co_u32 v22, s6, v8, s4
	s_delay_alu instid0(VALU_DEP_1) | instskip(NEXT) | instid1(VALU_DEP_1)
	v_add_co_ci_u32_e64 v23, null, 0, s5, s6
	v_cmp_le_i64_e32 vcc_lo, s[16:17], v[22:23]
	s_or_b32 s6, vcc_lo, s2
	s_delay_alu instid0(SALU_CYCLE_1) | instskip(NEXT) | instid1(SALU_CYCLE_1)
	s_and_saveexec_b32 s7, s6
	s_xor_b32 s6, exec_lo, s7
	s_cbranch_execz .LBB1300_9
; %bb.8:                                ;   in Loop: Header=BB1300_3 Depth=1
	v_mov_b32_e32 v1, v0
	ds_store_b64 v13, v[0:1]
.LBB1300_9:                             ;   in Loop: Header=BB1300_3 Depth=1
	s_and_not1_saveexec_b32 s6, s6
	s_cbranch_execz .LBB1300_2
; %bb.10:                               ;   in Loop: Header=BB1300_3 Depth=1
	global_load_b64 v[22:23], v[4:5], off
	s_waitcnt vmcnt(0)
	ds_store_b64 v13, v[22:23]
	s_branch .LBB1300_2
.LBB1300_11:
	s_load_b256 s[4:11], s[0:1], 0x48
	v_add_nc_u32_e32 v5, s14, v7
	s_delay_alu instid0(VALU_DEP_1) | instskip(SKIP_3) | instid1(VALU_DEP_3)
	v_ashrrev_i32_e32 v0, 31, v5
	s_waitcnt lgkmcnt(0)
	v_mul_lo_u32 v3, v5, s9
	v_mad_u64_u32 v[1:2], null, v5, s8, 0
	v_mul_lo_u32 v0, v0, s8
	s_mul_i32 s1, s15, s11
	s_mul_hi_u32 s2, s15, s10
	s_mul_i32 s0, s15, s10
	s_add_i32 s1, s2, s1
	s_delay_alu instid0(SALU_CYCLE_1) | instskip(NEXT) | instid1(VALU_DEP_1)
	s_lshl_b64 s[2:3], s[0:1], 3
	v_add3_u32 v2, v2, v3, v0
	v_add_nc_u32_e32 v0, s13, v6
	s_add_u32 s2, s6, s2
	s_addc_u32 s3, s7, s3
	s_delay_alu instid0(VALU_DEP_2) | instskip(NEXT) | instid1(VALU_DEP_2)
	v_lshlrev_b64 v[1:2], 3, v[1:2]
	v_cmp_le_i32_e64 s0, v5, v0
	v_cmp_gt_i32_e32 vcc_lo, s12, v0
	s_delay_alu instid0(VALU_DEP_3) | instskip(NEXT) | instid1(VALU_DEP_1)
	v_add_co_u32 v4, s1, s2, v1
	v_add_co_ci_u32_e64 v6, s1, s3, v2, s1
	s_delay_alu instid0(VALU_DEP_4) | instskip(NEXT) | instid1(SALU_CYCLE_1)
	s_and_b32 s0, s0, vcc_lo
	s_and_saveexec_b32 s1, s0
	s_cbranch_execz .LBB1300_14
; %bb.12:
	v_ashrrev_i32_e32 v1, 31, v0
	s_delay_alu instid0(VALU_DEP_1) | instskip(NEXT) | instid1(VALU_DEP_1)
	v_lshlrev_b64 v[1:2], 3, v[0:1]
	v_add_co_u32 v1, s0, v4, v1
	s_delay_alu instid0(VALU_DEP_1)
	v_add_co_ci_u32_e64 v2, s0, v6, v2, s0
	v_cmp_eq_u32_e64 s0, v5, v0
	global_load_b64 v[7:8], v[1:2], off
	v_mul_f32_e32 v3, s19, v21
	s_waitcnt vmcnt(0)
	v_dual_mul_f32 v9, s18, v21 :: v_dual_mul_f32 v10, s5, v8
	v_mul_f32_e32 v8, s4, v8
	s_delay_alu instid0(VALU_DEP_3) | instskip(NEXT) | instid1(VALU_DEP_3)
	v_fma_f32 v3, v20, s18, -v3
	v_fmac_f32_e32 v9, s19, v20
	s_delay_alu instid0(VALU_DEP_4) | instskip(NEXT) | instid1(VALU_DEP_1)
	v_fma_f32 v10, v7, s4, -v10
	v_dual_fmac_f32 v8, s5, v7 :: v_dual_add_f32 v7, v3, v10
	s_delay_alu instid0(VALU_DEP_1)
	v_add_f32_e32 v8, v9, v8
	global_store_b64 v[1:2], v[7:8], off
	s_and_b32 exec_lo, exec_lo, s0
	s_cbranch_execz .LBB1300_14
; %bb.13:
	v_mov_b32_e32 v3, 0
	global_store_b32 v[1:2], v3, off offset:4
.LBB1300_14:
	s_or_b32 exec_lo, exec_lo, s1
	v_add_nc_u32_e32 v2, 16, v0
	s_delay_alu instid0(VALU_DEP_1) | instskip(SKIP_1) | instid1(VALU_DEP_1)
	v_cmp_le_i32_e64 s1, v5, v2
	v_cmp_gt_i32_e64 s0, s12, v2
	s_and_b32 s1, s1, s0
	s_delay_alu instid0(SALU_CYCLE_1)
	s_and_saveexec_b32 s6, s1
	s_cbranch_execz .LBB1300_17
; %bb.15:
	v_ashrrev_i32_e32 v3, 31, v2
	s_delay_alu instid0(VALU_DEP_1) | instskip(NEXT) | instid1(VALU_DEP_1)
	v_lshlrev_b64 v[7:8], 3, v[2:3]
	v_add_co_u32 v3, s1, v4, v7
	s_delay_alu instid0(VALU_DEP_1) | instskip(SKIP_4) | instid1(VALU_DEP_1)
	v_add_co_ci_u32_e64 v4, s1, v6, v8, s1
	v_cmp_eq_u32_e64 s1, v5, v2
	global_load_b64 v[6:7], v[3:4], off
	s_waitcnt vmcnt(0)
	v_mul_f32_e32 v9, s5, v7
	v_fma_f32 v9, v6, s4, -v9
	v_mul_f32_e32 v7, s4, v7
	s_delay_alu instid0(VALU_DEP_1) | instskip(NEXT) | instid1(VALU_DEP_1)
	v_dual_mul_f32 v8, s18, v19 :: v_dual_fmac_f32 v7, s5, v6
	v_dual_mul_f32 v1, s19, v19 :: v_dual_fmac_f32 v8, s19, v18
	s_delay_alu instid0(VALU_DEP_1) | instskip(NEXT) | instid1(VALU_DEP_1)
	v_fma_f32 v1, v18, s18, -v1
	v_dual_add_f32 v7, v8, v7 :: v_dual_add_f32 v6, v1, v9
	global_store_b64 v[3:4], v[6:7], off
	s_and_b32 exec_lo, exec_lo, s1
	s_cbranch_execz .LBB1300_17
; %bb.16:
	v_mov_b32_e32 v1, 0
	global_store_b32 v[3:4], v1, off offset:4
.LBB1300_17:
	s_or_b32 exec_lo, exec_lo, s6
	v_add_nc_u32_e32 v8, 16, v5
	s_delay_alu instid0(VALU_DEP_1) | instskip(SKIP_3) | instid1(VALU_DEP_4)
	v_ashrrev_i32_e32 v1, 31, v8
	v_mul_lo_u32 v6, v8, s9
	v_mad_u64_u32 v[3:4], null, v8, s8, 0
	v_cmp_le_i32_e64 s1, v8, v0
	v_mul_lo_u32 v1, v1, s8
	s_delay_alu instid0(VALU_DEP_1) | instskip(NEXT) | instid1(VALU_DEP_1)
	v_add3_u32 v4, v4, v6, v1
	v_lshlrev_b64 v[3:4], 3, v[3:4]
	s_delay_alu instid0(VALU_DEP_1) | instskip(NEXT) | instid1(VALU_DEP_1)
	v_add_co_u32 v6, s2, s2, v3
	v_add_co_ci_u32_e64 v7, s2, s3, v4, s2
	s_and_b32 s2, s1, vcc_lo
	s_delay_alu instid0(SALU_CYCLE_1)
	s_and_saveexec_b32 s1, s2
	s_cbranch_execz .LBB1300_20
; %bb.18:
	v_ashrrev_i32_e32 v1, 31, v0
	s_delay_alu instid0(VALU_DEP_1) | instskip(NEXT) | instid1(VALU_DEP_1)
	v_lshlrev_b64 v[3:4], 3, v[0:1]
	v_add_co_u32 v3, vcc_lo, v6, v3
	s_delay_alu instid0(VALU_DEP_2)
	v_add_co_ci_u32_e32 v4, vcc_lo, v7, v4, vcc_lo
	v_cmp_eq_u32_e32 vcc_lo, v8, v0
	global_load_b64 v[9:10], v[3:4], off
	v_mul_f32_e32 v1, s19, v17
	s_waitcnt vmcnt(0)
	v_dual_mul_f32 v11, s18, v17 :: v_dual_mul_f32 v12, s5, v10
	v_mul_f32_e32 v10, s4, v10
	s_delay_alu instid0(VALU_DEP_3) | instskip(NEXT) | instid1(VALU_DEP_3)
	v_fma_f32 v1, v16, s18, -v1
	v_fmac_f32_e32 v11, s19, v16
	s_delay_alu instid0(VALU_DEP_4) | instskip(NEXT) | instid1(VALU_DEP_1)
	v_fma_f32 v12, v9, s4, -v12
	v_dual_fmac_f32 v10, s5, v9 :: v_dual_add_f32 v9, v1, v12
	s_delay_alu instid0(VALU_DEP_1)
	v_add_f32_e32 v10, v11, v10
	global_store_b64 v[3:4], v[9:10], off
	s_and_b32 exec_lo, exec_lo, vcc_lo
	s_cbranch_execz .LBB1300_20
; %bb.19:
	v_mov_b32_e32 v1, 0
	global_store_b32 v[3:4], v1, off offset:4
.LBB1300_20:
	s_or_b32 exec_lo, exec_lo, s1
	v_cmp_le_i32_e32 vcc_lo, v8, v2
	s_and_b32 s0, vcc_lo, s0
	s_delay_alu instid0(SALU_CYCLE_1)
	s_and_saveexec_b32 s1, s0
	s_cbranch_execz .LBB1300_23
; %bb.21:
	v_ashrrev_i32_e32 v3, 31, v2
	s_delay_alu instid0(VALU_DEP_1) | instskip(NEXT) | instid1(VALU_DEP_1)
	v_lshlrev_b64 v[1:2], 3, v[2:3]
	v_add_co_u32 v1, vcc_lo, v6, v1
	s_delay_alu instid0(VALU_DEP_2) | instskip(SKIP_4) | instid1(VALU_DEP_1)
	v_add_co_ci_u32_e32 v2, vcc_lo, v7, v2, vcc_lo
	v_cmp_eq_u32_e32 vcc_lo, v5, v0
	global_load_b64 v[3:4], v[1:2], off
	s_waitcnt vmcnt(0)
	v_dual_mul_f32 v7, s18, v15 :: v_dual_mul_f32 v8, s5, v4
	v_dual_mul_f32 v6, s19, v15 :: v_dual_fmac_f32 v7, s19, v14
	v_mul_f32_e32 v4, s4, v4
	s_delay_alu instid0(VALU_DEP_3) | instskip(NEXT) | instid1(VALU_DEP_3)
	v_fma_f32 v8, v3, s4, -v8
	v_fma_f32 v6, v14, s18, -v6
	s_delay_alu instid0(VALU_DEP_1) | instskip(NEXT) | instid1(VALU_DEP_1)
	v_dual_fmac_f32 v4, s5, v3 :: v_dual_add_f32 v3, v6, v8
	v_add_f32_e32 v4, v7, v4
	global_store_b64 v[1:2], v[3:4], off
	s_and_b32 exec_lo, exec_lo, vcc_lo
	s_cbranch_execz .LBB1300_23
; %bb.22:
	v_mov_b32_e32 v0, 0
	global_store_b32 v[1:2], v0, off offset:4
.LBB1300_23:
	s_nop 0
	s_sendmsg sendmsg(MSG_DEALLOC_VGPRS)
	s_endpgm
	.section	.rodata,"a",@progbits
	.p2align	6, 0x0
	.amdhsa_kernel _ZL34rocblas_syrkx_herkx_general_kernelIl19rocblas_complex_numIfELi16ELi32ELi8ELb0ELb1ELc84ELc76EKS1_S1_EviT_T0_PT8_S3_lS6_S3_lS4_PT9_S3_li
		.amdhsa_group_segment_fixed_size 4096
		.amdhsa_private_segment_fixed_size 0
		.amdhsa_kernarg_size 108
		.amdhsa_user_sgpr_count 13
		.amdhsa_user_sgpr_dispatch_ptr 0
		.amdhsa_user_sgpr_queue_ptr 0
		.amdhsa_user_sgpr_kernarg_segment_ptr 1
		.amdhsa_user_sgpr_dispatch_id 0
		.amdhsa_user_sgpr_private_segment_size 0
		.amdhsa_wavefront_size32 1
		.amdhsa_uses_dynamic_stack 0
		.amdhsa_enable_private_segment 0
		.amdhsa_system_sgpr_workgroup_id_x 1
		.amdhsa_system_sgpr_workgroup_id_y 1
		.amdhsa_system_sgpr_workgroup_id_z 1
		.amdhsa_system_sgpr_workgroup_info 0
		.amdhsa_system_vgpr_workitem_id 1
		.amdhsa_next_free_vgpr 59
		.amdhsa_next_free_sgpr 32
		.amdhsa_reserve_vcc 1
		.amdhsa_float_round_mode_32 0
		.amdhsa_float_round_mode_16_64 0
		.amdhsa_float_denorm_mode_32 3
		.amdhsa_float_denorm_mode_16_64 3
		.amdhsa_dx10_clamp 1
		.amdhsa_ieee_mode 1
		.amdhsa_fp16_overflow 0
		.amdhsa_workgroup_processor_mode 1
		.amdhsa_memory_ordered 1
		.amdhsa_forward_progress 0
		.amdhsa_shared_vgpr_count 0
		.amdhsa_exception_fp_ieee_invalid_op 0
		.amdhsa_exception_fp_denorm_src 0
		.amdhsa_exception_fp_ieee_div_zero 0
		.amdhsa_exception_fp_ieee_overflow 0
		.amdhsa_exception_fp_ieee_underflow 0
		.amdhsa_exception_fp_ieee_inexact 0
		.amdhsa_exception_int_div_zero 0
	.end_amdhsa_kernel
	.section	.text._ZL34rocblas_syrkx_herkx_general_kernelIl19rocblas_complex_numIfELi16ELi32ELi8ELb0ELb1ELc84ELc76EKS1_S1_EviT_T0_PT8_S3_lS6_S3_lS4_PT9_S3_li,"axG",@progbits,_ZL34rocblas_syrkx_herkx_general_kernelIl19rocblas_complex_numIfELi16ELi32ELi8ELb0ELb1ELc84ELc76EKS1_S1_EviT_T0_PT8_S3_lS6_S3_lS4_PT9_S3_li,comdat
.Lfunc_end1300:
	.size	_ZL34rocblas_syrkx_herkx_general_kernelIl19rocblas_complex_numIfELi16ELi32ELi8ELb0ELb1ELc84ELc76EKS1_S1_EviT_T0_PT8_S3_lS6_S3_lS4_PT9_S3_li, .Lfunc_end1300-_ZL34rocblas_syrkx_herkx_general_kernelIl19rocblas_complex_numIfELi16ELi32ELi8ELb0ELb1ELc84ELc76EKS1_S1_EviT_T0_PT8_S3_lS6_S3_lS4_PT9_S3_li
                                        ; -- End function
	.section	.AMDGPU.csdata,"",@progbits
; Kernel info:
; codeLenInByte = 2840
; NumSgprs: 34
; NumVgprs: 59
; ScratchSize: 0
; MemoryBound: 1
; FloatMode: 240
; IeeeMode: 1
; LDSByteSize: 4096 bytes/workgroup (compile time only)
; SGPRBlocks: 4
; VGPRBlocks: 7
; NumSGPRsForWavesPerEU: 34
; NumVGPRsForWavesPerEU: 59
; Occupancy: 16
; WaveLimiterHint : 0
; COMPUTE_PGM_RSRC2:SCRATCH_EN: 0
; COMPUTE_PGM_RSRC2:USER_SGPR: 13
; COMPUTE_PGM_RSRC2:TRAP_HANDLER: 0
; COMPUTE_PGM_RSRC2:TGID_X_EN: 1
; COMPUTE_PGM_RSRC2:TGID_Y_EN: 1
; COMPUTE_PGM_RSRC2:TGID_Z_EN: 1
; COMPUTE_PGM_RSRC2:TIDIG_COMP_CNT: 1
	.section	.text._ZL34rocblas_syrkx_herkx_general_kernelIl19rocblas_complex_numIfELi16ELi32ELi8ELb0ELb1ELc67ELc76EKS1_S1_EviT_T0_PT8_S3_lS6_S3_lS4_PT9_S3_li,"axG",@progbits,_ZL34rocblas_syrkx_herkx_general_kernelIl19rocblas_complex_numIfELi16ELi32ELi8ELb0ELb1ELc67ELc76EKS1_S1_EviT_T0_PT8_S3_lS6_S3_lS4_PT9_S3_li,comdat
	.globl	_ZL34rocblas_syrkx_herkx_general_kernelIl19rocblas_complex_numIfELi16ELi32ELi8ELb0ELb1ELc67ELc76EKS1_S1_EviT_T0_PT8_S3_lS6_S3_lS4_PT9_S3_li ; -- Begin function _ZL34rocblas_syrkx_herkx_general_kernelIl19rocblas_complex_numIfELi16ELi32ELi8ELb0ELb1ELc67ELc76EKS1_S1_EviT_T0_PT8_S3_lS6_S3_lS4_PT9_S3_li
	.p2align	8
	.type	_ZL34rocblas_syrkx_herkx_general_kernelIl19rocblas_complex_numIfELi16ELi32ELi8ELb0ELb1ELc67ELc76EKS1_S1_EviT_T0_PT8_S3_lS6_S3_lS4_PT9_S3_li,@function
_ZL34rocblas_syrkx_herkx_general_kernelIl19rocblas_complex_numIfELi16ELi32ELi8ELb0ELb1ELc67ELc76EKS1_S1_EviT_T0_PT8_S3_lS6_S3_lS4_PT9_S3_li: ; @_ZL34rocblas_syrkx_herkx_general_kernelIl19rocblas_complex_numIfELi16ELi32ELi8ELb0ELb1ELc67ELc76EKS1_S1_EviT_T0_PT8_S3_lS6_S3_lS4_PT9_S3_li
; %bb.0:
	s_clause 0x1
	s_load_b512 s[16:31], s[0:1], 0x8
	s_load_b32 s12, s[0:1], 0x0
	v_dual_mov_b32 v20, 0 :: v_dual_mov_b32 v21, 0
	v_dual_mov_b32 v18, 0 :: v_dual_mov_b32 v19, 0
	;; [unrolled: 1-line block ×4, first 2 shown]
	v_and_b32_e32 v6, 0x3ff, v0
	v_bfe_u32 v7, v0, 10, 10
	s_lshl_b32 s13, s13, 5
	s_lshl_b32 s14, s14, 5
	s_waitcnt lgkmcnt(0)
	v_cmp_lt_i64_e64 s2, s[16:17], 1
	s_delay_alu instid0(VALU_DEP_1)
	s_and_b32 vcc_lo, exec_lo, s2
	s_cbranch_vccnz .LBB1301_11
; %bb.1:
	v_lshl_add_u32 v1, v7, 4, v6
	v_mov_b32_e32 v0, 0
	v_and_b32_e32 v8, 7, v6
	s_mul_i32 s3, s25, s15
	s_mul_hi_u32 s4, s24, s15
	v_and_b32_e32 v3, 31, v1
	v_lshrrev_b32_e32 v5, 3, v1
	v_lshrrev_b32_e32 v11, 5, v1
	v_lshlrev_b32_e32 v15, 3, v8
	s_mul_i32 s2, s24, s15
	v_add_nc_u32_e32 v4, s13, v3
	v_add_nc_u32_e32 v13, s14, v5
	v_or_b32_e32 v16, s13, v3
	v_dual_mov_b32 v20, 0 :: v_dual_lshlrev_b32 v17, 3, v3
	s_delay_alu instid0(VALU_DEP_4) | instskip(SKIP_3) | instid1(VALU_DEP_4)
	v_ashrrev_i32_e32 v12, 31, v4
	v_mul_lo_u32 v14, s23, v4
	v_mad_u64_u32 v[1:2], null, s22, v4, 0
	v_ashrrev_i32_e32 v18, 31, v13
	v_mul_lo_u32 v12, s22, v12
	v_mul_lo_u32 v19, s29, v13
	v_mad_u64_u32 v[3:4], null, s28, v13, 0
	s_add_i32 s3, s4, s3
	v_cmp_gt_i32_e32 vcc_lo, s12, v16
	s_lshl_b64 s[4:5], s[2:3], 3
	v_cmp_gt_i32_e64 s2, s12, v13
	v_add3_u32 v2, v2, v12, v14
	v_mul_lo_u32 v14, s28, v18
	v_mov_b32_e32 v18, 0
	v_lshl_or_b32 v5, v5, 6, v15
	v_lshlrev_b32_e32 v16, 3, v11
	v_lshlrev_b64 v[1:2], 3, v[1:2]
	v_lshlrev_b32_e32 v9, 3, v6
	v_lshl_add_u32 v10, v7, 6, 0x800
	v_add_nc_u32_e32 v13, 0x800, v5
	v_add3_u32 v4, v4, v14, v19
	v_mov_b32_e32 v19, 0
	v_add_co_u32 v5, s3, v1, s4
	s_delay_alu instid0(VALU_DEP_1)
	v_add_co_ci_u32_e64 v14, s3, s5, v2, s3
	s_mul_i32 s3, s31, s15
	s_mul_hi_u32 s4, s30, s15
	v_lshlrev_b64 v[1:2], 3, v[3:4]
	s_add_i32 s5, s4, s3
	s_mul_i32 s4, s30, s15
	v_add_co_u32 v3, s3, v5, v16
	s_lshl_b64 s[4:5], s[4:5], 3
	v_add_co_ci_u32_e64 v4, s3, 0, v14, s3
	v_mov_b32_e32 v14, 0
	v_add_co_u32 v1, s3, v1, s4
	s_delay_alu instid0(VALU_DEP_1) | instskip(SKIP_1) | instid1(VALU_DEP_1)
	v_add_co_ci_u32_e64 v2, s3, s5, v2, s3
	v_add_co_u32 v3, s3, v3, s20
	v_add_co_ci_u32_e64 v4, s3, s21, v4, s3
	s_delay_alu instid0(VALU_DEP_4) | instskip(NEXT) | instid1(VALU_DEP_1)
	v_add_co_u32 v1, s3, v1, v15
	v_add_co_ci_u32_e64 v5, s3, 0, v2, s3
	s_delay_alu instid0(VALU_DEP_4) | instskip(NEXT) | instid1(VALU_DEP_1)
	v_add_co_u32 v2, s3, v3, 4
	v_add_co_ci_u32_e64 v3, s3, 0, v4, s3
	s_delay_alu instid0(VALU_DEP_4)
	v_add_co_u32 v4, s3, s26, v1
	v_lshl_or_b32 v12, v11, 8, v17
	v_add_co_ci_u32_e64 v5, s3, s27, v5, s3
	v_mov_b32_e32 v15, 0
	v_dual_mov_b32 v17, 0 :: v_dual_mov_b32 v16, 0
	v_mov_b32_e32 v21, 0
	s_mov_b64 s[4:5], 0
	s_xor_b32 s3, vcc_lo, -1
	s_xor_b32 s2, s2, -1
	s_branch .LBB1301_3
.LBB1301_2:                             ;   in Loop: Header=BB1301_3 Depth=1
	s_or_b32 exec_lo, exec_lo, s6
	s_waitcnt lgkmcnt(0)
	s_barrier
	buffer_gl0_inv
	ds_load_2addr_b64 v[22:25], v9 offset1:16
	ds_load_b128 v[26:29], v10
	ds_load_b128 v[30:33], v10 offset:1024
	ds_load_b128 v[34:37], v10 offset:16
	;; [unrolled: 1-line block ×4, first 2 shown]
	ds_load_2addr_b64 v[46:49], v9 offset0:32 offset1:48
	ds_load_b128 v[50:53], v10 offset:1040
	s_add_u32 s4, s4, 8
	s_addc_u32 s5, s5, 0
	v_add_co_u32 v2, vcc_lo, v2, 64
	v_cmp_ge_i64_e64 s6, s[4:5], s[16:17]
	v_add_co_ci_u32_e32 v3, vcc_lo, 0, v3, vcc_lo
	v_add_co_u32 v4, vcc_lo, v4, 64
	v_add_co_ci_u32_e32 v5, vcc_lo, 0, v5, vcc_lo
	s_delay_alu instid0(VALU_DEP_4)
	s_and_b32 vcc_lo, exec_lo, s6
	s_waitcnt lgkmcnt(6)
	v_dual_mul_f32 v1, v27, v23 :: v_dual_mul_f32 v56, v26, v25
	v_dual_mul_f32 v54, v26, v23 :: v_dual_mul_f32 v55, v27, v25
	s_waitcnt lgkmcnt(5)
	v_mul_f32_e32 v58, v31, v25
	s_delay_alu instid0(VALU_DEP_3) | instskip(SKIP_3) | instid1(VALU_DEP_4)
	v_fma_f32 v1, v26, v22, -v1
	v_dual_mul_f32 v25, v30, v25 :: v_dual_fmac_f32 v56, v27, v24
	v_fmac_f32_e32 v54, v27, v22
	v_fma_f32 v26, v26, v24, -v55
	v_add_f32_e32 v1, v20, v1
	v_mul_f32_e32 v57, v31, v23
	s_delay_alu instid0(VALU_DEP_4) | instskip(SKIP_2) | instid1(VALU_DEP_4)
	v_dual_mul_f32 v23, v30, v23 :: v_dual_add_f32 v20, v21, v54
	v_fmac_f32_e32 v25, v31, v24
	v_dual_add_f32 v21, v18, v26 :: v_dual_add_f32 v26, v19, v56
	v_fma_f32 v27, v30, v22, -v57
	s_delay_alu instid0(VALU_DEP_4) | instskip(SKIP_3) | instid1(VALU_DEP_2)
	v_fmac_f32_e32 v23, v31, v22
	v_fma_f32 v22, v30, v24, -v58
	s_waitcnt lgkmcnt(1)
	v_mul_f32_e32 v30, v29, v47
	v_dual_add_f32 v27, v16, v27 :: v_dual_add_f32 v14, v14, v22
	v_dual_mul_f32 v22, v28, v47 :: v_dual_add_f32 v15, v15, v25
	v_mul_f32_e32 v25, v28, v49
	s_delay_alu instid0(VALU_DEP_4) | instskip(NEXT) | instid1(VALU_DEP_3)
	v_fma_f32 v24, v28, v46, -v30
	v_fmac_f32_e32 v22, v29, v46
	v_add_f32_e32 v23, v17, v23
	ds_load_2addr_b64 v[16:19], v9 offset0:64 offset1:80
	v_mul_f32_e32 v30, v29, v49
	v_fmac_f32_e32 v25, v29, v48
	v_add_f32_e32 v1, v1, v24
	s_delay_alu instid0(VALU_DEP_2) | instskip(SKIP_1) | instid1(VALU_DEP_1)
	v_add_f32_e32 v25, v26, v25
	v_mul_f32_e32 v26, v32, v49
	v_fmac_f32_e32 v26, v33, v48
	s_waitcnt lgkmcnt(0)
	s_delay_alu instid0(VALU_DEP_1) | instskip(SKIP_1) | instid1(VALU_DEP_2)
	v_dual_add_f32 v26, v15, v26 :: v_dual_mul_f32 v29, v34, v17
	v_mul_f32_e32 v15, v34, v19
	v_fmac_f32_e32 v29, v35, v16
	v_fma_f32 v24, v28, v48, -v30
	v_mul_f32_e32 v28, v33, v47
	v_add_f32_e32 v30, v20, v22
	v_mul_f32_e32 v20, v32, v47
	v_mul_f32_e32 v22, v33, v49
	v_add_f32_e32 v24, v21, v24
	v_fma_f32 v21, v32, v46, -v28
	s_delay_alu instid0(VALU_DEP_4) | instskip(SKIP_1) | instid1(VALU_DEP_3)
	v_dual_add_f32 v29, v30, v29 :: v_dual_fmac_f32 v20, v33, v46
	v_fmac_f32_e32 v15, v35, v18
	v_add_f32_e32 v27, v27, v21
	v_fma_f32 v21, v32, v48, -v22
	v_mul_f32_e32 v22, v35, v17
	v_mul_f32_e32 v32, v35, v19
	v_add_f32_e32 v28, v23, v20
	s_delay_alu instid0(VALU_DEP_4) | instskip(NEXT) | instid1(VALU_DEP_4)
	v_add_f32_e32 v14, v14, v21
	v_fma_f32 v31, v34, v16, -v22
	ds_load_2addr_b64 v[20:23], v9 offset0:96 offset1:112
	v_add_f32_e32 v1, v1, v31
	v_fma_f32 v31, v34, v18, -v32
	s_delay_alu instid0(VALU_DEP_1) | instskip(SKIP_3) | instid1(VALU_DEP_3)
	v_add_f32_e32 v24, v24, v31
	v_mul_f32_e32 v31, v51, v19
	v_mul_f32_e32 v19, v50, v19
	v_add_f32_e32 v32, v25, v15
	v_fma_f32 v15, v50, v18, -v31
	s_delay_alu instid0(VALU_DEP_3)
	v_fmac_f32_e32 v19, v51, v18
	v_mul_f32_e32 v30, v51, v17
	v_mul_f32_e32 v17, v50, v17
	s_waitcnt lgkmcnt(0)
	v_dual_mul_f32 v18, v37, v21 :: v_dual_add_f32 v31, v14, v15
	v_add_f32_e32 v33, v26, v19
	v_fma_f32 v30, v50, v16, -v30
	v_fmac_f32_e32 v17, v51, v16
	s_delay_alu instid0(VALU_DEP_4) | instskip(SKIP_1) | instid1(VALU_DEP_4)
	v_fma_f32 v18, v36, v20, -v18
	v_mul_f32_e32 v25, v36, v21
	v_dual_mul_f32 v19, v36, v23 :: v_dual_add_f32 v30, v27, v30
	s_delay_alu instid0(VALU_DEP_4) | instskip(SKIP_4) | instid1(VALU_DEP_2)
	v_add_f32_e32 v28, v28, v17
	ds_load_2addr_b64 v[14:17], v9 offset0:128 offset1:144
	v_add_f32_e32 v1, v1, v18
	v_mul_f32_e32 v18, v53, v21
	v_fmac_f32_e32 v19, v37, v22
	v_fma_f32 v18, v52, v20, -v18
	v_mul_f32_e32 v27, v37, v23
	s_delay_alu instid0(VALU_DEP_1) | instskip(NEXT) | instid1(VALU_DEP_3)
	v_fma_f32 v26, v36, v22, -v27
	v_add_f32_e32 v36, v30, v18
	s_waitcnt lgkmcnt(0)
	s_delay_alu instid0(VALU_DEP_2) | instskip(SKIP_2) | instid1(VALU_DEP_3)
	v_dual_add_f32 v35, v24, v26 :: v_dual_mul_f32 v46, v38, v15
	v_dual_fmac_f32 v25, v37, v20 :: v_dual_add_f32 v32, v32, v19
	v_mul_f32_e32 v18, v39, v15
	v_fmac_f32_e32 v46, v39, v14
	s_delay_alu instid0(VALU_DEP_3)
	v_add_f32_e32 v34, v29, v25
	v_mul_f32_e32 v29, v53, v23
	v_mul_f32_e32 v23, v52, v23
	ds_load_b128 v[24:27], v10 offset:1056
	v_add_f32_e32 v34, v34, v46
	v_fma_f32 v19, v52, v22, -v29
	v_mul_f32_e32 v21, v52, v21
	v_fmac_f32_e32 v23, v53, v22
	v_mul_f32_e32 v29, v39, v17
	s_delay_alu instid0(VALU_DEP_3) | instskip(NEXT) | instid1(VALU_DEP_3)
	v_dual_add_f32 v22, v31, v19 :: v_dual_fmac_f32 v21, v53, v20
	v_add_f32_e32 v23, v33, v23
	s_delay_alu instid0(VALU_DEP_2) | instskip(SKIP_4) | instid1(VALU_DEP_2)
	v_add_f32_e32 v37, v28, v21
	v_fma_f32 v28, v38, v14, -v18
	ds_load_2addr_b64 v[18:21], v9 offset0:160 offset1:176
	v_mul_f32_e32 v33, v38, v17
	v_fma_f32 v38, v38, v16, -v29
	v_fmac_f32_e32 v33, v39, v16
	s_delay_alu instid0(VALU_DEP_1)
	v_dual_add_f32 v35, v35, v38 :: v_dual_add_f32 v32, v32, v33
	v_add_f32_e32 v1, v1, v28
	ds_load_b128 v[28:31], v10 offset:1072
	s_waitcnt lgkmcnt(2)
	v_mul_f32_e32 v47, v25, v15
	v_mul_f32_e32 v15, v24, v15
	;; [unrolled: 1-line block ×4, first 2 shown]
	s_delay_alu instid0(VALU_DEP_4) | instskip(NEXT) | instid1(VALU_DEP_4)
	v_fma_f32 v38, v24, v14, -v47
	v_fmac_f32_e32 v15, v25, v14
	s_delay_alu instid0(VALU_DEP_4)
	v_fma_f32 v14, v24, v16, -v39
	s_waitcnt lgkmcnt(1)
	v_mul_f32_e32 v17, v41, v19
	v_dual_fmac_f32 v33, v25, v16 :: v_dual_add_f32 v36, v36, v38
	v_add_f32_e32 v24, v37, v15
	v_add_f32_e32 v22, v22, v14
	s_delay_alu instid0(VALU_DEP_4) | instskip(SKIP_2) | instid1(VALU_DEP_1)
	v_fma_f32 v37, v40, v18, -v17
	ds_load_2addr_b64 v[14:17], v9 offset0:192 offset1:208
	v_dual_mul_f32 v25, v40, v19 :: v_dual_mul_f32 v38, v41, v21
	v_fmac_f32_e32 v25, v41, v18
	s_delay_alu instid0(VALU_DEP_1) | instskip(SKIP_4) | instid1(VALU_DEP_3)
	v_add_f32_e32 v34, v34, v25
	v_add_f32_e32 v33, v23, v33
	v_mul_f32_e32 v23, v40, v21
	v_mul_f32_e32 v25, v27, v19
	;; [unrolled: 1-line block ×3, first 2 shown]
	v_fmac_f32_e32 v23, v41, v20
	s_delay_alu instid0(VALU_DEP_3) | instskip(NEXT) | instid1(VALU_DEP_2)
	v_fma_f32 v25, v26, v18, -v25
	v_dual_fmac_f32 v19, v27, v18 :: v_dual_add_f32 v18, v32, v23
	s_waitcnt lgkmcnt(0)
	v_dual_mul_f32 v32, v43, v15 :: v_dual_add_f32 v1, v1, v37
	v_fma_f32 v37, v40, v20, -v38
	s_delay_alu instid0(VALU_DEP_3) | instskip(NEXT) | instid1(VALU_DEP_3)
	v_add_f32_e32 v19, v24, v19
	v_fma_f32 v32, v42, v14, -v32
	s_delay_alu instid0(VALU_DEP_1) | instskip(NEXT) | instid1(VALU_DEP_4)
	v_add_f32_e32 v1, v1, v32
	v_add_f32_e32 v35, v35, v37
	v_mul_f32_e32 v37, v27, v21
	v_dual_mul_f32 v21, v26, v21 :: v_dual_mul_f32 v32, v29, v15
	s_delay_alu instid0(VALU_DEP_2) | instskip(NEXT) | instid1(VALU_DEP_2)
	v_fma_f32 v23, v26, v20, -v37
	v_dual_add_f32 v26, v36, v25 :: v_dual_fmac_f32 v21, v27, v20
	v_mul_f32_e32 v27, v42, v15
	v_mul_f32_e32 v15, v28, v15
	s_delay_alu instid0(VALU_DEP_4)
	v_add_f32_e32 v20, v22, v23
	ds_load_2addr_b64 v[22:25], v9 offset0:224 offset1:240
	v_fma_f32 v32, v28, v14, -v32
	v_dual_fmac_f32 v27, v43, v14 :: v_dual_mul_f32 v36, v42, v17
	v_fmac_f32_e32 v15, v29, v14
	s_waitcnt lgkmcnt(0)
	s_delay_alu instid0(VALU_DEP_3) | instskip(NEXT) | instid1(VALU_DEP_3)
	v_add_f32_e32 v14, v26, v32
	v_dual_add_f32 v27, v34, v27 :: v_dual_fmac_f32 v36, v43, v16
	s_delay_alu instid0(VALU_DEP_3)
	v_dual_mul_f32 v34, v29, v17 :: v_dual_add_f32 v15, v19, v15
	s_barrier
	buffer_gl0_inv
	v_mul_f32_e32 v26, v45, v23
	v_add_f32_e32 v21, v33, v21
	v_mul_f32_e32 v33, v43, v17
	v_mul_f32_e32 v17, v28, v17
	v_mul_f32_e32 v19, v44, v25
	s_delay_alu instid0(VALU_DEP_3) | instskip(NEXT) | instid1(VALU_DEP_3)
	v_fma_f32 v33, v42, v16, -v33
	v_fmac_f32_e32 v17, v29, v16
	s_delay_alu instid0(VALU_DEP_3) | instskip(NEXT) | instid1(VALU_DEP_3)
	v_fmac_f32_e32 v19, v45, v24
	v_add_f32_e32 v33, v35, v33
	v_add_f32_e32 v35, v18, v36
	v_fma_f32 v18, v28, v16, -v34
	v_fma_f32 v16, v44, v22, -v26
	v_mul_f32_e32 v28, v44, v23
	v_dual_add_f32 v26, v21, v17 :: v_dual_mul_f32 v17, v30, v23
	s_delay_alu instid0(VALU_DEP_4) | instskip(NEXT) | instid1(VALU_DEP_4)
	v_dual_add_f32 v29, v20, v18 :: v_dual_mul_f32 v18, v45, v25
	v_add_f32_e32 v20, v1, v16
	v_mul_f32_e32 v16, v31, v23
	v_mul_f32_e32 v23, v31, v25
	v_mul_f32_e32 v25, v30, v25
	v_fma_f32 v1, v44, v24, -v18
	v_fmac_f32_e32 v28, v45, v22
	v_fmac_f32_e32 v17, v31, v22
	v_add_f32_e32 v19, v35, v19
	s_delay_alu instid0(VALU_DEP_4)
	v_dual_fmac_f32 v25, v31, v24 :: v_dual_add_f32 v18, v33, v1
	v_fma_f32 v1, v30, v22, -v16
	v_fma_f32 v22, v30, v24, -v23
	v_add_f32_e32 v21, v27, v28
	v_add_f32_e32 v17, v15, v17
	;; [unrolled: 1-line block ×5, first 2 shown]
	s_cbranch_vccnz .LBB1301_11
.LBB1301_3:                             ; =>This Inner Loop Header: Depth=1
	v_add_co_u32 v22, s6, v11, s4
	s_delay_alu instid0(VALU_DEP_1) | instskip(NEXT) | instid1(VALU_DEP_1)
	v_add_co_ci_u32_e64 v23, null, 0, s5, s6
                                        ; implicit-def: $sgpr7
	v_cmp_le_i64_e32 vcc_lo, s[16:17], v[22:23]
	s_or_b32 s6, s3, vcc_lo
	s_delay_alu instid0(SALU_CYCLE_1) | instskip(NEXT) | instid1(SALU_CYCLE_1)
	s_and_saveexec_b32 s8, s6
	s_xor_b32 s6, exec_lo, s8
	s_cbranch_execz .LBB1301_5
; %bb.4:                                ;   in Loop: Header=BB1301_3 Depth=1
	s_mov_b32 s7, 0
	ds_store_b32 v12, v0
.LBB1301_5:                             ;   in Loop: Header=BB1301_3 Depth=1
	s_or_saveexec_b32 s6, s6
	v_mov_b32_e32 v1, s7
	s_xor_b32 exec_lo, exec_lo, s6
	s_cbranch_execz .LBB1301_7
; %bb.6:                                ;   in Loop: Header=BB1301_3 Depth=1
	global_load_b64 v[22:23], v[2:3], off offset:-4
	s_waitcnt vmcnt(0)
	v_xor_b32_e32 v1, 0x80000000, v23
	ds_store_b32 v12, v22
.LBB1301_7:                             ;   in Loop: Header=BB1301_3 Depth=1
	s_or_b32 exec_lo, exec_lo, s6
	v_add_co_u32 v22, s6, v8, s4
	s_delay_alu instid0(VALU_DEP_1) | instskip(SKIP_3) | instid1(SALU_CYCLE_1)
	v_add_co_ci_u32_e64 v23, null, 0, s5, s6
	ds_store_b32 v12, v1 offset:4
	v_cmp_le_i64_e32 vcc_lo, s[16:17], v[22:23]
	s_or_b32 s6, vcc_lo, s2
	s_and_saveexec_b32 s7, s6
	s_delay_alu instid0(SALU_CYCLE_1)
	s_xor_b32 s6, exec_lo, s7
	s_cbranch_execz .LBB1301_9
; %bb.8:                                ;   in Loop: Header=BB1301_3 Depth=1
	v_mov_b32_e32 v1, v0
	ds_store_b64 v13, v[0:1]
.LBB1301_9:                             ;   in Loop: Header=BB1301_3 Depth=1
	s_and_not1_saveexec_b32 s6, s6
	s_cbranch_execz .LBB1301_2
; %bb.10:                               ;   in Loop: Header=BB1301_3 Depth=1
	global_load_b64 v[22:23], v[4:5], off
	s_waitcnt vmcnt(0)
	ds_store_b64 v13, v[22:23]
	s_branch .LBB1301_2
.LBB1301_11:
	s_load_b256 s[4:11], s[0:1], 0x48
	v_add_nc_u32_e32 v5, s14, v7
	s_delay_alu instid0(VALU_DEP_1) | instskip(SKIP_3) | instid1(VALU_DEP_3)
	v_ashrrev_i32_e32 v0, 31, v5
	s_waitcnt lgkmcnt(0)
	v_mul_lo_u32 v3, v5, s9
	v_mad_u64_u32 v[1:2], null, v5, s8, 0
	v_mul_lo_u32 v0, v0, s8
	s_mul_i32 s1, s15, s11
	s_mul_hi_u32 s2, s15, s10
	s_mul_i32 s0, s15, s10
	s_add_i32 s1, s2, s1
	s_delay_alu instid0(SALU_CYCLE_1) | instskip(NEXT) | instid1(VALU_DEP_1)
	s_lshl_b64 s[2:3], s[0:1], 3
	v_add3_u32 v2, v2, v3, v0
	v_add_nc_u32_e32 v0, s13, v6
	s_add_u32 s2, s6, s2
	s_addc_u32 s3, s7, s3
	s_delay_alu instid0(VALU_DEP_2) | instskip(NEXT) | instid1(VALU_DEP_2)
	v_lshlrev_b64 v[1:2], 3, v[1:2]
	v_cmp_le_i32_e64 s0, v5, v0
	v_cmp_gt_i32_e32 vcc_lo, s12, v0
	s_delay_alu instid0(VALU_DEP_3) | instskip(NEXT) | instid1(VALU_DEP_1)
	v_add_co_u32 v4, s1, s2, v1
	v_add_co_ci_u32_e64 v6, s1, s3, v2, s1
	s_delay_alu instid0(VALU_DEP_4) | instskip(NEXT) | instid1(SALU_CYCLE_1)
	s_and_b32 s0, s0, vcc_lo
	s_and_saveexec_b32 s1, s0
	s_cbranch_execz .LBB1301_14
; %bb.12:
	v_ashrrev_i32_e32 v1, 31, v0
	s_delay_alu instid0(VALU_DEP_1) | instskip(NEXT) | instid1(VALU_DEP_1)
	v_lshlrev_b64 v[1:2], 3, v[0:1]
	v_add_co_u32 v1, s0, v4, v1
	s_delay_alu instid0(VALU_DEP_1)
	v_add_co_ci_u32_e64 v2, s0, v6, v2, s0
	v_cmp_eq_u32_e64 s0, v5, v0
	global_load_b64 v[7:8], v[1:2], off
	v_mul_f32_e32 v3, s19, v21
	s_waitcnt vmcnt(0)
	v_dual_mul_f32 v9, s18, v21 :: v_dual_mul_f32 v10, s5, v8
	v_mul_f32_e32 v8, s4, v8
	s_delay_alu instid0(VALU_DEP_3) | instskip(NEXT) | instid1(VALU_DEP_3)
	v_fma_f32 v3, v20, s18, -v3
	v_fmac_f32_e32 v9, s19, v20
	s_delay_alu instid0(VALU_DEP_4) | instskip(NEXT) | instid1(VALU_DEP_1)
	v_fma_f32 v10, v7, s4, -v10
	v_dual_fmac_f32 v8, s5, v7 :: v_dual_add_f32 v7, v3, v10
	s_delay_alu instid0(VALU_DEP_1)
	v_add_f32_e32 v8, v9, v8
	global_store_b64 v[1:2], v[7:8], off
	s_and_b32 exec_lo, exec_lo, s0
	s_cbranch_execz .LBB1301_14
; %bb.13:
	v_mov_b32_e32 v3, 0
	global_store_b32 v[1:2], v3, off offset:4
.LBB1301_14:
	s_or_b32 exec_lo, exec_lo, s1
	v_add_nc_u32_e32 v2, 16, v0
	s_delay_alu instid0(VALU_DEP_1) | instskip(SKIP_1) | instid1(VALU_DEP_1)
	v_cmp_le_i32_e64 s1, v5, v2
	v_cmp_gt_i32_e64 s0, s12, v2
	s_and_b32 s1, s1, s0
	s_delay_alu instid0(SALU_CYCLE_1)
	s_and_saveexec_b32 s6, s1
	s_cbranch_execz .LBB1301_17
; %bb.15:
	v_ashrrev_i32_e32 v3, 31, v2
	s_delay_alu instid0(VALU_DEP_1) | instskip(NEXT) | instid1(VALU_DEP_1)
	v_lshlrev_b64 v[7:8], 3, v[2:3]
	v_add_co_u32 v3, s1, v4, v7
	s_delay_alu instid0(VALU_DEP_1) | instskip(SKIP_4) | instid1(VALU_DEP_1)
	v_add_co_ci_u32_e64 v4, s1, v6, v8, s1
	v_cmp_eq_u32_e64 s1, v5, v2
	global_load_b64 v[6:7], v[3:4], off
	s_waitcnt vmcnt(0)
	v_mul_f32_e32 v9, s5, v7
	v_fma_f32 v9, v6, s4, -v9
	v_mul_f32_e32 v7, s4, v7
	s_delay_alu instid0(VALU_DEP_1) | instskip(NEXT) | instid1(VALU_DEP_1)
	v_dual_mul_f32 v8, s18, v19 :: v_dual_fmac_f32 v7, s5, v6
	v_dual_mul_f32 v1, s19, v19 :: v_dual_fmac_f32 v8, s19, v18
	s_delay_alu instid0(VALU_DEP_1) | instskip(NEXT) | instid1(VALU_DEP_1)
	v_fma_f32 v1, v18, s18, -v1
	v_dual_add_f32 v7, v8, v7 :: v_dual_add_f32 v6, v1, v9
	global_store_b64 v[3:4], v[6:7], off
	s_and_b32 exec_lo, exec_lo, s1
	s_cbranch_execz .LBB1301_17
; %bb.16:
	v_mov_b32_e32 v1, 0
	global_store_b32 v[3:4], v1, off offset:4
.LBB1301_17:
	s_or_b32 exec_lo, exec_lo, s6
	v_add_nc_u32_e32 v8, 16, v5
	s_delay_alu instid0(VALU_DEP_1) | instskip(SKIP_3) | instid1(VALU_DEP_4)
	v_ashrrev_i32_e32 v1, 31, v8
	v_mul_lo_u32 v6, v8, s9
	v_mad_u64_u32 v[3:4], null, v8, s8, 0
	v_cmp_le_i32_e64 s1, v8, v0
	v_mul_lo_u32 v1, v1, s8
	s_delay_alu instid0(VALU_DEP_1) | instskip(NEXT) | instid1(VALU_DEP_1)
	v_add3_u32 v4, v4, v6, v1
	v_lshlrev_b64 v[3:4], 3, v[3:4]
	s_delay_alu instid0(VALU_DEP_1) | instskip(NEXT) | instid1(VALU_DEP_1)
	v_add_co_u32 v6, s2, s2, v3
	v_add_co_ci_u32_e64 v7, s2, s3, v4, s2
	s_and_b32 s2, s1, vcc_lo
	s_delay_alu instid0(SALU_CYCLE_1)
	s_and_saveexec_b32 s1, s2
	s_cbranch_execz .LBB1301_20
; %bb.18:
	v_ashrrev_i32_e32 v1, 31, v0
	s_delay_alu instid0(VALU_DEP_1) | instskip(NEXT) | instid1(VALU_DEP_1)
	v_lshlrev_b64 v[3:4], 3, v[0:1]
	v_add_co_u32 v3, vcc_lo, v6, v3
	s_delay_alu instid0(VALU_DEP_2)
	v_add_co_ci_u32_e32 v4, vcc_lo, v7, v4, vcc_lo
	v_cmp_eq_u32_e32 vcc_lo, v8, v0
	global_load_b64 v[9:10], v[3:4], off
	v_mul_f32_e32 v1, s19, v17
	s_waitcnt vmcnt(0)
	v_dual_mul_f32 v11, s18, v17 :: v_dual_mul_f32 v12, s5, v10
	v_mul_f32_e32 v10, s4, v10
	s_delay_alu instid0(VALU_DEP_3) | instskip(NEXT) | instid1(VALU_DEP_3)
	v_fma_f32 v1, v16, s18, -v1
	v_fmac_f32_e32 v11, s19, v16
	s_delay_alu instid0(VALU_DEP_4) | instskip(NEXT) | instid1(VALU_DEP_1)
	v_fma_f32 v12, v9, s4, -v12
	v_dual_fmac_f32 v10, s5, v9 :: v_dual_add_f32 v9, v1, v12
	s_delay_alu instid0(VALU_DEP_1)
	v_add_f32_e32 v10, v11, v10
	global_store_b64 v[3:4], v[9:10], off
	s_and_b32 exec_lo, exec_lo, vcc_lo
	s_cbranch_execz .LBB1301_20
; %bb.19:
	v_mov_b32_e32 v1, 0
	global_store_b32 v[3:4], v1, off offset:4
.LBB1301_20:
	s_or_b32 exec_lo, exec_lo, s1
	v_cmp_le_i32_e32 vcc_lo, v8, v2
	s_and_b32 s0, vcc_lo, s0
	s_delay_alu instid0(SALU_CYCLE_1)
	s_and_saveexec_b32 s1, s0
	s_cbranch_execz .LBB1301_23
; %bb.21:
	v_ashrrev_i32_e32 v3, 31, v2
	s_delay_alu instid0(VALU_DEP_1) | instskip(NEXT) | instid1(VALU_DEP_1)
	v_lshlrev_b64 v[1:2], 3, v[2:3]
	v_add_co_u32 v1, vcc_lo, v6, v1
	s_delay_alu instid0(VALU_DEP_2) | instskip(SKIP_4) | instid1(VALU_DEP_1)
	v_add_co_ci_u32_e32 v2, vcc_lo, v7, v2, vcc_lo
	v_cmp_eq_u32_e32 vcc_lo, v5, v0
	global_load_b64 v[3:4], v[1:2], off
	s_waitcnt vmcnt(0)
	v_dual_mul_f32 v7, s18, v15 :: v_dual_mul_f32 v8, s5, v4
	v_dual_mul_f32 v6, s19, v15 :: v_dual_fmac_f32 v7, s19, v14
	v_mul_f32_e32 v4, s4, v4
	s_delay_alu instid0(VALU_DEP_3) | instskip(NEXT) | instid1(VALU_DEP_3)
	v_fma_f32 v8, v3, s4, -v8
	v_fma_f32 v6, v14, s18, -v6
	s_delay_alu instid0(VALU_DEP_1) | instskip(NEXT) | instid1(VALU_DEP_1)
	v_dual_fmac_f32 v4, s5, v3 :: v_dual_add_f32 v3, v6, v8
	v_add_f32_e32 v4, v7, v4
	global_store_b64 v[1:2], v[3:4], off
	s_and_b32 exec_lo, exec_lo, vcc_lo
	s_cbranch_execz .LBB1301_23
; %bb.22:
	v_mov_b32_e32 v0, 0
	global_store_b32 v[1:2], v0, off offset:4
.LBB1301_23:
	s_nop 0
	s_sendmsg sendmsg(MSG_DEALLOC_VGPRS)
	s_endpgm
	.section	.rodata,"a",@progbits
	.p2align	6, 0x0
	.amdhsa_kernel _ZL34rocblas_syrkx_herkx_general_kernelIl19rocblas_complex_numIfELi16ELi32ELi8ELb0ELb1ELc67ELc76EKS1_S1_EviT_T0_PT8_S3_lS6_S3_lS4_PT9_S3_li
		.amdhsa_group_segment_fixed_size 4096
		.amdhsa_private_segment_fixed_size 0
		.amdhsa_kernarg_size 108
		.amdhsa_user_sgpr_count 13
		.amdhsa_user_sgpr_dispatch_ptr 0
		.amdhsa_user_sgpr_queue_ptr 0
		.amdhsa_user_sgpr_kernarg_segment_ptr 1
		.amdhsa_user_sgpr_dispatch_id 0
		.amdhsa_user_sgpr_private_segment_size 0
		.amdhsa_wavefront_size32 1
		.amdhsa_uses_dynamic_stack 0
		.amdhsa_enable_private_segment 0
		.amdhsa_system_sgpr_workgroup_id_x 1
		.amdhsa_system_sgpr_workgroup_id_y 1
		.amdhsa_system_sgpr_workgroup_id_z 1
		.amdhsa_system_sgpr_workgroup_info 0
		.amdhsa_system_vgpr_workitem_id 1
		.amdhsa_next_free_vgpr 59
		.amdhsa_next_free_sgpr 32
		.amdhsa_reserve_vcc 1
		.amdhsa_float_round_mode_32 0
		.amdhsa_float_round_mode_16_64 0
		.amdhsa_float_denorm_mode_32 3
		.amdhsa_float_denorm_mode_16_64 3
		.amdhsa_dx10_clamp 1
		.amdhsa_ieee_mode 1
		.amdhsa_fp16_overflow 0
		.amdhsa_workgroup_processor_mode 1
		.amdhsa_memory_ordered 1
		.amdhsa_forward_progress 0
		.amdhsa_shared_vgpr_count 0
		.amdhsa_exception_fp_ieee_invalid_op 0
		.amdhsa_exception_fp_denorm_src 0
		.amdhsa_exception_fp_ieee_div_zero 0
		.amdhsa_exception_fp_ieee_overflow 0
		.amdhsa_exception_fp_ieee_underflow 0
		.amdhsa_exception_fp_ieee_inexact 0
		.amdhsa_exception_int_div_zero 0
	.end_amdhsa_kernel
	.section	.text._ZL34rocblas_syrkx_herkx_general_kernelIl19rocblas_complex_numIfELi16ELi32ELi8ELb0ELb1ELc67ELc76EKS1_S1_EviT_T0_PT8_S3_lS6_S3_lS4_PT9_S3_li,"axG",@progbits,_ZL34rocblas_syrkx_herkx_general_kernelIl19rocblas_complex_numIfELi16ELi32ELi8ELb0ELb1ELc67ELc76EKS1_S1_EviT_T0_PT8_S3_lS6_S3_lS4_PT9_S3_li,comdat
.Lfunc_end1301:
	.size	_ZL34rocblas_syrkx_herkx_general_kernelIl19rocblas_complex_numIfELi16ELi32ELi8ELb0ELb1ELc67ELc76EKS1_S1_EviT_T0_PT8_S3_lS6_S3_lS4_PT9_S3_li, .Lfunc_end1301-_ZL34rocblas_syrkx_herkx_general_kernelIl19rocblas_complex_numIfELi16ELi32ELi8ELb0ELb1ELc67ELc76EKS1_S1_EviT_T0_PT8_S3_lS6_S3_lS4_PT9_S3_li
                                        ; -- End function
	.section	.AMDGPU.csdata,"",@progbits
; Kernel info:
; codeLenInByte = 2884
; NumSgprs: 34
; NumVgprs: 59
; ScratchSize: 0
; MemoryBound: 1
; FloatMode: 240
; IeeeMode: 1
; LDSByteSize: 4096 bytes/workgroup (compile time only)
; SGPRBlocks: 4
; VGPRBlocks: 7
; NumSGPRsForWavesPerEU: 34
; NumVGPRsForWavesPerEU: 59
; Occupancy: 16
; WaveLimiterHint : 0
; COMPUTE_PGM_RSRC2:SCRATCH_EN: 0
; COMPUTE_PGM_RSRC2:USER_SGPR: 13
; COMPUTE_PGM_RSRC2:TRAP_HANDLER: 0
; COMPUTE_PGM_RSRC2:TGID_X_EN: 1
; COMPUTE_PGM_RSRC2:TGID_Y_EN: 1
; COMPUTE_PGM_RSRC2:TGID_Z_EN: 1
; COMPUTE_PGM_RSRC2:TIDIG_COMP_CNT: 1
	.section	.text._ZL34rocblas_syrkx_herkx_general_kernelIl19rocblas_complex_numIfELi16ELi32ELi8ELb0ELb1ELc78ELc76EKS1_S1_EviT_T0_PT8_S3_lS6_S3_lS4_PT9_S3_li,"axG",@progbits,_ZL34rocblas_syrkx_herkx_general_kernelIl19rocblas_complex_numIfELi16ELi32ELi8ELb0ELb1ELc78ELc76EKS1_S1_EviT_T0_PT8_S3_lS6_S3_lS4_PT9_S3_li,comdat
	.globl	_ZL34rocblas_syrkx_herkx_general_kernelIl19rocblas_complex_numIfELi16ELi32ELi8ELb0ELb1ELc78ELc76EKS1_S1_EviT_T0_PT8_S3_lS6_S3_lS4_PT9_S3_li ; -- Begin function _ZL34rocblas_syrkx_herkx_general_kernelIl19rocblas_complex_numIfELi16ELi32ELi8ELb0ELb1ELc78ELc76EKS1_S1_EviT_T0_PT8_S3_lS6_S3_lS4_PT9_S3_li
	.p2align	8
	.type	_ZL34rocblas_syrkx_herkx_general_kernelIl19rocblas_complex_numIfELi16ELi32ELi8ELb0ELb1ELc78ELc76EKS1_S1_EviT_T0_PT8_S3_lS6_S3_lS4_PT9_S3_li,@function
_ZL34rocblas_syrkx_herkx_general_kernelIl19rocblas_complex_numIfELi16ELi32ELi8ELb0ELb1ELc78ELc76EKS1_S1_EviT_T0_PT8_S3_lS6_S3_lS4_PT9_S3_li: ; @_ZL34rocblas_syrkx_herkx_general_kernelIl19rocblas_complex_numIfELi16ELi32ELi8ELb0ELb1ELc78ELc76EKS1_S1_EviT_T0_PT8_S3_lS6_S3_lS4_PT9_S3_li
; %bb.0:
	s_clause 0x1
	s_load_b512 s[16:31], s[0:1], 0x8
	s_load_b32 s12, s[0:1], 0x0
	v_dual_mov_b32 v20, 0 :: v_dual_mov_b32 v21, 0
	v_dual_mov_b32 v18, 0 :: v_dual_mov_b32 v19, 0
	v_dual_mov_b32 v16, 0 :: v_dual_mov_b32 v17, 0
	v_dual_mov_b32 v14, 0 :: v_dual_mov_b32 v15, 0
	v_and_b32_e32 v6, 0x3ff, v0
	v_bfe_u32 v7, v0, 10, 10
	s_lshl_b32 s13, s13, 5
	s_lshl_b32 s14, s14, 5
	s_waitcnt lgkmcnt(0)
	v_cmp_lt_i64_e64 s2, s[16:17], 1
	s_delay_alu instid0(VALU_DEP_1)
	s_and_b32 vcc_lo, exec_lo, s2
	s_cbranch_vccnz .LBB1302_11
; %bb.1:
	v_lshl_add_u32 v5, v7, 4, v6
	v_and_b32_e32 v8, 7, v6
	v_mov_b32_e32 v0, 0
	s_mul_i32 s3, s25, s15
	s_mul_hi_u32 s4, s24, s15
	v_lshrrev_b32_e32 v9, 5, v5
	v_mad_u64_u32 v[3:4], null, s28, v8, 0
	v_lshrrev_b32_e32 v15, 3, v5
	v_and_b32_e32 v5, 31, v5
	s_delay_alu instid0(VALU_DEP_4) | instskip(SKIP_1) | instid1(VALU_DEP_3)
	v_mad_u64_u32 v[1:2], null, s22, v9, 0
	s_mul_i32 s2, s24, s15
	v_dual_mov_b32 v21, 0 :: v_dual_add_nc_u32 v14, s14, v15
	s_delay_alu instid0(VALU_DEP_3) | instskip(SKIP_1) | instid1(VALU_DEP_3)
	v_mad_u64_u32 v[18:19], null, s29, v8, v[4:5]
	s_add_i32 s3, s4, s3
	v_mad_u64_u32 v[12:13], null, s23, v9, v[2:3]
	v_dual_mov_b32 v19, 0 :: v_dual_lshlrev_b32 v2, 3, v8
	v_lshlrev_b32_e32 v17, 3, v5
	v_or_b32_e32 v13, s13, v5
	s_lshl_b64 s[4:5], s[2:3], 3
	s_delay_alu instid0(VALU_DEP_3) | instskip(SKIP_3) | instid1(VALU_DEP_4)
	v_lshl_or_b32 v15, v15, 6, v2
	v_mov_b32_e32 v2, v12
	v_add_nc_u32_e32 v16, s13, v5
	v_cmp_gt_i32_e32 vcc_lo, s12, v13
	v_dual_mov_b32 v4, v18 :: v_dual_add_nc_u32 v13, 0x800, v15
	s_delay_alu instid0(VALU_DEP_4)
	v_lshlrev_b64 v[1:2], 3, v[1:2]
	s_mul_i32 s6, s31, s15
	v_lshl_or_b32 v12, v9, 8, v17
	v_ashrrev_i32_e32 v17, 31, v16
	v_ashrrev_i32_e32 v15, 31, v14
	v_cmp_gt_i32_e64 s2, s12, v14
	v_add_co_u32 v5, s3, v1, s4
	s_delay_alu instid0(VALU_DEP_1)
	v_add_co_ci_u32_e64 v18, s3, s5, v2, s3
	s_mul_hi_u32 s3, s30, s15
	v_lshlrev_b64 v[1:2], 3, v[3:4]
	s_add_i32 s5, s3, s6
	s_mul_i32 s4, s30, s15
	v_lshlrev_b64 v[3:4], 3, v[16:17]
	s_lshl_b64 s[4:5], s[4:5], 3
	v_lshlrev_b32_e32 v10, 3, v6
	v_add_co_u32 v16, s3, s4, v1
	s_delay_alu instid0(VALU_DEP_1) | instskip(SKIP_2) | instid1(VALU_DEP_1)
	v_add_co_ci_u32_e64 v17, s3, s5, v2, s3
	v_lshlrev_b64 v[1:2], 3, v[14:15]
	v_add_co_u32 v3, s3, v5, v3
	v_add_co_ci_u32_e64 v4, s3, v18, v4, s3
	v_lshl_add_u32 v11, v7, 6, 0x800
	s_delay_alu instid0(VALU_DEP_4) | instskip(NEXT) | instid1(VALU_DEP_1)
	v_add_co_u32 v1, s3, v16, v1
	v_add_co_ci_u32_e64 v5, s3, v17, v2, s3
	v_mov_b32_e32 v17, 0
	v_add_co_u32 v2, s3, s20, v3
	s_delay_alu instid0(VALU_DEP_1) | instskip(SKIP_1) | instid1(VALU_DEP_1)
	v_add_co_ci_u32_e64 v3, s3, s21, v4, s3
	v_add_co_u32 v1, s3, v1, s26
	v_add_co_ci_u32_e64 v5, s3, s27, v5, s3
	v_mov_b32_e32 v15, 0
	s_delay_alu instid0(VALU_DEP_3) | instskip(NEXT) | instid1(VALU_DEP_1)
	v_add_co_u32 v4, s3, v1, 4
	v_add_co_ci_u32_e64 v5, s3, 0, v5, s3
	v_mov_b32_e32 v14, 0
	v_mov_b32_e32 v16, 0
	;; [unrolled: 1-line block ×4, first 2 shown]
	s_lshl_b64 s[4:5], s[22:23], 6
	s_lshl_b64 s[6:7], s[28:29], 6
	s_mov_b64 s[8:9], 0
	s_xor_b32 s3, vcc_lo, -1
	s_xor_b32 s2, s2, -1
	s_branch .LBB1302_3
.LBB1302_2:                             ;   in Loop: Header=BB1302_3 Depth=1
	s_or_b32 exec_lo, exec_lo, s10
	ds_store_b32 v13, v1 offset:4
	s_waitcnt lgkmcnt(0)
	s_barrier
	buffer_gl0_inv
	ds_load_2addr_b64 v[22:25], v10 offset1:16
	ds_load_b128 v[26:29], v11
	ds_load_b128 v[30:33], v11 offset:1024
	ds_load_b128 v[34:37], v11 offset:16
	ds_load_b128 v[38:41], v11 offset:32
	ds_load_b128 v[42:45], v11 offset:48
	ds_load_2addr_b64 v[46:49], v10 offset0:32 offset1:48
	ds_load_b128 v[50:53], v11 offset:1040
	s_add_u32 s8, s8, 8
	s_addc_u32 s9, s9, 0
	v_add_co_u32 v2, vcc_lo, v2, s4
	v_cmp_ge_i64_e64 s10, s[8:9], s[16:17]
	v_add_co_ci_u32_e32 v3, vcc_lo, s5, v3, vcc_lo
	v_add_co_u32 v4, vcc_lo, v4, s6
	v_add_co_ci_u32_e32 v5, vcc_lo, s7, v5, vcc_lo
	s_delay_alu instid0(VALU_DEP_4)
	s_and_b32 vcc_lo, exec_lo, s10
	s_waitcnt lgkmcnt(6)
	v_dual_mul_f32 v1, v27, v23 :: v_dual_mul_f32 v56, v26, v25
	v_dual_mul_f32 v54, v26, v23 :: v_dual_mul_f32 v55, v27, v25
	s_waitcnt lgkmcnt(5)
	v_mul_f32_e32 v58, v31, v25
	s_delay_alu instid0(VALU_DEP_3) | instskip(SKIP_3) | instid1(VALU_DEP_4)
	v_fma_f32 v1, v26, v22, -v1
	v_dual_mul_f32 v25, v30, v25 :: v_dual_fmac_f32 v56, v27, v24
	v_fmac_f32_e32 v54, v27, v22
	v_fma_f32 v26, v26, v24, -v55
	v_add_f32_e32 v1, v20, v1
	v_mul_f32_e32 v57, v31, v23
	s_delay_alu instid0(VALU_DEP_4) | instskip(SKIP_2) | instid1(VALU_DEP_4)
	v_dual_mul_f32 v23, v30, v23 :: v_dual_add_f32 v20, v21, v54
	v_fmac_f32_e32 v25, v31, v24
	v_dual_add_f32 v21, v18, v26 :: v_dual_add_f32 v26, v19, v56
	v_fma_f32 v27, v30, v22, -v57
	s_delay_alu instid0(VALU_DEP_4) | instskip(SKIP_3) | instid1(VALU_DEP_2)
	v_fmac_f32_e32 v23, v31, v22
	v_fma_f32 v22, v30, v24, -v58
	s_waitcnt lgkmcnt(1)
	v_mul_f32_e32 v30, v29, v47
	v_dual_add_f32 v27, v16, v27 :: v_dual_add_f32 v14, v14, v22
	v_dual_mul_f32 v22, v28, v47 :: v_dual_add_f32 v15, v15, v25
	v_mul_f32_e32 v25, v28, v49
	s_delay_alu instid0(VALU_DEP_4) | instskip(NEXT) | instid1(VALU_DEP_3)
	v_fma_f32 v24, v28, v46, -v30
	v_fmac_f32_e32 v22, v29, v46
	v_add_f32_e32 v23, v17, v23
	ds_load_2addr_b64 v[16:19], v10 offset0:64 offset1:80
	v_mul_f32_e32 v30, v29, v49
	v_fmac_f32_e32 v25, v29, v48
	v_add_f32_e32 v1, v1, v24
	s_delay_alu instid0(VALU_DEP_2) | instskip(SKIP_1) | instid1(VALU_DEP_1)
	v_add_f32_e32 v25, v26, v25
	v_mul_f32_e32 v26, v32, v49
	v_fmac_f32_e32 v26, v33, v48
	s_waitcnt lgkmcnt(0)
	s_delay_alu instid0(VALU_DEP_1) | instskip(SKIP_1) | instid1(VALU_DEP_2)
	v_dual_add_f32 v26, v15, v26 :: v_dual_mul_f32 v29, v34, v17
	v_mul_f32_e32 v15, v34, v19
	v_fmac_f32_e32 v29, v35, v16
	v_fma_f32 v24, v28, v48, -v30
	v_mul_f32_e32 v28, v33, v47
	v_add_f32_e32 v30, v20, v22
	v_mul_f32_e32 v20, v32, v47
	v_mul_f32_e32 v22, v33, v49
	v_add_f32_e32 v24, v21, v24
	v_fma_f32 v21, v32, v46, -v28
	s_delay_alu instid0(VALU_DEP_4) | instskip(SKIP_1) | instid1(VALU_DEP_3)
	v_dual_add_f32 v29, v30, v29 :: v_dual_fmac_f32 v20, v33, v46
	v_fmac_f32_e32 v15, v35, v18
	v_add_f32_e32 v27, v27, v21
	v_fma_f32 v21, v32, v48, -v22
	v_mul_f32_e32 v22, v35, v17
	v_mul_f32_e32 v32, v35, v19
	v_add_f32_e32 v28, v23, v20
	s_delay_alu instid0(VALU_DEP_4) | instskip(NEXT) | instid1(VALU_DEP_4)
	v_add_f32_e32 v14, v14, v21
	v_fma_f32 v31, v34, v16, -v22
	ds_load_2addr_b64 v[20:23], v10 offset0:96 offset1:112
	v_add_f32_e32 v1, v1, v31
	v_fma_f32 v31, v34, v18, -v32
	s_delay_alu instid0(VALU_DEP_1) | instskip(SKIP_3) | instid1(VALU_DEP_3)
	v_add_f32_e32 v24, v24, v31
	v_mul_f32_e32 v31, v51, v19
	v_mul_f32_e32 v19, v50, v19
	v_add_f32_e32 v32, v25, v15
	v_fma_f32 v15, v50, v18, -v31
	s_delay_alu instid0(VALU_DEP_3)
	v_fmac_f32_e32 v19, v51, v18
	v_mul_f32_e32 v30, v51, v17
	v_mul_f32_e32 v17, v50, v17
	s_waitcnt lgkmcnt(0)
	v_dual_mul_f32 v18, v37, v21 :: v_dual_add_f32 v31, v14, v15
	v_add_f32_e32 v33, v26, v19
	v_fma_f32 v30, v50, v16, -v30
	v_fmac_f32_e32 v17, v51, v16
	s_delay_alu instid0(VALU_DEP_4) | instskip(SKIP_1) | instid1(VALU_DEP_4)
	v_fma_f32 v18, v36, v20, -v18
	v_mul_f32_e32 v25, v36, v21
	v_dual_mul_f32 v19, v36, v23 :: v_dual_add_f32 v30, v27, v30
	s_delay_alu instid0(VALU_DEP_4) | instskip(SKIP_4) | instid1(VALU_DEP_2)
	v_add_f32_e32 v28, v28, v17
	ds_load_2addr_b64 v[14:17], v10 offset0:128 offset1:144
	v_add_f32_e32 v1, v1, v18
	v_mul_f32_e32 v18, v53, v21
	v_fmac_f32_e32 v19, v37, v22
	v_fma_f32 v18, v52, v20, -v18
	v_mul_f32_e32 v27, v37, v23
	s_delay_alu instid0(VALU_DEP_1) | instskip(NEXT) | instid1(VALU_DEP_3)
	v_fma_f32 v26, v36, v22, -v27
	v_add_f32_e32 v36, v30, v18
	s_waitcnt lgkmcnt(0)
	s_delay_alu instid0(VALU_DEP_2) | instskip(SKIP_2) | instid1(VALU_DEP_3)
	v_dual_add_f32 v35, v24, v26 :: v_dual_mul_f32 v46, v38, v15
	v_dual_fmac_f32 v25, v37, v20 :: v_dual_add_f32 v32, v32, v19
	v_mul_f32_e32 v18, v39, v15
	v_fmac_f32_e32 v46, v39, v14
	s_delay_alu instid0(VALU_DEP_3)
	v_add_f32_e32 v34, v29, v25
	v_mul_f32_e32 v29, v53, v23
	v_mul_f32_e32 v23, v52, v23
	ds_load_b128 v[24:27], v11 offset:1056
	v_add_f32_e32 v34, v34, v46
	v_fma_f32 v19, v52, v22, -v29
	v_mul_f32_e32 v21, v52, v21
	v_fmac_f32_e32 v23, v53, v22
	v_mul_f32_e32 v29, v39, v17
	s_delay_alu instid0(VALU_DEP_3) | instskip(NEXT) | instid1(VALU_DEP_3)
	v_dual_add_f32 v22, v31, v19 :: v_dual_fmac_f32 v21, v53, v20
	v_add_f32_e32 v23, v33, v23
	s_delay_alu instid0(VALU_DEP_2) | instskip(SKIP_4) | instid1(VALU_DEP_2)
	v_add_f32_e32 v37, v28, v21
	v_fma_f32 v28, v38, v14, -v18
	ds_load_2addr_b64 v[18:21], v10 offset0:160 offset1:176
	v_mul_f32_e32 v33, v38, v17
	v_fma_f32 v38, v38, v16, -v29
	v_fmac_f32_e32 v33, v39, v16
	s_delay_alu instid0(VALU_DEP_1)
	v_dual_add_f32 v35, v35, v38 :: v_dual_add_f32 v32, v32, v33
	v_add_f32_e32 v1, v1, v28
	ds_load_b128 v[28:31], v11 offset:1072
	s_waitcnt lgkmcnt(2)
	v_mul_f32_e32 v47, v25, v15
	v_mul_f32_e32 v15, v24, v15
	;; [unrolled: 1-line block ×4, first 2 shown]
	s_delay_alu instid0(VALU_DEP_4) | instskip(NEXT) | instid1(VALU_DEP_4)
	v_fma_f32 v38, v24, v14, -v47
	v_fmac_f32_e32 v15, v25, v14
	s_delay_alu instid0(VALU_DEP_4)
	v_fma_f32 v14, v24, v16, -v39
	s_waitcnt lgkmcnt(1)
	v_mul_f32_e32 v17, v41, v19
	v_dual_fmac_f32 v33, v25, v16 :: v_dual_add_f32 v36, v36, v38
	v_add_f32_e32 v24, v37, v15
	v_add_f32_e32 v22, v22, v14
	s_delay_alu instid0(VALU_DEP_4) | instskip(SKIP_2) | instid1(VALU_DEP_1)
	v_fma_f32 v37, v40, v18, -v17
	ds_load_2addr_b64 v[14:17], v10 offset0:192 offset1:208
	v_dual_mul_f32 v25, v40, v19 :: v_dual_mul_f32 v38, v41, v21
	v_fmac_f32_e32 v25, v41, v18
	s_delay_alu instid0(VALU_DEP_1) | instskip(SKIP_4) | instid1(VALU_DEP_3)
	v_add_f32_e32 v34, v34, v25
	v_add_f32_e32 v33, v23, v33
	v_mul_f32_e32 v23, v40, v21
	v_mul_f32_e32 v25, v27, v19
	;; [unrolled: 1-line block ×3, first 2 shown]
	v_fmac_f32_e32 v23, v41, v20
	s_delay_alu instid0(VALU_DEP_3) | instskip(NEXT) | instid1(VALU_DEP_2)
	v_fma_f32 v25, v26, v18, -v25
	v_dual_fmac_f32 v19, v27, v18 :: v_dual_add_f32 v18, v32, v23
	s_waitcnt lgkmcnt(0)
	v_dual_mul_f32 v32, v43, v15 :: v_dual_add_f32 v1, v1, v37
	v_fma_f32 v37, v40, v20, -v38
	s_delay_alu instid0(VALU_DEP_3) | instskip(NEXT) | instid1(VALU_DEP_3)
	v_add_f32_e32 v19, v24, v19
	v_fma_f32 v32, v42, v14, -v32
	s_delay_alu instid0(VALU_DEP_1) | instskip(NEXT) | instid1(VALU_DEP_4)
	v_add_f32_e32 v1, v1, v32
	v_add_f32_e32 v35, v35, v37
	v_mul_f32_e32 v37, v27, v21
	v_dual_mul_f32 v21, v26, v21 :: v_dual_mul_f32 v32, v29, v15
	s_delay_alu instid0(VALU_DEP_2) | instskip(NEXT) | instid1(VALU_DEP_2)
	v_fma_f32 v23, v26, v20, -v37
	v_dual_add_f32 v26, v36, v25 :: v_dual_fmac_f32 v21, v27, v20
	v_mul_f32_e32 v27, v42, v15
	v_mul_f32_e32 v15, v28, v15
	s_delay_alu instid0(VALU_DEP_4)
	v_add_f32_e32 v20, v22, v23
	ds_load_2addr_b64 v[22:25], v10 offset0:224 offset1:240
	v_fma_f32 v32, v28, v14, -v32
	v_dual_fmac_f32 v27, v43, v14 :: v_dual_mul_f32 v36, v42, v17
	v_fmac_f32_e32 v15, v29, v14
	s_waitcnt lgkmcnt(0)
	s_delay_alu instid0(VALU_DEP_3) | instskip(NEXT) | instid1(VALU_DEP_3)
	v_add_f32_e32 v14, v26, v32
	v_dual_add_f32 v27, v34, v27 :: v_dual_fmac_f32 v36, v43, v16
	s_delay_alu instid0(VALU_DEP_3)
	v_dual_mul_f32 v34, v29, v17 :: v_dual_add_f32 v15, v19, v15
	s_barrier
	buffer_gl0_inv
	v_mul_f32_e32 v26, v45, v23
	v_add_f32_e32 v21, v33, v21
	v_mul_f32_e32 v33, v43, v17
	v_mul_f32_e32 v17, v28, v17
	;; [unrolled: 1-line block ×3, first 2 shown]
	s_delay_alu instid0(VALU_DEP_3) | instskip(NEXT) | instid1(VALU_DEP_3)
	v_fma_f32 v33, v42, v16, -v33
	v_fmac_f32_e32 v17, v29, v16
	s_delay_alu instid0(VALU_DEP_3) | instskip(NEXT) | instid1(VALU_DEP_3)
	v_fmac_f32_e32 v19, v45, v24
	v_add_f32_e32 v33, v35, v33
	v_add_f32_e32 v35, v18, v36
	v_fma_f32 v18, v28, v16, -v34
	v_fma_f32 v16, v44, v22, -v26
	v_mul_f32_e32 v28, v44, v23
	v_dual_add_f32 v26, v21, v17 :: v_dual_mul_f32 v17, v30, v23
	s_delay_alu instid0(VALU_DEP_4) | instskip(NEXT) | instid1(VALU_DEP_4)
	v_dual_add_f32 v29, v20, v18 :: v_dual_mul_f32 v18, v45, v25
	v_add_f32_e32 v20, v1, v16
	v_mul_f32_e32 v16, v31, v23
	v_mul_f32_e32 v23, v31, v25
	;; [unrolled: 1-line block ×3, first 2 shown]
	v_fma_f32 v1, v44, v24, -v18
	v_fmac_f32_e32 v28, v45, v22
	v_fmac_f32_e32 v17, v31, v22
	v_add_f32_e32 v19, v35, v19
	s_delay_alu instid0(VALU_DEP_4)
	v_dual_fmac_f32 v25, v31, v24 :: v_dual_add_f32 v18, v33, v1
	v_fma_f32 v1, v30, v22, -v16
	v_fma_f32 v22, v30, v24, -v23
	v_add_f32_e32 v21, v27, v28
	v_add_f32_e32 v17, v15, v17
	;; [unrolled: 1-line block ×5, first 2 shown]
	s_cbranch_vccnz .LBB1302_11
.LBB1302_3:                             ; =>This Inner Loop Header: Depth=1
	v_add_co_u32 v22, s10, v9, s8
	s_delay_alu instid0(VALU_DEP_1) | instskip(NEXT) | instid1(VALU_DEP_1)
	v_add_co_ci_u32_e64 v23, null, 0, s9, s10
	v_cmp_le_i64_e32 vcc_lo, s[16:17], v[22:23]
	s_or_b32 s10, s3, vcc_lo
	s_delay_alu instid0(SALU_CYCLE_1) | instskip(NEXT) | instid1(SALU_CYCLE_1)
	s_and_saveexec_b32 s11, s10
	s_xor_b32 s10, exec_lo, s11
	s_cbranch_execz .LBB1302_5
; %bb.4:                                ;   in Loop: Header=BB1302_3 Depth=1
	v_mov_b32_e32 v1, v0
	ds_store_b64 v12, v[0:1]
.LBB1302_5:                             ;   in Loop: Header=BB1302_3 Depth=1
	s_and_not1_saveexec_b32 s10, s10
	s_cbranch_execz .LBB1302_7
; %bb.6:                                ;   in Loop: Header=BB1302_3 Depth=1
	global_load_b64 v[22:23], v[2:3], off
	s_waitcnt vmcnt(0)
	ds_store_b64 v12, v[22:23]
.LBB1302_7:                             ;   in Loop: Header=BB1302_3 Depth=1
	s_or_b32 exec_lo, exec_lo, s10
	v_add_co_u32 v22, s10, v8, s8
	s_delay_alu instid0(VALU_DEP_1) | instskip(NEXT) | instid1(VALU_DEP_1)
	v_add_co_ci_u32_e64 v23, null, 0, s9, s10
                                        ; implicit-def: $sgpr11
	v_cmp_le_i64_e32 vcc_lo, s[16:17], v[22:23]
	s_or_b32 s10, vcc_lo, s2
	s_delay_alu instid0(SALU_CYCLE_1) | instskip(NEXT) | instid1(SALU_CYCLE_1)
	s_and_saveexec_b32 s20, s10
	s_xor_b32 s10, exec_lo, s20
	s_cbranch_execz .LBB1302_9
; %bb.8:                                ;   in Loop: Header=BB1302_3 Depth=1
	s_mov_b32 s11, 0
	ds_store_b32 v13, v0
.LBB1302_9:                             ;   in Loop: Header=BB1302_3 Depth=1
	s_or_saveexec_b32 s10, s10
	v_mov_b32_e32 v1, s11
	s_xor_b32 exec_lo, exec_lo, s10
	s_cbranch_execz .LBB1302_2
; %bb.10:                               ;   in Loop: Header=BB1302_3 Depth=1
	global_load_b64 v[22:23], v[4:5], off offset:-4
	s_waitcnt vmcnt(0)
	v_xor_b32_e32 v1, 0x80000000, v23
	ds_store_b32 v13, v22
	s_branch .LBB1302_2
.LBB1302_11:
	s_load_b256 s[4:11], s[0:1], 0x48
	v_add_nc_u32_e32 v5, s14, v7
	s_delay_alu instid0(VALU_DEP_1) | instskip(SKIP_3) | instid1(VALU_DEP_3)
	v_ashrrev_i32_e32 v0, 31, v5
	s_waitcnt lgkmcnt(0)
	v_mul_lo_u32 v3, v5, s9
	v_mad_u64_u32 v[1:2], null, v5, s8, 0
	v_mul_lo_u32 v0, v0, s8
	s_mul_i32 s1, s15, s11
	s_mul_hi_u32 s2, s15, s10
	s_mul_i32 s0, s15, s10
	s_add_i32 s1, s2, s1
	s_delay_alu instid0(SALU_CYCLE_1) | instskip(NEXT) | instid1(VALU_DEP_1)
	s_lshl_b64 s[2:3], s[0:1], 3
	v_add3_u32 v2, v2, v3, v0
	v_add_nc_u32_e32 v0, s13, v6
	s_add_u32 s2, s6, s2
	s_addc_u32 s3, s7, s3
	s_delay_alu instid0(VALU_DEP_2) | instskip(NEXT) | instid1(VALU_DEP_2)
	v_lshlrev_b64 v[1:2], 3, v[1:2]
	v_cmp_le_i32_e64 s0, v5, v0
	v_cmp_gt_i32_e32 vcc_lo, s12, v0
	s_delay_alu instid0(VALU_DEP_3) | instskip(NEXT) | instid1(VALU_DEP_1)
	v_add_co_u32 v4, s1, s2, v1
	v_add_co_ci_u32_e64 v6, s1, s3, v2, s1
	s_delay_alu instid0(VALU_DEP_4) | instskip(NEXT) | instid1(SALU_CYCLE_1)
	s_and_b32 s0, s0, vcc_lo
	s_and_saveexec_b32 s1, s0
	s_cbranch_execz .LBB1302_14
; %bb.12:
	v_ashrrev_i32_e32 v1, 31, v0
	s_delay_alu instid0(VALU_DEP_1) | instskip(NEXT) | instid1(VALU_DEP_1)
	v_lshlrev_b64 v[1:2], 3, v[0:1]
	v_add_co_u32 v1, s0, v4, v1
	s_delay_alu instid0(VALU_DEP_1)
	v_add_co_ci_u32_e64 v2, s0, v6, v2, s0
	v_cmp_eq_u32_e64 s0, v5, v0
	global_load_b64 v[7:8], v[1:2], off
	v_mul_f32_e32 v3, s19, v21
	s_waitcnt vmcnt(0)
	v_dual_mul_f32 v9, s18, v21 :: v_dual_mul_f32 v10, s5, v8
	v_mul_f32_e32 v8, s4, v8
	s_delay_alu instid0(VALU_DEP_3) | instskip(NEXT) | instid1(VALU_DEP_3)
	v_fma_f32 v3, v20, s18, -v3
	v_fmac_f32_e32 v9, s19, v20
	s_delay_alu instid0(VALU_DEP_4) | instskip(NEXT) | instid1(VALU_DEP_1)
	v_fma_f32 v10, v7, s4, -v10
	v_dual_fmac_f32 v8, s5, v7 :: v_dual_add_f32 v7, v3, v10
	s_delay_alu instid0(VALU_DEP_1)
	v_add_f32_e32 v8, v9, v8
	global_store_b64 v[1:2], v[7:8], off
	s_and_b32 exec_lo, exec_lo, s0
	s_cbranch_execz .LBB1302_14
; %bb.13:
	v_mov_b32_e32 v3, 0
	global_store_b32 v[1:2], v3, off offset:4
.LBB1302_14:
	s_or_b32 exec_lo, exec_lo, s1
	v_add_nc_u32_e32 v2, 16, v0
	s_delay_alu instid0(VALU_DEP_1) | instskip(SKIP_1) | instid1(VALU_DEP_1)
	v_cmp_le_i32_e64 s1, v5, v2
	v_cmp_gt_i32_e64 s0, s12, v2
	s_and_b32 s1, s1, s0
	s_delay_alu instid0(SALU_CYCLE_1)
	s_and_saveexec_b32 s6, s1
	s_cbranch_execz .LBB1302_17
; %bb.15:
	v_ashrrev_i32_e32 v3, 31, v2
	s_delay_alu instid0(VALU_DEP_1) | instskip(NEXT) | instid1(VALU_DEP_1)
	v_lshlrev_b64 v[7:8], 3, v[2:3]
	v_add_co_u32 v3, s1, v4, v7
	s_delay_alu instid0(VALU_DEP_1) | instskip(SKIP_4) | instid1(VALU_DEP_1)
	v_add_co_ci_u32_e64 v4, s1, v6, v8, s1
	v_cmp_eq_u32_e64 s1, v5, v2
	global_load_b64 v[6:7], v[3:4], off
	s_waitcnt vmcnt(0)
	v_mul_f32_e32 v9, s5, v7
	v_fma_f32 v9, v6, s4, -v9
	v_mul_f32_e32 v7, s4, v7
	s_delay_alu instid0(VALU_DEP_1) | instskip(NEXT) | instid1(VALU_DEP_1)
	v_dual_mul_f32 v8, s18, v19 :: v_dual_fmac_f32 v7, s5, v6
	v_dual_mul_f32 v1, s19, v19 :: v_dual_fmac_f32 v8, s19, v18
	s_delay_alu instid0(VALU_DEP_1) | instskip(NEXT) | instid1(VALU_DEP_1)
	v_fma_f32 v1, v18, s18, -v1
	v_dual_add_f32 v7, v8, v7 :: v_dual_add_f32 v6, v1, v9
	global_store_b64 v[3:4], v[6:7], off
	s_and_b32 exec_lo, exec_lo, s1
	s_cbranch_execz .LBB1302_17
; %bb.16:
	v_mov_b32_e32 v1, 0
	global_store_b32 v[3:4], v1, off offset:4
.LBB1302_17:
	s_or_b32 exec_lo, exec_lo, s6
	v_add_nc_u32_e32 v8, 16, v5
	s_delay_alu instid0(VALU_DEP_1) | instskip(SKIP_3) | instid1(VALU_DEP_4)
	v_ashrrev_i32_e32 v1, 31, v8
	v_mul_lo_u32 v6, v8, s9
	v_mad_u64_u32 v[3:4], null, v8, s8, 0
	v_cmp_le_i32_e64 s1, v8, v0
	v_mul_lo_u32 v1, v1, s8
	s_delay_alu instid0(VALU_DEP_1) | instskip(NEXT) | instid1(VALU_DEP_1)
	v_add3_u32 v4, v4, v6, v1
	v_lshlrev_b64 v[3:4], 3, v[3:4]
	s_delay_alu instid0(VALU_DEP_1) | instskip(NEXT) | instid1(VALU_DEP_1)
	v_add_co_u32 v6, s2, s2, v3
	v_add_co_ci_u32_e64 v7, s2, s3, v4, s2
	s_and_b32 s2, s1, vcc_lo
	s_delay_alu instid0(SALU_CYCLE_1)
	s_and_saveexec_b32 s1, s2
	s_cbranch_execz .LBB1302_20
; %bb.18:
	v_ashrrev_i32_e32 v1, 31, v0
	s_delay_alu instid0(VALU_DEP_1) | instskip(NEXT) | instid1(VALU_DEP_1)
	v_lshlrev_b64 v[3:4], 3, v[0:1]
	v_add_co_u32 v3, vcc_lo, v6, v3
	s_delay_alu instid0(VALU_DEP_2)
	v_add_co_ci_u32_e32 v4, vcc_lo, v7, v4, vcc_lo
	v_cmp_eq_u32_e32 vcc_lo, v8, v0
	global_load_b64 v[9:10], v[3:4], off
	v_mul_f32_e32 v1, s19, v17
	s_waitcnt vmcnt(0)
	v_dual_mul_f32 v11, s18, v17 :: v_dual_mul_f32 v12, s5, v10
	v_mul_f32_e32 v10, s4, v10
	s_delay_alu instid0(VALU_DEP_3) | instskip(NEXT) | instid1(VALU_DEP_3)
	v_fma_f32 v1, v16, s18, -v1
	v_fmac_f32_e32 v11, s19, v16
	s_delay_alu instid0(VALU_DEP_4) | instskip(NEXT) | instid1(VALU_DEP_1)
	v_fma_f32 v12, v9, s4, -v12
	v_dual_fmac_f32 v10, s5, v9 :: v_dual_add_f32 v9, v1, v12
	s_delay_alu instid0(VALU_DEP_1)
	v_add_f32_e32 v10, v11, v10
	global_store_b64 v[3:4], v[9:10], off
	s_and_b32 exec_lo, exec_lo, vcc_lo
	s_cbranch_execz .LBB1302_20
; %bb.19:
	v_mov_b32_e32 v1, 0
	global_store_b32 v[3:4], v1, off offset:4
.LBB1302_20:
	s_or_b32 exec_lo, exec_lo, s1
	v_cmp_le_i32_e32 vcc_lo, v8, v2
	s_and_b32 s0, vcc_lo, s0
	s_delay_alu instid0(SALU_CYCLE_1)
	s_and_saveexec_b32 s1, s0
	s_cbranch_execz .LBB1302_23
; %bb.21:
	v_ashrrev_i32_e32 v3, 31, v2
	s_delay_alu instid0(VALU_DEP_1) | instskip(NEXT) | instid1(VALU_DEP_1)
	v_lshlrev_b64 v[1:2], 3, v[2:3]
	v_add_co_u32 v1, vcc_lo, v6, v1
	s_delay_alu instid0(VALU_DEP_2) | instskip(SKIP_4) | instid1(VALU_DEP_1)
	v_add_co_ci_u32_e32 v2, vcc_lo, v7, v2, vcc_lo
	v_cmp_eq_u32_e32 vcc_lo, v5, v0
	global_load_b64 v[3:4], v[1:2], off
	s_waitcnt vmcnt(0)
	v_dual_mul_f32 v7, s18, v15 :: v_dual_mul_f32 v8, s5, v4
	v_dual_mul_f32 v6, s19, v15 :: v_dual_fmac_f32 v7, s19, v14
	v_mul_f32_e32 v4, s4, v4
	s_delay_alu instid0(VALU_DEP_3) | instskip(NEXT) | instid1(VALU_DEP_3)
	v_fma_f32 v8, v3, s4, -v8
	v_fma_f32 v6, v14, s18, -v6
	s_delay_alu instid0(VALU_DEP_1) | instskip(NEXT) | instid1(VALU_DEP_1)
	v_dual_fmac_f32 v4, s5, v3 :: v_dual_add_f32 v3, v6, v8
	v_add_f32_e32 v4, v7, v4
	global_store_b64 v[1:2], v[3:4], off
	s_and_b32 exec_lo, exec_lo, vcc_lo
	s_cbranch_execz .LBB1302_23
; %bb.22:
	v_mov_b32_e32 v0, 0
	global_store_b32 v[1:2], v0, off offset:4
.LBB1302_23:
	s_nop 0
	s_sendmsg sendmsg(MSG_DEALLOC_VGPRS)
	s_endpgm
	.section	.rodata,"a",@progbits
	.p2align	6, 0x0
	.amdhsa_kernel _ZL34rocblas_syrkx_herkx_general_kernelIl19rocblas_complex_numIfELi16ELi32ELi8ELb0ELb1ELc78ELc76EKS1_S1_EviT_T0_PT8_S3_lS6_S3_lS4_PT9_S3_li
		.amdhsa_group_segment_fixed_size 4096
		.amdhsa_private_segment_fixed_size 0
		.amdhsa_kernarg_size 108
		.amdhsa_user_sgpr_count 13
		.amdhsa_user_sgpr_dispatch_ptr 0
		.amdhsa_user_sgpr_queue_ptr 0
		.amdhsa_user_sgpr_kernarg_segment_ptr 1
		.amdhsa_user_sgpr_dispatch_id 0
		.amdhsa_user_sgpr_private_segment_size 0
		.amdhsa_wavefront_size32 1
		.amdhsa_uses_dynamic_stack 0
		.amdhsa_enable_private_segment 0
		.amdhsa_system_sgpr_workgroup_id_x 1
		.amdhsa_system_sgpr_workgroup_id_y 1
		.amdhsa_system_sgpr_workgroup_id_z 1
		.amdhsa_system_sgpr_workgroup_info 0
		.amdhsa_system_vgpr_workitem_id 1
		.amdhsa_next_free_vgpr 59
		.amdhsa_next_free_sgpr 32
		.amdhsa_reserve_vcc 1
		.amdhsa_float_round_mode_32 0
		.amdhsa_float_round_mode_16_64 0
		.amdhsa_float_denorm_mode_32 3
		.amdhsa_float_denorm_mode_16_64 3
		.amdhsa_dx10_clamp 1
		.amdhsa_ieee_mode 1
		.amdhsa_fp16_overflow 0
		.amdhsa_workgroup_processor_mode 1
		.amdhsa_memory_ordered 1
		.amdhsa_forward_progress 0
		.amdhsa_shared_vgpr_count 0
		.amdhsa_exception_fp_ieee_invalid_op 0
		.amdhsa_exception_fp_denorm_src 0
		.amdhsa_exception_fp_ieee_div_zero 0
		.amdhsa_exception_fp_ieee_overflow 0
		.amdhsa_exception_fp_ieee_underflow 0
		.amdhsa_exception_fp_ieee_inexact 0
		.amdhsa_exception_int_div_zero 0
	.end_amdhsa_kernel
	.section	.text._ZL34rocblas_syrkx_herkx_general_kernelIl19rocblas_complex_numIfELi16ELi32ELi8ELb0ELb1ELc78ELc76EKS1_S1_EviT_T0_PT8_S3_lS6_S3_lS4_PT9_S3_li,"axG",@progbits,_ZL34rocblas_syrkx_herkx_general_kernelIl19rocblas_complex_numIfELi16ELi32ELi8ELb0ELb1ELc78ELc76EKS1_S1_EviT_T0_PT8_S3_lS6_S3_lS4_PT9_S3_li,comdat
.Lfunc_end1302:
	.size	_ZL34rocblas_syrkx_herkx_general_kernelIl19rocblas_complex_numIfELi16ELi32ELi8ELb0ELb1ELc78ELc76EKS1_S1_EviT_T0_PT8_S3_lS6_S3_lS4_PT9_S3_li, .Lfunc_end1302-_ZL34rocblas_syrkx_herkx_general_kernelIl19rocblas_complex_numIfELi16ELi32ELi8ELb0ELb1ELc78ELc76EKS1_S1_EviT_T0_PT8_S3_lS6_S3_lS4_PT9_S3_li
                                        ; -- End function
	.section	.AMDGPU.csdata,"",@progbits
; Kernel info:
; codeLenInByte = 2892
; NumSgprs: 34
; NumVgprs: 59
; ScratchSize: 0
; MemoryBound: 1
; FloatMode: 240
; IeeeMode: 1
; LDSByteSize: 4096 bytes/workgroup (compile time only)
; SGPRBlocks: 4
; VGPRBlocks: 7
; NumSGPRsForWavesPerEU: 34
; NumVGPRsForWavesPerEU: 59
; Occupancy: 16
; WaveLimiterHint : 0
; COMPUTE_PGM_RSRC2:SCRATCH_EN: 0
; COMPUTE_PGM_RSRC2:USER_SGPR: 13
; COMPUTE_PGM_RSRC2:TRAP_HANDLER: 0
; COMPUTE_PGM_RSRC2:TGID_X_EN: 1
; COMPUTE_PGM_RSRC2:TGID_Y_EN: 1
; COMPUTE_PGM_RSRC2:TGID_Z_EN: 1
; COMPUTE_PGM_RSRC2:TIDIG_COMP_CNT: 1
	.section	.text._ZL34rocblas_syrkx_herkx_general_kernelIl19rocblas_complex_numIfELi16ELi32ELi8ELb0ELb1ELc84ELc85EKS1_S1_EviT_T0_PT8_S3_lS6_S3_lS4_PT9_S3_li,"axG",@progbits,_ZL34rocblas_syrkx_herkx_general_kernelIl19rocblas_complex_numIfELi16ELi32ELi8ELb0ELb1ELc84ELc85EKS1_S1_EviT_T0_PT8_S3_lS6_S3_lS4_PT9_S3_li,comdat
	.globl	_ZL34rocblas_syrkx_herkx_general_kernelIl19rocblas_complex_numIfELi16ELi32ELi8ELb0ELb1ELc84ELc85EKS1_S1_EviT_T0_PT8_S3_lS6_S3_lS4_PT9_S3_li ; -- Begin function _ZL34rocblas_syrkx_herkx_general_kernelIl19rocblas_complex_numIfELi16ELi32ELi8ELb0ELb1ELc84ELc85EKS1_S1_EviT_T0_PT8_S3_lS6_S3_lS4_PT9_S3_li
	.p2align	8
	.type	_ZL34rocblas_syrkx_herkx_general_kernelIl19rocblas_complex_numIfELi16ELi32ELi8ELb0ELb1ELc84ELc85EKS1_S1_EviT_T0_PT8_S3_lS6_S3_lS4_PT9_S3_li,@function
_ZL34rocblas_syrkx_herkx_general_kernelIl19rocblas_complex_numIfELi16ELi32ELi8ELb0ELb1ELc84ELc85EKS1_S1_EviT_T0_PT8_S3_lS6_S3_lS4_PT9_S3_li: ; @_ZL34rocblas_syrkx_herkx_general_kernelIl19rocblas_complex_numIfELi16ELi32ELi8ELb0ELb1ELc84ELc85EKS1_S1_EviT_T0_PT8_S3_lS6_S3_lS4_PT9_S3_li
; %bb.0:
	s_clause 0x1
	s_load_b512 s[16:31], s[0:1], 0x8
	s_load_b32 s12, s[0:1], 0x0
	v_dual_mov_b32 v20, 0 :: v_dual_mov_b32 v21, 0
	v_dual_mov_b32 v18, 0 :: v_dual_mov_b32 v19, 0
	;; [unrolled: 1-line block ×4, first 2 shown]
	v_and_b32_e32 v6, 0x3ff, v0
	v_bfe_u32 v7, v0, 10, 10
	s_lshl_b32 s13, s13, 5
	s_lshl_b32 s14, s14, 5
	s_waitcnt lgkmcnt(0)
	v_cmp_lt_i64_e64 s2, s[16:17], 1
	s_delay_alu instid0(VALU_DEP_1)
	s_and_b32 vcc_lo, exec_lo, s2
	s_cbranch_vccnz .LBB1303_11
; %bb.1:
	v_lshl_add_u32 v1, v7, 4, v6
	v_mov_b32_e32 v0, 0
	v_and_b32_e32 v8, 7, v6
	s_mul_i32 s3, s25, s15
	s_mul_hi_u32 s4, s24, s15
	v_and_b32_e32 v3, 31, v1
	v_lshrrev_b32_e32 v5, 3, v1
	v_lshrrev_b32_e32 v11, 5, v1
	v_lshlrev_b32_e32 v15, 3, v8
	s_mul_i32 s2, s24, s15
	v_add_nc_u32_e32 v4, s13, v3
	v_add_nc_u32_e32 v13, s14, v5
	v_or_b32_e32 v16, s13, v3
	v_dual_mov_b32 v20, 0 :: v_dual_lshlrev_b32 v17, 3, v3
	s_delay_alu instid0(VALU_DEP_4) | instskip(SKIP_3) | instid1(VALU_DEP_4)
	v_ashrrev_i32_e32 v12, 31, v4
	v_mul_lo_u32 v14, s23, v4
	v_mad_u64_u32 v[1:2], null, s22, v4, 0
	v_cmp_gt_i32_e32 vcc_lo, s12, v16
	v_mul_lo_u32 v12, s22, v12
	v_mov_b32_e32 v16, 0
	v_ashrrev_i32_e32 v18, 31, v13
	v_mul_lo_u32 v19, s29, v13
	v_mad_u64_u32 v[3:4], null, s28, v13, 0
	s_add_i32 s3, s4, s3
	v_lshlrev_b32_e32 v9, 3, v6
	v_add3_u32 v2, v2, v12, v14
	v_mul_lo_u32 v14, s28, v18
	v_mov_b32_e32 v18, 0
	v_lshl_or_b32 v5, v5, 6, v15
	s_lshl_b64 s[4:5], s[2:3], 3
	v_lshlrev_b64 v[1:2], 3, v[1:2]
	v_cmp_gt_i32_e64 s2, s12, v13
	v_lshl_add_u32 v10, v7, 6, 0x800
	v_add_nc_u32_e32 v13, 0x800, v5
	v_add3_u32 v4, v4, v14, v19
	v_lshl_or_b32 v12, v11, 8, v17
	v_add_co_u32 v5, s3, v1, s4
	s_delay_alu instid0(VALU_DEP_1)
	v_add_co_ci_u32_e64 v14, s3, s5, v2, s3
	s_mul_i32 s3, s31, s15
	s_mul_hi_u32 s4, s30, s15
	v_lshlrev_b64 v[1:2], 3, v[3:4]
	s_add_i32 s5, s4, s3
	s_mul_i32 s4, s30, s15
	v_lshlrev_b32_e32 v3, 3, v11
	s_lshl_b64 s[4:5], s[4:5], 3
	v_mov_b32_e32 v17, 0
	v_add_co_u32 v1, s3, v1, s4
	s_delay_alu instid0(VALU_DEP_1) | instskip(SKIP_1) | instid1(VALU_DEP_1)
	v_add_co_ci_u32_e64 v2, s3, s5, v2, s3
	v_add_co_u32 v3, s3, v5, v3
	v_add_co_ci_u32_e64 v4, s3, 0, v14, s3
	v_mov_b32_e32 v14, 0
	v_add_co_u32 v1, s3, v1, v15
	s_delay_alu instid0(VALU_DEP_1) | instskip(SKIP_1) | instid1(VALU_DEP_1)
	v_add_co_ci_u32_e64 v5, s3, 0, v2, s3
	v_add_co_u32 v2, s3, s20, v3
	v_add_co_ci_u32_e64 v3, s3, s21, v4, s3
	s_delay_alu instid0(VALU_DEP_4) | instskip(NEXT) | instid1(VALU_DEP_1)
	v_add_co_u32 v4, s3, s26, v1
	v_add_co_ci_u32_e64 v5, s3, s27, v5, s3
	v_mov_b32_e32 v15, 0
	v_mov_b32_e32 v19, 0
	;; [unrolled: 1-line block ×3, first 2 shown]
	s_mov_b64 s[4:5], 0
	s_xor_b32 s3, vcc_lo, -1
	s_xor_b32 s2, s2, -1
	s_branch .LBB1303_3
.LBB1303_2:                             ;   in Loop: Header=BB1303_3 Depth=1
	s_or_b32 exec_lo, exec_lo, s6
	s_waitcnt lgkmcnt(0)
	s_barrier
	buffer_gl0_inv
	ds_load_2addr_b64 v[22:25], v9 offset1:16
	ds_load_b128 v[26:29], v10
	ds_load_b128 v[30:33], v10 offset:1024
	ds_load_b128 v[34:37], v10 offset:16
	;; [unrolled: 1-line block ×4, first 2 shown]
	ds_load_2addr_b64 v[46:49], v9 offset0:32 offset1:48
	ds_load_b128 v[50:53], v10 offset:1040
	s_add_u32 s4, s4, 8
	s_addc_u32 s5, s5, 0
	v_add_co_u32 v2, vcc_lo, v2, 64
	v_cmp_ge_i64_e64 s6, s[4:5], s[16:17]
	v_add_co_ci_u32_e32 v3, vcc_lo, 0, v3, vcc_lo
	v_add_co_u32 v4, vcc_lo, v4, 64
	v_add_co_ci_u32_e32 v5, vcc_lo, 0, v5, vcc_lo
	s_delay_alu instid0(VALU_DEP_4)
	s_and_b32 vcc_lo, exec_lo, s6
	s_waitcnt lgkmcnt(6)
	v_dual_mul_f32 v1, v27, v23 :: v_dual_mul_f32 v56, v26, v25
	v_dual_mul_f32 v54, v26, v23 :: v_dual_mul_f32 v55, v27, v25
	s_waitcnt lgkmcnt(5)
	v_mul_f32_e32 v58, v31, v25
	s_delay_alu instid0(VALU_DEP_3) | instskip(SKIP_3) | instid1(VALU_DEP_4)
	v_fma_f32 v1, v26, v22, -v1
	v_dual_mul_f32 v25, v30, v25 :: v_dual_fmac_f32 v56, v27, v24
	v_fmac_f32_e32 v54, v27, v22
	v_fma_f32 v26, v26, v24, -v55
	v_add_f32_e32 v1, v20, v1
	v_mul_f32_e32 v57, v31, v23
	s_delay_alu instid0(VALU_DEP_4) | instskip(SKIP_2) | instid1(VALU_DEP_4)
	v_dual_mul_f32 v23, v30, v23 :: v_dual_add_f32 v20, v21, v54
	v_fmac_f32_e32 v25, v31, v24
	v_dual_add_f32 v21, v18, v26 :: v_dual_add_f32 v26, v19, v56
	v_fma_f32 v27, v30, v22, -v57
	s_delay_alu instid0(VALU_DEP_4) | instskip(SKIP_3) | instid1(VALU_DEP_2)
	v_fmac_f32_e32 v23, v31, v22
	v_fma_f32 v22, v30, v24, -v58
	s_waitcnt lgkmcnt(1)
	v_mul_f32_e32 v30, v29, v47
	v_dual_add_f32 v27, v16, v27 :: v_dual_add_f32 v14, v14, v22
	v_dual_mul_f32 v22, v28, v47 :: v_dual_add_f32 v15, v15, v25
	v_mul_f32_e32 v25, v28, v49
	s_delay_alu instid0(VALU_DEP_4) | instskip(NEXT) | instid1(VALU_DEP_3)
	v_fma_f32 v24, v28, v46, -v30
	v_fmac_f32_e32 v22, v29, v46
	v_add_f32_e32 v23, v17, v23
	ds_load_2addr_b64 v[16:19], v9 offset0:64 offset1:80
	v_mul_f32_e32 v30, v29, v49
	v_fmac_f32_e32 v25, v29, v48
	v_add_f32_e32 v1, v1, v24
	s_delay_alu instid0(VALU_DEP_2) | instskip(SKIP_1) | instid1(VALU_DEP_1)
	v_add_f32_e32 v25, v26, v25
	v_mul_f32_e32 v26, v32, v49
	v_fmac_f32_e32 v26, v33, v48
	s_waitcnt lgkmcnt(0)
	s_delay_alu instid0(VALU_DEP_1) | instskip(SKIP_1) | instid1(VALU_DEP_2)
	v_dual_add_f32 v26, v15, v26 :: v_dual_mul_f32 v29, v34, v17
	v_mul_f32_e32 v15, v34, v19
	v_fmac_f32_e32 v29, v35, v16
	v_fma_f32 v24, v28, v48, -v30
	v_mul_f32_e32 v28, v33, v47
	v_add_f32_e32 v30, v20, v22
	v_mul_f32_e32 v20, v32, v47
	v_mul_f32_e32 v22, v33, v49
	v_add_f32_e32 v24, v21, v24
	v_fma_f32 v21, v32, v46, -v28
	s_delay_alu instid0(VALU_DEP_4) | instskip(SKIP_1) | instid1(VALU_DEP_3)
	v_dual_add_f32 v29, v30, v29 :: v_dual_fmac_f32 v20, v33, v46
	v_fmac_f32_e32 v15, v35, v18
	v_add_f32_e32 v27, v27, v21
	v_fma_f32 v21, v32, v48, -v22
	v_mul_f32_e32 v22, v35, v17
	v_mul_f32_e32 v32, v35, v19
	v_add_f32_e32 v28, v23, v20
	s_delay_alu instid0(VALU_DEP_4) | instskip(NEXT) | instid1(VALU_DEP_4)
	v_add_f32_e32 v14, v14, v21
	v_fma_f32 v31, v34, v16, -v22
	ds_load_2addr_b64 v[20:23], v9 offset0:96 offset1:112
	v_add_f32_e32 v1, v1, v31
	v_fma_f32 v31, v34, v18, -v32
	s_delay_alu instid0(VALU_DEP_1) | instskip(SKIP_3) | instid1(VALU_DEP_3)
	v_add_f32_e32 v24, v24, v31
	v_mul_f32_e32 v31, v51, v19
	v_mul_f32_e32 v19, v50, v19
	v_add_f32_e32 v32, v25, v15
	v_fma_f32 v15, v50, v18, -v31
	s_delay_alu instid0(VALU_DEP_3)
	v_fmac_f32_e32 v19, v51, v18
	v_mul_f32_e32 v30, v51, v17
	v_mul_f32_e32 v17, v50, v17
	s_waitcnt lgkmcnt(0)
	v_dual_mul_f32 v18, v37, v21 :: v_dual_add_f32 v31, v14, v15
	v_add_f32_e32 v33, v26, v19
	v_fma_f32 v30, v50, v16, -v30
	v_fmac_f32_e32 v17, v51, v16
	s_delay_alu instid0(VALU_DEP_4) | instskip(SKIP_1) | instid1(VALU_DEP_4)
	v_fma_f32 v18, v36, v20, -v18
	v_mul_f32_e32 v25, v36, v21
	v_dual_mul_f32 v19, v36, v23 :: v_dual_add_f32 v30, v27, v30
	s_delay_alu instid0(VALU_DEP_4) | instskip(SKIP_4) | instid1(VALU_DEP_2)
	v_add_f32_e32 v28, v28, v17
	ds_load_2addr_b64 v[14:17], v9 offset0:128 offset1:144
	v_add_f32_e32 v1, v1, v18
	v_mul_f32_e32 v18, v53, v21
	v_fmac_f32_e32 v19, v37, v22
	v_fma_f32 v18, v52, v20, -v18
	v_mul_f32_e32 v27, v37, v23
	s_delay_alu instid0(VALU_DEP_1) | instskip(NEXT) | instid1(VALU_DEP_3)
	v_fma_f32 v26, v36, v22, -v27
	v_add_f32_e32 v36, v30, v18
	s_waitcnt lgkmcnt(0)
	s_delay_alu instid0(VALU_DEP_2) | instskip(SKIP_2) | instid1(VALU_DEP_3)
	v_dual_add_f32 v35, v24, v26 :: v_dual_mul_f32 v46, v38, v15
	v_dual_fmac_f32 v25, v37, v20 :: v_dual_add_f32 v32, v32, v19
	v_mul_f32_e32 v18, v39, v15
	v_fmac_f32_e32 v46, v39, v14
	s_delay_alu instid0(VALU_DEP_3)
	v_add_f32_e32 v34, v29, v25
	v_mul_f32_e32 v29, v53, v23
	v_mul_f32_e32 v23, v52, v23
	ds_load_b128 v[24:27], v10 offset:1056
	v_add_f32_e32 v34, v34, v46
	v_fma_f32 v19, v52, v22, -v29
	v_mul_f32_e32 v21, v52, v21
	v_fmac_f32_e32 v23, v53, v22
	v_mul_f32_e32 v29, v39, v17
	s_delay_alu instid0(VALU_DEP_3) | instskip(NEXT) | instid1(VALU_DEP_3)
	v_dual_add_f32 v22, v31, v19 :: v_dual_fmac_f32 v21, v53, v20
	v_add_f32_e32 v23, v33, v23
	s_delay_alu instid0(VALU_DEP_2) | instskip(SKIP_4) | instid1(VALU_DEP_2)
	v_add_f32_e32 v37, v28, v21
	v_fma_f32 v28, v38, v14, -v18
	ds_load_2addr_b64 v[18:21], v9 offset0:160 offset1:176
	v_mul_f32_e32 v33, v38, v17
	v_fma_f32 v38, v38, v16, -v29
	v_fmac_f32_e32 v33, v39, v16
	s_delay_alu instid0(VALU_DEP_1)
	v_dual_add_f32 v35, v35, v38 :: v_dual_add_f32 v32, v32, v33
	v_add_f32_e32 v1, v1, v28
	ds_load_b128 v[28:31], v10 offset:1072
	s_waitcnt lgkmcnt(2)
	v_mul_f32_e32 v47, v25, v15
	v_mul_f32_e32 v15, v24, v15
	;; [unrolled: 1-line block ×4, first 2 shown]
	s_delay_alu instid0(VALU_DEP_4) | instskip(NEXT) | instid1(VALU_DEP_4)
	v_fma_f32 v38, v24, v14, -v47
	v_fmac_f32_e32 v15, v25, v14
	s_delay_alu instid0(VALU_DEP_4)
	v_fma_f32 v14, v24, v16, -v39
	s_waitcnt lgkmcnt(1)
	v_mul_f32_e32 v17, v41, v19
	v_dual_fmac_f32 v33, v25, v16 :: v_dual_add_f32 v36, v36, v38
	v_add_f32_e32 v24, v37, v15
	v_add_f32_e32 v22, v22, v14
	s_delay_alu instid0(VALU_DEP_4) | instskip(SKIP_2) | instid1(VALU_DEP_1)
	v_fma_f32 v37, v40, v18, -v17
	ds_load_2addr_b64 v[14:17], v9 offset0:192 offset1:208
	v_dual_mul_f32 v25, v40, v19 :: v_dual_mul_f32 v38, v41, v21
	v_fmac_f32_e32 v25, v41, v18
	s_delay_alu instid0(VALU_DEP_1) | instskip(SKIP_4) | instid1(VALU_DEP_3)
	v_add_f32_e32 v34, v34, v25
	v_add_f32_e32 v33, v23, v33
	v_mul_f32_e32 v23, v40, v21
	v_mul_f32_e32 v25, v27, v19
	;; [unrolled: 1-line block ×3, first 2 shown]
	v_fmac_f32_e32 v23, v41, v20
	s_delay_alu instid0(VALU_DEP_3) | instskip(NEXT) | instid1(VALU_DEP_2)
	v_fma_f32 v25, v26, v18, -v25
	v_dual_fmac_f32 v19, v27, v18 :: v_dual_add_f32 v18, v32, v23
	s_waitcnt lgkmcnt(0)
	v_dual_mul_f32 v32, v43, v15 :: v_dual_add_f32 v1, v1, v37
	v_fma_f32 v37, v40, v20, -v38
	s_delay_alu instid0(VALU_DEP_3) | instskip(NEXT) | instid1(VALU_DEP_3)
	v_add_f32_e32 v19, v24, v19
	v_fma_f32 v32, v42, v14, -v32
	s_delay_alu instid0(VALU_DEP_1) | instskip(NEXT) | instid1(VALU_DEP_4)
	v_add_f32_e32 v1, v1, v32
	v_add_f32_e32 v35, v35, v37
	v_mul_f32_e32 v37, v27, v21
	v_dual_mul_f32 v21, v26, v21 :: v_dual_mul_f32 v32, v29, v15
	s_delay_alu instid0(VALU_DEP_2) | instskip(NEXT) | instid1(VALU_DEP_2)
	v_fma_f32 v23, v26, v20, -v37
	v_dual_add_f32 v26, v36, v25 :: v_dual_fmac_f32 v21, v27, v20
	v_mul_f32_e32 v27, v42, v15
	v_mul_f32_e32 v15, v28, v15
	s_delay_alu instid0(VALU_DEP_4)
	v_add_f32_e32 v20, v22, v23
	ds_load_2addr_b64 v[22:25], v9 offset0:224 offset1:240
	v_fma_f32 v32, v28, v14, -v32
	v_dual_fmac_f32 v27, v43, v14 :: v_dual_mul_f32 v36, v42, v17
	v_fmac_f32_e32 v15, v29, v14
	s_waitcnt lgkmcnt(0)
	s_delay_alu instid0(VALU_DEP_3) | instskip(NEXT) | instid1(VALU_DEP_3)
	v_add_f32_e32 v14, v26, v32
	v_dual_add_f32 v27, v34, v27 :: v_dual_fmac_f32 v36, v43, v16
	s_delay_alu instid0(VALU_DEP_3)
	v_dual_mul_f32 v34, v29, v17 :: v_dual_add_f32 v15, v19, v15
	s_barrier
	buffer_gl0_inv
	v_mul_f32_e32 v26, v45, v23
	v_add_f32_e32 v21, v33, v21
	v_mul_f32_e32 v33, v43, v17
	v_mul_f32_e32 v17, v28, v17
	;; [unrolled: 1-line block ×3, first 2 shown]
	s_delay_alu instid0(VALU_DEP_3) | instskip(NEXT) | instid1(VALU_DEP_3)
	v_fma_f32 v33, v42, v16, -v33
	v_fmac_f32_e32 v17, v29, v16
	s_delay_alu instid0(VALU_DEP_3) | instskip(NEXT) | instid1(VALU_DEP_3)
	v_fmac_f32_e32 v19, v45, v24
	v_add_f32_e32 v33, v35, v33
	v_add_f32_e32 v35, v18, v36
	v_fma_f32 v18, v28, v16, -v34
	v_fma_f32 v16, v44, v22, -v26
	v_mul_f32_e32 v28, v44, v23
	v_dual_add_f32 v26, v21, v17 :: v_dual_mul_f32 v17, v30, v23
	s_delay_alu instid0(VALU_DEP_4) | instskip(NEXT) | instid1(VALU_DEP_4)
	v_dual_add_f32 v29, v20, v18 :: v_dual_mul_f32 v18, v45, v25
	v_add_f32_e32 v20, v1, v16
	v_mul_f32_e32 v16, v31, v23
	v_mul_f32_e32 v23, v31, v25
	v_mul_f32_e32 v25, v30, v25
	v_fma_f32 v1, v44, v24, -v18
	v_fmac_f32_e32 v28, v45, v22
	v_fmac_f32_e32 v17, v31, v22
	v_add_f32_e32 v19, v35, v19
	s_delay_alu instid0(VALU_DEP_4)
	v_dual_fmac_f32 v25, v31, v24 :: v_dual_add_f32 v18, v33, v1
	v_fma_f32 v1, v30, v22, -v16
	v_fma_f32 v22, v30, v24, -v23
	v_add_f32_e32 v21, v27, v28
	v_add_f32_e32 v17, v15, v17
	;; [unrolled: 1-line block ×5, first 2 shown]
	s_cbranch_vccnz .LBB1303_11
.LBB1303_3:                             ; =>This Inner Loop Header: Depth=1
	v_add_co_u32 v22, s6, v11, s4
	s_delay_alu instid0(VALU_DEP_1) | instskip(NEXT) | instid1(VALU_DEP_1)
	v_add_co_ci_u32_e64 v23, null, 0, s5, s6
	v_cmp_le_i64_e32 vcc_lo, s[16:17], v[22:23]
	s_or_b32 s6, s3, vcc_lo
	s_delay_alu instid0(SALU_CYCLE_1) | instskip(NEXT) | instid1(SALU_CYCLE_1)
	s_and_saveexec_b32 s7, s6
	s_xor_b32 s6, exec_lo, s7
	s_cbranch_execz .LBB1303_5
; %bb.4:                                ;   in Loop: Header=BB1303_3 Depth=1
	v_mov_b32_e32 v1, v0
	ds_store_b64 v12, v[0:1]
.LBB1303_5:                             ;   in Loop: Header=BB1303_3 Depth=1
	s_and_not1_saveexec_b32 s6, s6
	s_cbranch_execz .LBB1303_7
; %bb.6:                                ;   in Loop: Header=BB1303_3 Depth=1
	global_load_b64 v[22:23], v[2:3], off
	s_waitcnt vmcnt(0)
	ds_store_b64 v12, v[22:23]
.LBB1303_7:                             ;   in Loop: Header=BB1303_3 Depth=1
	s_or_b32 exec_lo, exec_lo, s6
	v_add_co_u32 v22, s6, v8, s4
	s_delay_alu instid0(VALU_DEP_1) | instskip(NEXT) | instid1(VALU_DEP_1)
	v_add_co_ci_u32_e64 v23, null, 0, s5, s6
	v_cmp_le_i64_e32 vcc_lo, s[16:17], v[22:23]
	s_or_b32 s6, vcc_lo, s2
	s_delay_alu instid0(SALU_CYCLE_1) | instskip(NEXT) | instid1(SALU_CYCLE_1)
	s_and_saveexec_b32 s7, s6
	s_xor_b32 s6, exec_lo, s7
	s_cbranch_execz .LBB1303_9
; %bb.8:                                ;   in Loop: Header=BB1303_3 Depth=1
	v_mov_b32_e32 v1, v0
	ds_store_b64 v13, v[0:1]
.LBB1303_9:                             ;   in Loop: Header=BB1303_3 Depth=1
	s_and_not1_saveexec_b32 s6, s6
	s_cbranch_execz .LBB1303_2
; %bb.10:                               ;   in Loop: Header=BB1303_3 Depth=1
	global_load_b64 v[22:23], v[4:5], off
	s_waitcnt vmcnt(0)
	ds_store_b64 v13, v[22:23]
	s_branch .LBB1303_2
.LBB1303_11:
	s_load_b256 s[4:11], s[0:1], 0x48
	v_add_nc_u32_e32 v5, s14, v7
	s_delay_alu instid0(VALU_DEP_1)
	v_ashrrev_i32_e32 v0, 31, v5
	v_cmp_gt_i32_e32 vcc_lo, s12, v5
	s_waitcnt lgkmcnt(0)
	v_mul_lo_u32 v3, v5, s9
	v_mad_u64_u32 v[1:2], null, v5, s8, 0
	v_mul_lo_u32 v0, v0, s8
	s_mul_i32 s1, s15, s11
	s_mul_hi_u32 s2, s15, s10
	s_mul_i32 s0, s15, s10
	s_add_i32 s1, s2, s1
	s_delay_alu instid0(SALU_CYCLE_1) | instskip(NEXT) | instid1(VALU_DEP_1)
	s_lshl_b64 s[2:3], s[0:1], 3
	v_add3_u32 v2, v2, v3, v0
	v_add_nc_u32_e32 v0, s13, v6
	s_add_u32 s2, s6, s2
	s_addc_u32 s3, s7, s3
	s_delay_alu instid0(VALU_DEP_2) | instskip(NEXT) | instid1(VALU_DEP_2)
	v_lshlrev_b64 v[1:2], 3, v[1:2]
	v_cmp_le_i32_e64 s0, v0, v5
	s_delay_alu instid0(VALU_DEP_1) | instskip(NEXT) | instid1(VALU_DEP_2)
	s_and_b32 s0, vcc_lo, s0
	v_add_co_u32 v4, s1, s2, v1
	s_delay_alu instid0(VALU_DEP_1)
	v_add_co_ci_u32_e64 v6, s1, s3, v2, s1
	s_and_saveexec_b32 s1, s0
	s_cbranch_execz .LBB1303_14
; %bb.12:
	v_ashrrev_i32_e32 v1, 31, v0
	s_delay_alu instid0(VALU_DEP_1) | instskip(NEXT) | instid1(VALU_DEP_1)
	v_lshlrev_b64 v[1:2], 3, v[0:1]
	v_add_co_u32 v1, s0, v4, v1
	s_delay_alu instid0(VALU_DEP_1)
	v_add_co_ci_u32_e64 v2, s0, v6, v2, s0
	v_cmp_eq_u32_e64 s0, v5, v0
	global_load_b64 v[7:8], v[1:2], off
	v_mul_f32_e32 v3, s19, v21
	s_waitcnt vmcnt(0)
	v_dual_mul_f32 v9, s18, v21 :: v_dual_mul_f32 v10, s5, v8
	v_mul_f32_e32 v8, s4, v8
	s_delay_alu instid0(VALU_DEP_3) | instskip(NEXT) | instid1(VALU_DEP_3)
	v_fma_f32 v3, v20, s18, -v3
	v_fmac_f32_e32 v9, s19, v20
	s_delay_alu instid0(VALU_DEP_4) | instskip(NEXT) | instid1(VALU_DEP_1)
	v_fma_f32 v10, v7, s4, -v10
	v_dual_fmac_f32 v8, s5, v7 :: v_dual_add_f32 v7, v3, v10
	s_delay_alu instid0(VALU_DEP_1)
	v_add_f32_e32 v8, v9, v8
	global_store_b64 v[1:2], v[7:8], off
	s_and_b32 exec_lo, exec_lo, s0
	s_cbranch_execz .LBB1303_14
; %bb.13:
	v_mov_b32_e32 v3, 0
	global_store_b32 v[1:2], v3, off offset:4
.LBB1303_14:
	s_or_b32 exec_lo, exec_lo, s1
	v_add_nc_u32_e32 v2, 16, v0
	s_delay_alu instid0(VALU_DEP_1) | instskip(NEXT) | instid1(VALU_DEP_1)
	v_cmp_le_i32_e64 s0, v2, v5
	s_and_b32 s1, vcc_lo, s0
	s_delay_alu instid0(SALU_CYCLE_1)
	s_and_saveexec_b32 s0, s1
	s_cbranch_execz .LBB1303_17
; %bb.15:
	v_ashrrev_i32_e32 v3, 31, v2
	s_delay_alu instid0(VALU_DEP_1) | instskip(NEXT) | instid1(VALU_DEP_1)
	v_lshlrev_b64 v[7:8], 3, v[2:3]
	v_add_co_u32 v3, vcc_lo, v4, v7
	s_delay_alu instid0(VALU_DEP_2) | instskip(SKIP_4) | instid1(VALU_DEP_1)
	v_add_co_ci_u32_e32 v4, vcc_lo, v6, v8, vcc_lo
	v_cmp_eq_u32_e32 vcc_lo, v5, v2
	global_load_b64 v[6:7], v[3:4], off
	s_waitcnt vmcnt(0)
	v_mul_f32_e32 v9, s5, v7
	v_fma_f32 v9, v6, s4, -v9
	v_mul_f32_e32 v7, s4, v7
	s_delay_alu instid0(VALU_DEP_1) | instskip(NEXT) | instid1(VALU_DEP_1)
	v_dual_mul_f32 v8, s18, v19 :: v_dual_fmac_f32 v7, s5, v6
	v_dual_mul_f32 v1, s19, v19 :: v_dual_fmac_f32 v8, s19, v18
	s_delay_alu instid0(VALU_DEP_1) | instskip(NEXT) | instid1(VALU_DEP_1)
	v_fma_f32 v1, v18, s18, -v1
	v_dual_add_f32 v7, v8, v7 :: v_dual_add_f32 v6, v1, v9
	global_store_b64 v[3:4], v[6:7], off
	s_and_b32 exec_lo, exec_lo, vcc_lo
	s_cbranch_execz .LBB1303_17
; %bb.16:
	v_mov_b32_e32 v1, 0
	global_store_b32 v[3:4], v1, off offset:4
.LBB1303_17:
	s_or_b32 exec_lo, exec_lo, s0
	v_add_nc_u32_e32 v8, 16, v5
	s_delay_alu instid0(VALU_DEP_1) | instskip(SKIP_3) | instid1(VALU_DEP_4)
	v_ashrrev_i32_e32 v1, 31, v8
	v_mul_lo_u32 v6, v8, s9
	v_mad_u64_u32 v[3:4], null, v8, s8, 0
	v_cmp_gt_i32_e32 vcc_lo, s12, v8
	v_mul_lo_u32 v1, v1, s8
	v_cmp_le_i32_e64 s0, v0, v8
	s_delay_alu instid0(VALU_DEP_1) | instskip(NEXT) | instid1(VALU_DEP_2)
	s_and_b32 s0, vcc_lo, s0
	v_add3_u32 v4, v4, v6, v1
	s_delay_alu instid0(VALU_DEP_1) | instskip(NEXT) | instid1(VALU_DEP_1)
	v_lshlrev_b64 v[3:4], 3, v[3:4]
	v_add_co_u32 v6, s1, s2, v3
	s_delay_alu instid0(VALU_DEP_1)
	v_add_co_ci_u32_e64 v7, s1, s3, v4, s1
	s_and_saveexec_b32 s1, s0
	s_cbranch_execz .LBB1303_20
; %bb.18:
	v_ashrrev_i32_e32 v1, 31, v0
	s_delay_alu instid0(VALU_DEP_1) | instskip(NEXT) | instid1(VALU_DEP_1)
	v_lshlrev_b64 v[3:4], 3, v[0:1]
	v_add_co_u32 v3, s0, v6, v3
	s_delay_alu instid0(VALU_DEP_1)
	v_add_co_ci_u32_e64 v4, s0, v7, v4, s0
	v_cmp_eq_u32_e64 s0, v8, v0
	global_load_b64 v[9:10], v[3:4], off
	v_mul_f32_e32 v1, s19, v17
	s_waitcnt vmcnt(0)
	v_dual_mul_f32 v11, s18, v17 :: v_dual_mul_f32 v12, s5, v10
	v_mul_f32_e32 v10, s4, v10
	s_delay_alu instid0(VALU_DEP_3) | instskip(NEXT) | instid1(VALU_DEP_3)
	v_fma_f32 v1, v16, s18, -v1
	v_fmac_f32_e32 v11, s19, v16
	s_delay_alu instid0(VALU_DEP_4) | instskip(NEXT) | instid1(VALU_DEP_1)
	v_fma_f32 v12, v9, s4, -v12
	v_dual_fmac_f32 v10, s5, v9 :: v_dual_add_f32 v9, v1, v12
	s_delay_alu instid0(VALU_DEP_1)
	v_add_f32_e32 v10, v11, v10
	global_store_b64 v[3:4], v[9:10], off
	s_and_b32 exec_lo, exec_lo, s0
	s_cbranch_execz .LBB1303_20
; %bb.19:
	v_mov_b32_e32 v1, 0
	global_store_b32 v[3:4], v1, off offset:4
.LBB1303_20:
	s_or_b32 exec_lo, exec_lo, s1
	v_cmp_le_i32_e64 s0, v2, v8
	s_delay_alu instid0(VALU_DEP_1) | instskip(NEXT) | instid1(SALU_CYCLE_1)
	s_and_b32 s0, vcc_lo, s0
	s_and_saveexec_b32 s1, s0
	s_cbranch_execz .LBB1303_23
; %bb.21:
	v_ashrrev_i32_e32 v3, 31, v2
	s_delay_alu instid0(VALU_DEP_1) | instskip(NEXT) | instid1(VALU_DEP_1)
	v_lshlrev_b64 v[1:2], 3, v[2:3]
	v_add_co_u32 v1, vcc_lo, v6, v1
	s_delay_alu instid0(VALU_DEP_2) | instskip(SKIP_4) | instid1(VALU_DEP_1)
	v_add_co_ci_u32_e32 v2, vcc_lo, v7, v2, vcc_lo
	v_cmp_eq_u32_e32 vcc_lo, v5, v0
	global_load_b64 v[3:4], v[1:2], off
	s_waitcnt vmcnt(0)
	v_dual_mul_f32 v7, s18, v15 :: v_dual_mul_f32 v8, s5, v4
	v_dual_mul_f32 v6, s19, v15 :: v_dual_fmac_f32 v7, s19, v14
	v_mul_f32_e32 v4, s4, v4
	s_delay_alu instid0(VALU_DEP_3) | instskip(NEXT) | instid1(VALU_DEP_3)
	v_fma_f32 v8, v3, s4, -v8
	v_fma_f32 v6, v14, s18, -v6
	s_delay_alu instid0(VALU_DEP_1) | instskip(NEXT) | instid1(VALU_DEP_1)
	v_dual_fmac_f32 v4, s5, v3 :: v_dual_add_f32 v3, v6, v8
	v_add_f32_e32 v4, v7, v4
	global_store_b64 v[1:2], v[3:4], off
	s_and_b32 exec_lo, exec_lo, vcc_lo
	s_cbranch_execz .LBB1303_23
; %bb.22:
	v_mov_b32_e32 v0, 0
	global_store_b32 v[1:2], v0, off offset:4
.LBB1303_23:
	s_nop 0
	s_sendmsg sendmsg(MSG_DEALLOC_VGPRS)
	s_endpgm
	.section	.rodata,"a",@progbits
	.p2align	6, 0x0
	.amdhsa_kernel _ZL34rocblas_syrkx_herkx_general_kernelIl19rocblas_complex_numIfELi16ELi32ELi8ELb0ELb1ELc84ELc85EKS1_S1_EviT_T0_PT8_S3_lS6_S3_lS4_PT9_S3_li
		.amdhsa_group_segment_fixed_size 4096
		.amdhsa_private_segment_fixed_size 0
		.amdhsa_kernarg_size 108
		.amdhsa_user_sgpr_count 13
		.amdhsa_user_sgpr_dispatch_ptr 0
		.amdhsa_user_sgpr_queue_ptr 0
		.amdhsa_user_sgpr_kernarg_segment_ptr 1
		.amdhsa_user_sgpr_dispatch_id 0
		.amdhsa_user_sgpr_private_segment_size 0
		.amdhsa_wavefront_size32 1
		.amdhsa_uses_dynamic_stack 0
		.amdhsa_enable_private_segment 0
		.amdhsa_system_sgpr_workgroup_id_x 1
		.amdhsa_system_sgpr_workgroup_id_y 1
		.amdhsa_system_sgpr_workgroup_id_z 1
		.amdhsa_system_sgpr_workgroup_info 0
		.amdhsa_system_vgpr_workitem_id 1
		.amdhsa_next_free_vgpr 59
		.amdhsa_next_free_sgpr 32
		.amdhsa_reserve_vcc 1
		.amdhsa_float_round_mode_32 0
		.amdhsa_float_round_mode_16_64 0
		.amdhsa_float_denorm_mode_32 3
		.amdhsa_float_denorm_mode_16_64 3
		.amdhsa_dx10_clamp 1
		.amdhsa_ieee_mode 1
		.amdhsa_fp16_overflow 0
		.amdhsa_workgroup_processor_mode 1
		.amdhsa_memory_ordered 1
		.amdhsa_forward_progress 0
		.amdhsa_shared_vgpr_count 0
		.amdhsa_exception_fp_ieee_invalid_op 0
		.amdhsa_exception_fp_denorm_src 0
		.amdhsa_exception_fp_ieee_div_zero 0
		.amdhsa_exception_fp_ieee_overflow 0
		.amdhsa_exception_fp_ieee_underflow 0
		.amdhsa_exception_fp_ieee_inexact 0
		.amdhsa_exception_int_div_zero 0
	.end_amdhsa_kernel
	.section	.text._ZL34rocblas_syrkx_herkx_general_kernelIl19rocblas_complex_numIfELi16ELi32ELi8ELb0ELb1ELc84ELc85EKS1_S1_EviT_T0_PT8_S3_lS6_S3_lS4_PT9_S3_li,"axG",@progbits,_ZL34rocblas_syrkx_herkx_general_kernelIl19rocblas_complex_numIfELi16ELi32ELi8ELb0ELb1ELc84ELc85EKS1_S1_EviT_T0_PT8_S3_lS6_S3_lS4_PT9_S3_li,comdat
.Lfunc_end1303:
	.size	_ZL34rocblas_syrkx_herkx_general_kernelIl19rocblas_complex_numIfELi16ELi32ELi8ELb0ELb1ELc84ELc85EKS1_S1_EviT_T0_PT8_S3_lS6_S3_lS4_PT9_S3_li, .Lfunc_end1303-_ZL34rocblas_syrkx_herkx_general_kernelIl19rocblas_complex_numIfELi16ELi32ELi8ELb0ELb1ELc84ELc85EKS1_S1_EviT_T0_PT8_S3_lS6_S3_lS4_PT9_S3_li
                                        ; -- End function
	.section	.AMDGPU.csdata,"",@progbits
; Kernel info:
; codeLenInByte = 2840
; NumSgprs: 34
; NumVgprs: 59
; ScratchSize: 0
; MemoryBound: 1
; FloatMode: 240
; IeeeMode: 1
; LDSByteSize: 4096 bytes/workgroup (compile time only)
; SGPRBlocks: 4
; VGPRBlocks: 7
; NumSGPRsForWavesPerEU: 34
; NumVGPRsForWavesPerEU: 59
; Occupancy: 16
; WaveLimiterHint : 0
; COMPUTE_PGM_RSRC2:SCRATCH_EN: 0
; COMPUTE_PGM_RSRC2:USER_SGPR: 13
; COMPUTE_PGM_RSRC2:TRAP_HANDLER: 0
; COMPUTE_PGM_RSRC2:TGID_X_EN: 1
; COMPUTE_PGM_RSRC2:TGID_Y_EN: 1
; COMPUTE_PGM_RSRC2:TGID_Z_EN: 1
; COMPUTE_PGM_RSRC2:TIDIG_COMP_CNT: 1
	.section	.text._ZL34rocblas_syrkx_herkx_general_kernelIl19rocblas_complex_numIfELi16ELi32ELi8ELb0ELb1ELc67ELc85EKS1_S1_EviT_T0_PT8_S3_lS6_S3_lS4_PT9_S3_li,"axG",@progbits,_ZL34rocblas_syrkx_herkx_general_kernelIl19rocblas_complex_numIfELi16ELi32ELi8ELb0ELb1ELc67ELc85EKS1_S1_EviT_T0_PT8_S3_lS6_S3_lS4_PT9_S3_li,comdat
	.globl	_ZL34rocblas_syrkx_herkx_general_kernelIl19rocblas_complex_numIfELi16ELi32ELi8ELb0ELb1ELc67ELc85EKS1_S1_EviT_T0_PT8_S3_lS6_S3_lS4_PT9_S3_li ; -- Begin function _ZL34rocblas_syrkx_herkx_general_kernelIl19rocblas_complex_numIfELi16ELi32ELi8ELb0ELb1ELc67ELc85EKS1_S1_EviT_T0_PT8_S3_lS6_S3_lS4_PT9_S3_li
	.p2align	8
	.type	_ZL34rocblas_syrkx_herkx_general_kernelIl19rocblas_complex_numIfELi16ELi32ELi8ELb0ELb1ELc67ELc85EKS1_S1_EviT_T0_PT8_S3_lS6_S3_lS4_PT9_S3_li,@function
_ZL34rocblas_syrkx_herkx_general_kernelIl19rocblas_complex_numIfELi16ELi32ELi8ELb0ELb1ELc67ELc85EKS1_S1_EviT_T0_PT8_S3_lS6_S3_lS4_PT9_S3_li: ; @_ZL34rocblas_syrkx_herkx_general_kernelIl19rocblas_complex_numIfELi16ELi32ELi8ELb0ELb1ELc67ELc85EKS1_S1_EviT_T0_PT8_S3_lS6_S3_lS4_PT9_S3_li
; %bb.0:
	s_clause 0x1
	s_load_b512 s[16:31], s[0:1], 0x8
	s_load_b32 s12, s[0:1], 0x0
	v_dual_mov_b32 v20, 0 :: v_dual_mov_b32 v21, 0
	v_dual_mov_b32 v18, 0 :: v_dual_mov_b32 v19, 0
	;; [unrolled: 1-line block ×4, first 2 shown]
	v_and_b32_e32 v6, 0x3ff, v0
	v_bfe_u32 v7, v0, 10, 10
	s_lshl_b32 s13, s13, 5
	s_lshl_b32 s14, s14, 5
	s_waitcnt lgkmcnt(0)
	v_cmp_lt_i64_e64 s2, s[16:17], 1
	s_delay_alu instid0(VALU_DEP_1)
	s_and_b32 vcc_lo, exec_lo, s2
	s_cbranch_vccnz .LBB1304_11
; %bb.1:
	v_lshl_add_u32 v1, v7, 4, v6
	v_mov_b32_e32 v0, 0
	v_and_b32_e32 v8, 7, v6
	s_mul_i32 s3, s25, s15
	s_mul_hi_u32 s4, s24, s15
	v_and_b32_e32 v3, 31, v1
	v_lshrrev_b32_e32 v5, 3, v1
	v_lshrrev_b32_e32 v11, 5, v1
	v_lshlrev_b32_e32 v15, 3, v8
	s_mul_i32 s2, s24, s15
	v_add_nc_u32_e32 v4, s13, v3
	v_add_nc_u32_e32 v13, s14, v5
	v_or_b32_e32 v16, s13, v3
	v_dual_mov_b32 v20, 0 :: v_dual_lshlrev_b32 v17, 3, v3
	s_delay_alu instid0(VALU_DEP_4) | instskip(SKIP_3) | instid1(VALU_DEP_4)
	v_ashrrev_i32_e32 v12, 31, v4
	v_mul_lo_u32 v14, s23, v4
	v_mad_u64_u32 v[1:2], null, s22, v4, 0
	v_ashrrev_i32_e32 v18, 31, v13
	v_mul_lo_u32 v12, s22, v12
	v_mul_lo_u32 v19, s29, v13
	v_mad_u64_u32 v[3:4], null, s28, v13, 0
	s_add_i32 s3, s4, s3
	v_cmp_gt_i32_e32 vcc_lo, s12, v16
	s_lshl_b64 s[4:5], s[2:3], 3
	v_cmp_gt_i32_e64 s2, s12, v13
	v_add3_u32 v2, v2, v12, v14
	v_mul_lo_u32 v14, s28, v18
	v_mov_b32_e32 v18, 0
	v_lshl_or_b32 v5, v5, 6, v15
	v_lshlrev_b32_e32 v16, 3, v11
	v_lshlrev_b64 v[1:2], 3, v[1:2]
	v_lshlrev_b32_e32 v9, 3, v6
	v_lshl_add_u32 v10, v7, 6, 0x800
	v_add_nc_u32_e32 v13, 0x800, v5
	v_add3_u32 v4, v4, v14, v19
	v_mov_b32_e32 v19, 0
	v_add_co_u32 v5, s3, v1, s4
	s_delay_alu instid0(VALU_DEP_1)
	v_add_co_ci_u32_e64 v14, s3, s5, v2, s3
	s_mul_i32 s3, s31, s15
	s_mul_hi_u32 s4, s30, s15
	v_lshlrev_b64 v[1:2], 3, v[3:4]
	s_add_i32 s5, s4, s3
	s_mul_i32 s4, s30, s15
	v_add_co_u32 v3, s3, v5, v16
	s_lshl_b64 s[4:5], s[4:5], 3
	v_add_co_ci_u32_e64 v4, s3, 0, v14, s3
	v_mov_b32_e32 v14, 0
	v_add_co_u32 v1, s3, v1, s4
	s_delay_alu instid0(VALU_DEP_1) | instskip(SKIP_1) | instid1(VALU_DEP_1)
	v_add_co_ci_u32_e64 v2, s3, s5, v2, s3
	v_add_co_u32 v3, s3, v3, s20
	v_add_co_ci_u32_e64 v4, s3, s21, v4, s3
	s_delay_alu instid0(VALU_DEP_4) | instskip(NEXT) | instid1(VALU_DEP_1)
	v_add_co_u32 v1, s3, v1, v15
	v_add_co_ci_u32_e64 v5, s3, 0, v2, s3
	s_delay_alu instid0(VALU_DEP_4) | instskip(NEXT) | instid1(VALU_DEP_1)
	v_add_co_u32 v2, s3, v3, 4
	v_add_co_ci_u32_e64 v3, s3, 0, v4, s3
	s_delay_alu instid0(VALU_DEP_4)
	v_add_co_u32 v4, s3, s26, v1
	v_lshl_or_b32 v12, v11, 8, v17
	v_add_co_ci_u32_e64 v5, s3, s27, v5, s3
	v_mov_b32_e32 v15, 0
	v_dual_mov_b32 v17, 0 :: v_dual_mov_b32 v16, 0
	v_mov_b32_e32 v21, 0
	s_mov_b64 s[4:5], 0
	s_xor_b32 s3, vcc_lo, -1
	s_xor_b32 s2, s2, -1
	s_branch .LBB1304_3
.LBB1304_2:                             ;   in Loop: Header=BB1304_3 Depth=1
	s_or_b32 exec_lo, exec_lo, s6
	s_waitcnt lgkmcnt(0)
	s_barrier
	buffer_gl0_inv
	ds_load_2addr_b64 v[22:25], v9 offset1:16
	ds_load_b128 v[26:29], v10
	ds_load_b128 v[30:33], v10 offset:1024
	ds_load_b128 v[34:37], v10 offset:16
	;; [unrolled: 1-line block ×4, first 2 shown]
	ds_load_2addr_b64 v[46:49], v9 offset0:32 offset1:48
	ds_load_b128 v[50:53], v10 offset:1040
	s_add_u32 s4, s4, 8
	s_addc_u32 s5, s5, 0
	v_add_co_u32 v2, vcc_lo, v2, 64
	v_cmp_ge_i64_e64 s6, s[4:5], s[16:17]
	v_add_co_ci_u32_e32 v3, vcc_lo, 0, v3, vcc_lo
	v_add_co_u32 v4, vcc_lo, v4, 64
	v_add_co_ci_u32_e32 v5, vcc_lo, 0, v5, vcc_lo
	s_delay_alu instid0(VALU_DEP_4)
	s_and_b32 vcc_lo, exec_lo, s6
	s_waitcnt lgkmcnt(6)
	v_dual_mul_f32 v1, v27, v23 :: v_dual_mul_f32 v56, v26, v25
	v_dual_mul_f32 v54, v26, v23 :: v_dual_mul_f32 v55, v27, v25
	s_waitcnt lgkmcnt(5)
	v_mul_f32_e32 v58, v31, v25
	s_delay_alu instid0(VALU_DEP_3) | instskip(SKIP_3) | instid1(VALU_DEP_4)
	v_fma_f32 v1, v26, v22, -v1
	v_dual_mul_f32 v25, v30, v25 :: v_dual_fmac_f32 v56, v27, v24
	v_fmac_f32_e32 v54, v27, v22
	v_fma_f32 v26, v26, v24, -v55
	v_add_f32_e32 v1, v20, v1
	v_mul_f32_e32 v57, v31, v23
	s_delay_alu instid0(VALU_DEP_4) | instskip(SKIP_2) | instid1(VALU_DEP_4)
	v_dual_mul_f32 v23, v30, v23 :: v_dual_add_f32 v20, v21, v54
	v_fmac_f32_e32 v25, v31, v24
	v_dual_add_f32 v21, v18, v26 :: v_dual_add_f32 v26, v19, v56
	v_fma_f32 v27, v30, v22, -v57
	s_delay_alu instid0(VALU_DEP_4) | instskip(SKIP_3) | instid1(VALU_DEP_2)
	v_fmac_f32_e32 v23, v31, v22
	v_fma_f32 v22, v30, v24, -v58
	s_waitcnt lgkmcnt(1)
	v_mul_f32_e32 v30, v29, v47
	v_dual_add_f32 v27, v16, v27 :: v_dual_add_f32 v14, v14, v22
	v_dual_mul_f32 v22, v28, v47 :: v_dual_add_f32 v15, v15, v25
	v_mul_f32_e32 v25, v28, v49
	s_delay_alu instid0(VALU_DEP_4) | instskip(NEXT) | instid1(VALU_DEP_3)
	v_fma_f32 v24, v28, v46, -v30
	v_fmac_f32_e32 v22, v29, v46
	v_add_f32_e32 v23, v17, v23
	ds_load_2addr_b64 v[16:19], v9 offset0:64 offset1:80
	v_mul_f32_e32 v30, v29, v49
	v_fmac_f32_e32 v25, v29, v48
	v_add_f32_e32 v1, v1, v24
	s_delay_alu instid0(VALU_DEP_2) | instskip(SKIP_1) | instid1(VALU_DEP_1)
	v_add_f32_e32 v25, v26, v25
	v_mul_f32_e32 v26, v32, v49
	v_fmac_f32_e32 v26, v33, v48
	s_waitcnt lgkmcnt(0)
	s_delay_alu instid0(VALU_DEP_1) | instskip(SKIP_1) | instid1(VALU_DEP_2)
	v_dual_add_f32 v26, v15, v26 :: v_dual_mul_f32 v29, v34, v17
	v_mul_f32_e32 v15, v34, v19
	v_fmac_f32_e32 v29, v35, v16
	v_fma_f32 v24, v28, v48, -v30
	v_mul_f32_e32 v28, v33, v47
	v_add_f32_e32 v30, v20, v22
	v_mul_f32_e32 v20, v32, v47
	v_mul_f32_e32 v22, v33, v49
	v_add_f32_e32 v24, v21, v24
	v_fma_f32 v21, v32, v46, -v28
	s_delay_alu instid0(VALU_DEP_4) | instskip(SKIP_1) | instid1(VALU_DEP_3)
	v_dual_add_f32 v29, v30, v29 :: v_dual_fmac_f32 v20, v33, v46
	v_fmac_f32_e32 v15, v35, v18
	v_add_f32_e32 v27, v27, v21
	v_fma_f32 v21, v32, v48, -v22
	v_mul_f32_e32 v22, v35, v17
	v_mul_f32_e32 v32, v35, v19
	v_add_f32_e32 v28, v23, v20
	s_delay_alu instid0(VALU_DEP_4) | instskip(NEXT) | instid1(VALU_DEP_4)
	v_add_f32_e32 v14, v14, v21
	v_fma_f32 v31, v34, v16, -v22
	ds_load_2addr_b64 v[20:23], v9 offset0:96 offset1:112
	v_add_f32_e32 v1, v1, v31
	v_fma_f32 v31, v34, v18, -v32
	s_delay_alu instid0(VALU_DEP_1) | instskip(SKIP_3) | instid1(VALU_DEP_3)
	v_add_f32_e32 v24, v24, v31
	v_mul_f32_e32 v31, v51, v19
	v_mul_f32_e32 v19, v50, v19
	v_add_f32_e32 v32, v25, v15
	v_fma_f32 v15, v50, v18, -v31
	s_delay_alu instid0(VALU_DEP_3)
	v_fmac_f32_e32 v19, v51, v18
	v_mul_f32_e32 v30, v51, v17
	v_mul_f32_e32 v17, v50, v17
	s_waitcnt lgkmcnt(0)
	v_dual_mul_f32 v18, v37, v21 :: v_dual_add_f32 v31, v14, v15
	v_add_f32_e32 v33, v26, v19
	v_fma_f32 v30, v50, v16, -v30
	v_fmac_f32_e32 v17, v51, v16
	s_delay_alu instid0(VALU_DEP_4) | instskip(SKIP_1) | instid1(VALU_DEP_4)
	v_fma_f32 v18, v36, v20, -v18
	v_mul_f32_e32 v25, v36, v21
	v_dual_mul_f32 v19, v36, v23 :: v_dual_add_f32 v30, v27, v30
	s_delay_alu instid0(VALU_DEP_4) | instskip(SKIP_4) | instid1(VALU_DEP_2)
	v_add_f32_e32 v28, v28, v17
	ds_load_2addr_b64 v[14:17], v9 offset0:128 offset1:144
	v_add_f32_e32 v1, v1, v18
	v_mul_f32_e32 v18, v53, v21
	v_fmac_f32_e32 v19, v37, v22
	v_fma_f32 v18, v52, v20, -v18
	v_mul_f32_e32 v27, v37, v23
	s_delay_alu instid0(VALU_DEP_1) | instskip(NEXT) | instid1(VALU_DEP_3)
	v_fma_f32 v26, v36, v22, -v27
	v_add_f32_e32 v36, v30, v18
	s_waitcnt lgkmcnt(0)
	s_delay_alu instid0(VALU_DEP_2) | instskip(SKIP_2) | instid1(VALU_DEP_3)
	v_dual_add_f32 v35, v24, v26 :: v_dual_mul_f32 v46, v38, v15
	v_dual_fmac_f32 v25, v37, v20 :: v_dual_add_f32 v32, v32, v19
	v_mul_f32_e32 v18, v39, v15
	v_fmac_f32_e32 v46, v39, v14
	s_delay_alu instid0(VALU_DEP_3)
	v_add_f32_e32 v34, v29, v25
	v_mul_f32_e32 v29, v53, v23
	v_mul_f32_e32 v23, v52, v23
	ds_load_b128 v[24:27], v10 offset:1056
	v_add_f32_e32 v34, v34, v46
	v_fma_f32 v19, v52, v22, -v29
	v_mul_f32_e32 v21, v52, v21
	v_fmac_f32_e32 v23, v53, v22
	v_mul_f32_e32 v29, v39, v17
	s_delay_alu instid0(VALU_DEP_3) | instskip(NEXT) | instid1(VALU_DEP_3)
	v_dual_add_f32 v22, v31, v19 :: v_dual_fmac_f32 v21, v53, v20
	v_add_f32_e32 v23, v33, v23
	s_delay_alu instid0(VALU_DEP_2) | instskip(SKIP_4) | instid1(VALU_DEP_2)
	v_add_f32_e32 v37, v28, v21
	v_fma_f32 v28, v38, v14, -v18
	ds_load_2addr_b64 v[18:21], v9 offset0:160 offset1:176
	v_mul_f32_e32 v33, v38, v17
	v_fma_f32 v38, v38, v16, -v29
	v_fmac_f32_e32 v33, v39, v16
	s_delay_alu instid0(VALU_DEP_1)
	v_dual_add_f32 v35, v35, v38 :: v_dual_add_f32 v32, v32, v33
	v_add_f32_e32 v1, v1, v28
	ds_load_b128 v[28:31], v10 offset:1072
	s_waitcnt lgkmcnt(2)
	v_mul_f32_e32 v47, v25, v15
	v_mul_f32_e32 v15, v24, v15
	;; [unrolled: 1-line block ×4, first 2 shown]
	s_delay_alu instid0(VALU_DEP_4) | instskip(NEXT) | instid1(VALU_DEP_4)
	v_fma_f32 v38, v24, v14, -v47
	v_fmac_f32_e32 v15, v25, v14
	s_delay_alu instid0(VALU_DEP_4)
	v_fma_f32 v14, v24, v16, -v39
	s_waitcnt lgkmcnt(1)
	v_mul_f32_e32 v17, v41, v19
	v_dual_fmac_f32 v33, v25, v16 :: v_dual_add_f32 v36, v36, v38
	v_add_f32_e32 v24, v37, v15
	v_add_f32_e32 v22, v22, v14
	s_delay_alu instid0(VALU_DEP_4) | instskip(SKIP_2) | instid1(VALU_DEP_1)
	v_fma_f32 v37, v40, v18, -v17
	ds_load_2addr_b64 v[14:17], v9 offset0:192 offset1:208
	v_dual_mul_f32 v25, v40, v19 :: v_dual_mul_f32 v38, v41, v21
	v_fmac_f32_e32 v25, v41, v18
	s_delay_alu instid0(VALU_DEP_1) | instskip(SKIP_4) | instid1(VALU_DEP_3)
	v_add_f32_e32 v34, v34, v25
	v_add_f32_e32 v33, v23, v33
	v_mul_f32_e32 v23, v40, v21
	v_mul_f32_e32 v25, v27, v19
	;; [unrolled: 1-line block ×3, first 2 shown]
	v_fmac_f32_e32 v23, v41, v20
	s_delay_alu instid0(VALU_DEP_3) | instskip(NEXT) | instid1(VALU_DEP_2)
	v_fma_f32 v25, v26, v18, -v25
	v_dual_fmac_f32 v19, v27, v18 :: v_dual_add_f32 v18, v32, v23
	s_waitcnt lgkmcnt(0)
	v_dual_mul_f32 v32, v43, v15 :: v_dual_add_f32 v1, v1, v37
	v_fma_f32 v37, v40, v20, -v38
	s_delay_alu instid0(VALU_DEP_3) | instskip(NEXT) | instid1(VALU_DEP_3)
	v_add_f32_e32 v19, v24, v19
	v_fma_f32 v32, v42, v14, -v32
	s_delay_alu instid0(VALU_DEP_1) | instskip(NEXT) | instid1(VALU_DEP_4)
	v_add_f32_e32 v1, v1, v32
	v_add_f32_e32 v35, v35, v37
	v_mul_f32_e32 v37, v27, v21
	v_dual_mul_f32 v21, v26, v21 :: v_dual_mul_f32 v32, v29, v15
	s_delay_alu instid0(VALU_DEP_2) | instskip(NEXT) | instid1(VALU_DEP_2)
	v_fma_f32 v23, v26, v20, -v37
	v_dual_add_f32 v26, v36, v25 :: v_dual_fmac_f32 v21, v27, v20
	v_mul_f32_e32 v27, v42, v15
	v_mul_f32_e32 v15, v28, v15
	s_delay_alu instid0(VALU_DEP_4)
	v_add_f32_e32 v20, v22, v23
	ds_load_2addr_b64 v[22:25], v9 offset0:224 offset1:240
	v_fma_f32 v32, v28, v14, -v32
	v_dual_fmac_f32 v27, v43, v14 :: v_dual_mul_f32 v36, v42, v17
	v_fmac_f32_e32 v15, v29, v14
	s_waitcnt lgkmcnt(0)
	s_delay_alu instid0(VALU_DEP_3) | instskip(NEXT) | instid1(VALU_DEP_3)
	v_add_f32_e32 v14, v26, v32
	v_dual_add_f32 v27, v34, v27 :: v_dual_fmac_f32 v36, v43, v16
	s_delay_alu instid0(VALU_DEP_3)
	v_dual_mul_f32 v34, v29, v17 :: v_dual_add_f32 v15, v19, v15
	s_barrier
	buffer_gl0_inv
	v_mul_f32_e32 v26, v45, v23
	v_add_f32_e32 v21, v33, v21
	v_mul_f32_e32 v33, v43, v17
	v_mul_f32_e32 v17, v28, v17
	;; [unrolled: 1-line block ×3, first 2 shown]
	s_delay_alu instid0(VALU_DEP_3) | instskip(NEXT) | instid1(VALU_DEP_3)
	v_fma_f32 v33, v42, v16, -v33
	v_fmac_f32_e32 v17, v29, v16
	s_delay_alu instid0(VALU_DEP_3) | instskip(NEXT) | instid1(VALU_DEP_3)
	v_fmac_f32_e32 v19, v45, v24
	v_add_f32_e32 v33, v35, v33
	v_add_f32_e32 v35, v18, v36
	v_fma_f32 v18, v28, v16, -v34
	v_fma_f32 v16, v44, v22, -v26
	v_mul_f32_e32 v28, v44, v23
	v_dual_add_f32 v26, v21, v17 :: v_dual_mul_f32 v17, v30, v23
	s_delay_alu instid0(VALU_DEP_4) | instskip(NEXT) | instid1(VALU_DEP_4)
	v_dual_add_f32 v29, v20, v18 :: v_dual_mul_f32 v18, v45, v25
	v_add_f32_e32 v20, v1, v16
	v_mul_f32_e32 v16, v31, v23
	v_mul_f32_e32 v23, v31, v25
	;; [unrolled: 1-line block ×3, first 2 shown]
	v_fma_f32 v1, v44, v24, -v18
	v_fmac_f32_e32 v28, v45, v22
	v_fmac_f32_e32 v17, v31, v22
	v_add_f32_e32 v19, v35, v19
	s_delay_alu instid0(VALU_DEP_4)
	v_dual_fmac_f32 v25, v31, v24 :: v_dual_add_f32 v18, v33, v1
	v_fma_f32 v1, v30, v22, -v16
	v_fma_f32 v22, v30, v24, -v23
	v_add_f32_e32 v21, v27, v28
	v_add_f32_e32 v17, v15, v17
	;; [unrolled: 1-line block ×5, first 2 shown]
	s_cbranch_vccnz .LBB1304_11
.LBB1304_3:                             ; =>This Inner Loop Header: Depth=1
	v_add_co_u32 v22, s6, v11, s4
	s_delay_alu instid0(VALU_DEP_1) | instskip(NEXT) | instid1(VALU_DEP_1)
	v_add_co_ci_u32_e64 v23, null, 0, s5, s6
                                        ; implicit-def: $sgpr7
	v_cmp_le_i64_e32 vcc_lo, s[16:17], v[22:23]
	s_or_b32 s6, s3, vcc_lo
	s_delay_alu instid0(SALU_CYCLE_1) | instskip(NEXT) | instid1(SALU_CYCLE_1)
	s_and_saveexec_b32 s8, s6
	s_xor_b32 s6, exec_lo, s8
	s_cbranch_execz .LBB1304_5
; %bb.4:                                ;   in Loop: Header=BB1304_3 Depth=1
	s_mov_b32 s7, 0
	ds_store_b32 v12, v0
.LBB1304_5:                             ;   in Loop: Header=BB1304_3 Depth=1
	s_or_saveexec_b32 s6, s6
	v_mov_b32_e32 v1, s7
	s_xor_b32 exec_lo, exec_lo, s6
	s_cbranch_execz .LBB1304_7
; %bb.6:                                ;   in Loop: Header=BB1304_3 Depth=1
	global_load_b64 v[22:23], v[2:3], off offset:-4
	s_waitcnt vmcnt(0)
	v_xor_b32_e32 v1, 0x80000000, v23
	ds_store_b32 v12, v22
.LBB1304_7:                             ;   in Loop: Header=BB1304_3 Depth=1
	s_or_b32 exec_lo, exec_lo, s6
	v_add_co_u32 v22, s6, v8, s4
	s_delay_alu instid0(VALU_DEP_1) | instskip(SKIP_3) | instid1(SALU_CYCLE_1)
	v_add_co_ci_u32_e64 v23, null, 0, s5, s6
	ds_store_b32 v12, v1 offset:4
	v_cmp_le_i64_e32 vcc_lo, s[16:17], v[22:23]
	s_or_b32 s6, vcc_lo, s2
	s_and_saveexec_b32 s7, s6
	s_delay_alu instid0(SALU_CYCLE_1)
	s_xor_b32 s6, exec_lo, s7
	s_cbranch_execz .LBB1304_9
; %bb.8:                                ;   in Loop: Header=BB1304_3 Depth=1
	v_mov_b32_e32 v1, v0
	ds_store_b64 v13, v[0:1]
.LBB1304_9:                             ;   in Loop: Header=BB1304_3 Depth=1
	s_and_not1_saveexec_b32 s6, s6
	s_cbranch_execz .LBB1304_2
; %bb.10:                               ;   in Loop: Header=BB1304_3 Depth=1
	global_load_b64 v[22:23], v[4:5], off
	s_waitcnt vmcnt(0)
	ds_store_b64 v13, v[22:23]
	s_branch .LBB1304_2
.LBB1304_11:
	s_load_b256 s[4:11], s[0:1], 0x48
	v_add_nc_u32_e32 v5, s14, v7
	s_delay_alu instid0(VALU_DEP_1)
	v_ashrrev_i32_e32 v0, 31, v5
	v_cmp_gt_i32_e32 vcc_lo, s12, v5
	s_waitcnt lgkmcnt(0)
	v_mul_lo_u32 v3, v5, s9
	v_mad_u64_u32 v[1:2], null, v5, s8, 0
	v_mul_lo_u32 v0, v0, s8
	s_mul_i32 s1, s15, s11
	s_mul_hi_u32 s2, s15, s10
	s_mul_i32 s0, s15, s10
	s_add_i32 s1, s2, s1
	s_delay_alu instid0(SALU_CYCLE_1) | instskip(NEXT) | instid1(VALU_DEP_1)
	s_lshl_b64 s[2:3], s[0:1], 3
	v_add3_u32 v2, v2, v3, v0
	v_add_nc_u32_e32 v0, s13, v6
	s_add_u32 s2, s6, s2
	s_addc_u32 s3, s7, s3
	s_delay_alu instid0(VALU_DEP_2) | instskip(NEXT) | instid1(VALU_DEP_2)
	v_lshlrev_b64 v[1:2], 3, v[1:2]
	v_cmp_le_i32_e64 s0, v0, v5
	s_delay_alu instid0(VALU_DEP_1) | instskip(NEXT) | instid1(VALU_DEP_2)
	s_and_b32 s0, vcc_lo, s0
	v_add_co_u32 v4, s1, s2, v1
	s_delay_alu instid0(VALU_DEP_1)
	v_add_co_ci_u32_e64 v6, s1, s3, v2, s1
	s_and_saveexec_b32 s1, s0
	s_cbranch_execz .LBB1304_14
; %bb.12:
	v_ashrrev_i32_e32 v1, 31, v0
	s_delay_alu instid0(VALU_DEP_1) | instskip(NEXT) | instid1(VALU_DEP_1)
	v_lshlrev_b64 v[1:2], 3, v[0:1]
	v_add_co_u32 v1, s0, v4, v1
	s_delay_alu instid0(VALU_DEP_1)
	v_add_co_ci_u32_e64 v2, s0, v6, v2, s0
	v_cmp_eq_u32_e64 s0, v5, v0
	global_load_b64 v[7:8], v[1:2], off
	v_mul_f32_e32 v3, s19, v21
	s_waitcnt vmcnt(0)
	v_dual_mul_f32 v9, s18, v21 :: v_dual_mul_f32 v10, s5, v8
	v_mul_f32_e32 v8, s4, v8
	s_delay_alu instid0(VALU_DEP_3) | instskip(NEXT) | instid1(VALU_DEP_3)
	v_fma_f32 v3, v20, s18, -v3
	v_fmac_f32_e32 v9, s19, v20
	s_delay_alu instid0(VALU_DEP_4) | instskip(NEXT) | instid1(VALU_DEP_1)
	v_fma_f32 v10, v7, s4, -v10
	v_dual_fmac_f32 v8, s5, v7 :: v_dual_add_f32 v7, v3, v10
	s_delay_alu instid0(VALU_DEP_1)
	v_add_f32_e32 v8, v9, v8
	global_store_b64 v[1:2], v[7:8], off
	s_and_b32 exec_lo, exec_lo, s0
	s_cbranch_execz .LBB1304_14
; %bb.13:
	v_mov_b32_e32 v3, 0
	global_store_b32 v[1:2], v3, off offset:4
.LBB1304_14:
	s_or_b32 exec_lo, exec_lo, s1
	v_add_nc_u32_e32 v2, 16, v0
	s_delay_alu instid0(VALU_DEP_1) | instskip(NEXT) | instid1(VALU_DEP_1)
	v_cmp_le_i32_e64 s0, v2, v5
	s_and_b32 s1, vcc_lo, s0
	s_delay_alu instid0(SALU_CYCLE_1)
	s_and_saveexec_b32 s0, s1
	s_cbranch_execz .LBB1304_17
; %bb.15:
	v_ashrrev_i32_e32 v3, 31, v2
	s_delay_alu instid0(VALU_DEP_1) | instskip(NEXT) | instid1(VALU_DEP_1)
	v_lshlrev_b64 v[7:8], 3, v[2:3]
	v_add_co_u32 v3, vcc_lo, v4, v7
	s_delay_alu instid0(VALU_DEP_2) | instskip(SKIP_4) | instid1(VALU_DEP_1)
	v_add_co_ci_u32_e32 v4, vcc_lo, v6, v8, vcc_lo
	v_cmp_eq_u32_e32 vcc_lo, v5, v2
	global_load_b64 v[6:7], v[3:4], off
	s_waitcnt vmcnt(0)
	v_mul_f32_e32 v9, s5, v7
	v_fma_f32 v9, v6, s4, -v9
	v_mul_f32_e32 v7, s4, v7
	s_delay_alu instid0(VALU_DEP_1) | instskip(NEXT) | instid1(VALU_DEP_1)
	v_dual_mul_f32 v8, s18, v19 :: v_dual_fmac_f32 v7, s5, v6
	v_dual_mul_f32 v1, s19, v19 :: v_dual_fmac_f32 v8, s19, v18
	s_delay_alu instid0(VALU_DEP_1) | instskip(NEXT) | instid1(VALU_DEP_1)
	v_fma_f32 v1, v18, s18, -v1
	v_dual_add_f32 v7, v8, v7 :: v_dual_add_f32 v6, v1, v9
	global_store_b64 v[3:4], v[6:7], off
	s_and_b32 exec_lo, exec_lo, vcc_lo
	s_cbranch_execz .LBB1304_17
; %bb.16:
	v_mov_b32_e32 v1, 0
	global_store_b32 v[3:4], v1, off offset:4
.LBB1304_17:
	s_or_b32 exec_lo, exec_lo, s0
	v_add_nc_u32_e32 v8, 16, v5
	s_delay_alu instid0(VALU_DEP_1) | instskip(SKIP_3) | instid1(VALU_DEP_4)
	v_ashrrev_i32_e32 v1, 31, v8
	v_mul_lo_u32 v6, v8, s9
	v_mad_u64_u32 v[3:4], null, v8, s8, 0
	v_cmp_gt_i32_e32 vcc_lo, s12, v8
	v_mul_lo_u32 v1, v1, s8
	v_cmp_le_i32_e64 s0, v0, v8
	s_delay_alu instid0(VALU_DEP_1) | instskip(NEXT) | instid1(VALU_DEP_2)
	s_and_b32 s0, vcc_lo, s0
	v_add3_u32 v4, v4, v6, v1
	s_delay_alu instid0(VALU_DEP_1) | instskip(NEXT) | instid1(VALU_DEP_1)
	v_lshlrev_b64 v[3:4], 3, v[3:4]
	v_add_co_u32 v6, s1, s2, v3
	s_delay_alu instid0(VALU_DEP_1)
	v_add_co_ci_u32_e64 v7, s1, s3, v4, s1
	s_and_saveexec_b32 s1, s0
	s_cbranch_execz .LBB1304_20
; %bb.18:
	v_ashrrev_i32_e32 v1, 31, v0
	s_delay_alu instid0(VALU_DEP_1) | instskip(NEXT) | instid1(VALU_DEP_1)
	v_lshlrev_b64 v[3:4], 3, v[0:1]
	v_add_co_u32 v3, s0, v6, v3
	s_delay_alu instid0(VALU_DEP_1)
	v_add_co_ci_u32_e64 v4, s0, v7, v4, s0
	v_cmp_eq_u32_e64 s0, v8, v0
	global_load_b64 v[9:10], v[3:4], off
	v_mul_f32_e32 v1, s19, v17
	s_waitcnt vmcnt(0)
	v_dual_mul_f32 v11, s18, v17 :: v_dual_mul_f32 v12, s5, v10
	v_mul_f32_e32 v10, s4, v10
	s_delay_alu instid0(VALU_DEP_3) | instskip(NEXT) | instid1(VALU_DEP_3)
	v_fma_f32 v1, v16, s18, -v1
	v_fmac_f32_e32 v11, s19, v16
	s_delay_alu instid0(VALU_DEP_4) | instskip(NEXT) | instid1(VALU_DEP_1)
	v_fma_f32 v12, v9, s4, -v12
	v_dual_fmac_f32 v10, s5, v9 :: v_dual_add_f32 v9, v1, v12
	s_delay_alu instid0(VALU_DEP_1)
	v_add_f32_e32 v10, v11, v10
	global_store_b64 v[3:4], v[9:10], off
	s_and_b32 exec_lo, exec_lo, s0
	s_cbranch_execz .LBB1304_20
; %bb.19:
	v_mov_b32_e32 v1, 0
	global_store_b32 v[3:4], v1, off offset:4
.LBB1304_20:
	s_or_b32 exec_lo, exec_lo, s1
	v_cmp_le_i32_e64 s0, v2, v8
	s_delay_alu instid0(VALU_DEP_1) | instskip(NEXT) | instid1(SALU_CYCLE_1)
	s_and_b32 s0, vcc_lo, s0
	s_and_saveexec_b32 s1, s0
	s_cbranch_execz .LBB1304_23
; %bb.21:
	v_ashrrev_i32_e32 v3, 31, v2
	s_delay_alu instid0(VALU_DEP_1) | instskip(NEXT) | instid1(VALU_DEP_1)
	v_lshlrev_b64 v[1:2], 3, v[2:3]
	v_add_co_u32 v1, vcc_lo, v6, v1
	s_delay_alu instid0(VALU_DEP_2) | instskip(SKIP_4) | instid1(VALU_DEP_1)
	v_add_co_ci_u32_e32 v2, vcc_lo, v7, v2, vcc_lo
	v_cmp_eq_u32_e32 vcc_lo, v5, v0
	global_load_b64 v[3:4], v[1:2], off
	s_waitcnt vmcnt(0)
	v_dual_mul_f32 v7, s18, v15 :: v_dual_mul_f32 v8, s5, v4
	v_dual_mul_f32 v6, s19, v15 :: v_dual_fmac_f32 v7, s19, v14
	v_mul_f32_e32 v4, s4, v4
	s_delay_alu instid0(VALU_DEP_3) | instskip(NEXT) | instid1(VALU_DEP_3)
	v_fma_f32 v8, v3, s4, -v8
	v_fma_f32 v6, v14, s18, -v6
	s_delay_alu instid0(VALU_DEP_1) | instskip(NEXT) | instid1(VALU_DEP_1)
	v_dual_fmac_f32 v4, s5, v3 :: v_dual_add_f32 v3, v6, v8
	v_add_f32_e32 v4, v7, v4
	global_store_b64 v[1:2], v[3:4], off
	s_and_b32 exec_lo, exec_lo, vcc_lo
	s_cbranch_execz .LBB1304_23
; %bb.22:
	v_mov_b32_e32 v0, 0
	global_store_b32 v[1:2], v0, off offset:4
.LBB1304_23:
	s_nop 0
	s_sendmsg sendmsg(MSG_DEALLOC_VGPRS)
	s_endpgm
	.section	.rodata,"a",@progbits
	.p2align	6, 0x0
	.amdhsa_kernel _ZL34rocblas_syrkx_herkx_general_kernelIl19rocblas_complex_numIfELi16ELi32ELi8ELb0ELb1ELc67ELc85EKS1_S1_EviT_T0_PT8_S3_lS6_S3_lS4_PT9_S3_li
		.amdhsa_group_segment_fixed_size 4096
		.amdhsa_private_segment_fixed_size 0
		.amdhsa_kernarg_size 108
		.amdhsa_user_sgpr_count 13
		.amdhsa_user_sgpr_dispatch_ptr 0
		.amdhsa_user_sgpr_queue_ptr 0
		.amdhsa_user_sgpr_kernarg_segment_ptr 1
		.amdhsa_user_sgpr_dispatch_id 0
		.amdhsa_user_sgpr_private_segment_size 0
		.amdhsa_wavefront_size32 1
		.amdhsa_uses_dynamic_stack 0
		.amdhsa_enable_private_segment 0
		.amdhsa_system_sgpr_workgroup_id_x 1
		.amdhsa_system_sgpr_workgroup_id_y 1
		.amdhsa_system_sgpr_workgroup_id_z 1
		.amdhsa_system_sgpr_workgroup_info 0
		.amdhsa_system_vgpr_workitem_id 1
		.amdhsa_next_free_vgpr 59
		.amdhsa_next_free_sgpr 32
		.amdhsa_reserve_vcc 1
		.amdhsa_float_round_mode_32 0
		.amdhsa_float_round_mode_16_64 0
		.amdhsa_float_denorm_mode_32 3
		.amdhsa_float_denorm_mode_16_64 3
		.amdhsa_dx10_clamp 1
		.amdhsa_ieee_mode 1
		.amdhsa_fp16_overflow 0
		.amdhsa_workgroup_processor_mode 1
		.amdhsa_memory_ordered 1
		.amdhsa_forward_progress 0
		.amdhsa_shared_vgpr_count 0
		.amdhsa_exception_fp_ieee_invalid_op 0
		.amdhsa_exception_fp_denorm_src 0
		.amdhsa_exception_fp_ieee_div_zero 0
		.amdhsa_exception_fp_ieee_overflow 0
		.amdhsa_exception_fp_ieee_underflow 0
		.amdhsa_exception_fp_ieee_inexact 0
		.amdhsa_exception_int_div_zero 0
	.end_amdhsa_kernel
	.section	.text._ZL34rocblas_syrkx_herkx_general_kernelIl19rocblas_complex_numIfELi16ELi32ELi8ELb0ELb1ELc67ELc85EKS1_S1_EviT_T0_PT8_S3_lS6_S3_lS4_PT9_S3_li,"axG",@progbits,_ZL34rocblas_syrkx_herkx_general_kernelIl19rocblas_complex_numIfELi16ELi32ELi8ELb0ELb1ELc67ELc85EKS1_S1_EviT_T0_PT8_S3_lS6_S3_lS4_PT9_S3_li,comdat
.Lfunc_end1304:
	.size	_ZL34rocblas_syrkx_herkx_general_kernelIl19rocblas_complex_numIfELi16ELi32ELi8ELb0ELb1ELc67ELc85EKS1_S1_EviT_T0_PT8_S3_lS6_S3_lS4_PT9_S3_li, .Lfunc_end1304-_ZL34rocblas_syrkx_herkx_general_kernelIl19rocblas_complex_numIfELi16ELi32ELi8ELb0ELb1ELc67ELc85EKS1_S1_EviT_T0_PT8_S3_lS6_S3_lS4_PT9_S3_li
                                        ; -- End function
	.section	.AMDGPU.csdata,"",@progbits
; Kernel info:
; codeLenInByte = 2884
; NumSgprs: 34
; NumVgprs: 59
; ScratchSize: 0
; MemoryBound: 1
; FloatMode: 240
; IeeeMode: 1
; LDSByteSize: 4096 bytes/workgroup (compile time only)
; SGPRBlocks: 4
; VGPRBlocks: 7
; NumSGPRsForWavesPerEU: 34
; NumVGPRsForWavesPerEU: 59
; Occupancy: 16
; WaveLimiterHint : 0
; COMPUTE_PGM_RSRC2:SCRATCH_EN: 0
; COMPUTE_PGM_RSRC2:USER_SGPR: 13
; COMPUTE_PGM_RSRC2:TRAP_HANDLER: 0
; COMPUTE_PGM_RSRC2:TGID_X_EN: 1
; COMPUTE_PGM_RSRC2:TGID_Y_EN: 1
; COMPUTE_PGM_RSRC2:TGID_Z_EN: 1
; COMPUTE_PGM_RSRC2:TIDIG_COMP_CNT: 1
	.section	.text._ZL34rocblas_syrkx_herkx_general_kernelIl19rocblas_complex_numIfELi16ELi32ELi8ELb0ELb1ELc78ELc85EKS1_S1_EviT_T0_PT8_S3_lS6_S3_lS4_PT9_S3_li,"axG",@progbits,_ZL34rocblas_syrkx_herkx_general_kernelIl19rocblas_complex_numIfELi16ELi32ELi8ELb0ELb1ELc78ELc85EKS1_S1_EviT_T0_PT8_S3_lS6_S3_lS4_PT9_S3_li,comdat
	.globl	_ZL34rocblas_syrkx_herkx_general_kernelIl19rocblas_complex_numIfELi16ELi32ELi8ELb0ELb1ELc78ELc85EKS1_S1_EviT_T0_PT8_S3_lS6_S3_lS4_PT9_S3_li ; -- Begin function _ZL34rocblas_syrkx_herkx_general_kernelIl19rocblas_complex_numIfELi16ELi32ELi8ELb0ELb1ELc78ELc85EKS1_S1_EviT_T0_PT8_S3_lS6_S3_lS4_PT9_S3_li
	.p2align	8
	.type	_ZL34rocblas_syrkx_herkx_general_kernelIl19rocblas_complex_numIfELi16ELi32ELi8ELb0ELb1ELc78ELc85EKS1_S1_EviT_T0_PT8_S3_lS6_S3_lS4_PT9_S3_li,@function
_ZL34rocblas_syrkx_herkx_general_kernelIl19rocblas_complex_numIfELi16ELi32ELi8ELb0ELb1ELc78ELc85EKS1_S1_EviT_T0_PT8_S3_lS6_S3_lS4_PT9_S3_li: ; @_ZL34rocblas_syrkx_herkx_general_kernelIl19rocblas_complex_numIfELi16ELi32ELi8ELb0ELb1ELc78ELc85EKS1_S1_EviT_T0_PT8_S3_lS6_S3_lS4_PT9_S3_li
; %bb.0:
	s_clause 0x1
	s_load_b512 s[16:31], s[0:1], 0x8
	s_load_b32 s12, s[0:1], 0x0
	v_dual_mov_b32 v20, 0 :: v_dual_mov_b32 v21, 0
	v_dual_mov_b32 v18, 0 :: v_dual_mov_b32 v19, 0
	;; [unrolled: 1-line block ×4, first 2 shown]
	v_and_b32_e32 v6, 0x3ff, v0
	v_bfe_u32 v7, v0, 10, 10
	s_lshl_b32 s13, s13, 5
	s_lshl_b32 s14, s14, 5
	s_waitcnt lgkmcnt(0)
	v_cmp_lt_i64_e64 s2, s[16:17], 1
	s_delay_alu instid0(VALU_DEP_1)
	s_and_b32 vcc_lo, exec_lo, s2
	s_cbranch_vccnz .LBB1305_11
; %bb.1:
	v_lshl_add_u32 v5, v7, 4, v6
	v_and_b32_e32 v8, 7, v6
	v_mov_b32_e32 v0, 0
	s_mul_i32 s3, s25, s15
	s_mul_hi_u32 s4, s24, s15
	v_lshrrev_b32_e32 v9, 5, v5
	v_mad_u64_u32 v[3:4], null, s28, v8, 0
	v_lshrrev_b32_e32 v15, 3, v5
	v_and_b32_e32 v5, 31, v5
	s_delay_alu instid0(VALU_DEP_4) | instskip(SKIP_1) | instid1(VALU_DEP_3)
	v_mad_u64_u32 v[1:2], null, s22, v9, 0
	s_mul_i32 s2, s24, s15
	v_dual_mov_b32 v21, 0 :: v_dual_add_nc_u32 v14, s14, v15
	s_delay_alu instid0(VALU_DEP_3) | instskip(SKIP_1) | instid1(VALU_DEP_3)
	v_mad_u64_u32 v[18:19], null, s29, v8, v[4:5]
	s_add_i32 s3, s4, s3
	v_mad_u64_u32 v[12:13], null, s23, v9, v[2:3]
	v_dual_mov_b32 v19, 0 :: v_dual_lshlrev_b32 v2, 3, v8
	v_lshlrev_b32_e32 v17, 3, v5
	v_or_b32_e32 v13, s13, v5
	s_lshl_b64 s[4:5], s[2:3], 3
	s_delay_alu instid0(VALU_DEP_3) | instskip(SKIP_3) | instid1(VALU_DEP_4)
	v_lshl_or_b32 v15, v15, 6, v2
	v_mov_b32_e32 v2, v12
	v_add_nc_u32_e32 v16, s13, v5
	v_cmp_gt_i32_e32 vcc_lo, s12, v13
	v_dual_mov_b32 v4, v18 :: v_dual_add_nc_u32 v13, 0x800, v15
	s_delay_alu instid0(VALU_DEP_4)
	v_lshlrev_b64 v[1:2], 3, v[1:2]
	s_mul_i32 s6, s31, s15
	v_lshl_or_b32 v12, v9, 8, v17
	v_ashrrev_i32_e32 v17, 31, v16
	v_ashrrev_i32_e32 v15, 31, v14
	v_cmp_gt_i32_e64 s2, s12, v14
	v_add_co_u32 v5, s3, v1, s4
	s_delay_alu instid0(VALU_DEP_1)
	v_add_co_ci_u32_e64 v18, s3, s5, v2, s3
	s_mul_hi_u32 s3, s30, s15
	v_lshlrev_b64 v[1:2], 3, v[3:4]
	s_add_i32 s5, s3, s6
	s_mul_i32 s4, s30, s15
	v_lshlrev_b64 v[3:4], 3, v[16:17]
	s_lshl_b64 s[4:5], s[4:5], 3
	v_lshlrev_b32_e32 v10, 3, v6
	v_add_co_u32 v16, s3, s4, v1
	s_delay_alu instid0(VALU_DEP_1) | instskip(SKIP_2) | instid1(VALU_DEP_1)
	v_add_co_ci_u32_e64 v17, s3, s5, v2, s3
	v_lshlrev_b64 v[1:2], 3, v[14:15]
	v_add_co_u32 v3, s3, v5, v3
	v_add_co_ci_u32_e64 v4, s3, v18, v4, s3
	v_lshl_add_u32 v11, v7, 6, 0x800
	s_delay_alu instid0(VALU_DEP_4) | instskip(NEXT) | instid1(VALU_DEP_1)
	v_add_co_u32 v1, s3, v16, v1
	v_add_co_ci_u32_e64 v5, s3, v17, v2, s3
	v_mov_b32_e32 v17, 0
	v_add_co_u32 v2, s3, s20, v3
	s_delay_alu instid0(VALU_DEP_1) | instskip(SKIP_1) | instid1(VALU_DEP_1)
	v_add_co_ci_u32_e64 v3, s3, s21, v4, s3
	v_add_co_u32 v1, s3, v1, s26
	v_add_co_ci_u32_e64 v5, s3, s27, v5, s3
	v_mov_b32_e32 v15, 0
	s_delay_alu instid0(VALU_DEP_3) | instskip(NEXT) | instid1(VALU_DEP_1)
	v_add_co_u32 v4, s3, v1, 4
	v_add_co_ci_u32_e64 v5, s3, 0, v5, s3
	v_mov_b32_e32 v14, 0
	v_mov_b32_e32 v16, 0
	;; [unrolled: 1-line block ×4, first 2 shown]
	s_lshl_b64 s[4:5], s[22:23], 6
	s_lshl_b64 s[6:7], s[28:29], 6
	s_mov_b64 s[8:9], 0
	s_xor_b32 s3, vcc_lo, -1
	s_xor_b32 s2, s2, -1
	s_branch .LBB1305_3
.LBB1305_2:                             ;   in Loop: Header=BB1305_3 Depth=1
	s_or_b32 exec_lo, exec_lo, s10
	ds_store_b32 v13, v1 offset:4
	s_waitcnt lgkmcnt(0)
	s_barrier
	buffer_gl0_inv
	ds_load_2addr_b64 v[22:25], v10 offset1:16
	ds_load_b128 v[26:29], v11
	ds_load_b128 v[30:33], v11 offset:1024
	ds_load_b128 v[34:37], v11 offset:16
	;; [unrolled: 1-line block ×4, first 2 shown]
	ds_load_2addr_b64 v[46:49], v10 offset0:32 offset1:48
	ds_load_b128 v[50:53], v11 offset:1040
	s_add_u32 s8, s8, 8
	s_addc_u32 s9, s9, 0
	v_add_co_u32 v2, vcc_lo, v2, s4
	v_cmp_ge_i64_e64 s10, s[8:9], s[16:17]
	v_add_co_ci_u32_e32 v3, vcc_lo, s5, v3, vcc_lo
	v_add_co_u32 v4, vcc_lo, v4, s6
	v_add_co_ci_u32_e32 v5, vcc_lo, s7, v5, vcc_lo
	s_delay_alu instid0(VALU_DEP_4)
	s_and_b32 vcc_lo, exec_lo, s10
	s_waitcnt lgkmcnt(6)
	v_dual_mul_f32 v1, v27, v23 :: v_dual_mul_f32 v56, v26, v25
	v_dual_mul_f32 v54, v26, v23 :: v_dual_mul_f32 v55, v27, v25
	s_waitcnt lgkmcnt(5)
	v_mul_f32_e32 v58, v31, v25
	s_delay_alu instid0(VALU_DEP_3) | instskip(SKIP_3) | instid1(VALU_DEP_4)
	v_fma_f32 v1, v26, v22, -v1
	v_dual_mul_f32 v25, v30, v25 :: v_dual_fmac_f32 v56, v27, v24
	v_fmac_f32_e32 v54, v27, v22
	v_fma_f32 v26, v26, v24, -v55
	v_add_f32_e32 v1, v20, v1
	v_mul_f32_e32 v57, v31, v23
	s_delay_alu instid0(VALU_DEP_4) | instskip(SKIP_2) | instid1(VALU_DEP_4)
	v_dual_mul_f32 v23, v30, v23 :: v_dual_add_f32 v20, v21, v54
	v_fmac_f32_e32 v25, v31, v24
	v_dual_add_f32 v21, v18, v26 :: v_dual_add_f32 v26, v19, v56
	v_fma_f32 v27, v30, v22, -v57
	s_delay_alu instid0(VALU_DEP_4) | instskip(SKIP_3) | instid1(VALU_DEP_2)
	v_fmac_f32_e32 v23, v31, v22
	v_fma_f32 v22, v30, v24, -v58
	s_waitcnt lgkmcnt(1)
	v_mul_f32_e32 v30, v29, v47
	v_dual_add_f32 v27, v16, v27 :: v_dual_add_f32 v14, v14, v22
	v_dual_mul_f32 v22, v28, v47 :: v_dual_add_f32 v15, v15, v25
	v_mul_f32_e32 v25, v28, v49
	s_delay_alu instid0(VALU_DEP_4) | instskip(NEXT) | instid1(VALU_DEP_3)
	v_fma_f32 v24, v28, v46, -v30
	v_fmac_f32_e32 v22, v29, v46
	v_add_f32_e32 v23, v17, v23
	ds_load_2addr_b64 v[16:19], v10 offset0:64 offset1:80
	v_mul_f32_e32 v30, v29, v49
	v_fmac_f32_e32 v25, v29, v48
	v_add_f32_e32 v1, v1, v24
	s_delay_alu instid0(VALU_DEP_2) | instskip(SKIP_1) | instid1(VALU_DEP_1)
	v_add_f32_e32 v25, v26, v25
	v_mul_f32_e32 v26, v32, v49
	v_fmac_f32_e32 v26, v33, v48
	s_waitcnt lgkmcnt(0)
	s_delay_alu instid0(VALU_DEP_1) | instskip(SKIP_1) | instid1(VALU_DEP_2)
	v_dual_add_f32 v26, v15, v26 :: v_dual_mul_f32 v29, v34, v17
	v_mul_f32_e32 v15, v34, v19
	v_fmac_f32_e32 v29, v35, v16
	v_fma_f32 v24, v28, v48, -v30
	v_mul_f32_e32 v28, v33, v47
	v_add_f32_e32 v30, v20, v22
	v_mul_f32_e32 v20, v32, v47
	v_mul_f32_e32 v22, v33, v49
	v_add_f32_e32 v24, v21, v24
	v_fma_f32 v21, v32, v46, -v28
	s_delay_alu instid0(VALU_DEP_4) | instskip(SKIP_1) | instid1(VALU_DEP_3)
	v_dual_add_f32 v29, v30, v29 :: v_dual_fmac_f32 v20, v33, v46
	v_fmac_f32_e32 v15, v35, v18
	v_add_f32_e32 v27, v27, v21
	v_fma_f32 v21, v32, v48, -v22
	v_mul_f32_e32 v22, v35, v17
	v_mul_f32_e32 v32, v35, v19
	v_add_f32_e32 v28, v23, v20
	s_delay_alu instid0(VALU_DEP_4) | instskip(NEXT) | instid1(VALU_DEP_4)
	v_add_f32_e32 v14, v14, v21
	v_fma_f32 v31, v34, v16, -v22
	ds_load_2addr_b64 v[20:23], v10 offset0:96 offset1:112
	v_add_f32_e32 v1, v1, v31
	v_fma_f32 v31, v34, v18, -v32
	s_delay_alu instid0(VALU_DEP_1) | instskip(SKIP_3) | instid1(VALU_DEP_3)
	v_add_f32_e32 v24, v24, v31
	v_mul_f32_e32 v31, v51, v19
	v_mul_f32_e32 v19, v50, v19
	v_add_f32_e32 v32, v25, v15
	v_fma_f32 v15, v50, v18, -v31
	s_delay_alu instid0(VALU_DEP_3)
	v_fmac_f32_e32 v19, v51, v18
	v_mul_f32_e32 v30, v51, v17
	v_mul_f32_e32 v17, v50, v17
	s_waitcnt lgkmcnt(0)
	v_dual_mul_f32 v18, v37, v21 :: v_dual_add_f32 v31, v14, v15
	v_add_f32_e32 v33, v26, v19
	v_fma_f32 v30, v50, v16, -v30
	v_fmac_f32_e32 v17, v51, v16
	s_delay_alu instid0(VALU_DEP_4) | instskip(SKIP_1) | instid1(VALU_DEP_4)
	v_fma_f32 v18, v36, v20, -v18
	v_mul_f32_e32 v25, v36, v21
	v_dual_mul_f32 v19, v36, v23 :: v_dual_add_f32 v30, v27, v30
	s_delay_alu instid0(VALU_DEP_4) | instskip(SKIP_4) | instid1(VALU_DEP_2)
	v_add_f32_e32 v28, v28, v17
	ds_load_2addr_b64 v[14:17], v10 offset0:128 offset1:144
	v_add_f32_e32 v1, v1, v18
	v_mul_f32_e32 v18, v53, v21
	v_fmac_f32_e32 v19, v37, v22
	v_fma_f32 v18, v52, v20, -v18
	v_mul_f32_e32 v27, v37, v23
	s_delay_alu instid0(VALU_DEP_1) | instskip(NEXT) | instid1(VALU_DEP_3)
	v_fma_f32 v26, v36, v22, -v27
	v_add_f32_e32 v36, v30, v18
	s_waitcnt lgkmcnt(0)
	s_delay_alu instid0(VALU_DEP_2) | instskip(SKIP_2) | instid1(VALU_DEP_3)
	v_dual_add_f32 v35, v24, v26 :: v_dual_mul_f32 v46, v38, v15
	v_dual_fmac_f32 v25, v37, v20 :: v_dual_add_f32 v32, v32, v19
	v_mul_f32_e32 v18, v39, v15
	v_fmac_f32_e32 v46, v39, v14
	s_delay_alu instid0(VALU_DEP_3)
	v_add_f32_e32 v34, v29, v25
	v_mul_f32_e32 v29, v53, v23
	v_mul_f32_e32 v23, v52, v23
	ds_load_b128 v[24:27], v11 offset:1056
	v_add_f32_e32 v34, v34, v46
	v_fma_f32 v19, v52, v22, -v29
	v_mul_f32_e32 v21, v52, v21
	v_fmac_f32_e32 v23, v53, v22
	v_mul_f32_e32 v29, v39, v17
	s_delay_alu instid0(VALU_DEP_3) | instskip(NEXT) | instid1(VALU_DEP_3)
	v_dual_add_f32 v22, v31, v19 :: v_dual_fmac_f32 v21, v53, v20
	v_add_f32_e32 v23, v33, v23
	s_delay_alu instid0(VALU_DEP_2) | instskip(SKIP_4) | instid1(VALU_DEP_2)
	v_add_f32_e32 v37, v28, v21
	v_fma_f32 v28, v38, v14, -v18
	ds_load_2addr_b64 v[18:21], v10 offset0:160 offset1:176
	v_mul_f32_e32 v33, v38, v17
	v_fma_f32 v38, v38, v16, -v29
	v_fmac_f32_e32 v33, v39, v16
	s_delay_alu instid0(VALU_DEP_1)
	v_dual_add_f32 v35, v35, v38 :: v_dual_add_f32 v32, v32, v33
	v_add_f32_e32 v1, v1, v28
	ds_load_b128 v[28:31], v11 offset:1072
	s_waitcnt lgkmcnt(2)
	v_mul_f32_e32 v47, v25, v15
	v_mul_f32_e32 v15, v24, v15
	;; [unrolled: 1-line block ×4, first 2 shown]
	s_delay_alu instid0(VALU_DEP_4) | instskip(NEXT) | instid1(VALU_DEP_4)
	v_fma_f32 v38, v24, v14, -v47
	v_fmac_f32_e32 v15, v25, v14
	s_delay_alu instid0(VALU_DEP_4)
	v_fma_f32 v14, v24, v16, -v39
	s_waitcnt lgkmcnt(1)
	v_mul_f32_e32 v17, v41, v19
	v_dual_fmac_f32 v33, v25, v16 :: v_dual_add_f32 v36, v36, v38
	v_add_f32_e32 v24, v37, v15
	v_add_f32_e32 v22, v22, v14
	s_delay_alu instid0(VALU_DEP_4) | instskip(SKIP_2) | instid1(VALU_DEP_1)
	v_fma_f32 v37, v40, v18, -v17
	ds_load_2addr_b64 v[14:17], v10 offset0:192 offset1:208
	v_dual_mul_f32 v25, v40, v19 :: v_dual_mul_f32 v38, v41, v21
	v_fmac_f32_e32 v25, v41, v18
	s_delay_alu instid0(VALU_DEP_1) | instskip(SKIP_4) | instid1(VALU_DEP_3)
	v_add_f32_e32 v34, v34, v25
	v_add_f32_e32 v33, v23, v33
	v_mul_f32_e32 v23, v40, v21
	v_mul_f32_e32 v25, v27, v19
	;; [unrolled: 1-line block ×3, first 2 shown]
	v_fmac_f32_e32 v23, v41, v20
	s_delay_alu instid0(VALU_DEP_3) | instskip(NEXT) | instid1(VALU_DEP_2)
	v_fma_f32 v25, v26, v18, -v25
	v_dual_fmac_f32 v19, v27, v18 :: v_dual_add_f32 v18, v32, v23
	s_waitcnt lgkmcnt(0)
	v_dual_mul_f32 v32, v43, v15 :: v_dual_add_f32 v1, v1, v37
	v_fma_f32 v37, v40, v20, -v38
	s_delay_alu instid0(VALU_DEP_3) | instskip(NEXT) | instid1(VALU_DEP_3)
	v_add_f32_e32 v19, v24, v19
	v_fma_f32 v32, v42, v14, -v32
	s_delay_alu instid0(VALU_DEP_1) | instskip(NEXT) | instid1(VALU_DEP_4)
	v_add_f32_e32 v1, v1, v32
	v_add_f32_e32 v35, v35, v37
	v_mul_f32_e32 v37, v27, v21
	v_dual_mul_f32 v21, v26, v21 :: v_dual_mul_f32 v32, v29, v15
	s_delay_alu instid0(VALU_DEP_2) | instskip(NEXT) | instid1(VALU_DEP_2)
	v_fma_f32 v23, v26, v20, -v37
	v_dual_add_f32 v26, v36, v25 :: v_dual_fmac_f32 v21, v27, v20
	v_mul_f32_e32 v27, v42, v15
	v_mul_f32_e32 v15, v28, v15
	s_delay_alu instid0(VALU_DEP_4)
	v_add_f32_e32 v20, v22, v23
	ds_load_2addr_b64 v[22:25], v10 offset0:224 offset1:240
	v_fma_f32 v32, v28, v14, -v32
	v_dual_fmac_f32 v27, v43, v14 :: v_dual_mul_f32 v36, v42, v17
	v_fmac_f32_e32 v15, v29, v14
	s_waitcnt lgkmcnt(0)
	s_delay_alu instid0(VALU_DEP_3) | instskip(NEXT) | instid1(VALU_DEP_3)
	v_add_f32_e32 v14, v26, v32
	v_dual_add_f32 v27, v34, v27 :: v_dual_fmac_f32 v36, v43, v16
	s_delay_alu instid0(VALU_DEP_3)
	v_dual_mul_f32 v34, v29, v17 :: v_dual_add_f32 v15, v19, v15
	s_barrier
	buffer_gl0_inv
	v_mul_f32_e32 v26, v45, v23
	v_add_f32_e32 v21, v33, v21
	v_mul_f32_e32 v33, v43, v17
	v_mul_f32_e32 v17, v28, v17
	v_mul_f32_e32 v19, v44, v25
	s_delay_alu instid0(VALU_DEP_3) | instskip(NEXT) | instid1(VALU_DEP_3)
	v_fma_f32 v33, v42, v16, -v33
	v_fmac_f32_e32 v17, v29, v16
	s_delay_alu instid0(VALU_DEP_3) | instskip(NEXT) | instid1(VALU_DEP_3)
	v_fmac_f32_e32 v19, v45, v24
	v_add_f32_e32 v33, v35, v33
	v_add_f32_e32 v35, v18, v36
	v_fma_f32 v18, v28, v16, -v34
	v_fma_f32 v16, v44, v22, -v26
	v_mul_f32_e32 v28, v44, v23
	v_dual_add_f32 v26, v21, v17 :: v_dual_mul_f32 v17, v30, v23
	s_delay_alu instid0(VALU_DEP_4) | instskip(NEXT) | instid1(VALU_DEP_4)
	v_dual_add_f32 v29, v20, v18 :: v_dual_mul_f32 v18, v45, v25
	v_add_f32_e32 v20, v1, v16
	v_mul_f32_e32 v16, v31, v23
	v_mul_f32_e32 v23, v31, v25
	;; [unrolled: 1-line block ×3, first 2 shown]
	v_fma_f32 v1, v44, v24, -v18
	v_fmac_f32_e32 v28, v45, v22
	v_fmac_f32_e32 v17, v31, v22
	v_add_f32_e32 v19, v35, v19
	s_delay_alu instid0(VALU_DEP_4)
	v_dual_fmac_f32 v25, v31, v24 :: v_dual_add_f32 v18, v33, v1
	v_fma_f32 v1, v30, v22, -v16
	v_fma_f32 v22, v30, v24, -v23
	v_add_f32_e32 v21, v27, v28
	v_add_f32_e32 v17, v15, v17
	v_add_f32_e32 v15, v26, v25
	v_add_f32_e32 v16, v14, v1
	v_add_f32_e32 v14, v29, v22
	s_cbranch_vccnz .LBB1305_11
.LBB1305_3:                             ; =>This Inner Loop Header: Depth=1
	v_add_co_u32 v22, s10, v9, s8
	s_delay_alu instid0(VALU_DEP_1) | instskip(NEXT) | instid1(VALU_DEP_1)
	v_add_co_ci_u32_e64 v23, null, 0, s9, s10
	v_cmp_le_i64_e32 vcc_lo, s[16:17], v[22:23]
	s_or_b32 s10, s3, vcc_lo
	s_delay_alu instid0(SALU_CYCLE_1) | instskip(NEXT) | instid1(SALU_CYCLE_1)
	s_and_saveexec_b32 s11, s10
	s_xor_b32 s10, exec_lo, s11
	s_cbranch_execz .LBB1305_5
; %bb.4:                                ;   in Loop: Header=BB1305_3 Depth=1
	v_mov_b32_e32 v1, v0
	ds_store_b64 v12, v[0:1]
.LBB1305_5:                             ;   in Loop: Header=BB1305_3 Depth=1
	s_and_not1_saveexec_b32 s10, s10
	s_cbranch_execz .LBB1305_7
; %bb.6:                                ;   in Loop: Header=BB1305_3 Depth=1
	global_load_b64 v[22:23], v[2:3], off
	s_waitcnt vmcnt(0)
	ds_store_b64 v12, v[22:23]
.LBB1305_7:                             ;   in Loop: Header=BB1305_3 Depth=1
	s_or_b32 exec_lo, exec_lo, s10
	v_add_co_u32 v22, s10, v8, s8
	s_delay_alu instid0(VALU_DEP_1) | instskip(NEXT) | instid1(VALU_DEP_1)
	v_add_co_ci_u32_e64 v23, null, 0, s9, s10
                                        ; implicit-def: $sgpr11
	v_cmp_le_i64_e32 vcc_lo, s[16:17], v[22:23]
	s_or_b32 s10, vcc_lo, s2
	s_delay_alu instid0(SALU_CYCLE_1) | instskip(NEXT) | instid1(SALU_CYCLE_1)
	s_and_saveexec_b32 s20, s10
	s_xor_b32 s10, exec_lo, s20
	s_cbranch_execz .LBB1305_9
; %bb.8:                                ;   in Loop: Header=BB1305_3 Depth=1
	s_mov_b32 s11, 0
	ds_store_b32 v13, v0
.LBB1305_9:                             ;   in Loop: Header=BB1305_3 Depth=1
	s_or_saveexec_b32 s10, s10
	v_mov_b32_e32 v1, s11
	s_xor_b32 exec_lo, exec_lo, s10
	s_cbranch_execz .LBB1305_2
; %bb.10:                               ;   in Loop: Header=BB1305_3 Depth=1
	global_load_b64 v[22:23], v[4:5], off offset:-4
	s_waitcnt vmcnt(0)
	v_xor_b32_e32 v1, 0x80000000, v23
	ds_store_b32 v13, v22
	s_branch .LBB1305_2
.LBB1305_11:
	s_load_b256 s[4:11], s[0:1], 0x48
	v_add_nc_u32_e32 v5, s14, v7
	s_delay_alu instid0(VALU_DEP_1)
	v_ashrrev_i32_e32 v0, 31, v5
	v_cmp_gt_i32_e32 vcc_lo, s12, v5
	s_waitcnt lgkmcnt(0)
	v_mul_lo_u32 v3, v5, s9
	v_mad_u64_u32 v[1:2], null, v5, s8, 0
	v_mul_lo_u32 v0, v0, s8
	s_mul_i32 s1, s15, s11
	s_mul_hi_u32 s2, s15, s10
	s_mul_i32 s0, s15, s10
	s_add_i32 s1, s2, s1
	s_delay_alu instid0(SALU_CYCLE_1) | instskip(NEXT) | instid1(VALU_DEP_1)
	s_lshl_b64 s[2:3], s[0:1], 3
	v_add3_u32 v2, v2, v3, v0
	v_add_nc_u32_e32 v0, s13, v6
	s_add_u32 s2, s6, s2
	s_addc_u32 s3, s7, s3
	s_delay_alu instid0(VALU_DEP_2) | instskip(NEXT) | instid1(VALU_DEP_2)
	v_lshlrev_b64 v[1:2], 3, v[1:2]
	v_cmp_le_i32_e64 s0, v0, v5
	s_delay_alu instid0(VALU_DEP_1) | instskip(NEXT) | instid1(VALU_DEP_2)
	s_and_b32 s0, vcc_lo, s0
	v_add_co_u32 v4, s1, s2, v1
	s_delay_alu instid0(VALU_DEP_1)
	v_add_co_ci_u32_e64 v6, s1, s3, v2, s1
	s_and_saveexec_b32 s1, s0
	s_cbranch_execz .LBB1305_14
; %bb.12:
	v_ashrrev_i32_e32 v1, 31, v0
	s_delay_alu instid0(VALU_DEP_1) | instskip(NEXT) | instid1(VALU_DEP_1)
	v_lshlrev_b64 v[1:2], 3, v[0:1]
	v_add_co_u32 v1, s0, v4, v1
	s_delay_alu instid0(VALU_DEP_1)
	v_add_co_ci_u32_e64 v2, s0, v6, v2, s0
	v_cmp_eq_u32_e64 s0, v5, v0
	global_load_b64 v[7:8], v[1:2], off
	v_mul_f32_e32 v3, s19, v21
	s_waitcnt vmcnt(0)
	v_dual_mul_f32 v9, s18, v21 :: v_dual_mul_f32 v10, s5, v8
	v_mul_f32_e32 v8, s4, v8
	s_delay_alu instid0(VALU_DEP_3) | instskip(NEXT) | instid1(VALU_DEP_3)
	v_fma_f32 v3, v20, s18, -v3
	v_fmac_f32_e32 v9, s19, v20
	s_delay_alu instid0(VALU_DEP_4) | instskip(NEXT) | instid1(VALU_DEP_1)
	v_fma_f32 v10, v7, s4, -v10
	v_dual_fmac_f32 v8, s5, v7 :: v_dual_add_f32 v7, v3, v10
	s_delay_alu instid0(VALU_DEP_1)
	v_add_f32_e32 v8, v9, v8
	global_store_b64 v[1:2], v[7:8], off
	s_and_b32 exec_lo, exec_lo, s0
	s_cbranch_execz .LBB1305_14
; %bb.13:
	v_mov_b32_e32 v3, 0
	global_store_b32 v[1:2], v3, off offset:4
.LBB1305_14:
	s_or_b32 exec_lo, exec_lo, s1
	v_add_nc_u32_e32 v2, 16, v0
	s_delay_alu instid0(VALU_DEP_1) | instskip(NEXT) | instid1(VALU_DEP_1)
	v_cmp_le_i32_e64 s0, v2, v5
	s_and_b32 s1, vcc_lo, s0
	s_delay_alu instid0(SALU_CYCLE_1)
	s_and_saveexec_b32 s0, s1
	s_cbranch_execz .LBB1305_17
; %bb.15:
	v_ashrrev_i32_e32 v3, 31, v2
	s_delay_alu instid0(VALU_DEP_1) | instskip(NEXT) | instid1(VALU_DEP_1)
	v_lshlrev_b64 v[7:8], 3, v[2:3]
	v_add_co_u32 v3, vcc_lo, v4, v7
	s_delay_alu instid0(VALU_DEP_2) | instskip(SKIP_4) | instid1(VALU_DEP_1)
	v_add_co_ci_u32_e32 v4, vcc_lo, v6, v8, vcc_lo
	v_cmp_eq_u32_e32 vcc_lo, v5, v2
	global_load_b64 v[6:7], v[3:4], off
	s_waitcnt vmcnt(0)
	v_mul_f32_e32 v9, s5, v7
	v_fma_f32 v9, v6, s4, -v9
	v_mul_f32_e32 v7, s4, v7
	s_delay_alu instid0(VALU_DEP_1) | instskip(NEXT) | instid1(VALU_DEP_1)
	v_dual_mul_f32 v8, s18, v19 :: v_dual_fmac_f32 v7, s5, v6
	v_dual_mul_f32 v1, s19, v19 :: v_dual_fmac_f32 v8, s19, v18
	s_delay_alu instid0(VALU_DEP_1) | instskip(NEXT) | instid1(VALU_DEP_1)
	v_fma_f32 v1, v18, s18, -v1
	v_dual_add_f32 v7, v8, v7 :: v_dual_add_f32 v6, v1, v9
	global_store_b64 v[3:4], v[6:7], off
	s_and_b32 exec_lo, exec_lo, vcc_lo
	s_cbranch_execz .LBB1305_17
; %bb.16:
	v_mov_b32_e32 v1, 0
	global_store_b32 v[3:4], v1, off offset:4
.LBB1305_17:
	s_or_b32 exec_lo, exec_lo, s0
	v_add_nc_u32_e32 v8, 16, v5
	s_delay_alu instid0(VALU_DEP_1) | instskip(SKIP_3) | instid1(VALU_DEP_4)
	v_ashrrev_i32_e32 v1, 31, v8
	v_mul_lo_u32 v6, v8, s9
	v_mad_u64_u32 v[3:4], null, v8, s8, 0
	v_cmp_gt_i32_e32 vcc_lo, s12, v8
	v_mul_lo_u32 v1, v1, s8
	v_cmp_le_i32_e64 s0, v0, v8
	s_delay_alu instid0(VALU_DEP_1) | instskip(NEXT) | instid1(VALU_DEP_2)
	s_and_b32 s0, vcc_lo, s0
	v_add3_u32 v4, v4, v6, v1
	s_delay_alu instid0(VALU_DEP_1) | instskip(NEXT) | instid1(VALU_DEP_1)
	v_lshlrev_b64 v[3:4], 3, v[3:4]
	v_add_co_u32 v6, s1, s2, v3
	s_delay_alu instid0(VALU_DEP_1)
	v_add_co_ci_u32_e64 v7, s1, s3, v4, s1
	s_and_saveexec_b32 s1, s0
	s_cbranch_execz .LBB1305_20
; %bb.18:
	v_ashrrev_i32_e32 v1, 31, v0
	s_delay_alu instid0(VALU_DEP_1) | instskip(NEXT) | instid1(VALU_DEP_1)
	v_lshlrev_b64 v[3:4], 3, v[0:1]
	v_add_co_u32 v3, s0, v6, v3
	s_delay_alu instid0(VALU_DEP_1)
	v_add_co_ci_u32_e64 v4, s0, v7, v4, s0
	v_cmp_eq_u32_e64 s0, v8, v0
	global_load_b64 v[9:10], v[3:4], off
	v_mul_f32_e32 v1, s19, v17
	s_waitcnt vmcnt(0)
	v_dual_mul_f32 v11, s18, v17 :: v_dual_mul_f32 v12, s5, v10
	v_mul_f32_e32 v10, s4, v10
	s_delay_alu instid0(VALU_DEP_3) | instskip(NEXT) | instid1(VALU_DEP_3)
	v_fma_f32 v1, v16, s18, -v1
	v_fmac_f32_e32 v11, s19, v16
	s_delay_alu instid0(VALU_DEP_4) | instskip(NEXT) | instid1(VALU_DEP_1)
	v_fma_f32 v12, v9, s4, -v12
	v_dual_fmac_f32 v10, s5, v9 :: v_dual_add_f32 v9, v1, v12
	s_delay_alu instid0(VALU_DEP_1)
	v_add_f32_e32 v10, v11, v10
	global_store_b64 v[3:4], v[9:10], off
	s_and_b32 exec_lo, exec_lo, s0
	s_cbranch_execz .LBB1305_20
; %bb.19:
	v_mov_b32_e32 v1, 0
	global_store_b32 v[3:4], v1, off offset:4
.LBB1305_20:
	s_or_b32 exec_lo, exec_lo, s1
	v_cmp_le_i32_e64 s0, v2, v8
	s_delay_alu instid0(VALU_DEP_1) | instskip(NEXT) | instid1(SALU_CYCLE_1)
	s_and_b32 s0, vcc_lo, s0
	s_and_saveexec_b32 s1, s0
	s_cbranch_execz .LBB1305_23
; %bb.21:
	v_ashrrev_i32_e32 v3, 31, v2
	s_delay_alu instid0(VALU_DEP_1) | instskip(NEXT) | instid1(VALU_DEP_1)
	v_lshlrev_b64 v[1:2], 3, v[2:3]
	v_add_co_u32 v1, vcc_lo, v6, v1
	s_delay_alu instid0(VALU_DEP_2) | instskip(SKIP_4) | instid1(VALU_DEP_1)
	v_add_co_ci_u32_e32 v2, vcc_lo, v7, v2, vcc_lo
	v_cmp_eq_u32_e32 vcc_lo, v5, v0
	global_load_b64 v[3:4], v[1:2], off
	s_waitcnt vmcnt(0)
	v_dual_mul_f32 v7, s18, v15 :: v_dual_mul_f32 v8, s5, v4
	v_dual_mul_f32 v6, s19, v15 :: v_dual_fmac_f32 v7, s19, v14
	v_mul_f32_e32 v4, s4, v4
	s_delay_alu instid0(VALU_DEP_3) | instskip(NEXT) | instid1(VALU_DEP_3)
	v_fma_f32 v8, v3, s4, -v8
	v_fma_f32 v6, v14, s18, -v6
	s_delay_alu instid0(VALU_DEP_1) | instskip(NEXT) | instid1(VALU_DEP_1)
	v_dual_fmac_f32 v4, s5, v3 :: v_dual_add_f32 v3, v6, v8
	v_add_f32_e32 v4, v7, v4
	global_store_b64 v[1:2], v[3:4], off
	s_and_b32 exec_lo, exec_lo, vcc_lo
	s_cbranch_execz .LBB1305_23
; %bb.22:
	v_mov_b32_e32 v0, 0
	global_store_b32 v[1:2], v0, off offset:4
.LBB1305_23:
	s_nop 0
	s_sendmsg sendmsg(MSG_DEALLOC_VGPRS)
	s_endpgm
	.section	.rodata,"a",@progbits
	.p2align	6, 0x0
	.amdhsa_kernel _ZL34rocblas_syrkx_herkx_general_kernelIl19rocblas_complex_numIfELi16ELi32ELi8ELb0ELb1ELc78ELc85EKS1_S1_EviT_T0_PT8_S3_lS6_S3_lS4_PT9_S3_li
		.amdhsa_group_segment_fixed_size 4096
		.amdhsa_private_segment_fixed_size 0
		.amdhsa_kernarg_size 108
		.amdhsa_user_sgpr_count 13
		.amdhsa_user_sgpr_dispatch_ptr 0
		.amdhsa_user_sgpr_queue_ptr 0
		.amdhsa_user_sgpr_kernarg_segment_ptr 1
		.amdhsa_user_sgpr_dispatch_id 0
		.amdhsa_user_sgpr_private_segment_size 0
		.amdhsa_wavefront_size32 1
		.amdhsa_uses_dynamic_stack 0
		.amdhsa_enable_private_segment 0
		.amdhsa_system_sgpr_workgroup_id_x 1
		.amdhsa_system_sgpr_workgroup_id_y 1
		.amdhsa_system_sgpr_workgroup_id_z 1
		.amdhsa_system_sgpr_workgroup_info 0
		.amdhsa_system_vgpr_workitem_id 1
		.amdhsa_next_free_vgpr 59
		.amdhsa_next_free_sgpr 32
		.amdhsa_reserve_vcc 1
		.amdhsa_float_round_mode_32 0
		.amdhsa_float_round_mode_16_64 0
		.amdhsa_float_denorm_mode_32 3
		.amdhsa_float_denorm_mode_16_64 3
		.amdhsa_dx10_clamp 1
		.amdhsa_ieee_mode 1
		.amdhsa_fp16_overflow 0
		.amdhsa_workgroup_processor_mode 1
		.amdhsa_memory_ordered 1
		.amdhsa_forward_progress 0
		.amdhsa_shared_vgpr_count 0
		.amdhsa_exception_fp_ieee_invalid_op 0
		.amdhsa_exception_fp_denorm_src 0
		.amdhsa_exception_fp_ieee_div_zero 0
		.amdhsa_exception_fp_ieee_overflow 0
		.amdhsa_exception_fp_ieee_underflow 0
		.amdhsa_exception_fp_ieee_inexact 0
		.amdhsa_exception_int_div_zero 0
	.end_amdhsa_kernel
	.section	.text._ZL34rocblas_syrkx_herkx_general_kernelIl19rocblas_complex_numIfELi16ELi32ELi8ELb0ELb1ELc78ELc85EKS1_S1_EviT_T0_PT8_S3_lS6_S3_lS4_PT9_S3_li,"axG",@progbits,_ZL34rocblas_syrkx_herkx_general_kernelIl19rocblas_complex_numIfELi16ELi32ELi8ELb0ELb1ELc78ELc85EKS1_S1_EviT_T0_PT8_S3_lS6_S3_lS4_PT9_S3_li,comdat
.Lfunc_end1305:
	.size	_ZL34rocblas_syrkx_herkx_general_kernelIl19rocblas_complex_numIfELi16ELi32ELi8ELb0ELb1ELc78ELc85EKS1_S1_EviT_T0_PT8_S3_lS6_S3_lS4_PT9_S3_li, .Lfunc_end1305-_ZL34rocblas_syrkx_herkx_general_kernelIl19rocblas_complex_numIfELi16ELi32ELi8ELb0ELb1ELc78ELc85EKS1_S1_EviT_T0_PT8_S3_lS6_S3_lS4_PT9_S3_li
                                        ; -- End function
	.section	.AMDGPU.csdata,"",@progbits
; Kernel info:
; codeLenInByte = 2892
; NumSgprs: 34
; NumVgprs: 59
; ScratchSize: 0
; MemoryBound: 1
; FloatMode: 240
; IeeeMode: 1
; LDSByteSize: 4096 bytes/workgroup (compile time only)
; SGPRBlocks: 4
; VGPRBlocks: 7
; NumSGPRsForWavesPerEU: 34
; NumVGPRsForWavesPerEU: 59
; Occupancy: 16
; WaveLimiterHint : 0
; COMPUTE_PGM_RSRC2:SCRATCH_EN: 0
; COMPUTE_PGM_RSRC2:USER_SGPR: 13
; COMPUTE_PGM_RSRC2:TRAP_HANDLER: 0
; COMPUTE_PGM_RSRC2:TGID_X_EN: 1
; COMPUTE_PGM_RSRC2:TGID_Y_EN: 1
; COMPUTE_PGM_RSRC2:TGID_Z_EN: 1
; COMPUTE_PGM_RSRC2:TIDIG_COMP_CNT: 1
	.section	.text._ZL26rocblas_syr2k_scale_kernelIlLi128ELi8ELb1E19rocblas_complex_numIfES1_PS1_EvbiT_T3_T4_T5_S3_li,"axG",@progbits,_ZL26rocblas_syr2k_scale_kernelIlLi128ELi8ELb1E19rocblas_complex_numIfES1_PS1_EvbiT_T3_T4_T5_S3_li,comdat
	.globl	_ZL26rocblas_syr2k_scale_kernelIlLi128ELi8ELb1E19rocblas_complex_numIfES1_PS1_EvbiT_T3_T4_T5_S3_li ; -- Begin function _ZL26rocblas_syr2k_scale_kernelIlLi128ELi8ELb1E19rocblas_complex_numIfES1_PS1_EvbiT_T3_T4_T5_S3_li
	.p2align	8
	.type	_ZL26rocblas_syr2k_scale_kernelIlLi128ELi8ELb1E19rocblas_complex_numIfES1_PS1_EvbiT_T3_T4_T5_S3_li,@function
_ZL26rocblas_syr2k_scale_kernelIlLi128ELi8ELb1E19rocblas_complex_numIfES1_PS1_EvbiT_T3_T4_T5_S3_li: ; @_ZL26rocblas_syr2k_scale_kernelIlLi128ELi8ELb1E19rocblas_complex_numIfES1_PS1_EvbiT_T3_T4_T5_S3_li
; %bb.0:
	s_load_b128 s[4:7], s[0:1], 0x10
	s_waitcnt lgkmcnt(0)
	v_cmp_eq_f32_e64 s2, s6, 1.0
	v_cmp_eq_f32_e64 s3, s7, 0
	s_delay_alu instid0(VALU_DEP_1)
	s_and_b32 s3, s2, s3
	s_mov_b32 s2, 0
	s_and_not1_b32 vcc_lo, exec_lo, s3
	s_mov_b32 s3, -1
	s_cbranch_vccnz .LBB1306_4
; %bb.1:
	s_load_b64 s[8:9], s[0:1], 0x8
	s_waitcnt lgkmcnt(0)
	s_cmp_lg_u64 s[8:9], 0
	s_cbranch_scc0 .LBB1306_3
; %bb.2:
	v_cmp_neq_f32_e64 s2, s4, 0
	v_cmp_neq_f32_e64 s3, s5, 0
	s_delay_alu instid0(VALU_DEP_1)
	s_or_b32 s2, s2, s3
.LBB1306_3:
	s_delay_alu instid0(SALU_CYCLE_1)
	s_mov_b32 s3, s2
.LBB1306_4:
	s_delay_alu instid0(SALU_CYCLE_1)
	s_and_b32 vcc_lo, exec_lo, s3
	s_cbranch_vccz .LBB1306_9
; %bb.5:
	s_clause 0x1
	s_load_b64 s[2:3], s[0:1], 0x0
	s_load_b32 s4, s[0:1], 0x4c
	v_and_b32_e32 v2, 0x3ff, v0
	v_bfe_u32 v4, v0, 10, 10
	s_waitcnt lgkmcnt(0)
	s_bitcmp1_b32 s2, 0
	s_cselect_b32 vcc_lo, -1, 0
	s_lshr_b32 s2, s4, 16
	s_and_b32 s4, s4, 0xffff
	s_delay_alu instid0(SALU_CYCLE_1) | instskip(SKIP_1) | instid1(VALU_DEP_1)
	v_mad_u64_u32 v[0:1], null, s13, s4, v[2:3]
	v_mad_u64_u32 v[2:3], null, s14, s2, v[4:5]
	v_dual_cndmask_b32 v1, v2, v0 :: v_dual_cndmask_b32 v4, v0, v2
	v_max_u32_e32 v3, v0, v2
	s_delay_alu instid0(VALU_DEP_2) | instskip(NEXT) | instid1(VALU_DEP_2)
	v_cmp_le_i32_e64 s2, v1, v4
	v_cmp_gt_u32_e32 vcc_lo, s3, v3
	s_delay_alu instid0(VALU_DEP_2) | instskip(NEXT) | instid1(SALU_CYCLE_1)
	s_and_b32 s2, vcc_lo, s2
	s_and_saveexec_b32 s3, s2
	s_cbranch_execz .LBB1306_9
; %bb.6:
	s_clause 0x1
	s_load_b128 s[8:11], s[0:1], 0x20
	s_load_b64 s[0:1], s[0:1], 0x30
	s_waitcnt lgkmcnt(0)
	v_mad_u64_u32 v[3:4], null, v2, s10, 0
	s_mul_i32 s1, s15, s1
	s_mul_hi_u32 s2, s15, s0
	s_mul_i32 s0, s15, s0
	s_add_i32 s1, s2, s1
	s_delay_alu instid0(SALU_CYCLE_1) | instskip(NEXT) | instid1(VALU_DEP_1)
	s_lshl_b64 s[0:1], s[0:1], 3
	v_mov_b32_e32 v1, v4
	s_add_u32 s0, s8, s0
	s_addc_u32 s1, s9, s1
	s_or_b32 s2, s6, s7
	s_delay_alu instid0(SALU_CYCLE_1) | instskip(SKIP_3) | instid1(VALU_DEP_1)
	s_bitset0_b32 s2, 31
	v_mad_u64_u32 v[4:5], null, v2, s11, v[1:2]
	v_mov_b32_e32 v1, 0
	s_cmp_eq_u32 s2, 0
	v_lshlrev_b64 v[5:6], 3, v[0:1]
	s_delay_alu instid0(VALU_DEP_3) | instskip(NEXT) | instid1(VALU_DEP_1)
	v_lshlrev_b64 v[3:4], 3, v[3:4]
	v_add_co_u32 v3, vcc_lo, s0, v3
	s_delay_alu instid0(VALU_DEP_2) | instskip(NEXT) | instid1(VALU_DEP_2)
	v_add_co_ci_u32_e32 v4, vcc_lo, s1, v4, vcc_lo
	v_add_co_u32 v3, vcc_lo, v3, v5
	s_delay_alu instid0(VALU_DEP_2)
	v_add_co_ci_u32_e32 v4, vcc_lo, v4, v6, vcc_lo
	v_mov_b32_e32 v5, v1
	s_cbranch_scc1 .LBB1306_8
; %bb.7:
	global_load_b64 v[6:7], v[3:4], off
	s_waitcnt vmcnt(0)
	v_mul_f32_e32 v1, s7, v7
	v_mul_f32_e32 v5, s6, v7
	s_delay_alu instid0(VALU_DEP_2) | instskip(NEXT) | instid1(VALU_DEP_2)
	v_fma_f32 v1, v6, s6, -v1
	v_fmac_f32_e32 v5, s7, v6
.LBB1306_8:
	v_cmp_ne_u32_e32 vcc_lo, v0, v2
	s_delay_alu instid0(VALU_DEP_2)
	v_cndmask_b32_e32 v2, 0, v5, vcc_lo
	global_store_b64 v[3:4], v[1:2], off
.LBB1306_9:
	s_nop 0
	s_sendmsg sendmsg(MSG_DEALLOC_VGPRS)
	s_endpgm
	.section	.rodata,"a",@progbits
	.p2align	6, 0x0
	.amdhsa_kernel _ZL26rocblas_syr2k_scale_kernelIlLi128ELi8ELb1E19rocblas_complex_numIfES1_PS1_EvbiT_T3_T4_T5_S3_li
		.amdhsa_group_segment_fixed_size 0
		.amdhsa_private_segment_fixed_size 0
		.amdhsa_kernarg_size 320
		.amdhsa_user_sgpr_count 13
		.amdhsa_user_sgpr_dispatch_ptr 0
		.amdhsa_user_sgpr_queue_ptr 0
		.amdhsa_user_sgpr_kernarg_segment_ptr 1
		.amdhsa_user_sgpr_dispatch_id 0
		.amdhsa_user_sgpr_private_segment_size 0
		.amdhsa_wavefront_size32 1
		.amdhsa_uses_dynamic_stack 0
		.amdhsa_enable_private_segment 0
		.amdhsa_system_sgpr_workgroup_id_x 1
		.amdhsa_system_sgpr_workgroup_id_y 1
		.amdhsa_system_sgpr_workgroup_id_z 1
		.amdhsa_system_sgpr_workgroup_info 0
		.amdhsa_system_vgpr_workitem_id 1
		.amdhsa_next_free_vgpr 8
		.amdhsa_next_free_sgpr 16
		.amdhsa_reserve_vcc 1
		.amdhsa_float_round_mode_32 0
		.amdhsa_float_round_mode_16_64 0
		.amdhsa_float_denorm_mode_32 3
		.amdhsa_float_denorm_mode_16_64 3
		.amdhsa_dx10_clamp 1
		.amdhsa_ieee_mode 1
		.amdhsa_fp16_overflow 0
		.amdhsa_workgroup_processor_mode 1
		.amdhsa_memory_ordered 1
		.amdhsa_forward_progress 0
		.amdhsa_shared_vgpr_count 0
		.amdhsa_exception_fp_ieee_invalid_op 0
		.amdhsa_exception_fp_denorm_src 0
		.amdhsa_exception_fp_ieee_div_zero 0
		.amdhsa_exception_fp_ieee_overflow 0
		.amdhsa_exception_fp_ieee_underflow 0
		.amdhsa_exception_fp_ieee_inexact 0
		.amdhsa_exception_int_div_zero 0
	.end_amdhsa_kernel
	.section	.text._ZL26rocblas_syr2k_scale_kernelIlLi128ELi8ELb1E19rocblas_complex_numIfES1_PS1_EvbiT_T3_T4_T5_S3_li,"axG",@progbits,_ZL26rocblas_syr2k_scale_kernelIlLi128ELi8ELb1E19rocblas_complex_numIfES1_PS1_EvbiT_T3_T4_T5_S3_li,comdat
.Lfunc_end1306:
	.size	_ZL26rocblas_syr2k_scale_kernelIlLi128ELi8ELb1E19rocblas_complex_numIfES1_PS1_EvbiT_T3_T4_T5_S3_li, .Lfunc_end1306-_ZL26rocblas_syr2k_scale_kernelIlLi128ELi8ELb1E19rocblas_complex_numIfES1_PS1_EvbiT_T3_T4_T5_S3_li
                                        ; -- End function
	.section	.AMDGPU.csdata,"",@progbits
; Kernel info:
; codeLenInByte = 464
; NumSgprs: 18
; NumVgprs: 8
; ScratchSize: 0
; MemoryBound: 0
; FloatMode: 240
; IeeeMode: 1
; LDSByteSize: 0 bytes/workgroup (compile time only)
; SGPRBlocks: 2
; VGPRBlocks: 0
; NumSGPRsForWavesPerEU: 18
; NumVGPRsForWavesPerEU: 8
; Occupancy: 16
; WaveLimiterHint : 0
; COMPUTE_PGM_RSRC2:SCRATCH_EN: 0
; COMPUTE_PGM_RSRC2:USER_SGPR: 13
; COMPUTE_PGM_RSRC2:TRAP_HANDLER: 0
; COMPUTE_PGM_RSRC2:TGID_X_EN: 1
; COMPUTE_PGM_RSRC2:TGID_Y_EN: 1
; COMPUTE_PGM_RSRC2:TGID_Z_EN: 1
; COMPUTE_PGM_RSRC2:TIDIG_COMP_CNT: 1
	.section	.text._ZL26rocblas_syr2k_her2k_kernelIlLb0ELb1ELb0ELi32EPK19rocblas_complex_numIfES3_PS1_EvbiT_T4_T5_S5_lS7_S5_lT6_S5_li,"axG",@progbits,_ZL26rocblas_syr2k_her2k_kernelIlLb0ELb1ELb0ELi32EPK19rocblas_complex_numIfES3_PS1_EvbiT_T4_T5_S5_lS7_S5_lT6_S5_li,comdat
	.globl	_ZL26rocblas_syr2k_her2k_kernelIlLb0ELb1ELb0ELi32EPK19rocblas_complex_numIfES3_PS1_EvbiT_T4_T5_S5_lS7_S5_lT6_S5_li ; -- Begin function _ZL26rocblas_syr2k_her2k_kernelIlLb0ELb1ELb0ELi32EPK19rocblas_complex_numIfES3_PS1_EvbiT_T4_T5_S5_lS7_S5_lT6_S5_li
	.p2align	8
	.type	_ZL26rocblas_syr2k_her2k_kernelIlLb0ELb1ELb0ELi32EPK19rocblas_complex_numIfES3_PS1_EvbiT_T4_T5_S5_lS7_S5_lT6_S5_li,@function
_ZL26rocblas_syr2k_her2k_kernelIlLb0ELb1ELb0ELi32EPK19rocblas_complex_numIfES3_PS1_EvbiT_T4_T5_S5_lS7_S5_lT6_S5_li: ; @_ZL26rocblas_syr2k_her2k_kernelIlLb0ELb1ELb0ELi32EPK19rocblas_complex_numIfES3_PS1_EvbiT_T4_T5_S5_lS7_S5_lT6_S5_li
; %bb.0:
	s_load_b512 s[16:31], s[0:1], 0x8
	s_waitcnt lgkmcnt(0)
	s_load_b64 s[8:9], s[18:19], 0x0
	s_waitcnt lgkmcnt(0)
	v_cmp_eq_f32_e64 s2, s8, 0
	v_cmp_eq_f32_e64 s3, s9, 0
	s_delay_alu instid0(VALU_DEP_1) | instskip(NEXT) | instid1(SALU_CYCLE_1)
	s_and_b32 s2, s2, s3
	s_and_b32 vcc_lo, exec_lo, s2
	s_cbranch_vccnz .LBB1307_13
; %bb.1:
	s_load_b64 s[2:3], s[0:1], 0x0
	s_lshl_b32 s10, s14, 5
	s_lshl_b32 s11, s13, 5
	s_waitcnt lgkmcnt(0)
	s_and_b32 s2, 1, s2
	s_delay_alu instid0(SALU_CYCLE_1) | instskip(SKIP_1) | instid1(SALU_CYCLE_1)
	s_cmp_eq_u32 s2, 1
	s_cselect_b32 s2, -1, 0
	s_and_b32 s4, s2, exec_lo
	s_cselect_b32 s4, s11, s10
	s_cselect_b32 s5, s10, s11
	s_delay_alu instid0(SALU_CYCLE_1)
	s_cmp_gt_i32 s4, s5
	s_cbranch_scc1 .LBB1307_13
; %bb.2:
	s_clause 0x1
	s_load_b64 s[12:13], s[0:1], 0x58
	s_load_b128 s[4:7], s[0:1], 0x48
	v_and_b32_e32 v14, 0x3ff, v0
	v_bfe_u32 v15, v0, 10, 10
	v_cmp_lt_i64_e64 s19, s[16:17], 1
	s_delay_alu instid0(VALU_DEP_3) | instskip(NEXT) | instid1(VALU_DEP_3)
	v_add_nc_u32_e32 v0, s11, v14
	v_add_nc_u32_e32 v4, s10, v15
	s_delay_alu instid0(VALU_DEP_2)
	v_ashrrev_i32_e32 v3, 31, v0
	s_waitcnt lgkmcnt(0)
	s_mul_i32 s1, s15, s13
	s_mul_hi_u32 s13, s15, s12
	s_mul_i32 s0, s15, s12
	s_add_i32 s1, s13, s1
	s_delay_alu instid0(SALU_CYCLE_1) | instskip(NEXT) | instid1(SALU_CYCLE_1)
	s_lshl_b64 s[0:1], s[0:1], 3
	s_add_u32 s14, s4, s0
	s_addc_u32 s18, s5, s1
	s_and_b32 vcc_lo, exec_lo, s19
	s_cbranch_vccnz .LBB1307_11
; %bb.3:
	v_ashrrev_i32_e32 v6, 31, v4
	v_mul_lo_u32 v12, v4, s7
	v_dual_mov_b32 v1, 0 :: v_dual_lshlrev_b32 v16, 8, v14
	v_cndmask_b32_e64 v2, v0, v4, s2
	s_delay_alu instid0(VALU_DEP_4)
	v_mul_lo_u32 v13, v6, s6
	v_mad_u64_u32 v[6:7], null, v4, s6, 0
	v_cndmask_b32_e64 v10, v4, v0, s2
	v_lshlrev_b32_e32 v11, 3, v15
	v_max_i32_e32 v8, v0, v4
	s_ashr_i32 s5, s3, 31
	s_mov_b32 s4, s3
	v_cmp_le_i32_e64 s2, v10, v2
	v_dual_mov_b32 v2, v0 :: v_dual_mov_b32 v5, v1
	v_add_nc_u32_e32 v18, v16, v11
	v_or_b32_e32 v17, 0x2000, v11
	v_cmp_gt_i32_e32 vcc_lo, s3, v8
	v_mad_u64_u32 v[8:9], null, s28, v14, 0
	v_add3_u32 v7, v7, v12, v13
	v_mad_u64_u32 v[10:11], null, s22, v15, 0
	s_and_b32 s2, s2, vcc_lo
	v_add_nc_u32_e32 v19, v17, v16
	s_delay_alu instid0(VALU_DEP_3) | instskip(SKIP_4) | instid1(VALU_DEP_4)
	v_lshlrev_b64 v[6:7], 3, v[6:7]
	v_cmp_gt_i64_e64 s0, s[4:5], v[0:1]
	v_cmp_gt_i64_e64 s1, s[4:5], v[4:5]
	s_mul_i32 s4, s31, s15
	v_mad_u64_u32 v[12:13], null, s29, v14, v[9:10]
	v_add_co_u32 v13, vcc_lo, s14, v6
	v_add_co_ci_u32_e32 v20, vcc_lo, s18, v7, vcc_lo
	v_lshlrev_b64 v[6:7], 3, v[2:3]
	s_delay_alu instid0(VALU_DEP_4) | instskip(SKIP_3) | instid1(VALU_DEP_3)
	v_dual_mov_b32 v2, v11 :: v_dual_mov_b32 v9, v12
	s_mul_hi_u32 s5, s30, s15
	v_add_nc_u32_e32 v21, 0x1800, v17
	s_add_i32 s5, s5, s4
	v_add_co_u32 v6, vcc_lo, v13, v6
	v_mad_u64_u32 v[11:12], null, s23, v15, v[2:3]
	v_add_co_ci_u32_e32 v7, vcc_lo, v20, v7, vcc_lo
	v_add_nc_u32_e32 v20, 0x1000, v17
	v_lshlrev_b64 v[8:9], 3, v[8:9]
	s_mul_i32 s4, s30, s15
	v_lshlrev_b64 v[1:2], 3, v[0:1]
	s_lshl_b64 s[4:5], s[4:5], 3
	s_lshl_b64 s[10:11], s[22:23], 8
	s_mov_b64 s[12:13], 0
	v_add_co_u32 v12, vcc_lo, s4, v8
	v_add_co_ci_u32_e32 v13, vcc_lo, s5, v9, vcc_lo
	s_mul_i32 s4, s25, s15
	s_mul_hi_u32 s5, s24, s15
	v_lshlrev_b64 v[8:9], 3, v[10:11]
	s_add_i32 s5, s5, s4
	s_mul_i32 s4, s24, s15
	v_lshlrev_b64 v[10:11], 3, v[4:5]
	s_lshl_b64 s[4:5], s[4:5], 3
	s_delay_alu instid0(VALU_DEP_2) | instid1(SALU_CYCLE_1)
	v_add_co_u32 v5, vcc_lo, s4, v8
	v_add_co_ci_u32_e32 v8, vcc_lo, s5, v9, vcc_lo
	s_delay_alu instid0(VALU_DEP_3) | instskip(NEXT) | instid1(VALU_DEP_4)
	v_add_co_u32 v9, vcc_lo, v12, v10
	v_add_co_ci_u32_e32 v10, vcc_lo, v13, v11, vcc_lo
	s_delay_alu instid0(VALU_DEP_4) | instskip(NEXT) | instid1(VALU_DEP_4)
	v_add_co_u32 v1, vcc_lo, v5, v1
	v_add_co_ci_u32_e32 v2, vcc_lo, v8, v2, vcc_lo
	s_delay_alu instid0(VALU_DEP_4) | instskip(NEXT) | instid1(VALU_DEP_4)
	;; [unrolled: 3-line block ×5, first 2 shown]
	v_add_co_u32 v8, vcc_lo, v9, 4
	v_add_co_ci_u32_e32 v9, vcc_lo, 0, v10, vcc_lo
	v_add_nc_u32_e32 v5, 0x800, v17
	s_lshl_b64 s[4:5], s[28:29], 8
	s_branch .LBB1307_5
.LBB1307_4:                             ;   in Loop: Header=BB1307_5 Depth=1
	s_or_b32 exec_lo, exec_lo, s15
	s_add_u32 s12, s12, 32
	s_addc_u32 s13, s13, 0
	v_add_co_u32 v1, vcc_lo, v1, s4
	v_cmp_ge_i64_e64 s15, s[12:13], s[16:17]
	v_add_co_ci_u32_e32 v2, vcc_lo, s5, v2, vcc_lo
	v_add_co_u32 v8, vcc_lo, v8, s10
	v_add_co_ci_u32_e32 v9, vcc_lo, s11, v9, vcc_lo
	s_delay_alu instid0(VALU_DEP_4)
	s_and_b32 vcc_lo, exec_lo, s15
	s_waitcnt_vscnt null, 0x0
	s_barrier
	buffer_gl0_inv
	s_cbranch_vccnz .LBB1307_11
.LBB1307_5:                             ; =>This Inner Loop Header: Depth=1
	v_add_co_u32 v10, s15, v15, s12
	s_delay_alu instid0(VALU_DEP_1) | instskip(NEXT) | instid1(VALU_DEP_1)
	v_add_co_ci_u32_e64 v11, null, 0, s13, s15
	v_cmp_gt_i64_e32 vcc_lo, s[16:17], v[10:11]
	v_dual_mov_b32 v10, 0 :: v_dual_mov_b32 v11, 0
	s_and_b32 s19, s0, vcc_lo
	s_delay_alu instid0(SALU_CYCLE_1)
	s_and_saveexec_b32 s15, s19
	s_cbranch_execz .LBB1307_7
; %bb.6:                                ;   in Loop: Header=BB1307_5 Depth=1
	global_load_b64 v[10:11], v[8:9], off offset:-4
.LBB1307_7:                             ;   in Loop: Header=BB1307_5 Depth=1
	s_or_b32 exec_lo, exec_lo, s15
	v_add_co_u32 v12, s15, v14, s12
	s_delay_alu instid0(VALU_DEP_1)
	v_add_co_ci_u32_e64 v13, null, 0, s13, s15
	s_waitcnt vmcnt(0)
	ds_store_b64 v18, v[10:11]
	v_cmp_gt_i64_e32 vcc_lo, s[16:17], v[12:13]
	v_dual_mov_b32 v12, 0 :: v_dual_mov_b32 v13, 0
	s_and_b32 s19, s1, vcc_lo
	s_delay_alu instid0(SALU_CYCLE_1)
	s_and_saveexec_b32 s15, s19
	s_cbranch_execz .LBB1307_9
; %bb.8:                                ;   in Loop: Header=BB1307_5 Depth=1
	global_load_b64 v[12:13], v[1:2], off offset:-4
	s_waitcnt vmcnt(0)
	v_xor_b32_e32 v13, 0x80000000, v13
.LBB1307_9:                             ;   in Loop: Header=BB1307_5 Depth=1
	s_or_b32 exec_lo, exec_lo, s15
	ds_store_b64 v19, v[12:13]
	s_waitcnt lgkmcnt(0)
	s_barrier
	buffer_gl0_inv
	s_and_saveexec_b32 s15, s2
	s_cbranch_execz .LBB1307_4
; %bb.10:                               ;   in Loop: Header=BB1307_5 Depth=1
	ds_load_b128 v[10:13], v16
	ds_load_b128 v[22:25], v16 offset:16
	ds_load_b128 v[26:29], v16 offset:32
	;; [unrolled: 1-line block ×3, first 2 shown]
	ds_load_2addr_b64 v[34:37], v17 offset1:32
	s_waitcnt lgkmcnt(0)
	v_mul_f32_e32 v38, v35, v11
	s_delay_alu instid0(VALU_DEP_1) | instskip(SKIP_2) | instid1(VALU_DEP_2)
	v_fma_f32 v38, v34, v10, -v38
	v_dual_mul_f32 v11, v34, v11 :: v_dual_mul_f32 v34, v37, v13
	v_mul_f32_e32 v13, v36, v13
	v_fmac_f32_e32 v11, v35, v10
	s_delay_alu instid0(VALU_DEP_4) | instskip(NEXT) | instid1(VALU_DEP_4)
	v_add_f32_e32 v10, 0, v38
	v_fma_f32 v34, v36, v12, -v34
	s_delay_alu instid0(VALU_DEP_4) | instskip(NEXT) | instid1(VALU_DEP_2)
	v_fmac_f32_e32 v13, v37, v12
	v_dual_add_f32 v11, 0, v11 :: v_dual_add_f32 v34, v10, v34
	s_delay_alu instid0(VALU_DEP_1) | instskip(SKIP_3) | instid1(VALU_DEP_1)
	v_add_f32_e32 v35, v11, v13
	ds_load_2addr_b64 v[10:13], v17 offset0:64 offset1:96
	s_waitcnt lgkmcnt(0)
	v_mul_f32_e32 v36, v11, v23
	v_fma_f32 v36, v10, v22, -v36
	v_mul_f32_e32 v10, v10, v23
	s_delay_alu instid0(VALU_DEP_1) | instskip(SKIP_1) | instid1(VALU_DEP_1)
	v_dual_fmac_f32 v10, v11, v22 :: v_dual_add_f32 v11, v34, v36
	v_mul_f32_e32 v22, v13, v25
	v_fma_f32 v22, v12, v24, -v22
	v_mul_f32_e32 v12, v12, v25
	s_delay_alu instid0(VALU_DEP_2) | instskip(SKIP_1) | instid1(VALU_DEP_3)
	v_add_f32_e32 v22, v11, v22
	v_add_f32_e32 v10, v35, v10
	v_fmac_f32_e32 v12, v13, v24
	s_delay_alu instid0(VALU_DEP_1) | instskip(SKIP_3) | instid1(VALU_DEP_1)
	v_add_f32_e32 v23, v10, v12
	ds_load_2addr_b64 v[10:13], v17 offset0:128 offset1:160
	s_waitcnt lgkmcnt(0)
	v_mul_f32_e32 v24, v11, v27
	v_fma_f32 v24, v10, v26, -v24
	v_mul_f32_e32 v10, v10, v27
	s_delay_alu instid0(VALU_DEP_1) | instskip(SKIP_1) | instid1(VALU_DEP_2)
	v_dual_fmac_f32 v10, v11, v26 :: v_dual_add_f32 v11, v22, v24
	v_mul_f32_e32 v22, v13, v29
	v_add_f32_e32 v10, v23, v10
	s_delay_alu instid0(VALU_DEP_2) | instskip(SKIP_1) | instid1(VALU_DEP_2)
	v_fma_f32 v22, v12, v28, -v22
	v_mul_f32_e32 v12, v12, v29
	v_add_f32_e32 v22, v11, v22
	s_delay_alu instid0(VALU_DEP_2) | instskip(NEXT) | instid1(VALU_DEP_1)
	v_fmac_f32_e32 v12, v13, v28
	v_add_f32_e32 v23, v10, v12
	ds_load_2addr_b64 v[10:13], v17 offset0:192 offset1:224
	s_waitcnt lgkmcnt(0)
	v_mul_f32_e32 v24, v11, v31
	s_delay_alu instid0(VALU_DEP_1) | instskip(SKIP_1) | instid1(VALU_DEP_1)
	v_fma_f32 v24, v10, v30, -v24
	v_mul_f32_e32 v10, v10, v31
	v_dual_fmac_f32 v10, v11, v30 :: v_dual_add_f32 v11, v22, v24
	v_mul_f32_e32 v22, v13, v33
	s_delay_alu instid0(VALU_DEP_2) | instskip(NEXT) | instid1(VALU_DEP_2)
	v_add_f32_e32 v10, v23, v10
	v_fma_f32 v22, v12, v32, -v22
	v_mul_f32_e32 v12, v12, v33
	s_delay_alu instid0(VALU_DEP_2) | instskip(NEXT) | instid1(VALU_DEP_2)
	v_add_f32_e32 v26, v11, v22
	v_fmac_f32_e32 v12, v13, v32
	s_delay_alu instid0(VALU_DEP_1)
	v_add_f32_e32 v27, v10, v12
	ds_load_b128 v[10:13], v16 offset:64
	ds_load_2addr_b64 v[22:25], v5 offset1:32
	s_waitcnt lgkmcnt(0)
	v_mul_f32_e32 v28, v23, v11
	v_mul_f32_e32 v11, v22, v11
	s_delay_alu instid0(VALU_DEP_2) | instskip(NEXT) | instid1(VALU_DEP_2)
	v_fma_f32 v28, v22, v10, -v28
	v_dual_fmac_f32 v11, v23, v10 :: v_dual_mul_f32 v22, v25, v13
	s_delay_alu instid0(VALU_DEP_2) | instskip(NEXT) | instid1(VALU_DEP_2)
	v_dual_mul_f32 v13, v24, v13 :: v_dual_add_f32 v10, v26, v28
	v_add_f32_e32 v11, v27, v11
	s_delay_alu instid0(VALU_DEP_3) | instskip(NEXT) | instid1(VALU_DEP_1)
	v_fma_f32 v22, v24, v12, -v22
	v_dual_fmac_f32 v13, v25, v12 :: v_dual_add_f32 v26, v10, v22
	s_delay_alu instid0(VALU_DEP_1)
	v_add_f32_e32 v27, v11, v13
	ds_load_b128 v[10:13], v16 offset:80
	ds_load_2addr_b64 v[22:25], v5 offset0:64 offset1:96
	s_waitcnt lgkmcnt(0)
	v_mul_f32_e32 v28, v23, v11
	v_mul_f32_e32 v11, v22, v11
	s_delay_alu instid0(VALU_DEP_2) | instskip(NEXT) | instid1(VALU_DEP_2)
	v_fma_f32 v28, v22, v10, -v28
	v_dual_fmac_f32 v11, v23, v10 :: v_dual_mul_f32 v22, v25, v13
	s_delay_alu instid0(VALU_DEP_2) | instskip(NEXT) | instid1(VALU_DEP_2)
	v_dual_mul_f32 v13, v24, v13 :: v_dual_add_f32 v10, v26, v28
	v_add_f32_e32 v11, v27, v11
	s_delay_alu instid0(VALU_DEP_3) | instskip(NEXT) | instid1(VALU_DEP_1)
	v_fma_f32 v22, v24, v12, -v22
	v_dual_fmac_f32 v13, v25, v12 :: v_dual_add_f32 v26, v10, v22
	s_delay_alu instid0(VALU_DEP_1)
	v_add_f32_e32 v27, v11, v13
	ds_load_b128 v[10:13], v16 offset:96
	ds_load_2addr_b64 v[22:25], v5 offset0:128 offset1:160
	;; [unrolled: 16-line block ×3, first 2 shown]
	s_waitcnt lgkmcnt(0)
	v_mul_f32_e32 v28, v23, v11
	v_mul_f32_e32 v11, v22, v11
	s_delay_alu instid0(VALU_DEP_2) | instskip(NEXT) | instid1(VALU_DEP_2)
	v_fma_f32 v28, v22, v10, -v28
	v_dual_mul_f32 v22, v25, v13 :: v_dual_fmac_f32 v11, v23, v10
	s_delay_alu instid0(VALU_DEP_2) | instskip(NEXT) | instid1(VALU_DEP_2)
	v_dual_mul_f32 v13, v24, v13 :: v_dual_add_f32 v10, v26, v28
	v_fma_f32 v22, v24, v12, -v22
	s_delay_alu instid0(VALU_DEP_3) | instskip(NEXT) | instid1(VALU_DEP_2)
	v_add_f32_e32 v11, v27, v11
	v_dual_fmac_f32 v13, v25, v12 :: v_dual_add_f32 v26, v10, v22
	s_delay_alu instid0(VALU_DEP_1)
	v_add_f32_e32 v27, v11, v13
	ds_load_b128 v[10:13], v16 offset:128
	ds_load_2addr_b64 v[22:25], v20 offset1:32
	s_waitcnt lgkmcnt(0)
	v_mul_f32_e32 v28, v23, v11
	v_mul_f32_e32 v11, v22, v11
	s_delay_alu instid0(VALU_DEP_2) | instskip(NEXT) | instid1(VALU_DEP_2)
	v_fma_f32 v28, v22, v10, -v28
	v_dual_mul_f32 v22, v25, v13 :: v_dual_fmac_f32 v11, v23, v10
	s_delay_alu instid0(VALU_DEP_2) | instskip(NEXT) | instid1(VALU_DEP_2)
	v_dual_mul_f32 v13, v24, v13 :: v_dual_add_f32 v10, v26, v28
	v_fma_f32 v22, v24, v12, -v22
	s_delay_alu instid0(VALU_DEP_3) | instskip(NEXT) | instid1(VALU_DEP_2)
	v_add_f32_e32 v11, v27, v11
	v_dual_fmac_f32 v13, v25, v12 :: v_dual_add_f32 v26, v10, v22
	s_delay_alu instid0(VALU_DEP_1)
	v_add_f32_e32 v27, v11, v13
	ds_load_b128 v[10:13], v16 offset:144
	ds_load_2addr_b64 v[22:25], v20 offset0:64 offset1:96
	s_waitcnt lgkmcnt(0)
	v_mul_f32_e32 v28, v23, v11
	v_mul_f32_e32 v11, v22, v11
	s_delay_alu instid0(VALU_DEP_2) | instskip(NEXT) | instid1(VALU_DEP_2)
	v_fma_f32 v28, v22, v10, -v28
	v_dual_mul_f32 v22, v25, v13 :: v_dual_fmac_f32 v11, v23, v10
	s_delay_alu instid0(VALU_DEP_2) | instskip(NEXT) | instid1(VALU_DEP_2)
	v_dual_mul_f32 v13, v24, v13 :: v_dual_add_f32 v10, v26, v28
	v_fma_f32 v22, v24, v12, -v22
	s_delay_alu instid0(VALU_DEP_3) | instskip(NEXT) | instid1(VALU_DEP_2)
	v_add_f32_e32 v11, v27, v11
	v_dual_fmac_f32 v13, v25, v12 :: v_dual_add_f32 v26, v10, v22
	s_delay_alu instid0(VALU_DEP_1)
	v_add_f32_e32 v27, v11, v13
	ds_load_b128 v[10:13], v16 offset:160
	ds_load_2addr_b64 v[22:25], v20 offset0:128 offset1:160
	s_waitcnt lgkmcnt(0)
	v_mul_f32_e32 v28, v23, v11
	v_mul_f32_e32 v11, v22, v11
	s_delay_alu instid0(VALU_DEP_2) | instskip(SKIP_2) | instid1(VALU_DEP_2)
	v_fma_f32 v28, v22, v10, -v28
	v_mul_f32_e32 v22, v25, v13
	v_mul_f32_e32 v13, v24, v13
	v_fma_f32 v22, v24, v12, -v22
	s_delay_alu instid0(VALU_DEP_2) | instskip(SKIP_1) | instid1(VALU_DEP_1)
	v_fmac_f32_e32 v13, v25, v12
	v_dual_fmac_f32 v11, v23, v10 :: v_dual_add_f32 v10, v26, v28
	v_add_f32_e32 v11, v27, v11
	s_delay_alu instid0(VALU_DEP_1)
	v_dual_add_f32 v27, v11, v13 :: v_dual_add_f32 v26, v10, v22
	ds_load_b128 v[10:13], v16 offset:176
	ds_load_2addr_b64 v[22:25], v20 offset0:192 offset1:224
	s_waitcnt lgkmcnt(0)
	v_mul_f32_e32 v28, v23, v11
	v_mul_f32_e32 v11, v22, v11
	s_delay_alu instid0(VALU_DEP_2) | instskip(NEXT) | instid1(VALU_DEP_2)
	v_fma_f32 v28, v22, v10, -v28
	v_dual_mul_f32 v22, v25, v13 :: v_dual_fmac_f32 v11, v23, v10
	v_mul_f32_e32 v13, v24, v13
	s_delay_alu instid0(VALU_DEP_2) | instskip(NEXT) | instid1(VALU_DEP_3)
	v_fma_f32 v22, v24, v12, -v22
	v_dual_add_f32 v11, v27, v11 :: v_dual_add_f32 v10, v26, v28
	s_delay_alu instid0(VALU_DEP_1) | instskip(NEXT) | instid1(VALU_DEP_1)
	v_dual_fmac_f32 v13, v25, v12 :: v_dual_add_f32 v26, v10, v22
	v_add_f32_e32 v27, v11, v13
	ds_load_b128 v[10:13], v16 offset:192
	ds_load_2addr_b64 v[22:25], v21 offset1:32
	s_waitcnt lgkmcnt(0)
	v_mul_f32_e32 v28, v23, v11
	v_mul_f32_e32 v11, v22, v11
	s_delay_alu instid0(VALU_DEP_2) | instskip(NEXT) | instid1(VALU_DEP_2)
	v_fma_f32 v28, v22, v10, -v28
	v_dual_mul_f32 v22, v25, v13 :: v_dual_fmac_f32 v11, v23, v10
	s_delay_alu instid0(VALU_DEP_2) | instskip(NEXT) | instid1(VALU_DEP_2)
	v_dual_mul_f32 v13, v24, v13 :: v_dual_add_f32 v10, v26, v28
	v_fma_f32 v22, v24, v12, -v22
	s_delay_alu instid0(VALU_DEP_3) | instskip(NEXT) | instid1(VALU_DEP_2)
	v_add_f32_e32 v11, v27, v11
	v_dual_fmac_f32 v13, v25, v12 :: v_dual_add_f32 v26, v10, v22
	s_delay_alu instid0(VALU_DEP_1)
	v_add_f32_e32 v27, v11, v13
	ds_load_b128 v[10:13], v16 offset:208
	ds_load_2addr_b64 v[22:25], v21 offset0:64 offset1:96
	s_waitcnt lgkmcnt(0)
	v_mul_f32_e32 v28, v23, v11
	v_mul_f32_e32 v11, v22, v11
	s_delay_alu instid0(VALU_DEP_2) | instskip(NEXT) | instid1(VALU_DEP_2)
	v_fma_f32 v28, v22, v10, -v28
	v_dual_mul_f32 v22, v25, v13 :: v_dual_fmac_f32 v11, v23, v10
	s_delay_alu instid0(VALU_DEP_2) | instskip(NEXT) | instid1(VALU_DEP_2)
	v_dual_mul_f32 v13, v24, v13 :: v_dual_add_f32 v10, v26, v28
	v_fma_f32 v22, v24, v12, -v22
	s_delay_alu instid0(VALU_DEP_3) | instskip(NEXT) | instid1(VALU_DEP_2)
	v_add_f32_e32 v11, v27, v11
	v_dual_fmac_f32 v13, v25, v12 :: v_dual_add_f32 v26, v10, v22
	s_delay_alu instid0(VALU_DEP_1)
	v_add_f32_e32 v27, v11, v13
	ds_load_b128 v[10:13], v16 offset:224
	ds_load_2addr_b64 v[22:25], v21 offset0:128 offset1:160
	;; [unrolled: 16-line block ×3, first 2 shown]
	s_waitcnt lgkmcnt(0)
	v_mul_f32_e32 v28, v23, v11
	v_mul_f32_e32 v11, v22, v11
	s_delay_alu instid0(VALU_DEP_2) | instskip(NEXT) | instid1(VALU_DEP_2)
	v_fma_f32 v28, v22, v10, -v28
	v_dual_fmac_f32 v11, v23, v10 :: v_dual_mul_f32 v22, v25, v13
	s_delay_alu instid0(VALU_DEP_2) | instskip(NEXT) | instid1(VALU_DEP_2)
	v_dual_mul_f32 v13, v24, v13 :: v_dual_add_f32 v10, v26, v28
	v_add_f32_e32 v11, v27, v11
	s_delay_alu instid0(VALU_DEP_3) | instskip(NEXT) | instid1(VALU_DEP_1)
	v_fma_f32 v22, v24, v12, -v22
	v_dual_fmac_f32 v13, v25, v12 :: v_dual_add_f32 v12, v10, v22
	s_delay_alu instid0(VALU_DEP_1) | instskip(NEXT) | instid1(VALU_DEP_1)
	v_add_f32_e32 v11, v11, v13
	v_mul_f32_e32 v10, s9, v11
	v_mul_f32_e32 v11, s8, v11
	s_delay_alu instid0(VALU_DEP_2) | instskip(NEXT) | instid1(VALU_DEP_2)
	v_fma_f32 v10, s8, v12, -v10
	v_fmac_f32_e32 v11, s9, v12
	global_load_b64 v[12:13], v[6:7], off
	s_waitcnt vmcnt(0)
	v_dual_add_f32 v10, v12, v10 :: v_dual_add_f32 v11, v13, v11
	global_store_b64 v[6:7], v[10:11], off
	s_branch .LBB1307_4
.LBB1307_11:
	v_cmp_eq_u32_e32 vcc_lo, v0, v4
	v_cmp_gt_i32_e64 s0, s3, v0
	s_delay_alu instid0(VALU_DEP_1) | instskip(NEXT) | instid1(SALU_CYCLE_1)
	s_and_b32 s0, vcc_lo, s0
	s_and_saveexec_b32 s1, s0
	s_cbranch_execz .LBB1307_13
; %bb.12:
	v_mul_lo_u32 v1, v0, s7
	v_mul_lo_u32 v2, v3, s6
	v_mad_u64_u32 v[4:5], null, v0, s6, 0
	s_delay_alu instid0(VALU_DEP_1) | instskip(SKIP_1) | instid1(VALU_DEP_2)
	v_add3_u32 v5, v5, v1, v2
	v_mov_b32_e32 v1, v3
	v_lshlrev_b64 v[2:3], 3, v[4:5]
	s_delay_alu instid0(VALU_DEP_2) | instskip(NEXT) | instid1(VALU_DEP_2)
	v_lshlrev_b64 v[0:1], 3, v[0:1]
	v_add_co_u32 v2, vcc_lo, s14, v2
	s_delay_alu instid0(VALU_DEP_3) | instskip(NEXT) | instid1(VALU_DEP_2)
	v_add_co_ci_u32_e32 v3, vcc_lo, s18, v3, vcc_lo
	v_add_co_u32 v0, vcc_lo, v2, v0
	v_mov_b32_e32 v2, 0
	s_delay_alu instid0(VALU_DEP_3)
	v_add_co_ci_u32_e32 v1, vcc_lo, v3, v1, vcc_lo
	global_store_b32 v[0:1], v2, off offset:4
.LBB1307_13:
	s_nop 0
	s_sendmsg sendmsg(MSG_DEALLOC_VGPRS)
	s_endpgm
	.section	.rodata,"a",@progbits
	.p2align	6, 0x0
	.amdhsa_kernel _ZL26rocblas_syr2k_her2k_kernelIlLb0ELb1ELb0ELi32EPK19rocblas_complex_numIfES3_PS1_EvbiT_T4_T5_S5_lS7_S5_lT6_S5_li
		.amdhsa_group_segment_fixed_size 16384
		.amdhsa_private_segment_fixed_size 0
		.amdhsa_kernarg_size 100
		.amdhsa_user_sgpr_count 13
		.amdhsa_user_sgpr_dispatch_ptr 0
		.amdhsa_user_sgpr_queue_ptr 0
		.amdhsa_user_sgpr_kernarg_segment_ptr 1
		.amdhsa_user_sgpr_dispatch_id 0
		.amdhsa_user_sgpr_private_segment_size 0
		.amdhsa_wavefront_size32 1
		.amdhsa_uses_dynamic_stack 0
		.amdhsa_enable_private_segment 0
		.amdhsa_system_sgpr_workgroup_id_x 1
		.amdhsa_system_sgpr_workgroup_id_y 1
		.amdhsa_system_sgpr_workgroup_id_z 1
		.amdhsa_system_sgpr_workgroup_info 0
		.amdhsa_system_vgpr_workitem_id 1
		.amdhsa_next_free_vgpr 39
		.amdhsa_next_free_sgpr 32
		.amdhsa_reserve_vcc 1
		.amdhsa_float_round_mode_32 0
		.amdhsa_float_round_mode_16_64 0
		.amdhsa_float_denorm_mode_32 3
		.amdhsa_float_denorm_mode_16_64 3
		.amdhsa_dx10_clamp 1
		.amdhsa_ieee_mode 1
		.amdhsa_fp16_overflow 0
		.amdhsa_workgroup_processor_mode 1
		.amdhsa_memory_ordered 1
		.amdhsa_forward_progress 0
		.amdhsa_shared_vgpr_count 0
		.amdhsa_exception_fp_ieee_invalid_op 0
		.amdhsa_exception_fp_denorm_src 0
		.amdhsa_exception_fp_ieee_div_zero 0
		.amdhsa_exception_fp_ieee_overflow 0
		.amdhsa_exception_fp_ieee_underflow 0
		.amdhsa_exception_fp_ieee_inexact 0
		.amdhsa_exception_int_div_zero 0
	.end_amdhsa_kernel
	.section	.text._ZL26rocblas_syr2k_her2k_kernelIlLb0ELb1ELb0ELi32EPK19rocblas_complex_numIfES3_PS1_EvbiT_T4_T5_S5_lS7_S5_lT6_S5_li,"axG",@progbits,_ZL26rocblas_syr2k_her2k_kernelIlLb0ELb1ELb0ELi32EPK19rocblas_complex_numIfES3_PS1_EvbiT_T4_T5_S5_lS7_S5_lT6_S5_li,comdat
.Lfunc_end1307:
	.size	_ZL26rocblas_syr2k_her2k_kernelIlLb0ELb1ELb0ELi32EPK19rocblas_complex_numIfES3_PS1_EvbiT_T4_T5_S5_lS7_S5_lT6_S5_li, .Lfunc_end1307-_ZL26rocblas_syr2k_her2k_kernelIlLb0ELb1ELb0ELi32EPK19rocblas_complex_numIfES3_PS1_EvbiT_T4_T5_S5_lS7_S5_lT6_S5_li
                                        ; -- End function
	.section	.AMDGPU.csdata,"",@progbits
; Kernel info:
; codeLenInByte = 2588
; NumSgprs: 34
; NumVgprs: 39
; ScratchSize: 0
; MemoryBound: 0
; FloatMode: 240
; IeeeMode: 1
; LDSByteSize: 16384 bytes/workgroup (compile time only)
; SGPRBlocks: 4
; VGPRBlocks: 4
; NumSGPRsForWavesPerEU: 34
; NumVGPRsForWavesPerEU: 39
; Occupancy: 16
; WaveLimiterHint : 0
; COMPUTE_PGM_RSRC2:SCRATCH_EN: 0
; COMPUTE_PGM_RSRC2:USER_SGPR: 13
; COMPUTE_PGM_RSRC2:TRAP_HANDLER: 0
; COMPUTE_PGM_RSRC2:TGID_X_EN: 1
; COMPUTE_PGM_RSRC2:TGID_Y_EN: 1
; COMPUTE_PGM_RSRC2:TGID_Z_EN: 1
; COMPUTE_PGM_RSRC2:TIDIG_COMP_CNT: 1
	.section	.text._ZL26rocblas_syr2k_her2k_kernelIlLb0ELb1ELb1ELi32EPK19rocblas_complex_numIfES3_PS1_EvbiT_T4_T5_S5_lS7_S5_lT6_S5_li,"axG",@progbits,_ZL26rocblas_syr2k_her2k_kernelIlLb0ELb1ELb1ELi32EPK19rocblas_complex_numIfES3_PS1_EvbiT_T4_T5_S5_lS7_S5_lT6_S5_li,comdat
	.globl	_ZL26rocblas_syr2k_her2k_kernelIlLb0ELb1ELb1ELi32EPK19rocblas_complex_numIfES3_PS1_EvbiT_T4_T5_S5_lS7_S5_lT6_S5_li ; -- Begin function _ZL26rocblas_syr2k_her2k_kernelIlLb0ELb1ELb1ELi32EPK19rocblas_complex_numIfES3_PS1_EvbiT_T4_T5_S5_lS7_S5_lT6_S5_li
	.p2align	8
	.type	_ZL26rocblas_syr2k_her2k_kernelIlLb0ELb1ELb1ELi32EPK19rocblas_complex_numIfES3_PS1_EvbiT_T4_T5_S5_lS7_S5_lT6_S5_li,@function
_ZL26rocblas_syr2k_her2k_kernelIlLb0ELb1ELb1ELi32EPK19rocblas_complex_numIfES3_PS1_EvbiT_T4_T5_S5_lS7_S5_lT6_S5_li: ; @_ZL26rocblas_syr2k_her2k_kernelIlLb0ELb1ELb1ELi32EPK19rocblas_complex_numIfES3_PS1_EvbiT_T4_T5_S5_lS7_S5_lT6_S5_li
; %bb.0:
	s_load_b512 s[16:31], s[0:1], 0x8
	s_waitcnt lgkmcnt(0)
	s_load_b64 s[8:9], s[18:19], 0x0
	s_waitcnt lgkmcnt(0)
	v_cmp_eq_f32_e64 s2, s8, 0
	v_cmp_eq_f32_e64 s3, s9, 0
	s_delay_alu instid0(VALU_DEP_1) | instskip(NEXT) | instid1(SALU_CYCLE_1)
	s_and_b32 s2, s2, s3
	s_and_b32 vcc_lo, exec_lo, s2
	s_cbranch_vccnz .LBB1308_13
; %bb.1:
	s_load_b64 s[10:11], s[0:1], 0x0
	s_lshl_b32 s3, s14, 5
	s_waitcnt lgkmcnt(0)
	s_and_b32 s2, 1, s10
	s_lshl_b32 s10, s13, 5
	s_cmp_eq_u32 s2, 1
	s_cselect_b32 s2, -1, 0
	s_delay_alu instid0(SALU_CYCLE_1) | instskip(SKIP_2) | instid1(SALU_CYCLE_1)
	s_and_b32 s4, s2, exec_lo
	s_cselect_b32 s4, s10, s3
	s_cselect_b32 s5, s3, s10
	s_cmp_gt_i32 s4, s5
	s_cbranch_scc1 .LBB1308_13
; %bb.2:
	s_clause 0x1
	s_load_b64 s[12:13], s[0:1], 0x58
	s_load_b128 s[4:7], s[0:1], 0x48
	v_and_b32_e32 v14, 0x3ff, v0
	v_bfe_u32 v15, v0, 10, 10
	v_cmp_lt_i64_e64 s14, s[16:17], 1
	s_delay_alu instid0(VALU_DEP_3) | instskip(NEXT) | instid1(VALU_DEP_3)
	v_add_nc_u32_e32 v0, s10, v14
	v_add_nc_u32_e32 v2, s3, v15
	s_delay_alu instid0(VALU_DEP_2)
	v_ashrrev_i32_e32 v13, 31, v0
	s_waitcnt lgkmcnt(0)
	s_mul_i32 s1, s15, s13
	s_mul_hi_u32 s13, s15, s12
	s_mul_i32 s0, s15, s12
	s_add_i32 s1, s13, s1
	s_delay_alu instid0(SALU_CYCLE_1) | instskip(NEXT) | instid1(SALU_CYCLE_1)
	s_lshl_b64 s[0:1], s[0:1], 3
	s_add_u32 s4, s4, s0
	s_addc_u32 s5, s5, s1
	s_and_b32 vcc_lo, exec_lo, s14
	s_cbranch_vccnz .LBB1308_11
; %bb.3:
	v_dual_mov_b32 v1, 0 :: v_dual_lshlrev_b32 v12, 3, v15
	v_ashrrev_i32_e32 v4, 31, v2
	s_ashr_i32 s13, s11, 31
	s_mov_b32 s12, s11
	s_delay_alu instid0(VALU_DEP_2)
	v_dual_mov_b32 v3, v1 :: v_dual_lshlrev_b32 v16, 8, v14
	v_cmp_gt_i64_e64 s0, s[12:13], v[0:1]
	v_mul_lo_u32 v1, v2, s7
	v_mul_lo_u32 v10, v4, s6
	v_mad_u64_u32 v[4:5], null, v2, s6, 0
	v_mad_u64_u32 v[6:7], null, s28, v2, 0
	v_max_i32_e32 v11, v0, v2
	v_cmp_gt_i64_e64 s1, s[12:13], v[2:3]
	v_cndmask_b32_e64 v8, v0, v2, s2
	v_cndmask_b32_e64 v9, v2, v0, s2
	v_add3_u32 v5, v5, v1, v10
	v_cmp_gt_i32_e32 vcc_lo, s11, v11
	v_dual_mov_b32 v3, v7 :: v_dual_add_nc_u32 v18, v16, v12
	v_mov_b32_e32 v1, v13
	s_delay_alu instid0(VALU_DEP_4) | instskip(SKIP_4) | instid1(VALU_DEP_4)
	v_lshlrev_b64 v[4:5], 3, v[4:5]
	v_cmp_le_i32_e64 s2, v9, v8
	v_mad_u64_u32 v[8:9], null, s22, v0, 0
	v_or_b32_e32 v17, 0x2000, v12
	s_mul_hi_u32 s10, s30, s15
	v_mad_u64_u32 v[10:11], null, s29, v2, v[3:4]
	v_add_co_u32 v11, s3, s4, v4
	v_lshlrev_b64 v[3:4], 3, v[0:1]
	v_add_co_ci_u32_e64 v20, s3, s5, v5, s3
	v_mov_b32_e32 v1, v9
	v_mov_b32_e32 v7, v10
	s_mul_i32 s3, s31, s15
	s_mul_i32 s12, s30, s15
	s_add_i32 s13, s10, s3
	v_add_co_u32 v3, s3, v11, v3
	v_lshlrev_b64 v[5:6], 3, v[6:7]
	v_add_co_ci_u32_e64 v4, s3, v20, v4, s3
	v_add_nc_u32_e32 v20, 0x1000, v17
	v_mad_u64_u32 v[9:10], null, s23, v0, v[1:2]
	s_lshl_b64 s[12:13], s[12:13], 3
	s_mul_hi_u32 s10, s24, s15
	v_add_co_u32 v1, s3, s12, v5
	s_delay_alu instid0(VALU_DEP_1) | instskip(SKIP_1) | instid1(VALU_DEP_3)
	v_add_co_ci_u32_e64 v7, s3, s13, v6, s3
	s_mul_i32 s3, s25, s15
	v_lshlrev_b64 v[5:6], 3, v[8:9]
	s_add_i32 s13, s10, s3
	s_mul_i32 s12, s24, s15
	v_lshlrev_b32_e32 v8, 3, v14
	s_lshl_b64 s[12:13], s[12:13], 3
	v_add_nc_u32_e32 v19, v17, v16
	v_add_co_u32 v5, s3, s12, v5
	s_delay_alu instid0(VALU_DEP_1) | instskip(SKIP_1) | instid1(VALU_DEP_1)
	v_add_co_ci_u32_e64 v6, s3, s13, v6, s3
	v_add_co_u32 v1, s3, v1, v8
	v_add_co_ci_u32_e64 v7, s3, 0, v7, s3
	s_delay_alu instid0(VALU_DEP_4) | instskip(NEXT) | instid1(VALU_DEP_1)
	v_add_co_u32 v5, s3, v5, v12
	v_add_co_ci_u32_e64 v6, s3, 0, v6, s3
	s_delay_alu instid0(VALU_DEP_4) | instskip(NEXT) | instid1(VALU_DEP_1)
	v_add_co_u32 v1, s3, v1, s26
	v_add_co_ci_u32_e64 v7, s3, s27, v7, s3
	s_delay_alu instid0(VALU_DEP_4) | instskip(NEXT) | instid1(VALU_DEP_1)
	v_add_co_u32 v8, s3, v5, s20
	v_add_co_ci_u32_e64 v9, s3, s21, v6, s3
	s_delay_alu instid0(VALU_DEP_4) | instskip(NEXT) | instid1(VALU_DEP_1)
	v_add_co_u32 v5, s3, v1, 4
	v_add_co_ci_u32_e64 v6, s3, 0, v7, s3
	s_delay_alu instid0(VALU_DEP_4) | instskip(NEXT) | instid1(VALU_DEP_1)
	v_add_co_u32 v7, s3, v8, 4
	v_add_co_ci_u32_e64 v8, s3, 0, v9, s3
	v_add_nc_u32_e32 v1, 0x800, v17
	v_add_nc_u32_e32 v21, 0x1800, v17
	s_and_b32 s10, s2, vcc_lo
	s_mov_b64 s[2:3], 0
	s_branch .LBB1308_5
.LBB1308_4:                             ;   in Loop: Header=BB1308_5 Depth=1
	s_or_b32 exec_lo, exec_lo, s12
	s_add_u32 s2, s2, 32
	s_addc_u32 s3, s3, 0
	v_add_co_u32 v5, vcc_lo, 0x100, v5
	v_cmp_ge_i64_e64 s12, s[2:3], s[16:17]
	v_add_co_ci_u32_e32 v6, vcc_lo, 0, v6, vcc_lo
	v_add_co_u32 v7, vcc_lo, 0x100, v7
	v_add_co_ci_u32_e32 v8, vcc_lo, 0, v8, vcc_lo
	s_delay_alu instid0(VALU_DEP_4)
	s_and_b32 vcc_lo, exec_lo, s12
	s_waitcnt_vscnt null, 0x0
	s_barrier
	buffer_gl0_inv
	s_cbranch_vccnz .LBB1308_11
.LBB1308_5:                             ; =>This Inner Loop Header: Depth=1
	v_add_co_u32 v9, s12, v15, s2
	s_delay_alu instid0(VALU_DEP_1) | instskip(NEXT) | instid1(VALU_DEP_1)
	v_add_co_ci_u32_e64 v10, null, 0, s3, s12
	v_cmp_gt_i64_e32 vcc_lo, s[16:17], v[9:10]
	v_dual_mov_b32 v9, 0 :: v_dual_mov_b32 v10, 0
	s_and_b32 s13, s0, vcc_lo
	s_delay_alu instid0(SALU_CYCLE_1)
	s_and_saveexec_b32 s12, s13
	s_cbranch_execz .LBB1308_7
; %bb.6:                                ;   in Loop: Header=BB1308_5 Depth=1
	global_load_b64 v[9:10], v[7:8], off offset:-4
	s_waitcnt vmcnt(0)
	v_xor_b32_e32 v10, 0x80000000, v10
.LBB1308_7:                             ;   in Loop: Header=BB1308_5 Depth=1
	s_or_b32 exec_lo, exec_lo, s12
	v_add_co_u32 v11, s12, v14, s2
	s_delay_alu instid0(VALU_DEP_1) | instskip(SKIP_4) | instid1(SALU_CYCLE_1)
	v_add_co_ci_u32_e64 v12, null, 0, s3, s12
	ds_store_b64 v18, v[9:10]
	v_cmp_gt_i64_e32 vcc_lo, s[16:17], v[11:12]
	v_dual_mov_b32 v11, 0 :: v_dual_mov_b32 v12, 0
	s_and_b32 s13, s1, vcc_lo
	s_and_saveexec_b32 s12, s13
	s_cbranch_execz .LBB1308_9
; %bb.8:                                ;   in Loop: Header=BB1308_5 Depth=1
	global_load_b64 v[11:12], v[5:6], off offset:-4
.LBB1308_9:                             ;   in Loop: Header=BB1308_5 Depth=1
	s_or_b32 exec_lo, exec_lo, s12
	s_waitcnt vmcnt(0)
	ds_store_b64 v19, v[11:12]
	s_waitcnt lgkmcnt(0)
	s_barrier
	buffer_gl0_inv
	s_and_saveexec_b32 s12, s10
	s_cbranch_execz .LBB1308_4
; %bb.10:                               ;   in Loop: Header=BB1308_5 Depth=1
	ds_load_b128 v[9:12], v16
	ds_load_b128 v[22:25], v16 offset:16
	ds_load_b128 v[26:29], v16 offset:32
	;; [unrolled: 1-line block ×3, first 2 shown]
	ds_load_2addr_b64 v[34:37], v17 offset1:32
	s_waitcnt lgkmcnt(0)
	v_mul_f32_e32 v38, v35, v10
	v_mul_f32_e32 v10, v34, v10
	s_delay_alu instid0(VALU_DEP_2) | instskip(NEXT) | instid1(VALU_DEP_2)
	v_fma_f32 v38, v34, v9, -v38
	v_fmac_f32_e32 v10, v35, v9
	v_mul_f32_e32 v34, v37, v12
	s_delay_alu instid0(VALU_DEP_3) | instskip(NEXT) | instid1(VALU_DEP_3)
	v_dual_mul_f32 v12, v36, v12 :: v_dual_add_f32 v9, 0, v38
	v_add_f32_e32 v10, 0, v10
	s_delay_alu instid0(VALU_DEP_3) | instskip(NEXT) | instid1(VALU_DEP_3)
	v_fma_f32 v34, v36, v11, -v34
	v_fmac_f32_e32 v12, v37, v11
	s_delay_alu instid0(VALU_DEP_1) | instskip(SKIP_3) | instid1(VALU_DEP_1)
	v_dual_add_f32 v34, v9, v34 :: v_dual_add_f32 v35, v10, v12
	ds_load_2addr_b64 v[9:12], v17 offset0:64 offset1:96
	s_waitcnt lgkmcnt(0)
	v_mul_f32_e32 v36, v10, v23
	v_fma_f32 v36, v9, v22, -v36
	v_mul_f32_e32 v9, v9, v23
	s_delay_alu instid0(VALU_DEP_1) | instskip(NEXT) | instid1(VALU_DEP_1)
	v_dual_fmac_f32 v9, v10, v22 :: v_dual_mul_f32 v22, v12, v25
	v_add_f32_e32 v9, v35, v9
	s_delay_alu instid0(VALU_DEP_2) | instskip(SKIP_1) | instid1(VALU_DEP_1)
	v_fma_f32 v22, v11, v24, -v22
	v_mul_f32_e32 v11, v11, v25
	v_fmac_f32_e32 v11, v12, v24
	s_delay_alu instid0(VALU_DEP_1) | instskip(NEXT) | instid1(VALU_DEP_1)
	v_dual_add_f32 v10, v34, v36 :: v_dual_add_f32 v23, v9, v11
	v_add_f32_e32 v22, v10, v22
	ds_load_2addr_b64 v[9:12], v17 offset0:128 offset1:160
	s_waitcnt lgkmcnt(0)
	v_mul_f32_e32 v24, v10, v27
	s_delay_alu instid0(VALU_DEP_1) | instskip(SKIP_1) | instid1(VALU_DEP_1)
	v_fma_f32 v24, v9, v26, -v24
	v_mul_f32_e32 v9, v9, v27
	v_fmac_f32_e32 v9, v10, v26
	s_delay_alu instid0(VALU_DEP_1) | instskip(SKIP_1) | instid1(VALU_DEP_1)
	v_dual_add_f32 v9, v23, v9 :: v_dual_add_f32 v10, v22, v24
	v_mul_f32_e32 v22, v12, v29
	v_fma_f32 v22, v11, v28, -v22
	v_mul_f32_e32 v11, v11, v29
	s_delay_alu instid0(VALU_DEP_1) | instskip(NEXT) | instid1(VALU_DEP_1)
	v_fmac_f32_e32 v11, v12, v28
	v_dual_add_f32 v23, v9, v11 :: v_dual_add_f32 v22, v10, v22
	ds_load_2addr_b64 v[9:12], v17 offset0:192 offset1:224
	s_waitcnt lgkmcnt(0)
	v_mul_f32_e32 v24, v10, v31
	s_delay_alu instid0(VALU_DEP_1) | instskip(SKIP_1) | instid1(VALU_DEP_1)
	v_fma_f32 v24, v9, v30, -v24
	v_mul_f32_e32 v9, v9, v31
	v_fmac_f32_e32 v9, v10, v30
	s_delay_alu instid0(VALU_DEP_1) | instskip(SKIP_1) | instid1(VALU_DEP_1)
	v_dual_add_f32 v9, v23, v9 :: v_dual_add_f32 v10, v22, v24
	v_mul_f32_e32 v22, v12, v33
	v_fma_f32 v22, v11, v32, -v22
	v_mul_f32_e32 v11, v11, v33
	s_delay_alu instid0(VALU_DEP_1) | instskip(NEXT) | instid1(VALU_DEP_1)
	v_fmac_f32_e32 v11, v12, v32
	v_dual_add_f32 v27, v9, v11 :: v_dual_add_f32 v26, v10, v22
	ds_load_b128 v[9:12], v16 offset:64
	ds_load_2addr_b64 v[22:25], v1 offset1:32
	s_waitcnt lgkmcnt(0)
	v_mul_f32_e32 v28, v23, v10
	v_mul_f32_e32 v10, v22, v10
	s_delay_alu instid0(VALU_DEP_2) | instskip(SKIP_1) | instid1(VALU_DEP_3)
	v_fma_f32 v28, v22, v9, -v28
	v_mul_f32_e32 v22, v25, v12
	v_fmac_f32_e32 v10, v23, v9
	v_mul_f32_e32 v12, v24, v12
	s_delay_alu instid0(VALU_DEP_4) | instskip(NEXT) | instid1(VALU_DEP_4)
	v_add_f32_e32 v9, v26, v28
	v_fma_f32 v22, v24, v11, -v22
	s_delay_alu instid0(VALU_DEP_3) | instskip(NEXT) | instid1(VALU_DEP_2)
	v_fmac_f32_e32 v12, v25, v11
	v_add_f32_e32 v26, v9, v22
	v_add_f32_e32 v10, v27, v10
	s_delay_alu instid0(VALU_DEP_1)
	v_add_f32_e32 v27, v10, v12
	ds_load_b128 v[9:12], v16 offset:80
	ds_load_2addr_b64 v[22:25], v1 offset0:64 offset1:96
	s_waitcnt lgkmcnt(0)
	v_mul_f32_e32 v28, v23, v10
	v_mul_f32_e32 v10, v22, v10
	s_delay_alu instid0(VALU_DEP_2) | instskip(NEXT) | instid1(VALU_DEP_2)
	v_fma_f32 v28, v22, v9, -v28
	v_fmac_f32_e32 v10, v23, v9
	v_mul_f32_e32 v22, v25, v12
	v_mul_f32_e32 v12, v24, v12
	s_delay_alu instid0(VALU_DEP_3) | instskip(NEXT) | instid1(VALU_DEP_3)
	v_add_f32_e32 v10, v27, v10
	v_fma_f32 v22, v24, v11, -v22
	s_delay_alu instid0(VALU_DEP_3) | instskip(NEXT) | instid1(VALU_DEP_1)
	v_fmac_f32_e32 v12, v25, v11
	v_add_f32_e32 v27, v10, v12
	v_add_f32_e32 v9, v26, v28
	s_delay_alu instid0(VALU_DEP_1)
	v_add_f32_e32 v26, v9, v22
	ds_load_b128 v[9:12], v16 offset:96
	ds_load_2addr_b64 v[22:25], v1 offset0:128 offset1:160
	s_waitcnt lgkmcnt(0)
	v_mul_f32_e32 v28, v23, v10
	v_mul_f32_e32 v10, v22, v10
	s_delay_alu instid0(VALU_DEP_2) | instskip(NEXT) | instid1(VALU_DEP_2)
	v_fma_f32 v28, v22, v9, -v28
	v_fmac_f32_e32 v10, v23, v9
	v_mul_f32_e32 v22, v25, v12
	v_mul_f32_e32 v12, v24, v12
	s_delay_alu instid0(VALU_DEP_3) | instskip(NEXT) | instid1(VALU_DEP_3)
	v_dual_add_f32 v9, v26, v28 :: v_dual_add_f32 v10, v27, v10
	v_fma_f32 v22, v24, v11, -v22
	s_delay_alu instid0(VALU_DEP_3) | instskip(NEXT) | instid1(VALU_DEP_1)
	v_fmac_f32_e32 v12, v25, v11
	v_dual_add_f32 v26, v9, v22 :: v_dual_add_f32 v27, v10, v12
	ds_load_b128 v[9:12], v16 offset:112
	ds_load_2addr_b64 v[22:25], v1 offset0:192 offset1:224
	s_waitcnt lgkmcnt(0)
	v_mul_f32_e32 v28, v23, v10
	v_mul_f32_e32 v10, v22, v10
	s_delay_alu instid0(VALU_DEP_2) | instskip(NEXT) | instid1(VALU_DEP_2)
	v_fma_f32 v28, v22, v9, -v28
	v_fmac_f32_e32 v10, v23, v9
	v_mul_f32_e32 v22, v25, v12
	v_mul_f32_e32 v12, v24, v12
	s_delay_alu instid0(VALU_DEP_3) | instskip(NEXT) | instid1(VALU_DEP_3)
	v_dual_add_f32 v9, v26, v28 :: v_dual_add_f32 v10, v27, v10
	v_fma_f32 v22, v24, v11, -v22
	s_delay_alu instid0(VALU_DEP_3) | instskip(NEXT) | instid1(VALU_DEP_1)
	v_fmac_f32_e32 v12, v25, v11
	v_dual_add_f32 v26, v9, v22 :: v_dual_add_f32 v27, v10, v12
	ds_load_b128 v[9:12], v16 offset:128
	ds_load_2addr_b64 v[22:25], v20 offset1:32
	s_waitcnt lgkmcnt(0)
	v_mul_f32_e32 v28, v23, v10
	v_mul_f32_e32 v10, v22, v10
	s_delay_alu instid0(VALU_DEP_2) | instskip(NEXT) | instid1(VALU_DEP_2)
	v_fma_f32 v28, v22, v9, -v28
	v_fmac_f32_e32 v10, v23, v9
	v_mul_f32_e32 v22, v25, v12
	v_mul_f32_e32 v12, v24, v12
	s_delay_alu instid0(VALU_DEP_3) | instskip(NEXT) | instid1(VALU_DEP_3)
	v_dual_add_f32 v9, v26, v28 :: v_dual_add_f32 v10, v27, v10
	v_fma_f32 v22, v24, v11, -v22
	s_delay_alu instid0(VALU_DEP_3) | instskip(NEXT) | instid1(VALU_DEP_1)
	v_fmac_f32_e32 v12, v25, v11
	v_dual_add_f32 v26, v9, v22 :: v_dual_add_f32 v27, v10, v12
	ds_load_b128 v[9:12], v16 offset:144
	ds_load_2addr_b64 v[22:25], v20 offset0:64 offset1:96
	s_waitcnt lgkmcnt(0)
	v_mul_f32_e32 v28, v23, v10
	v_mul_f32_e32 v10, v22, v10
	s_delay_alu instid0(VALU_DEP_2) | instskip(NEXT) | instid1(VALU_DEP_2)
	v_fma_f32 v28, v22, v9, -v28
	v_fmac_f32_e32 v10, v23, v9
	v_mul_f32_e32 v22, v25, v12
	v_mul_f32_e32 v12, v24, v12
	s_delay_alu instid0(VALU_DEP_3) | instskip(NEXT) | instid1(VALU_DEP_3)
	v_dual_add_f32 v9, v26, v28 :: v_dual_add_f32 v10, v27, v10
	v_fma_f32 v22, v24, v11, -v22
	s_delay_alu instid0(VALU_DEP_3) | instskip(NEXT) | instid1(VALU_DEP_1)
	v_fmac_f32_e32 v12, v25, v11
	v_dual_add_f32 v26, v9, v22 :: v_dual_add_f32 v27, v10, v12
	ds_load_b128 v[9:12], v16 offset:160
	ds_load_2addr_b64 v[22:25], v20 offset0:128 offset1:160
	;; [unrolled: 16-line block ×3, first 2 shown]
	s_waitcnt lgkmcnt(0)
	v_mul_f32_e32 v28, v23, v10
	v_mul_f32_e32 v10, v22, v10
	s_delay_alu instid0(VALU_DEP_2) | instskip(NEXT) | instid1(VALU_DEP_2)
	v_fma_f32 v28, v22, v9, -v28
	v_fmac_f32_e32 v10, v23, v9
	v_mul_f32_e32 v22, v25, v12
	v_mul_f32_e32 v12, v24, v12
	s_delay_alu instid0(VALU_DEP_3) | instskip(NEXT) | instid1(VALU_DEP_3)
	v_dual_add_f32 v9, v26, v28 :: v_dual_add_f32 v10, v27, v10
	v_fma_f32 v22, v24, v11, -v22
	s_delay_alu instid0(VALU_DEP_3) | instskip(NEXT) | instid1(VALU_DEP_1)
	v_fmac_f32_e32 v12, v25, v11
	v_dual_add_f32 v26, v9, v22 :: v_dual_add_f32 v27, v10, v12
	ds_load_b128 v[9:12], v16 offset:192
	ds_load_2addr_b64 v[22:25], v21 offset1:32
	s_waitcnt lgkmcnt(0)
	v_mul_f32_e32 v28, v23, v10
	v_mul_f32_e32 v10, v22, v10
	s_delay_alu instid0(VALU_DEP_2) | instskip(NEXT) | instid1(VALU_DEP_2)
	v_fma_f32 v28, v22, v9, -v28
	v_fmac_f32_e32 v10, v23, v9
	v_mul_f32_e32 v22, v25, v12
	v_mul_f32_e32 v12, v24, v12
	s_delay_alu instid0(VALU_DEP_3) | instskip(NEXT) | instid1(VALU_DEP_3)
	v_dual_add_f32 v9, v26, v28 :: v_dual_add_f32 v10, v27, v10
	v_fma_f32 v22, v24, v11, -v22
	s_delay_alu instid0(VALU_DEP_3) | instskip(NEXT) | instid1(VALU_DEP_1)
	v_fmac_f32_e32 v12, v25, v11
	v_dual_add_f32 v26, v9, v22 :: v_dual_add_f32 v27, v10, v12
	ds_load_b128 v[9:12], v16 offset:208
	ds_load_2addr_b64 v[22:25], v21 offset0:64 offset1:96
	s_waitcnt lgkmcnt(0)
	v_mul_f32_e32 v28, v23, v10
	v_mul_f32_e32 v10, v22, v10
	s_delay_alu instid0(VALU_DEP_2) | instskip(NEXT) | instid1(VALU_DEP_2)
	v_fma_f32 v28, v22, v9, -v28
	v_fmac_f32_e32 v10, v23, v9
	v_mul_f32_e32 v22, v25, v12
	v_mul_f32_e32 v12, v24, v12
	s_delay_alu instid0(VALU_DEP_3) | instskip(NEXT) | instid1(VALU_DEP_3)
	v_dual_add_f32 v9, v26, v28 :: v_dual_add_f32 v10, v27, v10
	v_fma_f32 v22, v24, v11, -v22
	s_delay_alu instid0(VALU_DEP_3) | instskip(NEXT) | instid1(VALU_DEP_1)
	v_fmac_f32_e32 v12, v25, v11
	v_dual_add_f32 v26, v9, v22 :: v_dual_add_f32 v27, v10, v12
	ds_load_b128 v[9:12], v16 offset:224
	ds_load_2addr_b64 v[22:25], v21 offset0:128 offset1:160
	;; [unrolled: 16-line block ×3, first 2 shown]
	s_waitcnt lgkmcnt(0)
	v_mul_f32_e32 v28, v23, v10
	v_mul_f32_e32 v10, v22, v10
	s_delay_alu instid0(VALU_DEP_2) | instskip(NEXT) | instid1(VALU_DEP_2)
	v_fma_f32 v28, v22, v9, -v28
	v_fmac_f32_e32 v10, v23, v9
	v_mul_f32_e32 v22, v25, v12
	v_mul_f32_e32 v12, v24, v12
	s_delay_alu instid0(VALU_DEP_3) | instskip(NEXT) | instid1(VALU_DEP_3)
	v_dual_add_f32 v9, v26, v28 :: v_dual_add_f32 v10, v27, v10
	v_fma_f32 v22, v24, v11, -v22
	s_delay_alu instid0(VALU_DEP_3) | instskip(NEXT) | instid1(VALU_DEP_1)
	v_fmac_f32_e32 v12, v25, v11
	v_dual_add_f32 v11, v9, v22 :: v_dual_add_f32 v10, v10, v12
	s_delay_alu instid0(VALU_DEP_1) | instskip(SKIP_1) | instid1(VALU_DEP_2)
	v_mul_f32_e32 v9, s9, v10
	v_mul_f32_e32 v10, s8, v10
	v_fma_f32 v9, s8, v11, -v9
	s_delay_alu instid0(VALU_DEP_2)
	v_fmac_f32_e32 v10, s9, v11
	global_load_b64 v[11:12], v[3:4], off
	s_waitcnt vmcnt(0)
	v_dual_add_f32 v9, v11, v9 :: v_dual_add_f32 v10, v12, v10
	global_store_b64 v[3:4], v[9:10], off
	s_branch .LBB1308_4
.LBB1308_11:
	v_cmp_eq_u32_e32 vcc_lo, v0, v2
	v_cmp_gt_i32_e64 s0, s11, v0
	s_delay_alu instid0(VALU_DEP_1) | instskip(NEXT) | instid1(SALU_CYCLE_1)
	s_and_b32 s0, vcc_lo, s0
	s_and_saveexec_b32 s1, s0
	s_cbranch_execz .LBB1308_13
; %bb.12:
	v_mul_lo_u32 v1, v0, s7
	v_mul_lo_u32 v4, v13, s6
	v_mad_u64_u32 v[2:3], null, v0, s6, 0
	s_delay_alu instid0(VALU_DEP_1) | instskip(SKIP_1) | instid1(VALU_DEP_2)
	v_add3_u32 v3, v3, v1, v4
	v_mov_b32_e32 v1, v13
	v_lshlrev_b64 v[2:3], 3, v[2:3]
	s_delay_alu instid0(VALU_DEP_2) | instskip(NEXT) | instid1(VALU_DEP_2)
	v_lshlrev_b64 v[0:1], 3, v[0:1]
	v_add_co_u32 v2, vcc_lo, s4, v2
	s_delay_alu instid0(VALU_DEP_3) | instskip(NEXT) | instid1(VALU_DEP_2)
	v_add_co_ci_u32_e32 v3, vcc_lo, s5, v3, vcc_lo
	v_add_co_u32 v0, vcc_lo, v2, v0
	v_mov_b32_e32 v2, 0
	s_delay_alu instid0(VALU_DEP_3)
	v_add_co_ci_u32_e32 v1, vcc_lo, v3, v1, vcc_lo
	global_store_b32 v[0:1], v2, off offset:4
.LBB1308_13:
	s_nop 0
	s_sendmsg sendmsg(MSG_DEALLOC_VGPRS)
	s_endpgm
	.section	.rodata,"a",@progbits
	.p2align	6, 0x0
	.amdhsa_kernel _ZL26rocblas_syr2k_her2k_kernelIlLb0ELb1ELb1ELi32EPK19rocblas_complex_numIfES3_PS1_EvbiT_T4_T5_S5_lS7_S5_lT6_S5_li
		.amdhsa_group_segment_fixed_size 16384
		.amdhsa_private_segment_fixed_size 0
		.amdhsa_kernarg_size 100
		.amdhsa_user_sgpr_count 13
		.amdhsa_user_sgpr_dispatch_ptr 0
		.amdhsa_user_sgpr_queue_ptr 0
		.amdhsa_user_sgpr_kernarg_segment_ptr 1
		.amdhsa_user_sgpr_dispatch_id 0
		.amdhsa_user_sgpr_private_segment_size 0
		.amdhsa_wavefront_size32 1
		.amdhsa_uses_dynamic_stack 0
		.amdhsa_enable_private_segment 0
		.amdhsa_system_sgpr_workgroup_id_x 1
		.amdhsa_system_sgpr_workgroup_id_y 1
		.amdhsa_system_sgpr_workgroup_id_z 1
		.amdhsa_system_sgpr_workgroup_info 0
		.amdhsa_system_vgpr_workitem_id 1
		.amdhsa_next_free_vgpr 39
		.amdhsa_next_free_sgpr 32
		.amdhsa_reserve_vcc 1
		.amdhsa_float_round_mode_32 0
		.amdhsa_float_round_mode_16_64 0
		.amdhsa_float_denorm_mode_32 3
		.amdhsa_float_denorm_mode_16_64 3
		.amdhsa_dx10_clamp 1
		.amdhsa_ieee_mode 1
		.amdhsa_fp16_overflow 0
		.amdhsa_workgroup_processor_mode 1
		.amdhsa_memory_ordered 1
		.amdhsa_forward_progress 0
		.amdhsa_shared_vgpr_count 0
		.amdhsa_exception_fp_ieee_invalid_op 0
		.amdhsa_exception_fp_denorm_src 0
		.amdhsa_exception_fp_ieee_div_zero 0
		.amdhsa_exception_fp_ieee_overflow 0
		.amdhsa_exception_fp_ieee_underflow 0
		.amdhsa_exception_fp_ieee_inexact 0
		.amdhsa_exception_int_div_zero 0
	.end_amdhsa_kernel
	.section	.text._ZL26rocblas_syr2k_her2k_kernelIlLb0ELb1ELb1ELi32EPK19rocblas_complex_numIfES3_PS1_EvbiT_T4_T5_S5_lS7_S5_lT6_S5_li,"axG",@progbits,_ZL26rocblas_syr2k_her2k_kernelIlLb0ELb1ELb1ELi32EPK19rocblas_complex_numIfES3_PS1_EvbiT_T4_T5_S5_lS7_S5_lT6_S5_li,comdat
.Lfunc_end1308:
	.size	_ZL26rocblas_syr2k_her2k_kernelIlLb0ELb1ELb1ELi32EPK19rocblas_complex_numIfES3_PS1_EvbiT_T4_T5_S5_lS7_S5_lT6_S5_li, .Lfunc_end1308-_ZL26rocblas_syr2k_her2k_kernelIlLb0ELb1ELb1ELi32EPK19rocblas_complex_numIfES3_PS1_EvbiT_T4_T5_S5_lS7_S5_lT6_S5_li
                                        ; -- End function
	.section	.AMDGPU.csdata,"",@progbits
; Kernel info:
; codeLenInByte = 2576
; NumSgprs: 34
; NumVgprs: 39
; ScratchSize: 0
; MemoryBound: 0
; FloatMode: 240
; IeeeMode: 1
; LDSByteSize: 16384 bytes/workgroup (compile time only)
; SGPRBlocks: 4
; VGPRBlocks: 4
; NumSGPRsForWavesPerEU: 34
; NumVGPRsForWavesPerEU: 39
; Occupancy: 16
; WaveLimiterHint : 0
; COMPUTE_PGM_RSRC2:SCRATCH_EN: 0
; COMPUTE_PGM_RSRC2:USER_SGPR: 13
; COMPUTE_PGM_RSRC2:TRAP_HANDLER: 0
; COMPUTE_PGM_RSRC2:TGID_X_EN: 1
; COMPUTE_PGM_RSRC2:TGID_Y_EN: 1
; COMPUTE_PGM_RSRC2:TGID_Z_EN: 1
; COMPUTE_PGM_RSRC2:TIDIG_COMP_CNT: 1
	.section	.text._ZL26rocblas_syr2k_her2k_kernelIlLb0ELb1ELb0ELi32E19rocblas_complex_numIdEPKS1_PS1_EvbiT_T4_T5_S5_lS7_S5_lT6_S5_li,"axG",@progbits,_ZL26rocblas_syr2k_her2k_kernelIlLb0ELb1ELb0ELi32E19rocblas_complex_numIdEPKS1_PS1_EvbiT_T4_T5_S5_lS7_S5_lT6_S5_li,comdat
	.globl	_ZL26rocblas_syr2k_her2k_kernelIlLb0ELb1ELb0ELi32E19rocblas_complex_numIdEPKS1_PS1_EvbiT_T4_T5_S5_lS7_S5_lT6_S5_li ; -- Begin function _ZL26rocblas_syr2k_her2k_kernelIlLb0ELb1ELb0ELi32E19rocblas_complex_numIdEPKS1_PS1_EvbiT_T4_T5_S5_lS7_S5_lT6_S5_li
	.p2align	8
	.type	_ZL26rocblas_syr2k_her2k_kernelIlLb0ELb1ELb0ELi32E19rocblas_complex_numIdEPKS1_PS1_EvbiT_T4_T5_S5_lS7_S5_lT6_S5_li,@function
_ZL26rocblas_syr2k_her2k_kernelIlLb0ELb1ELb0ELi32E19rocblas_complex_numIdEPKS1_PS1_EvbiT_T4_T5_S5_lS7_S5_lT6_S5_li: ; @_ZL26rocblas_syr2k_her2k_kernelIlLb0ELb1ELb0ELi32E19rocblas_complex_numIdEPKS1_PS1_EvbiT_T4_T5_S5_lS7_S5_lT6_S5_li
; %bb.0:
	s_load_b512 s[16:31], s[0:1], 0x8
	s_waitcnt lgkmcnt(0)
	v_cmp_eq_f64_e64 s2, s[18:19], 0
	v_cmp_eq_f64_e64 s3, s[20:21], 0
	s_delay_alu instid0(VALU_DEP_1) | instskip(NEXT) | instid1(SALU_CYCLE_1)
	s_and_b32 s2, s2, s3
	s_and_b32 vcc_lo, exec_lo, s2
	s_cbranch_vccnz .LBB1309_13
; %bb.1:
	s_load_b64 s[2:3], s[0:1], 0x0
	s_lshl_b32 s12, s14, 5
	s_lshl_b32 s13, s13, 5
	s_waitcnt lgkmcnt(0)
	s_and_b32 s2, 1, s2
	s_delay_alu instid0(SALU_CYCLE_1) | instskip(SKIP_1) | instid1(SALU_CYCLE_1)
	s_cmp_eq_u32 s2, 1
	s_cselect_b32 s2, -1, 0
	s_and_b32 s4, s2, exec_lo
	s_cselect_b32 s4, s13, s12
	s_cselect_b32 s5, s12, s13
	s_delay_alu instid0(SALU_CYCLE_1)
	s_cmp_gt_i32 s4, s5
	s_cbranch_scc1 .LBB1309_13
; %bb.2:
	s_load_b256 s[4:11], s[0:1], 0x48
	v_and_b32_e32 v18, 0x3ff, v0
	v_bfe_u32 v19, v0, 10, 10
	v_cmp_lt_i64_e64 s14, s[16:17], 1
	s_delay_alu instid0(VALU_DEP_3) | instskip(NEXT) | instid1(VALU_DEP_3)
	v_add_nc_u32_e32 v8, s13, v18
	v_add_nc_u32_e32 v12, s12, v19
	s_delay_alu instid0(VALU_DEP_2)
	v_ashrrev_i32_e32 v11, 31, v8
	s_waitcnt lgkmcnt(0)
	s_mul_i32 s1, s15, s11
	s_mul_hi_u32 s11, s15, s10
	s_mul_i32 s0, s15, s10
	s_add_i32 s1, s11, s1
	s_delay_alu instid0(SALU_CYCLE_1) | instskip(NEXT) | instid1(SALU_CYCLE_1)
	s_lshl_b64 s[0:1], s[0:1], 4
	s_add_u32 s12, s6, s0
	s_addc_u32 s13, s7, s1
	s_and_b32 vcc_lo, exec_lo, s14
	s_cbranch_vccnz .LBB1309_11
; %bb.3:
	v_ashrrev_i32_e32 v0, 31, v12
	v_cndmask_b32_e64 v4, v8, v12, s2
	v_cndmask_b32_e64 v5, v12, v8, s2
	v_max_i32_e32 v2, v8, v12
	v_mul_lo_u32 v7, v12, s9
	v_mul_lo_u32 v10, v0, s8
	v_mad_u64_u32 v[0:1], null, v12, s8, 0
	s_delay_alu instid0(VALU_DEP_4)
	v_cmp_gt_i32_e32 vcc_lo, s3, v2
	v_mad_u64_u32 v[2:3], null, s30, v18, 0
	v_cmp_le_i32_e64 s2, v5, v4
	v_mad_u64_u32 v[4:5], null, s24, v19, 0
	v_dual_mov_b32 v9, 0 :: v_dual_lshlrev_b32 v6, 4, v19
	v_lshlrev_b32_e32 v20, 9, v18
	v_add3_u32 v1, v1, v7, v10
	s_delay_alu instid0(VALU_DEP_3) | instskip(NEXT) | instid1(VALU_DEP_4)
	v_dual_mov_b32 v10, v8 :: v_dual_mov_b32 v13, v9
	v_or_b32_e32 v21, 0x4000, v6
	s_delay_alu instid0(VALU_DEP_4) | instskip(SKIP_2) | instid1(VALU_DEP_4)
	v_add_nc_u32_e32 v22, v20, v6
	v_mad_u64_u32 v[6:7], null, s31, v18, v[3:4]
	v_lshlrev_b64 v[0:1], 4, v[0:1]
	v_add_nc_u32_e32 v23, v21, v20
	s_and_b32 s2, s2, vcc_lo
	s_ashr_i32 s7, s3, 31
	s_mov_b32 s6, s3
	s_mul_i32 s5, s5, s15
	v_add_co_u32 v14, vcc_lo, s12, v0
	v_mov_b32_e32 v3, v6
	v_mad_u64_u32 v[6:7], null, s25, v19, v[5:6]
	v_add_co_ci_u32_e32 v15, vcc_lo, s13, v1, vcc_lo
	v_lshlrev_b64 v[0:1], 4, v[10:11]
	v_cmp_gt_i64_e64 s0, s[6:7], v[8:9]
	v_cmp_gt_i64_e64 s1, s[6:7], v[12:13]
	s_mul_hi_u32 s6, s4, s15
	v_lshlrev_b64 v[2:3], 4, v[2:3]
	s_add_i32 s5, s6, s5
	s_mul_i32 s4, s4, s15
	v_add_co_u32 v14, vcc_lo, v14, v0
	v_mov_b32_e32 v5, v6
	s_lshl_b64 s[4:5], s[4:5], 4
	v_add_co_ci_u32_e32 v15, vcc_lo, v15, v1, vcc_lo
	v_add_co_u32 v6, vcc_lo, s4, v2
	v_add_co_ci_u32_e32 v7, vcc_lo, s5, v3, vcc_lo
	s_mul_i32 s4, s27, s15
	s_mul_hi_u32 s5, s26, s15
	v_lshlrev_b64 v[0:1], 4, v[4:5]
	s_add_i32 s5, s5, s4
	s_mul_i32 s4, s26, s15
	v_lshlrev_b64 v[2:3], 4, v[12:13]
	s_lshl_b64 s[4:5], s[4:5], 4
	s_lshl_b64 s[6:7], s[24:25], 9
	v_add_co_u32 v4, vcc_lo, s4, v0
	v_add_co_ci_u32_e32 v5, vcc_lo, s5, v1, vcc_lo
	v_lshlrev_b64 v[0:1], 4, v[8:9]
	v_add_co_u32 v2, vcc_lo, v6, v2
	v_add_co_ci_u32_e32 v3, vcc_lo, v7, v3, vcc_lo
	s_lshl_b64 s[4:5], s[30:31], 9
	s_delay_alu instid0(VALU_DEP_3) | instskip(NEXT) | instid1(VALU_DEP_4)
	v_add_co_u32 v0, vcc_lo, v4, v0
	v_add_co_ci_u32_e32 v1, vcc_lo, v5, v1, vcc_lo
	v_add_co_u32 v2, vcc_lo, v2, s28
	v_add_co_ci_u32_e32 v3, vcc_lo, s29, v3, vcc_lo
	s_delay_alu instid0(VALU_DEP_4) | instskip(NEXT) | instid1(VALU_DEP_4)
	v_add_co_u32 v0, vcc_lo, v0, s22
	v_add_co_ci_u32_e32 v1, vcc_lo, s23, v1, vcc_lo
	s_delay_alu instid0(VALU_DEP_4) | instskip(NEXT) | instid1(VALU_DEP_4)
	;; [unrolled: 3-line block ×3, first 2 shown]
	v_add_co_u32 v16, vcc_lo, v0, 8
	v_add_co_ci_u32_e32 v17, vcc_lo, 0, v1, vcc_lo
	s_mov_b64 s[10:11], 0
	s_branch .LBB1309_5
.LBB1309_4:                             ;   in Loop: Header=BB1309_5 Depth=1
	s_or_b32 exec_lo, exec_lo, s14
	s_add_u32 s10, s10, 32
	s_addc_u32 s11, s11, 0
	v_add_co_u32 v9, vcc_lo, v9, s4
	v_cmp_ge_i64_e64 s14, s[10:11], s[16:17]
	v_add_co_ci_u32_e32 v10, vcc_lo, s5, v10, vcc_lo
	v_add_co_u32 v16, vcc_lo, v16, s6
	v_add_co_ci_u32_e32 v17, vcc_lo, s7, v17, vcc_lo
	s_delay_alu instid0(VALU_DEP_4)
	s_and_b32 vcc_lo, exec_lo, s14
	s_waitcnt_vscnt null, 0x0
	s_barrier
	buffer_gl0_inv
	s_cbranch_vccnz .LBB1309_11
.LBB1309_5:                             ; =>This Inner Loop Header: Depth=1
	v_add_co_u32 v2, s14, v19, s10
	s_delay_alu instid0(VALU_DEP_1) | instskip(SKIP_2) | instid1(VALU_DEP_3)
	v_add_co_ci_u32_e64 v3, null, 0, s11, s14
	v_mov_b32_e32 v0, 0
	v_mov_b32_e32 v1, 0
	v_cmp_gt_i64_e32 vcc_lo, s[16:17], v[2:3]
	s_delay_alu instid0(VALU_DEP_2) | instskip(SKIP_2) | instid1(SALU_CYCLE_1)
	v_dual_mov_b32 v5, v1 :: v_dual_mov_b32 v4, v0
	v_dual_mov_b32 v7, v1 :: v_dual_mov_b32 v6, v0
	s_and_b32 s15, s0, vcc_lo
	s_and_saveexec_b32 s14, s15
	s_cbranch_execz .LBB1309_7
; %bb.6:                                ;   in Loop: Header=BB1309_5 Depth=1
	global_load_b128 v[4:7], v[16:17], off offset:-8
.LBB1309_7:                             ;   in Loop: Header=BB1309_5 Depth=1
	s_or_b32 exec_lo, exec_lo, s14
	v_add_co_u32 v2, s14, v18, s10
	s_delay_alu instid0(VALU_DEP_1)
	v_add_co_ci_u32_e64 v3, null, 0, s11, s14
	s_waitcnt vmcnt(0)
	ds_store_b128 v22, v[4:7]
	v_cmp_gt_i64_e32 vcc_lo, s[16:17], v[2:3]
	v_dual_mov_b32 v3, v1 :: v_dual_mov_b32 v2, v0
	s_and_b32 s15, s1, vcc_lo
	s_delay_alu instid0(SALU_CYCLE_1)
	s_and_saveexec_b32 s14, s15
	s_cbranch_execz .LBB1309_9
; %bb.8:                                ;   in Loop: Header=BB1309_5 Depth=1
	global_load_b128 v[0:3], v[9:10], off offset:-8
	s_waitcnt vmcnt(0)
	v_xor_b32_e32 v3, 0x80000000, v3
.LBB1309_9:                             ;   in Loop: Header=BB1309_5 Depth=1
	s_or_b32 exec_lo, exec_lo, s14
	ds_store_b128 v23, v[0:3]
	s_waitcnt lgkmcnt(0)
	s_barrier
	buffer_gl0_inv
	s_and_saveexec_b32 s14, s2
	s_cbranch_execz .LBB1309_4
; %bb.10:                               ;   in Loop: Header=BB1309_5 Depth=1
	ds_load_b128 v[0:3], v21
	ds_load_b128 v[4:7], v20
	ds_load_b128 v[24:27], v20 offset:16
	ds_load_b128 v[28:31], v21 offset:512
	s_waitcnt lgkmcnt(2)
	v_mul_f64 v[32:33], v[0:1], v[6:7]
	v_mul_f64 v[6:7], v[2:3], v[6:7]
	s_waitcnt lgkmcnt(0)
	v_mul_f64 v[48:49], v[28:29], v[26:27]
	v_mul_f64 v[26:27], v[30:31], v[26:27]
	s_delay_alu instid0(VALU_DEP_4)
	v_fma_f64 v[2:3], v[2:3], v[4:5], v[32:33]
	ds_load_b128 v[32:35], v21 offset:1024
	ds_load_b128 v[36:39], v20 offset:32
	ds_load_b128 v[40:43], v20 offset:48
	ds_load_b128 v[44:47], v21 offset:1536
	v_fma_f64 v[0:1], v[0:1], v[4:5], -v[6:7]
	v_fma_f64 v[4:5], v[30:31], v[24:25], v[48:49]
	v_fma_f64 v[52:53], v[28:29], v[24:25], -v[26:27]
	s_waitcnt lgkmcnt(2)
	v_mul_f64 v[50:51], v[32:33], v[38:39]
	v_mul_f64 v[38:39], v[34:35], v[38:39]
	s_waitcnt lgkmcnt(0)
	v_mul_f64 v[48:49], v[44:45], v[42:43]
	v_mul_f64 v[42:43], v[46:47], v[42:43]
	v_add_f64 v[2:3], v[2:3], 0
	v_fma_f64 v[34:35], v[34:35], v[36:37], v[50:51]
	v_add_f64 v[50:51], v[0:1], 0
	v_fma_f64 v[32:33], v[32:33], v[36:37], -v[38:39]
	v_fma_f64 v[36:37], v[46:47], v[40:41], v[48:49]
	v_add_f64 v[54:55], v[2:3], v[4:5]
	ds_load_b128 v[0:3], v20 offset:64
	ds_load_b128 v[4:7], v21 offset:2048
	ds_load_b128 v[24:27], v21 offset:2560
	ds_load_b128 v[28:31], v20 offset:80
	s_waitcnt lgkmcnt(2)
	v_mul_f64 v[56:57], v[4:5], v[2:3]
	v_add_f64 v[38:39], v[50:51], v[52:53]
	v_mul_f64 v[2:3], v[6:7], v[2:3]
	s_waitcnt lgkmcnt(0)
	v_mul_f64 v[48:49], v[24:25], v[30:31]
	v_fma_f64 v[50:51], v[44:45], v[40:41], -v[42:43]
	v_mul_f64 v[30:31], v[26:27], v[30:31]
	v_add_f64 v[34:35], v[54:55], v[34:35]
	v_fma_f64 v[6:7], v[6:7], v[0:1], v[56:57]
	v_add_f64 v[52:53], v[38:39], v[32:33]
	v_fma_f64 v[0:1], v[4:5], v[0:1], -v[2:3]
	v_fma_f64 v[2:3], v[26:27], v[28:29], v[48:49]
	v_add_f64 v[54:55], v[34:35], v[36:37]
	ds_load_b128 v[32:35], v20 offset:96
	ds_load_b128 v[36:39], v21 offset:3072
	ds_load_b128 v[40:43], v21 offset:3584
	ds_load_b128 v[44:47], v20 offset:112
	s_waitcnt lgkmcnt(2)
	v_mul_f64 v[56:57], v[36:37], v[34:35]
	v_add_f64 v[4:5], v[52:53], v[50:51]
	v_mul_f64 v[34:35], v[38:39], v[34:35]
	s_waitcnt lgkmcnt(0)
	v_mul_f64 v[48:49], v[40:41], v[46:47]
	v_fma_f64 v[50:51], v[24:25], v[28:29], -v[30:31]
	;; [unrolled: 18-line block ×11, first 2 shown]
	v_mul_f64 v[30:31], v[26:27], v[30:31]
	v_add_f64 v[38:39], v[54:55], v[38:39]
	v_fma_f64 v[6:7], v[6:7], v[0:1], v[56:57]
	v_add_f64 v[52:53], v[36:37], v[32:33]
	v_fma_f64 v[0:1], v[4:5], v[0:1], -v[2:3]
	v_fma_f64 v[2:3], v[26:27], v[28:29], v[48:49]
	v_add_f64 v[54:55], v[38:39], v[34:35]
	ds_load_b128 v[32:35], v20 offset:416
	ds_load_b128 v[36:39], v21 offset:13312
	;; [unrolled: 1-line block ×4, first 2 shown]
	s_waitcnt lgkmcnt(2)
	v_mul_f64 v[56:57], v[36:37], v[34:35]
	v_add_f64 v[4:5], v[52:53], v[50:51]
	v_mul_f64 v[34:35], v[38:39], v[34:35]
	s_waitcnt lgkmcnt(0)
	v_mul_f64 v[52:53], v[40:41], v[46:47]
	v_mul_f64 v[46:47], v[42:43], v[46:47]
	v_add_f64 v[6:7], v[54:55], v[6:7]
	v_fma_f64 v[54:55], v[24:25], v[28:29], -v[30:31]
	v_fma_f64 v[38:39], v[38:39], v[32:33], v[56:57]
	v_add_f64 v[56:57], v[4:5], v[0:1]
	v_fma_f64 v[32:33], v[36:37], v[32:33], -v[34:35]
	v_fma_f64 v[34:35], v[42:43], v[44:45], v[52:53]
	v_add_f64 v[58:59], v[6:7], v[2:3]
	ds_load_b128 v[0:3], v20 offset:448
	ds_load_b128 v[4:7], v21 offset:14336
	global_load_b128 v[24:27], v[14:15], off
	ds_load_b128 v[28:31], v21 offset:14848
	ds_load_b128 v[48:51], v20 offset:464
	v_add_f64 v[36:37], v[56:57], v[54:55]
	s_waitcnt lgkmcnt(2)
	v_mul_f64 v[60:61], v[4:5], v[2:3]
	v_mul_f64 v[2:3], v[6:7], v[2:3]
	s_waitcnt lgkmcnt(0)
	v_mul_f64 v[52:53], v[28:29], v[50:51]
	v_fma_f64 v[54:55], v[40:41], v[44:45], -v[46:47]
	v_mul_f64 v[50:51], v[30:31], v[50:51]
	v_add_f64 v[38:39], v[58:59], v[38:39]
	v_add_f64 v[56:57], v[36:37], v[32:33]
	v_fma_f64 v[6:7], v[6:7], v[0:1], v[60:61]
	v_fma_f64 v[0:1], v[4:5], v[0:1], -v[2:3]
	v_fma_f64 v[2:3], v[30:31], v[48:49], v[52:53]
	v_fma_f64 v[28:29], v[28:29], v[48:49], -v[50:51]
	v_add_f64 v[58:59], v[38:39], v[34:35]
	ds_load_b128 v[32:35], v20 offset:480
	ds_load_b128 v[36:39], v21 offset:15360
	;; [unrolled: 1-line block ×4, first 2 shown]
	s_waitcnt lgkmcnt(2)
	v_mul_f64 v[60:61], v[36:37], v[34:35]
	v_add_f64 v[4:5], v[56:57], v[54:55]
	v_mul_f64 v[30:31], v[38:39], v[34:35]
	s_waitcnt lgkmcnt(0)
	v_mul_f64 v[34:35], v[40:41], v[46:47]
	v_add_f64 v[6:7], v[58:59], v[6:7]
	v_fma_f64 v[38:39], v[38:39], v[32:33], v[60:61]
	v_add_f64 v[0:1], v[4:5], v[0:1]
	v_mul_f64 v[4:5], v[42:43], v[46:47]
	s_delay_alu instid0(VALU_DEP_4)
	v_add_f64 v[2:3], v[6:7], v[2:3]
	v_fma_f64 v[6:7], v[36:37], v[32:33], -v[30:31]
	v_fma_f64 v[30:31], v[42:43], v[44:45], v[34:35]
	v_add_f64 v[0:1], v[0:1], v[28:29]
	v_fma_f64 v[4:5], v[40:41], v[44:45], -v[4:5]
	v_add_f64 v[2:3], v[2:3], v[38:39]
	s_delay_alu instid0(VALU_DEP_3) | instskip(NEXT) | instid1(VALU_DEP_2)
	v_add_f64 v[0:1], v[0:1], v[6:7]
	v_add_f64 v[2:3], v[2:3], v[30:31]
	s_delay_alu instid0(VALU_DEP_2) | instskip(NEXT) | instid1(VALU_DEP_2)
	v_add_f64 v[0:1], v[0:1], v[4:5]
	v_mul_f64 v[4:5], s[20:21], v[2:3]
	v_mul_f64 v[2:3], s[18:19], v[2:3]
	s_delay_alu instid0(VALU_DEP_2) | instskip(NEXT) | instid1(VALU_DEP_2)
	v_fma_f64 v[4:5], s[18:19], v[0:1], -v[4:5]
	v_fma_f64 v[2:3], s[20:21], v[0:1], v[2:3]
	s_waitcnt vmcnt(0)
	s_delay_alu instid0(VALU_DEP_2) | instskip(NEXT) | instid1(VALU_DEP_2)
	v_add_f64 v[0:1], v[24:25], v[4:5]
	v_add_f64 v[2:3], v[26:27], v[2:3]
	global_store_b128 v[14:15], v[0:3], off
	s_branch .LBB1309_4
.LBB1309_11:
	v_cmp_eq_u32_e32 vcc_lo, v8, v12
	v_cmp_gt_i32_e64 s0, s3, v8
	s_delay_alu instid0(VALU_DEP_1) | instskip(NEXT) | instid1(SALU_CYCLE_1)
	s_and_b32 s0, vcc_lo, s0
	s_and_saveexec_b32 s1, s0
	s_cbranch_execz .LBB1309_13
; %bb.12:
	v_mul_lo_u32 v2, v8, s9
	v_mul_lo_u32 v3, v11, s8
	v_mad_u64_u32 v[0:1], null, v8, s8, 0
	v_mov_b32_e32 v9, v11
	s_delay_alu instid0(VALU_DEP_2) | instskip(NEXT) | instid1(VALU_DEP_1)
	v_add3_u32 v1, v1, v2, v3
	v_lshlrev_b64 v[0:1], 4, v[0:1]
	s_delay_alu instid0(VALU_DEP_1) | instskip(SKIP_2) | instid1(VALU_DEP_4)
	v_add_co_u32 v4, vcc_lo, s12, v0
	v_mov_b32_e32 v0, 0
	v_lshlrev_b64 v[2:3], 4, v[8:9]
	v_add_co_ci_u32_e32 v1, vcc_lo, s13, v1, vcc_lo
	s_delay_alu instid0(VALU_DEP_2) | instskip(NEXT) | instid1(VALU_DEP_2)
	v_add_co_u32 v2, vcc_lo, v4, v2
	v_add_co_ci_u32_e32 v3, vcc_lo, v1, v3, vcc_lo
	v_mov_b32_e32 v1, v0
	global_store_b64 v[2:3], v[0:1], off offset:8
.LBB1309_13:
	s_nop 0
	s_sendmsg sendmsg(MSG_DEALLOC_VGPRS)
	s_endpgm
	.section	.rodata,"a",@progbits
	.p2align	6, 0x0
	.amdhsa_kernel _ZL26rocblas_syr2k_her2k_kernelIlLb0ELb1ELb0ELi32E19rocblas_complex_numIdEPKS1_PS1_EvbiT_T4_T5_S5_lS7_S5_lT6_S5_li
		.amdhsa_group_segment_fixed_size 32768
		.amdhsa_private_segment_fixed_size 0
		.amdhsa_kernarg_size 108
		.amdhsa_user_sgpr_count 13
		.amdhsa_user_sgpr_dispatch_ptr 0
		.amdhsa_user_sgpr_queue_ptr 0
		.amdhsa_user_sgpr_kernarg_segment_ptr 1
		.amdhsa_user_sgpr_dispatch_id 0
		.amdhsa_user_sgpr_private_segment_size 0
		.amdhsa_wavefront_size32 1
		.amdhsa_uses_dynamic_stack 0
		.amdhsa_enable_private_segment 0
		.amdhsa_system_sgpr_workgroup_id_x 1
		.amdhsa_system_sgpr_workgroup_id_y 1
		.amdhsa_system_sgpr_workgroup_id_z 1
		.amdhsa_system_sgpr_workgroup_info 0
		.amdhsa_system_vgpr_workitem_id 1
		.amdhsa_next_free_vgpr 62
		.amdhsa_next_free_sgpr 32
		.amdhsa_reserve_vcc 1
		.amdhsa_float_round_mode_32 0
		.amdhsa_float_round_mode_16_64 0
		.amdhsa_float_denorm_mode_32 3
		.amdhsa_float_denorm_mode_16_64 3
		.amdhsa_dx10_clamp 1
		.amdhsa_ieee_mode 1
		.amdhsa_fp16_overflow 0
		.amdhsa_workgroup_processor_mode 1
		.amdhsa_memory_ordered 1
		.amdhsa_forward_progress 0
		.amdhsa_shared_vgpr_count 0
		.amdhsa_exception_fp_ieee_invalid_op 0
		.amdhsa_exception_fp_denorm_src 0
		.amdhsa_exception_fp_ieee_div_zero 0
		.amdhsa_exception_fp_ieee_overflow 0
		.amdhsa_exception_fp_ieee_underflow 0
		.amdhsa_exception_fp_ieee_inexact 0
		.amdhsa_exception_int_div_zero 0
	.end_amdhsa_kernel
	.section	.text._ZL26rocblas_syr2k_her2k_kernelIlLb0ELb1ELb0ELi32E19rocblas_complex_numIdEPKS1_PS1_EvbiT_T4_T5_S5_lS7_S5_lT6_S5_li,"axG",@progbits,_ZL26rocblas_syr2k_her2k_kernelIlLb0ELb1ELb0ELi32E19rocblas_complex_numIdEPKS1_PS1_EvbiT_T4_T5_S5_lS7_S5_lT6_S5_li,comdat
.Lfunc_end1309:
	.size	_ZL26rocblas_syr2k_her2k_kernelIlLb0ELb1ELb0ELi32E19rocblas_complex_numIdEPKS1_PS1_EvbiT_T4_T5_S5_lS7_S5_lT6_S5_li, .Lfunc_end1309-_ZL26rocblas_syr2k_her2k_kernelIlLb0ELb1ELb0ELi32E19rocblas_complex_numIdEPKS1_PS1_EvbiT_T4_T5_S5_lS7_S5_lT6_S5_li
                                        ; -- End function
	.section	.AMDGPU.csdata,"",@progbits
; Kernel info:
; codeLenInByte = 3304
; NumSgprs: 34
; NumVgprs: 62
; ScratchSize: 0
; MemoryBound: 1
; FloatMode: 240
; IeeeMode: 1
; LDSByteSize: 32768 bytes/workgroup (compile time only)
; SGPRBlocks: 4
; VGPRBlocks: 7
; NumSGPRsForWavesPerEU: 34
; NumVGPRsForWavesPerEU: 62
; Occupancy: 16
; WaveLimiterHint : 0
; COMPUTE_PGM_RSRC2:SCRATCH_EN: 0
; COMPUTE_PGM_RSRC2:USER_SGPR: 13
; COMPUTE_PGM_RSRC2:TRAP_HANDLER: 0
; COMPUTE_PGM_RSRC2:TGID_X_EN: 1
; COMPUTE_PGM_RSRC2:TGID_Y_EN: 1
; COMPUTE_PGM_RSRC2:TGID_Z_EN: 1
; COMPUTE_PGM_RSRC2:TIDIG_COMP_CNT: 1
	.section	.text._ZL26rocblas_syr2k_her2k_kernelIlLb0ELb1ELb1ELi32E19rocblas_complex_numIdEPKS1_PS1_EvbiT_T4_T5_S5_lS7_S5_lT6_S5_li,"axG",@progbits,_ZL26rocblas_syr2k_her2k_kernelIlLb0ELb1ELb1ELi32E19rocblas_complex_numIdEPKS1_PS1_EvbiT_T4_T5_S5_lS7_S5_lT6_S5_li,comdat
	.globl	_ZL26rocblas_syr2k_her2k_kernelIlLb0ELb1ELb1ELi32E19rocblas_complex_numIdEPKS1_PS1_EvbiT_T4_T5_S5_lS7_S5_lT6_S5_li ; -- Begin function _ZL26rocblas_syr2k_her2k_kernelIlLb0ELb1ELb1ELi32E19rocblas_complex_numIdEPKS1_PS1_EvbiT_T4_T5_S5_lS7_S5_lT6_S5_li
	.p2align	8
	.type	_ZL26rocblas_syr2k_her2k_kernelIlLb0ELb1ELb1ELi32E19rocblas_complex_numIdEPKS1_PS1_EvbiT_T4_T5_S5_lS7_S5_lT6_S5_li,@function
_ZL26rocblas_syr2k_her2k_kernelIlLb0ELb1ELb1ELi32E19rocblas_complex_numIdEPKS1_PS1_EvbiT_T4_T5_S5_lS7_S5_lT6_S5_li: ; @_ZL26rocblas_syr2k_her2k_kernelIlLb0ELb1ELb1ELi32E19rocblas_complex_numIdEPKS1_PS1_EvbiT_T4_T5_S5_lS7_S5_lT6_S5_li
; %bb.0:
	s_load_b512 s[16:31], s[0:1], 0x8
	s_waitcnt lgkmcnt(0)
	v_cmp_eq_f64_e64 s2, s[18:19], 0
	v_cmp_eq_f64_e64 s3, s[20:21], 0
	s_delay_alu instid0(VALU_DEP_1) | instskip(NEXT) | instid1(SALU_CYCLE_1)
	s_and_b32 s2, s2, s3
	s_and_b32 vcc_lo, exec_lo, s2
	s_cbranch_vccnz .LBB1310_13
; %bb.1:
	s_load_b64 s[34:35], s[0:1], 0x0
	s_lshl_b32 s3, s14, 5
	s_lshl_b32 s12, s13, 5
	s_waitcnt lgkmcnt(0)
	s_and_b32 s2, 1, s34
	s_delay_alu instid0(SALU_CYCLE_1) | instskip(SKIP_1) | instid1(SALU_CYCLE_1)
	s_cmp_eq_u32 s2, 1
	s_cselect_b32 s2, -1, 0
	s_and_b32 s4, s2, exec_lo
	s_cselect_b32 s4, s12, s3
	s_cselect_b32 s5, s3, s12
	s_delay_alu instid0(SALU_CYCLE_1)
	s_cmp_gt_i32 s4, s5
	s_cbranch_scc1 .LBB1310_13
; %bb.2:
	s_load_b256 s[4:11], s[0:1], 0x48
	v_and_b32_e32 v18, 0x3ff, v0
	v_bfe_u32 v19, v0, 10, 10
	v_cmp_lt_i64_e64 s13, s[16:17], 1
	s_delay_alu instid0(VALU_DEP_3) | instskip(NEXT) | instid1(VALU_DEP_3)
	v_add_nc_u32_e32 v8, s12, v18
	v_add_nc_u32_e32 v10, s3, v19
	s_delay_alu instid0(VALU_DEP_2)
	v_ashrrev_i32_e32 v17, 31, v8
	s_waitcnt lgkmcnt(0)
	s_mul_i32 s1, s15, s11
	s_mul_hi_u32 s11, s15, s10
	s_mul_i32 s0, s15, s10
	s_add_i32 s1, s11, s1
	s_delay_alu instid0(SALU_CYCLE_1) | instskip(NEXT) | instid1(SALU_CYCLE_1)
	s_lshl_b64 s[0:1], s[0:1], 4
	s_add_u32 s6, s6, s0
	s_addc_u32 s7, s7, s1
	s_and_b32 vcc_lo, exec_lo, s13
	s_cbranch_vccnz .LBB1310_11
; %bb.3:
	v_ashrrev_i32_e32 v0, 31, v10
	v_cndmask_b32_e64 v4, v8, v10, s2
	v_cndmask_b32_e64 v5, v10, v8, s2
	v_mul_lo_u32 v6, v10, s9
	v_mad_u64_u32 v[2:3], null, s30, v10, 0
	v_mul_lo_u32 v7, v0, s8
	v_mad_u64_u32 v[0:1], null, v10, s8, 0
	v_cmp_le_i32_e64 s2, v5, v4
	v_mad_u64_u32 v[4:5], null, s24, v8, 0
	v_dual_mov_b32 v9, 0 :: v_dual_lshlrev_b32 v20, 9, v18
	s_ashr_i32 s11, s35, 31
	s_delay_alu instid0(VALU_DEP_4)
	v_add3_u32 v1, v1, v6, v7
	s_mov_b32 s10, s35
	v_lshlrev_b32_e32 v13, 4, v19
	v_cmp_gt_i64_e64 s0, s[10:11], v[8:9]
	v_mov_b32_e32 v11, v9
	v_max_i32_e32 v9, v8, v10
	v_mad_u64_u32 v[6:7], null, s31, v10, v[3:4]
	v_add_nc_u32_e32 v22, v20, v13
	v_lshlrev_b64 v[0:1], 4, v[0:1]
	s_delay_alu instid0(VALU_DEP_4)
	v_cmp_gt_i32_e32 vcc_lo, s35, v9
	v_mov_b32_e32 v9, v17
	v_cmp_gt_i64_e64 s1, s[10:11], v[10:11]
	v_or_b32_e32 v21, 0x4000, v13
	v_mov_b32_e32 v3, v6
	v_add_co_u32 v11, s3, s6, v0
	v_mad_u64_u32 v[6:7], null, s25, v8, v[5:6]
	v_add_co_ci_u32_e64 v12, s3, s7, v1, s3
	v_lshlrev_b64 v[0:1], 4, v[8:9]
	s_mul_i32 s3, s5, s15
	s_mul_hi_u32 s5, s4, s15
	v_lshlrev_b64 v[2:3], 4, v[2:3]
	s_add_i32 s5, s5, s3
	s_mul_i32 s4, s4, s15
	v_add_co_u32 v11, s3, v11, v0
	s_lshl_b64 s[4:5], s[4:5], 4
	v_mov_b32_e32 v5, v6
	v_add_co_ci_u32_e64 v12, s3, v12, v1, s3
	v_add_co_u32 v2, s3, s4, v2
	s_delay_alu instid0(VALU_DEP_1)
	v_add_co_ci_u32_e64 v3, s3, s5, v3, s3
	s_mul_i32 s3, s27, s15
	s_mul_hi_u32 s4, s26, s15
	v_lshlrev_b64 v[0:1], 4, v[4:5]
	v_lshlrev_b32_e32 v4, 4, v18
	s_add_i32 s5, s4, s3
	s_mul_i32 s4, s26, s15
	v_add_nc_u32_e32 v23, v21, v20
	s_lshl_b64 s[4:5], s[4:5], 4
	s_delay_alu instid0(SALU_CYCLE_1) | instskip(NEXT) | instid1(VALU_DEP_1)
	v_add_co_u32 v0, s3, s4, v0
	v_add_co_ci_u32_e64 v1, s3, s5, v1, s3
	v_add_co_u32 v2, s3, v2, v4
	s_delay_alu instid0(VALU_DEP_1) | instskip(NEXT) | instid1(VALU_DEP_4)
	v_add_co_ci_u32_e64 v3, s3, 0, v3, s3
	v_add_co_u32 v0, s3, v0, v13
	s_delay_alu instid0(VALU_DEP_1) | instskip(NEXT) | instid1(VALU_DEP_4)
	;; [unrolled: 3-line block ×5, first 2 shown]
	v_add_co_ci_u32_e64 v14, s3, 0, v3, s3
	v_add_co_u32 v15, s3, v0, 8
	s_delay_alu instid0(VALU_DEP_1)
	v_add_co_ci_u32_e64 v16, s3, 0, v1, s3
	s_and_b32 s4, s2, vcc_lo
	s_mov_b64 s[2:3], 0
	s_branch .LBB1310_5
.LBB1310_4:                             ;   in Loop: Header=BB1310_5 Depth=1
	s_or_b32 exec_lo, exec_lo, s5
	s_add_u32 s2, s2, 32
	s_addc_u32 s3, s3, 0
	v_add_co_u32 v13, vcc_lo, 0x200, v13
	v_cmp_ge_i64_e64 s5, s[2:3], s[16:17]
	v_add_co_ci_u32_e32 v14, vcc_lo, 0, v14, vcc_lo
	v_add_co_u32 v15, vcc_lo, 0x200, v15
	v_add_co_ci_u32_e32 v16, vcc_lo, 0, v16, vcc_lo
	s_delay_alu instid0(VALU_DEP_4)
	s_and_b32 vcc_lo, exec_lo, s5
	s_waitcnt_vscnt null, 0x0
	s_barrier
	buffer_gl0_inv
	s_cbranch_vccnz .LBB1310_11
.LBB1310_5:                             ; =>This Inner Loop Header: Depth=1
	v_add_co_u32 v2, s5, v19, s2
	s_delay_alu instid0(VALU_DEP_1) | instskip(SKIP_2) | instid1(VALU_DEP_3)
	v_add_co_ci_u32_e64 v3, null, 0, s3, s5
	v_mov_b32_e32 v0, 0
	v_mov_b32_e32 v1, 0
	v_cmp_gt_i64_e32 vcc_lo, s[16:17], v[2:3]
	s_delay_alu instid0(VALU_DEP_2) | instskip(SKIP_2) | instid1(SALU_CYCLE_1)
	v_dual_mov_b32 v5, v1 :: v_dual_mov_b32 v4, v0
	v_dual_mov_b32 v7, v1 :: v_dual_mov_b32 v6, v0
	s_and_b32 s10, s0, vcc_lo
	s_and_saveexec_b32 s5, s10
	s_cbranch_execz .LBB1310_7
; %bb.6:                                ;   in Loop: Header=BB1310_5 Depth=1
	global_load_b128 v[4:7], v[15:16], off offset:-8
	s_waitcnt vmcnt(0)
	v_xor_b32_e32 v7, 0x80000000, v7
.LBB1310_7:                             ;   in Loop: Header=BB1310_5 Depth=1
	s_or_b32 exec_lo, exec_lo, s5
	v_add_co_u32 v2, s5, v18, s2
	s_delay_alu instid0(VALU_DEP_1) | instskip(SKIP_4) | instid1(SALU_CYCLE_1)
	v_add_co_ci_u32_e64 v3, null, 0, s3, s5
	ds_store_b128 v22, v[4:7]
	v_cmp_gt_i64_e32 vcc_lo, s[16:17], v[2:3]
	v_dual_mov_b32 v3, v1 :: v_dual_mov_b32 v2, v0
	s_and_b32 s10, s1, vcc_lo
	s_and_saveexec_b32 s5, s10
	s_cbranch_execz .LBB1310_9
; %bb.8:                                ;   in Loop: Header=BB1310_5 Depth=1
	global_load_b128 v[0:3], v[13:14], off offset:-8
.LBB1310_9:                             ;   in Loop: Header=BB1310_5 Depth=1
	s_or_b32 exec_lo, exec_lo, s5
	s_waitcnt vmcnt(0)
	ds_store_b128 v23, v[0:3]
	s_waitcnt lgkmcnt(0)
	s_barrier
	buffer_gl0_inv
	s_and_saveexec_b32 s5, s4
	s_cbranch_execz .LBB1310_4
; %bb.10:                               ;   in Loop: Header=BB1310_5 Depth=1
	ds_load_b128 v[0:3], v21
	ds_load_b128 v[4:7], v20
	ds_load_b128 v[24:27], v20 offset:16
	ds_load_b128 v[28:31], v21 offset:512
	s_waitcnt lgkmcnt(2)
	v_mul_f64 v[32:33], v[0:1], v[6:7]
	v_mul_f64 v[6:7], v[2:3], v[6:7]
	s_waitcnt lgkmcnt(0)
	v_mul_f64 v[48:49], v[28:29], v[26:27]
	v_mul_f64 v[26:27], v[30:31], v[26:27]
	s_delay_alu instid0(VALU_DEP_4)
	v_fma_f64 v[2:3], v[2:3], v[4:5], v[32:33]
	ds_load_b128 v[32:35], v21 offset:1024
	ds_load_b128 v[36:39], v20 offset:32
	;; [unrolled: 1-line block ×4, first 2 shown]
	v_fma_f64 v[0:1], v[0:1], v[4:5], -v[6:7]
	v_fma_f64 v[4:5], v[30:31], v[24:25], v[48:49]
	v_fma_f64 v[52:53], v[28:29], v[24:25], -v[26:27]
	s_waitcnt lgkmcnt(2)
	v_mul_f64 v[50:51], v[32:33], v[38:39]
	v_mul_f64 v[38:39], v[34:35], v[38:39]
	s_waitcnt lgkmcnt(0)
	v_mul_f64 v[48:49], v[44:45], v[42:43]
	v_mul_f64 v[42:43], v[46:47], v[42:43]
	v_add_f64 v[2:3], v[2:3], 0
	v_fma_f64 v[34:35], v[34:35], v[36:37], v[50:51]
	v_add_f64 v[50:51], v[0:1], 0
	v_fma_f64 v[32:33], v[32:33], v[36:37], -v[38:39]
	v_fma_f64 v[36:37], v[46:47], v[40:41], v[48:49]
	v_add_f64 v[54:55], v[2:3], v[4:5]
	ds_load_b128 v[0:3], v20 offset:64
	ds_load_b128 v[4:7], v21 offset:2048
	ds_load_b128 v[24:27], v21 offset:2560
	ds_load_b128 v[28:31], v20 offset:80
	s_waitcnt lgkmcnt(2)
	v_mul_f64 v[56:57], v[4:5], v[2:3]
	v_add_f64 v[38:39], v[50:51], v[52:53]
	v_mul_f64 v[2:3], v[6:7], v[2:3]
	s_waitcnt lgkmcnt(0)
	v_mul_f64 v[48:49], v[24:25], v[30:31]
	v_fma_f64 v[50:51], v[44:45], v[40:41], -v[42:43]
	v_mul_f64 v[30:31], v[26:27], v[30:31]
	v_add_f64 v[34:35], v[54:55], v[34:35]
	v_fma_f64 v[6:7], v[6:7], v[0:1], v[56:57]
	v_add_f64 v[52:53], v[38:39], v[32:33]
	v_fma_f64 v[0:1], v[4:5], v[0:1], -v[2:3]
	v_fma_f64 v[2:3], v[26:27], v[28:29], v[48:49]
	v_add_f64 v[54:55], v[34:35], v[36:37]
	ds_load_b128 v[32:35], v20 offset:96
	ds_load_b128 v[36:39], v21 offset:3072
	ds_load_b128 v[40:43], v21 offset:3584
	ds_load_b128 v[44:47], v20 offset:112
	s_waitcnt lgkmcnt(2)
	v_mul_f64 v[56:57], v[36:37], v[34:35]
	v_add_f64 v[4:5], v[52:53], v[50:51]
	v_mul_f64 v[34:35], v[38:39], v[34:35]
	s_waitcnt lgkmcnt(0)
	v_mul_f64 v[48:49], v[40:41], v[46:47]
	v_fma_f64 v[50:51], v[24:25], v[28:29], -v[30:31]
	v_mul_f64 v[46:47], v[42:43], v[46:47]
	v_add_f64 v[6:7], v[54:55], v[6:7]
	v_fma_f64 v[38:39], v[38:39], v[32:33], v[56:57]
	v_add_f64 v[52:53], v[4:5], v[0:1]
	v_fma_f64 v[32:33], v[36:37], v[32:33], -v[34:35]
	v_fma_f64 v[34:35], v[42:43], v[44:45], v[48:49]
	v_add_f64 v[54:55], v[6:7], v[2:3]
	ds_load_b128 v[0:3], v20 offset:128
	ds_load_b128 v[4:7], v21 offset:4096
	ds_load_b128 v[24:27], v21 offset:4608
	ds_load_b128 v[28:31], v20 offset:144
	s_waitcnt lgkmcnt(2)
	v_mul_f64 v[56:57], v[4:5], v[2:3]
	v_add_f64 v[36:37], v[52:53], v[50:51]
	v_mul_f64 v[2:3], v[6:7], v[2:3]
	s_waitcnt lgkmcnt(0)
	v_mul_f64 v[48:49], v[24:25], v[30:31]
	v_fma_f64 v[50:51], v[40:41], v[44:45], -v[46:47]
	v_mul_f64 v[30:31], v[26:27], v[30:31]
	v_add_f64 v[38:39], v[54:55], v[38:39]
	v_fma_f64 v[6:7], v[6:7], v[0:1], v[56:57]
	v_add_f64 v[52:53], v[36:37], v[32:33]
	v_fma_f64 v[0:1], v[4:5], v[0:1], -v[2:3]
	v_fma_f64 v[2:3], v[26:27], v[28:29], v[48:49]
	v_add_f64 v[54:55], v[38:39], v[34:35]
	ds_load_b128 v[32:35], v20 offset:160
	ds_load_b128 v[36:39], v21 offset:5120
	ds_load_b128 v[40:43], v21 offset:5632
	ds_load_b128 v[44:47], v20 offset:176
	s_waitcnt lgkmcnt(2)
	v_mul_f64 v[56:57], v[36:37], v[34:35]
	v_add_f64 v[4:5], v[52:53], v[50:51]
	v_mul_f64 v[34:35], v[38:39], v[34:35]
	s_waitcnt lgkmcnt(0)
	v_mul_f64 v[48:49], v[40:41], v[46:47]
	v_fma_f64 v[50:51], v[24:25], v[28:29], -v[30:31]
	v_mul_f64 v[46:47], v[42:43], v[46:47]
	v_add_f64 v[6:7], v[54:55], v[6:7]
	v_fma_f64 v[38:39], v[38:39], v[32:33], v[56:57]
	v_add_f64 v[52:53], v[4:5], v[0:1]
	v_fma_f64 v[32:33], v[36:37], v[32:33], -v[34:35]
	v_fma_f64 v[34:35], v[42:43], v[44:45], v[48:49]
	v_add_f64 v[54:55], v[6:7], v[2:3]
	ds_load_b128 v[0:3], v20 offset:192
	ds_load_b128 v[4:7], v21 offset:6144
	ds_load_b128 v[24:27], v21 offset:6656
	ds_load_b128 v[28:31], v20 offset:208
	s_waitcnt lgkmcnt(2)
	v_mul_f64 v[56:57], v[4:5], v[2:3]
	v_add_f64 v[36:37], v[52:53], v[50:51]
	v_mul_f64 v[2:3], v[6:7], v[2:3]
	s_waitcnt lgkmcnt(0)
	v_mul_f64 v[48:49], v[24:25], v[30:31]
	v_fma_f64 v[50:51], v[40:41], v[44:45], -v[46:47]
	v_mul_f64 v[30:31], v[26:27], v[30:31]
	v_add_f64 v[38:39], v[54:55], v[38:39]
	v_fma_f64 v[6:7], v[6:7], v[0:1], v[56:57]
	v_add_f64 v[52:53], v[36:37], v[32:33]
	v_fma_f64 v[0:1], v[4:5], v[0:1], -v[2:3]
	v_fma_f64 v[2:3], v[26:27], v[28:29], v[48:49]
	v_add_f64 v[54:55], v[38:39], v[34:35]
	ds_load_b128 v[32:35], v20 offset:224
	ds_load_b128 v[36:39], v21 offset:7168
	ds_load_b128 v[40:43], v21 offset:7680
	ds_load_b128 v[44:47], v20 offset:240
	s_waitcnt lgkmcnt(2)
	v_mul_f64 v[56:57], v[36:37], v[34:35]
	v_add_f64 v[4:5], v[52:53], v[50:51]
	v_mul_f64 v[34:35], v[38:39], v[34:35]
	s_waitcnt lgkmcnt(0)
	v_mul_f64 v[48:49], v[40:41], v[46:47]
	v_fma_f64 v[50:51], v[24:25], v[28:29], -v[30:31]
	v_mul_f64 v[46:47], v[42:43], v[46:47]
	v_add_f64 v[6:7], v[54:55], v[6:7]
	v_fma_f64 v[38:39], v[38:39], v[32:33], v[56:57]
	v_add_f64 v[52:53], v[4:5], v[0:1]
	v_fma_f64 v[32:33], v[36:37], v[32:33], -v[34:35]
	v_fma_f64 v[34:35], v[42:43], v[44:45], v[48:49]
	v_add_f64 v[54:55], v[6:7], v[2:3]
	ds_load_b128 v[0:3], v20 offset:256
	ds_load_b128 v[4:7], v21 offset:8192
	ds_load_b128 v[24:27], v21 offset:8704
	ds_load_b128 v[28:31], v20 offset:272
	s_waitcnt lgkmcnt(2)
	v_mul_f64 v[56:57], v[4:5], v[2:3]
	v_add_f64 v[36:37], v[52:53], v[50:51]
	v_mul_f64 v[2:3], v[6:7], v[2:3]
	s_waitcnt lgkmcnt(0)
	v_mul_f64 v[48:49], v[24:25], v[30:31]
	v_fma_f64 v[50:51], v[40:41], v[44:45], -v[46:47]
	v_mul_f64 v[30:31], v[26:27], v[30:31]
	v_add_f64 v[38:39], v[54:55], v[38:39]
	v_fma_f64 v[6:7], v[6:7], v[0:1], v[56:57]
	v_add_f64 v[52:53], v[36:37], v[32:33]
	v_fma_f64 v[0:1], v[4:5], v[0:1], -v[2:3]
	v_fma_f64 v[2:3], v[26:27], v[28:29], v[48:49]
	v_add_f64 v[54:55], v[38:39], v[34:35]
	ds_load_b128 v[32:35], v20 offset:288
	ds_load_b128 v[36:39], v21 offset:9216
	ds_load_b128 v[40:43], v21 offset:9728
	ds_load_b128 v[44:47], v20 offset:304
	s_waitcnt lgkmcnt(2)
	v_mul_f64 v[56:57], v[36:37], v[34:35]
	v_add_f64 v[4:5], v[52:53], v[50:51]
	v_mul_f64 v[34:35], v[38:39], v[34:35]
	s_waitcnt lgkmcnt(0)
	v_mul_f64 v[48:49], v[40:41], v[46:47]
	v_fma_f64 v[50:51], v[24:25], v[28:29], -v[30:31]
	v_mul_f64 v[46:47], v[42:43], v[46:47]
	v_add_f64 v[6:7], v[54:55], v[6:7]
	v_fma_f64 v[38:39], v[38:39], v[32:33], v[56:57]
	v_add_f64 v[52:53], v[4:5], v[0:1]
	v_fma_f64 v[32:33], v[36:37], v[32:33], -v[34:35]
	v_fma_f64 v[34:35], v[42:43], v[44:45], v[48:49]
	v_add_f64 v[54:55], v[6:7], v[2:3]
	ds_load_b128 v[0:3], v20 offset:320
	ds_load_b128 v[4:7], v21 offset:10240
	ds_load_b128 v[24:27], v21 offset:10752
	ds_load_b128 v[28:31], v20 offset:336
	s_waitcnt lgkmcnt(2)
	v_mul_f64 v[56:57], v[4:5], v[2:3]
	v_add_f64 v[36:37], v[52:53], v[50:51]
	v_mul_f64 v[2:3], v[6:7], v[2:3]
	s_waitcnt lgkmcnt(0)
	v_mul_f64 v[48:49], v[24:25], v[30:31]
	v_fma_f64 v[50:51], v[40:41], v[44:45], -v[46:47]
	v_mul_f64 v[30:31], v[26:27], v[30:31]
	v_add_f64 v[38:39], v[54:55], v[38:39]
	v_fma_f64 v[6:7], v[6:7], v[0:1], v[56:57]
	v_add_f64 v[52:53], v[36:37], v[32:33]
	v_fma_f64 v[0:1], v[4:5], v[0:1], -v[2:3]
	v_fma_f64 v[2:3], v[26:27], v[28:29], v[48:49]
	v_add_f64 v[54:55], v[38:39], v[34:35]
	ds_load_b128 v[32:35], v20 offset:352
	ds_load_b128 v[36:39], v21 offset:11264
	ds_load_b128 v[40:43], v21 offset:11776
	ds_load_b128 v[44:47], v20 offset:368
	s_waitcnt lgkmcnt(2)
	v_mul_f64 v[56:57], v[36:37], v[34:35]
	v_add_f64 v[4:5], v[52:53], v[50:51]
	v_mul_f64 v[34:35], v[38:39], v[34:35]
	s_waitcnt lgkmcnt(0)
	v_mul_f64 v[48:49], v[40:41], v[46:47]
	v_fma_f64 v[50:51], v[24:25], v[28:29], -v[30:31]
	v_mul_f64 v[46:47], v[42:43], v[46:47]
	v_add_f64 v[6:7], v[54:55], v[6:7]
	v_fma_f64 v[38:39], v[38:39], v[32:33], v[56:57]
	v_add_f64 v[52:53], v[4:5], v[0:1]
	v_fma_f64 v[32:33], v[36:37], v[32:33], -v[34:35]
	v_fma_f64 v[34:35], v[42:43], v[44:45], v[48:49]
	v_add_f64 v[54:55], v[6:7], v[2:3]
	ds_load_b128 v[0:3], v20 offset:384
	ds_load_b128 v[4:7], v21 offset:12288
	ds_load_b128 v[24:27], v21 offset:12800
	ds_load_b128 v[28:31], v20 offset:400
	s_waitcnt lgkmcnt(2)
	v_mul_f64 v[56:57], v[4:5], v[2:3]
	v_add_f64 v[36:37], v[52:53], v[50:51]
	v_mul_f64 v[2:3], v[6:7], v[2:3]
	s_waitcnt lgkmcnt(0)
	v_mul_f64 v[48:49], v[24:25], v[30:31]
	v_fma_f64 v[50:51], v[40:41], v[44:45], -v[46:47]
	v_mul_f64 v[30:31], v[26:27], v[30:31]
	v_add_f64 v[38:39], v[54:55], v[38:39]
	v_fma_f64 v[6:7], v[6:7], v[0:1], v[56:57]
	v_add_f64 v[52:53], v[36:37], v[32:33]
	v_fma_f64 v[0:1], v[4:5], v[0:1], -v[2:3]
	v_fma_f64 v[2:3], v[26:27], v[28:29], v[48:49]
	v_add_f64 v[54:55], v[38:39], v[34:35]
	ds_load_b128 v[32:35], v20 offset:416
	ds_load_b128 v[36:39], v21 offset:13312
	;; [unrolled: 1-line block ×4, first 2 shown]
	s_waitcnt lgkmcnt(2)
	v_mul_f64 v[56:57], v[36:37], v[34:35]
	v_add_f64 v[4:5], v[52:53], v[50:51]
	v_mul_f64 v[34:35], v[38:39], v[34:35]
	s_waitcnt lgkmcnt(0)
	v_mul_f64 v[52:53], v[40:41], v[46:47]
	v_mul_f64 v[46:47], v[42:43], v[46:47]
	v_add_f64 v[6:7], v[54:55], v[6:7]
	v_fma_f64 v[54:55], v[24:25], v[28:29], -v[30:31]
	v_fma_f64 v[38:39], v[38:39], v[32:33], v[56:57]
	v_add_f64 v[56:57], v[4:5], v[0:1]
	v_fma_f64 v[32:33], v[36:37], v[32:33], -v[34:35]
	v_fma_f64 v[34:35], v[42:43], v[44:45], v[52:53]
	v_add_f64 v[58:59], v[6:7], v[2:3]
	ds_load_b128 v[0:3], v20 offset:448
	ds_load_b128 v[4:7], v21 offset:14336
	global_load_b128 v[24:27], v[11:12], off
	ds_load_b128 v[28:31], v21 offset:14848
	ds_load_b128 v[48:51], v20 offset:464
	v_add_f64 v[36:37], v[56:57], v[54:55]
	s_waitcnt lgkmcnt(2)
	v_mul_f64 v[60:61], v[4:5], v[2:3]
	v_mul_f64 v[2:3], v[6:7], v[2:3]
	s_waitcnt lgkmcnt(0)
	v_mul_f64 v[52:53], v[28:29], v[50:51]
	v_fma_f64 v[54:55], v[40:41], v[44:45], -v[46:47]
	v_mul_f64 v[50:51], v[30:31], v[50:51]
	v_add_f64 v[38:39], v[58:59], v[38:39]
	v_add_f64 v[56:57], v[36:37], v[32:33]
	v_fma_f64 v[6:7], v[6:7], v[0:1], v[60:61]
	v_fma_f64 v[0:1], v[4:5], v[0:1], -v[2:3]
	v_fma_f64 v[2:3], v[30:31], v[48:49], v[52:53]
	v_fma_f64 v[28:29], v[28:29], v[48:49], -v[50:51]
	v_add_f64 v[58:59], v[38:39], v[34:35]
	ds_load_b128 v[32:35], v20 offset:480
	ds_load_b128 v[36:39], v21 offset:15360
	;; [unrolled: 1-line block ×4, first 2 shown]
	s_waitcnt lgkmcnt(2)
	v_mul_f64 v[60:61], v[36:37], v[34:35]
	v_add_f64 v[4:5], v[56:57], v[54:55]
	v_mul_f64 v[30:31], v[38:39], v[34:35]
	s_waitcnt lgkmcnt(0)
	v_mul_f64 v[34:35], v[40:41], v[46:47]
	v_add_f64 v[6:7], v[58:59], v[6:7]
	v_fma_f64 v[38:39], v[38:39], v[32:33], v[60:61]
	v_add_f64 v[0:1], v[4:5], v[0:1]
	v_mul_f64 v[4:5], v[42:43], v[46:47]
	s_delay_alu instid0(VALU_DEP_4)
	v_add_f64 v[2:3], v[6:7], v[2:3]
	v_fma_f64 v[6:7], v[36:37], v[32:33], -v[30:31]
	v_fma_f64 v[30:31], v[42:43], v[44:45], v[34:35]
	v_add_f64 v[0:1], v[0:1], v[28:29]
	v_fma_f64 v[4:5], v[40:41], v[44:45], -v[4:5]
	v_add_f64 v[2:3], v[2:3], v[38:39]
	s_delay_alu instid0(VALU_DEP_3) | instskip(NEXT) | instid1(VALU_DEP_2)
	v_add_f64 v[0:1], v[0:1], v[6:7]
	v_add_f64 v[2:3], v[2:3], v[30:31]
	s_delay_alu instid0(VALU_DEP_2) | instskip(NEXT) | instid1(VALU_DEP_2)
	v_add_f64 v[0:1], v[0:1], v[4:5]
	v_mul_f64 v[4:5], s[20:21], v[2:3]
	v_mul_f64 v[2:3], s[18:19], v[2:3]
	s_delay_alu instid0(VALU_DEP_2) | instskip(NEXT) | instid1(VALU_DEP_2)
	v_fma_f64 v[4:5], s[18:19], v[0:1], -v[4:5]
	v_fma_f64 v[2:3], s[20:21], v[0:1], v[2:3]
	s_waitcnt vmcnt(0)
	s_delay_alu instid0(VALU_DEP_2) | instskip(NEXT) | instid1(VALU_DEP_2)
	v_add_f64 v[0:1], v[24:25], v[4:5]
	v_add_f64 v[2:3], v[26:27], v[2:3]
	global_store_b128 v[11:12], v[0:3], off
	s_branch .LBB1310_4
.LBB1310_11:
	v_cmp_eq_u32_e32 vcc_lo, v8, v10
	v_cmp_gt_i32_e64 s0, s35, v8
	s_delay_alu instid0(VALU_DEP_1) | instskip(NEXT) | instid1(SALU_CYCLE_1)
	s_and_b32 s0, vcc_lo, s0
	s_and_saveexec_b32 s1, s0
	s_cbranch_execz .LBB1310_13
; %bb.12:
	v_mul_lo_u32 v2, v8, s9
	v_mul_lo_u32 v3, v17, s8
	v_mad_u64_u32 v[0:1], null, v8, s8, 0
	v_mov_b32_e32 v9, v17
	s_delay_alu instid0(VALU_DEP_2) | instskip(NEXT) | instid1(VALU_DEP_1)
	v_add3_u32 v1, v1, v2, v3
	v_lshlrev_b64 v[0:1], 4, v[0:1]
	s_delay_alu instid0(VALU_DEP_1) | instskip(SKIP_2) | instid1(VALU_DEP_4)
	v_add_co_u32 v4, vcc_lo, s6, v0
	v_mov_b32_e32 v0, 0
	v_lshlrev_b64 v[2:3], 4, v[8:9]
	v_add_co_ci_u32_e32 v1, vcc_lo, s7, v1, vcc_lo
	s_delay_alu instid0(VALU_DEP_2) | instskip(NEXT) | instid1(VALU_DEP_2)
	v_add_co_u32 v2, vcc_lo, v4, v2
	v_add_co_ci_u32_e32 v3, vcc_lo, v1, v3, vcc_lo
	v_mov_b32_e32 v1, v0
	global_store_b64 v[2:3], v[0:1], off offset:8
.LBB1310_13:
	s_nop 0
	s_sendmsg sendmsg(MSG_DEALLOC_VGPRS)
	s_endpgm
	.section	.rodata,"a",@progbits
	.p2align	6, 0x0
	.amdhsa_kernel _ZL26rocblas_syr2k_her2k_kernelIlLb0ELb1ELb1ELi32E19rocblas_complex_numIdEPKS1_PS1_EvbiT_T4_T5_S5_lS7_S5_lT6_S5_li
		.amdhsa_group_segment_fixed_size 32768
		.amdhsa_private_segment_fixed_size 0
		.amdhsa_kernarg_size 108
		.amdhsa_user_sgpr_count 13
		.amdhsa_user_sgpr_dispatch_ptr 0
		.amdhsa_user_sgpr_queue_ptr 0
		.amdhsa_user_sgpr_kernarg_segment_ptr 1
		.amdhsa_user_sgpr_dispatch_id 0
		.amdhsa_user_sgpr_private_segment_size 0
		.amdhsa_wavefront_size32 1
		.amdhsa_uses_dynamic_stack 0
		.amdhsa_enable_private_segment 0
		.amdhsa_system_sgpr_workgroup_id_x 1
		.amdhsa_system_sgpr_workgroup_id_y 1
		.amdhsa_system_sgpr_workgroup_id_z 1
		.amdhsa_system_sgpr_workgroup_info 0
		.amdhsa_system_vgpr_workitem_id 1
		.amdhsa_next_free_vgpr 62
		.amdhsa_next_free_sgpr 36
		.amdhsa_reserve_vcc 1
		.amdhsa_float_round_mode_32 0
		.amdhsa_float_round_mode_16_64 0
		.amdhsa_float_denorm_mode_32 3
		.amdhsa_float_denorm_mode_16_64 3
		.amdhsa_dx10_clamp 1
		.amdhsa_ieee_mode 1
		.amdhsa_fp16_overflow 0
		.amdhsa_workgroup_processor_mode 1
		.amdhsa_memory_ordered 1
		.amdhsa_forward_progress 0
		.amdhsa_shared_vgpr_count 0
		.amdhsa_exception_fp_ieee_invalid_op 0
		.amdhsa_exception_fp_denorm_src 0
		.amdhsa_exception_fp_ieee_div_zero 0
		.amdhsa_exception_fp_ieee_overflow 0
		.amdhsa_exception_fp_ieee_underflow 0
		.amdhsa_exception_fp_ieee_inexact 0
		.amdhsa_exception_int_div_zero 0
	.end_amdhsa_kernel
	.section	.text._ZL26rocblas_syr2k_her2k_kernelIlLb0ELb1ELb1ELi32E19rocblas_complex_numIdEPKS1_PS1_EvbiT_T4_T5_S5_lS7_S5_lT6_S5_li,"axG",@progbits,_ZL26rocblas_syr2k_her2k_kernelIlLb0ELb1ELb1ELi32E19rocblas_complex_numIdEPKS1_PS1_EvbiT_T4_T5_S5_lS7_S5_lT6_S5_li,comdat
.Lfunc_end1310:
	.size	_ZL26rocblas_syr2k_her2k_kernelIlLb0ELb1ELb1ELi32E19rocblas_complex_numIdEPKS1_PS1_EvbiT_T4_T5_S5_lS7_S5_lT6_S5_li, .Lfunc_end1310-_ZL26rocblas_syr2k_her2k_kernelIlLb0ELb1ELb1ELi32E19rocblas_complex_numIdEPKS1_PS1_EvbiT_T4_T5_S5_lS7_S5_lT6_S5_li
                                        ; -- End function
	.section	.AMDGPU.csdata,"",@progbits
; Kernel info:
; codeLenInByte = 3340
; NumSgprs: 38
; NumVgprs: 62
; ScratchSize: 0
; MemoryBound: 1
; FloatMode: 240
; IeeeMode: 1
; LDSByteSize: 32768 bytes/workgroup (compile time only)
; SGPRBlocks: 4
; VGPRBlocks: 7
; NumSGPRsForWavesPerEU: 38
; NumVGPRsForWavesPerEU: 62
; Occupancy: 16
; WaveLimiterHint : 0
; COMPUTE_PGM_RSRC2:SCRATCH_EN: 0
; COMPUTE_PGM_RSRC2:USER_SGPR: 13
; COMPUTE_PGM_RSRC2:TRAP_HANDLER: 0
; COMPUTE_PGM_RSRC2:TGID_X_EN: 1
; COMPUTE_PGM_RSRC2:TGID_Y_EN: 1
; COMPUTE_PGM_RSRC2:TGID_Z_EN: 1
; COMPUTE_PGM_RSRC2:TIDIG_COMP_CNT: 1
	.section	.text._ZL37rocblas_syrkx_herkx_restricted_kernelIl19rocblas_complex_numIdELi16ELi32ELi8ELi1ELi1ELb1ELc84ELc76EKS1_S1_EviT_PT9_S3_lS5_S3_lPT10_S3_li,"axG",@progbits,_ZL37rocblas_syrkx_herkx_restricted_kernelIl19rocblas_complex_numIdELi16ELi32ELi8ELi1ELi1ELb1ELc84ELc76EKS1_S1_EviT_PT9_S3_lS5_S3_lPT10_S3_li,comdat
	.globl	_ZL37rocblas_syrkx_herkx_restricted_kernelIl19rocblas_complex_numIdELi16ELi32ELi8ELi1ELi1ELb1ELc84ELc76EKS1_S1_EviT_PT9_S3_lS5_S3_lPT10_S3_li ; -- Begin function _ZL37rocblas_syrkx_herkx_restricted_kernelIl19rocblas_complex_numIdELi16ELi32ELi8ELi1ELi1ELb1ELc84ELc76EKS1_S1_EviT_PT9_S3_lS5_S3_lPT10_S3_li
	.p2align	8
	.type	_ZL37rocblas_syrkx_herkx_restricted_kernelIl19rocblas_complex_numIdELi16ELi32ELi8ELi1ELi1ELb1ELc84ELc76EKS1_S1_EviT_PT9_S3_lS5_S3_lPT10_S3_li,@function
_ZL37rocblas_syrkx_herkx_restricted_kernelIl19rocblas_complex_numIdELi16ELi32ELi8ELi1ELi1ELb1ELc84ELc76EKS1_S1_EviT_PT9_S3_lS5_S3_lPT10_S3_li: ; @_ZL37rocblas_syrkx_herkx_restricted_kernelIl19rocblas_complex_numIdELi16ELi32ELi8ELi1ELi1ELb1ELc84ELc76EKS1_S1_EviT_PT9_S3_lS5_S3_lPT10_S3_li
; %bb.0:
	s_load_b512 s[16:31], s[0:1], 0x8
	v_mov_b32_e32 v16, 0
	v_dual_mov_b32 v17, 0 :: v_dual_and_b32 v20, 0x3ff, v0
	v_bfe_u32 v21, v0, 10, 10
	s_delay_alu instid0(VALU_DEP_3) | instskip(NEXT) | instid1(VALU_DEP_3)
	v_mov_b32_e32 v12, v16
	v_dual_mov_b32 v14, v16 :: v_dual_mov_b32 v15, v17
	v_dual_mov_b32 v19, v17 :: v_dual_mov_b32 v18, v16
	;; [unrolled: 1-line block ×6, first 2 shown]
	v_mov_b32_e32 v5, v17
	s_lshl_b32 s8, s13, 5
	s_waitcnt lgkmcnt(0)
	v_cmp_lt_i64_e64 s2, s[16:17], 1
	s_lshl_b32 s9, s14, 5
	s_delay_alu instid0(VALU_DEP_1)
	s_and_b32 vcc_lo, exec_lo, s2
	s_cbranch_vccnz .LBB1311_3
; %bb.1:
	v_lshl_add_u32 v2, v21, 4, v20
	v_dual_mov_b32 v1, 0 :: v_dual_and_b32 v0, 7, v20
	v_lshlrev_b32_e32 v22, 4, v20
	s_mul_i32 s3, s23, s15
	s_delay_alu instid0(VALU_DEP_3)
	v_and_b32_e32 v8, 31, v2
	v_lshrrev_b32_e32 v9, 3, v2
	v_lshrrev_b32_e32 v2, 5, v2
	v_mov_b32_e32 v3, v1
	v_lshlrev_b32_e32 v11, 4, v0
	v_add_nc_u32_e32 v6, s8, v8
	v_add_nc_u32_e32 v10, s9, v9
	s_mul_hi_u32 s4, s22, s15
	s_mul_i32 s2, s22, s15
	s_add_i32 s3, s4, s3
	v_ashrrev_i32_e32 v7, 31, v6
	v_ashrrev_i32_e32 v12, 31, v10
	v_mad_u64_u32 v[4:5], null, s20, v6, v[2:3]
	v_mul_lo_u32 v3, s21, v6
	s_delay_alu instid0(VALU_DEP_4)
	v_mul_lo_u32 v13, s20, v7
	v_mul_lo_u32 v14, v10, s27
	v_mad_u64_u32 v[6:7], null, v10, s26, v[0:1]
	v_mul_lo_u32 v0, v12, s26
	v_lshlrev_b32_e32 v1, 4, v8
	s_lshl_b64 s[2:3], s[2:3], 4
	s_mul_hi_u32 s5, s28, s15
	v_add3_u32 v5, v3, v5, v13
	s_add_u32 s4, s18, s2
	v_lshl_or_b32 v23, v2, 9, v1
	s_mul_i32 s2, s29, s15
	v_add3_u32 v7, v0, v7, v14
	v_lshlrev_b64 v[0:1], 4, v[4:5]
	s_addc_u32 s6, s19, s3
	s_add_i32 s3, s5, s2
	s_mul_i32 s2, s28, s15
	v_lshlrev_b64 v[2:3], 4, v[6:7]
	s_lshl_b64 s[2:3], s[2:3], 4
	v_add_co_u32 v0, vcc_lo, s4, v0
	s_add_u32 s2, s24, s2
	v_add_co_ci_u32_e32 v1, vcc_lo, s6, v1, vcc_lo
	v_mov_b32_e32 v4, 0
	v_lshl_or_b32 v8, v9, 7, v11
	s_addc_u32 s3, s25, s3
	v_add_co_u32 v2, vcc_lo, s2, v2
	v_mov_b32_e32 v5, 0
	v_add_co_ci_u32_e32 v3, vcc_lo, s3, v3, vcc_lo
	v_add_co_u32 v0, vcc_lo, v0, 8
	s_delay_alu instid0(VALU_DEP_3)
	v_dual_mov_b32 v9, v5 :: v_dual_add_nc_u32 v24, 0x1000, v8
	v_add_co_ci_u32_e32 v1, vcc_lo, 0, v1, vcc_lo
	v_mov_b32_e32 v11, v5
	v_add_co_u32 v2, vcc_lo, v2, 8
	v_dual_mov_b32 v10, v4 :: v_dual_mov_b32 v15, v5
	v_dual_mov_b32 v8, v4 :: v_dual_mov_b32 v13, v5
	;; [unrolled: 1-line block ×4, first 2 shown]
	v_mov_b32_e32 v17, v5
	v_lshl_add_u32 v25, v21, 7, 0x1000
	v_add_co_ci_u32_e32 v3, vcc_lo, 0, v3, vcc_lo
	v_mov_b32_e32 v6, v4
	v_mov_b32_e32 v18, v4
	;; [unrolled: 1-line block ×3, first 2 shown]
	s_mov_b64 s[2:3], 0
.LBB1311_2:                             ; =>This Inner Loop Header: Depth=1
	global_load_b128 v[26:29], v[0:1], off offset:-8
	global_load_b128 v[30:33], v[2:3], off offset:-8
	s_add_u32 s2, s2, 8
	v_add_co_u32 v0, vcc_lo, 0x80, v0
	s_addc_u32 s3, s3, 0
	v_add_co_ci_u32_e32 v1, vcc_lo, 0, v1, vcc_lo
	v_cmp_ge_u64_e64 s4, s[2:3], s[16:17]
	v_add_co_u32 v2, vcc_lo, 0x80, v2
	v_add_co_ci_u32_e32 v3, vcc_lo, 0, v3, vcc_lo
	s_waitcnt vmcnt(1)
	ds_store_b128 v23, v[26:29]
	s_waitcnt vmcnt(0)
	ds_store_b128 v24, v[30:33]
	s_waitcnt lgkmcnt(0)
	s_barrier
	buffer_gl0_inv
	ds_load_b128 v[26:29], v25
	ds_load_b128 v[30:33], v22
	ds_load_b128 v[34:37], v22 offset:256
	ds_load_b128 v[38:41], v25 offset:2048
	;; [unrolled: 1-line block ×13, first 2 shown]
	s_and_b32 vcc_lo, exec_lo, s4
	s_waitcnt lgkmcnt(13)
	v_mul_f64 v[86:87], v[28:29], v[32:33]
	v_mul_f64 v[88:89], v[26:27], v[32:33]
	s_waitcnt lgkmcnt(12)
	v_mul_f64 v[90:91], v[28:29], v[36:37]
	v_mul_f64 v[92:93], v[26:27], v[36:37]
	;; [unrolled: 3-line block ×3, first 2 shown]
	v_mul_f64 v[96:97], v[40:41], v[36:37]
	v_mul_f64 v[36:37], v[38:39], v[36:37]
	s_waitcnt lgkmcnt(8)
	v_mul_f64 v[98:99], v[44:45], v[52:53]
	v_mul_f64 v[100:101], v[42:43], v[52:53]
	s_waitcnt lgkmcnt(7)
	v_mul_f64 v[102:103], v[44:45], v[56:57]
	v_mul_f64 v[104:105], v[42:43], v[56:57]
	;; [unrolled: 1-line block ×6, first 2 shown]
	s_waitcnt lgkmcnt(3)
	v_mul_f64 v[112:113], v[58:59], v[72:73]
	s_waitcnt lgkmcnt(2)
	v_mul_f64 v[114:115], v[76:77], v[68:69]
	v_mul_f64 v[116:117], v[76:77], v[72:73]
	v_fma_f64 v[86:87], v[26:27], v[30:31], -v[86:87]
	v_fma_f64 v[88:89], v[28:29], v[30:31], v[88:89]
	v_fma_f64 v[90:91], v[26:27], v[34:35], -v[90:91]
	v_fma_f64 v[92:93], v[28:29], v[34:35], v[92:93]
	;; [unrolled: 2-line block ×4, first 2 shown]
	v_mul_f64 v[36:37], v[60:61], v[68:69]
	v_mul_f64 v[40:41], v[58:59], v[68:69]
	;; [unrolled: 1-line block ×5, first 2 shown]
	v_fma_f64 v[98:99], v[42:43], v[50:51], -v[98:99]
	v_fma_f64 v[100:101], v[44:45], v[50:51], v[100:101]
	v_fma_f64 v[42:43], v[42:43], v[54:55], -v[102:103]
	v_fma_f64 v[44:45], v[44:45], v[54:55], v[104:105]
	;; [unrolled: 2-line block ×4, first 2 shown]
	ds_load_b128 v[26:29], v22 offset:1792
	ds_load_b128 v[30:33], v22 offset:2048
	s_waitcnt lgkmcnt(2)
	v_mul_f64 v[56:57], v[64:65], v[84:85]
	v_add_f64 v[16:17], v[16:17], v[86:87]
	v_add_f64 v[18:19], v[18:19], v[88:89]
	;; [unrolled: 1-line block ×8, first 2 shown]
	v_mul_f64 v[86:87], v[62:63], v[84:85]
	s_waitcnt lgkmcnt(1)
	v_mul_f64 v[88:89], v[64:65], v[28:29]
	v_mul_f64 v[90:91], v[62:63], v[28:29]
	;; [unrolled: 1-line block ×6, first 2 shown]
	v_fma_f64 v[104:105], v[58:59], v[66:67], -v[36:37]
	v_fma_f64 v[106:107], v[60:61], v[66:67], v[40:41]
	v_fma_f64 v[58:59], v[58:59], v[70:71], -v[96:97]
	v_fma_f64 v[60:61], v[60:61], v[70:71], v[112:113]
	;; [unrolled: 2-line block ×4, first 2 shown]
	ds_load_b128 v[4:7], v22 offset:2304
	ds_load_b128 v[8:11], v25 offset:64
	v_fma_f64 v[56:57], v[62:63], v[82:83], -v[56:57]
	v_add_f64 v[72:73], v[16:17], v[98:99]
	v_add_f64 v[74:75], v[18:19], v[100:101]
	v_add_f64 v[42:43], v[12:13], v[42:43]
	v_add_f64 v[44:45], v[14:15], v[44:45]
	v_add_f64 v[52:53], v[52:53], v[102:103]
	v_add_f64 v[50:51], v[54:55], v[50:51]
	v_add_f64 v[46:47], v[38:39], v[46:47]
	v_add_f64 v[48:49], v[34:35], v[48:49]
	ds_load_b128 v[12:15], v25 offset:2112
	ds_load_b128 v[16:19], v25 offset:80
	;; [unrolled: 1-line block ×4, first 2 shown]
	s_waitcnt lgkmcnt(4)
	v_mul_f64 v[54:55], v[10:11], v[32:33]
	v_mul_f64 v[76:77], v[8:9], v[32:33]
	v_mul_f64 v[98:99], v[10:11], v[6:7]
	v_mul_f64 v[100:101], v[8:9], v[6:7]
	v_fma_f64 v[86:87], v[64:65], v[82:83], v[86:87]
	v_fma_f64 v[62:63], v[62:63], v[26:27], -v[88:89]
	v_fma_f64 v[64:65], v[64:65], v[26:27], v[90:91]
	v_fma_f64 v[88:89], v[78:79], v[82:83], -v[92:93]
	;; [unrolled: 2-line block ×3, first 2 shown]
	v_fma_f64 v[80:81], v[80:81], v[26:27], v[28:29]
	s_waitcnt lgkmcnt(3)
	v_mul_f64 v[102:103], v[14:15], v[32:33]
	v_mul_f64 v[32:33], v[12:13], v[32:33]
	;; [unrolled: 1-line block ×4, first 2 shown]
	s_waitcnt lgkmcnt(0)
	v_mul_f64 v[90:91], v[18:19], v[40:41]
	v_mul_f64 v[92:93], v[16:17], v[40:41]
	v_add_f64 v[72:73], v[72:73], v[104:105]
	v_add_f64 v[74:75], v[74:75], v[106:107]
	;; [unrolled: 1-line block ×8, first 2 shown]
	ds_load_b128 v[26:29], v22 offset:2816
	ds_load_b128 v[42:45], v22 offset:3072
	;; [unrolled: 1-line block ×4, first 2 shown]
	v_mul_f64 v[104:105], v[36:37], v[40:41]
	v_mul_f64 v[40:41], v[34:35], v[40:41]
	v_fma_f64 v[54:55], v[8:9], v[30:31], -v[54:55]
	v_fma_f64 v[76:77], v[10:11], v[30:31], v[76:77]
	v_fma_f64 v[98:99], v[8:9], v[4:5], -v[98:99]
	v_fma_f64 v[100:101], v[10:11], v[4:5], v[100:101]
	s_waitcnt lgkmcnt(3)
	v_mul_f64 v[94:95], v[18:19], v[28:29]
	v_mul_f64 v[96:97], v[16:17], v[28:29]
	;; [unrolled: 1-line block ×4, first 2 shown]
	v_fma_f64 v[102:103], v[12:13], v[30:31], -v[102:103]
	v_fma_f64 v[32:33], v[14:15], v[30:31], v[32:33]
	v_fma_f64 v[108:109], v[12:13], v[4:5], -v[108:109]
	v_fma_f64 v[112:113], v[14:15], v[4:5], v[6:7]
	ds_load_b128 v[4:7], v25 offset:2144
	ds_load_b128 v[8:11], v25 offset:112
	;; [unrolled: 1-line block ×4, first 2 shown]
	v_add_f64 v[56:57], v[72:73], v[56:57]
	v_add_f64 v[72:73], v[74:75], v[86:87]
	;; [unrolled: 1-line block ×8, first 2 shown]
	s_waitcnt lgkmcnt(4)
	v_mul_f64 v[70:71], v[52:53], v[44:45]
	v_mul_f64 v[74:75], v[50:51], v[44:45]
	;; [unrolled: 1-line block ×4, first 2 shown]
	s_waitcnt lgkmcnt(3)
	v_mul_f64 v[82:83], v[6:7], v[44:45]
	v_mul_f64 v[44:45], v[4:5], v[44:45]
	;; [unrolled: 1-line block ×4, first 2 shown]
	v_fma_f64 v[86:87], v[16:17], v[38:39], -v[90:91]
	v_fma_f64 v[88:89], v[18:19], v[38:39], v[92:93]
	v_fma_f64 v[90:91], v[16:17], v[26:27], -v[94:95]
	v_fma_f64 v[92:93], v[18:19], v[26:27], v[96:97]
	;; [unrolled: 2-line block ×4, first 2 shown]
	ds_load_b128 v[16:19], v22 offset:3840
	s_waitcnt lgkmcnt(0)
	s_barrier
	buffer_gl0_inv
	v_add_f64 v[36:37], v[56:57], v[54:55]
	v_add_f64 v[40:41], v[72:73], v[76:77]
	;; [unrolled: 1-line block ×8, first 2 shown]
	v_mul_f64 v[64:65], v[10:11], v[30:31]
	v_mul_f64 v[66:67], v[8:9], v[30:31]
	;; [unrolled: 1-line block ×4, first 2 shown]
	v_fma_f64 v[70:71], v[50:51], v[42:43], -v[70:71]
	v_mul_f64 v[68:69], v[10:11], v[18:19]
	v_mul_f64 v[72:73], v[8:9], v[18:19]
	;; [unrolled: 1-line block ×4, first 2 shown]
	v_fma_f64 v[74:75], v[52:53], v[42:43], v[74:75]
	v_fma_f64 v[50:51], v[50:51], v[46:47], -v[78:79]
	v_fma_f64 v[52:53], v[52:53], v[46:47], v[80:81]
	v_fma_f64 v[78:79], v[4:5], v[42:43], -v[82:83]
	;; [unrolled: 2-line block ×3, first 2 shown]
	v_fma_f64 v[6:7], v[6:7], v[46:47], v[48:49]
	v_add_f64 v[36:37], v[36:37], v[86:87]
	v_add_f64 v[40:41], v[40:41], v[88:89]
	;; [unrolled: 1-line block ×8, first 2 shown]
	v_fma_f64 v[38:39], v[8:9], v[28:29], -v[64:65]
	v_fma_f64 v[54:55], v[10:11], v[28:29], v[66:67]
	v_fma_f64 v[56:57], v[12:13], v[28:29], -v[76:77]
	v_fma_f64 v[28:29], v[14:15], v[28:29], v[30:31]
	;; [unrolled: 2-line block ×4, first 2 shown]
	v_add_f64 v[12:13], v[36:37], v[70:71]
	v_add_f64 v[14:15], v[40:41], v[74:75]
	;; [unrolled: 1-line block ×16, first 2 shown]
	s_cbranch_vccz .LBB1311_2
.LBB1311_3:
	s_load_b128 s[4:7], s[0:1], 0x48
	v_add_nc_u32_e32 v21, s9, v21
	s_load_b32 s9, s[0:1], 0x0
	s_delay_alu instid0(VALU_DEP_1) | instskip(SKIP_1) | instid1(VALU_DEP_1)
	v_ashrrev_i32_e32 v0, 31, v21
	s_waitcnt lgkmcnt(0)
	v_mul_lo_u32 v3, v0, s4
	v_mul_lo_u32 v22, v21, s5
	v_mad_u64_u32 v[1:2], null, v21, s4, 0
	s_mul_i32 s1, s15, s7
	s_mul_hi_u32 s3, s15, s6
	s_mul_i32 s2, s15, s6
	s_add_i32 s3, s3, s1
	v_add_nc_u32_e32 v0, s8, v20
	s_lshl_b64 s[2:3], s[2:3], 4
	s_delay_alu instid0(VALU_DEP_2)
	v_add3_u32 v2, v2, v22, v3
	s_add_u32 s2, s30, s2
	s_addc_u32 s3, s31, s3
	v_cmp_le_i32_e64 s0, v21, v0
	v_cmp_gt_i32_e32 vcc_lo, s9, v0
	v_lshlrev_b64 v[1:2], 4, v[1:2]
	s_delay_alu instid0(VALU_DEP_3) | instskip(NEXT) | instid1(VALU_DEP_1)
	s_and_b32 s0, s0, vcc_lo
	v_add_co_u32 v20, s1, s2, v1
	s_delay_alu instid0(VALU_DEP_1)
	v_add_co_ci_u32_e64 v22, s1, s3, v2, s1
	s_and_saveexec_b32 s1, s0
	s_cbranch_execz .LBB1311_5
; %bb.4:
	v_ashrrev_i32_e32 v1, 31, v0
	s_delay_alu instid0(VALU_DEP_1) | instskip(NEXT) | instid1(VALU_DEP_1)
	v_lshlrev_b64 v[1:2], 4, v[0:1]
	v_add_co_u32 v1, s0, v20, v1
	s_delay_alu instid0(VALU_DEP_1)
	v_add_co_ci_u32_e64 v2, s0, v22, v2, s0
	v_cmp_ne_u32_e64 s0, v21, v0
	global_load_b128 v[23:26], v[1:2], off
	s_waitcnt vmcnt(0)
	v_add_f64 v[18:19], v[18:19], v[25:26]
	v_add_f64 v[16:17], v[16:17], v[23:24]
	s_delay_alu instid0(VALU_DEP_2) | instskip(NEXT) | instid1(VALU_DEP_3)
	v_cndmask_b32_e64 v19, 0, v19, s0
	v_cndmask_b32_e64 v18, 0, v18, s0
	global_store_b128 v[1:2], v[16:19], off
.LBB1311_5:
	s_or_b32 exec_lo, exec_lo, s1
	v_add_nc_u32_e32 v2, 16, v0
	s_delay_alu instid0(VALU_DEP_1) | instskip(SKIP_1) | instid1(VALU_DEP_1)
	v_cmp_le_i32_e64 s1, v21, v2
	v_cmp_gt_i32_e64 s0, s9, v2
	s_and_b32 s1, s1, s0
	s_delay_alu instid0(SALU_CYCLE_1)
	s_and_saveexec_b32 s6, s1
	s_cbranch_execz .LBB1311_7
; %bb.6:
	v_ashrrev_i32_e32 v3, 31, v2
	s_delay_alu instid0(VALU_DEP_1) | instskip(NEXT) | instid1(VALU_DEP_1)
	v_lshlrev_b64 v[16:17], 4, v[2:3]
	v_add_co_u32 v23, s1, v20, v16
	s_delay_alu instid0(VALU_DEP_1)
	v_add_co_ci_u32_e64 v24, s1, v22, v17, s1
	v_cmp_ne_u32_e64 s1, v21, v2
	global_load_b128 v[16:19], v[23:24], off
	s_waitcnt vmcnt(0)
	v_add_f64 v[14:15], v[14:15], v[18:19]
	v_add_f64 v[12:13], v[12:13], v[16:17]
	s_delay_alu instid0(VALU_DEP_2) | instskip(NEXT) | instid1(VALU_DEP_3)
	v_cndmask_b32_e64 v15, 0, v15, s1
	v_cndmask_b32_e64 v14, 0, v14, s1
	global_store_b128 v[23:24], v[12:15], off
.LBB1311_7:
	s_or_b32 exec_lo, exec_lo, s6
	v_add_nc_u32_e32 v3, 16, v21
	s_delay_alu instid0(VALU_DEP_1) | instskip(SKIP_3) | instid1(VALU_DEP_4)
	v_ashrrev_i32_e32 v1, 31, v3
	v_mul_lo_u32 v14, v3, s5
	v_mad_u64_u32 v[12:13], null, v3, s4, 0
	v_cmp_le_i32_e64 s1, v3, v0
	v_mul_lo_u32 v1, v1, s4
	s_delay_alu instid0(VALU_DEP_1) | instskip(NEXT) | instid1(VALU_DEP_1)
	v_add3_u32 v13, v13, v14, v1
	v_lshlrev_b64 v[12:13], 4, v[12:13]
	s_delay_alu instid0(VALU_DEP_1) | instskip(NEXT) | instid1(VALU_DEP_1)
	v_add_co_u32 v12, s2, s2, v12
	v_add_co_ci_u32_e64 v13, s2, s3, v13, s2
	s_and_b32 s2, s1, vcc_lo
	s_delay_alu instid0(SALU_CYCLE_1)
	s_and_saveexec_b32 s1, s2
	s_cbranch_execz .LBB1311_9
; %bb.8:
	v_ashrrev_i32_e32 v1, 31, v0
	s_delay_alu instid0(VALU_DEP_1) | instskip(NEXT) | instid1(VALU_DEP_1)
	v_lshlrev_b64 v[14:15], 4, v[0:1]
	v_add_co_u32 v18, vcc_lo, v12, v14
	s_delay_alu instid0(VALU_DEP_2)
	v_add_co_ci_u32_e32 v19, vcc_lo, v13, v15, vcc_lo
	v_cmp_ne_u32_e32 vcc_lo, v3, v0
	global_load_b128 v[14:17], v[18:19], off
	s_waitcnt vmcnt(0)
	v_add_f64 v[10:11], v[10:11], v[16:17]
	v_add_f64 v[8:9], v[8:9], v[14:15]
	s_delay_alu instid0(VALU_DEP_2)
	v_dual_cndmask_b32 v11, 0, v11 :: v_dual_cndmask_b32 v10, 0, v10
	global_store_b128 v[18:19], v[8:11], off
.LBB1311_9:
	s_or_b32 exec_lo, exec_lo, s1
	v_cmp_le_i32_e32 vcc_lo, v3, v2
	s_and_b32 s0, vcc_lo, s0
	s_delay_alu instid0(SALU_CYCLE_1)
	s_and_saveexec_b32 s1, s0
	s_cbranch_execz .LBB1311_11
; %bb.10:
	v_ashrrev_i32_e32 v3, 31, v2
	s_delay_alu instid0(VALU_DEP_1) | instskip(NEXT) | instid1(VALU_DEP_1)
	v_lshlrev_b64 v[1:2], 4, v[2:3]
	v_add_co_u32 v12, vcc_lo, v12, v1
	s_delay_alu instid0(VALU_DEP_2)
	v_add_co_ci_u32_e32 v13, vcc_lo, v13, v2, vcc_lo
	v_cmp_ne_u32_e32 vcc_lo, v21, v0
	global_load_b128 v[8:11], v[12:13], off
	s_waitcnt vmcnt(0)
	v_add_f64 v[3:4], v[4:5], v[10:11]
	v_add_f64 v[1:2], v[6:7], v[8:9]
	s_delay_alu instid0(VALU_DEP_2)
	v_dual_cndmask_b32 v4, 0, v4 :: v_dual_cndmask_b32 v3, 0, v3
	global_store_b128 v[12:13], v[1:4], off
.LBB1311_11:
	s_nop 0
	s_sendmsg sendmsg(MSG_DEALLOC_VGPRS)
	s_endpgm
	.section	.rodata,"a",@progbits
	.p2align	6, 0x0
	.amdhsa_kernel _ZL37rocblas_syrkx_herkx_restricted_kernelIl19rocblas_complex_numIdELi16ELi32ELi8ELi1ELi1ELb1ELc84ELc76EKS1_S1_EviT_PT9_S3_lS5_S3_lPT10_S3_li
		.amdhsa_group_segment_fixed_size 8192
		.amdhsa_private_segment_fixed_size 0
		.amdhsa_kernarg_size 92
		.amdhsa_user_sgpr_count 13
		.amdhsa_user_sgpr_dispatch_ptr 0
		.amdhsa_user_sgpr_queue_ptr 0
		.amdhsa_user_sgpr_kernarg_segment_ptr 1
		.amdhsa_user_sgpr_dispatch_id 0
		.amdhsa_user_sgpr_private_segment_size 0
		.amdhsa_wavefront_size32 1
		.amdhsa_uses_dynamic_stack 0
		.amdhsa_enable_private_segment 0
		.amdhsa_system_sgpr_workgroup_id_x 1
		.amdhsa_system_sgpr_workgroup_id_y 1
		.amdhsa_system_sgpr_workgroup_id_z 1
		.amdhsa_system_sgpr_workgroup_info 0
		.amdhsa_system_vgpr_workitem_id 1
		.amdhsa_next_free_vgpr 118
		.amdhsa_next_free_sgpr 32
		.amdhsa_reserve_vcc 1
		.amdhsa_float_round_mode_32 0
		.amdhsa_float_round_mode_16_64 0
		.amdhsa_float_denorm_mode_32 3
		.amdhsa_float_denorm_mode_16_64 3
		.amdhsa_dx10_clamp 1
		.amdhsa_ieee_mode 1
		.amdhsa_fp16_overflow 0
		.amdhsa_workgroup_processor_mode 1
		.amdhsa_memory_ordered 1
		.amdhsa_forward_progress 0
		.amdhsa_shared_vgpr_count 0
		.amdhsa_exception_fp_ieee_invalid_op 0
		.amdhsa_exception_fp_denorm_src 0
		.amdhsa_exception_fp_ieee_div_zero 0
		.amdhsa_exception_fp_ieee_overflow 0
		.amdhsa_exception_fp_ieee_underflow 0
		.amdhsa_exception_fp_ieee_inexact 0
		.amdhsa_exception_int_div_zero 0
	.end_amdhsa_kernel
	.section	.text._ZL37rocblas_syrkx_herkx_restricted_kernelIl19rocblas_complex_numIdELi16ELi32ELi8ELi1ELi1ELb1ELc84ELc76EKS1_S1_EviT_PT9_S3_lS5_S3_lPT10_S3_li,"axG",@progbits,_ZL37rocblas_syrkx_herkx_restricted_kernelIl19rocblas_complex_numIdELi16ELi32ELi8ELi1ELi1ELb1ELc84ELc76EKS1_S1_EviT_PT9_S3_lS5_S3_lPT10_S3_li,comdat
.Lfunc_end1311:
	.size	_ZL37rocblas_syrkx_herkx_restricted_kernelIl19rocblas_complex_numIdELi16ELi32ELi8ELi1ELi1ELb1ELc84ELc76EKS1_S1_EviT_PT9_S3_lS5_S3_lPT10_S3_li, .Lfunc_end1311-_ZL37rocblas_syrkx_herkx_restricted_kernelIl19rocblas_complex_numIdELi16ELi32ELi8ELi1ELi1ELb1ELc84ELc76EKS1_S1_EviT_PT9_S3_lS5_S3_lPT10_S3_li
                                        ; -- End function
	.section	.AMDGPU.csdata,"",@progbits
; Kernel info:
; codeLenInByte = 3172
; NumSgprs: 34
; NumVgprs: 118
; ScratchSize: 0
; MemoryBound: 0
; FloatMode: 240
; IeeeMode: 1
; LDSByteSize: 8192 bytes/workgroup (compile time only)
; SGPRBlocks: 4
; VGPRBlocks: 14
; NumSGPRsForWavesPerEU: 34
; NumVGPRsForWavesPerEU: 118
; Occupancy: 12
; WaveLimiterHint : 1
; COMPUTE_PGM_RSRC2:SCRATCH_EN: 0
; COMPUTE_PGM_RSRC2:USER_SGPR: 13
; COMPUTE_PGM_RSRC2:TRAP_HANDLER: 0
; COMPUTE_PGM_RSRC2:TGID_X_EN: 1
; COMPUTE_PGM_RSRC2:TGID_Y_EN: 1
; COMPUTE_PGM_RSRC2:TGID_Z_EN: 1
; COMPUTE_PGM_RSRC2:TIDIG_COMP_CNT: 1
	.section	.text._ZL37rocblas_syrkx_herkx_restricted_kernelIl19rocblas_complex_numIdELi16ELi32ELi8ELi1ELi1ELb1ELc67ELc76EKS1_S1_EviT_PT9_S3_lS5_S3_lPT10_S3_li,"axG",@progbits,_ZL37rocblas_syrkx_herkx_restricted_kernelIl19rocblas_complex_numIdELi16ELi32ELi8ELi1ELi1ELb1ELc67ELc76EKS1_S1_EviT_PT9_S3_lS5_S3_lPT10_S3_li,comdat
	.globl	_ZL37rocblas_syrkx_herkx_restricted_kernelIl19rocblas_complex_numIdELi16ELi32ELi8ELi1ELi1ELb1ELc67ELc76EKS1_S1_EviT_PT9_S3_lS5_S3_lPT10_S3_li ; -- Begin function _ZL37rocblas_syrkx_herkx_restricted_kernelIl19rocblas_complex_numIdELi16ELi32ELi8ELi1ELi1ELb1ELc67ELc76EKS1_S1_EviT_PT9_S3_lS5_S3_lPT10_S3_li
	.p2align	8
	.type	_ZL37rocblas_syrkx_herkx_restricted_kernelIl19rocblas_complex_numIdELi16ELi32ELi8ELi1ELi1ELb1ELc67ELc76EKS1_S1_EviT_PT9_S3_lS5_S3_lPT10_S3_li,@function
_ZL37rocblas_syrkx_herkx_restricted_kernelIl19rocblas_complex_numIdELi16ELi32ELi8ELi1ELi1ELb1ELc67ELc76EKS1_S1_EviT_PT9_S3_lS5_S3_lPT10_S3_li: ; @_ZL37rocblas_syrkx_herkx_restricted_kernelIl19rocblas_complex_numIdELi16ELi32ELi8ELi1ELi1ELb1ELc67ELc76EKS1_S1_EviT_PT9_S3_lS5_S3_lPT10_S3_li
; %bb.0:
	s_load_b512 s[16:31], s[0:1], 0x8
	v_mov_b32_e32 v16, 0
	v_dual_mov_b32 v17, 0 :: v_dual_and_b32 v20, 0x3ff, v0
	v_bfe_u32 v21, v0, 10, 10
	s_delay_alu instid0(VALU_DEP_3) | instskip(NEXT) | instid1(VALU_DEP_3)
	v_mov_b32_e32 v12, v16
	v_dual_mov_b32 v14, v16 :: v_dual_mov_b32 v15, v17
	v_dual_mov_b32 v19, v17 :: v_dual_mov_b32 v18, v16
	;; [unrolled: 1-line block ×6, first 2 shown]
	v_mov_b32_e32 v5, v17
	s_lshl_b32 s8, s13, 5
	s_waitcnt lgkmcnt(0)
	v_cmp_lt_i64_e64 s2, s[16:17], 1
	s_lshl_b32 s9, s14, 5
	s_delay_alu instid0(VALU_DEP_1)
	s_and_b32 vcc_lo, exec_lo, s2
	s_cbranch_vccnz .LBB1312_3
; %bb.1:
	v_lshl_add_u32 v2, v21, 4, v20
	v_dual_mov_b32 v1, 0 :: v_dual_and_b32 v0, 7, v20
	v_lshlrev_b32_e32 v22, 4, v20
	s_mul_i32 s3, s23, s15
	s_delay_alu instid0(VALU_DEP_3)
	v_and_b32_e32 v8, 31, v2
	v_lshrrev_b32_e32 v9, 3, v2
	v_lshrrev_b32_e32 v2, 5, v2
	v_mov_b32_e32 v3, v1
	v_lshlrev_b32_e32 v11, 4, v0
	v_add_nc_u32_e32 v6, s8, v8
	v_add_nc_u32_e32 v10, s9, v9
	s_mul_hi_u32 s4, s22, s15
	s_mul_i32 s2, s22, s15
	s_add_i32 s3, s4, s3
	v_ashrrev_i32_e32 v7, 31, v6
	v_ashrrev_i32_e32 v12, 31, v10
	v_mad_u64_u32 v[4:5], null, s20, v6, v[2:3]
	v_mul_lo_u32 v3, s21, v6
	s_delay_alu instid0(VALU_DEP_4)
	v_mul_lo_u32 v13, s20, v7
	v_mul_lo_u32 v14, v10, s27
	v_mad_u64_u32 v[6:7], null, v10, s26, v[0:1]
	v_mul_lo_u32 v0, v12, s26
	v_lshlrev_b32_e32 v1, 4, v8
	s_lshl_b64 s[2:3], s[2:3], 4
	s_mul_hi_u32 s5, s28, s15
	v_add3_u32 v5, v3, v5, v13
	s_add_u32 s4, s18, s2
	v_lshl_or_b32 v23, v2, 9, v1
	s_mul_i32 s2, s29, s15
	v_add3_u32 v7, v0, v7, v14
	v_lshlrev_b64 v[0:1], 4, v[4:5]
	s_addc_u32 s6, s19, s3
	s_add_i32 s3, s5, s2
	s_mul_i32 s2, s28, s15
	v_lshlrev_b64 v[2:3], 4, v[6:7]
	s_lshl_b64 s[2:3], s[2:3], 4
	v_add_co_u32 v0, vcc_lo, s4, v0
	s_add_u32 s2, s24, s2
	v_add_co_ci_u32_e32 v1, vcc_lo, s6, v1, vcc_lo
	v_mov_b32_e32 v4, 0
	v_lshl_or_b32 v8, v9, 7, v11
	s_addc_u32 s3, s25, s3
	v_add_co_u32 v2, vcc_lo, s2, v2
	v_mov_b32_e32 v5, 0
	v_add_co_ci_u32_e32 v3, vcc_lo, s3, v3, vcc_lo
	v_add_co_u32 v0, vcc_lo, v0, 8
	s_delay_alu instid0(VALU_DEP_3)
	v_dual_mov_b32 v9, v5 :: v_dual_add_nc_u32 v24, 0x1000, v8
	v_add_co_ci_u32_e32 v1, vcc_lo, 0, v1, vcc_lo
	v_mov_b32_e32 v11, v5
	v_add_co_u32 v2, vcc_lo, v2, 8
	v_dual_mov_b32 v10, v4 :: v_dual_mov_b32 v15, v5
	v_dual_mov_b32 v8, v4 :: v_dual_mov_b32 v13, v5
	;; [unrolled: 1-line block ×4, first 2 shown]
	v_mov_b32_e32 v17, v5
	v_lshl_add_u32 v25, v21, 7, 0x1000
	v_add_co_ci_u32_e32 v3, vcc_lo, 0, v3, vcc_lo
	v_mov_b32_e32 v6, v4
	v_mov_b32_e32 v18, v4
	;; [unrolled: 1-line block ×3, first 2 shown]
	s_mov_b64 s[2:3], 0
.LBB1312_2:                             ; =>This Inner Loop Header: Depth=1
	global_load_b128 v[26:29], v[0:1], off offset:-8
	global_load_b128 v[30:33], v[2:3], off offset:-8
	s_add_u32 s2, s2, 8
	v_add_co_u32 v0, vcc_lo, 0x80, v0
	s_addc_u32 s3, s3, 0
	v_add_co_ci_u32_e32 v1, vcc_lo, 0, v1, vcc_lo
	v_cmp_ge_u64_e64 s4, s[2:3], s[16:17]
	v_add_co_u32 v2, vcc_lo, 0x80, v2
	v_add_co_ci_u32_e32 v3, vcc_lo, 0, v3, vcc_lo
	s_delay_alu instid0(VALU_DEP_3)
	s_and_b32 vcc_lo, exec_lo, s4
	s_waitcnt vmcnt(1)
	v_xor_b32_e32 v29, 0x80000000, v29
	ds_store_b128 v23, v[26:29]
	s_waitcnt vmcnt(0)
	ds_store_b128 v24, v[30:33]
	s_waitcnt lgkmcnt(0)
	s_barrier
	buffer_gl0_inv
	ds_load_b128 v[26:29], v25
	ds_load_b128 v[30:33], v22
	ds_load_b128 v[34:37], v22 offset:256
	ds_load_b128 v[38:41], v25 offset:2048
	;; [unrolled: 1-line block ×13, first 2 shown]
	s_waitcnt lgkmcnt(13)
	v_mul_f64 v[86:87], v[28:29], v[32:33]
	v_mul_f64 v[88:89], v[26:27], v[32:33]
	s_waitcnt lgkmcnt(12)
	v_mul_f64 v[90:91], v[28:29], v[36:37]
	v_mul_f64 v[92:93], v[26:27], v[36:37]
	;; [unrolled: 3-line block ×3, first 2 shown]
	v_mul_f64 v[96:97], v[40:41], v[36:37]
	v_mul_f64 v[36:37], v[38:39], v[36:37]
	s_waitcnt lgkmcnt(8)
	v_mul_f64 v[98:99], v[44:45], v[52:53]
	v_mul_f64 v[100:101], v[42:43], v[52:53]
	s_waitcnt lgkmcnt(7)
	v_mul_f64 v[102:103], v[44:45], v[56:57]
	v_mul_f64 v[104:105], v[42:43], v[56:57]
	;; [unrolled: 1-line block ×6, first 2 shown]
	s_waitcnt lgkmcnt(3)
	v_mul_f64 v[112:113], v[58:59], v[72:73]
	s_waitcnt lgkmcnt(2)
	v_mul_f64 v[114:115], v[76:77], v[68:69]
	v_mul_f64 v[116:117], v[76:77], v[72:73]
	v_fma_f64 v[86:87], v[26:27], v[30:31], -v[86:87]
	v_fma_f64 v[88:89], v[28:29], v[30:31], v[88:89]
	v_fma_f64 v[90:91], v[26:27], v[34:35], -v[90:91]
	v_fma_f64 v[92:93], v[28:29], v[34:35], v[92:93]
	;; [unrolled: 2-line block ×4, first 2 shown]
	v_mul_f64 v[36:37], v[60:61], v[68:69]
	v_mul_f64 v[40:41], v[58:59], v[68:69]
	v_mul_f64 v[96:97], v[60:61], v[72:73]
	v_mul_f64 v[68:69], v[74:75], v[68:69]
	v_mul_f64 v[72:73], v[74:75], v[72:73]
	v_fma_f64 v[98:99], v[42:43], v[50:51], -v[98:99]
	v_fma_f64 v[100:101], v[44:45], v[50:51], v[100:101]
	v_fma_f64 v[42:43], v[42:43], v[54:55], -v[102:103]
	v_fma_f64 v[44:45], v[44:45], v[54:55], v[104:105]
	;; [unrolled: 2-line block ×4, first 2 shown]
	ds_load_b128 v[26:29], v22 offset:1792
	ds_load_b128 v[30:33], v22 offset:2048
	s_waitcnt lgkmcnt(2)
	v_mul_f64 v[56:57], v[64:65], v[84:85]
	v_add_f64 v[16:17], v[16:17], v[86:87]
	v_add_f64 v[18:19], v[18:19], v[88:89]
	;; [unrolled: 1-line block ×8, first 2 shown]
	v_mul_f64 v[86:87], v[62:63], v[84:85]
	s_waitcnt lgkmcnt(1)
	v_mul_f64 v[88:89], v[64:65], v[28:29]
	v_mul_f64 v[90:91], v[62:63], v[28:29]
	;; [unrolled: 1-line block ×6, first 2 shown]
	v_fma_f64 v[104:105], v[58:59], v[66:67], -v[36:37]
	v_fma_f64 v[106:107], v[60:61], v[66:67], v[40:41]
	v_fma_f64 v[58:59], v[58:59], v[70:71], -v[96:97]
	v_fma_f64 v[60:61], v[60:61], v[70:71], v[112:113]
	;; [unrolled: 2-line block ×4, first 2 shown]
	ds_load_b128 v[4:7], v22 offset:2304
	ds_load_b128 v[8:11], v25 offset:64
	v_fma_f64 v[56:57], v[62:63], v[82:83], -v[56:57]
	v_add_f64 v[72:73], v[16:17], v[98:99]
	v_add_f64 v[74:75], v[18:19], v[100:101]
	;; [unrolled: 1-line block ×8, first 2 shown]
	ds_load_b128 v[12:15], v25 offset:2112
	ds_load_b128 v[16:19], v25 offset:80
	;; [unrolled: 1-line block ×4, first 2 shown]
	s_waitcnt lgkmcnt(4)
	v_mul_f64 v[54:55], v[10:11], v[32:33]
	v_mul_f64 v[76:77], v[8:9], v[32:33]
	v_mul_f64 v[98:99], v[10:11], v[6:7]
	v_mul_f64 v[100:101], v[8:9], v[6:7]
	v_fma_f64 v[86:87], v[64:65], v[82:83], v[86:87]
	v_fma_f64 v[62:63], v[62:63], v[26:27], -v[88:89]
	v_fma_f64 v[64:65], v[64:65], v[26:27], v[90:91]
	v_fma_f64 v[88:89], v[78:79], v[82:83], -v[92:93]
	;; [unrolled: 2-line block ×3, first 2 shown]
	v_fma_f64 v[80:81], v[80:81], v[26:27], v[28:29]
	s_waitcnt lgkmcnt(3)
	v_mul_f64 v[102:103], v[14:15], v[32:33]
	v_mul_f64 v[32:33], v[12:13], v[32:33]
	;; [unrolled: 1-line block ×4, first 2 shown]
	s_waitcnt lgkmcnt(0)
	v_mul_f64 v[90:91], v[18:19], v[40:41]
	v_mul_f64 v[92:93], v[16:17], v[40:41]
	v_add_f64 v[72:73], v[72:73], v[104:105]
	v_add_f64 v[74:75], v[74:75], v[106:107]
	;; [unrolled: 1-line block ×8, first 2 shown]
	ds_load_b128 v[26:29], v22 offset:2816
	ds_load_b128 v[42:45], v22 offset:3072
	;; [unrolled: 1-line block ×4, first 2 shown]
	v_mul_f64 v[104:105], v[36:37], v[40:41]
	v_mul_f64 v[40:41], v[34:35], v[40:41]
	v_fma_f64 v[54:55], v[8:9], v[30:31], -v[54:55]
	v_fma_f64 v[76:77], v[10:11], v[30:31], v[76:77]
	v_fma_f64 v[98:99], v[8:9], v[4:5], -v[98:99]
	v_fma_f64 v[100:101], v[10:11], v[4:5], v[100:101]
	s_waitcnt lgkmcnt(3)
	v_mul_f64 v[94:95], v[18:19], v[28:29]
	v_mul_f64 v[96:97], v[16:17], v[28:29]
	;; [unrolled: 1-line block ×4, first 2 shown]
	v_fma_f64 v[102:103], v[12:13], v[30:31], -v[102:103]
	v_fma_f64 v[32:33], v[14:15], v[30:31], v[32:33]
	v_fma_f64 v[108:109], v[12:13], v[4:5], -v[108:109]
	v_fma_f64 v[112:113], v[14:15], v[4:5], v[6:7]
	ds_load_b128 v[4:7], v25 offset:2144
	ds_load_b128 v[8:11], v25 offset:112
	;; [unrolled: 1-line block ×4, first 2 shown]
	v_add_f64 v[56:57], v[72:73], v[56:57]
	v_add_f64 v[72:73], v[74:75], v[86:87]
	;; [unrolled: 1-line block ×8, first 2 shown]
	s_waitcnt lgkmcnt(4)
	v_mul_f64 v[70:71], v[52:53], v[44:45]
	v_mul_f64 v[74:75], v[50:51], v[44:45]
	;; [unrolled: 1-line block ×4, first 2 shown]
	s_waitcnt lgkmcnt(3)
	v_mul_f64 v[82:83], v[6:7], v[44:45]
	v_mul_f64 v[44:45], v[4:5], v[44:45]
	;; [unrolled: 1-line block ×4, first 2 shown]
	v_fma_f64 v[86:87], v[16:17], v[38:39], -v[90:91]
	v_fma_f64 v[88:89], v[18:19], v[38:39], v[92:93]
	v_fma_f64 v[90:91], v[16:17], v[26:27], -v[94:95]
	v_fma_f64 v[92:93], v[18:19], v[26:27], v[96:97]
	;; [unrolled: 2-line block ×4, first 2 shown]
	ds_load_b128 v[16:19], v22 offset:3840
	s_waitcnt lgkmcnt(0)
	s_barrier
	buffer_gl0_inv
	v_add_f64 v[36:37], v[56:57], v[54:55]
	v_add_f64 v[40:41], v[72:73], v[76:77]
	;; [unrolled: 1-line block ×8, first 2 shown]
	v_mul_f64 v[64:65], v[10:11], v[30:31]
	v_mul_f64 v[66:67], v[8:9], v[30:31]
	;; [unrolled: 1-line block ×4, first 2 shown]
	v_fma_f64 v[70:71], v[50:51], v[42:43], -v[70:71]
	v_mul_f64 v[68:69], v[10:11], v[18:19]
	v_mul_f64 v[72:73], v[8:9], v[18:19]
	;; [unrolled: 1-line block ×4, first 2 shown]
	v_fma_f64 v[74:75], v[52:53], v[42:43], v[74:75]
	v_fma_f64 v[50:51], v[50:51], v[46:47], -v[78:79]
	v_fma_f64 v[52:53], v[52:53], v[46:47], v[80:81]
	v_fma_f64 v[78:79], v[4:5], v[42:43], -v[82:83]
	;; [unrolled: 2-line block ×3, first 2 shown]
	v_fma_f64 v[6:7], v[6:7], v[46:47], v[48:49]
	v_add_f64 v[36:37], v[36:37], v[86:87]
	v_add_f64 v[40:41], v[40:41], v[88:89]
	;; [unrolled: 1-line block ×8, first 2 shown]
	v_fma_f64 v[38:39], v[8:9], v[28:29], -v[64:65]
	v_fma_f64 v[54:55], v[10:11], v[28:29], v[66:67]
	v_fma_f64 v[56:57], v[12:13], v[28:29], -v[76:77]
	v_fma_f64 v[28:29], v[14:15], v[28:29], v[30:31]
	v_fma_f64 v[8:9], v[8:9], v[16:17], -v[68:69]
	v_fma_f64 v[10:11], v[10:11], v[16:17], v[72:73]
	v_fma_f64 v[30:31], v[12:13], v[16:17], -v[96:97]
	v_fma_f64 v[58:59], v[14:15], v[16:17], v[18:19]
	v_add_f64 v[12:13], v[36:37], v[70:71]
	v_add_f64 v[14:15], v[40:41], v[74:75]
	;; [unrolled: 1-line block ×16, first 2 shown]
	s_cbranch_vccz .LBB1312_2
.LBB1312_3:
	s_load_b128 s[4:7], s[0:1], 0x48
	v_add_nc_u32_e32 v21, s9, v21
	s_load_b32 s9, s[0:1], 0x0
	s_delay_alu instid0(VALU_DEP_1) | instskip(SKIP_1) | instid1(VALU_DEP_1)
	v_ashrrev_i32_e32 v0, 31, v21
	s_waitcnt lgkmcnt(0)
	v_mul_lo_u32 v3, v0, s4
	v_mul_lo_u32 v22, v21, s5
	v_mad_u64_u32 v[1:2], null, v21, s4, 0
	s_mul_i32 s1, s15, s7
	s_mul_hi_u32 s3, s15, s6
	s_mul_i32 s2, s15, s6
	s_add_i32 s3, s3, s1
	v_add_nc_u32_e32 v0, s8, v20
	s_lshl_b64 s[2:3], s[2:3], 4
	s_delay_alu instid0(VALU_DEP_2)
	v_add3_u32 v2, v2, v22, v3
	s_add_u32 s2, s30, s2
	s_addc_u32 s3, s31, s3
	v_cmp_le_i32_e64 s0, v21, v0
	v_cmp_gt_i32_e32 vcc_lo, s9, v0
	v_lshlrev_b64 v[1:2], 4, v[1:2]
	s_delay_alu instid0(VALU_DEP_3) | instskip(NEXT) | instid1(VALU_DEP_1)
	s_and_b32 s0, s0, vcc_lo
	v_add_co_u32 v20, s1, s2, v1
	s_delay_alu instid0(VALU_DEP_1)
	v_add_co_ci_u32_e64 v22, s1, s3, v2, s1
	s_and_saveexec_b32 s1, s0
	s_cbranch_execz .LBB1312_5
; %bb.4:
	v_ashrrev_i32_e32 v1, 31, v0
	s_delay_alu instid0(VALU_DEP_1) | instskip(NEXT) | instid1(VALU_DEP_1)
	v_lshlrev_b64 v[1:2], 4, v[0:1]
	v_add_co_u32 v1, s0, v20, v1
	s_delay_alu instid0(VALU_DEP_1)
	v_add_co_ci_u32_e64 v2, s0, v22, v2, s0
	v_cmp_ne_u32_e64 s0, v21, v0
	global_load_b128 v[23:26], v[1:2], off
	s_waitcnt vmcnt(0)
	v_add_f64 v[18:19], v[18:19], v[25:26]
	v_add_f64 v[16:17], v[16:17], v[23:24]
	s_delay_alu instid0(VALU_DEP_2) | instskip(NEXT) | instid1(VALU_DEP_3)
	v_cndmask_b32_e64 v19, 0, v19, s0
	v_cndmask_b32_e64 v18, 0, v18, s0
	global_store_b128 v[1:2], v[16:19], off
.LBB1312_5:
	s_or_b32 exec_lo, exec_lo, s1
	v_add_nc_u32_e32 v2, 16, v0
	s_delay_alu instid0(VALU_DEP_1) | instskip(SKIP_1) | instid1(VALU_DEP_1)
	v_cmp_le_i32_e64 s1, v21, v2
	v_cmp_gt_i32_e64 s0, s9, v2
	s_and_b32 s1, s1, s0
	s_delay_alu instid0(SALU_CYCLE_1)
	s_and_saveexec_b32 s6, s1
	s_cbranch_execz .LBB1312_7
; %bb.6:
	v_ashrrev_i32_e32 v3, 31, v2
	s_delay_alu instid0(VALU_DEP_1) | instskip(NEXT) | instid1(VALU_DEP_1)
	v_lshlrev_b64 v[16:17], 4, v[2:3]
	v_add_co_u32 v23, s1, v20, v16
	s_delay_alu instid0(VALU_DEP_1)
	v_add_co_ci_u32_e64 v24, s1, v22, v17, s1
	v_cmp_ne_u32_e64 s1, v21, v2
	global_load_b128 v[16:19], v[23:24], off
	s_waitcnt vmcnt(0)
	v_add_f64 v[14:15], v[14:15], v[18:19]
	v_add_f64 v[12:13], v[12:13], v[16:17]
	s_delay_alu instid0(VALU_DEP_2) | instskip(NEXT) | instid1(VALU_DEP_3)
	v_cndmask_b32_e64 v15, 0, v15, s1
	v_cndmask_b32_e64 v14, 0, v14, s1
	global_store_b128 v[23:24], v[12:15], off
.LBB1312_7:
	s_or_b32 exec_lo, exec_lo, s6
	v_add_nc_u32_e32 v3, 16, v21
	s_delay_alu instid0(VALU_DEP_1) | instskip(SKIP_3) | instid1(VALU_DEP_4)
	v_ashrrev_i32_e32 v1, 31, v3
	v_mul_lo_u32 v14, v3, s5
	v_mad_u64_u32 v[12:13], null, v3, s4, 0
	v_cmp_le_i32_e64 s1, v3, v0
	v_mul_lo_u32 v1, v1, s4
	s_delay_alu instid0(VALU_DEP_1) | instskip(NEXT) | instid1(VALU_DEP_1)
	v_add3_u32 v13, v13, v14, v1
	v_lshlrev_b64 v[12:13], 4, v[12:13]
	s_delay_alu instid0(VALU_DEP_1) | instskip(NEXT) | instid1(VALU_DEP_1)
	v_add_co_u32 v12, s2, s2, v12
	v_add_co_ci_u32_e64 v13, s2, s3, v13, s2
	s_and_b32 s2, s1, vcc_lo
	s_delay_alu instid0(SALU_CYCLE_1)
	s_and_saveexec_b32 s1, s2
	s_cbranch_execz .LBB1312_9
; %bb.8:
	v_ashrrev_i32_e32 v1, 31, v0
	s_delay_alu instid0(VALU_DEP_1) | instskip(NEXT) | instid1(VALU_DEP_1)
	v_lshlrev_b64 v[14:15], 4, v[0:1]
	v_add_co_u32 v18, vcc_lo, v12, v14
	s_delay_alu instid0(VALU_DEP_2)
	v_add_co_ci_u32_e32 v19, vcc_lo, v13, v15, vcc_lo
	v_cmp_ne_u32_e32 vcc_lo, v3, v0
	global_load_b128 v[14:17], v[18:19], off
	s_waitcnt vmcnt(0)
	v_add_f64 v[10:11], v[10:11], v[16:17]
	v_add_f64 v[8:9], v[8:9], v[14:15]
	s_delay_alu instid0(VALU_DEP_2)
	v_dual_cndmask_b32 v11, 0, v11 :: v_dual_cndmask_b32 v10, 0, v10
	global_store_b128 v[18:19], v[8:11], off
.LBB1312_9:
	s_or_b32 exec_lo, exec_lo, s1
	v_cmp_le_i32_e32 vcc_lo, v3, v2
	s_and_b32 s0, vcc_lo, s0
	s_delay_alu instid0(SALU_CYCLE_1)
	s_and_saveexec_b32 s1, s0
	s_cbranch_execz .LBB1312_11
; %bb.10:
	v_ashrrev_i32_e32 v3, 31, v2
	s_delay_alu instid0(VALU_DEP_1) | instskip(NEXT) | instid1(VALU_DEP_1)
	v_lshlrev_b64 v[1:2], 4, v[2:3]
	v_add_co_u32 v12, vcc_lo, v12, v1
	s_delay_alu instid0(VALU_DEP_2)
	v_add_co_ci_u32_e32 v13, vcc_lo, v13, v2, vcc_lo
	v_cmp_ne_u32_e32 vcc_lo, v21, v0
	global_load_b128 v[8:11], v[12:13], off
	s_waitcnt vmcnt(0)
	v_add_f64 v[3:4], v[4:5], v[10:11]
	v_add_f64 v[1:2], v[6:7], v[8:9]
	s_delay_alu instid0(VALU_DEP_2)
	v_dual_cndmask_b32 v4, 0, v4 :: v_dual_cndmask_b32 v3, 0, v3
	global_store_b128 v[12:13], v[1:4], off
.LBB1312_11:
	s_nop 0
	s_sendmsg sendmsg(MSG_DEALLOC_VGPRS)
	s_endpgm
	.section	.rodata,"a",@progbits
	.p2align	6, 0x0
	.amdhsa_kernel _ZL37rocblas_syrkx_herkx_restricted_kernelIl19rocblas_complex_numIdELi16ELi32ELi8ELi1ELi1ELb1ELc67ELc76EKS1_S1_EviT_PT9_S3_lS5_S3_lPT10_S3_li
		.amdhsa_group_segment_fixed_size 8192
		.amdhsa_private_segment_fixed_size 0
		.amdhsa_kernarg_size 92
		.amdhsa_user_sgpr_count 13
		.amdhsa_user_sgpr_dispatch_ptr 0
		.amdhsa_user_sgpr_queue_ptr 0
		.amdhsa_user_sgpr_kernarg_segment_ptr 1
		.amdhsa_user_sgpr_dispatch_id 0
		.amdhsa_user_sgpr_private_segment_size 0
		.amdhsa_wavefront_size32 1
		.amdhsa_uses_dynamic_stack 0
		.amdhsa_enable_private_segment 0
		.amdhsa_system_sgpr_workgroup_id_x 1
		.amdhsa_system_sgpr_workgroup_id_y 1
		.amdhsa_system_sgpr_workgroup_id_z 1
		.amdhsa_system_sgpr_workgroup_info 0
		.amdhsa_system_vgpr_workitem_id 1
		.amdhsa_next_free_vgpr 118
		.amdhsa_next_free_sgpr 32
		.amdhsa_reserve_vcc 1
		.amdhsa_float_round_mode_32 0
		.amdhsa_float_round_mode_16_64 0
		.amdhsa_float_denorm_mode_32 3
		.amdhsa_float_denorm_mode_16_64 3
		.amdhsa_dx10_clamp 1
		.amdhsa_ieee_mode 1
		.amdhsa_fp16_overflow 0
		.amdhsa_workgroup_processor_mode 1
		.amdhsa_memory_ordered 1
		.amdhsa_forward_progress 0
		.amdhsa_shared_vgpr_count 0
		.amdhsa_exception_fp_ieee_invalid_op 0
		.amdhsa_exception_fp_denorm_src 0
		.amdhsa_exception_fp_ieee_div_zero 0
		.amdhsa_exception_fp_ieee_overflow 0
		.amdhsa_exception_fp_ieee_underflow 0
		.amdhsa_exception_fp_ieee_inexact 0
		.amdhsa_exception_int_div_zero 0
	.end_amdhsa_kernel
	.section	.text._ZL37rocblas_syrkx_herkx_restricted_kernelIl19rocblas_complex_numIdELi16ELi32ELi8ELi1ELi1ELb1ELc67ELc76EKS1_S1_EviT_PT9_S3_lS5_S3_lPT10_S3_li,"axG",@progbits,_ZL37rocblas_syrkx_herkx_restricted_kernelIl19rocblas_complex_numIdELi16ELi32ELi8ELi1ELi1ELb1ELc67ELc76EKS1_S1_EviT_PT9_S3_lS5_S3_lPT10_S3_li,comdat
.Lfunc_end1312:
	.size	_ZL37rocblas_syrkx_herkx_restricted_kernelIl19rocblas_complex_numIdELi16ELi32ELi8ELi1ELi1ELb1ELc67ELc76EKS1_S1_EviT_PT9_S3_lS5_S3_lPT10_S3_li, .Lfunc_end1312-_ZL37rocblas_syrkx_herkx_restricted_kernelIl19rocblas_complex_numIdELi16ELi32ELi8ELi1ELi1ELb1ELc67ELc76EKS1_S1_EviT_PT9_S3_lS5_S3_lPT10_S3_li
                                        ; -- End function
	.section	.AMDGPU.csdata,"",@progbits
; Kernel info:
; codeLenInByte = 3184
; NumSgprs: 34
; NumVgprs: 118
; ScratchSize: 0
; MemoryBound: 0
; FloatMode: 240
; IeeeMode: 1
; LDSByteSize: 8192 bytes/workgroup (compile time only)
; SGPRBlocks: 4
; VGPRBlocks: 14
; NumSGPRsForWavesPerEU: 34
; NumVGPRsForWavesPerEU: 118
; Occupancy: 12
; WaveLimiterHint : 1
; COMPUTE_PGM_RSRC2:SCRATCH_EN: 0
; COMPUTE_PGM_RSRC2:USER_SGPR: 13
; COMPUTE_PGM_RSRC2:TRAP_HANDLER: 0
; COMPUTE_PGM_RSRC2:TGID_X_EN: 1
; COMPUTE_PGM_RSRC2:TGID_Y_EN: 1
; COMPUTE_PGM_RSRC2:TGID_Z_EN: 1
; COMPUTE_PGM_RSRC2:TIDIG_COMP_CNT: 1
	.section	.text._ZL37rocblas_syrkx_herkx_restricted_kernelIl19rocblas_complex_numIdELi16ELi32ELi8ELi1ELi1ELb1ELc78ELc76EKS1_S1_EviT_PT9_S3_lS5_S3_lPT10_S3_li,"axG",@progbits,_ZL37rocblas_syrkx_herkx_restricted_kernelIl19rocblas_complex_numIdELi16ELi32ELi8ELi1ELi1ELb1ELc78ELc76EKS1_S1_EviT_PT9_S3_lS5_S3_lPT10_S3_li,comdat
	.globl	_ZL37rocblas_syrkx_herkx_restricted_kernelIl19rocblas_complex_numIdELi16ELi32ELi8ELi1ELi1ELb1ELc78ELc76EKS1_S1_EviT_PT9_S3_lS5_S3_lPT10_S3_li ; -- Begin function _ZL37rocblas_syrkx_herkx_restricted_kernelIl19rocblas_complex_numIdELi16ELi32ELi8ELi1ELi1ELb1ELc78ELc76EKS1_S1_EviT_PT9_S3_lS5_S3_lPT10_S3_li
	.p2align	8
	.type	_ZL37rocblas_syrkx_herkx_restricted_kernelIl19rocblas_complex_numIdELi16ELi32ELi8ELi1ELi1ELb1ELc78ELc76EKS1_S1_EviT_PT9_S3_lS5_S3_lPT10_S3_li,@function
_ZL37rocblas_syrkx_herkx_restricted_kernelIl19rocblas_complex_numIdELi16ELi32ELi8ELi1ELi1ELb1ELc78ELc76EKS1_S1_EviT_PT9_S3_lS5_S3_lPT10_S3_li: ; @_ZL37rocblas_syrkx_herkx_restricted_kernelIl19rocblas_complex_numIdELi16ELi32ELi8ELi1ELi1ELb1ELc78ELc76EKS1_S1_EviT_PT9_S3_lS5_S3_lPT10_S3_li
; %bb.0:
	s_load_b512 s[16:31], s[0:1], 0x8
	v_mov_b32_e32 v16, 0
	v_dual_mov_b32 v17, 0 :: v_dual_and_b32 v20, 0x3ff, v0
	v_bfe_u32 v21, v0, 10, 10
	s_delay_alu instid0(VALU_DEP_3) | instskip(NEXT) | instid1(VALU_DEP_3)
	v_mov_b32_e32 v12, v16
	v_dual_mov_b32 v14, v16 :: v_dual_mov_b32 v15, v17
	v_dual_mov_b32 v19, v17 :: v_dual_mov_b32 v18, v16
	v_dual_mov_b32 v13, v17 :: v_dual_mov_b32 v8, v16
	v_dual_mov_b32 v9, v17 :: v_dual_mov_b32 v10, v16
	v_dual_mov_b32 v11, v17 :: v_dual_mov_b32 v6, v16
	v_dual_mov_b32 v7, v17 :: v_dual_mov_b32 v4, v16
	v_mov_b32_e32 v5, v17
	s_lshl_b32 s8, s13, 5
	s_waitcnt lgkmcnt(0)
	v_cmp_lt_i64_e64 s2, s[16:17], 1
	s_lshl_b32 s9, s14, 5
	s_delay_alu instid0(VALU_DEP_1)
	s_and_b32 vcc_lo, exec_lo, s2
	s_cbranch_vccnz .LBB1313_3
; %bb.1:
	v_lshl_add_u32 v1, v21, 4, v20
	v_and_b32_e32 v10, 7, v20
	s_mul_i32 s3, s23, s15
	s_mul_hi_u32 s5, s22, s15
	s_mul_i32 s2, s22, s15
	v_dual_mov_b32 v4, 0 :: v_dual_and_b32 v9, 31, v1
	v_lshrrev_b32_e32 v11, 3, v1
	v_mov_b32_e32 v5, 0
	v_lshrrev_b32_e32 v12, 5, v1
	s_delay_alu instid0(VALU_DEP_4)
	v_add_nc_u32_e32 v0, s8, v9
	s_add_i32 s3, s5, s3
	v_add_nc_u32_e32 v2, s9, v11
	s_lshl_b64 s[2:3], s[2:3], 4
	s_mul_i32 s6, s29, s15
	v_ashrrev_i32_e32 v1, 31, v0
	s_mul_hi_u32 s7, s28, s15
	v_ashrrev_i32_e32 v3, 31, v2
	s_add_u32 s10, s18, s2
	s_mul_i32 s4, s28, s15
	v_mad_u64_u32 v[6:7], null, v12, s20, v[0:1]
	s_delay_alu instid0(VALU_DEP_2) | instskip(SKIP_4) | instid1(VALU_DEP_2)
	v_mad_u64_u32 v[0:1], null, v10, s26, v[2:3]
	s_addc_u32 s11, s19, s3
	s_add_i32 s5, s7, s6
	s_lshl_b64 s[2:3], s[20:21], 7
	s_lshl_b64 s[4:5], s[4:5], 4
	v_dual_mov_b32 v2, v7 :: v_dual_lshlrev_b32 v13, 4, v10
	s_add_u32 s4, s24, s4
	s_addc_u32 s5, s25, s5
	v_lshl_add_u32 v23, v21, 7, 0x1000
	s_delay_alu instid0(VALU_DEP_2)
	v_mad_u64_u32 v[7:8], null, v12, s21, v[2:3]
	v_mad_u64_u32 v[2:3], null, v10, s27, v[1:2]
	v_lshlrev_b32_e32 v22, 4, v20
	v_dual_mov_b32 v15, v5 :: v_dual_lshlrev_b32 v8, 4, v9
	v_lshl_or_b32 v9, v11, 7, v13
	v_dual_mov_b32 v11, v5 :: v_dual_mov_b32 v10, v4
	v_mov_b32_e32 v1, v2
	v_lshlrev_b64 v[2:3], 4, v[6:7]
	v_lshl_or_b32 v24, v12, 9, v8
	v_add_nc_u32_e32 v25, 0x1000, v9
	v_mov_b32_e32 v9, v5
	v_lshlrev_b64 v[0:1], 4, v[0:1]
	v_dual_mov_b32 v8, v4 :: v_dual_mov_b32 v13, v5
	v_add_co_u32 v2, vcc_lo, s10, v2
	v_add_co_ci_u32_e32 v3, vcc_lo, s11, v3, vcc_lo
	s_delay_alu instid0(VALU_DEP_4) | instskip(SKIP_1) | instid1(VALU_DEP_4)
	v_add_co_u32 v6, vcc_lo, s4, v0
	v_add_co_ci_u32_e32 v7, vcc_lo, s5, v1, vcc_lo
	v_add_co_u32 v0, vcc_lo, v2, 8
	s_delay_alu instid0(VALU_DEP_4) | instskip(NEXT) | instid1(VALU_DEP_4)
	v_add_co_ci_u32_e32 v1, vcc_lo, 0, v3, vcc_lo
	v_add_co_u32 v2, vcc_lo, v6, 8
	s_delay_alu instid0(VALU_DEP_4)
	v_add_co_ci_u32_e32 v3, vcc_lo, 0, v7, vcc_lo
	v_dual_mov_b32 v7, v5 :: v_dual_mov_b32 v14, v4
	v_dual_mov_b32 v19, v5 :: v_dual_mov_b32 v12, v4
	;; [unrolled: 1-line block ×3, first 2 shown]
	v_mov_b32_e32 v18, v4
	v_mov_b32_e32 v16, v4
	s_lshl_b64 s[4:5], s[26:27], 7
	s_mov_b64 s[6:7], 0
.LBB1313_2:                             ; =>This Inner Loop Header: Depth=1
	global_load_b128 v[26:29], v[2:3], off offset:-8
	global_load_b128 v[30:33], v[0:1], off offset:-8
	s_add_u32 s6, s6, 8
	v_add_co_u32 v0, vcc_lo, v0, s2
	s_addc_u32 s7, s7, 0
	v_add_co_ci_u32_e32 v1, vcc_lo, s3, v1, vcc_lo
	v_cmp_ge_u64_e64 s10, s[6:7], s[16:17]
	v_add_co_u32 v2, vcc_lo, v2, s4
	v_add_co_ci_u32_e32 v3, vcc_lo, s5, v3, vcc_lo
	s_delay_alu instid0(VALU_DEP_3)
	s_and_b32 vcc_lo, exec_lo, s10
	s_waitcnt vmcnt(1)
	v_xor_b32_e32 v29, 0x80000000, v29
	s_waitcnt vmcnt(0)
	ds_store_b128 v24, v[30:33]
	ds_store_b128 v25, v[26:29]
	s_waitcnt lgkmcnt(0)
	s_barrier
	buffer_gl0_inv
	ds_load_b128 v[26:29], v23
	ds_load_b128 v[30:33], v22
	ds_load_b128 v[34:37], v22 offset:256
	ds_load_b128 v[38:41], v23 offset:2048
	;; [unrolled: 1-line block ×13, first 2 shown]
	s_waitcnt lgkmcnt(13)
	v_mul_f64 v[86:87], v[28:29], v[32:33]
	v_mul_f64 v[88:89], v[26:27], v[32:33]
	s_waitcnt lgkmcnt(12)
	v_mul_f64 v[90:91], v[28:29], v[36:37]
	v_mul_f64 v[92:93], v[26:27], v[36:37]
	;; [unrolled: 3-line block ×3, first 2 shown]
	v_mul_f64 v[96:97], v[40:41], v[36:37]
	v_mul_f64 v[36:37], v[38:39], v[36:37]
	s_waitcnt lgkmcnt(8)
	v_mul_f64 v[98:99], v[44:45], v[52:53]
	v_mul_f64 v[100:101], v[42:43], v[52:53]
	s_waitcnt lgkmcnt(7)
	v_mul_f64 v[102:103], v[44:45], v[56:57]
	v_mul_f64 v[104:105], v[42:43], v[56:57]
	;; [unrolled: 1-line block ×6, first 2 shown]
	s_waitcnt lgkmcnt(3)
	v_mul_f64 v[112:113], v[58:59], v[72:73]
	s_waitcnt lgkmcnt(2)
	v_mul_f64 v[114:115], v[76:77], v[68:69]
	v_mul_f64 v[116:117], v[76:77], v[72:73]
	v_fma_f64 v[86:87], v[26:27], v[30:31], -v[86:87]
	v_fma_f64 v[88:89], v[28:29], v[30:31], v[88:89]
	v_fma_f64 v[90:91], v[26:27], v[34:35], -v[90:91]
	v_fma_f64 v[92:93], v[28:29], v[34:35], v[92:93]
	;; [unrolled: 2-line block ×4, first 2 shown]
	v_mul_f64 v[36:37], v[60:61], v[68:69]
	v_mul_f64 v[40:41], v[58:59], v[68:69]
	v_mul_f64 v[96:97], v[60:61], v[72:73]
	v_mul_f64 v[68:69], v[74:75], v[68:69]
	v_mul_f64 v[72:73], v[74:75], v[72:73]
	v_fma_f64 v[98:99], v[42:43], v[50:51], -v[98:99]
	v_fma_f64 v[100:101], v[44:45], v[50:51], v[100:101]
	v_fma_f64 v[42:43], v[42:43], v[54:55], -v[102:103]
	v_fma_f64 v[44:45], v[44:45], v[54:55], v[104:105]
	;; [unrolled: 2-line block ×4, first 2 shown]
	ds_load_b128 v[26:29], v22 offset:1792
	ds_load_b128 v[30:33], v22 offset:2048
	s_waitcnt lgkmcnt(2)
	v_mul_f64 v[56:57], v[64:65], v[84:85]
	v_add_f64 v[16:17], v[16:17], v[86:87]
	v_add_f64 v[18:19], v[18:19], v[88:89]
	;; [unrolled: 1-line block ×8, first 2 shown]
	v_mul_f64 v[86:87], v[62:63], v[84:85]
	s_waitcnt lgkmcnt(1)
	v_mul_f64 v[88:89], v[64:65], v[28:29]
	v_mul_f64 v[90:91], v[62:63], v[28:29]
	v_mul_f64 v[92:93], v[80:81], v[84:85]
	v_mul_f64 v[84:85], v[78:79], v[84:85]
	v_mul_f64 v[94:95], v[80:81], v[28:29]
	v_mul_f64 v[28:29], v[78:79], v[28:29]
	v_fma_f64 v[104:105], v[58:59], v[66:67], -v[36:37]
	v_fma_f64 v[106:107], v[60:61], v[66:67], v[40:41]
	v_fma_f64 v[58:59], v[58:59], v[70:71], -v[96:97]
	v_fma_f64 v[60:61], v[60:61], v[70:71], v[112:113]
	;; [unrolled: 2-line block ×4, first 2 shown]
	ds_load_b128 v[4:7], v22 offset:2304
	ds_load_b128 v[8:11], v23 offset:64
	v_fma_f64 v[56:57], v[62:63], v[82:83], -v[56:57]
	v_add_f64 v[72:73], v[16:17], v[98:99]
	v_add_f64 v[74:75], v[18:19], v[100:101]
	;; [unrolled: 1-line block ×8, first 2 shown]
	ds_load_b128 v[12:15], v23 offset:2112
	ds_load_b128 v[16:19], v23 offset:80
	;; [unrolled: 1-line block ×4, first 2 shown]
	s_waitcnt lgkmcnt(4)
	v_mul_f64 v[54:55], v[10:11], v[32:33]
	v_mul_f64 v[76:77], v[8:9], v[32:33]
	;; [unrolled: 1-line block ×4, first 2 shown]
	v_fma_f64 v[86:87], v[64:65], v[82:83], v[86:87]
	v_fma_f64 v[62:63], v[62:63], v[26:27], -v[88:89]
	v_fma_f64 v[64:65], v[64:65], v[26:27], v[90:91]
	v_fma_f64 v[88:89], v[78:79], v[82:83], -v[92:93]
	;; [unrolled: 2-line block ×3, first 2 shown]
	v_fma_f64 v[80:81], v[80:81], v[26:27], v[28:29]
	s_waitcnt lgkmcnt(3)
	v_mul_f64 v[102:103], v[14:15], v[32:33]
	v_mul_f64 v[32:33], v[12:13], v[32:33]
	;; [unrolled: 1-line block ×4, first 2 shown]
	s_waitcnt lgkmcnt(0)
	v_mul_f64 v[90:91], v[18:19], v[40:41]
	v_mul_f64 v[92:93], v[16:17], v[40:41]
	v_add_f64 v[72:73], v[72:73], v[104:105]
	v_add_f64 v[74:75], v[74:75], v[106:107]
	;; [unrolled: 1-line block ×8, first 2 shown]
	ds_load_b128 v[26:29], v22 offset:2816
	ds_load_b128 v[42:45], v22 offset:3072
	;; [unrolled: 1-line block ×4, first 2 shown]
	v_mul_f64 v[104:105], v[36:37], v[40:41]
	v_mul_f64 v[40:41], v[34:35], v[40:41]
	v_fma_f64 v[54:55], v[8:9], v[30:31], -v[54:55]
	v_fma_f64 v[76:77], v[10:11], v[30:31], v[76:77]
	v_fma_f64 v[98:99], v[8:9], v[4:5], -v[98:99]
	v_fma_f64 v[100:101], v[10:11], v[4:5], v[100:101]
	s_waitcnt lgkmcnt(3)
	v_mul_f64 v[94:95], v[18:19], v[28:29]
	v_mul_f64 v[96:97], v[16:17], v[28:29]
	;; [unrolled: 1-line block ×4, first 2 shown]
	v_fma_f64 v[102:103], v[12:13], v[30:31], -v[102:103]
	v_fma_f64 v[32:33], v[14:15], v[30:31], v[32:33]
	v_fma_f64 v[108:109], v[12:13], v[4:5], -v[108:109]
	v_fma_f64 v[112:113], v[14:15], v[4:5], v[6:7]
	ds_load_b128 v[4:7], v23 offset:2144
	ds_load_b128 v[8:11], v23 offset:112
	;; [unrolled: 1-line block ×4, first 2 shown]
	v_add_f64 v[56:57], v[72:73], v[56:57]
	v_add_f64 v[72:73], v[74:75], v[86:87]
	;; [unrolled: 1-line block ×8, first 2 shown]
	s_waitcnt lgkmcnt(4)
	v_mul_f64 v[70:71], v[52:53], v[44:45]
	v_mul_f64 v[74:75], v[50:51], v[44:45]
	;; [unrolled: 1-line block ×4, first 2 shown]
	s_waitcnt lgkmcnt(3)
	v_mul_f64 v[82:83], v[6:7], v[44:45]
	v_mul_f64 v[44:45], v[4:5], v[44:45]
	;; [unrolled: 1-line block ×4, first 2 shown]
	v_fma_f64 v[86:87], v[16:17], v[38:39], -v[90:91]
	v_fma_f64 v[88:89], v[18:19], v[38:39], v[92:93]
	v_fma_f64 v[90:91], v[16:17], v[26:27], -v[94:95]
	v_fma_f64 v[92:93], v[18:19], v[26:27], v[96:97]
	;; [unrolled: 2-line block ×4, first 2 shown]
	ds_load_b128 v[16:19], v22 offset:3840
	s_waitcnt lgkmcnt(0)
	s_barrier
	buffer_gl0_inv
	v_add_f64 v[36:37], v[56:57], v[54:55]
	v_add_f64 v[40:41], v[72:73], v[76:77]
	;; [unrolled: 1-line block ×8, first 2 shown]
	v_mul_f64 v[64:65], v[10:11], v[30:31]
	v_mul_f64 v[66:67], v[8:9], v[30:31]
	;; [unrolled: 1-line block ×4, first 2 shown]
	v_fma_f64 v[70:71], v[50:51], v[42:43], -v[70:71]
	v_mul_f64 v[68:69], v[10:11], v[18:19]
	v_mul_f64 v[72:73], v[8:9], v[18:19]
	v_mul_f64 v[96:97], v[14:15], v[18:19]
	v_mul_f64 v[18:19], v[12:13], v[18:19]
	v_fma_f64 v[74:75], v[52:53], v[42:43], v[74:75]
	v_fma_f64 v[50:51], v[50:51], v[46:47], -v[78:79]
	v_fma_f64 v[52:53], v[52:53], v[46:47], v[80:81]
	v_fma_f64 v[78:79], v[4:5], v[42:43], -v[82:83]
	;; [unrolled: 2-line block ×3, first 2 shown]
	v_fma_f64 v[6:7], v[6:7], v[46:47], v[48:49]
	v_add_f64 v[36:37], v[36:37], v[86:87]
	v_add_f64 v[40:41], v[40:41], v[88:89]
	;; [unrolled: 1-line block ×8, first 2 shown]
	v_fma_f64 v[38:39], v[8:9], v[28:29], -v[64:65]
	v_fma_f64 v[54:55], v[10:11], v[28:29], v[66:67]
	v_fma_f64 v[56:57], v[12:13], v[28:29], -v[76:77]
	v_fma_f64 v[28:29], v[14:15], v[28:29], v[30:31]
	;; [unrolled: 2-line block ×4, first 2 shown]
	v_add_f64 v[12:13], v[36:37], v[70:71]
	v_add_f64 v[14:15], v[40:41], v[74:75]
	;; [unrolled: 1-line block ×16, first 2 shown]
	s_cbranch_vccz .LBB1313_2
.LBB1313_3:
	s_load_b128 s[4:7], s[0:1], 0x48
	v_add_nc_u32_e32 v21, s9, v21
	s_load_b32 s9, s[0:1], 0x0
	s_delay_alu instid0(VALU_DEP_1) | instskip(SKIP_1) | instid1(VALU_DEP_1)
	v_ashrrev_i32_e32 v0, 31, v21
	s_waitcnt lgkmcnt(0)
	v_mul_lo_u32 v3, v0, s4
	v_mul_lo_u32 v22, v21, s5
	v_mad_u64_u32 v[1:2], null, v21, s4, 0
	s_mul_i32 s1, s15, s7
	s_mul_hi_u32 s3, s15, s6
	s_mul_i32 s2, s15, s6
	s_add_i32 s3, s3, s1
	v_add_nc_u32_e32 v0, s8, v20
	s_lshl_b64 s[2:3], s[2:3], 4
	s_delay_alu instid0(VALU_DEP_2)
	v_add3_u32 v2, v2, v22, v3
	s_add_u32 s2, s30, s2
	s_addc_u32 s3, s31, s3
	v_cmp_le_i32_e64 s0, v21, v0
	v_cmp_gt_i32_e32 vcc_lo, s9, v0
	v_lshlrev_b64 v[1:2], 4, v[1:2]
	s_delay_alu instid0(VALU_DEP_3) | instskip(NEXT) | instid1(VALU_DEP_1)
	s_and_b32 s0, s0, vcc_lo
	v_add_co_u32 v20, s1, s2, v1
	s_delay_alu instid0(VALU_DEP_1)
	v_add_co_ci_u32_e64 v22, s1, s3, v2, s1
	s_and_saveexec_b32 s1, s0
	s_cbranch_execz .LBB1313_5
; %bb.4:
	v_ashrrev_i32_e32 v1, 31, v0
	s_delay_alu instid0(VALU_DEP_1) | instskip(NEXT) | instid1(VALU_DEP_1)
	v_lshlrev_b64 v[1:2], 4, v[0:1]
	v_add_co_u32 v1, s0, v20, v1
	s_delay_alu instid0(VALU_DEP_1)
	v_add_co_ci_u32_e64 v2, s0, v22, v2, s0
	v_cmp_ne_u32_e64 s0, v21, v0
	global_load_b128 v[23:26], v[1:2], off
	s_waitcnt vmcnt(0)
	v_add_f64 v[18:19], v[18:19], v[25:26]
	v_add_f64 v[16:17], v[16:17], v[23:24]
	s_delay_alu instid0(VALU_DEP_2) | instskip(NEXT) | instid1(VALU_DEP_3)
	v_cndmask_b32_e64 v19, 0, v19, s0
	v_cndmask_b32_e64 v18, 0, v18, s0
	global_store_b128 v[1:2], v[16:19], off
.LBB1313_5:
	s_or_b32 exec_lo, exec_lo, s1
	v_add_nc_u32_e32 v2, 16, v0
	s_delay_alu instid0(VALU_DEP_1) | instskip(SKIP_1) | instid1(VALU_DEP_1)
	v_cmp_le_i32_e64 s1, v21, v2
	v_cmp_gt_i32_e64 s0, s9, v2
	s_and_b32 s1, s1, s0
	s_delay_alu instid0(SALU_CYCLE_1)
	s_and_saveexec_b32 s6, s1
	s_cbranch_execz .LBB1313_7
; %bb.6:
	v_ashrrev_i32_e32 v3, 31, v2
	s_delay_alu instid0(VALU_DEP_1) | instskip(NEXT) | instid1(VALU_DEP_1)
	v_lshlrev_b64 v[16:17], 4, v[2:3]
	v_add_co_u32 v23, s1, v20, v16
	s_delay_alu instid0(VALU_DEP_1)
	v_add_co_ci_u32_e64 v24, s1, v22, v17, s1
	v_cmp_ne_u32_e64 s1, v21, v2
	global_load_b128 v[16:19], v[23:24], off
	s_waitcnt vmcnt(0)
	v_add_f64 v[14:15], v[14:15], v[18:19]
	v_add_f64 v[12:13], v[12:13], v[16:17]
	s_delay_alu instid0(VALU_DEP_2) | instskip(NEXT) | instid1(VALU_DEP_3)
	v_cndmask_b32_e64 v15, 0, v15, s1
	v_cndmask_b32_e64 v14, 0, v14, s1
	global_store_b128 v[23:24], v[12:15], off
.LBB1313_7:
	s_or_b32 exec_lo, exec_lo, s6
	v_add_nc_u32_e32 v3, 16, v21
	s_delay_alu instid0(VALU_DEP_1) | instskip(SKIP_3) | instid1(VALU_DEP_4)
	v_ashrrev_i32_e32 v1, 31, v3
	v_mul_lo_u32 v14, v3, s5
	v_mad_u64_u32 v[12:13], null, v3, s4, 0
	v_cmp_le_i32_e64 s1, v3, v0
	v_mul_lo_u32 v1, v1, s4
	s_delay_alu instid0(VALU_DEP_1) | instskip(NEXT) | instid1(VALU_DEP_1)
	v_add3_u32 v13, v13, v14, v1
	v_lshlrev_b64 v[12:13], 4, v[12:13]
	s_delay_alu instid0(VALU_DEP_1) | instskip(NEXT) | instid1(VALU_DEP_1)
	v_add_co_u32 v12, s2, s2, v12
	v_add_co_ci_u32_e64 v13, s2, s3, v13, s2
	s_and_b32 s2, s1, vcc_lo
	s_delay_alu instid0(SALU_CYCLE_1)
	s_and_saveexec_b32 s1, s2
	s_cbranch_execz .LBB1313_9
; %bb.8:
	v_ashrrev_i32_e32 v1, 31, v0
	s_delay_alu instid0(VALU_DEP_1) | instskip(NEXT) | instid1(VALU_DEP_1)
	v_lshlrev_b64 v[14:15], 4, v[0:1]
	v_add_co_u32 v18, vcc_lo, v12, v14
	s_delay_alu instid0(VALU_DEP_2)
	v_add_co_ci_u32_e32 v19, vcc_lo, v13, v15, vcc_lo
	v_cmp_ne_u32_e32 vcc_lo, v3, v0
	global_load_b128 v[14:17], v[18:19], off
	s_waitcnt vmcnt(0)
	v_add_f64 v[10:11], v[10:11], v[16:17]
	v_add_f64 v[8:9], v[8:9], v[14:15]
	s_delay_alu instid0(VALU_DEP_2)
	v_dual_cndmask_b32 v11, 0, v11 :: v_dual_cndmask_b32 v10, 0, v10
	global_store_b128 v[18:19], v[8:11], off
.LBB1313_9:
	s_or_b32 exec_lo, exec_lo, s1
	v_cmp_le_i32_e32 vcc_lo, v3, v2
	s_and_b32 s0, vcc_lo, s0
	s_delay_alu instid0(SALU_CYCLE_1)
	s_and_saveexec_b32 s1, s0
	s_cbranch_execz .LBB1313_11
; %bb.10:
	v_ashrrev_i32_e32 v3, 31, v2
	s_delay_alu instid0(VALU_DEP_1) | instskip(NEXT) | instid1(VALU_DEP_1)
	v_lshlrev_b64 v[1:2], 4, v[2:3]
	v_add_co_u32 v12, vcc_lo, v12, v1
	s_delay_alu instid0(VALU_DEP_2)
	v_add_co_ci_u32_e32 v13, vcc_lo, v13, v2, vcc_lo
	v_cmp_ne_u32_e32 vcc_lo, v21, v0
	global_load_b128 v[8:11], v[12:13], off
	s_waitcnt vmcnt(0)
	v_add_f64 v[3:4], v[4:5], v[10:11]
	v_add_f64 v[1:2], v[6:7], v[8:9]
	s_delay_alu instid0(VALU_DEP_2)
	v_dual_cndmask_b32 v4, 0, v4 :: v_dual_cndmask_b32 v3, 0, v3
	global_store_b128 v[12:13], v[1:4], off
.LBB1313_11:
	s_nop 0
	s_sendmsg sendmsg(MSG_DEALLOC_VGPRS)
	s_endpgm
	.section	.rodata,"a",@progbits
	.p2align	6, 0x0
	.amdhsa_kernel _ZL37rocblas_syrkx_herkx_restricted_kernelIl19rocblas_complex_numIdELi16ELi32ELi8ELi1ELi1ELb1ELc78ELc76EKS1_S1_EviT_PT9_S3_lS5_S3_lPT10_S3_li
		.amdhsa_group_segment_fixed_size 8192
		.amdhsa_private_segment_fixed_size 0
		.amdhsa_kernarg_size 92
		.amdhsa_user_sgpr_count 13
		.amdhsa_user_sgpr_dispatch_ptr 0
		.amdhsa_user_sgpr_queue_ptr 0
		.amdhsa_user_sgpr_kernarg_segment_ptr 1
		.amdhsa_user_sgpr_dispatch_id 0
		.amdhsa_user_sgpr_private_segment_size 0
		.amdhsa_wavefront_size32 1
		.amdhsa_uses_dynamic_stack 0
		.amdhsa_enable_private_segment 0
		.amdhsa_system_sgpr_workgroup_id_x 1
		.amdhsa_system_sgpr_workgroup_id_y 1
		.amdhsa_system_sgpr_workgroup_id_z 1
		.amdhsa_system_sgpr_workgroup_info 0
		.amdhsa_system_vgpr_workitem_id 1
		.amdhsa_next_free_vgpr 118
		.amdhsa_next_free_sgpr 32
		.amdhsa_reserve_vcc 1
		.amdhsa_float_round_mode_32 0
		.amdhsa_float_round_mode_16_64 0
		.amdhsa_float_denorm_mode_32 3
		.amdhsa_float_denorm_mode_16_64 3
		.amdhsa_dx10_clamp 1
		.amdhsa_ieee_mode 1
		.amdhsa_fp16_overflow 0
		.amdhsa_workgroup_processor_mode 1
		.amdhsa_memory_ordered 1
		.amdhsa_forward_progress 0
		.amdhsa_shared_vgpr_count 0
		.amdhsa_exception_fp_ieee_invalid_op 0
		.amdhsa_exception_fp_denorm_src 0
		.amdhsa_exception_fp_ieee_div_zero 0
		.amdhsa_exception_fp_ieee_overflow 0
		.amdhsa_exception_fp_ieee_underflow 0
		.amdhsa_exception_fp_ieee_inexact 0
		.amdhsa_exception_int_div_zero 0
	.end_amdhsa_kernel
	.section	.text._ZL37rocblas_syrkx_herkx_restricted_kernelIl19rocblas_complex_numIdELi16ELi32ELi8ELi1ELi1ELb1ELc78ELc76EKS1_S1_EviT_PT9_S3_lS5_S3_lPT10_S3_li,"axG",@progbits,_ZL37rocblas_syrkx_herkx_restricted_kernelIl19rocblas_complex_numIdELi16ELi32ELi8ELi1ELi1ELb1ELc78ELc76EKS1_S1_EviT_PT9_S3_lS5_S3_lPT10_S3_li,comdat
.Lfunc_end1313:
	.size	_ZL37rocblas_syrkx_herkx_restricted_kernelIl19rocblas_complex_numIdELi16ELi32ELi8ELi1ELi1ELb1ELc78ELc76EKS1_S1_EviT_PT9_S3_lS5_S3_lPT10_S3_li, .Lfunc_end1313-_ZL37rocblas_syrkx_herkx_restricted_kernelIl19rocblas_complex_numIdELi16ELi32ELi8ELi1ELi1ELb1ELc78ELc76EKS1_S1_EviT_PT9_S3_lS5_S3_lPT10_S3_li
                                        ; -- End function
	.section	.AMDGPU.csdata,"",@progbits
; Kernel info:
; codeLenInByte = 3164
; NumSgprs: 34
; NumVgprs: 118
; ScratchSize: 0
; MemoryBound: 0
; FloatMode: 240
; IeeeMode: 1
; LDSByteSize: 8192 bytes/workgroup (compile time only)
; SGPRBlocks: 4
; VGPRBlocks: 14
; NumSGPRsForWavesPerEU: 34
; NumVGPRsForWavesPerEU: 118
; Occupancy: 12
; WaveLimiterHint : 1
; COMPUTE_PGM_RSRC2:SCRATCH_EN: 0
; COMPUTE_PGM_RSRC2:USER_SGPR: 13
; COMPUTE_PGM_RSRC2:TRAP_HANDLER: 0
; COMPUTE_PGM_RSRC2:TGID_X_EN: 1
; COMPUTE_PGM_RSRC2:TGID_Y_EN: 1
; COMPUTE_PGM_RSRC2:TGID_Z_EN: 1
; COMPUTE_PGM_RSRC2:TIDIG_COMP_CNT: 1
	.section	.text._ZL37rocblas_syrkx_herkx_restricted_kernelIl19rocblas_complex_numIdELi16ELi32ELi8ELi1ELi1ELb1ELc84ELc85EKS1_S1_EviT_PT9_S3_lS5_S3_lPT10_S3_li,"axG",@progbits,_ZL37rocblas_syrkx_herkx_restricted_kernelIl19rocblas_complex_numIdELi16ELi32ELi8ELi1ELi1ELb1ELc84ELc85EKS1_S1_EviT_PT9_S3_lS5_S3_lPT10_S3_li,comdat
	.globl	_ZL37rocblas_syrkx_herkx_restricted_kernelIl19rocblas_complex_numIdELi16ELi32ELi8ELi1ELi1ELb1ELc84ELc85EKS1_S1_EviT_PT9_S3_lS5_S3_lPT10_S3_li ; -- Begin function _ZL37rocblas_syrkx_herkx_restricted_kernelIl19rocblas_complex_numIdELi16ELi32ELi8ELi1ELi1ELb1ELc84ELc85EKS1_S1_EviT_PT9_S3_lS5_S3_lPT10_S3_li
	.p2align	8
	.type	_ZL37rocblas_syrkx_herkx_restricted_kernelIl19rocblas_complex_numIdELi16ELi32ELi8ELi1ELi1ELb1ELc84ELc85EKS1_S1_EviT_PT9_S3_lS5_S3_lPT10_S3_li,@function
_ZL37rocblas_syrkx_herkx_restricted_kernelIl19rocblas_complex_numIdELi16ELi32ELi8ELi1ELi1ELb1ELc84ELc85EKS1_S1_EviT_PT9_S3_lS5_S3_lPT10_S3_li: ; @_ZL37rocblas_syrkx_herkx_restricted_kernelIl19rocblas_complex_numIdELi16ELi32ELi8ELi1ELi1ELb1ELc84ELc85EKS1_S1_EviT_PT9_S3_lS5_S3_lPT10_S3_li
; %bb.0:
	s_load_b512 s[16:31], s[0:1], 0x8
	v_mov_b32_e32 v16, 0
	v_dual_mov_b32 v17, 0 :: v_dual_and_b32 v20, 0x3ff, v0
	v_bfe_u32 v21, v0, 10, 10
	s_delay_alu instid0(VALU_DEP_3) | instskip(NEXT) | instid1(VALU_DEP_3)
	v_mov_b32_e32 v12, v16
	v_dual_mov_b32 v14, v16 :: v_dual_mov_b32 v15, v17
	v_dual_mov_b32 v19, v17 :: v_dual_mov_b32 v18, v16
	;; [unrolled: 1-line block ×6, first 2 shown]
	v_mov_b32_e32 v5, v17
	s_lshl_b32 s8, s13, 5
	s_waitcnt lgkmcnt(0)
	v_cmp_lt_i64_e64 s2, s[16:17], 1
	s_lshl_b32 s9, s14, 5
	s_delay_alu instid0(VALU_DEP_1)
	s_and_b32 vcc_lo, exec_lo, s2
	s_cbranch_vccnz .LBB1314_3
; %bb.1:
	v_lshl_add_u32 v2, v21, 4, v20
	v_dual_mov_b32 v1, 0 :: v_dual_and_b32 v0, 7, v20
	v_lshlrev_b32_e32 v22, 4, v20
	s_mul_i32 s3, s23, s15
	s_delay_alu instid0(VALU_DEP_3)
	v_and_b32_e32 v8, 31, v2
	v_lshrrev_b32_e32 v9, 3, v2
	v_lshrrev_b32_e32 v2, 5, v2
	v_mov_b32_e32 v3, v1
	v_lshlrev_b32_e32 v11, 4, v0
	v_add_nc_u32_e32 v6, s8, v8
	v_add_nc_u32_e32 v10, s9, v9
	s_mul_hi_u32 s4, s22, s15
	s_mul_i32 s2, s22, s15
	s_add_i32 s3, s4, s3
	v_ashrrev_i32_e32 v7, 31, v6
	v_ashrrev_i32_e32 v12, 31, v10
	v_mad_u64_u32 v[4:5], null, s20, v6, v[2:3]
	v_mul_lo_u32 v3, s21, v6
	s_delay_alu instid0(VALU_DEP_4)
	v_mul_lo_u32 v13, s20, v7
	v_mul_lo_u32 v14, v10, s27
	v_mad_u64_u32 v[6:7], null, v10, s26, v[0:1]
	v_mul_lo_u32 v0, v12, s26
	v_lshlrev_b32_e32 v1, 4, v8
	s_lshl_b64 s[2:3], s[2:3], 4
	s_mul_hi_u32 s5, s28, s15
	v_add3_u32 v5, v3, v5, v13
	s_add_u32 s4, s18, s2
	v_lshl_or_b32 v23, v2, 9, v1
	s_mul_i32 s2, s29, s15
	v_add3_u32 v7, v0, v7, v14
	v_lshlrev_b64 v[0:1], 4, v[4:5]
	s_addc_u32 s6, s19, s3
	s_add_i32 s3, s5, s2
	s_mul_i32 s2, s28, s15
	v_lshlrev_b64 v[2:3], 4, v[6:7]
	s_lshl_b64 s[2:3], s[2:3], 4
	v_add_co_u32 v0, vcc_lo, s4, v0
	s_add_u32 s2, s24, s2
	v_add_co_ci_u32_e32 v1, vcc_lo, s6, v1, vcc_lo
	v_mov_b32_e32 v4, 0
	v_lshl_or_b32 v8, v9, 7, v11
	s_addc_u32 s3, s25, s3
	v_add_co_u32 v2, vcc_lo, s2, v2
	v_mov_b32_e32 v5, 0
	v_add_co_ci_u32_e32 v3, vcc_lo, s3, v3, vcc_lo
	v_add_co_u32 v0, vcc_lo, v0, 8
	s_delay_alu instid0(VALU_DEP_3)
	v_dual_mov_b32 v9, v5 :: v_dual_add_nc_u32 v24, 0x1000, v8
	v_add_co_ci_u32_e32 v1, vcc_lo, 0, v1, vcc_lo
	v_mov_b32_e32 v11, v5
	v_add_co_u32 v2, vcc_lo, v2, 8
	v_dual_mov_b32 v10, v4 :: v_dual_mov_b32 v15, v5
	v_dual_mov_b32 v8, v4 :: v_dual_mov_b32 v13, v5
	;; [unrolled: 1-line block ×4, first 2 shown]
	v_mov_b32_e32 v17, v5
	v_lshl_add_u32 v25, v21, 7, 0x1000
	v_add_co_ci_u32_e32 v3, vcc_lo, 0, v3, vcc_lo
	v_mov_b32_e32 v6, v4
	v_mov_b32_e32 v18, v4
	v_mov_b32_e32 v16, v4
	s_mov_b64 s[2:3], 0
.LBB1314_2:                             ; =>This Inner Loop Header: Depth=1
	global_load_b128 v[26:29], v[0:1], off offset:-8
	global_load_b128 v[30:33], v[2:3], off offset:-8
	s_add_u32 s2, s2, 8
	v_add_co_u32 v0, vcc_lo, 0x80, v0
	s_addc_u32 s3, s3, 0
	v_add_co_ci_u32_e32 v1, vcc_lo, 0, v1, vcc_lo
	v_cmp_ge_u64_e64 s4, s[2:3], s[16:17]
	v_add_co_u32 v2, vcc_lo, 0x80, v2
	v_add_co_ci_u32_e32 v3, vcc_lo, 0, v3, vcc_lo
	s_waitcnt vmcnt(1)
	ds_store_b128 v23, v[26:29]
	s_waitcnt vmcnt(0)
	ds_store_b128 v24, v[30:33]
	s_waitcnt lgkmcnt(0)
	s_barrier
	buffer_gl0_inv
	ds_load_b128 v[26:29], v25
	ds_load_b128 v[30:33], v22
	ds_load_b128 v[34:37], v22 offset:256
	ds_load_b128 v[38:41], v25 offset:2048
	;; [unrolled: 1-line block ×13, first 2 shown]
	s_and_b32 vcc_lo, exec_lo, s4
	s_waitcnt lgkmcnt(13)
	v_mul_f64 v[86:87], v[28:29], v[32:33]
	v_mul_f64 v[88:89], v[26:27], v[32:33]
	s_waitcnt lgkmcnt(12)
	v_mul_f64 v[90:91], v[28:29], v[36:37]
	v_mul_f64 v[92:93], v[26:27], v[36:37]
	s_waitcnt lgkmcnt(11)
	v_mul_f64 v[94:95], v[40:41], v[32:33]
	v_mul_f64 v[32:33], v[38:39], v[32:33]
	v_mul_f64 v[96:97], v[40:41], v[36:37]
	v_mul_f64 v[36:37], v[38:39], v[36:37]
	s_waitcnt lgkmcnt(8)
	v_mul_f64 v[98:99], v[44:45], v[52:53]
	v_mul_f64 v[100:101], v[42:43], v[52:53]
	s_waitcnt lgkmcnt(7)
	v_mul_f64 v[102:103], v[44:45], v[56:57]
	v_mul_f64 v[104:105], v[42:43], v[56:57]
	;; [unrolled: 1-line block ×6, first 2 shown]
	s_waitcnt lgkmcnt(3)
	v_mul_f64 v[112:113], v[58:59], v[72:73]
	s_waitcnt lgkmcnt(2)
	v_mul_f64 v[114:115], v[76:77], v[68:69]
	v_mul_f64 v[116:117], v[76:77], v[72:73]
	v_fma_f64 v[86:87], v[26:27], v[30:31], -v[86:87]
	v_fma_f64 v[88:89], v[28:29], v[30:31], v[88:89]
	v_fma_f64 v[90:91], v[26:27], v[34:35], -v[90:91]
	v_fma_f64 v[92:93], v[28:29], v[34:35], v[92:93]
	;; [unrolled: 2-line block ×4, first 2 shown]
	v_mul_f64 v[36:37], v[60:61], v[68:69]
	v_mul_f64 v[40:41], v[58:59], v[68:69]
	;; [unrolled: 1-line block ×5, first 2 shown]
	v_fma_f64 v[98:99], v[42:43], v[50:51], -v[98:99]
	v_fma_f64 v[100:101], v[44:45], v[50:51], v[100:101]
	v_fma_f64 v[42:43], v[42:43], v[54:55], -v[102:103]
	v_fma_f64 v[44:45], v[44:45], v[54:55], v[104:105]
	;; [unrolled: 2-line block ×4, first 2 shown]
	ds_load_b128 v[26:29], v22 offset:1792
	ds_load_b128 v[30:33], v22 offset:2048
	s_waitcnt lgkmcnt(2)
	v_mul_f64 v[56:57], v[64:65], v[84:85]
	v_add_f64 v[16:17], v[16:17], v[86:87]
	v_add_f64 v[18:19], v[18:19], v[88:89]
	;; [unrolled: 1-line block ×8, first 2 shown]
	v_mul_f64 v[86:87], v[62:63], v[84:85]
	s_waitcnt lgkmcnt(1)
	v_mul_f64 v[88:89], v[64:65], v[28:29]
	v_mul_f64 v[90:91], v[62:63], v[28:29]
	;; [unrolled: 1-line block ×6, first 2 shown]
	v_fma_f64 v[104:105], v[58:59], v[66:67], -v[36:37]
	v_fma_f64 v[106:107], v[60:61], v[66:67], v[40:41]
	v_fma_f64 v[58:59], v[58:59], v[70:71], -v[96:97]
	v_fma_f64 v[60:61], v[60:61], v[70:71], v[112:113]
	v_fma_f64 v[96:97], v[74:75], v[66:67], -v[114:115]
	v_fma_f64 v[66:67], v[76:77], v[66:67], v[68:69]
	v_fma_f64 v[68:69], v[74:75], v[70:71], -v[116:117]
	v_fma_f64 v[70:71], v[76:77], v[70:71], v[72:73]
	ds_load_b128 v[4:7], v22 offset:2304
	ds_load_b128 v[8:11], v25 offset:64
	v_fma_f64 v[56:57], v[62:63], v[82:83], -v[56:57]
	v_add_f64 v[72:73], v[16:17], v[98:99]
	v_add_f64 v[74:75], v[18:19], v[100:101]
	;; [unrolled: 1-line block ×8, first 2 shown]
	ds_load_b128 v[12:15], v25 offset:2112
	ds_load_b128 v[16:19], v25 offset:80
	;; [unrolled: 1-line block ×4, first 2 shown]
	s_waitcnt lgkmcnt(4)
	v_mul_f64 v[54:55], v[10:11], v[32:33]
	v_mul_f64 v[76:77], v[8:9], v[32:33]
	;; [unrolled: 1-line block ×4, first 2 shown]
	v_fma_f64 v[86:87], v[64:65], v[82:83], v[86:87]
	v_fma_f64 v[62:63], v[62:63], v[26:27], -v[88:89]
	v_fma_f64 v[64:65], v[64:65], v[26:27], v[90:91]
	v_fma_f64 v[88:89], v[78:79], v[82:83], -v[92:93]
	;; [unrolled: 2-line block ×3, first 2 shown]
	v_fma_f64 v[80:81], v[80:81], v[26:27], v[28:29]
	s_waitcnt lgkmcnt(3)
	v_mul_f64 v[102:103], v[14:15], v[32:33]
	v_mul_f64 v[32:33], v[12:13], v[32:33]
	;; [unrolled: 1-line block ×4, first 2 shown]
	s_waitcnt lgkmcnt(0)
	v_mul_f64 v[90:91], v[18:19], v[40:41]
	v_mul_f64 v[92:93], v[16:17], v[40:41]
	v_add_f64 v[72:73], v[72:73], v[104:105]
	v_add_f64 v[74:75], v[74:75], v[106:107]
	;; [unrolled: 1-line block ×8, first 2 shown]
	ds_load_b128 v[26:29], v22 offset:2816
	ds_load_b128 v[42:45], v22 offset:3072
	;; [unrolled: 1-line block ×4, first 2 shown]
	v_mul_f64 v[104:105], v[36:37], v[40:41]
	v_mul_f64 v[40:41], v[34:35], v[40:41]
	v_fma_f64 v[54:55], v[8:9], v[30:31], -v[54:55]
	v_fma_f64 v[76:77], v[10:11], v[30:31], v[76:77]
	v_fma_f64 v[98:99], v[8:9], v[4:5], -v[98:99]
	v_fma_f64 v[100:101], v[10:11], v[4:5], v[100:101]
	s_waitcnt lgkmcnt(3)
	v_mul_f64 v[94:95], v[18:19], v[28:29]
	v_mul_f64 v[96:97], v[16:17], v[28:29]
	;; [unrolled: 1-line block ×4, first 2 shown]
	v_fma_f64 v[102:103], v[12:13], v[30:31], -v[102:103]
	v_fma_f64 v[32:33], v[14:15], v[30:31], v[32:33]
	v_fma_f64 v[108:109], v[12:13], v[4:5], -v[108:109]
	v_fma_f64 v[112:113], v[14:15], v[4:5], v[6:7]
	ds_load_b128 v[4:7], v25 offset:2144
	ds_load_b128 v[8:11], v25 offset:112
	ds_load_b128 v[12:15], v25 offset:2160
	ds_load_b128 v[28:31], v22 offset:3584
	v_add_f64 v[56:57], v[72:73], v[56:57]
	v_add_f64 v[72:73], v[74:75], v[86:87]
	;; [unrolled: 1-line block ×8, first 2 shown]
	s_waitcnt lgkmcnt(4)
	v_mul_f64 v[70:71], v[52:53], v[44:45]
	v_mul_f64 v[74:75], v[50:51], v[44:45]
	;; [unrolled: 1-line block ×4, first 2 shown]
	s_waitcnt lgkmcnt(3)
	v_mul_f64 v[82:83], v[6:7], v[44:45]
	v_mul_f64 v[44:45], v[4:5], v[44:45]
	;; [unrolled: 1-line block ×4, first 2 shown]
	v_fma_f64 v[86:87], v[16:17], v[38:39], -v[90:91]
	v_fma_f64 v[88:89], v[18:19], v[38:39], v[92:93]
	v_fma_f64 v[90:91], v[16:17], v[26:27], -v[94:95]
	v_fma_f64 v[92:93], v[18:19], v[26:27], v[96:97]
	;; [unrolled: 2-line block ×4, first 2 shown]
	ds_load_b128 v[16:19], v22 offset:3840
	s_waitcnt lgkmcnt(0)
	s_barrier
	buffer_gl0_inv
	v_add_f64 v[36:37], v[56:57], v[54:55]
	v_add_f64 v[40:41], v[72:73], v[76:77]
	;; [unrolled: 1-line block ×8, first 2 shown]
	v_mul_f64 v[64:65], v[10:11], v[30:31]
	v_mul_f64 v[66:67], v[8:9], v[30:31]
	;; [unrolled: 1-line block ×4, first 2 shown]
	v_fma_f64 v[70:71], v[50:51], v[42:43], -v[70:71]
	v_mul_f64 v[68:69], v[10:11], v[18:19]
	v_mul_f64 v[72:73], v[8:9], v[18:19]
	;; [unrolled: 1-line block ×4, first 2 shown]
	v_fma_f64 v[74:75], v[52:53], v[42:43], v[74:75]
	v_fma_f64 v[50:51], v[50:51], v[46:47], -v[78:79]
	v_fma_f64 v[52:53], v[52:53], v[46:47], v[80:81]
	v_fma_f64 v[78:79], v[4:5], v[42:43], -v[82:83]
	;; [unrolled: 2-line block ×3, first 2 shown]
	v_fma_f64 v[6:7], v[6:7], v[46:47], v[48:49]
	v_add_f64 v[36:37], v[36:37], v[86:87]
	v_add_f64 v[40:41], v[40:41], v[88:89]
	;; [unrolled: 1-line block ×8, first 2 shown]
	v_fma_f64 v[38:39], v[8:9], v[28:29], -v[64:65]
	v_fma_f64 v[54:55], v[10:11], v[28:29], v[66:67]
	v_fma_f64 v[56:57], v[12:13], v[28:29], -v[76:77]
	v_fma_f64 v[28:29], v[14:15], v[28:29], v[30:31]
	;; [unrolled: 2-line block ×4, first 2 shown]
	v_add_f64 v[12:13], v[36:37], v[70:71]
	v_add_f64 v[14:15], v[40:41], v[74:75]
	;; [unrolled: 1-line block ×16, first 2 shown]
	s_cbranch_vccz .LBB1314_2
.LBB1314_3:
	s_clause 0x1
	s_load_b128 s[4:7], s[0:1], 0x48
	s_load_b32 s2, s[0:1], 0x0
	v_add_nc_u32_e32 v21, s9, v21
	s_delay_alu instid0(VALU_DEP_1) | instskip(SKIP_1) | instid1(VALU_DEP_1)
	v_ashrrev_i32_e32 v0, 31, v21
	s_waitcnt lgkmcnt(0)
	v_mul_lo_u32 v3, v0, s4
	v_mul_lo_u32 v22, v21, s5
	v_mad_u64_u32 v[1:2], null, v21, s4, 0
	s_mul_i32 s1, s15, s7
	s_mul_hi_u32 s3, s15, s6
	s_mul_i32 s6, s15, s6
	s_add_i32 s7, s3, s1
	v_add_nc_u32_e32 v0, s8, v20
	s_lshl_b64 s[6:7], s[6:7], 4
	s_delay_alu instid0(VALU_DEP_2)
	v_add3_u32 v2, v2, v22, v3
	s_add_u32 s3, s30, s6
	v_cmp_gt_i32_e32 vcc_lo, s2, v21
	v_cmp_le_i32_e64 s0, v0, v21
	s_addc_u32 s6, s31, s7
	v_lshlrev_b64 v[1:2], 4, v[1:2]
	s_delay_alu instid0(VALU_DEP_2) | instskip(NEXT) | instid1(VALU_DEP_1)
	s_and_b32 s0, vcc_lo, s0
	v_add_co_u32 v20, s1, s3, v1
	s_delay_alu instid0(VALU_DEP_1)
	v_add_co_ci_u32_e64 v22, s1, s6, v2, s1
	s_and_saveexec_b32 s1, s0
	s_cbranch_execz .LBB1314_5
; %bb.4:
	v_ashrrev_i32_e32 v1, 31, v0
	s_delay_alu instid0(VALU_DEP_1) | instskip(NEXT) | instid1(VALU_DEP_1)
	v_lshlrev_b64 v[1:2], 4, v[0:1]
	v_add_co_u32 v1, s0, v20, v1
	s_delay_alu instid0(VALU_DEP_1)
	v_add_co_ci_u32_e64 v2, s0, v22, v2, s0
	v_cmp_ne_u32_e64 s0, v21, v0
	global_load_b128 v[23:26], v[1:2], off
	s_waitcnt vmcnt(0)
	v_add_f64 v[18:19], v[18:19], v[25:26]
	v_add_f64 v[16:17], v[16:17], v[23:24]
	s_delay_alu instid0(VALU_DEP_2) | instskip(NEXT) | instid1(VALU_DEP_3)
	v_cndmask_b32_e64 v19, 0, v19, s0
	v_cndmask_b32_e64 v18, 0, v18, s0
	global_store_b128 v[1:2], v[16:19], off
.LBB1314_5:
	s_or_b32 exec_lo, exec_lo, s1
	v_add_nc_u32_e32 v2, 16, v0
	s_delay_alu instid0(VALU_DEP_1) | instskip(NEXT) | instid1(VALU_DEP_1)
	v_cmp_le_i32_e64 s0, v2, v21
	s_and_b32 s1, vcc_lo, s0
	s_delay_alu instid0(SALU_CYCLE_1)
	s_and_saveexec_b32 s0, s1
	s_cbranch_execz .LBB1314_7
; %bb.6:
	v_ashrrev_i32_e32 v3, 31, v2
	s_delay_alu instid0(VALU_DEP_1) | instskip(NEXT) | instid1(VALU_DEP_1)
	v_lshlrev_b64 v[16:17], 4, v[2:3]
	v_add_co_u32 v23, vcc_lo, v20, v16
	s_delay_alu instid0(VALU_DEP_2)
	v_add_co_ci_u32_e32 v24, vcc_lo, v22, v17, vcc_lo
	v_cmp_ne_u32_e32 vcc_lo, v21, v2
	global_load_b128 v[16:19], v[23:24], off
	s_waitcnt vmcnt(0)
	v_add_f64 v[14:15], v[14:15], v[18:19]
	v_add_f64 v[12:13], v[12:13], v[16:17]
	s_delay_alu instid0(VALU_DEP_2)
	v_dual_cndmask_b32 v15, 0, v15 :: v_dual_cndmask_b32 v14, 0, v14
	global_store_b128 v[23:24], v[12:15], off
.LBB1314_7:
	s_or_b32 exec_lo, exec_lo, s0
	v_add_nc_u32_e32 v3, 16, v21
	s_delay_alu instid0(VALU_DEP_1) | instskip(SKIP_3) | instid1(VALU_DEP_4)
	v_ashrrev_i32_e32 v1, 31, v3
	v_mul_lo_u32 v14, v3, s5
	v_mad_u64_u32 v[12:13], null, v3, s4, 0
	v_cmp_gt_i32_e32 vcc_lo, s2, v3
	v_mul_lo_u32 v1, v1, s4
	v_cmp_le_i32_e64 s0, v0, v3
	s_delay_alu instid0(VALU_DEP_1) | instskip(NEXT) | instid1(VALU_DEP_2)
	s_and_b32 s0, vcc_lo, s0
	v_add3_u32 v13, v13, v14, v1
	s_delay_alu instid0(VALU_DEP_1) | instskip(NEXT) | instid1(VALU_DEP_1)
	v_lshlrev_b64 v[12:13], 4, v[12:13]
	v_add_co_u32 v12, s1, s3, v12
	s_delay_alu instid0(VALU_DEP_1)
	v_add_co_ci_u32_e64 v13, s1, s6, v13, s1
	s_and_saveexec_b32 s1, s0
	s_cbranch_execz .LBB1314_9
; %bb.8:
	v_ashrrev_i32_e32 v1, 31, v0
	s_delay_alu instid0(VALU_DEP_1) | instskip(NEXT) | instid1(VALU_DEP_1)
	v_lshlrev_b64 v[14:15], 4, v[0:1]
	v_add_co_u32 v18, s0, v12, v14
	s_delay_alu instid0(VALU_DEP_1)
	v_add_co_ci_u32_e64 v19, s0, v13, v15, s0
	v_cmp_ne_u32_e64 s0, v3, v0
	global_load_b128 v[14:17], v[18:19], off
	s_waitcnt vmcnt(0)
	v_add_f64 v[10:11], v[10:11], v[16:17]
	v_add_f64 v[8:9], v[8:9], v[14:15]
	s_delay_alu instid0(VALU_DEP_2) | instskip(NEXT) | instid1(VALU_DEP_3)
	v_cndmask_b32_e64 v11, 0, v11, s0
	v_cndmask_b32_e64 v10, 0, v10, s0
	global_store_b128 v[18:19], v[8:11], off
.LBB1314_9:
	s_or_b32 exec_lo, exec_lo, s1
	v_cmp_le_i32_e64 s0, v2, v3
	s_delay_alu instid0(VALU_DEP_1) | instskip(NEXT) | instid1(SALU_CYCLE_1)
	s_and_b32 s0, vcc_lo, s0
	s_and_saveexec_b32 s1, s0
	s_cbranch_execz .LBB1314_11
; %bb.10:
	v_ashrrev_i32_e32 v3, 31, v2
	s_delay_alu instid0(VALU_DEP_1) | instskip(NEXT) | instid1(VALU_DEP_1)
	v_lshlrev_b64 v[1:2], 4, v[2:3]
	v_add_co_u32 v12, vcc_lo, v12, v1
	s_delay_alu instid0(VALU_DEP_2)
	v_add_co_ci_u32_e32 v13, vcc_lo, v13, v2, vcc_lo
	v_cmp_ne_u32_e32 vcc_lo, v21, v0
	global_load_b128 v[8:11], v[12:13], off
	s_waitcnt vmcnt(0)
	v_add_f64 v[3:4], v[4:5], v[10:11]
	v_add_f64 v[1:2], v[6:7], v[8:9]
	s_delay_alu instid0(VALU_DEP_2)
	v_dual_cndmask_b32 v4, 0, v4 :: v_dual_cndmask_b32 v3, 0, v3
	global_store_b128 v[12:13], v[1:4], off
.LBB1314_11:
	s_nop 0
	s_sendmsg sendmsg(MSG_DEALLOC_VGPRS)
	s_endpgm
	.section	.rodata,"a",@progbits
	.p2align	6, 0x0
	.amdhsa_kernel _ZL37rocblas_syrkx_herkx_restricted_kernelIl19rocblas_complex_numIdELi16ELi32ELi8ELi1ELi1ELb1ELc84ELc85EKS1_S1_EviT_PT9_S3_lS5_S3_lPT10_S3_li
		.amdhsa_group_segment_fixed_size 8192
		.amdhsa_private_segment_fixed_size 0
		.amdhsa_kernarg_size 92
		.amdhsa_user_sgpr_count 13
		.amdhsa_user_sgpr_dispatch_ptr 0
		.amdhsa_user_sgpr_queue_ptr 0
		.amdhsa_user_sgpr_kernarg_segment_ptr 1
		.amdhsa_user_sgpr_dispatch_id 0
		.amdhsa_user_sgpr_private_segment_size 0
		.amdhsa_wavefront_size32 1
		.amdhsa_uses_dynamic_stack 0
		.amdhsa_enable_private_segment 0
		.amdhsa_system_sgpr_workgroup_id_x 1
		.amdhsa_system_sgpr_workgroup_id_y 1
		.amdhsa_system_sgpr_workgroup_id_z 1
		.amdhsa_system_sgpr_workgroup_info 0
		.amdhsa_system_vgpr_workitem_id 1
		.amdhsa_next_free_vgpr 118
		.amdhsa_next_free_sgpr 32
		.amdhsa_reserve_vcc 1
		.amdhsa_float_round_mode_32 0
		.amdhsa_float_round_mode_16_64 0
		.amdhsa_float_denorm_mode_32 3
		.amdhsa_float_denorm_mode_16_64 3
		.amdhsa_dx10_clamp 1
		.amdhsa_ieee_mode 1
		.amdhsa_fp16_overflow 0
		.amdhsa_workgroup_processor_mode 1
		.amdhsa_memory_ordered 1
		.amdhsa_forward_progress 0
		.amdhsa_shared_vgpr_count 0
		.amdhsa_exception_fp_ieee_invalid_op 0
		.amdhsa_exception_fp_denorm_src 0
		.amdhsa_exception_fp_ieee_div_zero 0
		.amdhsa_exception_fp_ieee_overflow 0
		.amdhsa_exception_fp_ieee_underflow 0
		.amdhsa_exception_fp_ieee_inexact 0
		.amdhsa_exception_int_div_zero 0
	.end_amdhsa_kernel
	.section	.text._ZL37rocblas_syrkx_herkx_restricted_kernelIl19rocblas_complex_numIdELi16ELi32ELi8ELi1ELi1ELb1ELc84ELc85EKS1_S1_EviT_PT9_S3_lS5_S3_lPT10_S3_li,"axG",@progbits,_ZL37rocblas_syrkx_herkx_restricted_kernelIl19rocblas_complex_numIdELi16ELi32ELi8ELi1ELi1ELb1ELc84ELc85EKS1_S1_EviT_PT9_S3_lS5_S3_lPT10_S3_li,comdat
.Lfunc_end1314:
	.size	_ZL37rocblas_syrkx_herkx_restricted_kernelIl19rocblas_complex_numIdELi16ELi32ELi8ELi1ELi1ELb1ELc84ELc85EKS1_S1_EviT_PT9_S3_lS5_S3_lPT10_S3_li, .Lfunc_end1314-_ZL37rocblas_syrkx_herkx_restricted_kernelIl19rocblas_complex_numIdELi16ELi32ELi8ELi1ELi1ELb1ELc84ELc85EKS1_S1_EviT_PT9_S3_lS5_S3_lPT10_S3_li
                                        ; -- End function
	.section	.AMDGPU.csdata,"",@progbits
; Kernel info:
; codeLenInByte = 3176
; NumSgprs: 34
; NumVgprs: 118
; ScratchSize: 0
; MemoryBound: 0
; FloatMode: 240
; IeeeMode: 1
; LDSByteSize: 8192 bytes/workgroup (compile time only)
; SGPRBlocks: 4
; VGPRBlocks: 14
; NumSGPRsForWavesPerEU: 34
; NumVGPRsForWavesPerEU: 118
; Occupancy: 12
; WaveLimiterHint : 1
; COMPUTE_PGM_RSRC2:SCRATCH_EN: 0
; COMPUTE_PGM_RSRC2:USER_SGPR: 13
; COMPUTE_PGM_RSRC2:TRAP_HANDLER: 0
; COMPUTE_PGM_RSRC2:TGID_X_EN: 1
; COMPUTE_PGM_RSRC2:TGID_Y_EN: 1
; COMPUTE_PGM_RSRC2:TGID_Z_EN: 1
; COMPUTE_PGM_RSRC2:TIDIG_COMP_CNT: 1
	.section	.text._ZL37rocblas_syrkx_herkx_restricted_kernelIl19rocblas_complex_numIdELi16ELi32ELi8ELi1ELi1ELb1ELc67ELc85EKS1_S1_EviT_PT9_S3_lS5_S3_lPT10_S3_li,"axG",@progbits,_ZL37rocblas_syrkx_herkx_restricted_kernelIl19rocblas_complex_numIdELi16ELi32ELi8ELi1ELi1ELb1ELc67ELc85EKS1_S1_EviT_PT9_S3_lS5_S3_lPT10_S3_li,comdat
	.globl	_ZL37rocblas_syrkx_herkx_restricted_kernelIl19rocblas_complex_numIdELi16ELi32ELi8ELi1ELi1ELb1ELc67ELc85EKS1_S1_EviT_PT9_S3_lS5_S3_lPT10_S3_li ; -- Begin function _ZL37rocblas_syrkx_herkx_restricted_kernelIl19rocblas_complex_numIdELi16ELi32ELi8ELi1ELi1ELb1ELc67ELc85EKS1_S1_EviT_PT9_S3_lS5_S3_lPT10_S3_li
	.p2align	8
	.type	_ZL37rocblas_syrkx_herkx_restricted_kernelIl19rocblas_complex_numIdELi16ELi32ELi8ELi1ELi1ELb1ELc67ELc85EKS1_S1_EviT_PT9_S3_lS5_S3_lPT10_S3_li,@function
_ZL37rocblas_syrkx_herkx_restricted_kernelIl19rocblas_complex_numIdELi16ELi32ELi8ELi1ELi1ELb1ELc67ELc85EKS1_S1_EviT_PT9_S3_lS5_S3_lPT10_S3_li: ; @_ZL37rocblas_syrkx_herkx_restricted_kernelIl19rocblas_complex_numIdELi16ELi32ELi8ELi1ELi1ELb1ELc67ELc85EKS1_S1_EviT_PT9_S3_lS5_S3_lPT10_S3_li
; %bb.0:
	s_load_b512 s[16:31], s[0:1], 0x8
	v_mov_b32_e32 v16, 0
	v_dual_mov_b32 v17, 0 :: v_dual_and_b32 v20, 0x3ff, v0
	v_bfe_u32 v21, v0, 10, 10
	s_delay_alu instid0(VALU_DEP_3) | instskip(NEXT) | instid1(VALU_DEP_3)
	v_mov_b32_e32 v12, v16
	v_dual_mov_b32 v14, v16 :: v_dual_mov_b32 v15, v17
	v_dual_mov_b32 v19, v17 :: v_dual_mov_b32 v18, v16
	;; [unrolled: 1-line block ×6, first 2 shown]
	v_mov_b32_e32 v5, v17
	s_lshl_b32 s8, s13, 5
	s_waitcnt lgkmcnt(0)
	v_cmp_lt_i64_e64 s2, s[16:17], 1
	s_lshl_b32 s9, s14, 5
	s_delay_alu instid0(VALU_DEP_1)
	s_and_b32 vcc_lo, exec_lo, s2
	s_cbranch_vccnz .LBB1315_3
; %bb.1:
	v_lshl_add_u32 v2, v21, 4, v20
	v_dual_mov_b32 v1, 0 :: v_dual_and_b32 v0, 7, v20
	v_lshlrev_b32_e32 v22, 4, v20
	s_mul_i32 s3, s23, s15
	s_delay_alu instid0(VALU_DEP_3)
	v_and_b32_e32 v8, 31, v2
	v_lshrrev_b32_e32 v9, 3, v2
	v_lshrrev_b32_e32 v2, 5, v2
	v_mov_b32_e32 v3, v1
	v_lshlrev_b32_e32 v11, 4, v0
	v_add_nc_u32_e32 v6, s8, v8
	v_add_nc_u32_e32 v10, s9, v9
	s_mul_hi_u32 s4, s22, s15
	s_mul_i32 s2, s22, s15
	s_add_i32 s3, s4, s3
	v_ashrrev_i32_e32 v7, 31, v6
	v_ashrrev_i32_e32 v12, 31, v10
	v_mad_u64_u32 v[4:5], null, s20, v6, v[2:3]
	v_mul_lo_u32 v3, s21, v6
	s_delay_alu instid0(VALU_DEP_4)
	v_mul_lo_u32 v13, s20, v7
	v_mul_lo_u32 v14, v10, s27
	v_mad_u64_u32 v[6:7], null, v10, s26, v[0:1]
	v_mul_lo_u32 v0, v12, s26
	v_lshlrev_b32_e32 v1, 4, v8
	s_lshl_b64 s[2:3], s[2:3], 4
	s_mul_hi_u32 s5, s28, s15
	v_add3_u32 v5, v3, v5, v13
	s_add_u32 s4, s18, s2
	v_lshl_or_b32 v23, v2, 9, v1
	s_mul_i32 s2, s29, s15
	v_add3_u32 v7, v0, v7, v14
	v_lshlrev_b64 v[0:1], 4, v[4:5]
	s_addc_u32 s6, s19, s3
	s_add_i32 s3, s5, s2
	s_mul_i32 s2, s28, s15
	v_lshlrev_b64 v[2:3], 4, v[6:7]
	s_lshl_b64 s[2:3], s[2:3], 4
	v_add_co_u32 v0, vcc_lo, s4, v0
	s_add_u32 s2, s24, s2
	v_add_co_ci_u32_e32 v1, vcc_lo, s6, v1, vcc_lo
	v_mov_b32_e32 v4, 0
	v_lshl_or_b32 v8, v9, 7, v11
	s_addc_u32 s3, s25, s3
	v_add_co_u32 v2, vcc_lo, s2, v2
	v_mov_b32_e32 v5, 0
	v_add_co_ci_u32_e32 v3, vcc_lo, s3, v3, vcc_lo
	v_add_co_u32 v0, vcc_lo, v0, 8
	s_delay_alu instid0(VALU_DEP_3)
	v_dual_mov_b32 v9, v5 :: v_dual_add_nc_u32 v24, 0x1000, v8
	v_add_co_ci_u32_e32 v1, vcc_lo, 0, v1, vcc_lo
	v_mov_b32_e32 v11, v5
	v_add_co_u32 v2, vcc_lo, v2, 8
	v_dual_mov_b32 v10, v4 :: v_dual_mov_b32 v15, v5
	v_dual_mov_b32 v8, v4 :: v_dual_mov_b32 v13, v5
	;; [unrolled: 1-line block ×4, first 2 shown]
	v_mov_b32_e32 v17, v5
	v_lshl_add_u32 v25, v21, 7, 0x1000
	v_add_co_ci_u32_e32 v3, vcc_lo, 0, v3, vcc_lo
	v_mov_b32_e32 v6, v4
	v_mov_b32_e32 v18, v4
	;; [unrolled: 1-line block ×3, first 2 shown]
	s_mov_b64 s[2:3], 0
.LBB1315_2:                             ; =>This Inner Loop Header: Depth=1
	global_load_b128 v[26:29], v[0:1], off offset:-8
	global_load_b128 v[30:33], v[2:3], off offset:-8
	s_add_u32 s2, s2, 8
	v_add_co_u32 v0, vcc_lo, 0x80, v0
	s_addc_u32 s3, s3, 0
	v_add_co_ci_u32_e32 v1, vcc_lo, 0, v1, vcc_lo
	v_cmp_ge_u64_e64 s4, s[2:3], s[16:17]
	v_add_co_u32 v2, vcc_lo, 0x80, v2
	v_add_co_ci_u32_e32 v3, vcc_lo, 0, v3, vcc_lo
	s_delay_alu instid0(VALU_DEP_3)
	s_and_b32 vcc_lo, exec_lo, s4
	s_waitcnt vmcnt(1)
	v_xor_b32_e32 v29, 0x80000000, v29
	ds_store_b128 v23, v[26:29]
	s_waitcnt vmcnt(0)
	ds_store_b128 v24, v[30:33]
	s_waitcnt lgkmcnt(0)
	s_barrier
	buffer_gl0_inv
	ds_load_b128 v[26:29], v25
	ds_load_b128 v[30:33], v22
	ds_load_b128 v[34:37], v22 offset:256
	ds_load_b128 v[38:41], v25 offset:2048
	;; [unrolled: 1-line block ×13, first 2 shown]
	s_waitcnt lgkmcnt(13)
	v_mul_f64 v[86:87], v[28:29], v[32:33]
	v_mul_f64 v[88:89], v[26:27], v[32:33]
	s_waitcnt lgkmcnt(12)
	v_mul_f64 v[90:91], v[28:29], v[36:37]
	v_mul_f64 v[92:93], v[26:27], v[36:37]
	;; [unrolled: 3-line block ×3, first 2 shown]
	v_mul_f64 v[96:97], v[40:41], v[36:37]
	v_mul_f64 v[36:37], v[38:39], v[36:37]
	s_waitcnt lgkmcnt(8)
	v_mul_f64 v[98:99], v[44:45], v[52:53]
	v_mul_f64 v[100:101], v[42:43], v[52:53]
	s_waitcnt lgkmcnt(7)
	v_mul_f64 v[102:103], v[44:45], v[56:57]
	v_mul_f64 v[104:105], v[42:43], v[56:57]
	;; [unrolled: 1-line block ×6, first 2 shown]
	s_waitcnt lgkmcnt(3)
	v_mul_f64 v[112:113], v[58:59], v[72:73]
	s_waitcnt lgkmcnt(2)
	v_mul_f64 v[114:115], v[76:77], v[68:69]
	v_mul_f64 v[116:117], v[76:77], v[72:73]
	v_fma_f64 v[86:87], v[26:27], v[30:31], -v[86:87]
	v_fma_f64 v[88:89], v[28:29], v[30:31], v[88:89]
	v_fma_f64 v[90:91], v[26:27], v[34:35], -v[90:91]
	v_fma_f64 v[92:93], v[28:29], v[34:35], v[92:93]
	;; [unrolled: 2-line block ×4, first 2 shown]
	v_mul_f64 v[36:37], v[60:61], v[68:69]
	v_mul_f64 v[40:41], v[58:59], v[68:69]
	;; [unrolled: 1-line block ×5, first 2 shown]
	v_fma_f64 v[98:99], v[42:43], v[50:51], -v[98:99]
	v_fma_f64 v[100:101], v[44:45], v[50:51], v[100:101]
	v_fma_f64 v[42:43], v[42:43], v[54:55], -v[102:103]
	v_fma_f64 v[44:45], v[44:45], v[54:55], v[104:105]
	;; [unrolled: 2-line block ×4, first 2 shown]
	ds_load_b128 v[26:29], v22 offset:1792
	ds_load_b128 v[30:33], v22 offset:2048
	s_waitcnt lgkmcnt(2)
	v_mul_f64 v[56:57], v[64:65], v[84:85]
	v_add_f64 v[16:17], v[16:17], v[86:87]
	v_add_f64 v[18:19], v[18:19], v[88:89]
	;; [unrolled: 1-line block ×8, first 2 shown]
	v_mul_f64 v[86:87], v[62:63], v[84:85]
	s_waitcnt lgkmcnt(1)
	v_mul_f64 v[88:89], v[64:65], v[28:29]
	v_mul_f64 v[90:91], v[62:63], v[28:29]
	;; [unrolled: 1-line block ×6, first 2 shown]
	v_fma_f64 v[104:105], v[58:59], v[66:67], -v[36:37]
	v_fma_f64 v[106:107], v[60:61], v[66:67], v[40:41]
	v_fma_f64 v[58:59], v[58:59], v[70:71], -v[96:97]
	v_fma_f64 v[60:61], v[60:61], v[70:71], v[112:113]
	;; [unrolled: 2-line block ×4, first 2 shown]
	ds_load_b128 v[4:7], v22 offset:2304
	ds_load_b128 v[8:11], v25 offset:64
	v_fma_f64 v[56:57], v[62:63], v[82:83], -v[56:57]
	v_add_f64 v[72:73], v[16:17], v[98:99]
	v_add_f64 v[74:75], v[18:19], v[100:101]
	v_add_f64 v[42:43], v[12:13], v[42:43]
	v_add_f64 v[44:45], v[14:15], v[44:45]
	v_add_f64 v[52:53], v[52:53], v[102:103]
	v_add_f64 v[50:51], v[54:55], v[50:51]
	v_add_f64 v[46:47], v[38:39], v[46:47]
	v_add_f64 v[48:49], v[34:35], v[48:49]
	ds_load_b128 v[12:15], v25 offset:2112
	ds_load_b128 v[16:19], v25 offset:80
	;; [unrolled: 1-line block ×4, first 2 shown]
	s_waitcnt lgkmcnt(4)
	v_mul_f64 v[54:55], v[10:11], v[32:33]
	v_mul_f64 v[76:77], v[8:9], v[32:33]
	;; [unrolled: 1-line block ×4, first 2 shown]
	v_fma_f64 v[86:87], v[64:65], v[82:83], v[86:87]
	v_fma_f64 v[62:63], v[62:63], v[26:27], -v[88:89]
	v_fma_f64 v[64:65], v[64:65], v[26:27], v[90:91]
	v_fma_f64 v[88:89], v[78:79], v[82:83], -v[92:93]
	v_fma_f64 v[82:83], v[80:81], v[82:83], v[84:85]
	v_fma_f64 v[78:79], v[78:79], v[26:27], -v[94:95]
	v_fma_f64 v[80:81], v[80:81], v[26:27], v[28:29]
	s_waitcnt lgkmcnt(3)
	v_mul_f64 v[102:103], v[14:15], v[32:33]
	v_mul_f64 v[32:33], v[12:13], v[32:33]
	;; [unrolled: 1-line block ×4, first 2 shown]
	s_waitcnt lgkmcnt(0)
	v_mul_f64 v[90:91], v[18:19], v[40:41]
	v_mul_f64 v[92:93], v[16:17], v[40:41]
	v_add_f64 v[72:73], v[72:73], v[104:105]
	v_add_f64 v[74:75], v[74:75], v[106:107]
	;; [unrolled: 1-line block ×8, first 2 shown]
	ds_load_b128 v[26:29], v22 offset:2816
	ds_load_b128 v[42:45], v22 offset:3072
	;; [unrolled: 1-line block ×4, first 2 shown]
	v_mul_f64 v[104:105], v[36:37], v[40:41]
	v_mul_f64 v[40:41], v[34:35], v[40:41]
	v_fma_f64 v[54:55], v[8:9], v[30:31], -v[54:55]
	v_fma_f64 v[76:77], v[10:11], v[30:31], v[76:77]
	v_fma_f64 v[98:99], v[8:9], v[4:5], -v[98:99]
	v_fma_f64 v[100:101], v[10:11], v[4:5], v[100:101]
	s_waitcnt lgkmcnt(3)
	v_mul_f64 v[94:95], v[18:19], v[28:29]
	v_mul_f64 v[96:97], v[16:17], v[28:29]
	;; [unrolled: 1-line block ×4, first 2 shown]
	v_fma_f64 v[102:103], v[12:13], v[30:31], -v[102:103]
	v_fma_f64 v[32:33], v[14:15], v[30:31], v[32:33]
	v_fma_f64 v[108:109], v[12:13], v[4:5], -v[108:109]
	v_fma_f64 v[112:113], v[14:15], v[4:5], v[6:7]
	ds_load_b128 v[4:7], v25 offset:2144
	ds_load_b128 v[8:11], v25 offset:112
	;; [unrolled: 1-line block ×4, first 2 shown]
	v_add_f64 v[56:57], v[72:73], v[56:57]
	v_add_f64 v[72:73], v[74:75], v[86:87]
	;; [unrolled: 1-line block ×8, first 2 shown]
	s_waitcnt lgkmcnt(4)
	v_mul_f64 v[70:71], v[52:53], v[44:45]
	v_mul_f64 v[74:75], v[50:51], v[44:45]
	;; [unrolled: 1-line block ×4, first 2 shown]
	s_waitcnt lgkmcnt(3)
	v_mul_f64 v[82:83], v[6:7], v[44:45]
	v_mul_f64 v[44:45], v[4:5], v[44:45]
	;; [unrolled: 1-line block ×4, first 2 shown]
	v_fma_f64 v[86:87], v[16:17], v[38:39], -v[90:91]
	v_fma_f64 v[88:89], v[18:19], v[38:39], v[92:93]
	v_fma_f64 v[90:91], v[16:17], v[26:27], -v[94:95]
	v_fma_f64 v[92:93], v[18:19], v[26:27], v[96:97]
	;; [unrolled: 2-line block ×4, first 2 shown]
	ds_load_b128 v[16:19], v22 offset:3840
	s_waitcnt lgkmcnt(0)
	s_barrier
	buffer_gl0_inv
	v_add_f64 v[36:37], v[56:57], v[54:55]
	v_add_f64 v[40:41], v[72:73], v[76:77]
	;; [unrolled: 1-line block ×8, first 2 shown]
	v_mul_f64 v[64:65], v[10:11], v[30:31]
	v_mul_f64 v[66:67], v[8:9], v[30:31]
	;; [unrolled: 1-line block ×4, first 2 shown]
	v_fma_f64 v[70:71], v[50:51], v[42:43], -v[70:71]
	v_mul_f64 v[68:69], v[10:11], v[18:19]
	v_mul_f64 v[72:73], v[8:9], v[18:19]
	;; [unrolled: 1-line block ×4, first 2 shown]
	v_fma_f64 v[74:75], v[52:53], v[42:43], v[74:75]
	v_fma_f64 v[50:51], v[50:51], v[46:47], -v[78:79]
	v_fma_f64 v[52:53], v[52:53], v[46:47], v[80:81]
	v_fma_f64 v[78:79], v[4:5], v[42:43], -v[82:83]
	;; [unrolled: 2-line block ×3, first 2 shown]
	v_fma_f64 v[6:7], v[6:7], v[46:47], v[48:49]
	v_add_f64 v[36:37], v[36:37], v[86:87]
	v_add_f64 v[40:41], v[40:41], v[88:89]
	;; [unrolled: 1-line block ×8, first 2 shown]
	v_fma_f64 v[38:39], v[8:9], v[28:29], -v[64:65]
	v_fma_f64 v[54:55], v[10:11], v[28:29], v[66:67]
	v_fma_f64 v[56:57], v[12:13], v[28:29], -v[76:77]
	v_fma_f64 v[28:29], v[14:15], v[28:29], v[30:31]
	;; [unrolled: 2-line block ×4, first 2 shown]
	v_add_f64 v[12:13], v[36:37], v[70:71]
	v_add_f64 v[14:15], v[40:41], v[74:75]
	;; [unrolled: 1-line block ×16, first 2 shown]
	s_cbranch_vccz .LBB1315_2
.LBB1315_3:
	s_clause 0x1
	s_load_b128 s[4:7], s[0:1], 0x48
	s_load_b32 s2, s[0:1], 0x0
	v_add_nc_u32_e32 v21, s9, v21
	s_delay_alu instid0(VALU_DEP_1) | instskip(SKIP_1) | instid1(VALU_DEP_1)
	v_ashrrev_i32_e32 v0, 31, v21
	s_waitcnt lgkmcnt(0)
	v_mul_lo_u32 v3, v0, s4
	v_mul_lo_u32 v22, v21, s5
	v_mad_u64_u32 v[1:2], null, v21, s4, 0
	s_mul_i32 s1, s15, s7
	s_mul_hi_u32 s3, s15, s6
	s_mul_i32 s6, s15, s6
	s_add_i32 s7, s3, s1
	v_add_nc_u32_e32 v0, s8, v20
	s_lshl_b64 s[6:7], s[6:7], 4
	s_delay_alu instid0(VALU_DEP_2)
	v_add3_u32 v2, v2, v22, v3
	s_add_u32 s3, s30, s6
	v_cmp_gt_i32_e32 vcc_lo, s2, v21
	v_cmp_le_i32_e64 s0, v0, v21
	s_addc_u32 s6, s31, s7
	v_lshlrev_b64 v[1:2], 4, v[1:2]
	s_delay_alu instid0(VALU_DEP_2) | instskip(NEXT) | instid1(VALU_DEP_1)
	s_and_b32 s0, vcc_lo, s0
	v_add_co_u32 v20, s1, s3, v1
	s_delay_alu instid0(VALU_DEP_1)
	v_add_co_ci_u32_e64 v22, s1, s6, v2, s1
	s_and_saveexec_b32 s1, s0
	s_cbranch_execz .LBB1315_5
; %bb.4:
	v_ashrrev_i32_e32 v1, 31, v0
	s_delay_alu instid0(VALU_DEP_1) | instskip(NEXT) | instid1(VALU_DEP_1)
	v_lshlrev_b64 v[1:2], 4, v[0:1]
	v_add_co_u32 v1, s0, v20, v1
	s_delay_alu instid0(VALU_DEP_1)
	v_add_co_ci_u32_e64 v2, s0, v22, v2, s0
	v_cmp_ne_u32_e64 s0, v21, v0
	global_load_b128 v[23:26], v[1:2], off
	s_waitcnt vmcnt(0)
	v_add_f64 v[18:19], v[18:19], v[25:26]
	v_add_f64 v[16:17], v[16:17], v[23:24]
	s_delay_alu instid0(VALU_DEP_2) | instskip(NEXT) | instid1(VALU_DEP_3)
	v_cndmask_b32_e64 v19, 0, v19, s0
	v_cndmask_b32_e64 v18, 0, v18, s0
	global_store_b128 v[1:2], v[16:19], off
.LBB1315_5:
	s_or_b32 exec_lo, exec_lo, s1
	v_add_nc_u32_e32 v2, 16, v0
	s_delay_alu instid0(VALU_DEP_1) | instskip(NEXT) | instid1(VALU_DEP_1)
	v_cmp_le_i32_e64 s0, v2, v21
	s_and_b32 s1, vcc_lo, s0
	s_delay_alu instid0(SALU_CYCLE_1)
	s_and_saveexec_b32 s0, s1
	s_cbranch_execz .LBB1315_7
; %bb.6:
	v_ashrrev_i32_e32 v3, 31, v2
	s_delay_alu instid0(VALU_DEP_1) | instskip(NEXT) | instid1(VALU_DEP_1)
	v_lshlrev_b64 v[16:17], 4, v[2:3]
	v_add_co_u32 v23, vcc_lo, v20, v16
	s_delay_alu instid0(VALU_DEP_2)
	v_add_co_ci_u32_e32 v24, vcc_lo, v22, v17, vcc_lo
	v_cmp_ne_u32_e32 vcc_lo, v21, v2
	global_load_b128 v[16:19], v[23:24], off
	s_waitcnt vmcnt(0)
	v_add_f64 v[14:15], v[14:15], v[18:19]
	v_add_f64 v[12:13], v[12:13], v[16:17]
	s_delay_alu instid0(VALU_DEP_2)
	v_dual_cndmask_b32 v15, 0, v15 :: v_dual_cndmask_b32 v14, 0, v14
	global_store_b128 v[23:24], v[12:15], off
.LBB1315_7:
	s_or_b32 exec_lo, exec_lo, s0
	v_add_nc_u32_e32 v3, 16, v21
	s_delay_alu instid0(VALU_DEP_1) | instskip(SKIP_3) | instid1(VALU_DEP_4)
	v_ashrrev_i32_e32 v1, 31, v3
	v_mul_lo_u32 v14, v3, s5
	v_mad_u64_u32 v[12:13], null, v3, s4, 0
	v_cmp_gt_i32_e32 vcc_lo, s2, v3
	v_mul_lo_u32 v1, v1, s4
	v_cmp_le_i32_e64 s0, v0, v3
	s_delay_alu instid0(VALU_DEP_1) | instskip(NEXT) | instid1(VALU_DEP_2)
	s_and_b32 s0, vcc_lo, s0
	v_add3_u32 v13, v13, v14, v1
	s_delay_alu instid0(VALU_DEP_1) | instskip(NEXT) | instid1(VALU_DEP_1)
	v_lshlrev_b64 v[12:13], 4, v[12:13]
	v_add_co_u32 v12, s1, s3, v12
	s_delay_alu instid0(VALU_DEP_1)
	v_add_co_ci_u32_e64 v13, s1, s6, v13, s1
	s_and_saveexec_b32 s1, s0
	s_cbranch_execz .LBB1315_9
; %bb.8:
	v_ashrrev_i32_e32 v1, 31, v0
	s_delay_alu instid0(VALU_DEP_1) | instskip(NEXT) | instid1(VALU_DEP_1)
	v_lshlrev_b64 v[14:15], 4, v[0:1]
	v_add_co_u32 v18, s0, v12, v14
	s_delay_alu instid0(VALU_DEP_1)
	v_add_co_ci_u32_e64 v19, s0, v13, v15, s0
	v_cmp_ne_u32_e64 s0, v3, v0
	global_load_b128 v[14:17], v[18:19], off
	s_waitcnt vmcnt(0)
	v_add_f64 v[10:11], v[10:11], v[16:17]
	v_add_f64 v[8:9], v[8:9], v[14:15]
	s_delay_alu instid0(VALU_DEP_2) | instskip(NEXT) | instid1(VALU_DEP_3)
	v_cndmask_b32_e64 v11, 0, v11, s0
	v_cndmask_b32_e64 v10, 0, v10, s0
	global_store_b128 v[18:19], v[8:11], off
.LBB1315_9:
	s_or_b32 exec_lo, exec_lo, s1
	v_cmp_le_i32_e64 s0, v2, v3
	s_delay_alu instid0(VALU_DEP_1) | instskip(NEXT) | instid1(SALU_CYCLE_1)
	s_and_b32 s0, vcc_lo, s0
	s_and_saveexec_b32 s1, s0
	s_cbranch_execz .LBB1315_11
; %bb.10:
	v_ashrrev_i32_e32 v3, 31, v2
	s_delay_alu instid0(VALU_DEP_1) | instskip(NEXT) | instid1(VALU_DEP_1)
	v_lshlrev_b64 v[1:2], 4, v[2:3]
	v_add_co_u32 v12, vcc_lo, v12, v1
	s_delay_alu instid0(VALU_DEP_2)
	v_add_co_ci_u32_e32 v13, vcc_lo, v13, v2, vcc_lo
	v_cmp_ne_u32_e32 vcc_lo, v21, v0
	global_load_b128 v[8:11], v[12:13], off
	s_waitcnt vmcnt(0)
	v_add_f64 v[3:4], v[4:5], v[10:11]
	v_add_f64 v[1:2], v[6:7], v[8:9]
	s_delay_alu instid0(VALU_DEP_2)
	v_dual_cndmask_b32 v4, 0, v4 :: v_dual_cndmask_b32 v3, 0, v3
	global_store_b128 v[12:13], v[1:4], off
.LBB1315_11:
	s_nop 0
	s_sendmsg sendmsg(MSG_DEALLOC_VGPRS)
	s_endpgm
	.section	.rodata,"a",@progbits
	.p2align	6, 0x0
	.amdhsa_kernel _ZL37rocblas_syrkx_herkx_restricted_kernelIl19rocblas_complex_numIdELi16ELi32ELi8ELi1ELi1ELb1ELc67ELc85EKS1_S1_EviT_PT9_S3_lS5_S3_lPT10_S3_li
		.amdhsa_group_segment_fixed_size 8192
		.amdhsa_private_segment_fixed_size 0
		.amdhsa_kernarg_size 92
		.amdhsa_user_sgpr_count 13
		.amdhsa_user_sgpr_dispatch_ptr 0
		.amdhsa_user_sgpr_queue_ptr 0
		.amdhsa_user_sgpr_kernarg_segment_ptr 1
		.amdhsa_user_sgpr_dispatch_id 0
		.amdhsa_user_sgpr_private_segment_size 0
		.amdhsa_wavefront_size32 1
		.amdhsa_uses_dynamic_stack 0
		.amdhsa_enable_private_segment 0
		.amdhsa_system_sgpr_workgroup_id_x 1
		.amdhsa_system_sgpr_workgroup_id_y 1
		.amdhsa_system_sgpr_workgroup_id_z 1
		.amdhsa_system_sgpr_workgroup_info 0
		.amdhsa_system_vgpr_workitem_id 1
		.amdhsa_next_free_vgpr 118
		.amdhsa_next_free_sgpr 32
		.amdhsa_reserve_vcc 1
		.amdhsa_float_round_mode_32 0
		.amdhsa_float_round_mode_16_64 0
		.amdhsa_float_denorm_mode_32 3
		.amdhsa_float_denorm_mode_16_64 3
		.amdhsa_dx10_clamp 1
		.amdhsa_ieee_mode 1
		.amdhsa_fp16_overflow 0
		.amdhsa_workgroup_processor_mode 1
		.amdhsa_memory_ordered 1
		.amdhsa_forward_progress 0
		.amdhsa_shared_vgpr_count 0
		.amdhsa_exception_fp_ieee_invalid_op 0
		.amdhsa_exception_fp_denorm_src 0
		.amdhsa_exception_fp_ieee_div_zero 0
		.amdhsa_exception_fp_ieee_overflow 0
		.amdhsa_exception_fp_ieee_underflow 0
		.amdhsa_exception_fp_ieee_inexact 0
		.amdhsa_exception_int_div_zero 0
	.end_amdhsa_kernel
	.section	.text._ZL37rocblas_syrkx_herkx_restricted_kernelIl19rocblas_complex_numIdELi16ELi32ELi8ELi1ELi1ELb1ELc67ELc85EKS1_S1_EviT_PT9_S3_lS5_S3_lPT10_S3_li,"axG",@progbits,_ZL37rocblas_syrkx_herkx_restricted_kernelIl19rocblas_complex_numIdELi16ELi32ELi8ELi1ELi1ELb1ELc67ELc85EKS1_S1_EviT_PT9_S3_lS5_S3_lPT10_S3_li,comdat
.Lfunc_end1315:
	.size	_ZL37rocblas_syrkx_herkx_restricted_kernelIl19rocblas_complex_numIdELi16ELi32ELi8ELi1ELi1ELb1ELc67ELc85EKS1_S1_EviT_PT9_S3_lS5_S3_lPT10_S3_li, .Lfunc_end1315-_ZL37rocblas_syrkx_herkx_restricted_kernelIl19rocblas_complex_numIdELi16ELi32ELi8ELi1ELi1ELb1ELc67ELc85EKS1_S1_EviT_PT9_S3_lS5_S3_lPT10_S3_li
                                        ; -- End function
	.section	.AMDGPU.csdata,"",@progbits
; Kernel info:
; codeLenInByte = 3188
; NumSgprs: 34
; NumVgprs: 118
; ScratchSize: 0
; MemoryBound: 0
; FloatMode: 240
; IeeeMode: 1
; LDSByteSize: 8192 bytes/workgroup (compile time only)
; SGPRBlocks: 4
; VGPRBlocks: 14
; NumSGPRsForWavesPerEU: 34
; NumVGPRsForWavesPerEU: 118
; Occupancy: 12
; WaveLimiterHint : 1
; COMPUTE_PGM_RSRC2:SCRATCH_EN: 0
; COMPUTE_PGM_RSRC2:USER_SGPR: 13
; COMPUTE_PGM_RSRC2:TRAP_HANDLER: 0
; COMPUTE_PGM_RSRC2:TGID_X_EN: 1
; COMPUTE_PGM_RSRC2:TGID_Y_EN: 1
; COMPUTE_PGM_RSRC2:TGID_Z_EN: 1
; COMPUTE_PGM_RSRC2:TIDIG_COMP_CNT: 1
	.section	.text._ZL37rocblas_syrkx_herkx_restricted_kernelIl19rocblas_complex_numIdELi16ELi32ELi8ELi1ELi1ELb1ELc78ELc85EKS1_S1_EviT_PT9_S3_lS5_S3_lPT10_S3_li,"axG",@progbits,_ZL37rocblas_syrkx_herkx_restricted_kernelIl19rocblas_complex_numIdELi16ELi32ELi8ELi1ELi1ELb1ELc78ELc85EKS1_S1_EviT_PT9_S3_lS5_S3_lPT10_S3_li,comdat
	.globl	_ZL37rocblas_syrkx_herkx_restricted_kernelIl19rocblas_complex_numIdELi16ELi32ELi8ELi1ELi1ELb1ELc78ELc85EKS1_S1_EviT_PT9_S3_lS5_S3_lPT10_S3_li ; -- Begin function _ZL37rocblas_syrkx_herkx_restricted_kernelIl19rocblas_complex_numIdELi16ELi32ELi8ELi1ELi1ELb1ELc78ELc85EKS1_S1_EviT_PT9_S3_lS5_S3_lPT10_S3_li
	.p2align	8
	.type	_ZL37rocblas_syrkx_herkx_restricted_kernelIl19rocblas_complex_numIdELi16ELi32ELi8ELi1ELi1ELb1ELc78ELc85EKS1_S1_EviT_PT9_S3_lS5_S3_lPT10_S3_li,@function
_ZL37rocblas_syrkx_herkx_restricted_kernelIl19rocblas_complex_numIdELi16ELi32ELi8ELi1ELi1ELb1ELc78ELc85EKS1_S1_EviT_PT9_S3_lS5_S3_lPT10_S3_li: ; @_ZL37rocblas_syrkx_herkx_restricted_kernelIl19rocblas_complex_numIdELi16ELi32ELi8ELi1ELi1ELb1ELc78ELc85EKS1_S1_EviT_PT9_S3_lS5_S3_lPT10_S3_li
; %bb.0:
	s_load_b512 s[16:31], s[0:1], 0x8
	v_mov_b32_e32 v16, 0
	v_dual_mov_b32 v17, 0 :: v_dual_and_b32 v20, 0x3ff, v0
	v_bfe_u32 v21, v0, 10, 10
	s_delay_alu instid0(VALU_DEP_3) | instskip(NEXT) | instid1(VALU_DEP_3)
	v_mov_b32_e32 v12, v16
	v_dual_mov_b32 v14, v16 :: v_dual_mov_b32 v15, v17
	v_dual_mov_b32 v19, v17 :: v_dual_mov_b32 v18, v16
	;; [unrolled: 1-line block ×6, first 2 shown]
	v_mov_b32_e32 v5, v17
	s_lshl_b32 s8, s13, 5
	s_waitcnt lgkmcnt(0)
	v_cmp_lt_i64_e64 s2, s[16:17], 1
	s_lshl_b32 s9, s14, 5
	s_delay_alu instid0(VALU_DEP_1)
	s_and_b32 vcc_lo, exec_lo, s2
	s_cbranch_vccnz .LBB1316_3
; %bb.1:
	v_lshl_add_u32 v1, v21, 4, v20
	v_and_b32_e32 v10, 7, v20
	s_mul_i32 s3, s23, s15
	s_mul_hi_u32 s5, s22, s15
	s_mul_i32 s2, s22, s15
	v_dual_mov_b32 v4, 0 :: v_dual_and_b32 v9, 31, v1
	v_lshrrev_b32_e32 v11, 3, v1
	v_mov_b32_e32 v5, 0
	v_lshrrev_b32_e32 v12, 5, v1
	s_delay_alu instid0(VALU_DEP_4)
	v_add_nc_u32_e32 v0, s8, v9
	s_add_i32 s3, s5, s3
	v_add_nc_u32_e32 v2, s9, v11
	s_lshl_b64 s[2:3], s[2:3], 4
	s_mul_i32 s6, s29, s15
	v_ashrrev_i32_e32 v1, 31, v0
	s_mul_hi_u32 s7, s28, s15
	v_ashrrev_i32_e32 v3, 31, v2
	s_add_u32 s10, s18, s2
	s_mul_i32 s4, s28, s15
	v_mad_u64_u32 v[6:7], null, v12, s20, v[0:1]
	s_delay_alu instid0(VALU_DEP_2) | instskip(SKIP_4) | instid1(VALU_DEP_2)
	v_mad_u64_u32 v[0:1], null, v10, s26, v[2:3]
	s_addc_u32 s11, s19, s3
	s_add_i32 s5, s7, s6
	s_lshl_b64 s[2:3], s[20:21], 7
	s_lshl_b64 s[4:5], s[4:5], 4
	v_dual_mov_b32 v2, v7 :: v_dual_lshlrev_b32 v13, 4, v10
	s_add_u32 s4, s24, s4
	s_addc_u32 s5, s25, s5
	v_lshl_add_u32 v23, v21, 7, 0x1000
	s_delay_alu instid0(VALU_DEP_2)
	v_mad_u64_u32 v[7:8], null, v12, s21, v[2:3]
	v_mad_u64_u32 v[2:3], null, v10, s27, v[1:2]
	v_lshlrev_b32_e32 v22, 4, v20
	v_dual_mov_b32 v15, v5 :: v_dual_lshlrev_b32 v8, 4, v9
	v_lshl_or_b32 v9, v11, 7, v13
	v_dual_mov_b32 v11, v5 :: v_dual_mov_b32 v10, v4
	v_mov_b32_e32 v1, v2
	v_lshlrev_b64 v[2:3], 4, v[6:7]
	v_lshl_or_b32 v24, v12, 9, v8
	v_add_nc_u32_e32 v25, 0x1000, v9
	v_mov_b32_e32 v9, v5
	v_lshlrev_b64 v[0:1], 4, v[0:1]
	v_dual_mov_b32 v8, v4 :: v_dual_mov_b32 v13, v5
	v_add_co_u32 v2, vcc_lo, s10, v2
	v_add_co_ci_u32_e32 v3, vcc_lo, s11, v3, vcc_lo
	s_delay_alu instid0(VALU_DEP_4) | instskip(SKIP_1) | instid1(VALU_DEP_4)
	v_add_co_u32 v6, vcc_lo, s4, v0
	v_add_co_ci_u32_e32 v7, vcc_lo, s5, v1, vcc_lo
	v_add_co_u32 v0, vcc_lo, v2, 8
	s_delay_alu instid0(VALU_DEP_4) | instskip(NEXT) | instid1(VALU_DEP_4)
	v_add_co_ci_u32_e32 v1, vcc_lo, 0, v3, vcc_lo
	v_add_co_u32 v2, vcc_lo, v6, 8
	s_delay_alu instid0(VALU_DEP_4)
	v_add_co_ci_u32_e32 v3, vcc_lo, 0, v7, vcc_lo
	v_dual_mov_b32 v7, v5 :: v_dual_mov_b32 v14, v4
	v_dual_mov_b32 v19, v5 :: v_dual_mov_b32 v12, v4
	;; [unrolled: 1-line block ×3, first 2 shown]
	v_mov_b32_e32 v18, v4
	v_mov_b32_e32 v16, v4
	s_lshl_b64 s[4:5], s[26:27], 7
	s_mov_b64 s[6:7], 0
.LBB1316_2:                             ; =>This Inner Loop Header: Depth=1
	global_load_b128 v[26:29], v[2:3], off offset:-8
	global_load_b128 v[30:33], v[0:1], off offset:-8
	s_add_u32 s6, s6, 8
	v_add_co_u32 v0, vcc_lo, v0, s2
	s_addc_u32 s7, s7, 0
	v_add_co_ci_u32_e32 v1, vcc_lo, s3, v1, vcc_lo
	v_cmp_ge_u64_e64 s10, s[6:7], s[16:17]
	v_add_co_u32 v2, vcc_lo, v2, s4
	v_add_co_ci_u32_e32 v3, vcc_lo, s5, v3, vcc_lo
	s_delay_alu instid0(VALU_DEP_3)
	s_and_b32 vcc_lo, exec_lo, s10
	s_waitcnt vmcnt(1)
	v_xor_b32_e32 v29, 0x80000000, v29
	s_waitcnt vmcnt(0)
	ds_store_b128 v24, v[30:33]
	ds_store_b128 v25, v[26:29]
	s_waitcnt lgkmcnt(0)
	s_barrier
	buffer_gl0_inv
	ds_load_b128 v[26:29], v23
	ds_load_b128 v[30:33], v22
	ds_load_b128 v[34:37], v22 offset:256
	ds_load_b128 v[38:41], v23 offset:2048
	;; [unrolled: 1-line block ×13, first 2 shown]
	s_waitcnt lgkmcnt(13)
	v_mul_f64 v[86:87], v[28:29], v[32:33]
	v_mul_f64 v[88:89], v[26:27], v[32:33]
	s_waitcnt lgkmcnt(12)
	v_mul_f64 v[90:91], v[28:29], v[36:37]
	v_mul_f64 v[92:93], v[26:27], v[36:37]
	;; [unrolled: 3-line block ×3, first 2 shown]
	v_mul_f64 v[96:97], v[40:41], v[36:37]
	v_mul_f64 v[36:37], v[38:39], v[36:37]
	s_waitcnt lgkmcnt(8)
	v_mul_f64 v[98:99], v[44:45], v[52:53]
	v_mul_f64 v[100:101], v[42:43], v[52:53]
	s_waitcnt lgkmcnt(7)
	v_mul_f64 v[102:103], v[44:45], v[56:57]
	v_mul_f64 v[104:105], v[42:43], v[56:57]
	;; [unrolled: 1-line block ×6, first 2 shown]
	s_waitcnt lgkmcnt(3)
	v_mul_f64 v[112:113], v[58:59], v[72:73]
	s_waitcnt lgkmcnt(2)
	v_mul_f64 v[114:115], v[76:77], v[68:69]
	v_mul_f64 v[116:117], v[76:77], v[72:73]
	v_fma_f64 v[86:87], v[26:27], v[30:31], -v[86:87]
	v_fma_f64 v[88:89], v[28:29], v[30:31], v[88:89]
	v_fma_f64 v[90:91], v[26:27], v[34:35], -v[90:91]
	v_fma_f64 v[92:93], v[28:29], v[34:35], v[92:93]
	;; [unrolled: 2-line block ×4, first 2 shown]
	v_mul_f64 v[36:37], v[60:61], v[68:69]
	v_mul_f64 v[40:41], v[58:59], v[68:69]
	;; [unrolled: 1-line block ×5, first 2 shown]
	v_fma_f64 v[98:99], v[42:43], v[50:51], -v[98:99]
	v_fma_f64 v[100:101], v[44:45], v[50:51], v[100:101]
	v_fma_f64 v[42:43], v[42:43], v[54:55], -v[102:103]
	v_fma_f64 v[44:45], v[44:45], v[54:55], v[104:105]
	;; [unrolled: 2-line block ×4, first 2 shown]
	ds_load_b128 v[26:29], v22 offset:1792
	ds_load_b128 v[30:33], v22 offset:2048
	s_waitcnt lgkmcnt(2)
	v_mul_f64 v[56:57], v[64:65], v[84:85]
	v_add_f64 v[16:17], v[16:17], v[86:87]
	v_add_f64 v[18:19], v[18:19], v[88:89]
	;; [unrolled: 1-line block ×8, first 2 shown]
	v_mul_f64 v[86:87], v[62:63], v[84:85]
	s_waitcnt lgkmcnt(1)
	v_mul_f64 v[88:89], v[64:65], v[28:29]
	v_mul_f64 v[90:91], v[62:63], v[28:29]
	;; [unrolled: 1-line block ×6, first 2 shown]
	v_fma_f64 v[104:105], v[58:59], v[66:67], -v[36:37]
	v_fma_f64 v[106:107], v[60:61], v[66:67], v[40:41]
	v_fma_f64 v[58:59], v[58:59], v[70:71], -v[96:97]
	v_fma_f64 v[60:61], v[60:61], v[70:71], v[112:113]
	;; [unrolled: 2-line block ×4, first 2 shown]
	ds_load_b128 v[4:7], v22 offset:2304
	ds_load_b128 v[8:11], v23 offset:64
	v_fma_f64 v[56:57], v[62:63], v[82:83], -v[56:57]
	v_add_f64 v[72:73], v[16:17], v[98:99]
	v_add_f64 v[74:75], v[18:19], v[100:101]
	;; [unrolled: 1-line block ×8, first 2 shown]
	ds_load_b128 v[12:15], v23 offset:2112
	ds_load_b128 v[16:19], v23 offset:80
	ds_load_b128 v[34:37], v23 offset:2128
	ds_load_b128 v[38:41], v22 offset:2560
	s_waitcnt lgkmcnt(4)
	v_mul_f64 v[54:55], v[10:11], v[32:33]
	v_mul_f64 v[76:77], v[8:9], v[32:33]
	;; [unrolled: 1-line block ×4, first 2 shown]
	v_fma_f64 v[86:87], v[64:65], v[82:83], v[86:87]
	v_fma_f64 v[62:63], v[62:63], v[26:27], -v[88:89]
	v_fma_f64 v[64:65], v[64:65], v[26:27], v[90:91]
	v_fma_f64 v[88:89], v[78:79], v[82:83], -v[92:93]
	;; [unrolled: 2-line block ×3, first 2 shown]
	v_fma_f64 v[80:81], v[80:81], v[26:27], v[28:29]
	s_waitcnt lgkmcnt(3)
	v_mul_f64 v[102:103], v[14:15], v[32:33]
	v_mul_f64 v[32:33], v[12:13], v[32:33]
	;; [unrolled: 1-line block ×4, first 2 shown]
	s_waitcnt lgkmcnt(0)
	v_mul_f64 v[90:91], v[18:19], v[40:41]
	v_mul_f64 v[92:93], v[16:17], v[40:41]
	v_add_f64 v[72:73], v[72:73], v[104:105]
	v_add_f64 v[74:75], v[74:75], v[106:107]
	;; [unrolled: 1-line block ×8, first 2 shown]
	ds_load_b128 v[26:29], v22 offset:2816
	ds_load_b128 v[42:45], v22 offset:3072
	ds_load_b128 v[46:49], v22 offset:3328
	ds_load_b128 v[50:53], v23 offset:96
	v_mul_f64 v[104:105], v[36:37], v[40:41]
	v_mul_f64 v[40:41], v[34:35], v[40:41]
	v_fma_f64 v[54:55], v[8:9], v[30:31], -v[54:55]
	v_fma_f64 v[76:77], v[10:11], v[30:31], v[76:77]
	v_fma_f64 v[98:99], v[8:9], v[4:5], -v[98:99]
	v_fma_f64 v[100:101], v[10:11], v[4:5], v[100:101]
	s_waitcnt lgkmcnt(3)
	v_mul_f64 v[94:95], v[18:19], v[28:29]
	v_mul_f64 v[96:97], v[16:17], v[28:29]
	v_mul_f64 v[106:107], v[36:37], v[28:29]
	v_mul_f64 v[110:111], v[34:35], v[28:29]
	v_fma_f64 v[102:103], v[12:13], v[30:31], -v[102:103]
	v_fma_f64 v[32:33], v[14:15], v[30:31], v[32:33]
	v_fma_f64 v[108:109], v[12:13], v[4:5], -v[108:109]
	v_fma_f64 v[112:113], v[14:15], v[4:5], v[6:7]
	ds_load_b128 v[4:7], v23 offset:2144
	ds_load_b128 v[8:11], v23 offset:112
	;; [unrolled: 1-line block ×4, first 2 shown]
	v_add_f64 v[56:57], v[72:73], v[56:57]
	v_add_f64 v[72:73], v[74:75], v[86:87]
	;; [unrolled: 1-line block ×8, first 2 shown]
	s_waitcnt lgkmcnt(4)
	v_mul_f64 v[70:71], v[52:53], v[44:45]
	v_mul_f64 v[74:75], v[50:51], v[44:45]
	;; [unrolled: 1-line block ×4, first 2 shown]
	s_waitcnt lgkmcnt(3)
	v_mul_f64 v[82:83], v[6:7], v[44:45]
	v_mul_f64 v[44:45], v[4:5], v[44:45]
	;; [unrolled: 1-line block ×4, first 2 shown]
	v_fma_f64 v[86:87], v[16:17], v[38:39], -v[90:91]
	v_fma_f64 v[88:89], v[18:19], v[38:39], v[92:93]
	v_fma_f64 v[90:91], v[16:17], v[26:27], -v[94:95]
	v_fma_f64 v[92:93], v[18:19], v[26:27], v[96:97]
	;; [unrolled: 2-line block ×4, first 2 shown]
	ds_load_b128 v[16:19], v22 offset:3840
	s_waitcnt lgkmcnt(0)
	s_barrier
	buffer_gl0_inv
	v_add_f64 v[36:37], v[56:57], v[54:55]
	v_add_f64 v[40:41], v[72:73], v[76:77]
	;; [unrolled: 1-line block ×8, first 2 shown]
	v_mul_f64 v[64:65], v[10:11], v[30:31]
	v_mul_f64 v[66:67], v[8:9], v[30:31]
	;; [unrolled: 1-line block ×4, first 2 shown]
	v_fma_f64 v[70:71], v[50:51], v[42:43], -v[70:71]
	v_mul_f64 v[68:69], v[10:11], v[18:19]
	v_mul_f64 v[72:73], v[8:9], v[18:19]
	;; [unrolled: 1-line block ×4, first 2 shown]
	v_fma_f64 v[74:75], v[52:53], v[42:43], v[74:75]
	v_fma_f64 v[50:51], v[50:51], v[46:47], -v[78:79]
	v_fma_f64 v[52:53], v[52:53], v[46:47], v[80:81]
	v_fma_f64 v[78:79], v[4:5], v[42:43], -v[82:83]
	;; [unrolled: 2-line block ×3, first 2 shown]
	v_fma_f64 v[6:7], v[6:7], v[46:47], v[48:49]
	v_add_f64 v[36:37], v[36:37], v[86:87]
	v_add_f64 v[40:41], v[40:41], v[88:89]
	;; [unrolled: 1-line block ×8, first 2 shown]
	v_fma_f64 v[38:39], v[8:9], v[28:29], -v[64:65]
	v_fma_f64 v[54:55], v[10:11], v[28:29], v[66:67]
	v_fma_f64 v[56:57], v[12:13], v[28:29], -v[76:77]
	v_fma_f64 v[28:29], v[14:15], v[28:29], v[30:31]
	;; [unrolled: 2-line block ×4, first 2 shown]
	v_add_f64 v[12:13], v[36:37], v[70:71]
	v_add_f64 v[14:15], v[40:41], v[74:75]
	;; [unrolled: 1-line block ×16, first 2 shown]
	s_cbranch_vccz .LBB1316_2
.LBB1316_3:
	s_clause 0x1
	s_load_b128 s[4:7], s[0:1], 0x48
	s_load_b32 s2, s[0:1], 0x0
	v_add_nc_u32_e32 v21, s9, v21
	s_delay_alu instid0(VALU_DEP_1) | instskip(SKIP_1) | instid1(VALU_DEP_1)
	v_ashrrev_i32_e32 v0, 31, v21
	s_waitcnt lgkmcnt(0)
	v_mul_lo_u32 v3, v0, s4
	v_mul_lo_u32 v22, v21, s5
	v_mad_u64_u32 v[1:2], null, v21, s4, 0
	s_mul_i32 s1, s15, s7
	s_mul_hi_u32 s3, s15, s6
	s_mul_i32 s6, s15, s6
	s_add_i32 s7, s3, s1
	v_add_nc_u32_e32 v0, s8, v20
	s_lshl_b64 s[6:7], s[6:7], 4
	s_delay_alu instid0(VALU_DEP_2)
	v_add3_u32 v2, v2, v22, v3
	s_add_u32 s3, s30, s6
	v_cmp_gt_i32_e32 vcc_lo, s2, v21
	v_cmp_le_i32_e64 s0, v0, v21
	s_addc_u32 s6, s31, s7
	v_lshlrev_b64 v[1:2], 4, v[1:2]
	s_delay_alu instid0(VALU_DEP_2) | instskip(NEXT) | instid1(VALU_DEP_1)
	s_and_b32 s0, vcc_lo, s0
	v_add_co_u32 v20, s1, s3, v1
	s_delay_alu instid0(VALU_DEP_1)
	v_add_co_ci_u32_e64 v22, s1, s6, v2, s1
	s_and_saveexec_b32 s1, s0
	s_cbranch_execz .LBB1316_5
; %bb.4:
	v_ashrrev_i32_e32 v1, 31, v0
	s_delay_alu instid0(VALU_DEP_1) | instskip(NEXT) | instid1(VALU_DEP_1)
	v_lshlrev_b64 v[1:2], 4, v[0:1]
	v_add_co_u32 v1, s0, v20, v1
	s_delay_alu instid0(VALU_DEP_1)
	v_add_co_ci_u32_e64 v2, s0, v22, v2, s0
	v_cmp_ne_u32_e64 s0, v21, v0
	global_load_b128 v[23:26], v[1:2], off
	s_waitcnt vmcnt(0)
	v_add_f64 v[18:19], v[18:19], v[25:26]
	v_add_f64 v[16:17], v[16:17], v[23:24]
	s_delay_alu instid0(VALU_DEP_2) | instskip(NEXT) | instid1(VALU_DEP_3)
	v_cndmask_b32_e64 v19, 0, v19, s0
	v_cndmask_b32_e64 v18, 0, v18, s0
	global_store_b128 v[1:2], v[16:19], off
.LBB1316_5:
	s_or_b32 exec_lo, exec_lo, s1
	v_add_nc_u32_e32 v2, 16, v0
	s_delay_alu instid0(VALU_DEP_1) | instskip(NEXT) | instid1(VALU_DEP_1)
	v_cmp_le_i32_e64 s0, v2, v21
	s_and_b32 s1, vcc_lo, s0
	s_delay_alu instid0(SALU_CYCLE_1)
	s_and_saveexec_b32 s0, s1
	s_cbranch_execz .LBB1316_7
; %bb.6:
	v_ashrrev_i32_e32 v3, 31, v2
	s_delay_alu instid0(VALU_DEP_1) | instskip(NEXT) | instid1(VALU_DEP_1)
	v_lshlrev_b64 v[16:17], 4, v[2:3]
	v_add_co_u32 v23, vcc_lo, v20, v16
	s_delay_alu instid0(VALU_DEP_2)
	v_add_co_ci_u32_e32 v24, vcc_lo, v22, v17, vcc_lo
	v_cmp_ne_u32_e32 vcc_lo, v21, v2
	global_load_b128 v[16:19], v[23:24], off
	s_waitcnt vmcnt(0)
	v_add_f64 v[14:15], v[14:15], v[18:19]
	v_add_f64 v[12:13], v[12:13], v[16:17]
	s_delay_alu instid0(VALU_DEP_2)
	v_dual_cndmask_b32 v15, 0, v15 :: v_dual_cndmask_b32 v14, 0, v14
	global_store_b128 v[23:24], v[12:15], off
.LBB1316_7:
	s_or_b32 exec_lo, exec_lo, s0
	v_add_nc_u32_e32 v3, 16, v21
	s_delay_alu instid0(VALU_DEP_1) | instskip(SKIP_3) | instid1(VALU_DEP_4)
	v_ashrrev_i32_e32 v1, 31, v3
	v_mul_lo_u32 v14, v3, s5
	v_mad_u64_u32 v[12:13], null, v3, s4, 0
	v_cmp_gt_i32_e32 vcc_lo, s2, v3
	v_mul_lo_u32 v1, v1, s4
	v_cmp_le_i32_e64 s0, v0, v3
	s_delay_alu instid0(VALU_DEP_1) | instskip(NEXT) | instid1(VALU_DEP_2)
	s_and_b32 s0, vcc_lo, s0
	v_add3_u32 v13, v13, v14, v1
	s_delay_alu instid0(VALU_DEP_1) | instskip(NEXT) | instid1(VALU_DEP_1)
	v_lshlrev_b64 v[12:13], 4, v[12:13]
	v_add_co_u32 v12, s1, s3, v12
	s_delay_alu instid0(VALU_DEP_1)
	v_add_co_ci_u32_e64 v13, s1, s6, v13, s1
	s_and_saveexec_b32 s1, s0
	s_cbranch_execz .LBB1316_9
; %bb.8:
	v_ashrrev_i32_e32 v1, 31, v0
	s_delay_alu instid0(VALU_DEP_1) | instskip(NEXT) | instid1(VALU_DEP_1)
	v_lshlrev_b64 v[14:15], 4, v[0:1]
	v_add_co_u32 v18, s0, v12, v14
	s_delay_alu instid0(VALU_DEP_1)
	v_add_co_ci_u32_e64 v19, s0, v13, v15, s0
	v_cmp_ne_u32_e64 s0, v3, v0
	global_load_b128 v[14:17], v[18:19], off
	s_waitcnt vmcnt(0)
	v_add_f64 v[10:11], v[10:11], v[16:17]
	v_add_f64 v[8:9], v[8:9], v[14:15]
	s_delay_alu instid0(VALU_DEP_2) | instskip(NEXT) | instid1(VALU_DEP_3)
	v_cndmask_b32_e64 v11, 0, v11, s0
	v_cndmask_b32_e64 v10, 0, v10, s0
	global_store_b128 v[18:19], v[8:11], off
.LBB1316_9:
	s_or_b32 exec_lo, exec_lo, s1
	v_cmp_le_i32_e64 s0, v2, v3
	s_delay_alu instid0(VALU_DEP_1) | instskip(NEXT) | instid1(SALU_CYCLE_1)
	s_and_b32 s0, vcc_lo, s0
	s_and_saveexec_b32 s1, s0
	s_cbranch_execz .LBB1316_11
; %bb.10:
	v_ashrrev_i32_e32 v3, 31, v2
	s_delay_alu instid0(VALU_DEP_1) | instskip(NEXT) | instid1(VALU_DEP_1)
	v_lshlrev_b64 v[1:2], 4, v[2:3]
	v_add_co_u32 v12, vcc_lo, v12, v1
	s_delay_alu instid0(VALU_DEP_2)
	v_add_co_ci_u32_e32 v13, vcc_lo, v13, v2, vcc_lo
	v_cmp_ne_u32_e32 vcc_lo, v21, v0
	global_load_b128 v[8:11], v[12:13], off
	s_waitcnt vmcnt(0)
	v_add_f64 v[3:4], v[4:5], v[10:11]
	v_add_f64 v[1:2], v[6:7], v[8:9]
	s_delay_alu instid0(VALU_DEP_2)
	v_dual_cndmask_b32 v4, 0, v4 :: v_dual_cndmask_b32 v3, 0, v3
	global_store_b128 v[12:13], v[1:4], off
.LBB1316_11:
	s_nop 0
	s_sendmsg sendmsg(MSG_DEALLOC_VGPRS)
	s_endpgm
	.section	.rodata,"a",@progbits
	.p2align	6, 0x0
	.amdhsa_kernel _ZL37rocblas_syrkx_herkx_restricted_kernelIl19rocblas_complex_numIdELi16ELi32ELi8ELi1ELi1ELb1ELc78ELc85EKS1_S1_EviT_PT9_S3_lS5_S3_lPT10_S3_li
		.amdhsa_group_segment_fixed_size 8192
		.amdhsa_private_segment_fixed_size 0
		.amdhsa_kernarg_size 92
		.amdhsa_user_sgpr_count 13
		.amdhsa_user_sgpr_dispatch_ptr 0
		.amdhsa_user_sgpr_queue_ptr 0
		.amdhsa_user_sgpr_kernarg_segment_ptr 1
		.amdhsa_user_sgpr_dispatch_id 0
		.amdhsa_user_sgpr_private_segment_size 0
		.amdhsa_wavefront_size32 1
		.amdhsa_uses_dynamic_stack 0
		.amdhsa_enable_private_segment 0
		.amdhsa_system_sgpr_workgroup_id_x 1
		.amdhsa_system_sgpr_workgroup_id_y 1
		.amdhsa_system_sgpr_workgroup_id_z 1
		.amdhsa_system_sgpr_workgroup_info 0
		.amdhsa_system_vgpr_workitem_id 1
		.amdhsa_next_free_vgpr 118
		.amdhsa_next_free_sgpr 32
		.amdhsa_reserve_vcc 1
		.amdhsa_float_round_mode_32 0
		.amdhsa_float_round_mode_16_64 0
		.amdhsa_float_denorm_mode_32 3
		.amdhsa_float_denorm_mode_16_64 3
		.amdhsa_dx10_clamp 1
		.amdhsa_ieee_mode 1
		.amdhsa_fp16_overflow 0
		.amdhsa_workgroup_processor_mode 1
		.amdhsa_memory_ordered 1
		.amdhsa_forward_progress 0
		.amdhsa_shared_vgpr_count 0
		.amdhsa_exception_fp_ieee_invalid_op 0
		.amdhsa_exception_fp_denorm_src 0
		.amdhsa_exception_fp_ieee_div_zero 0
		.amdhsa_exception_fp_ieee_overflow 0
		.amdhsa_exception_fp_ieee_underflow 0
		.amdhsa_exception_fp_ieee_inexact 0
		.amdhsa_exception_int_div_zero 0
	.end_amdhsa_kernel
	.section	.text._ZL37rocblas_syrkx_herkx_restricted_kernelIl19rocblas_complex_numIdELi16ELi32ELi8ELi1ELi1ELb1ELc78ELc85EKS1_S1_EviT_PT9_S3_lS5_S3_lPT10_S3_li,"axG",@progbits,_ZL37rocblas_syrkx_herkx_restricted_kernelIl19rocblas_complex_numIdELi16ELi32ELi8ELi1ELi1ELb1ELc78ELc85EKS1_S1_EviT_PT9_S3_lS5_S3_lPT10_S3_li,comdat
.Lfunc_end1316:
	.size	_ZL37rocblas_syrkx_herkx_restricted_kernelIl19rocblas_complex_numIdELi16ELi32ELi8ELi1ELi1ELb1ELc78ELc85EKS1_S1_EviT_PT9_S3_lS5_S3_lPT10_S3_li, .Lfunc_end1316-_ZL37rocblas_syrkx_herkx_restricted_kernelIl19rocblas_complex_numIdELi16ELi32ELi8ELi1ELi1ELb1ELc78ELc85EKS1_S1_EviT_PT9_S3_lS5_S3_lPT10_S3_li
                                        ; -- End function
	.section	.AMDGPU.csdata,"",@progbits
; Kernel info:
; codeLenInByte = 3168
; NumSgprs: 34
; NumVgprs: 118
; ScratchSize: 0
; MemoryBound: 0
; FloatMode: 240
; IeeeMode: 1
; LDSByteSize: 8192 bytes/workgroup (compile time only)
; SGPRBlocks: 4
; VGPRBlocks: 14
; NumSGPRsForWavesPerEU: 34
; NumVGPRsForWavesPerEU: 118
; Occupancy: 12
; WaveLimiterHint : 1
; COMPUTE_PGM_RSRC2:SCRATCH_EN: 0
; COMPUTE_PGM_RSRC2:USER_SGPR: 13
; COMPUTE_PGM_RSRC2:TRAP_HANDLER: 0
; COMPUTE_PGM_RSRC2:TGID_X_EN: 1
; COMPUTE_PGM_RSRC2:TGID_Y_EN: 1
; COMPUTE_PGM_RSRC2:TGID_Z_EN: 1
; COMPUTE_PGM_RSRC2:TIDIG_COMP_CNT: 1
	.section	.text._ZL37rocblas_syrkx_herkx_restricted_kernelIl19rocblas_complex_numIdELi16ELi32ELi8ELi1ELin1ELb1ELc84ELc76EKS1_S1_EviT_PT9_S3_lS5_S3_lPT10_S3_li,"axG",@progbits,_ZL37rocblas_syrkx_herkx_restricted_kernelIl19rocblas_complex_numIdELi16ELi32ELi8ELi1ELin1ELb1ELc84ELc76EKS1_S1_EviT_PT9_S3_lS5_S3_lPT10_S3_li,comdat
	.globl	_ZL37rocblas_syrkx_herkx_restricted_kernelIl19rocblas_complex_numIdELi16ELi32ELi8ELi1ELin1ELb1ELc84ELc76EKS1_S1_EviT_PT9_S3_lS5_S3_lPT10_S3_li ; -- Begin function _ZL37rocblas_syrkx_herkx_restricted_kernelIl19rocblas_complex_numIdELi16ELi32ELi8ELi1ELin1ELb1ELc84ELc76EKS1_S1_EviT_PT9_S3_lS5_S3_lPT10_S3_li
	.p2align	8
	.type	_ZL37rocblas_syrkx_herkx_restricted_kernelIl19rocblas_complex_numIdELi16ELi32ELi8ELi1ELin1ELb1ELc84ELc76EKS1_S1_EviT_PT9_S3_lS5_S3_lPT10_S3_li,@function
_ZL37rocblas_syrkx_herkx_restricted_kernelIl19rocblas_complex_numIdELi16ELi32ELi8ELi1ELin1ELb1ELc84ELc76EKS1_S1_EviT_PT9_S3_lS5_S3_lPT10_S3_li: ; @_ZL37rocblas_syrkx_herkx_restricted_kernelIl19rocblas_complex_numIdELi16ELi32ELi8ELi1ELin1ELb1ELc84ELc76EKS1_S1_EviT_PT9_S3_lS5_S3_lPT10_S3_li
; %bb.0:
	s_load_b512 s[16:31], s[0:1], 0x8
	v_mov_b32_e32 v16, 0
	v_dual_mov_b32 v17, 0 :: v_dual_and_b32 v20, 0x3ff, v0
	v_bfe_u32 v21, v0, 10, 10
	s_delay_alu instid0(VALU_DEP_3) | instskip(NEXT) | instid1(VALU_DEP_3)
	v_mov_b32_e32 v12, v16
	v_dual_mov_b32 v14, v16 :: v_dual_mov_b32 v15, v17
	v_dual_mov_b32 v19, v17 :: v_dual_mov_b32 v18, v16
	;; [unrolled: 1-line block ×6, first 2 shown]
	v_mov_b32_e32 v5, v17
	s_lshl_b32 s8, s13, 5
	s_waitcnt lgkmcnt(0)
	v_cmp_lt_i64_e64 s2, s[16:17], 1
	s_lshl_b32 s9, s14, 5
	s_delay_alu instid0(VALU_DEP_1)
	s_and_b32 vcc_lo, exec_lo, s2
	s_cbranch_vccnz .LBB1317_3
; %bb.1:
	v_lshl_add_u32 v2, v21, 4, v20
	v_dual_mov_b32 v1, 0 :: v_dual_and_b32 v0, 7, v20
	v_lshlrev_b32_e32 v22, 4, v20
	s_mul_i32 s3, s23, s15
	s_delay_alu instid0(VALU_DEP_3)
	v_and_b32_e32 v8, 31, v2
	v_lshrrev_b32_e32 v9, 3, v2
	v_lshrrev_b32_e32 v2, 5, v2
	v_mov_b32_e32 v3, v1
	v_lshlrev_b32_e32 v11, 4, v0
	v_add_nc_u32_e32 v6, s8, v8
	v_add_nc_u32_e32 v10, s9, v9
	s_mul_hi_u32 s4, s22, s15
	s_mul_i32 s2, s22, s15
	s_add_i32 s3, s4, s3
	v_ashrrev_i32_e32 v7, 31, v6
	v_ashrrev_i32_e32 v12, 31, v10
	v_mad_u64_u32 v[4:5], null, s20, v6, v[2:3]
	v_mul_lo_u32 v3, s21, v6
	s_delay_alu instid0(VALU_DEP_4)
	v_mul_lo_u32 v13, s20, v7
	v_mul_lo_u32 v14, v10, s27
	v_mad_u64_u32 v[6:7], null, v10, s26, v[0:1]
	v_mul_lo_u32 v0, v12, s26
	v_lshlrev_b32_e32 v1, 4, v8
	s_lshl_b64 s[2:3], s[2:3], 4
	s_mul_hi_u32 s5, s28, s15
	v_add3_u32 v5, v3, v5, v13
	s_add_u32 s4, s18, s2
	v_lshl_or_b32 v23, v2, 9, v1
	s_mul_i32 s2, s29, s15
	v_add3_u32 v7, v0, v7, v14
	v_lshlrev_b64 v[0:1], 4, v[4:5]
	s_addc_u32 s6, s19, s3
	s_add_i32 s3, s5, s2
	s_mul_i32 s2, s28, s15
	v_lshlrev_b64 v[2:3], 4, v[6:7]
	s_lshl_b64 s[2:3], s[2:3], 4
	v_add_co_u32 v0, vcc_lo, s4, v0
	s_add_u32 s2, s24, s2
	v_add_co_ci_u32_e32 v1, vcc_lo, s6, v1, vcc_lo
	v_mov_b32_e32 v4, 0
	v_lshl_or_b32 v8, v9, 7, v11
	s_addc_u32 s3, s25, s3
	v_add_co_u32 v2, vcc_lo, s2, v2
	v_mov_b32_e32 v5, 0
	v_add_co_ci_u32_e32 v3, vcc_lo, s3, v3, vcc_lo
	v_add_co_u32 v0, vcc_lo, v0, 8
	s_delay_alu instid0(VALU_DEP_3)
	v_dual_mov_b32 v9, v5 :: v_dual_add_nc_u32 v24, 0x1000, v8
	v_add_co_ci_u32_e32 v1, vcc_lo, 0, v1, vcc_lo
	v_mov_b32_e32 v11, v5
	v_add_co_u32 v2, vcc_lo, v2, 8
	v_dual_mov_b32 v10, v4 :: v_dual_mov_b32 v15, v5
	v_dual_mov_b32 v8, v4 :: v_dual_mov_b32 v13, v5
	v_dual_mov_b32 v7, v5 :: v_dual_mov_b32 v14, v4
	v_dual_mov_b32 v19, v5 :: v_dual_mov_b32 v12, v4
	v_mov_b32_e32 v17, v5
	v_lshl_add_u32 v25, v21, 7, 0x1000
	v_add_co_ci_u32_e32 v3, vcc_lo, 0, v3, vcc_lo
	v_mov_b32_e32 v6, v4
	v_mov_b32_e32 v18, v4
	;; [unrolled: 1-line block ×3, first 2 shown]
	s_mov_b64 s[2:3], 0
.LBB1317_2:                             ; =>This Inner Loop Header: Depth=1
	global_load_b128 v[26:29], v[0:1], off offset:-8
	global_load_b128 v[30:33], v[2:3], off offset:-8
	s_add_u32 s2, s2, 8
	v_add_co_u32 v0, vcc_lo, 0x80, v0
	s_addc_u32 s3, s3, 0
	v_add_co_ci_u32_e32 v1, vcc_lo, 0, v1, vcc_lo
	v_cmp_ge_u64_e64 s4, s[2:3], s[16:17]
	v_add_co_u32 v2, vcc_lo, 0x80, v2
	v_add_co_ci_u32_e32 v3, vcc_lo, 0, v3, vcc_lo
	s_waitcnt vmcnt(1)
	ds_store_b128 v23, v[26:29]
	s_waitcnt vmcnt(0)
	ds_store_b128 v24, v[30:33]
	s_waitcnt lgkmcnt(0)
	s_barrier
	buffer_gl0_inv
	ds_load_b128 v[26:29], v25
	ds_load_b128 v[30:33], v22
	ds_load_b128 v[34:37], v22 offset:256
	ds_load_b128 v[38:41], v25 offset:2048
	;; [unrolled: 1-line block ×13, first 2 shown]
	s_and_b32 vcc_lo, exec_lo, s4
	s_waitcnt lgkmcnt(13)
	v_mul_f64 v[86:87], v[28:29], v[32:33]
	v_mul_f64 v[88:89], v[26:27], v[32:33]
	s_waitcnt lgkmcnt(12)
	v_mul_f64 v[90:91], v[28:29], v[36:37]
	v_mul_f64 v[92:93], v[26:27], v[36:37]
	;; [unrolled: 3-line block ×3, first 2 shown]
	v_mul_f64 v[96:97], v[40:41], v[36:37]
	v_mul_f64 v[36:37], v[38:39], v[36:37]
	s_waitcnt lgkmcnt(8)
	v_mul_f64 v[98:99], v[44:45], v[52:53]
	v_mul_f64 v[100:101], v[42:43], v[52:53]
	s_waitcnt lgkmcnt(7)
	v_mul_f64 v[102:103], v[44:45], v[56:57]
	v_mul_f64 v[104:105], v[42:43], v[56:57]
	;; [unrolled: 1-line block ×6, first 2 shown]
	s_waitcnt lgkmcnt(3)
	v_mul_f64 v[112:113], v[58:59], v[72:73]
	s_waitcnt lgkmcnt(2)
	v_mul_f64 v[114:115], v[76:77], v[68:69]
	v_mul_f64 v[116:117], v[76:77], v[72:73]
	v_fma_f64 v[86:87], v[26:27], v[30:31], -v[86:87]
	v_fma_f64 v[88:89], v[28:29], v[30:31], v[88:89]
	v_fma_f64 v[90:91], v[26:27], v[34:35], -v[90:91]
	v_fma_f64 v[92:93], v[28:29], v[34:35], v[92:93]
	;; [unrolled: 2-line block ×4, first 2 shown]
	v_mul_f64 v[36:37], v[60:61], v[68:69]
	v_mul_f64 v[40:41], v[58:59], v[68:69]
	v_mul_f64 v[96:97], v[60:61], v[72:73]
	v_mul_f64 v[68:69], v[74:75], v[68:69]
	v_mul_f64 v[72:73], v[74:75], v[72:73]
	v_fma_f64 v[98:99], v[42:43], v[50:51], -v[98:99]
	v_fma_f64 v[100:101], v[44:45], v[50:51], v[100:101]
	v_fma_f64 v[42:43], v[42:43], v[54:55], -v[102:103]
	v_fma_f64 v[44:45], v[44:45], v[54:55], v[104:105]
	v_fma_f64 v[102:103], v[46:47], v[50:51], -v[106:107]
	v_fma_f64 v[50:51], v[48:49], v[50:51], v[52:53]
	v_fma_f64 v[46:47], v[46:47], v[54:55], -v[108:109]
	v_fma_f64 v[48:49], v[48:49], v[54:55], v[56:57]
	ds_load_b128 v[26:29], v22 offset:1792
	ds_load_b128 v[30:33], v22 offset:2048
	s_waitcnt lgkmcnt(2)
	v_mul_f64 v[56:57], v[64:65], v[84:85]
	v_add_f64 v[16:17], v[16:17], v[86:87]
	v_add_f64 v[18:19], v[18:19], v[88:89]
	;; [unrolled: 1-line block ×8, first 2 shown]
	v_mul_f64 v[86:87], v[62:63], v[84:85]
	s_waitcnt lgkmcnt(1)
	v_mul_f64 v[88:89], v[64:65], v[28:29]
	v_mul_f64 v[90:91], v[62:63], v[28:29]
	;; [unrolled: 1-line block ×6, first 2 shown]
	v_fma_f64 v[104:105], v[58:59], v[66:67], -v[36:37]
	v_fma_f64 v[106:107], v[60:61], v[66:67], v[40:41]
	v_fma_f64 v[58:59], v[58:59], v[70:71], -v[96:97]
	v_fma_f64 v[60:61], v[60:61], v[70:71], v[112:113]
	;; [unrolled: 2-line block ×4, first 2 shown]
	ds_load_b128 v[4:7], v22 offset:2304
	ds_load_b128 v[8:11], v25 offset:64
	v_fma_f64 v[56:57], v[62:63], v[82:83], -v[56:57]
	v_add_f64 v[72:73], v[16:17], v[98:99]
	v_add_f64 v[74:75], v[18:19], v[100:101]
	;; [unrolled: 1-line block ×8, first 2 shown]
	ds_load_b128 v[12:15], v25 offset:2112
	ds_load_b128 v[16:19], v25 offset:80
	;; [unrolled: 1-line block ×4, first 2 shown]
	s_waitcnt lgkmcnt(4)
	v_mul_f64 v[54:55], v[10:11], v[32:33]
	v_mul_f64 v[76:77], v[8:9], v[32:33]
	;; [unrolled: 1-line block ×4, first 2 shown]
	v_fma_f64 v[86:87], v[64:65], v[82:83], v[86:87]
	v_fma_f64 v[62:63], v[62:63], v[26:27], -v[88:89]
	v_fma_f64 v[64:65], v[64:65], v[26:27], v[90:91]
	v_fma_f64 v[88:89], v[78:79], v[82:83], -v[92:93]
	;; [unrolled: 2-line block ×3, first 2 shown]
	v_fma_f64 v[80:81], v[80:81], v[26:27], v[28:29]
	s_waitcnt lgkmcnt(3)
	v_mul_f64 v[102:103], v[14:15], v[32:33]
	v_mul_f64 v[32:33], v[12:13], v[32:33]
	;; [unrolled: 1-line block ×4, first 2 shown]
	s_waitcnt lgkmcnt(0)
	v_mul_f64 v[90:91], v[18:19], v[40:41]
	v_mul_f64 v[92:93], v[16:17], v[40:41]
	v_add_f64 v[72:73], v[72:73], v[104:105]
	v_add_f64 v[74:75], v[74:75], v[106:107]
	v_add_f64 v[58:59], v[42:43], v[58:59]
	v_add_f64 v[60:61], v[44:45], v[60:61]
	v_add_f64 v[84:85], v[52:53], v[96:97]
	v_add_f64 v[66:67], v[50:51], v[66:67]
	v_add_f64 v[68:69], v[46:47], v[68:69]
	v_add_f64 v[70:71], v[48:49], v[70:71]
	ds_load_b128 v[26:29], v22 offset:2816
	ds_load_b128 v[42:45], v22 offset:3072
	;; [unrolled: 1-line block ×4, first 2 shown]
	v_mul_f64 v[104:105], v[36:37], v[40:41]
	v_mul_f64 v[40:41], v[34:35], v[40:41]
	v_fma_f64 v[54:55], v[8:9], v[30:31], -v[54:55]
	v_fma_f64 v[76:77], v[10:11], v[30:31], v[76:77]
	v_fma_f64 v[98:99], v[8:9], v[4:5], -v[98:99]
	v_fma_f64 v[100:101], v[10:11], v[4:5], v[100:101]
	s_waitcnt lgkmcnt(3)
	v_mul_f64 v[94:95], v[18:19], v[28:29]
	v_mul_f64 v[96:97], v[16:17], v[28:29]
	;; [unrolled: 1-line block ×4, first 2 shown]
	v_fma_f64 v[102:103], v[12:13], v[30:31], -v[102:103]
	v_fma_f64 v[32:33], v[14:15], v[30:31], v[32:33]
	v_fma_f64 v[108:109], v[12:13], v[4:5], -v[108:109]
	v_fma_f64 v[112:113], v[14:15], v[4:5], v[6:7]
	ds_load_b128 v[4:7], v25 offset:2144
	ds_load_b128 v[8:11], v25 offset:112
	;; [unrolled: 1-line block ×4, first 2 shown]
	v_add_f64 v[56:57], v[72:73], v[56:57]
	v_add_f64 v[72:73], v[74:75], v[86:87]
	v_add_f64 v[58:59], v[58:59], v[62:63]
	v_add_f64 v[60:61], v[60:61], v[64:65]
	v_add_f64 v[62:63], v[84:85], v[88:89]
	v_add_f64 v[64:65], v[66:67], v[82:83]
	v_add_f64 v[66:67], v[68:69], v[78:79]
	v_add_f64 v[68:69], v[70:71], v[80:81]
	s_waitcnt lgkmcnt(4)
	v_mul_f64 v[70:71], v[52:53], v[44:45]
	v_mul_f64 v[74:75], v[50:51], v[44:45]
	;; [unrolled: 1-line block ×4, first 2 shown]
	s_waitcnt lgkmcnt(3)
	v_mul_f64 v[82:83], v[6:7], v[44:45]
	v_mul_f64 v[44:45], v[4:5], v[44:45]
	;; [unrolled: 1-line block ×4, first 2 shown]
	v_fma_f64 v[86:87], v[16:17], v[38:39], -v[90:91]
	v_fma_f64 v[88:89], v[18:19], v[38:39], v[92:93]
	v_fma_f64 v[90:91], v[16:17], v[26:27], -v[94:95]
	v_fma_f64 v[92:93], v[18:19], v[26:27], v[96:97]
	;; [unrolled: 2-line block ×4, first 2 shown]
	ds_load_b128 v[16:19], v22 offset:3840
	s_waitcnt lgkmcnt(0)
	s_barrier
	buffer_gl0_inv
	v_add_f64 v[36:37], v[56:57], v[54:55]
	v_add_f64 v[40:41], v[72:73], v[76:77]
	;; [unrolled: 1-line block ×8, first 2 shown]
	v_mul_f64 v[64:65], v[10:11], v[30:31]
	v_mul_f64 v[66:67], v[8:9], v[30:31]
	;; [unrolled: 1-line block ×4, first 2 shown]
	v_fma_f64 v[70:71], v[50:51], v[42:43], -v[70:71]
	v_mul_f64 v[68:69], v[10:11], v[18:19]
	v_mul_f64 v[72:73], v[8:9], v[18:19]
	;; [unrolled: 1-line block ×4, first 2 shown]
	v_fma_f64 v[74:75], v[52:53], v[42:43], v[74:75]
	v_fma_f64 v[50:51], v[50:51], v[46:47], -v[78:79]
	v_fma_f64 v[52:53], v[52:53], v[46:47], v[80:81]
	v_fma_f64 v[78:79], v[4:5], v[42:43], -v[82:83]
	;; [unrolled: 2-line block ×3, first 2 shown]
	v_fma_f64 v[6:7], v[6:7], v[46:47], v[48:49]
	v_add_f64 v[36:37], v[36:37], v[86:87]
	v_add_f64 v[40:41], v[40:41], v[88:89]
	;; [unrolled: 1-line block ×8, first 2 shown]
	v_fma_f64 v[38:39], v[8:9], v[28:29], -v[64:65]
	v_fma_f64 v[54:55], v[10:11], v[28:29], v[66:67]
	v_fma_f64 v[56:57], v[12:13], v[28:29], -v[76:77]
	v_fma_f64 v[28:29], v[14:15], v[28:29], v[30:31]
	;; [unrolled: 2-line block ×4, first 2 shown]
	v_add_f64 v[12:13], v[36:37], v[70:71]
	v_add_f64 v[14:15], v[40:41], v[74:75]
	;; [unrolled: 1-line block ×16, first 2 shown]
	s_cbranch_vccz .LBB1317_2
.LBB1317_3:
	s_load_b128 s[4:7], s[0:1], 0x48
	v_add_nc_u32_e32 v21, s9, v21
	s_load_b32 s9, s[0:1], 0x0
	s_delay_alu instid0(VALU_DEP_1) | instskip(SKIP_1) | instid1(VALU_DEP_1)
	v_ashrrev_i32_e32 v0, 31, v21
	s_waitcnt lgkmcnt(0)
	v_mul_lo_u32 v3, v0, s4
	v_mul_lo_u32 v22, v21, s5
	v_mad_u64_u32 v[1:2], null, v21, s4, 0
	s_mul_i32 s1, s15, s7
	s_mul_hi_u32 s3, s15, s6
	s_mul_i32 s2, s15, s6
	s_add_i32 s3, s3, s1
	v_add_nc_u32_e32 v0, s8, v20
	s_lshl_b64 s[2:3], s[2:3], 4
	s_delay_alu instid0(VALU_DEP_2)
	v_add3_u32 v2, v2, v22, v3
	s_add_u32 s2, s30, s2
	s_addc_u32 s3, s31, s3
	v_cmp_le_i32_e64 s0, v21, v0
	v_cmp_gt_i32_e32 vcc_lo, s9, v0
	v_lshlrev_b64 v[1:2], 4, v[1:2]
	s_delay_alu instid0(VALU_DEP_3) | instskip(NEXT) | instid1(VALU_DEP_1)
	s_and_b32 s0, s0, vcc_lo
	v_add_co_u32 v20, s1, s2, v1
	s_delay_alu instid0(VALU_DEP_1)
	v_add_co_ci_u32_e64 v22, s1, s3, v2, s1
	s_and_saveexec_b32 s1, s0
	s_cbranch_execz .LBB1317_5
; %bb.4:
	v_ashrrev_i32_e32 v1, 31, v0
	s_delay_alu instid0(VALU_DEP_1) | instskip(NEXT) | instid1(VALU_DEP_1)
	v_lshlrev_b64 v[1:2], 4, v[0:1]
	v_add_co_u32 v1, s0, v20, v1
	s_delay_alu instid0(VALU_DEP_1)
	v_add_co_ci_u32_e64 v2, s0, v22, v2, s0
	v_cmp_ne_u32_e64 s0, v21, v0
	global_load_b128 v[23:26], v[1:2], off
	s_waitcnt vmcnt(0)
	v_add_f64 v[18:19], v[18:19], -v[25:26]
	v_add_f64 v[16:17], v[16:17], -v[23:24]
	s_delay_alu instid0(VALU_DEP_2) | instskip(NEXT) | instid1(VALU_DEP_3)
	v_cndmask_b32_e64 v19, 0, v19, s0
	v_cndmask_b32_e64 v18, 0, v18, s0
	global_store_b128 v[1:2], v[16:19], off
.LBB1317_5:
	s_or_b32 exec_lo, exec_lo, s1
	v_add_nc_u32_e32 v2, 16, v0
	s_delay_alu instid0(VALU_DEP_1) | instskip(SKIP_1) | instid1(VALU_DEP_1)
	v_cmp_le_i32_e64 s1, v21, v2
	v_cmp_gt_i32_e64 s0, s9, v2
	s_and_b32 s1, s1, s0
	s_delay_alu instid0(SALU_CYCLE_1)
	s_and_saveexec_b32 s6, s1
	s_cbranch_execz .LBB1317_7
; %bb.6:
	v_ashrrev_i32_e32 v3, 31, v2
	s_delay_alu instid0(VALU_DEP_1) | instskip(NEXT) | instid1(VALU_DEP_1)
	v_lshlrev_b64 v[16:17], 4, v[2:3]
	v_add_co_u32 v23, s1, v20, v16
	s_delay_alu instid0(VALU_DEP_1)
	v_add_co_ci_u32_e64 v24, s1, v22, v17, s1
	v_cmp_ne_u32_e64 s1, v21, v2
	global_load_b128 v[16:19], v[23:24], off
	s_waitcnt vmcnt(0)
	v_add_f64 v[14:15], v[14:15], -v[18:19]
	v_add_f64 v[12:13], v[12:13], -v[16:17]
	s_delay_alu instid0(VALU_DEP_2) | instskip(NEXT) | instid1(VALU_DEP_3)
	v_cndmask_b32_e64 v15, 0, v15, s1
	v_cndmask_b32_e64 v14, 0, v14, s1
	global_store_b128 v[23:24], v[12:15], off
.LBB1317_7:
	s_or_b32 exec_lo, exec_lo, s6
	v_add_nc_u32_e32 v3, 16, v21
	s_delay_alu instid0(VALU_DEP_1) | instskip(SKIP_3) | instid1(VALU_DEP_4)
	v_ashrrev_i32_e32 v1, 31, v3
	v_mul_lo_u32 v14, v3, s5
	v_mad_u64_u32 v[12:13], null, v3, s4, 0
	v_cmp_le_i32_e64 s1, v3, v0
	v_mul_lo_u32 v1, v1, s4
	s_delay_alu instid0(VALU_DEP_1) | instskip(NEXT) | instid1(VALU_DEP_1)
	v_add3_u32 v13, v13, v14, v1
	v_lshlrev_b64 v[12:13], 4, v[12:13]
	s_delay_alu instid0(VALU_DEP_1) | instskip(NEXT) | instid1(VALU_DEP_1)
	v_add_co_u32 v12, s2, s2, v12
	v_add_co_ci_u32_e64 v13, s2, s3, v13, s2
	s_and_b32 s2, s1, vcc_lo
	s_delay_alu instid0(SALU_CYCLE_1)
	s_and_saveexec_b32 s1, s2
	s_cbranch_execz .LBB1317_9
; %bb.8:
	v_ashrrev_i32_e32 v1, 31, v0
	s_delay_alu instid0(VALU_DEP_1) | instskip(NEXT) | instid1(VALU_DEP_1)
	v_lshlrev_b64 v[14:15], 4, v[0:1]
	v_add_co_u32 v18, vcc_lo, v12, v14
	s_delay_alu instid0(VALU_DEP_2)
	v_add_co_ci_u32_e32 v19, vcc_lo, v13, v15, vcc_lo
	v_cmp_ne_u32_e32 vcc_lo, v3, v0
	global_load_b128 v[14:17], v[18:19], off
	s_waitcnt vmcnt(0)
	v_add_f64 v[10:11], v[10:11], -v[16:17]
	v_add_f64 v[8:9], v[8:9], -v[14:15]
	s_delay_alu instid0(VALU_DEP_2)
	v_dual_cndmask_b32 v11, 0, v11 :: v_dual_cndmask_b32 v10, 0, v10
	global_store_b128 v[18:19], v[8:11], off
.LBB1317_9:
	s_or_b32 exec_lo, exec_lo, s1
	v_cmp_le_i32_e32 vcc_lo, v3, v2
	s_and_b32 s0, vcc_lo, s0
	s_delay_alu instid0(SALU_CYCLE_1)
	s_and_saveexec_b32 s1, s0
	s_cbranch_execz .LBB1317_11
; %bb.10:
	v_ashrrev_i32_e32 v3, 31, v2
	s_delay_alu instid0(VALU_DEP_1) | instskip(NEXT) | instid1(VALU_DEP_1)
	v_lshlrev_b64 v[1:2], 4, v[2:3]
	v_add_co_u32 v12, vcc_lo, v12, v1
	s_delay_alu instid0(VALU_DEP_2)
	v_add_co_ci_u32_e32 v13, vcc_lo, v13, v2, vcc_lo
	v_cmp_ne_u32_e32 vcc_lo, v21, v0
	global_load_b128 v[8:11], v[12:13], off
	s_waitcnt vmcnt(0)
	v_add_f64 v[3:4], v[4:5], -v[10:11]
	v_add_f64 v[1:2], v[6:7], -v[8:9]
	s_delay_alu instid0(VALU_DEP_2)
	v_dual_cndmask_b32 v4, 0, v4 :: v_dual_cndmask_b32 v3, 0, v3
	global_store_b128 v[12:13], v[1:4], off
.LBB1317_11:
	s_nop 0
	s_sendmsg sendmsg(MSG_DEALLOC_VGPRS)
	s_endpgm
	.section	.rodata,"a",@progbits
	.p2align	6, 0x0
	.amdhsa_kernel _ZL37rocblas_syrkx_herkx_restricted_kernelIl19rocblas_complex_numIdELi16ELi32ELi8ELi1ELin1ELb1ELc84ELc76EKS1_S1_EviT_PT9_S3_lS5_S3_lPT10_S3_li
		.amdhsa_group_segment_fixed_size 8192
		.amdhsa_private_segment_fixed_size 0
		.amdhsa_kernarg_size 92
		.amdhsa_user_sgpr_count 13
		.amdhsa_user_sgpr_dispatch_ptr 0
		.amdhsa_user_sgpr_queue_ptr 0
		.amdhsa_user_sgpr_kernarg_segment_ptr 1
		.amdhsa_user_sgpr_dispatch_id 0
		.amdhsa_user_sgpr_private_segment_size 0
		.amdhsa_wavefront_size32 1
		.amdhsa_uses_dynamic_stack 0
		.amdhsa_enable_private_segment 0
		.amdhsa_system_sgpr_workgroup_id_x 1
		.amdhsa_system_sgpr_workgroup_id_y 1
		.amdhsa_system_sgpr_workgroup_id_z 1
		.amdhsa_system_sgpr_workgroup_info 0
		.amdhsa_system_vgpr_workitem_id 1
		.amdhsa_next_free_vgpr 118
		.amdhsa_next_free_sgpr 32
		.amdhsa_reserve_vcc 1
		.amdhsa_float_round_mode_32 0
		.amdhsa_float_round_mode_16_64 0
		.amdhsa_float_denorm_mode_32 3
		.amdhsa_float_denorm_mode_16_64 3
		.amdhsa_dx10_clamp 1
		.amdhsa_ieee_mode 1
		.amdhsa_fp16_overflow 0
		.amdhsa_workgroup_processor_mode 1
		.amdhsa_memory_ordered 1
		.amdhsa_forward_progress 0
		.amdhsa_shared_vgpr_count 0
		.amdhsa_exception_fp_ieee_invalid_op 0
		.amdhsa_exception_fp_denorm_src 0
		.amdhsa_exception_fp_ieee_div_zero 0
		.amdhsa_exception_fp_ieee_overflow 0
		.amdhsa_exception_fp_ieee_underflow 0
		.amdhsa_exception_fp_ieee_inexact 0
		.amdhsa_exception_int_div_zero 0
	.end_amdhsa_kernel
	.section	.text._ZL37rocblas_syrkx_herkx_restricted_kernelIl19rocblas_complex_numIdELi16ELi32ELi8ELi1ELin1ELb1ELc84ELc76EKS1_S1_EviT_PT9_S3_lS5_S3_lPT10_S3_li,"axG",@progbits,_ZL37rocblas_syrkx_herkx_restricted_kernelIl19rocblas_complex_numIdELi16ELi32ELi8ELi1ELin1ELb1ELc84ELc76EKS1_S1_EviT_PT9_S3_lS5_S3_lPT10_S3_li,comdat
.Lfunc_end1317:
	.size	_ZL37rocblas_syrkx_herkx_restricted_kernelIl19rocblas_complex_numIdELi16ELi32ELi8ELi1ELin1ELb1ELc84ELc76EKS1_S1_EviT_PT9_S3_lS5_S3_lPT10_S3_li, .Lfunc_end1317-_ZL37rocblas_syrkx_herkx_restricted_kernelIl19rocblas_complex_numIdELi16ELi32ELi8ELi1ELin1ELb1ELc84ELc76EKS1_S1_EviT_PT9_S3_lS5_S3_lPT10_S3_li
                                        ; -- End function
	.section	.AMDGPU.csdata,"",@progbits
; Kernel info:
; codeLenInByte = 3172
; NumSgprs: 34
; NumVgprs: 118
; ScratchSize: 0
; MemoryBound: 0
; FloatMode: 240
; IeeeMode: 1
; LDSByteSize: 8192 bytes/workgroup (compile time only)
; SGPRBlocks: 4
; VGPRBlocks: 14
; NumSGPRsForWavesPerEU: 34
; NumVGPRsForWavesPerEU: 118
; Occupancy: 12
; WaveLimiterHint : 1
; COMPUTE_PGM_RSRC2:SCRATCH_EN: 0
; COMPUTE_PGM_RSRC2:USER_SGPR: 13
; COMPUTE_PGM_RSRC2:TRAP_HANDLER: 0
; COMPUTE_PGM_RSRC2:TGID_X_EN: 1
; COMPUTE_PGM_RSRC2:TGID_Y_EN: 1
; COMPUTE_PGM_RSRC2:TGID_Z_EN: 1
; COMPUTE_PGM_RSRC2:TIDIG_COMP_CNT: 1
	.section	.text._ZL37rocblas_syrkx_herkx_restricted_kernelIl19rocblas_complex_numIdELi16ELi32ELi8ELi1ELin1ELb1ELc67ELc76EKS1_S1_EviT_PT9_S3_lS5_S3_lPT10_S3_li,"axG",@progbits,_ZL37rocblas_syrkx_herkx_restricted_kernelIl19rocblas_complex_numIdELi16ELi32ELi8ELi1ELin1ELb1ELc67ELc76EKS1_S1_EviT_PT9_S3_lS5_S3_lPT10_S3_li,comdat
	.globl	_ZL37rocblas_syrkx_herkx_restricted_kernelIl19rocblas_complex_numIdELi16ELi32ELi8ELi1ELin1ELb1ELc67ELc76EKS1_S1_EviT_PT9_S3_lS5_S3_lPT10_S3_li ; -- Begin function _ZL37rocblas_syrkx_herkx_restricted_kernelIl19rocblas_complex_numIdELi16ELi32ELi8ELi1ELin1ELb1ELc67ELc76EKS1_S1_EviT_PT9_S3_lS5_S3_lPT10_S3_li
	.p2align	8
	.type	_ZL37rocblas_syrkx_herkx_restricted_kernelIl19rocblas_complex_numIdELi16ELi32ELi8ELi1ELin1ELb1ELc67ELc76EKS1_S1_EviT_PT9_S3_lS5_S3_lPT10_S3_li,@function
_ZL37rocblas_syrkx_herkx_restricted_kernelIl19rocblas_complex_numIdELi16ELi32ELi8ELi1ELin1ELb1ELc67ELc76EKS1_S1_EviT_PT9_S3_lS5_S3_lPT10_S3_li: ; @_ZL37rocblas_syrkx_herkx_restricted_kernelIl19rocblas_complex_numIdELi16ELi32ELi8ELi1ELin1ELb1ELc67ELc76EKS1_S1_EviT_PT9_S3_lS5_S3_lPT10_S3_li
; %bb.0:
	s_load_b512 s[16:31], s[0:1], 0x8
	v_mov_b32_e32 v16, 0
	v_dual_mov_b32 v17, 0 :: v_dual_and_b32 v20, 0x3ff, v0
	v_bfe_u32 v21, v0, 10, 10
	s_delay_alu instid0(VALU_DEP_3) | instskip(NEXT) | instid1(VALU_DEP_3)
	v_mov_b32_e32 v12, v16
	v_dual_mov_b32 v14, v16 :: v_dual_mov_b32 v15, v17
	v_dual_mov_b32 v19, v17 :: v_dual_mov_b32 v18, v16
	;; [unrolled: 1-line block ×6, first 2 shown]
	v_mov_b32_e32 v5, v17
	s_lshl_b32 s8, s13, 5
	s_waitcnt lgkmcnt(0)
	v_cmp_lt_i64_e64 s2, s[16:17], 1
	s_lshl_b32 s9, s14, 5
	s_delay_alu instid0(VALU_DEP_1)
	s_and_b32 vcc_lo, exec_lo, s2
	s_cbranch_vccnz .LBB1318_3
; %bb.1:
	v_lshl_add_u32 v2, v21, 4, v20
	v_dual_mov_b32 v1, 0 :: v_dual_and_b32 v0, 7, v20
	v_lshlrev_b32_e32 v22, 4, v20
	s_mul_i32 s3, s23, s15
	s_delay_alu instid0(VALU_DEP_3)
	v_and_b32_e32 v8, 31, v2
	v_lshrrev_b32_e32 v9, 3, v2
	v_lshrrev_b32_e32 v2, 5, v2
	v_mov_b32_e32 v3, v1
	v_lshlrev_b32_e32 v11, 4, v0
	v_add_nc_u32_e32 v6, s8, v8
	v_add_nc_u32_e32 v10, s9, v9
	s_mul_hi_u32 s4, s22, s15
	s_mul_i32 s2, s22, s15
	s_add_i32 s3, s4, s3
	v_ashrrev_i32_e32 v7, 31, v6
	v_ashrrev_i32_e32 v12, 31, v10
	v_mad_u64_u32 v[4:5], null, s20, v6, v[2:3]
	v_mul_lo_u32 v3, s21, v6
	s_delay_alu instid0(VALU_DEP_4)
	v_mul_lo_u32 v13, s20, v7
	v_mul_lo_u32 v14, v10, s27
	v_mad_u64_u32 v[6:7], null, v10, s26, v[0:1]
	v_mul_lo_u32 v0, v12, s26
	v_lshlrev_b32_e32 v1, 4, v8
	s_lshl_b64 s[2:3], s[2:3], 4
	s_mul_hi_u32 s5, s28, s15
	v_add3_u32 v5, v3, v5, v13
	s_add_u32 s4, s18, s2
	v_lshl_or_b32 v23, v2, 9, v1
	s_mul_i32 s2, s29, s15
	v_add3_u32 v7, v0, v7, v14
	v_lshlrev_b64 v[0:1], 4, v[4:5]
	s_addc_u32 s6, s19, s3
	s_add_i32 s3, s5, s2
	s_mul_i32 s2, s28, s15
	v_lshlrev_b64 v[2:3], 4, v[6:7]
	s_lshl_b64 s[2:3], s[2:3], 4
	v_add_co_u32 v0, vcc_lo, s4, v0
	s_add_u32 s2, s24, s2
	v_add_co_ci_u32_e32 v1, vcc_lo, s6, v1, vcc_lo
	v_mov_b32_e32 v4, 0
	v_lshl_or_b32 v8, v9, 7, v11
	s_addc_u32 s3, s25, s3
	v_add_co_u32 v2, vcc_lo, s2, v2
	v_mov_b32_e32 v5, 0
	v_add_co_ci_u32_e32 v3, vcc_lo, s3, v3, vcc_lo
	v_add_co_u32 v0, vcc_lo, v0, 8
	s_delay_alu instid0(VALU_DEP_3)
	v_dual_mov_b32 v9, v5 :: v_dual_add_nc_u32 v24, 0x1000, v8
	v_add_co_ci_u32_e32 v1, vcc_lo, 0, v1, vcc_lo
	v_mov_b32_e32 v11, v5
	v_add_co_u32 v2, vcc_lo, v2, 8
	v_dual_mov_b32 v10, v4 :: v_dual_mov_b32 v15, v5
	v_dual_mov_b32 v8, v4 :: v_dual_mov_b32 v13, v5
	;; [unrolled: 1-line block ×4, first 2 shown]
	v_mov_b32_e32 v17, v5
	v_lshl_add_u32 v25, v21, 7, 0x1000
	v_add_co_ci_u32_e32 v3, vcc_lo, 0, v3, vcc_lo
	v_mov_b32_e32 v6, v4
	v_mov_b32_e32 v18, v4
	;; [unrolled: 1-line block ×3, first 2 shown]
	s_mov_b64 s[2:3], 0
.LBB1318_2:                             ; =>This Inner Loop Header: Depth=1
	global_load_b128 v[26:29], v[0:1], off offset:-8
	global_load_b128 v[30:33], v[2:3], off offset:-8
	s_add_u32 s2, s2, 8
	v_add_co_u32 v0, vcc_lo, 0x80, v0
	s_addc_u32 s3, s3, 0
	v_add_co_ci_u32_e32 v1, vcc_lo, 0, v1, vcc_lo
	v_cmp_ge_u64_e64 s4, s[2:3], s[16:17]
	v_add_co_u32 v2, vcc_lo, 0x80, v2
	v_add_co_ci_u32_e32 v3, vcc_lo, 0, v3, vcc_lo
	s_delay_alu instid0(VALU_DEP_3)
	s_and_b32 vcc_lo, exec_lo, s4
	s_waitcnt vmcnt(1)
	v_xor_b32_e32 v29, 0x80000000, v29
	ds_store_b128 v23, v[26:29]
	s_waitcnt vmcnt(0)
	ds_store_b128 v24, v[30:33]
	s_waitcnt lgkmcnt(0)
	s_barrier
	buffer_gl0_inv
	ds_load_b128 v[26:29], v25
	ds_load_b128 v[30:33], v22
	ds_load_b128 v[34:37], v22 offset:256
	ds_load_b128 v[38:41], v25 offset:2048
	;; [unrolled: 1-line block ×13, first 2 shown]
	s_waitcnt lgkmcnt(13)
	v_mul_f64 v[86:87], v[28:29], v[32:33]
	v_mul_f64 v[88:89], v[26:27], v[32:33]
	s_waitcnt lgkmcnt(12)
	v_mul_f64 v[90:91], v[28:29], v[36:37]
	v_mul_f64 v[92:93], v[26:27], v[36:37]
	;; [unrolled: 3-line block ×3, first 2 shown]
	v_mul_f64 v[96:97], v[40:41], v[36:37]
	v_mul_f64 v[36:37], v[38:39], v[36:37]
	s_waitcnt lgkmcnt(8)
	v_mul_f64 v[98:99], v[44:45], v[52:53]
	v_mul_f64 v[100:101], v[42:43], v[52:53]
	s_waitcnt lgkmcnt(7)
	v_mul_f64 v[102:103], v[44:45], v[56:57]
	v_mul_f64 v[104:105], v[42:43], v[56:57]
	;; [unrolled: 1-line block ×6, first 2 shown]
	s_waitcnt lgkmcnt(3)
	v_mul_f64 v[112:113], v[58:59], v[72:73]
	s_waitcnt lgkmcnt(2)
	v_mul_f64 v[114:115], v[76:77], v[68:69]
	v_mul_f64 v[116:117], v[76:77], v[72:73]
	v_fma_f64 v[86:87], v[26:27], v[30:31], -v[86:87]
	v_fma_f64 v[88:89], v[28:29], v[30:31], v[88:89]
	v_fma_f64 v[90:91], v[26:27], v[34:35], -v[90:91]
	v_fma_f64 v[92:93], v[28:29], v[34:35], v[92:93]
	;; [unrolled: 2-line block ×4, first 2 shown]
	v_mul_f64 v[36:37], v[60:61], v[68:69]
	v_mul_f64 v[40:41], v[58:59], v[68:69]
	;; [unrolled: 1-line block ×5, first 2 shown]
	v_fma_f64 v[98:99], v[42:43], v[50:51], -v[98:99]
	v_fma_f64 v[100:101], v[44:45], v[50:51], v[100:101]
	v_fma_f64 v[42:43], v[42:43], v[54:55], -v[102:103]
	v_fma_f64 v[44:45], v[44:45], v[54:55], v[104:105]
	;; [unrolled: 2-line block ×4, first 2 shown]
	ds_load_b128 v[26:29], v22 offset:1792
	ds_load_b128 v[30:33], v22 offset:2048
	s_waitcnt lgkmcnt(2)
	v_mul_f64 v[56:57], v[64:65], v[84:85]
	v_add_f64 v[16:17], v[16:17], v[86:87]
	v_add_f64 v[18:19], v[18:19], v[88:89]
	;; [unrolled: 1-line block ×8, first 2 shown]
	v_mul_f64 v[86:87], v[62:63], v[84:85]
	s_waitcnt lgkmcnt(1)
	v_mul_f64 v[88:89], v[64:65], v[28:29]
	v_mul_f64 v[90:91], v[62:63], v[28:29]
	;; [unrolled: 1-line block ×6, first 2 shown]
	v_fma_f64 v[104:105], v[58:59], v[66:67], -v[36:37]
	v_fma_f64 v[106:107], v[60:61], v[66:67], v[40:41]
	v_fma_f64 v[58:59], v[58:59], v[70:71], -v[96:97]
	v_fma_f64 v[60:61], v[60:61], v[70:71], v[112:113]
	;; [unrolled: 2-line block ×4, first 2 shown]
	ds_load_b128 v[4:7], v22 offset:2304
	ds_load_b128 v[8:11], v25 offset:64
	v_fma_f64 v[56:57], v[62:63], v[82:83], -v[56:57]
	v_add_f64 v[72:73], v[16:17], v[98:99]
	v_add_f64 v[74:75], v[18:19], v[100:101]
	v_add_f64 v[42:43], v[12:13], v[42:43]
	v_add_f64 v[44:45], v[14:15], v[44:45]
	v_add_f64 v[52:53], v[52:53], v[102:103]
	v_add_f64 v[50:51], v[54:55], v[50:51]
	v_add_f64 v[46:47], v[38:39], v[46:47]
	v_add_f64 v[48:49], v[34:35], v[48:49]
	ds_load_b128 v[12:15], v25 offset:2112
	ds_load_b128 v[16:19], v25 offset:80
	;; [unrolled: 1-line block ×4, first 2 shown]
	s_waitcnt lgkmcnt(4)
	v_mul_f64 v[54:55], v[10:11], v[32:33]
	v_mul_f64 v[76:77], v[8:9], v[32:33]
	;; [unrolled: 1-line block ×4, first 2 shown]
	v_fma_f64 v[86:87], v[64:65], v[82:83], v[86:87]
	v_fma_f64 v[62:63], v[62:63], v[26:27], -v[88:89]
	v_fma_f64 v[64:65], v[64:65], v[26:27], v[90:91]
	v_fma_f64 v[88:89], v[78:79], v[82:83], -v[92:93]
	;; [unrolled: 2-line block ×3, first 2 shown]
	v_fma_f64 v[80:81], v[80:81], v[26:27], v[28:29]
	s_waitcnt lgkmcnt(3)
	v_mul_f64 v[102:103], v[14:15], v[32:33]
	v_mul_f64 v[32:33], v[12:13], v[32:33]
	;; [unrolled: 1-line block ×4, first 2 shown]
	s_waitcnt lgkmcnt(0)
	v_mul_f64 v[90:91], v[18:19], v[40:41]
	v_mul_f64 v[92:93], v[16:17], v[40:41]
	v_add_f64 v[72:73], v[72:73], v[104:105]
	v_add_f64 v[74:75], v[74:75], v[106:107]
	;; [unrolled: 1-line block ×8, first 2 shown]
	ds_load_b128 v[26:29], v22 offset:2816
	ds_load_b128 v[42:45], v22 offset:3072
	;; [unrolled: 1-line block ×4, first 2 shown]
	v_mul_f64 v[104:105], v[36:37], v[40:41]
	v_mul_f64 v[40:41], v[34:35], v[40:41]
	v_fma_f64 v[54:55], v[8:9], v[30:31], -v[54:55]
	v_fma_f64 v[76:77], v[10:11], v[30:31], v[76:77]
	v_fma_f64 v[98:99], v[8:9], v[4:5], -v[98:99]
	v_fma_f64 v[100:101], v[10:11], v[4:5], v[100:101]
	s_waitcnt lgkmcnt(3)
	v_mul_f64 v[94:95], v[18:19], v[28:29]
	v_mul_f64 v[96:97], v[16:17], v[28:29]
	v_mul_f64 v[106:107], v[36:37], v[28:29]
	v_mul_f64 v[110:111], v[34:35], v[28:29]
	v_fma_f64 v[102:103], v[12:13], v[30:31], -v[102:103]
	v_fma_f64 v[32:33], v[14:15], v[30:31], v[32:33]
	v_fma_f64 v[108:109], v[12:13], v[4:5], -v[108:109]
	v_fma_f64 v[112:113], v[14:15], v[4:5], v[6:7]
	ds_load_b128 v[4:7], v25 offset:2144
	ds_load_b128 v[8:11], v25 offset:112
	;; [unrolled: 1-line block ×4, first 2 shown]
	v_add_f64 v[56:57], v[72:73], v[56:57]
	v_add_f64 v[72:73], v[74:75], v[86:87]
	;; [unrolled: 1-line block ×8, first 2 shown]
	s_waitcnt lgkmcnt(4)
	v_mul_f64 v[70:71], v[52:53], v[44:45]
	v_mul_f64 v[74:75], v[50:51], v[44:45]
	;; [unrolled: 1-line block ×4, first 2 shown]
	s_waitcnt lgkmcnt(3)
	v_mul_f64 v[82:83], v[6:7], v[44:45]
	v_mul_f64 v[44:45], v[4:5], v[44:45]
	;; [unrolled: 1-line block ×4, first 2 shown]
	v_fma_f64 v[86:87], v[16:17], v[38:39], -v[90:91]
	v_fma_f64 v[88:89], v[18:19], v[38:39], v[92:93]
	v_fma_f64 v[90:91], v[16:17], v[26:27], -v[94:95]
	v_fma_f64 v[92:93], v[18:19], v[26:27], v[96:97]
	;; [unrolled: 2-line block ×4, first 2 shown]
	ds_load_b128 v[16:19], v22 offset:3840
	s_waitcnt lgkmcnt(0)
	s_barrier
	buffer_gl0_inv
	v_add_f64 v[36:37], v[56:57], v[54:55]
	v_add_f64 v[40:41], v[72:73], v[76:77]
	;; [unrolled: 1-line block ×8, first 2 shown]
	v_mul_f64 v[64:65], v[10:11], v[30:31]
	v_mul_f64 v[66:67], v[8:9], v[30:31]
	;; [unrolled: 1-line block ×4, first 2 shown]
	v_fma_f64 v[70:71], v[50:51], v[42:43], -v[70:71]
	v_mul_f64 v[68:69], v[10:11], v[18:19]
	v_mul_f64 v[72:73], v[8:9], v[18:19]
	;; [unrolled: 1-line block ×4, first 2 shown]
	v_fma_f64 v[74:75], v[52:53], v[42:43], v[74:75]
	v_fma_f64 v[50:51], v[50:51], v[46:47], -v[78:79]
	v_fma_f64 v[52:53], v[52:53], v[46:47], v[80:81]
	v_fma_f64 v[78:79], v[4:5], v[42:43], -v[82:83]
	;; [unrolled: 2-line block ×3, first 2 shown]
	v_fma_f64 v[6:7], v[6:7], v[46:47], v[48:49]
	v_add_f64 v[36:37], v[36:37], v[86:87]
	v_add_f64 v[40:41], v[40:41], v[88:89]
	;; [unrolled: 1-line block ×8, first 2 shown]
	v_fma_f64 v[38:39], v[8:9], v[28:29], -v[64:65]
	v_fma_f64 v[54:55], v[10:11], v[28:29], v[66:67]
	v_fma_f64 v[56:57], v[12:13], v[28:29], -v[76:77]
	v_fma_f64 v[28:29], v[14:15], v[28:29], v[30:31]
	;; [unrolled: 2-line block ×4, first 2 shown]
	v_add_f64 v[12:13], v[36:37], v[70:71]
	v_add_f64 v[14:15], v[40:41], v[74:75]
	;; [unrolled: 1-line block ×16, first 2 shown]
	s_cbranch_vccz .LBB1318_2
.LBB1318_3:
	s_load_b128 s[4:7], s[0:1], 0x48
	v_add_nc_u32_e32 v21, s9, v21
	s_load_b32 s9, s[0:1], 0x0
	s_delay_alu instid0(VALU_DEP_1) | instskip(SKIP_1) | instid1(VALU_DEP_1)
	v_ashrrev_i32_e32 v0, 31, v21
	s_waitcnt lgkmcnt(0)
	v_mul_lo_u32 v3, v0, s4
	v_mul_lo_u32 v22, v21, s5
	v_mad_u64_u32 v[1:2], null, v21, s4, 0
	s_mul_i32 s1, s15, s7
	s_mul_hi_u32 s3, s15, s6
	s_mul_i32 s2, s15, s6
	s_add_i32 s3, s3, s1
	v_add_nc_u32_e32 v0, s8, v20
	s_lshl_b64 s[2:3], s[2:3], 4
	s_delay_alu instid0(VALU_DEP_2)
	v_add3_u32 v2, v2, v22, v3
	s_add_u32 s2, s30, s2
	s_addc_u32 s3, s31, s3
	v_cmp_le_i32_e64 s0, v21, v0
	v_cmp_gt_i32_e32 vcc_lo, s9, v0
	v_lshlrev_b64 v[1:2], 4, v[1:2]
	s_delay_alu instid0(VALU_DEP_3) | instskip(NEXT) | instid1(VALU_DEP_1)
	s_and_b32 s0, s0, vcc_lo
	v_add_co_u32 v20, s1, s2, v1
	s_delay_alu instid0(VALU_DEP_1)
	v_add_co_ci_u32_e64 v22, s1, s3, v2, s1
	s_and_saveexec_b32 s1, s0
	s_cbranch_execz .LBB1318_5
; %bb.4:
	v_ashrrev_i32_e32 v1, 31, v0
	s_delay_alu instid0(VALU_DEP_1) | instskip(NEXT) | instid1(VALU_DEP_1)
	v_lshlrev_b64 v[1:2], 4, v[0:1]
	v_add_co_u32 v1, s0, v20, v1
	s_delay_alu instid0(VALU_DEP_1)
	v_add_co_ci_u32_e64 v2, s0, v22, v2, s0
	v_cmp_ne_u32_e64 s0, v21, v0
	global_load_b128 v[23:26], v[1:2], off
	s_waitcnt vmcnt(0)
	v_add_f64 v[18:19], v[18:19], -v[25:26]
	v_add_f64 v[16:17], v[16:17], -v[23:24]
	s_delay_alu instid0(VALU_DEP_2) | instskip(NEXT) | instid1(VALU_DEP_3)
	v_cndmask_b32_e64 v19, 0, v19, s0
	v_cndmask_b32_e64 v18, 0, v18, s0
	global_store_b128 v[1:2], v[16:19], off
.LBB1318_5:
	s_or_b32 exec_lo, exec_lo, s1
	v_add_nc_u32_e32 v2, 16, v0
	s_delay_alu instid0(VALU_DEP_1) | instskip(SKIP_1) | instid1(VALU_DEP_1)
	v_cmp_le_i32_e64 s1, v21, v2
	v_cmp_gt_i32_e64 s0, s9, v2
	s_and_b32 s1, s1, s0
	s_delay_alu instid0(SALU_CYCLE_1)
	s_and_saveexec_b32 s6, s1
	s_cbranch_execz .LBB1318_7
; %bb.6:
	v_ashrrev_i32_e32 v3, 31, v2
	s_delay_alu instid0(VALU_DEP_1) | instskip(NEXT) | instid1(VALU_DEP_1)
	v_lshlrev_b64 v[16:17], 4, v[2:3]
	v_add_co_u32 v23, s1, v20, v16
	s_delay_alu instid0(VALU_DEP_1)
	v_add_co_ci_u32_e64 v24, s1, v22, v17, s1
	v_cmp_ne_u32_e64 s1, v21, v2
	global_load_b128 v[16:19], v[23:24], off
	s_waitcnt vmcnt(0)
	v_add_f64 v[14:15], v[14:15], -v[18:19]
	v_add_f64 v[12:13], v[12:13], -v[16:17]
	s_delay_alu instid0(VALU_DEP_2) | instskip(NEXT) | instid1(VALU_DEP_3)
	v_cndmask_b32_e64 v15, 0, v15, s1
	v_cndmask_b32_e64 v14, 0, v14, s1
	global_store_b128 v[23:24], v[12:15], off
.LBB1318_7:
	s_or_b32 exec_lo, exec_lo, s6
	v_add_nc_u32_e32 v3, 16, v21
	s_delay_alu instid0(VALU_DEP_1) | instskip(SKIP_3) | instid1(VALU_DEP_4)
	v_ashrrev_i32_e32 v1, 31, v3
	v_mul_lo_u32 v14, v3, s5
	v_mad_u64_u32 v[12:13], null, v3, s4, 0
	v_cmp_le_i32_e64 s1, v3, v0
	v_mul_lo_u32 v1, v1, s4
	s_delay_alu instid0(VALU_DEP_1) | instskip(NEXT) | instid1(VALU_DEP_1)
	v_add3_u32 v13, v13, v14, v1
	v_lshlrev_b64 v[12:13], 4, v[12:13]
	s_delay_alu instid0(VALU_DEP_1) | instskip(NEXT) | instid1(VALU_DEP_1)
	v_add_co_u32 v12, s2, s2, v12
	v_add_co_ci_u32_e64 v13, s2, s3, v13, s2
	s_and_b32 s2, s1, vcc_lo
	s_delay_alu instid0(SALU_CYCLE_1)
	s_and_saveexec_b32 s1, s2
	s_cbranch_execz .LBB1318_9
; %bb.8:
	v_ashrrev_i32_e32 v1, 31, v0
	s_delay_alu instid0(VALU_DEP_1) | instskip(NEXT) | instid1(VALU_DEP_1)
	v_lshlrev_b64 v[14:15], 4, v[0:1]
	v_add_co_u32 v18, vcc_lo, v12, v14
	s_delay_alu instid0(VALU_DEP_2)
	v_add_co_ci_u32_e32 v19, vcc_lo, v13, v15, vcc_lo
	v_cmp_ne_u32_e32 vcc_lo, v3, v0
	global_load_b128 v[14:17], v[18:19], off
	s_waitcnt vmcnt(0)
	v_add_f64 v[10:11], v[10:11], -v[16:17]
	v_add_f64 v[8:9], v[8:9], -v[14:15]
	s_delay_alu instid0(VALU_DEP_2)
	v_dual_cndmask_b32 v11, 0, v11 :: v_dual_cndmask_b32 v10, 0, v10
	global_store_b128 v[18:19], v[8:11], off
.LBB1318_9:
	s_or_b32 exec_lo, exec_lo, s1
	v_cmp_le_i32_e32 vcc_lo, v3, v2
	s_and_b32 s0, vcc_lo, s0
	s_delay_alu instid0(SALU_CYCLE_1)
	s_and_saveexec_b32 s1, s0
	s_cbranch_execz .LBB1318_11
; %bb.10:
	v_ashrrev_i32_e32 v3, 31, v2
	s_delay_alu instid0(VALU_DEP_1) | instskip(NEXT) | instid1(VALU_DEP_1)
	v_lshlrev_b64 v[1:2], 4, v[2:3]
	v_add_co_u32 v12, vcc_lo, v12, v1
	s_delay_alu instid0(VALU_DEP_2)
	v_add_co_ci_u32_e32 v13, vcc_lo, v13, v2, vcc_lo
	v_cmp_ne_u32_e32 vcc_lo, v21, v0
	global_load_b128 v[8:11], v[12:13], off
	s_waitcnt vmcnt(0)
	v_add_f64 v[3:4], v[4:5], -v[10:11]
	v_add_f64 v[1:2], v[6:7], -v[8:9]
	s_delay_alu instid0(VALU_DEP_2)
	v_dual_cndmask_b32 v4, 0, v4 :: v_dual_cndmask_b32 v3, 0, v3
	global_store_b128 v[12:13], v[1:4], off
.LBB1318_11:
	s_nop 0
	s_sendmsg sendmsg(MSG_DEALLOC_VGPRS)
	s_endpgm
	.section	.rodata,"a",@progbits
	.p2align	6, 0x0
	.amdhsa_kernel _ZL37rocblas_syrkx_herkx_restricted_kernelIl19rocblas_complex_numIdELi16ELi32ELi8ELi1ELin1ELb1ELc67ELc76EKS1_S1_EviT_PT9_S3_lS5_S3_lPT10_S3_li
		.amdhsa_group_segment_fixed_size 8192
		.amdhsa_private_segment_fixed_size 0
		.amdhsa_kernarg_size 92
		.amdhsa_user_sgpr_count 13
		.amdhsa_user_sgpr_dispatch_ptr 0
		.amdhsa_user_sgpr_queue_ptr 0
		.amdhsa_user_sgpr_kernarg_segment_ptr 1
		.amdhsa_user_sgpr_dispatch_id 0
		.amdhsa_user_sgpr_private_segment_size 0
		.amdhsa_wavefront_size32 1
		.amdhsa_uses_dynamic_stack 0
		.amdhsa_enable_private_segment 0
		.amdhsa_system_sgpr_workgroup_id_x 1
		.amdhsa_system_sgpr_workgroup_id_y 1
		.amdhsa_system_sgpr_workgroup_id_z 1
		.amdhsa_system_sgpr_workgroup_info 0
		.amdhsa_system_vgpr_workitem_id 1
		.amdhsa_next_free_vgpr 118
		.amdhsa_next_free_sgpr 32
		.amdhsa_reserve_vcc 1
		.amdhsa_float_round_mode_32 0
		.amdhsa_float_round_mode_16_64 0
		.amdhsa_float_denorm_mode_32 3
		.amdhsa_float_denorm_mode_16_64 3
		.amdhsa_dx10_clamp 1
		.amdhsa_ieee_mode 1
		.amdhsa_fp16_overflow 0
		.amdhsa_workgroup_processor_mode 1
		.amdhsa_memory_ordered 1
		.amdhsa_forward_progress 0
		.amdhsa_shared_vgpr_count 0
		.amdhsa_exception_fp_ieee_invalid_op 0
		.amdhsa_exception_fp_denorm_src 0
		.amdhsa_exception_fp_ieee_div_zero 0
		.amdhsa_exception_fp_ieee_overflow 0
		.amdhsa_exception_fp_ieee_underflow 0
		.amdhsa_exception_fp_ieee_inexact 0
		.amdhsa_exception_int_div_zero 0
	.end_amdhsa_kernel
	.section	.text._ZL37rocblas_syrkx_herkx_restricted_kernelIl19rocblas_complex_numIdELi16ELi32ELi8ELi1ELin1ELb1ELc67ELc76EKS1_S1_EviT_PT9_S3_lS5_S3_lPT10_S3_li,"axG",@progbits,_ZL37rocblas_syrkx_herkx_restricted_kernelIl19rocblas_complex_numIdELi16ELi32ELi8ELi1ELin1ELb1ELc67ELc76EKS1_S1_EviT_PT9_S3_lS5_S3_lPT10_S3_li,comdat
.Lfunc_end1318:
	.size	_ZL37rocblas_syrkx_herkx_restricted_kernelIl19rocblas_complex_numIdELi16ELi32ELi8ELi1ELin1ELb1ELc67ELc76EKS1_S1_EviT_PT9_S3_lS5_S3_lPT10_S3_li, .Lfunc_end1318-_ZL37rocblas_syrkx_herkx_restricted_kernelIl19rocblas_complex_numIdELi16ELi32ELi8ELi1ELin1ELb1ELc67ELc76EKS1_S1_EviT_PT9_S3_lS5_S3_lPT10_S3_li
                                        ; -- End function
	.section	.AMDGPU.csdata,"",@progbits
; Kernel info:
; codeLenInByte = 3184
; NumSgprs: 34
; NumVgprs: 118
; ScratchSize: 0
; MemoryBound: 0
; FloatMode: 240
; IeeeMode: 1
; LDSByteSize: 8192 bytes/workgroup (compile time only)
; SGPRBlocks: 4
; VGPRBlocks: 14
; NumSGPRsForWavesPerEU: 34
; NumVGPRsForWavesPerEU: 118
; Occupancy: 12
; WaveLimiterHint : 1
; COMPUTE_PGM_RSRC2:SCRATCH_EN: 0
; COMPUTE_PGM_RSRC2:USER_SGPR: 13
; COMPUTE_PGM_RSRC2:TRAP_HANDLER: 0
; COMPUTE_PGM_RSRC2:TGID_X_EN: 1
; COMPUTE_PGM_RSRC2:TGID_Y_EN: 1
; COMPUTE_PGM_RSRC2:TGID_Z_EN: 1
; COMPUTE_PGM_RSRC2:TIDIG_COMP_CNT: 1
	.section	.text._ZL37rocblas_syrkx_herkx_restricted_kernelIl19rocblas_complex_numIdELi16ELi32ELi8ELi1ELin1ELb1ELc78ELc76EKS1_S1_EviT_PT9_S3_lS5_S3_lPT10_S3_li,"axG",@progbits,_ZL37rocblas_syrkx_herkx_restricted_kernelIl19rocblas_complex_numIdELi16ELi32ELi8ELi1ELin1ELb1ELc78ELc76EKS1_S1_EviT_PT9_S3_lS5_S3_lPT10_S3_li,comdat
	.globl	_ZL37rocblas_syrkx_herkx_restricted_kernelIl19rocblas_complex_numIdELi16ELi32ELi8ELi1ELin1ELb1ELc78ELc76EKS1_S1_EviT_PT9_S3_lS5_S3_lPT10_S3_li ; -- Begin function _ZL37rocblas_syrkx_herkx_restricted_kernelIl19rocblas_complex_numIdELi16ELi32ELi8ELi1ELin1ELb1ELc78ELc76EKS1_S1_EviT_PT9_S3_lS5_S3_lPT10_S3_li
	.p2align	8
	.type	_ZL37rocblas_syrkx_herkx_restricted_kernelIl19rocblas_complex_numIdELi16ELi32ELi8ELi1ELin1ELb1ELc78ELc76EKS1_S1_EviT_PT9_S3_lS5_S3_lPT10_S3_li,@function
_ZL37rocblas_syrkx_herkx_restricted_kernelIl19rocblas_complex_numIdELi16ELi32ELi8ELi1ELin1ELb1ELc78ELc76EKS1_S1_EviT_PT9_S3_lS5_S3_lPT10_S3_li: ; @_ZL37rocblas_syrkx_herkx_restricted_kernelIl19rocblas_complex_numIdELi16ELi32ELi8ELi1ELin1ELb1ELc78ELc76EKS1_S1_EviT_PT9_S3_lS5_S3_lPT10_S3_li
; %bb.0:
	s_load_b512 s[16:31], s[0:1], 0x8
	v_mov_b32_e32 v16, 0
	v_dual_mov_b32 v17, 0 :: v_dual_and_b32 v20, 0x3ff, v0
	v_bfe_u32 v21, v0, 10, 10
	s_delay_alu instid0(VALU_DEP_3) | instskip(NEXT) | instid1(VALU_DEP_3)
	v_mov_b32_e32 v12, v16
	v_dual_mov_b32 v14, v16 :: v_dual_mov_b32 v15, v17
	v_dual_mov_b32 v19, v17 :: v_dual_mov_b32 v18, v16
	;; [unrolled: 1-line block ×6, first 2 shown]
	v_mov_b32_e32 v5, v17
	s_lshl_b32 s8, s13, 5
	s_waitcnt lgkmcnt(0)
	v_cmp_lt_i64_e64 s2, s[16:17], 1
	s_lshl_b32 s9, s14, 5
	s_delay_alu instid0(VALU_DEP_1)
	s_and_b32 vcc_lo, exec_lo, s2
	s_cbranch_vccnz .LBB1319_3
; %bb.1:
	v_lshl_add_u32 v1, v21, 4, v20
	v_and_b32_e32 v10, 7, v20
	s_mul_i32 s3, s23, s15
	s_mul_hi_u32 s5, s22, s15
	s_mul_i32 s2, s22, s15
	v_dual_mov_b32 v4, 0 :: v_dual_and_b32 v9, 31, v1
	v_lshrrev_b32_e32 v11, 3, v1
	v_mov_b32_e32 v5, 0
	v_lshrrev_b32_e32 v12, 5, v1
	s_delay_alu instid0(VALU_DEP_4)
	v_add_nc_u32_e32 v0, s8, v9
	s_add_i32 s3, s5, s3
	v_add_nc_u32_e32 v2, s9, v11
	s_lshl_b64 s[2:3], s[2:3], 4
	s_mul_i32 s6, s29, s15
	v_ashrrev_i32_e32 v1, 31, v0
	s_mul_hi_u32 s7, s28, s15
	v_ashrrev_i32_e32 v3, 31, v2
	s_add_u32 s10, s18, s2
	s_mul_i32 s4, s28, s15
	v_mad_u64_u32 v[6:7], null, v12, s20, v[0:1]
	s_delay_alu instid0(VALU_DEP_2) | instskip(SKIP_4) | instid1(VALU_DEP_2)
	v_mad_u64_u32 v[0:1], null, v10, s26, v[2:3]
	s_addc_u32 s11, s19, s3
	s_add_i32 s5, s7, s6
	s_lshl_b64 s[2:3], s[20:21], 7
	s_lshl_b64 s[4:5], s[4:5], 4
	v_dual_mov_b32 v2, v7 :: v_dual_lshlrev_b32 v13, 4, v10
	s_add_u32 s4, s24, s4
	s_addc_u32 s5, s25, s5
	v_lshl_add_u32 v23, v21, 7, 0x1000
	s_delay_alu instid0(VALU_DEP_2)
	v_mad_u64_u32 v[7:8], null, v12, s21, v[2:3]
	v_mad_u64_u32 v[2:3], null, v10, s27, v[1:2]
	v_lshlrev_b32_e32 v22, 4, v20
	v_dual_mov_b32 v15, v5 :: v_dual_lshlrev_b32 v8, 4, v9
	v_lshl_or_b32 v9, v11, 7, v13
	v_dual_mov_b32 v11, v5 :: v_dual_mov_b32 v10, v4
	v_mov_b32_e32 v1, v2
	v_lshlrev_b64 v[2:3], 4, v[6:7]
	v_lshl_or_b32 v24, v12, 9, v8
	v_add_nc_u32_e32 v25, 0x1000, v9
	v_mov_b32_e32 v9, v5
	v_lshlrev_b64 v[0:1], 4, v[0:1]
	v_dual_mov_b32 v8, v4 :: v_dual_mov_b32 v13, v5
	v_add_co_u32 v2, vcc_lo, s10, v2
	v_add_co_ci_u32_e32 v3, vcc_lo, s11, v3, vcc_lo
	s_delay_alu instid0(VALU_DEP_4) | instskip(SKIP_1) | instid1(VALU_DEP_4)
	v_add_co_u32 v6, vcc_lo, s4, v0
	v_add_co_ci_u32_e32 v7, vcc_lo, s5, v1, vcc_lo
	v_add_co_u32 v0, vcc_lo, v2, 8
	s_delay_alu instid0(VALU_DEP_4) | instskip(NEXT) | instid1(VALU_DEP_4)
	v_add_co_ci_u32_e32 v1, vcc_lo, 0, v3, vcc_lo
	v_add_co_u32 v2, vcc_lo, v6, 8
	s_delay_alu instid0(VALU_DEP_4)
	v_add_co_ci_u32_e32 v3, vcc_lo, 0, v7, vcc_lo
	v_dual_mov_b32 v7, v5 :: v_dual_mov_b32 v14, v4
	v_dual_mov_b32 v19, v5 :: v_dual_mov_b32 v12, v4
	;; [unrolled: 1-line block ×3, first 2 shown]
	v_mov_b32_e32 v18, v4
	v_mov_b32_e32 v16, v4
	s_lshl_b64 s[4:5], s[26:27], 7
	s_mov_b64 s[6:7], 0
.LBB1319_2:                             ; =>This Inner Loop Header: Depth=1
	global_load_b128 v[26:29], v[2:3], off offset:-8
	global_load_b128 v[30:33], v[0:1], off offset:-8
	s_add_u32 s6, s6, 8
	v_add_co_u32 v0, vcc_lo, v0, s2
	s_addc_u32 s7, s7, 0
	v_add_co_ci_u32_e32 v1, vcc_lo, s3, v1, vcc_lo
	v_cmp_ge_u64_e64 s10, s[6:7], s[16:17]
	v_add_co_u32 v2, vcc_lo, v2, s4
	v_add_co_ci_u32_e32 v3, vcc_lo, s5, v3, vcc_lo
	s_delay_alu instid0(VALU_DEP_3)
	s_and_b32 vcc_lo, exec_lo, s10
	s_waitcnt vmcnt(1)
	v_xor_b32_e32 v29, 0x80000000, v29
	s_waitcnt vmcnt(0)
	ds_store_b128 v24, v[30:33]
	ds_store_b128 v25, v[26:29]
	s_waitcnt lgkmcnt(0)
	s_barrier
	buffer_gl0_inv
	ds_load_b128 v[26:29], v23
	ds_load_b128 v[30:33], v22
	ds_load_b128 v[34:37], v22 offset:256
	ds_load_b128 v[38:41], v23 offset:2048
	;; [unrolled: 1-line block ×13, first 2 shown]
	s_waitcnt lgkmcnt(13)
	v_mul_f64 v[86:87], v[28:29], v[32:33]
	v_mul_f64 v[88:89], v[26:27], v[32:33]
	s_waitcnt lgkmcnt(12)
	v_mul_f64 v[90:91], v[28:29], v[36:37]
	v_mul_f64 v[92:93], v[26:27], v[36:37]
	;; [unrolled: 3-line block ×3, first 2 shown]
	v_mul_f64 v[96:97], v[40:41], v[36:37]
	v_mul_f64 v[36:37], v[38:39], v[36:37]
	s_waitcnt lgkmcnt(8)
	v_mul_f64 v[98:99], v[44:45], v[52:53]
	v_mul_f64 v[100:101], v[42:43], v[52:53]
	s_waitcnt lgkmcnt(7)
	v_mul_f64 v[102:103], v[44:45], v[56:57]
	v_mul_f64 v[104:105], v[42:43], v[56:57]
	;; [unrolled: 1-line block ×6, first 2 shown]
	s_waitcnt lgkmcnt(3)
	v_mul_f64 v[112:113], v[58:59], v[72:73]
	s_waitcnt lgkmcnt(2)
	v_mul_f64 v[114:115], v[76:77], v[68:69]
	v_mul_f64 v[116:117], v[76:77], v[72:73]
	v_fma_f64 v[86:87], v[26:27], v[30:31], -v[86:87]
	v_fma_f64 v[88:89], v[28:29], v[30:31], v[88:89]
	v_fma_f64 v[90:91], v[26:27], v[34:35], -v[90:91]
	v_fma_f64 v[92:93], v[28:29], v[34:35], v[92:93]
	;; [unrolled: 2-line block ×4, first 2 shown]
	v_mul_f64 v[36:37], v[60:61], v[68:69]
	v_mul_f64 v[40:41], v[58:59], v[68:69]
	v_mul_f64 v[96:97], v[60:61], v[72:73]
	v_mul_f64 v[68:69], v[74:75], v[68:69]
	v_mul_f64 v[72:73], v[74:75], v[72:73]
	v_fma_f64 v[98:99], v[42:43], v[50:51], -v[98:99]
	v_fma_f64 v[100:101], v[44:45], v[50:51], v[100:101]
	v_fma_f64 v[42:43], v[42:43], v[54:55], -v[102:103]
	v_fma_f64 v[44:45], v[44:45], v[54:55], v[104:105]
	;; [unrolled: 2-line block ×4, first 2 shown]
	ds_load_b128 v[26:29], v22 offset:1792
	ds_load_b128 v[30:33], v22 offset:2048
	s_waitcnt lgkmcnt(2)
	v_mul_f64 v[56:57], v[64:65], v[84:85]
	v_add_f64 v[16:17], v[16:17], v[86:87]
	v_add_f64 v[18:19], v[18:19], v[88:89]
	;; [unrolled: 1-line block ×8, first 2 shown]
	v_mul_f64 v[86:87], v[62:63], v[84:85]
	s_waitcnt lgkmcnt(1)
	v_mul_f64 v[88:89], v[64:65], v[28:29]
	v_mul_f64 v[90:91], v[62:63], v[28:29]
	;; [unrolled: 1-line block ×6, first 2 shown]
	v_fma_f64 v[104:105], v[58:59], v[66:67], -v[36:37]
	v_fma_f64 v[106:107], v[60:61], v[66:67], v[40:41]
	v_fma_f64 v[58:59], v[58:59], v[70:71], -v[96:97]
	v_fma_f64 v[60:61], v[60:61], v[70:71], v[112:113]
	;; [unrolled: 2-line block ×4, first 2 shown]
	ds_load_b128 v[4:7], v22 offset:2304
	ds_load_b128 v[8:11], v23 offset:64
	v_fma_f64 v[56:57], v[62:63], v[82:83], -v[56:57]
	v_add_f64 v[72:73], v[16:17], v[98:99]
	v_add_f64 v[74:75], v[18:19], v[100:101]
	;; [unrolled: 1-line block ×8, first 2 shown]
	ds_load_b128 v[12:15], v23 offset:2112
	ds_load_b128 v[16:19], v23 offset:80
	;; [unrolled: 1-line block ×4, first 2 shown]
	s_waitcnt lgkmcnt(4)
	v_mul_f64 v[54:55], v[10:11], v[32:33]
	v_mul_f64 v[76:77], v[8:9], v[32:33]
	;; [unrolled: 1-line block ×4, first 2 shown]
	v_fma_f64 v[86:87], v[64:65], v[82:83], v[86:87]
	v_fma_f64 v[62:63], v[62:63], v[26:27], -v[88:89]
	v_fma_f64 v[64:65], v[64:65], v[26:27], v[90:91]
	v_fma_f64 v[88:89], v[78:79], v[82:83], -v[92:93]
	;; [unrolled: 2-line block ×3, first 2 shown]
	v_fma_f64 v[80:81], v[80:81], v[26:27], v[28:29]
	s_waitcnt lgkmcnt(3)
	v_mul_f64 v[102:103], v[14:15], v[32:33]
	v_mul_f64 v[32:33], v[12:13], v[32:33]
	;; [unrolled: 1-line block ×4, first 2 shown]
	s_waitcnt lgkmcnt(0)
	v_mul_f64 v[90:91], v[18:19], v[40:41]
	v_mul_f64 v[92:93], v[16:17], v[40:41]
	v_add_f64 v[72:73], v[72:73], v[104:105]
	v_add_f64 v[74:75], v[74:75], v[106:107]
	;; [unrolled: 1-line block ×8, first 2 shown]
	ds_load_b128 v[26:29], v22 offset:2816
	ds_load_b128 v[42:45], v22 offset:3072
	;; [unrolled: 1-line block ×4, first 2 shown]
	v_mul_f64 v[104:105], v[36:37], v[40:41]
	v_mul_f64 v[40:41], v[34:35], v[40:41]
	v_fma_f64 v[54:55], v[8:9], v[30:31], -v[54:55]
	v_fma_f64 v[76:77], v[10:11], v[30:31], v[76:77]
	v_fma_f64 v[98:99], v[8:9], v[4:5], -v[98:99]
	v_fma_f64 v[100:101], v[10:11], v[4:5], v[100:101]
	s_waitcnt lgkmcnt(3)
	v_mul_f64 v[94:95], v[18:19], v[28:29]
	v_mul_f64 v[96:97], v[16:17], v[28:29]
	;; [unrolled: 1-line block ×4, first 2 shown]
	v_fma_f64 v[102:103], v[12:13], v[30:31], -v[102:103]
	v_fma_f64 v[32:33], v[14:15], v[30:31], v[32:33]
	v_fma_f64 v[108:109], v[12:13], v[4:5], -v[108:109]
	v_fma_f64 v[112:113], v[14:15], v[4:5], v[6:7]
	ds_load_b128 v[4:7], v23 offset:2144
	ds_load_b128 v[8:11], v23 offset:112
	;; [unrolled: 1-line block ×4, first 2 shown]
	v_add_f64 v[56:57], v[72:73], v[56:57]
	v_add_f64 v[72:73], v[74:75], v[86:87]
	;; [unrolled: 1-line block ×8, first 2 shown]
	s_waitcnt lgkmcnt(4)
	v_mul_f64 v[70:71], v[52:53], v[44:45]
	v_mul_f64 v[74:75], v[50:51], v[44:45]
	;; [unrolled: 1-line block ×4, first 2 shown]
	s_waitcnt lgkmcnt(3)
	v_mul_f64 v[82:83], v[6:7], v[44:45]
	v_mul_f64 v[44:45], v[4:5], v[44:45]
	;; [unrolled: 1-line block ×4, first 2 shown]
	v_fma_f64 v[86:87], v[16:17], v[38:39], -v[90:91]
	v_fma_f64 v[88:89], v[18:19], v[38:39], v[92:93]
	v_fma_f64 v[90:91], v[16:17], v[26:27], -v[94:95]
	v_fma_f64 v[92:93], v[18:19], v[26:27], v[96:97]
	;; [unrolled: 2-line block ×4, first 2 shown]
	ds_load_b128 v[16:19], v22 offset:3840
	s_waitcnt lgkmcnt(0)
	s_barrier
	buffer_gl0_inv
	v_add_f64 v[36:37], v[56:57], v[54:55]
	v_add_f64 v[40:41], v[72:73], v[76:77]
	;; [unrolled: 1-line block ×8, first 2 shown]
	v_mul_f64 v[64:65], v[10:11], v[30:31]
	v_mul_f64 v[66:67], v[8:9], v[30:31]
	;; [unrolled: 1-line block ×4, first 2 shown]
	v_fma_f64 v[70:71], v[50:51], v[42:43], -v[70:71]
	v_mul_f64 v[68:69], v[10:11], v[18:19]
	v_mul_f64 v[72:73], v[8:9], v[18:19]
	;; [unrolled: 1-line block ×4, first 2 shown]
	v_fma_f64 v[74:75], v[52:53], v[42:43], v[74:75]
	v_fma_f64 v[50:51], v[50:51], v[46:47], -v[78:79]
	v_fma_f64 v[52:53], v[52:53], v[46:47], v[80:81]
	v_fma_f64 v[78:79], v[4:5], v[42:43], -v[82:83]
	;; [unrolled: 2-line block ×3, first 2 shown]
	v_fma_f64 v[6:7], v[6:7], v[46:47], v[48:49]
	v_add_f64 v[36:37], v[36:37], v[86:87]
	v_add_f64 v[40:41], v[40:41], v[88:89]
	;; [unrolled: 1-line block ×8, first 2 shown]
	v_fma_f64 v[38:39], v[8:9], v[28:29], -v[64:65]
	v_fma_f64 v[54:55], v[10:11], v[28:29], v[66:67]
	v_fma_f64 v[56:57], v[12:13], v[28:29], -v[76:77]
	v_fma_f64 v[28:29], v[14:15], v[28:29], v[30:31]
	;; [unrolled: 2-line block ×4, first 2 shown]
	v_add_f64 v[12:13], v[36:37], v[70:71]
	v_add_f64 v[14:15], v[40:41], v[74:75]
	v_add_f64 v[36:37], v[44:45], v[50:51]
	v_add_f64 v[40:41], v[46:47], v[52:53]
	v_add_f64 v[44:45], v[48:49], v[78:79]
	v_add_f64 v[32:33], v[32:33], v[42:43]
	v_add_f64 v[4:5], v[34:35], v[4:5]
	v_add_f64 v[26:27], v[26:27], v[6:7]
	v_add_f64 v[16:17], v[12:13], v[38:39]
	v_add_f64 v[18:19], v[14:15], v[54:55]
	v_add_f64 v[12:13], v[36:37], v[8:9]
	v_add_f64 v[14:15], v[40:41], v[10:11]
	v_add_f64 v[8:9], v[44:45], v[56:57]
	v_add_f64 v[10:11], v[32:33], v[28:29]
	v_add_f64 v[6:7], v[4:5], v[30:31]
	v_add_f64 v[4:5], v[26:27], v[58:59]
	s_cbranch_vccz .LBB1319_2
.LBB1319_3:
	s_load_b128 s[4:7], s[0:1], 0x48
	v_add_nc_u32_e32 v21, s9, v21
	s_load_b32 s9, s[0:1], 0x0
	s_delay_alu instid0(VALU_DEP_1) | instskip(SKIP_1) | instid1(VALU_DEP_1)
	v_ashrrev_i32_e32 v0, 31, v21
	s_waitcnt lgkmcnt(0)
	v_mul_lo_u32 v3, v0, s4
	v_mul_lo_u32 v22, v21, s5
	v_mad_u64_u32 v[1:2], null, v21, s4, 0
	s_mul_i32 s1, s15, s7
	s_mul_hi_u32 s3, s15, s6
	s_mul_i32 s2, s15, s6
	s_add_i32 s3, s3, s1
	v_add_nc_u32_e32 v0, s8, v20
	s_lshl_b64 s[2:3], s[2:3], 4
	s_delay_alu instid0(VALU_DEP_2)
	v_add3_u32 v2, v2, v22, v3
	s_add_u32 s2, s30, s2
	s_addc_u32 s3, s31, s3
	v_cmp_le_i32_e64 s0, v21, v0
	v_cmp_gt_i32_e32 vcc_lo, s9, v0
	v_lshlrev_b64 v[1:2], 4, v[1:2]
	s_delay_alu instid0(VALU_DEP_3) | instskip(NEXT) | instid1(VALU_DEP_1)
	s_and_b32 s0, s0, vcc_lo
	v_add_co_u32 v20, s1, s2, v1
	s_delay_alu instid0(VALU_DEP_1)
	v_add_co_ci_u32_e64 v22, s1, s3, v2, s1
	s_and_saveexec_b32 s1, s0
	s_cbranch_execz .LBB1319_5
; %bb.4:
	v_ashrrev_i32_e32 v1, 31, v0
	s_delay_alu instid0(VALU_DEP_1) | instskip(NEXT) | instid1(VALU_DEP_1)
	v_lshlrev_b64 v[1:2], 4, v[0:1]
	v_add_co_u32 v1, s0, v20, v1
	s_delay_alu instid0(VALU_DEP_1)
	v_add_co_ci_u32_e64 v2, s0, v22, v2, s0
	v_cmp_ne_u32_e64 s0, v21, v0
	global_load_b128 v[23:26], v[1:2], off
	s_waitcnt vmcnt(0)
	v_add_f64 v[18:19], v[18:19], -v[25:26]
	v_add_f64 v[16:17], v[16:17], -v[23:24]
	s_delay_alu instid0(VALU_DEP_2) | instskip(NEXT) | instid1(VALU_DEP_3)
	v_cndmask_b32_e64 v19, 0, v19, s0
	v_cndmask_b32_e64 v18, 0, v18, s0
	global_store_b128 v[1:2], v[16:19], off
.LBB1319_5:
	s_or_b32 exec_lo, exec_lo, s1
	v_add_nc_u32_e32 v2, 16, v0
	s_delay_alu instid0(VALU_DEP_1) | instskip(SKIP_1) | instid1(VALU_DEP_1)
	v_cmp_le_i32_e64 s1, v21, v2
	v_cmp_gt_i32_e64 s0, s9, v2
	s_and_b32 s1, s1, s0
	s_delay_alu instid0(SALU_CYCLE_1)
	s_and_saveexec_b32 s6, s1
	s_cbranch_execz .LBB1319_7
; %bb.6:
	v_ashrrev_i32_e32 v3, 31, v2
	s_delay_alu instid0(VALU_DEP_1) | instskip(NEXT) | instid1(VALU_DEP_1)
	v_lshlrev_b64 v[16:17], 4, v[2:3]
	v_add_co_u32 v23, s1, v20, v16
	s_delay_alu instid0(VALU_DEP_1)
	v_add_co_ci_u32_e64 v24, s1, v22, v17, s1
	v_cmp_ne_u32_e64 s1, v21, v2
	global_load_b128 v[16:19], v[23:24], off
	s_waitcnt vmcnt(0)
	v_add_f64 v[14:15], v[14:15], -v[18:19]
	v_add_f64 v[12:13], v[12:13], -v[16:17]
	s_delay_alu instid0(VALU_DEP_2) | instskip(NEXT) | instid1(VALU_DEP_3)
	v_cndmask_b32_e64 v15, 0, v15, s1
	v_cndmask_b32_e64 v14, 0, v14, s1
	global_store_b128 v[23:24], v[12:15], off
.LBB1319_7:
	s_or_b32 exec_lo, exec_lo, s6
	v_add_nc_u32_e32 v3, 16, v21
	s_delay_alu instid0(VALU_DEP_1) | instskip(SKIP_3) | instid1(VALU_DEP_4)
	v_ashrrev_i32_e32 v1, 31, v3
	v_mul_lo_u32 v14, v3, s5
	v_mad_u64_u32 v[12:13], null, v3, s4, 0
	v_cmp_le_i32_e64 s1, v3, v0
	v_mul_lo_u32 v1, v1, s4
	s_delay_alu instid0(VALU_DEP_1) | instskip(NEXT) | instid1(VALU_DEP_1)
	v_add3_u32 v13, v13, v14, v1
	v_lshlrev_b64 v[12:13], 4, v[12:13]
	s_delay_alu instid0(VALU_DEP_1) | instskip(NEXT) | instid1(VALU_DEP_1)
	v_add_co_u32 v12, s2, s2, v12
	v_add_co_ci_u32_e64 v13, s2, s3, v13, s2
	s_and_b32 s2, s1, vcc_lo
	s_delay_alu instid0(SALU_CYCLE_1)
	s_and_saveexec_b32 s1, s2
	s_cbranch_execz .LBB1319_9
; %bb.8:
	v_ashrrev_i32_e32 v1, 31, v0
	s_delay_alu instid0(VALU_DEP_1) | instskip(NEXT) | instid1(VALU_DEP_1)
	v_lshlrev_b64 v[14:15], 4, v[0:1]
	v_add_co_u32 v18, vcc_lo, v12, v14
	s_delay_alu instid0(VALU_DEP_2)
	v_add_co_ci_u32_e32 v19, vcc_lo, v13, v15, vcc_lo
	v_cmp_ne_u32_e32 vcc_lo, v3, v0
	global_load_b128 v[14:17], v[18:19], off
	s_waitcnt vmcnt(0)
	v_add_f64 v[10:11], v[10:11], -v[16:17]
	v_add_f64 v[8:9], v[8:9], -v[14:15]
	s_delay_alu instid0(VALU_DEP_2)
	v_dual_cndmask_b32 v11, 0, v11 :: v_dual_cndmask_b32 v10, 0, v10
	global_store_b128 v[18:19], v[8:11], off
.LBB1319_9:
	s_or_b32 exec_lo, exec_lo, s1
	v_cmp_le_i32_e32 vcc_lo, v3, v2
	s_and_b32 s0, vcc_lo, s0
	s_delay_alu instid0(SALU_CYCLE_1)
	s_and_saveexec_b32 s1, s0
	s_cbranch_execz .LBB1319_11
; %bb.10:
	v_ashrrev_i32_e32 v3, 31, v2
	s_delay_alu instid0(VALU_DEP_1) | instskip(NEXT) | instid1(VALU_DEP_1)
	v_lshlrev_b64 v[1:2], 4, v[2:3]
	v_add_co_u32 v12, vcc_lo, v12, v1
	s_delay_alu instid0(VALU_DEP_2)
	v_add_co_ci_u32_e32 v13, vcc_lo, v13, v2, vcc_lo
	v_cmp_ne_u32_e32 vcc_lo, v21, v0
	global_load_b128 v[8:11], v[12:13], off
	s_waitcnt vmcnt(0)
	v_add_f64 v[3:4], v[4:5], -v[10:11]
	v_add_f64 v[1:2], v[6:7], -v[8:9]
	s_delay_alu instid0(VALU_DEP_2)
	v_dual_cndmask_b32 v4, 0, v4 :: v_dual_cndmask_b32 v3, 0, v3
	global_store_b128 v[12:13], v[1:4], off
.LBB1319_11:
	s_nop 0
	s_sendmsg sendmsg(MSG_DEALLOC_VGPRS)
	s_endpgm
	.section	.rodata,"a",@progbits
	.p2align	6, 0x0
	.amdhsa_kernel _ZL37rocblas_syrkx_herkx_restricted_kernelIl19rocblas_complex_numIdELi16ELi32ELi8ELi1ELin1ELb1ELc78ELc76EKS1_S1_EviT_PT9_S3_lS5_S3_lPT10_S3_li
		.amdhsa_group_segment_fixed_size 8192
		.amdhsa_private_segment_fixed_size 0
		.amdhsa_kernarg_size 92
		.amdhsa_user_sgpr_count 13
		.amdhsa_user_sgpr_dispatch_ptr 0
		.amdhsa_user_sgpr_queue_ptr 0
		.amdhsa_user_sgpr_kernarg_segment_ptr 1
		.amdhsa_user_sgpr_dispatch_id 0
		.amdhsa_user_sgpr_private_segment_size 0
		.amdhsa_wavefront_size32 1
		.amdhsa_uses_dynamic_stack 0
		.amdhsa_enable_private_segment 0
		.amdhsa_system_sgpr_workgroup_id_x 1
		.amdhsa_system_sgpr_workgroup_id_y 1
		.amdhsa_system_sgpr_workgroup_id_z 1
		.amdhsa_system_sgpr_workgroup_info 0
		.amdhsa_system_vgpr_workitem_id 1
		.amdhsa_next_free_vgpr 118
		.amdhsa_next_free_sgpr 32
		.amdhsa_reserve_vcc 1
		.amdhsa_float_round_mode_32 0
		.amdhsa_float_round_mode_16_64 0
		.amdhsa_float_denorm_mode_32 3
		.amdhsa_float_denorm_mode_16_64 3
		.amdhsa_dx10_clamp 1
		.amdhsa_ieee_mode 1
		.amdhsa_fp16_overflow 0
		.amdhsa_workgroup_processor_mode 1
		.amdhsa_memory_ordered 1
		.amdhsa_forward_progress 0
		.amdhsa_shared_vgpr_count 0
		.amdhsa_exception_fp_ieee_invalid_op 0
		.amdhsa_exception_fp_denorm_src 0
		.amdhsa_exception_fp_ieee_div_zero 0
		.amdhsa_exception_fp_ieee_overflow 0
		.amdhsa_exception_fp_ieee_underflow 0
		.amdhsa_exception_fp_ieee_inexact 0
		.amdhsa_exception_int_div_zero 0
	.end_amdhsa_kernel
	.section	.text._ZL37rocblas_syrkx_herkx_restricted_kernelIl19rocblas_complex_numIdELi16ELi32ELi8ELi1ELin1ELb1ELc78ELc76EKS1_S1_EviT_PT9_S3_lS5_S3_lPT10_S3_li,"axG",@progbits,_ZL37rocblas_syrkx_herkx_restricted_kernelIl19rocblas_complex_numIdELi16ELi32ELi8ELi1ELin1ELb1ELc78ELc76EKS1_S1_EviT_PT9_S3_lS5_S3_lPT10_S3_li,comdat
.Lfunc_end1319:
	.size	_ZL37rocblas_syrkx_herkx_restricted_kernelIl19rocblas_complex_numIdELi16ELi32ELi8ELi1ELin1ELb1ELc78ELc76EKS1_S1_EviT_PT9_S3_lS5_S3_lPT10_S3_li, .Lfunc_end1319-_ZL37rocblas_syrkx_herkx_restricted_kernelIl19rocblas_complex_numIdELi16ELi32ELi8ELi1ELin1ELb1ELc78ELc76EKS1_S1_EviT_PT9_S3_lS5_S3_lPT10_S3_li
                                        ; -- End function
	.section	.AMDGPU.csdata,"",@progbits
; Kernel info:
; codeLenInByte = 3164
; NumSgprs: 34
; NumVgprs: 118
; ScratchSize: 0
; MemoryBound: 0
; FloatMode: 240
; IeeeMode: 1
; LDSByteSize: 8192 bytes/workgroup (compile time only)
; SGPRBlocks: 4
; VGPRBlocks: 14
; NumSGPRsForWavesPerEU: 34
; NumVGPRsForWavesPerEU: 118
; Occupancy: 12
; WaveLimiterHint : 1
; COMPUTE_PGM_RSRC2:SCRATCH_EN: 0
; COMPUTE_PGM_RSRC2:USER_SGPR: 13
; COMPUTE_PGM_RSRC2:TRAP_HANDLER: 0
; COMPUTE_PGM_RSRC2:TGID_X_EN: 1
; COMPUTE_PGM_RSRC2:TGID_Y_EN: 1
; COMPUTE_PGM_RSRC2:TGID_Z_EN: 1
; COMPUTE_PGM_RSRC2:TIDIG_COMP_CNT: 1
	.section	.text._ZL37rocblas_syrkx_herkx_restricted_kernelIl19rocblas_complex_numIdELi16ELi32ELi8ELi1ELin1ELb1ELc84ELc85EKS1_S1_EviT_PT9_S3_lS5_S3_lPT10_S3_li,"axG",@progbits,_ZL37rocblas_syrkx_herkx_restricted_kernelIl19rocblas_complex_numIdELi16ELi32ELi8ELi1ELin1ELb1ELc84ELc85EKS1_S1_EviT_PT9_S3_lS5_S3_lPT10_S3_li,comdat
	.globl	_ZL37rocblas_syrkx_herkx_restricted_kernelIl19rocblas_complex_numIdELi16ELi32ELi8ELi1ELin1ELb1ELc84ELc85EKS1_S1_EviT_PT9_S3_lS5_S3_lPT10_S3_li ; -- Begin function _ZL37rocblas_syrkx_herkx_restricted_kernelIl19rocblas_complex_numIdELi16ELi32ELi8ELi1ELin1ELb1ELc84ELc85EKS1_S1_EviT_PT9_S3_lS5_S3_lPT10_S3_li
	.p2align	8
	.type	_ZL37rocblas_syrkx_herkx_restricted_kernelIl19rocblas_complex_numIdELi16ELi32ELi8ELi1ELin1ELb1ELc84ELc85EKS1_S1_EviT_PT9_S3_lS5_S3_lPT10_S3_li,@function
_ZL37rocblas_syrkx_herkx_restricted_kernelIl19rocblas_complex_numIdELi16ELi32ELi8ELi1ELin1ELb1ELc84ELc85EKS1_S1_EviT_PT9_S3_lS5_S3_lPT10_S3_li: ; @_ZL37rocblas_syrkx_herkx_restricted_kernelIl19rocblas_complex_numIdELi16ELi32ELi8ELi1ELin1ELb1ELc84ELc85EKS1_S1_EviT_PT9_S3_lS5_S3_lPT10_S3_li
; %bb.0:
	s_load_b512 s[16:31], s[0:1], 0x8
	v_mov_b32_e32 v16, 0
	v_dual_mov_b32 v17, 0 :: v_dual_and_b32 v20, 0x3ff, v0
	v_bfe_u32 v21, v0, 10, 10
	s_delay_alu instid0(VALU_DEP_3) | instskip(NEXT) | instid1(VALU_DEP_3)
	v_mov_b32_e32 v12, v16
	v_dual_mov_b32 v14, v16 :: v_dual_mov_b32 v15, v17
	v_dual_mov_b32 v19, v17 :: v_dual_mov_b32 v18, v16
	;; [unrolled: 1-line block ×6, first 2 shown]
	v_mov_b32_e32 v5, v17
	s_lshl_b32 s8, s13, 5
	s_waitcnt lgkmcnt(0)
	v_cmp_lt_i64_e64 s2, s[16:17], 1
	s_lshl_b32 s9, s14, 5
	s_delay_alu instid0(VALU_DEP_1)
	s_and_b32 vcc_lo, exec_lo, s2
	s_cbranch_vccnz .LBB1320_3
; %bb.1:
	v_lshl_add_u32 v2, v21, 4, v20
	v_dual_mov_b32 v1, 0 :: v_dual_and_b32 v0, 7, v20
	v_lshlrev_b32_e32 v22, 4, v20
	s_mul_i32 s3, s23, s15
	s_delay_alu instid0(VALU_DEP_3)
	v_and_b32_e32 v8, 31, v2
	v_lshrrev_b32_e32 v9, 3, v2
	v_lshrrev_b32_e32 v2, 5, v2
	v_mov_b32_e32 v3, v1
	v_lshlrev_b32_e32 v11, 4, v0
	v_add_nc_u32_e32 v6, s8, v8
	v_add_nc_u32_e32 v10, s9, v9
	s_mul_hi_u32 s4, s22, s15
	s_mul_i32 s2, s22, s15
	s_add_i32 s3, s4, s3
	v_ashrrev_i32_e32 v7, 31, v6
	v_ashrrev_i32_e32 v12, 31, v10
	v_mad_u64_u32 v[4:5], null, s20, v6, v[2:3]
	v_mul_lo_u32 v3, s21, v6
	s_delay_alu instid0(VALU_DEP_4)
	v_mul_lo_u32 v13, s20, v7
	v_mul_lo_u32 v14, v10, s27
	v_mad_u64_u32 v[6:7], null, v10, s26, v[0:1]
	v_mul_lo_u32 v0, v12, s26
	v_lshlrev_b32_e32 v1, 4, v8
	s_lshl_b64 s[2:3], s[2:3], 4
	s_mul_hi_u32 s5, s28, s15
	v_add3_u32 v5, v3, v5, v13
	s_add_u32 s4, s18, s2
	v_lshl_or_b32 v23, v2, 9, v1
	s_mul_i32 s2, s29, s15
	v_add3_u32 v7, v0, v7, v14
	v_lshlrev_b64 v[0:1], 4, v[4:5]
	s_addc_u32 s6, s19, s3
	s_add_i32 s3, s5, s2
	s_mul_i32 s2, s28, s15
	v_lshlrev_b64 v[2:3], 4, v[6:7]
	s_lshl_b64 s[2:3], s[2:3], 4
	v_add_co_u32 v0, vcc_lo, s4, v0
	s_add_u32 s2, s24, s2
	v_add_co_ci_u32_e32 v1, vcc_lo, s6, v1, vcc_lo
	v_mov_b32_e32 v4, 0
	v_lshl_or_b32 v8, v9, 7, v11
	s_addc_u32 s3, s25, s3
	v_add_co_u32 v2, vcc_lo, s2, v2
	v_mov_b32_e32 v5, 0
	v_add_co_ci_u32_e32 v3, vcc_lo, s3, v3, vcc_lo
	v_add_co_u32 v0, vcc_lo, v0, 8
	s_delay_alu instid0(VALU_DEP_3)
	v_dual_mov_b32 v9, v5 :: v_dual_add_nc_u32 v24, 0x1000, v8
	v_add_co_ci_u32_e32 v1, vcc_lo, 0, v1, vcc_lo
	v_mov_b32_e32 v11, v5
	v_add_co_u32 v2, vcc_lo, v2, 8
	v_dual_mov_b32 v10, v4 :: v_dual_mov_b32 v15, v5
	v_dual_mov_b32 v8, v4 :: v_dual_mov_b32 v13, v5
	;; [unrolled: 1-line block ×4, first 2 shown]
	v_mov_b32_e32 v17, v5
	v_lshl_add_u32 v25, v21, 7, 0x1000
	v_add_co_ci_u32_e32 v3, vcc_lo, 0, v3, vcc_lo
	v_mov_b32_e32 v6, v4
	v_mov_b32_e32 v18, v4
	;; [unrolled: 1-line block ×3, first 2 shown]
	s_mov_b64 s[2:3], 0
.LBB1320_2:                             ; =>This Inner Loop Header: Depth=1
	global_load_b128 v[26:29], v[0:1], off offset:-8
	global_load_b128 v[30:33], v[2:3], off offset:-8
	s_add_u32 s2, s2, 8
	v_add_co_u32 v0, vcc_lo, 0x80, v0
	s_addc_u32 s3, s3, 0
	v_add_co_ci_u32_e32 v1, vcc_lo, 0, v1, vcc_lo
	v_cmp_ge_u64_e64 s4, s[2:3], s[16:17]
	v_add_co_u32 v2, vcc_lo, 0x80, v2
	v_add_co_ci_u32_e32 v3, vcc_lo, 0, v3, vcc_lo
	s_waitcnt vmcnt(1)
	ds_store_b128 v23, v[26:29]
	s_waitcnt vmcnt(0)
	ds_store_b128 v24, v[30:33]
	s_waitcnt lgkmcnt(0)
	s_barrier
	buffer_gl0_inv
	ds_load_b128 v[26:29], v25
	ds_load_b128 v[30:33], v22
	ds_load_b128 v[34:37], v22 offset:256
	ds_load_b128 v[38:41], v25 offset:2048
	;; [unrolled: 1-line block ×13, first 2 shown]
	s_and_b32 vcc_lo, exec_lo, s4
	s_waitcnt lgkmcnt(13)
	v_mul_f64 v[86:87], v[28:29], v[32:33]
	v_mul_f64 v[88:89], v[26:27], v[32:33]
	s_waitcnt lgkmcnt(12)
	v_mul_f64 v[90:91], v[28:29], v[36:37]
	v_mul_f64 v[92:93], v[26:27], v[36:37]
	;; [unrolled: 3-line block ×3, first 2 shown]
	v_mul_f64 v[96:97], v[40:41], v[36:37]
	v_mul_f64 v[36:37], v[38:39], v[36:37]
	s_waitcnt lgkmcnt(8)
	v_mul_f64 v[98:99], v[44:45], v[52:53]
	v_mul_f64 v[100:101], v[42:43], v[52:53]
	s_waitcnt lgkmcnt(7)
	v_mul_f64 v[102:103], v[44:45], v[56:57]
	v_mul_f64 v[104:105], v[42:43], v[56:57]
	;; [unrolled: 1-line block ×6, first 2 shown]
	s_waitcnt lgkmcnt(3)
	v_mul_f64 v[112:113], v[58:59], v[72:73]
	s_waitcnt lgkmcnt(2)
	v_mul_f64 v[114:115], v[76:77], v[68:69]
	v_mul_f64 v[116:117], v[76:77], v[72:73]
	v_fma_f64 v[86:87], v[26:27], v[30:31], -v[86:87]
	v_fma_f64 v[88:89], v[28:29], v[30:31], v[88:89]
	v_fma_f64 v[90:91], v[26:27], v[34:35], -v[90:91]
	v_fma_f64 v[92:93], v[28:29], v[34:35], v[92:93]
	;; [unrolled: 2-line block ×4, first 2 shown]
	v_mul_f64 v[36:37], v[60:61], v[68:69]
	v_mul_f64 v[40:41], v[58:59], v[68:69]
	;; [unrolled: 1-line block ×5, first 2 shown]
	v_fma_f64 v[98:99], v[42:43], v[50:51], -v[98:99]
	v_fma_f64 v[100:101], v[44:45], v[50:51], v[100:101]
	v_fma_f64 v[42:43], v[42:43], v[54:55], -v[102:103]
	v_fma_f64 v[44:45], v[44:45], v[54:55], v[104:105]
	;; [unrolled: 2-line block ×4, first 2 shown]
	ds_load_b128 v[26:29], v22 offset:1792
	ds_load_b128 v[30:33], v22 offset:2048
	s_waitcnt lgkmcnt(2)
	v_mul_f64 v[56:57], v[64:65], v[84:85]
	v_add_f64 v[16:17], v[16:17], v[86:87]
	v_add_f64 v[18:19], v[18:19], v[88:89]
	v_add_f64 v[12:13], v[12:13], v[90:91]
	v_add_f64 v[14:15], v[14:15], v[92:93]
	v_add_f64 v[52:53], v[8:9], v[94:95]
	v_add_f64 v[54:55], v[10:11], v[110:111]
	v_add_f64 v[38:39], v[6:7], v[38:39]
	v_add_f64 v[34:35], v[4:5], v[34:35]
	v_mul_f64 v[86:87], v[62:63], v[84:85]
	s_waitcnt lgkmcnt(1)
	v_mul_f64 v[88:89], v[64:65], v[28:29]
	v_mul_f64 v[90:91], v[62:63], v[28:29]
	;; [unrolled: 1-line block ×6, first 2 shown]
	v_fma_f64 v[104:105], v[58:59], v[66:67], -v[36:37]
	v_fma_f64 v[106:107], v[60:61], v[66:67], v[40:41]
	v_fma_f64 v[58:59], v[58:59], v[70:71], -v[96:97]
	v_fma_f64 v[60:61], v[60:61], v[70:71], v[112:113]
	;; [unrolled: 2-line block ×4, first 2 shown]
	ds_load_b128 v[4:7], v22 offset:2304
	ds_load_b128 v[8:11], v25 offset:64
	v_fma_f64 v[56:57], v[62:63], v[82:83], -v[56:57]
	v_add_f64 v[72:73], v[16:17], v[98:99]
	v_add_f64 v[74:75], v[18:19], v[100:101]
	;; [unrolled: 1-line block ×8, first 2 shown]
	ds_load_b128 v[12:15], v25 offset:2112
	ds_load_b128 v[16:19], v25 offset:80
	;; [unrolled: 1-line block ×4, first 2 shown]
	s_waitcnt lgkmcnt(4)
	v_mul_f64 v[54:55], v[10:11], v[32:33]
	v_mul_f64 v[76:77], v[8:9], v[32:33]
	;; [unrolled: 1-line block ×4, first 2 shown]
	v_fma_f64 v[86:87], v[64:65], v[82:83], v[86:87]
	v_fma_f64 v[62:63], v[62:63], v[26:27], -v[88:89]
	v_fma_f64 v[64:65], v[64:65], v[26:27], v[90:91]
	v_fma_f64 v[88:89], v[78:79], v[82:83], -v[92:93]
	;; [unrolled: 2-line block ×3, first 2 shown]
	v_fma_f64 v[80:81], v[80:81], v[26:27], v[28:29]
	s_waitcnt lgkmcnt(3)
	v_mul_f64 v[102:103], v[14:15], v[32:33]
	v_mul_f64 v[32:33], v[12:13], v[32:33]
	;; [unrolled: 1-line block ×4, first 2 shown]
	s_waitcnt lgkmcnt(0)
	v_mul_f64 v[90:91], v[18:19], v[40:41]
	v_mul_f64 v[92:93], v[16:17], v[40:41]
	v_add_f64 v[72:73], v[72:73], v[104:105]
	v_add_f64 v[74:75], v[74:75], v[106:107]
	;; [unrolled: 1-line block ×8, first 2 shown]
	ds_load_b128 v[26:29], v22 offset:2816
	ds_load_b128 v[42:45], v22 offset:3072
	;; [unrolled: 1-line block ×4, first 2 shown]
	v_mul_f64 v[104:105], v[36:37], v[40:41]
	v_mul_f64 v[40:41], v[34:35], v[40:41]
	v_fma_f64 v[54:55], v[8:9], v[30:31], -v[54:55]
	v_fma_f64 v[76:77], v[10:11], v[30:31], v[76:77]
	v_fma_f64 v[98:99], v[8:9], v[4:5], -v[98:99]
	v_fma_f64 v[100:101], v[10:11], v[4:5], v[100:101]
	s_waitcnt lgkmcnt(3)
	v_mul_f64 v[94:95], v[18:19], v[28:29]
	v_mul_f64 v[96:97], v[16:17], v[28:29]
	;; [unrolled: 1-line block ×4, first 2 shown]
	v_fma_f64 v[102:103], v[12:13], v[30:31], -v[102:103]
	v_fma_f64 v[32:33], v[14:15], v[30:31], v[32:33]
	v_fma_f64 v[108:109], v[12:13], v[4:5], -v[108:109]
	v_fma_f64 v[112:113], v[14:15], v[4:5], v[6:7]
	ds_load_b128 v[4:7], v25 offset:2144
	ds_load_b128 v[8:11], v25 offset:112
	;; [unrolled: 1-line block ×4, first 2 shown]
	v_add_f64 v[56:57], v[72:73], v[56:57]
	v_add_f64 v[72:73], v[74:75], v[86:87]
	;; [unrolled: 1-line block ×8, first 2 shown]
	s_waitcnt lgkmcnt(4)
	v_mul_f64 v[70:71], v[52:53], v[44:45]
	v_mul_f64 v[74:75], v[50:51], v[44:45]
	;; [unrolled: 1-line block ×4, first 2 shown]
	s_waitcnt lgkmcnt(3)
	v_mul_f64 v[82:83], v[6:7], v[44:45]
	v_mul_f64 v[44:45], v[4:5], v[44:45]
	;; [unrolled: 1-line block ×4, first 2 shown]
	v_fma_f64 v[86:87], v[16:17], v[38:39], -v[90:91]
	v_fma_f64 v[88:89], v[18:19], v[38:39], v[92:93]
	v_fma_f64 v[90:91], v[16:17], v[26:27], -v[94:95]
	v_fma_f64 v[92:93], v[18:19], v[26:27], v[96:97]
	v_fma_f64 v[94:95], v[34:35], v[38:39], -v[104:105]
	v_fma_f64 v[38:39], v[36:37], v[38:39], v[40:41]
	v_fma_f64 v[34:35], v[34:35], v[26:27], -v[106:107]
	v_fma_f64 v[26:27], v[36:37], v[26:27], v[110:111]
	ds_load_b128 v[16:19], v22 offset:3840
	s_waitcnt lgkmcnt(0)
	s_barrier
	buffer_gl0_inv
	v_add_f64 v[36:37], v[56:57], v[54:55]
	v_add_f64 v[40:41], v[72:73], v[76:77]
	;; [unrolled: 1-line block ×8, first 2 shown]
	v_mul_f64 v[64:65], v[10:11], v[30:31]
	v_mul_f64 v[66:67], v[8:9], v[30:31]
	;; [unrolled: 1-line block ×4, first 2 shown]
	v_fma_f64 v[70:71], v[50:51], v[42:43], -v[70:71]
	v_mul_f64 v[68:69], v[10:11], v[18:19]
	v_mul_f64 v[72:73], v[8:9], v[18:19]
	;; [unrolled: 1-line block ×4, first 2 shown]
	v_fma_f64 v[74:75], v[52:53], v[42:43], v[74:75]
	v_fma_f64 v[50:51], v[50:51], v[46:47], -v[78:79]
	v_fma_f64 v[52:53], v[52:53], v[46:47], v[80:81]
	v_fma_f64 v[78:79], v[4:5], v[42:43], -v[82:83]
	;; [unrolled: 2-line block ×3, first 2 shown]
	v_fma_f64 v[6:7], v[6:7], v[46:47], v[48:49]
	v_add_f64 v[36:37], v[36:37], v[86:87]
	v_add_f64 v[40:41], v[40:41], v[88:89]
	;; [unrolled: 1-line block ×8, first 2 shown]
	v_fma_f64 v[38:39], v[8:9], v[28:29], -v[64:65]
	v_fma_f64 v[54:55], v[10:11], v[28:29], v[66:67]
	v_fma_f64 v[56:57], v[12:13], v[28:29], -v[76:77]
	v_fma_f64 v[28:29], v[14:15], v[28:29], v[30:31]
	;; [unrolled: 2-line block ×4, first 2 shown]
	v_add_f64 v[12:13], v[36:37], v[70:71]
	v_add_f64 v[14:15], v[40:41], v[74:75]
	;; [unrolled: 1-line block ×16, first 2 shown]
	s_cbranch_vccz .LBB1320_2
.LBB1320_3:
	s_clause 0x1
	s_load_b128 s[4:7], s[0:1], 0x48
	s_load_b32 s2, s[0:1], 0x0
	v_add_nc_u32_e32 v21, s9, v21
	s_delay_alu instid0(VALU_DEP_1) | instskip(SKIP_1) | instid1(VALU_DEP_1)
	v_ashrrev_i32_e32 v0, 31, v21
	s_waitcnt lgkmcnt(0)
	v_mul_lo_u32 v3, v0, s4
	v_mul_lo_u32 v22, v21, s5
	v_mad_u64_u32 v[1:2], null, v21, s4, 0
	s_mul_i32 s1, s15, s7
	s_mul_hi_u32 s3, s15, s6
	s_mul_i32 s6, s15, s6
	s_add_i32 s7, s3, s1
	v_add_nc_u32_e32 v0, s8, v20
	s_lshl_b64 s[6:7], s[6:7], 4
	s_delay_alu instid0(VALU_DEP_2)
	v_add3_u32 v2, v2, v22, v3
	s_add_u32 s3, s30, s6
	v_cmp_gt_i32_e32 vcc_lo, s2, v21
	v_cmp_le_i32_e64 s0, v0, v21
	s_addc_u32 s6, s31, s7
	v_lshlrev_b64 v[1:2], 4, v[1:2]
	s_delay_alu instid0(VALU_DEP_2) | instskip(NEXT) | instid1(VALU_DEP_1)
	s_and_b32 s0, vcc_lo, s0
	v_add_co_u32 v20, s1, s3, v1
	s_delay_alu instid0(VALU_DEP_1)
	v_add_co_ci_u32_e64 v22, s1, s6, v2, s1
	s_and_saveexec_b32 s1, s0
	s_cbranch_execz .LBB1320_5
; %bb.4:
	v_ashrrev_i32_e32 v1, 31, v0
	s_delay_alu instid0(VALU_DEP_1) | instskip(NEXT) | instid1(VALU_DEP_1)
	v_lshlrev_b64 v[1:2], 4, v[0:1]
	v_add_co_u32 v1, s0, v20, v1
	s_delay_alu instid0(VALU_DEP_1)
	v_add_co_ci_u32_e64 v2, s0, v22, v2, s0
	v_cmp_ne_u32_e64 s0, v21, v0
	global_load_b128 v[23:26], v[1:2], off
	s_waitcnt vmcnt(0)
	v_add_f64 v[18:19], v[18:19], -v[25:26]
	v_add_f64 v[16:17], v[16:17], -v[23:24]
	s_delay_alu instid0(VALU_DEP_2) | instskip(NEXT) | instid1(VALU_DEP_3)
	v_cndmask_b32_e64 v19, 0, v19, s0
	v_cndmask_b32_e64 v18, 0, v18, s0
	global_store_b128 v[1:2], v[16:19], off
.LBB1320_5:
	s_or_b32 exec_lo, exec_lo, s1
	v_add_nc_u32_e32 v2, 16, v0
	s_delay_alu instid0(VALU_DEP_1) | instskip(NEXT) | instid1(VALU_DEP_1)
	v_cmp_le_i32_e64 s0, v2, v21
	s_and_b32 s1, vcc_lo, s0
	s_delay_alu instid0(SALU_CYCLE_1)
	s_and_saveexec_b32 s0, s1
	s_cbranch_execz .LBB1320_7
; %bb.6:
	v_ashrrev_i32_e32 v3, 31, v2
	s_delay_alu instid0(VALU_DEP_1) | instskip(NEXT) | instid1(VALU_DEP_1)
	v_lshlrev_b64 v[16:17], 4, v[2:3]
	v_add_co_u32 v23, vcc_lo, v20, v16
	s_delay_alu instid0(VALU_DEP_2)
	v_add_co_ci_u32_e32 v24, vcc_lo, v22, v17, vcc_lo
	v_cmp_ne_u32_e32 vcc_lo, v21, v2
	global_load_b128 v[16:19], v[23:24], off
	s_waitcnt vmcnt(0)
	v_add_f64 v[14:15], v[14:15], -v[18:19]
	v_add_f64 v[12:13], v[12:13], -v[16:17]
	s_delay_alu instid0(VALU_DEP_2)
	v_dual_cndmask_b32 v15, 0, v15 :: v_dual_cndmask_b32 v14, 0, v14
	global_store_b128 v[23:24], v[12:15], off
.LBB1320_7:
	s_or_b32 exec_lo, exec_lo, s0
	v_add_nc_u32_e32 v3, 16, v21
	s_delay_alu instid0(VALU_DEP_1) | instskip(SKIP_3) | instid1(VALU_DEP_4)
	v_ashrrev_i32_e32 v1, 31, v3
	v_mul_lo_u32 v14, v3, s5
	v_mad_u64_u32 v[12:13], null, v3, s4, 0
	v_cmp_gt_i32_e32 vcc_lo, s2, v3
	v_mul_lo_u32 v1, v1, s4
	v_cmp_le_i32_e64 s0, v0, v3
	s_delay_alu instid0(VALU_DEP_1) | instskip(NEXT) | instid1(VALU_DEP_2)
	s_and_b32 s0, vcc_lo, s0
	v_add3_u32 v13, v13, v14, v1
	s_delay_alu instid0(VALU_DEP_1) | instskip(NEXT) | instid1(VALU_DEP_1)
	v_lshlrev_b64 v[12:13], 4, v[12:13]
	v_add_co_u32 v12, s1, s3, v12
	s_delay_alu instid0(VALU_DEP_1)
	v_add_co_ci_u32_e64 v13, s1, s6, v13, s1
	s_and_saveexec_b32 s1, s0
	s_cbranch_execz .LBB1320_9
; %bb.8:
	v_ashrrev_i32_e32 v1, 31, v0
	s_delay_alu instid0(VALU_DEP_1) | instskip(NEXT) | instid1(VALU_DEP_1)
	v_lshlrev_b64 v[14:15], 4, v[0:1]
	v_add_co_u32 v18, s0, v12, v14
	s_delay_alu instid0(VALU_DEP_1)
	v_add_co_ci_u32_e64 v19, s0, v13, v15, s0
	v_cmp_ne_u32_e64 s0, v3, v0
	global_load_b128 v[14:17], v[18:19], off
	s_waitcnt vmcnt(0)
	v_add_f64 v[10:11], v[10:11], -v[16:17]
	v_add_f64 v[8:9], v[8:9], -v[14:15]
	s_delay_alu instid0(VALU_DEP_2) | instskip(NEXT) | instid1(VALU_DEP_3)
	v_cndmask_b32_e64 v11, 0, v11, s0
	v_cndmask_b32_e64 v10, 0, v10, s0
	global_store_b128 v[18:19], v[8:11], off
.LBB1320_9:
	s_or_b32 exec_lo, exec_lo, s1
	v_cmp_le_i32_e64 s0, v2, v3
	s_delay_alu instid0(VALU_DEP_1) | instskip(NEXT) | instid1(SALU_CYCLE_1)
	s_and_b32 s0, vcc_lo, s0
	s_and_saveexec_b32 s1, s0
	s_cbranch_execz .LBB1320_11
; %bb.10:
	v_ashrrev_i32_e32 v3, 31, v2
	s_delay_alu instid0(VALU_DEP_1) | instskip(NEXT) | instid1(VALU_DEP_1)
	v_lshlrev_b64 v[1:2], 4, v[2:3]
	v_add_co_u32 v12, vcc_lo, v12, v1
	s_delay_alu instid0(VALU_DEP_2)
	v_add_co_ci_u32_e32 v13, vcc_lo, v13, v2, vcc_lo
	v_cmp_ne_u32_e32 vcc_lo, v21, v0
	global_load_b128 v[8:11], v[12:13], off
	s_waitcnt vmcnt(0)
	v_add_f64 v[3:4], v[4:5], -v[10:11]
	v_add_f64 v[1:2], v[6:7], -v[8:9]
	s_delay_alu instid0(VALU_DEP_2)
	v_dual_cndmask_b32 v4, 0, v4 :: v_dual_cndmask_b32 v3, 0, v3
	global_store_b128 v[12:13], v[1:4], off
.LBB1320_11:
	s_nop 0
	s_sendmsg sendmsg(MSG_DEALLOC_VGPRS)
	s_endpgm
	.section	.rodata,"a",@progbits
	.p2align	6, 0x0
	.amdhsa_kernel _ZL37rocblas_syrkx_herkx_restricted_kernelIl19rocblas_complex_numIdELi16ELi32ELi8ELi1ELin1ELb1ELc84ELc85EKS1_S1_EviT_PT9_S3_lS5_S3_lPT10_S3_li
		.amdhsa_group_segment_fixed_size 8192
		.amdhsa_private_segment_fixed_size 0
		.amdhsa_kernarg_size 92
		.amdhsa_user_sgpr_count 13
		.amdhsa_user_sgpr_dispatch_ptr 0
		.amdhsa_user_sgpr_queue_ptr 0
		.amdhsa_user_sgpr_kernarg_segment_ptr 1
		.amdhsa_user_sgpr_dispatch_id 0
		.amdhsa_user_sgpr_private_segment_size 0
		.amdhsa_wavefront_size32 1
		.amdhsa_uses_dynamic_stack 0
		.amdhsa_enable_private_segment 0
		.amdhsa_system_sgpr_workgroup_id_x 1
		.amdhsa_system_sgpr_workgroup_id_y 1
		.amdhsa_system_sgpr_workgroup_id_z 1
		.amdhsa_system_sgpr_workgroup_info 0
		.amdhsa_system_vgpr_workitem_id 1
		.amdhsa_next_free_vgpr 118
		.amdhsa_next_free_sgpr 32
		.amdhsa_reserve_vcc 1
		.amdhsa_float_round_mode_32 0
		.amdhsa_float_round_mode_16_64 0
		.amdhsa_float_denorm_mode_32 3
		.amdhsa_float_denorm_mode_16_64 3
		.amdhsa_dx10_clamp 1
		.amdhsa_ieee_mode 1
		.amdhsa_fp16_overflow 0
		.amdhsa_workgroup_processor_mode 1
		.amdhsa_memory_ordered 1
		.amdhsa_forward_progress 0
		.amdhsa_shared_vgpr_count 0
		.amdhsa_exception_fp_ieee_invalid_op 0
		.amdhsa_exception_fp_denorm_src 0
		.amdhsa_exception_fp_ieee_div_zero 0
		.amdhsa_exception_fp_ieee_overflow 0
		.amdhsa_exception_fp_ieee_underflow 0
		.amdhsa_exception_fp_ieee_inexact 0
		.amdhsa_exception_int_div_zero 0
	.end_amdhsa_kernel
	.section	.text._ZL37rocblas_syrkx_herkx_restricted_kernelIl19rocblas_complex_numIdELi16ELi32ELi8ELi1ELin1ELb1ELc84ELc85EKS1_S1_EviT_PT9_S3_lS5_S3_lPT10_S3_li,"axG",@progbits,_ZL37rocblas_syrkx_herkx_restricted_kernelIl19rocblas_complex_numIdELi16ELi32ELi8ELi1ELin1ELb1ELc84ELc85EKS1_S1_EviT_PT9_S3_lS5_S3_lPT10_S3_li,comdat
.Lfunc_end1320:
	.size	_ZL37rocblas_syrkx_herkx_restricted_kernelIl19rocblas_complex_numIdELi16ELi32ELi8ELi1ELin1ELb1ELc84ELc85EKS1_S1_EviT_PT9_S3_lS5_S3_lPT10_S3_li, .Lfunc_end1320-_ZL37rocblas_syrkx_herkx_restricted_kernelIl19rocblas_complex_numIdELi16ELi32ELi8ELi1ELin1ELb1ELc84ELc85EKS1_S1_EviT_PT9_S3_lS5_S3_lPT10_S3_li
                                        ; -- End function
	.section	.AMDGPU.csdata,"",@progbits
; Kernel info:
; codeLenInByte = 3176
; NumSgprs: 34
; NumVgprs: 118
; ScratchSize: 0
; MemoryBound: 0
; FloatMode: 240
; IeeeMode: 1
; LDSByteSize: 8192 bytes/workgroup (compile time only)
; SGPRBlocks: 4
; VGPRBlocks: 14
; NumSGPRsForWavesPerEU: 34
; NumVGPRsForWavesPerEU: 118
; Occupancy: 12
; WaveLimiterHint : 1
; COMPUTE_PGM_RSRC2:SCRATCH_EN: 0
; COMPUTE_PGM_RSRC2:USER_SGPR: 13
; COMPUTE_PGM_RSRC2:TRAP_HANDLER: 0
; COMPUTE_PGM_RSRC2:TGID_X_EN: 1
; COMPUTE_PGM_RSRC2:TGID_Y_EN: 1
; COMPUTE_PGM_RSRC2:TGID_Z_EN: 1
; COMPUTE_PGM_RSRC2:TIDIG_COMP_CNT: 1
	.section	.text._ZL37rocblas_syrkx_herkx_restricted_kernelIl19rocblas_complex_numIdELi16ELi32ELi8ELi1ELin1ELb1ELc67ELc85EKS1_S1_EviT_PT9_S3_lS5_S3_lPT10_S3_li,"axG",@progbits,_ZL37rocblas_syrkx_herkx_restricted_kernelIl19rocblas_complex_numIdELi16ELi32ELi8ELi1ELin1ELb1ELc67ELc85EKS1_S1_EviT_PT9_S3_lS5_S3_lPT10_S3_li,comdat
	.globl	_ZL37rocblas_syrkx_herkx_restricted_kernelIl19rocblas_complex_numIdELi16ELi32ELi8ELi1ELin1ELb1ELc67ELc85EKS1_S1_EviT_PT9_S3_lS5_S3_lPT10_S3_li ; -- Begin function _ZL37rocblas_syrkx_herkx_restricted_kernelIl19rocblas_complex_numIdELi16ELi32ELi8ELi1ELin1ELb1ELc67ELc85EKS1_S1_EviT_PT9_S3_lS5_S3_lPT10_S3_li
	.p2align	8
	.type	_ZL37rocblas_syrkx_herkx_restricted_kernelIl19rocblas_complex_numIdELi16ELi32ELi8ELi1ELin1ELb1ELc67ELc85EKS1_S1_EviT_PT9_S3_lS5_S3_lPT10_S3_li,@function
_ZL37rocblas_syrkx_herkx_restricted_kernelIl19rocblas_complex_numIdELi16ELi32ELi8ELi1ELin1ELb1ELc67ELc85EKS1_S1_EviT_PT9_S3_lS5_S3_lPT10_S3_li: ; @_ZL37rocblas_syrkx_herkx_restricted_kernelIl19rocblas_complex_numIdELi16ELi32ELi8ELi1ELin1ELb1ELc67ELc85EKS1_S1_EviT_PT9_S3_lS5_S3_lPT10_S3_li
; %bb.0:
	s_load_b512 s[16:31], s[0:1], 0x8
	v_mov_b32_e32 v16, 0
	v_dual_mov_b32 v17, 0 :: v_dual_and_b32 v20, 0x3ff, v0
	v_bfe_u32 v21, v0, 10, 10
	s_delay_alu instid0(VALU_DEP_3) | instskip(NEXT) | instid1(VALU_DEP_3)
	v_mov_b32_e32 v12, v16
	v_dual_mov_b32 v14, v16 :: v_dual_mov_b32 v15, v17
	v_dual_mov_b32 v19, v17 :: v_dual_mov_b32 v18, v16
	;; [unrolled: 1-line block ×6, first 2 shown]
	v_mov_b32_e32 v5, v17
	s_lshl_b32 s8, s13, 5
	s_waitcnt lgkmcnt(0)
	v_cmp_lt_i64_e64 s2, s[16:17], 1
	s_lshl_b32 s9, s14, 5
	s_delay_alu instid0(VALU_DEP_1)
	s_and_b32 vcc_lo, exec_lo, s2
	s_cbranch_vccnz .LBB1321_3
; %bb.1:
	v_lshl_add_u32 v2, v21, 4, v20
	v_dual_mov_b32 v1, 0 :: v_dual_and_b32 v0, 7, v20
	v_lshlrev_b32_e32 v22, 4, v20
	s_mul_i32 s3, s23, s15
	s_delay_alu instid0(VALU_DEP_3)
	v_and_b32_e32 v8, 31, v2
	v_lshrrev_b32_e32 v9, 3, v2
	v_lshrrev_b32_e32 v2, 5, v2
	v_mov_b32_e32 v3, v1
	v_lshlrev_b32_e32 v11, 4, v0
	v_add_nc_u32_e32 v6, s8, v8
	v_add_nc_u32_e32 v10, s9, v9
	s_mul_hi_u32 s4, s22, s15
	s_mul_i32 s2, s22, s15
	s_add_i32 s3, s4, s3
	v_ashrrev_i32_e32 v7, 31, v6
	v_ashrrev_i32_e32 v12, 31, v10
	v_mad_u64_u32 v[4:5], null, s20, v6, v[2:3]
	v_mul_lo_u32 v3, s21, v6
	s_delay_alu instid0(VALU_DEP_4)
	v_mul_lo_u32 v13, s20, v7
	v_mul_lo_u32 v14, v10, s27
	v_mad_u64_u32 v[6:7], null, v10, s26, v[0:1]
	v_mul_lo_u32 v0, v12, s26
	v_lshlrev_b32_e32 v1, 4, v8
	s_lshl_b64 s[2:3], s[2:3], 4
	s_mul_hi_u32 s5, s28, s15
	v_add3_u32 v5, v3, v5, v13
	s_add_u32 s4, s18, s2
	v_lshl_or_b32 v23, v2, 9, v1
	s_mul_i32 s2, s29, s15
	v_add3_u32 v7, v0, v7, v14
	v_lshlrev_b64 v[0:1], 4, v[4:5]
	s_addc_u32 s6, s19, s3
	s_add_i32 s3, s5, s2
	s_mul_i32 s2, s28, s15
	v_lshlrev_b64 v[2:3], 4, v[6:7]
	s_lshl_b64 s[2:3], s[2:3], 4
	v_add_co_u32 v0, vcc_lo, s4, v0
	s_add_u32 s2, s24, s2
	v_add_co_ci_u32_e32 v1, vcc_lo, s6, v1, vcc_lo
	v_mov_b32_e32 v4, 0
	v_lshl_or_b32 v8, v9, 7, v11
	s_addc_u32 s3, s25, s3
	v_add_co_u32 v2, vcc_lo, s2, v2
	v_mov_b32_e32 v5, 0
	v_add_co_ci_u32_e32 v3, vcc_lo, s3, v3, vcc_lo
	v_add_co_u32 v0, vcc_lo, v0, 8
	s_delay_alu instid0(VALU_DEP_3)
	v_dual_mov_b32 v9, v5 :: v_dual_add_nc_u32 v24, 0x1000, v8
	v_add_co_ci_u32_e32 v1, vcc_lo, 0, v1, vcc_lo
	v_mov_b32_e32 v11, v5
	v_add_co_u32 v2, vcc_lo, v2, 8
	v_dual_mov_b32 v10, v4 :: v_dual_mov_b32 v15, v5
	v_dual_mov_b32 v8, v4 :: v_dual_mov_b32 v13, v5
	;; [unrolled: 1-line block ×4, first 2 shown]
	v_mov_b32_e32 v17, v5
	v_lshl_add_u32 v25, v21, 7, 0x1000
	v_add_co_ci_u32_e32 v3, vcc_lo, 0, v3, vcc_lo
	v_mov_b32_e32 v6, v4
	v_mov_b32_e32 v18, v4
	;; [unrolled: 1-line block ×3, first 2 shown]
	s_mov_b64 s[2:3], 0
.LBB1321_2:                             ; =>This Inner Loop Header: Depth=1
	global_load_b128 v[26:29], v[0:1], off offset:-8
	global_load_b128 v[30:33], v[2:3], off offset:-8
	s_add_u32 s2, s2, 8
	v_add_co_u32 v0, vcc_lo, 0x80, v0
	s_addc_u32 s3, s3, 0
	v_add_co_ci_u32_e32 v1, vcc_lo, 0, v1, vcc_lo
	v_cmp_ge_u64_e64 s4, s[2:3], s[16:17]
	v_add_co_u32 v2, vcc_lo, 0x80, v2
	v_add_co_ci_u32_e32 v3, vcc_lo, 0, v3, vcc_lo
	s_delay_alu instid0(VALU_DEP_3)
	s_and_b32 vcc_lo, exec_lo, s4
	s_waitcnt vmcnt(1)
	v_xor_b32_e32 v29, 0x80000000, v29
	ds_store_b128 v23, v[26:29]
	s_waitcnt vmcnt(0)
	ds_store_b128 v24, v[30:33]
	s_waitcnt lgkmcnt(0)
	s_barrier
	buffer_gl0_inv
	ds_load_b128 v[26:29], v25
	ds_load_b128 v[30:33], v22
	ds_load_b128 v[34:37], v22 offset:256
	ds_load_b128 v[38:41], v25 offset:2048
	;; [unrolled: 1-line block ×13, first 2 shown]
	s_waitcnt lgkmcnt(13)
	v_mul_f64 v[86:87], v[28:29], v[32:33]
	v_mul_f64 v[88:89], v[26:27], v[32:33]
	s_waitcnt lgkmcnt(12)
	v_mul_f64 v[90:91], v[28:29], v[36:37]
	v_mul_f64 v[92:93], v[26:27], v[36:37]
	s_waitcnt lgkmcnt(11)
	v_mul_f64 v[94:95], v[40:41], v[32:33]
	v_mul_f64 v[32:33], v[38:39], v[32:33]
	v_mul_f64 v[96:97], v[40:41], v[36:37]
	v_mul_f64 v[36:37], v[38:39], v[36:37]
	s_waitcnt lgkmcnt(8)
	v_mul_f64 v[98:99], v[44:45], v[52:53]
	v_mul_f64 v[100:101], v[42:43], v[52:53]
	s_waitcnt lgkmcnt(7)
	v_mul_f64 v[102:103], v[44:45], v[56:57]
	v_mul_f64 v[104:105], v[42:43], v[56:57]
	;; [unrolled: 1-line block ×6, first 2 shown]
	s_waitcnt lgkmcnt(3)
	v_mul_f64 v[112:113], v[58:59], v[72:73]
	s_waitcnt lgkmcnt(2)
	v_mul_f64 v[114:115], v[76:77], v[68:69]
	v_mul_f64 v[116:117], v[76:77], v[72:73]
	v_fma_f64 v[86:87], v[26:27], v[30:31], -v[86:87]
	v_fma_f64 v[88:89], v[28:29], v[30:31], v[88:89]
	v_fma_f64 v[90:91], v[26:27], v[34:35], -v[90:91]
	v_fma_f64 v[92:93], v[28:29], v[34:35], v[92:93]
	v_fma_f64 v[94:95], v[38:39], v[30:31], -v[94:95]
	v_fma_f64 v[110:111], v[40:41], v[30:31], v[32:33]
	v_fma_f64 v[38:39], v[38:39], v[34:35], -v[96:97]
	v_fma_f64 v[34:35], v[40:41], v[34:35], v[36:37]
	v_mul_f64 v[36:37], v[60:61], v[68:69]
	v_mul_f64 v[40:41], v[58:59], v[68:69]
	;; [unrolled: 1-line block ×5, first 2 shown]
	v_fma_f64 v[98:99], v[42:43], v[50:51], -v[98:99]
	v_fma_f64 v[100:101], v[44:45], v[50:51], v[100:101]
	v_fma_f64 v[42:43], v[42:43], v[54:55], -v[102:103]
	v_fma_f64 v[44:45], v[44:45], v[54:55], v[104:105]
	;; [unrolled: 2-line block ×4, first 2 shown]
	ds_load_b128 v[26:29], v22 offset:1792
	ds_load_b128 v[30:33], v22 offset:2048
	s_waitcnt lgkmcnt(2)
	v_mul_f64 v[56:57], v[64:65], v[84:85]
	v_add_f64 v[16:17], v[16:17], v[86:87]
	v_add_f64 v[18:19], v[18:19], v[88:89]
	;; [unrolled: 1-line block ×8, first 2 shown]
	v_mul_f64 v[86:87], v[62:63], v[84:85]
	s_waitcnt lgkmcnt(1)
	v_mul_f64 v[88:89], v[64:65], v[28:29]
	v_mul_f64 v[90:91], v[62:63], v[28:29]
	;; [unrolled: 1-line block ×6, first 2 shown]
	v_fma_f64 v[104:105], v[58:59], v[66:67], -v[36:37]
	v_fma_f64 v[106:107], v[60:61], v[66:67], v[40:41]
	v_fma_f64 v[58:59], v[58:59], v[70:71], -v[96:97]
	v_fma_f64 v[60:61], v[60:61], v[70:71], v[112:113]
	;; [unrolled: 2-line block ×4, first 2 shown]
	ds_load_b128 v[4:7], v22 offset:2304
	ds_load_b128 v[8:11], v25 offset:64
	v_fma_f64 v[56:57], v[62:63], v[82:83], -v[56:57]
	v_add_f64 v[72:73], v[16:17], v[98:99]
	v_add_f64 v[74:75], v[18:19], v[100:101]
	;; [unrolled: 1-line block ×8, first 2 shown]
	ds_load_b128 v[12:15], v25 offset:2112
	ds_load_b128 v[16:19], v25 offset:80
	;; [unrolled: 1-line block ×4, first 2 shown]
	s_waitcnt lgkmcnt(4)
	v_mul_f64 v[54:55], v[10:11], v[32:33]
	v_mul_f64 v[76:77], v[8:9], v[32:33]
	;; [unrolled: 1-line block ×4, first 2 shown]
	v_fma_f64 v[86:87], v[64:65], v[82:83], v[86:87]
	v_fma_f64 v[62:63], v[62:63], v[26:27], -v[88:89]
	v_fma_f64 v[64:65], v[64:65], v[26:27], v[90:91]
	v_fma_f64 v[88:89], v[78:79], v[82:83], -v[92:93]
	;; [unrolled: 2-line block ×3, first 2 shown]
	v_fma_f64 v[80:81], v[80:81], v[26:27], v[28:29]
	s_waitcnt lgkmcnt(3)
	v_mul_f64 v[102:103], v[14:15], v[32:33]
	v_mul_f64 v[32:33], v[12:13], v[32:33]
	;; [unrolled: 1-line block ×4, first 2 shown]
	s_waitcnt lgkmcnt(0)
	v_mul_f64 v[90:91], v[18:19], v[40:41]
	v_mul_f64 v[92:93], v[16:17], v[40:41]
	v_add_f64 v[72:73], v[72:73], v[104:105]
	v_add_f64 v[74:75], v[74:75], v[106:107]
	;; [unrolled: 1-line block ×8, first 2 shown]
	ds_load_b128 v[26:29], v22 offset:2816
	ds_load_b128 v[42:45], v22 offset:3072
	;; [unrolled: 1-line block ×4, first 2 shown]
	v_mul_f64 v[104:105], v[36:37], v[40:41]
	v_mul_f64 v[40:41], v[34:35], v[40:41]
	v_fma_f64 v[54:55], v[8:9], v[30:31], -v[54:55]
	v_fma_f64 v[76:77], v[10:11], v[30:31], v[76:77]
	v_fma_f64 v[98:99], v[8:9], v[4:5], -v[98:99]
	v_fma_f64 v[100:101], v[10:11], v[4:5], v[100:101]
	s_waitcnt lgkmcnt(3)
	v_mul_f64 v[94:95], v[18:19], v[28:29]
	v_mul_f64 v[96:97], v[16:17], v[28:29]
	;; [unrolled: 1-line block ×4, first 2 shown]
	v_fma_f64 v[102:103], v[12:13], v[30:31], -v[102:103]
	v_fma_f64 v[32:33], v[14:15], v[30:31], v[32:33]
	v_fma_f64 v[108:109], v[12:13], v[4:5], -v[108:109]
	v_fma_f64 v[112:113], v[14:15], v[4:5], v[6:7]
	ds_load_b128 v[4:7], v25 offset:2144
	ds_load_b128 v[8:11], v25 offset:112
	;; [unrolled: 1-line block ×4, first 2 shown]
	v_add_f64 v[56:57], v[72:73], v[56:57]
	v_add_f64 v[72:73], v[74:75], v[86:87]
	;; [unrolled: 1-line block ×8, first 2 shown]
	s_waitcnt lgkmcnt(4)
	v_mul_f64 v[70:71], v[52:53], v[44:45]
	v_mul_f64 v[74:75], v[50:51], v[44:45]
	;; [unrolled: 1-line block ×4, first 2 shown]
	s_waitcnt lgkmcnt(3)
	v_mul_f64 v[82:83], v[6:7], v[44:45]
	v_mul_f64 v[44:45], v[4:5], v[44:45]
	;; [unrolled: 1-line block ×4, first 2 shown]
	v_fma_f64 v[86:87], v[16:17], v[38:39], -v[90:91]
	v_fma_f64 v[88:89], v[18:19], v[38:39], v[92:93]
	v_fma_f64 v[90:91], v[16:17], v[26:27], -v[94:95]
	v_fma_f64 v[92:93], v[18:19], v[26:27], v[96:97]
	;; [unrolled: 2-line block ×4, first 2 shown]
	ds_load_b128 v[16:19], v22 offset:3840
	s_waitcnt lgkmcnt(0)
	s_barrier
	buffer_gl0_inv
	v_add_f64 v[36:37], v[56:57], v[54:55]
	v_add_f64 v[40:41], v[72:73], v[76:77]
	;; [unrolled: 1-line block ×8, first 2 shown]
	v_mul_f64 v[64:65], v[10:11], v[30:31]
	v_mul_f64 v[66:67], v[8:9], v[30:31]
	;; [unrolled: 1-line block ×4, first 2 shown]
	v_fma_f64 v[70:71], v[50:51], v[42:43], -v[70:71]
	v_mul_f64 v[68:69], v[10:11], v[18:19]
	v_mul_f64 v[72:73], v[8:9], v[18:19]
	;; [unrolled: 1-line block ×4, first 2 shown]
	v_fma_f64 v[74:75], v[52:53], v[42:43], v[74:75]
	v_fma_f64 v[50:51], v[50:51], v[46:47], -v[78:79]
	v_fma_f64 v[52:53], v[52:53], v[46:47], v[80:81]
	v_fma_f64 v[78:79], v[4:5], v[42:43], -v[82:83]
	;; [unrolled: 2-line block ×3, first 2 shown]
	v_fma_f64 v[6:7], v[6:7], v[46:47], v[48:49]
	v_add_f64 v[36:37], v[36:37], v[86:87]
	v_add_f64 v[40:41], v[40:41], v[88:89]
	;; [unrolled: 1-line block ×8, first 2 shown]
	v_fma_f64 v[38:39], v[8:9], v[28:29], -v[64:65]
	v_fma_f64 v[54:55], v[10:11], v[28:29], v[66:67]
	v_fma_f64 v[56:57], v[12:13], v[28:29], -v[76:77]
	v_fma_f64 v[28:29], v[14:15], v[28:29], v[30:31]
	;; [unrolled: 2-line block ×4, first 2 shown]
	v_add_f64 v[12:13], v[36:37], v[70:71]
	v_add_f64 v[14:15], v[40:41], v[74:75]
	;; [unrolled: 1-line block ×16, first 2 shown]
	s_cbranch_vccz .LBB1321_2
.LBB1321_3:
	s_clause 0x1
	s_load_b128 s[4:7], s[0:1], 0x48
	s_load_b32 s2, s[0:1], 0x0
	v_add_nc_u32_e32 v21, s9, v21
	s_delay_alu instid0(VALU_DEP_1) | instskip(SKIP_1) | instid1(VALU_DEP_1)
	v_ashrrev_i32_e32 v0, 31, v21
	s_waitcnt lgkmcnt(0)
	v_mul_lo_u32 v3, v0, s4
	v_mul_lo_u32 v22, v21, s5
	v_mad_u64_u32 v[1:2], null, v21, s4, 0
	s_mul_i32 s1, s15, s7
	s_mul_hi_u32 s3, s15, s6
	s_mul_i32 s6, s15, s6
	s_add_i32 s7, s3, s1
	v_add_nc_u32_e32 v0, s8, v20
	s_lshl_b64 s[6:7], s[6:7], 4
	s_delay_alu instid0(VALU_DEP_2)
	v_add3_u32 v2, v2, v22, v3
	s_add_u32 s3, s30, s6
	v_cmp_gt_i32_e32 vcc_lo, s2, v21
	v_cmp_le_i32_e64 s0, v0, v21
	s_addc_u32 s6, s31, s7
	v_lshlrev_b64 v[1:2], 4, v[1:2]
	s_delay_alu instid0(VALU_DEP_2) | instskip(NEXT) | instid1(VALU_DEP_1)
	s_and_b32 s0, vcc_lo, s0
	v_add_co_u32 v20, s1, s3, v1
	s_delay_alu instid0(VALU_DEP_1)
	v_add_co_ci_u32_e64 v22, s1, s6, v2, s1
	s_and_saveexec_b32 s1, s0
	s_cbranch_execz .LBB1321_5
; %bb.4:
	v_ashrrev_i32_e32 v1, 31, v0
	s_delay_alu instid0(VALU_DEP_1) | instskip(NEXT) | instid1(VALU_DEP_1)
	v_lshlrev_b64 v[1:2], 4, v[0:1]
	v_add_co_u32 v1, s0, v20, v1
	s_delay_alu instid0(VALU_DEP_1)
	v_add_co_ci_u32_e64 v2, s0, v22, v2, s0
	v_cmp_ne_u32_e64 s0, v21, v0
	global_load_b128 v[23:26], v[1:2], off
	s_waitcnt vmcnt(0)
	v_add_f64 v[18:19], v[18:19], -v[25:26]
	v_add_f64 v[16:17], v[16:17], -v[23:24]
	s_delay_alu instid0(VALU_DEP_2) | instskip(NEXT) | instid1(VALU_DEP_3)
	v_cndmask_b32_e64 v19, 0, v19, s0
	v_cndmask_b32_e64 v18, 0, v18, s0
	global_store_b128 v[1:2], v[16:19], off
.LBB1321_5:
	s_or_b32 exec_lo, exec_lo, s1
	v_add_nc_u32_e32 v2, 16, v0
	s_delay_alu instid0(VALU_DEP_1) | instskip(NEXT) | instid1(VALU_DEP_1)
	v_cmp_le_i32_e64 s0, v2, v21
	s_and_b32 s1, vcc_lo, s0
	s_delay_alu instid0(SALU_CYCLE_1)
	s_and_saveexec_b32 s0, s1
	s_cbranch_execz .LBB1321_7
; %bb.6:
	v_ashrrev_i32_e32 v3, 31, v2
	s_delay_alu instid0(VALU_DEP_1) | instskip(NEXT) | instid1(VALU_DEP_1)
	v_lshlrev_b64 v[16:17], 4, v[2:3]
	v_add_co_u32 v23, vcc_lo, v20, v16
	s_delay_alu instid0(VALU_DEP_2)
	v_add_co_ci_u32_e32 v24, vcc_lo, v22, v17, vcc_lo
	v_cmp_ne_u32_e32 vcc_lo, v21, v2
	global_load_b128 v[16:19], v[23:24], off
	s_waitcnt vmcnt(0)
	v_add_f64 v[14:15], v[14:15], -v[18:19]
	v_add_f64 v[12:13], v[12:13], -v[16:17]
	s_delay_alu instid0(VALU_DEP_2)
	v_dual_cndmask_b32 v15, 0, v15 :: v_dual_cndmask_b32 v14, 0, v14
	global_store_b128 v[23:24], v[12:15], off
.LBB1321_7:
	s_or_b32 exec_lo, exec_lo, s0
	v_add_nc_u32_e32 v3, 16, v21
	s_delay_alu instid0(VALU_DEP_1) | instskip(SKIP_3) | instid1(VALU_DEP_4)
	v_ashrrev_i32_e32 v1, 31, v3
	v_mul_lo_u32 v14, v3, s5
	v_mad_u64_u32 v[12:13], null, v3, s4, 0
	v_cmp_gt_i32_e32 vcc_lo, s2, v3
	v_mul_lo_u32 v1, v1, s4
	v_cmp_le_i32_e64 s0, v0, v3
	s_delay_alu instid0(VALU_DEP_1) | instskip(NEXT) | instid1(VALU_DEP_2)
	s_and_b32 s0, vcc_lo, s0
	v_add3_u32 v13, v13, v14, v1
	s_delay_alu instid0(VALU_DEP_1) | instskip(NEXT) | instid1(VALU_DEP_1)
	v_lshlrev_b64 v[12:13], 4, v[12:13]
	v_add_co_u32 v12, s1, s3, v12
	s_delay_alu instid0(VALU_DEP_1)
	v_add_co_ci_u32_e64 v13, s1, s6, v13, s1
	s_and_saveexec_b32 s1, s0
	s_cbranch_execz .LBB1321_9
; %bb.8:
	v_ashrrev_i32_e32 v1, 31, v0
	s_delay_alu instid0(VALU_DEP_1) | instskip(NEXT) | instid1(VALU_DEP_1)
	v_lshlrev_b64 v[14:15], 4, v[0:1]
	v_add_co_u32 v18, s0, v12, v14
	s_delay_alu instid0(VALU_DEP_1)
	v_add_co_ci_u32_e64 v19, s0, v13, v15, s0
	v_cmp_ne_u32_e64 s0, v3, v0
	global_load_b128 v[14:17], v[18:19], off
	s_waitcnt vmcnt(0)
	v_add_f64 v[10:11], v[10:11], -v[16:17]
	v_add_f64 v[8:9], v[8:9], -v[14:15]
	s_delay_alu instid0(VALU_DEP_2) | instskip(NEXT) | instid1(VALU_DEP_3)
	v_cndmask_b32_e64 v11, 0, v11, s0
	v_cndmask_b32_e64 v10, 0, v10, s0
	global_store_b128 v[18:19], v[8:11], off
.LBB1321_9:
	s_or_b32 exec_lo, exec_lo, s1
	v_cmp_le_i32_e64 s0, v2, v3
	s_delay_alu instid0(VALU_DEP_1) | instskip(NEXT) | instid1(SALU_CYCLE_1)
	s_and_b32 s0, vcc_lo, s0
	s_and_saveexec_b32 s1, s0
	s_cbranch_execz .LBB1321_11
; %bb.10:
	v_ashrrev_i32_e32 v3, 31, v2
	s_delay_alu instid0(VALU_DEP_1) | instskip(NEXT) | instid1(VALU_DEP_1)
	v_lshlrev_b64 v[1:2], 4, v[2:3]
	v_add_co_u32 v12, vcc_lo, v12, v1
	s_delay_alu instid0(VALU_DEP_2)
	v_add_co_ci_u32_e32 v13, vcc_lo, v13, v2, vcc_lo
	v_cmp_ne_u32_e32 vcc_lo, v21, v0
	global_load_b128 v[8:11], v[12:13], off
	s_waitcnt vmcnt(0)
	v_add_f64 v[3:4], v[4:5], -v[10:11]
	v_add_f64 v[1:2], v[6:7], -v[8:9]
	s_delay_alu instid0(VALU_DEP_2)
	v_dual_cndmask_b32 v4, 0, v4 :: v_dual_cndmask_b32 v3, 0, v3
	global_store_b128 v[12:13], v[1:4], off
.LBB1321_11:
	s_nop 0
	s_sendmsg sendmsg(MSG_DEALLOC_VGPRS)
	s_endpgm
	.section	.rodata,"a",@progbits
	.p2align	6, 0x0
	.amdhsa_kernel _ZL37rocblas_syrkx_herkx_restricted_kernelIl19rocblas_complex_numIdELi16ELi32ELi8ELi1ELin1ELb1ELc67ELc85EKS1_S1_EviT_PT9_S3_lS5_S3_lPT10_S3_li
		.amdhsa_group_segment_fixed_size 8192
		.amdhsa_private_segment_fixed_size 0
		.amdhsa_kernarg_size 92
		.amdhsa_user_sgpr_count 13
		.amdhsa_user_sgpr_dispatch_ptr 0
		.amdhsa_user_sgpr_queue_ptr 0
		.amdhsa_user_sgpr_kernarg_segment_ptr 1
		.amdhsa_user_sgpr_dispatch_id 0
		.amdhsa_user_sgpr_private_segment_size 0
		.amdhsa_wavefront_size32 1
		.amdhsa_uses_dynamic_stack 0
		.amdhsa_enable_private_segment 0
		.amdhsa_system_sgpr_workgroup_id_x 1
		.amdhsa_system_sgpr_workgroup_id_y 1
		.amdhsa_system_sgpr_workgroup_id_z 1
		.amdhsa_system_sgpr_workgroup_info 0
		.amdhsa_system_vgpr_workitem_id 1
		.amdhsa_next_free_vgpr 118
		.amdhsa_next_free_sgpr 32
		.amdhsa_reserve_vcc 1
		.amdhsa_float_round_mode_32 0
		.amdhsa_float_round_mode_16_64 0
		.amdhsa_float_denorm_mode_32 3
		.amdhsa_float_denorm_mode_16_64 3
		.amdhsa_dx10_clamp 1
		.amdhsa_ieee_mode 1
		.amdhsa_fp16_overflow 0
		.amdhsa_workgroup_processor_mode 1
		.amdhsa_memory_ordered 1
		.amdhsa_forward_progress 0
		.amdhsa_shared_vgpr_count 0
		.amdhsa_exception_fp_ieee_invalid_op 0
		.amdhsa_exception_fp_denorm_src 0
		.amdhsa_exception_fp_ieee_div_zero 0
		.amdhsa_exception_fp_ieee_overflow 0
		.amdhsa_exception_fp_ieee_underflow 0
		.amdhsa_exception_fp_ieee_inexact 0
		.amdhsa_exception_int_div_zero 0
	.end_amdhsa_kernel
	.section	.text._ZL37rocblas_syrkx_herkx_restricted_kernelIl19rocblas_complex_numIdELi16ELi32ELi8ELi1ELin1ELb1ELc67ELc85EKS1_S1_EviT_PT9_S3_lS5_S3_lPT10_S3_li,"axG",@progbits,_ZL37rocblas_syrkx_herkx_restricted_kernelIl19rocblas_complex_numIdELi16ELi32ELi8ELi1ELin1ELb1ELc67ELc85EKS1_S1_EviT_PT9_S3_lS5_S3_lPT10_S3_li,comdat
.Lfunc_end1321:
	.size	_ZL37rocblas_syrkx_herkx_restricted_kernelIl19rocblas_complex_numIdELi16ELi32ELi8ELi1ELin1ELb1ELc67ELc85EKS1_S1_EviT_PT9_S3_lS5_S3_lPT10_S3_li, .Lfunc_end1321-_ZL37rocblas_syrkx_herkx_restricted_kernelIl19rocblas_complex_numIdELi16ELi32ELi8ELi1ELin1ELb1ELc67ELc85EKS1_S1_EviT_PT9_S3_lS5_S3_lPT10_S3_li
                                        ; -- End function
	.section	.AMDGPU.csdata,"",@progbits
; Kernel info:
; codeLenInByte = 3188
; NumSgprs: 34
; NumVgprs: 118
; ScratchSize: 0
; MemoryBound: 0
; FloatMode: 240
; IeeeMode: 1
; LDSByteSize: 8192 bytes/workgroup (compile time only)
; SGPRBlocks: 4
; VGPRBlocks: 14
; NumSGPRsForWavesPerEU: 34
; NumVGPRsForWavesPerEU: 118
; Occupancy: 12
; WaveLimiterHint : 1
; COMPUTE_PGM_RSRC2:SCRATCH_EN: 0
; COMPUTE_PGM_RSRC2:USER_SGPR: 13
; COMPUTE_PGM_RSRC2:TRAP_HANDLER: 0
; COMPUTE_PGM_RSRC2:TGID_X_EN: 1
; COMPUTE_PGM_RSRC2:TGID_Y_EN: 1
; COMPUTE_PGM_RSRC2:TGID_Z_EN: 1
; COMPUTE_PGM_RSRC2:TIDIG_COMP_CNT: 1
	.section	.text._ZL37rocblas_syrkx_herkx_restricted_kernelIl19rocblas_complex_numIdELi16ELi32ELi8ELi1ELin1ELb1ELc78ELc85EKS1_S1_EviT_PT9_S3_lS5_S3_lPT10_S3_li,"axG",@progbits,_ZL37rocblas_syrkx_herkx_restricted_kernelIl19rocblas_complex_numIdELi16ELi32ELi8ELi1ELin1ELb1ELc78ELc85EKS1_S1_EviT_PT9_S3_lS5_S3_lPT10_S3_li,comdat
	.globl	_ZL37rocblas_syrkx_herkx_restricted_kernelIl19rocblas_complex_numIdELi16ELi32ELi8ELi1ELin1ELb1ELc78ELc85EKS1_S1_EviT_PT9_S3_lS5_S3_lPT10_S3_li ; -- Begin function _ZL37rocblas_syrkx_herkx_restricted_kernelIl19rocblas_complex_numIdELi16ELi32ELi8ELi1ELin1ELb1ELc78ELc85EKS1_S1_EviT_PT9_S3_lS5_S3_lPT10_S3_li
	.p2align	8
	.type	_ZL37rocblas_syrkx_herkx_restricted_kernelIl19rocblas_complex_numIdELi16ELi32ELi8ELi1ELin1ELb1ELc78ELc85EKS1_S1_EviT_PT9_S3_lS5_S3_lPT10_S3_li,@function
_ZL37rocblas_syrkx_herkx_restricted_kernelIl19rocblas_complex_numIdELi16ELi32ELi8ELi1ELin1ELb1ELc78ELc85EKS1_S1_EviT_PT9_S3_lS5_S3_lPT10_S3_li: ; @_ZL37rocblas_syrkx_herkx_restricted_kernelIl19rocblas_complex_numIdELi16ELi32ELi8ELi1ELin1ELb1ELc78ELc85EKS1_S1_EviT_PT9_S3_lS5_S3_lPT10_S3_li
; %bb.0:
	s_load_b512 s[16:31], s[0:1], 0x8
	v_mov_b32_e32 v16, 0
	v_dual_mov_b32 v17, 0 :: v_dual_and_b32 v20, 0x3ff, v0
	v_bfe_u32 v21, v0, 10, 10
	s_delay_alu instid0(VALU_DEP_3) | instskip(NEXT) | instid1(VALU_DEP_3)
	v_mov_b32_e32 v12, v16
	v_dual_mov_b32 v14, v16 :: v_dual_mov_b32 v15, v17
	v_dual_mov_b32 v19, v17 :: v_dual_mov_b32 v18, v16
	;; [unrolled: 1-line block ×6, first 2 shown]
	v_mov_b32_e32 v5, v17
	s_lshl_b32 s8, s13, 5
	s_waitcnt lgkmcnt(0)
	v_cmp_lt_i64_e64 s2, s[16:17], 1
	s_lshl_b32 s9, s14, 5
	s_delay_alu instid0(VALU_DEP_1)
	s_and_b32 vcc_lo, exec_lo, s2
	s_cbranch_vccnz .LBB1322_3
; %bb.1:
	v_lshl_add_u32 v1, v21, 4, v20
	v_and_b32_e32 v10, 7, v20
	s_mul_i32 s3, s23, s15
	s_mul_hi_u32 s5, s22, s15
	s_mul_i32 s2, s22, s15
	v_dual_mov_b32 v4, 0 :: v_dual_and_b32 v9, 31, v1
	v_lshrrev_b32_e32 v11, 3, v1
	v_mov_b32_e32 v5, 0
	v_lshrrev_b32_e32 v12, 5, v1
	s_delay_alu instid0(VALU_DEP_4)
	v_add_nc_u32_e32 v0, s8, v9
	s_add_i32 s3, s5, s3
	v_add_nc_u32_e32 v2, s9, v11
	s_lshl_b64 s[2:3], s[2:3], 4
	s_mul_i32 s6, s29, s15
	v_ashrrev_i32_e32 v1, 31, v0
	s_mul_hi_u32 s7, s28, s15
	v_ashrrev_i32_e32 v3, 31, v2
	s_add_u32 s10, s18, s2
	s_mul_i32 s4, s28, s15
	v_mad_u64_u32 v[6:7], null, v12, s20, v[0:1]
	s_delay_alu instid0(VALU_DEP_2) | instskip(SKIP_4) | instid1(VALU_DEP_2)
	v_mad_u64_u32 v[0:1], null, v10, s26, v[2:3]
	s_addc_u32 s11, s19, s3
	s_add_i32 s5, s7, s6
	s_lshl_b64 s[2:3], s[20:21], 7
	s_lshl_b64 s[4:5], s[4:5], 4
	v_dual_mov_b32 v2, v7 :: v_dual_lshlrev_b32 v13, 4, v10
	s_add_u32 s4, s24, s4
	s_addc_u32 s5, s25, s5
	v_lshl_add_u32 v23, v21, 7, 0x1000
	s_delay_alu instid0(VALU_DEP_2)
	v_mad_u64_u32 v[7:8], null, v12, s21, v[2:3]
	v_mad_u64_u32 v[2:3], null, v10, s27, v[1:2]
	v_lshlrev_b32_e32 v22, 4, v20
	v_dual_mov_b32 v15, v5 :: v_dual_lshlrev_b32 v8, 4, v9
	v_lshl_or_b32 v9, v11, 7, v13
	v_dual_mov_b32 v11, v5 :: v_dual_mov_b32 v10, v4
	v_mov_b32_e32 v1, v2
	v_lshlrev_b64 v[2:3], 4, v[6:7]
	v_lshl_or_b32 v24, v12, 9, v8
	v_add_nc_u32_e32 v25, 0x1000, v9
	v_mov_b32_e32 v9, v5
	v_lshlrev_b64 v[0:1], 4, v[0:1]
	v_dual_mov_b32 v8, v4 :: v_dual_mov_b32 v13, v5
	v_add_co_u32 v2, vcc_lo, s10, v2
	v_add_co_ci_u32_e32 v3, vcc_lo, s11, v3, vcc_lo
	s_delay_alu instid0(VALU_DEP_4) | instskip(SKIP_1) | instid1(VALU_DEP_4)
	v_add_co_u32 v6, vcc_lo, s4, v0
	v_add_co_ci_u32_e32 v7, vcc_lo, s5, v1, vcc_lo
	v_add_co_u32 v0, vcc_lo, v2, 8
	s_delay_alu instid0(VALU_DEP_4) | instskip(NEXT) | instid1(VALU_DEP_4)
	v_add_co_ci_u32_e32 v1, vcc_lo, 0, v3, vcc_lo
	v_add_co_u32 v2, vcc_lo, v6, 8
	s_delay_alu instid0(VALU_DEP_4)
	v_add_co_ci_u32_e32 v3, vcc_lo, 0, v7, vcc_lo
	v_dual_mov_b32 v7, v5 :: v_dual_mov_b32 v14, v4
	v_dual_mov_b32 v19, v5 :: v_dual_mov_b32 v12, v4
	;; [unrolled: 1-line block ×3, first 2 shown]
	v_mov_b32_e32 v18, v4
	v_mov_b32_e32 v16, v4
	s_lshl_b64 s[4:5], s[26:27], 7
	s_mov_b64 s[6:7], 0
.LBB1322_2:                             ; =>This Inner Loop Header: Depth=1
	global_load_b128 v[26:29], v[2:3], off offset:-8
	global_load_b128 v[30:33], v[0:1], off offset:-8
	s_add_u32 s6, s6, 8
	v_add_co_u32 v0, vcc_lo, v0, s2
	s_addc_u32 s7, s7, 0
	v_add_co_ci_u32_e32 v1, vcc_lo, s3, v1, vcc_lo
	v_cmp_ge_u64_e64 s10, s[6:7], s[16:17]
	v_add_co_u32 v2, vcc_lo, v2, s4
	v_add_co_ci_u32_e32 v3, vcc_lo, s5, v3, vcc_lo
	s_delay_alu instid0(VALU_DEP_3)
	s_and_b32 vcc_lo, exec_lo, s10
	s_waitcnt vmcnt(1)
	v_xor_b32_e32 v29, 0x80000000, v29
	s_waitcnt vmcnt(0)
	ds_store_b128 v24, v[30:33]
	ds_store_b128 v25, v[26:29]
	s_waitcnt lgkmcnt(0)
	s_barrier
	buffer_gl0_inv
	ds_load_b128 v[26:29], v23
	ds_load_b128 v[30:33], v22
	ds_load_b128 v[34:37], v22 offset:256
	ds_load_b128 v[38:41], v23 offset:2048
	;; [unrolled: 1-line block ×13, first 2 shown]
	s_waitcnt lgkmcnt(13)
	v_mul_f64 v[86:87], v[28:29], v[32:33]
	v_mul_f64 v[88:89], v[26:27], v[32:33]
	s_waitcnt lgkmcnt(12)
	v_mul_f64 v[90:91], v[28:29], v[36:37]
	v_mul_f64 v[92:93], v[26:27], v[36:37]
	s_waitcnt lgkmcnt(11)
	v_mul_f64 v[94:95], v[40:41], v[32:33]
	v_mul_f64 v[32:33], v[38:39], v[32:33]
	v_mul_f64 v[96:97], v[40:41], v[36:37]
	v_mul_f64 v[36:37], v[38:39], v[36:37]
	s_waitcnt lgkmcnt(8)
	v_mul_f64 v[98:99], v[44:45], v[52:53]
	v_mul_f64 v[100:101], v[42:43], v[52:53]
	s_waitcnt lgkmcnt(7)
	v_mul_f64 v[102:103], v[44:45], v[56:57]
	v_mul_f64 v[104:105], v[42:43], v[56:57]
	;; [unrolled: 1-line block ×6, first 2 shown]
	s_waitcnt lgkmcnt(3)
	v_mul_f64 v[112:113], v[58:59], v[72:73]
	s_waitcnt lgkmcnt(2)
	v_mul_f64 v[114:115], v[76:77], v[68:69]
	v_mul_f64 v[116:117], v[76:77], v[72:73]
	v_fma_f64 v[86:87], v[26:27], v[30:31], -v[86:87]
	v_fma_f64 v[88:89], v[28:29], v[30:31], v[88:89]
	v_fma_f64 v[90:91], v[26:27], v[34:35], -v[90:91]
	v_fma_f64 v[92:93], v[28:29], v[34:35], v[92:93]
	v_fma_f64 v[94:95], v[38:39], v[30:31], -v[94:95]
	v_fma_f64 v[110:111], v[40:41], v[30:31], v[32:33]
	v_fma_f64 v[38:39], v[38:39], v[34:35], -v[96:97]
	v_fma_f64 v[34:35], v[40:41], v[34:35], v[36:37]
	v_mul_f64 v[36:37], v[60:61], v[68:69]
	v_mul_f64 v[40:41], v[58:59], v[68:69]
	;; [unrolled: 1-line block ×5, first 2 shown]
	v_fma_f64 v[98:99], v[42:43], v[50:51], -v[98:99]
	v_fma_f64 v[100:101], v[44:45], v[50:51], v[100:101]
	v_fma_f64 v[42:43], v[42:43], v[54:55], -v[102:103]
	v_fma_f64 v[44:45], v[44:45], v[54:55], v[104:105]
	;; [unrolled: 2-line block ×4, first 2 shown]
	ds_load_b128 v[26:29], v22 offset:1792
	ds_load_b128 v[30:33], v22 offset:2048
	s_waitcnt lgkmcnt(2)
	v_mul_f64 v[56:57], v[64:65], v[84:85]
	v_add_f64 v[16:17], v[16:17], v[86:87]
	v_add_f64 v[18:19], v[18:19], v[88:89]
	;; [unrolled: 1-line block ×8, first 2 shown]
	v_mul_f64 v[86:87], v[62:63], v[84:85]
	s_waitcnt lgkmcnt(1)
	v_mul_f64 v[88:89], v[64:65], v[28:29]
	v_mul_f64 v[90:91], v[62:63], v[28:29]
	;; [unrolled: 1-line block ×6, first 2 shown]
	v_fma_f64 v[104:105], v[58:59], v[66:67], -v[36:37]
	v_fma_f64 v[106:107], v[60:61], v[66:67], v[40:41]
	v_fma_f64 v[58:59], v[58:59], v[70:71], -v[96:97]
	v_fma_f64 v[60:61], v[60:61], v[70:71], v[112:113]
	;; [unrolled: 2-line block ×4, first 2 shown]
	ds_load_b128 v[4:7], v22 offset:2304
	ds_load_b128 v[8:11], v23 offset:64
	v_fma_f64 v[56:57], v[62:63], v[82:83], -v[56:57]
	v_add_f64 v[72:73], v[16:17], v[98:99]
	v_add_f64 v[74:75], v[18:19], v[100:101]
	;; [unrolled: 1-line block ×8, first 2 shown]
	ds_load_b128 v[12:15], v23 offset:2112
	ds_load_b128 v[16:19], v23 offset:80
	;; [unrolled: 1-line block ×4, first 2 shown]
	s_waitcnt lgkmcnt(4)
	v_mul_f64 v[54:55], v[10:11], v[32:33]
	v_mul_f64 v[76:77], v[8:9], v[32:33]
	;; [unrolled: 1-line block ×4, first 2 shown]
	v_fma_f64 v[86:87], v[64:65], v[82:83], v[86:87]
	v_fma_f64 v[62:63], v[62:63], v[26:27], -v[88:89]
	v_fma_f64 v[64:65], v[64:65], v[26:27], v[90:91]
	v_fma_f64 v[88:89], v[78:79], v[82:83], -v[92:93]
	;; [unrolled: 2-line block ×3, first 2 shown]
	v_fma_f64 v[80:81], v[80:81], v[26:27], v[28:29]
	s_waitcnt lgkmcnt(3)
	v_mul_f64 v[102:103], v[14:15], v[32:33]
	v_mul_f64 v[32:33], v[12:13], v[32:33]
	;; [unrolled: 1-line block ×4, first 2 shown]
	s_waitcnt lgkmcnt(0)
	v_mul_f64 v[90:91], v[18:19], v[40:41]
	v_mul_f64 v[92:93], v[16:17], v[40:41]
	v_add_f64 v[72:73], v[72:73], v[104:105]
	v_add_f64 v[74:75], v[74:75], v[106:107]
	;; [unrolled: 1-line block ×8, first 2 shown]
	ds_load_b128 v[26:29], v22 offset:2816
	ds_load_b128 v[42:45], v22 offset:3072
	;; [unrolled: 1-line block ×4, first 2 shown]
	v_mul_f64 v[104:105], v[36:37], v[40:41]
	v_mul_f64 v[40:41], v[34:35], v[40:41]
	v_fma_f64 v[54:55], v[8:9], v[30:31], -v[54:55]
	v_fma_f64 v[76:77], v[10:11], v[30:31], v[76:77]
	v_fma_f64 v[98:99], v[8:9], v[4:5], -v[98:99]
	v_fma_f64 v[100:101], v[10:11], v[4:5], v[100:101]
	s_waitcnt lgkmcnt(3)
	v_mul_f64 v[94:95], v[18:19], v[28:29]
	v_mul_f64 v[96:97], v[16:17], v[28:29]
	;; [unrolled: 1-line block ×4, first 2 shown]
	v_fma_f64 v[102:103], v[12:13], v[30:31], -v[102:103]
	v_fma_f64 v[32:33], v[14:15], v[30:31], v[32:33]
	v_fma_f64 v[108:109], v[12:13], v[4:5], -v[108:109]
	v_fma_f64 v[112:113], v[14:15], v[4:5], v[6:7]
	ds_load_b128 v[4:7], v23 offset:2144
	ds_load_b128 v[8:11], v23 offset:112
	ds_load_b128 v[12:15], v23 offset:2160
	ds_load_b128 v[28:31], v22 offset:3584
	v_add_f64 v[56:57], v[72:73], v[56:57]
	v_add_f64 v[72:73], v[74:75], v[86:87]
	;; [unrolled: 1-line block ×8, first 2 shown]
	s_waitcnt lgkmcnt(4)
	v_mul_f64 v[70:71], v[52:53], v[44:45]
	v_mul_f64 v[74:75], v[50:51], v[44:45]
	;; [unrolled: 1-line block ×4, first 2 shown]
	s_waitcnt lgkmcnt(3)
	v_mul_f64 v[82:83], v[6:7], v[44:45]
	v_mul_f64 v[44:45], v[4:5], v[44:45]
	;; [unrolled: 1-line block ×4, first 2 shown]
	v_fma_f64 v[86:87], v[16:17], v[38:39], -v[90:91]
	v_fma_f64 v[88:89], v[18:19], v[38:39], v[92:93]
	v_fma_f64 v[90:91], v[16:17], v[26:27], -v[94:95]
	v_fma_f64 v[92:93], v[18:19], v[26:27], v[96:97]
	v_fma_f64 v[94:95], v[34:35], v[38:39], -v[104:105]
	v_fma_f64 v[38:39], v[36:37], v[38:39], v[40:41]
	v_fma_f64 v[34:35], v[34:35], v[26:27], -v[106:107]
	v_fma_f64 v[26:27], v[36:37], v[26:27], v[110:111]
	ds_load_b128 v[16:19], v22 offset:3840
	s_waitcnt lgkmcnt(0)
	s_barrier
	buffer_gl0_inv
	v_add_f64 v[36:37], v[56:57], v[54:55]
	v_add_f64 v[40:41], v[72:73], v[76:77]
	;; [unrolled: 1-line block ×8, first 2 shown]
	v_mul_f64 v[64:65], v[10:11], v[30:31]
	v_mul_f64 v[66:67], v[8:9], v[30:31]
	v_mul_f64 v[76:77], v[14:15], v[30:31]
	v_mul_f64 v[30:31], v[12:13], v[30:31]
	v_fma_f64 v[70:71], v[50:51], v[42:43], -v[70:71]
	v_mul_f64 v[68:69], v[10:11], v[18:19]
	v_mul_f64 v[72:73], v[8:9], v[18:19]
	;; [unrolled: 1-line block ×4, first 2 shown]
	v_fma_f64 v[74:75], v[52:53], v[42:43], v[74:75]
	v_fma_f64 v[50:51], v[50:51], v[46:47], -v[78:79]
	v_fma_f64 v[52:53], v[52:53], v[46:47], v[80:81]
	v_fma_f64 v[78:79], v[4:5], v[42:43], -v[82:83]
	;; [unrolled: 2-line block ×3, first 2 shown]
	v_fma_f64 v[6:7], v[6:7], v[46:47], v[48:49]
	v_add_f64 v[36:37], v[36:37], v[86:87]
	v_add_f64 v[40:41], v[40:41], v[88:89]
	;; [unrolled: 1-line block ×8, first 2 shown]
	v_fma_f64 v[38:39], v[8:9], v[28:29], -v[64:65]
	v_fma_f64 v[54:55], v[10:11], v[28:29], v[66:67]
	v_fma_f64 v[56:57], v[12:13], v[28:29], -v[76:77]
	v_fma_f64 v[28:29], v[14:15], v[28:29], v[30:31]
	;; [unrolled: 2-line block ×4, first 2 shown]
	v_add_f64 v[12:13], v[36:37], v[70:71]
	v_add_f64 v[14:15], v[40:41], v[74:75]
	;; [unrolled: 1-line block ×16, first 2 shown]
	s_cbranch_vccz .LBB1322_2
.LBB1322_3:
	s_clause 0x1
	s_load_b128 s[4:7], s[0:1], 0x48
	s_load_b32 s2, s[0:1], 0x0
	v_add_nc_u32_e32 v21, s9, v21
	s_delay_alu instid0(VALU_DEP_1) | instskip(SKIP_1) | instid1(VALU_DEP_1)
	v_ashrrev_i32_e32 v0, 31, v21
	s_waitcnt lgkmcnt(0)
	v_mul_lo_u32 v3, v0, s4
	v_mul_lo_u32 v22, v21, s5
	v_mad_u64_u32 v[1:2], null, v21, s4, 0
	s_mul_i32 s1, s15, s7
	s_mul_hi_u32 s3, s15, s6
	s_mul_i32 s6, s15, s6
	s_add_i32 s7, s3, s1
	v_add_nc_u32_e32 v0, s8, v20
	s_lshl_b64 s[6:7], s[6:7], 4
	s_delay_alu instid0(VALU_DEP_2)
	v_add3_u32 v2, v2, v22, v3
	s_add_u32 s3, s30, s6
	v_cmp_gt_i32_e32 vcc_lo, s2, v21
	v_cmp_le_i32_e64 s0, v0, v21
	s_addc_u32 s6, s31, s7
	v_lshlrev_b64 v[1:2], 4, v[1:2]
	s_delay_alu instid0(VALU_DEP_2) | instskip(NEXT) | instid1(VALU_DEP_1)
	s_and_b32 s0, vcc_lo, s0
	v_add_co_u32 v20, s1, s3, v1
	s_delay_alu instid0(VALU_DEP_1)
	v_add_co_ci_u32_e64 v22, s1, s6, v2, s1
	s_and_saveexec_b32 s1, s0
	s_cbranch_execz .LBB1322_5
; %bb.4:
	v_ashrrev_i32_e32 v1, 31, v0
	s_delay_alu instid0(VALU_DEP_1) | instskip(NEXT) | instid1(VALU_DEP_1)
	v_lshlrev_b64 v[1:2], 4, v[0:1]
	v_add_co_u32 v1, s0, v20, v1
	s_delay_alu instid0(VALU_DEP_1)
	v_add_co_ci_u32_e64 v2, s0, v22, v2, s0
	v_cmp_ne_u32_e64 s0, v21, v0
	global_load_b128 v[23:26], v[1:2], off
	s_waitcnt vmcnt(0)
	v_add_f64 v[18:19], v[18:19], -v[25:26]
	v_add_f64 v[16:17], v[16:17], -v[23:24]
	s_delay_alu instid0(VALU_DEP_2) | instskip(NEXT) | instid1(VALU_DEP_3)
	v_cndmask_b32_e64 v19, 0, v19, s0
	v_cndmask_b32_e64 v18, 0, v18, s0
	global_store_b128 v[1:2], v[16:19], off
.LBB1322_5:
	s_or_b32 exec_lo, exec_lo, s1
	v_add_nc_u32_e32 v2, 16, v0
	s_delay_alu instid0(VALU_DEP_1) | instskip(NEXT) | instid1(VALU_DEP_1)
	v_cmp_le_i32_e64 s0, v2, v21
	s_and_b32 s1, vcc_lo, s0
	s_delay_alu instid0(SALU_CYCLE_1)
	s_and_saveexec_b32 s0, s1
	s_cbranch_execz .LBB1322_7
; %bb.6:
	v_ashrrev_i32_e32 v3, 31, v2
	s_delay_alu instid0(VALU_DEP_1) | instskip(NEXT) | instid1(VALU_DEP_1)
	v_lshlrev_b64 v[16:17], 4, v[2:3]
	v_add_co_u32 v23, vcc_lo, v20, v16
	s_delay_alu instid0(VALU_DEP_2)
	v_add_co_ci_u32_e32 v24, vcc_lo, v22, v17, vcc_lo
	v_cmp_ne_u32_e32 vcc_lo, v21, v2
	global_load_b128 v[16:19], v[23:24], off
	s_waitcnt vmcnt(0)
	v_add_f64 v[14:15], v[14:15], -v[18:19]
	v_add_f64 v[12:13], v[12:13], -v[16:17]
	s_delay_alu instid0(VALU_DEP_2)
	v_dual_cndmask_b32 v15, 0, v15 :: v_dual_cndmask_b32 v14, 0, v14
	global_store_b128 v[23:24], v[12:15], off
.LBB1322_7:
	s_or_b32 exec_lo, exec_lo, s0
	v_add_nc_u32_e32 v3, 16, v21
	s_delay_alu instid0(VALU_DEP_1) | instskip(SKIP_3) | instid1(VALU_DEP_4)
	v_ashrrev_i32_e32 v1, 31, v3
	v_mul_lo_u32 v14, v3, s5
	v_mad_u64_u32 v[12:13], null, v3, s4, 0
	v_cmp_gt_i32_e32 vcc_lo, s2, v3
	v_mul_lo_u32 v1, v1, s4
	v_cmp_le_i32_e64 s0, v0, v3
	s_delay_alu instid0(VALU_DEP_1) | instskip(NEXT) | instid1(VALU_DEP_2)
	s_and_b32 s0, vcc_lo, s0
	v_add3_u32 v13, v13, v14, v1
	s_delay_alu instid0(VALU_DEP_1) | instskip(NEXT) | instid1(VALU_DEP_1)
	v_lshlrev_b64 v[12:13], 4, v[12:13]
	v_add_co_u32 v12, s1, s3, v12
	s_delay_alu instid0(VALU_DEP_1)
	v_add_co_ci_u32_e64 v13, s1, s6, v13, s1
	s_and_saveexec_b32 s1, s0
	s_cbranch_execz .LBB1322_9
; %bb.8:
	v_ashrrev_i32_e32 v1, 31, v0
	s_delay_alu instid0(VALU_DEP_1) | instskip(NEXT) | instid1(VALU_DEP_1)
	v_lshlrev_b64 v[14:15], 4, v[0:1]
	v_add_co_u32 v18, s0, v12, v14
	s_delay_alu instid0(VALU_DEP_1)
	v_add_co_ci_u32_e64 v19, s0, v13, v15, s0
	v_cmp_ne_u32_e64 s0, v3, v0
	global_load_b128 v[14:17], v[18:19], off
	s_waitcnt vmcnt(0)
	v_add_f64 v[10:11], v[10:11], -v[16:17]
	v_add_f64 v[8:9], v[8:9], -v[14:15]
	s_delay_alu instid0(VALU_DEP_2) | instskip(NEXT) | instid1(VALU_DEP_3)
	v_cndmask_b32_e64 v11, 0, v11, s0
	v_cndmask_b32_e64 v10, 0, v10, s0
	global_store_b128 v[18:19], v[8:11], off
.LBB1322_9:
	s_or_b32 exec_lo, exec_lo, s1
	v_cmp_le_i32_e64 s0, v2, v3
	s_delay_alu instid0(VALU_DEP_1) | instskip(NEXT) | instid1(SALU_CYCLE_1)
	s_and_b32 s0, vcc_lo, s0
	s_and_saveexec_b32 s1, s0
	s_cbranch_execz .LBB1322_11
; %bb.10:
	v_ashrrev_i32_e32 v3, 31, v2
	s_delay_alu instid0(VALU_DEP_1) | instskip(NEXT) | instid1(VALU_DEP_1)
	v_lshlrev_b64 v[1:2], 4, v[2:3]
	v_add_co_u32 v12, vcc_lo, v12, v1
	s_delay_alu instid0(VALU_DEP_2)
	v_add_co_ci_u32_e32 v13, vcc_lo, v13, v2, vcc_lo
	v_cmp_ne_u32_e32 vcc_lo, v21, v0
	global_load_b128 v[8:11], v[12:13], off
	s_waitcnt vmcnt(0)
	v_add_f64 v[3:4], v[4:5], -v[10:11]
	v_add_f64 v[1:2], v[6:7], -v[8:9]
	s_delay_alu instid0(VALU_DEP_2)
	v_dual_cndmask_b32 v4, 0, v4 :: v_dual_cndmask_b32 v3, 0, v3
	global_store_b128 v[12:13], v[1:4], off
.LBB1322_11:
	s_nop 0
	s_sendmsg sendmsg(MSG_DEALLOC_VGPRS)
	s_endpgm
	.section	.rodata,"a",@progbits
	.p2align	6, 0x0
	.amdhsa_kernel _ZL37rocblas_syrkx_herkx_restricted_kernelIl19rocblas_complex_numIdELi16ELi32ELi8ELi1ELin1ELb1ELc78ELc85EKS1_S1_EviT_PT9_S3_lS5_S3_lPT10_S3_li
		.amdhsa_group_segment_fixed_size 8192
		.amdhsa_private_segment_fixed_size 0
		.amdhsa_kernarg_size 92
		.amdhsa_user_sgpr_count 13
		.amdhsa_user_sgpr_dispatch_ptr 0
		.amdhsa_user_sgpr_queue_ptr 0
		.amdhsa_user_sgpr_kernarg_segment_ptr 1
		.amdhsa_user_sgpr_dispatch_id 0
		.amdhsa_user_sgpr_private_segment_size 0
		.amdhsa_wavefront_size32 1
		.amdhsa_uses_dynamic_stack 0
		.amdhsa_enable_private_segment 0
		.amdhsa_system_sgpr_workgroup_id_x 1
		.amdhsa_system_sgpr_workgroup_id_y 1
		.amdhsa_system_sgpr_workgroup_id_z 1
		.amdhsa_system_sgpr_workgroup_info 0
		.amdhsa_system_vgpr_workitem_id 1
		.amdhsa_next_free_vgpr 118
		.amdhsa_next_free_sgpr 32
		.amdhsa_reserve_vcc 1
		.amdhsa_float_round_mode_32 0
		.amdhsa_float_round_mode_16_64 0
		.amdhsa_float_denorm_mode_32 3
		.amdhsa_float_denorm_mode_16_64 3
		.amdhsa_dx10_clamp 1
		.amdhsa_ieee_mode 1
		.amdhsa_fp16_overflow 0
		.amdhsa_workgroup_processor_mode 1
		.amdhsa_memory_ordered 1
		.amdhsa_forward_progress 0
		.amdhsa_shared_vgpr_count 0
		.amdhsa_exception_fp_ieee_invalid_op 0
		.amdhsa_exception_fp_denorm_src 0
		.amdhsa_exception_fp_ieee_div_zero 0
		.amdhsa_exception_fp_ieee_overflow 0
		.amdhsa_exception_fp_ieee_underflow 0
		.amdhsa_exception_fp_ieee_inexact 0
		.amdhsa_exception_int_div_zero 0
	.end_amdhsa_kernel
	.section	.text._ZL37rocblas_syrkx_herkx_restricted_kernelIl19rocblas_complex_numIdELi16ELi32ELi8ELi1ELin1ELb1ELc78ELc85EKS1_S1_EviT_PT9_S3_lS5_S3_lPT10_S3_li,"axG",@progbits,_ZL37rocblas_syrkx_herkx_restricted_kernelIl19rocblas_complex_numIdELi16ELi32ELi8ELi1ELin1ELb1ELc78ELc85EKS1_S1_EviT_PT9_S3_lS5_S3_lPT10_S3_li,comdat
.Lfunc_end1322:
	.size	_ZL37rocblas_syrkx_herkx_restricted_kernelIl19rocblas_complex_numIdELi16ELi32ELi8ELi1ELin1ELb1ELc78ELc85EKS1_S1_EviT_PT9_S3_lS5_S3_lPT10_S3_li, .Lfunc_end1322-_ZL37rocblas_syrkx_herkx_restricted_kernelIl19rocblas_complex_numIdELi16ELi32ELi8ELi1ELin1ELb1ELc78ELc85EKS1_S1_EviT_PT9_S3_lS5_S3_lPT10_S3_li
                                        ; -- End function
	.section	.AMDGPU.csdata,"",@progbits
; Kernel info:
; codeLenInByte = 3168
; NumSgprs: 34
; NumVgprs: 118
; ScratchSize: 0
; MemoryBound: 0
; FloatMode: 240
; IeeeMode: 1
; LDSByteSize: 8192 bytes/workgroup (compile time only)
; SGPRBlocks: 4
; VGPRBlocks: 14
; NumSGPRsForWavesPerEU: 34
; NumVGPRsForWavesPerEU: 118
; Occupancy: 12
; WaveLimiterHint : 1
; COMPUTE_PGM_RSRC2:SCRATCH_EN: 0
; COMPUTE_PGM_RSRC2:USER_SGPR: 13
; COMPUTE_PGM_RSRC2:TRAP_HANDLER: 0
; COMPUTE_PGM_RSRC2:TGID_X_EN: 1
; COMPUTE_PGM_RSRC2:TGID_Y_EN: 1
; COMPUTE_PGM_RSRC2:TGID_Z_EN: 1
; COMPUTE_PGM_RSRC2:TIDIG_COMP_CNT: 1
	.section	.text._ZL37rocblas_syrkx_herkx_restricted_kernelIl19rocblas_complex_numIdELi16ELi32ELi8ELi1ELi0ELb1ELc84ELc76EKS1_S1_EviT_PT9_S3_lS5_S3_lPT10_S3_li,"axG",@progbits,_ZL37rocblas_syrkx_herkx_restricted_kernelIl19rocblas_complex_numIdELi16ELi32ELi8ELi1ELi0ELb1ELc84ELc76EKS1_S1_EviT_PT9_S3_lS5_S3_lPT10_S3_li,comdat
	.globl	_ZL37rocblas_syrkx_herkx_restricted_kernelIl19rocblas_complex_numIdELi16ELi32ELi8ELi1ELi0ELb1ELc84ELc76EKS1_S1_EviT_PT9_S3_lS5_S3_lPT10_S3_li ; -- Begin function _ZL37rocblas_syrkx_herkx_restricted_kernelIl19rocblas_complex_numIdELi16ELi32ELi8ELi1ELi0ELb1ELc84ELc76EKS1_S1_EviT_PT9_S3_lS5_S3_lPT10_S3_li
	.p2align	8
	.type	_ZL37rocblas_syrkx_herkx_restricted_kernelIl19rocblas_complex_numIdELi16ELi32ELi8ELi1ELi0ELb1ELc84ELc76EKS1_S1_EviT_PT9_S3_lS5_S3_lPT10_S3_li,@function
_ZL37rocblas_syrkx_herkx_restricted_kernelIl19rocblas_complex_numIdELi16ELi32ELi8ELi1ELi0ELb1ELc84ELc76EKS1_S1_EviT_PT9_S3_lS5_S3_lPT10_S3_li: ; @_ZL37rocblas_syrkx_herkx_restricted_kernelIl19rocblas_complex_numIdELi16ELi32ELi8ELi1ELi0ELb1ELc84ELc76EKS1_S1_EviT_PT9_S3_lS5_S3_lPT10_S3_li
; %bb.0:
	s_load_b512 s[16:31], s[0:1], 0x8
	v_mov_b32_e32 v6, 0
	v_dual_mov_b32 v7, 0 :: v_dual_and_b32 v20, 0x3ff, v0
	v_bfe_u32 v21, v0, 10, 10
	s_delay_alu instid0(VALU_DEP_3) | instskip(NEXT) | instid1(VALU_DEP_3)
	v_mov_b32_e32 v4, v6
	v_dual_mov_b32 v2, v6 :: v_dual_mov_b32 v3, v7
	v_dual_mov_b32 v19, v7 :: v_dual_mov_b32 v18, v6
	v_mov_b32_e32 v5, v7
	v_dual_mov_b32 v17, v7 :: v_dual_mov_b32 v16, v6
	v_dual_mov_b32 v15, v7 :: v_dual_mov_b32 v14, v6
	;; [unrolled: 1-line block ×4, first 2 shown]
	s_lshl_b32 s8, s13, 5
	s_waitcnt lgkmcnt(0)
	v_cmp_lt_i64_e64 s2, s[16:17], 1
	s_lshl_b32 s9, s14, 5
	s_delay_alu instid0(VALU_DEP_1)
	s_and_b32 vcc_lo, exec_lo, s2
	s_cbranch_vccnz .LBB1323_3
; %bb.1:
	v_lshl_add_u32 v2, v21, 4, v20
	v_dual_mov_b32 v1, 0 :: v_dual_and_b32 v0, 7, v20
	v_lshlrev_b32_e32 v22, 4, v20
	s_mul_i32 s3, s23, s15
	s_delay_alu instid0(VALU_DEP_3)
	v_and_b32_e32 v8, 31, v2
	v_lshrrev_b32_e32 v9, 3, v2
	v_lshrrev_b32_e32 v2, 5, v2
	v_mov_b32_e32 v3, v1
	v_lshlrev_b32_e32 v11, 4, v0
	v_add_nc_u32_e32 v6, s8, v8
	v_add_nc_u32_e32 v10, s9, v9
	s_mul_hi_u32 s4, s22, s15
	s_mul_i32 s2, s22, s15
	s_add_i32 s3, s4, s3
	v_ashrrev_i32_e32 v7, 31, v6
	v_ashrrev_i32_e32 v12, 31, v10
	v_mad_u64_u32 v[4:5], null, s20, v6, v[2:3]
	v_mul_lo_u32 v3, s21, v6
	s_delay_alu instid0(VALU_DEP_4)
	v_mul_lo_u32 v13, s20, v7
	v_mul_lo_u32 v14, v10, s27
	v_mad_u64_u32 v[6:7], null, v10, s26, v[0:1]
	v_mul_lo_u32 v0, v12, s26
	s_lshl_b64 s[2:3], s[2:3], 4
	s_mul_hi_u32 s5, s28, s15
	s_add_u32 s4, s18, s2
	s_delay_alu instid0(VALU_DEP_4)
	v_add3_u32 v5, v3, v5, v13
	v_mov_b32_e32 v12, 0
	v_mov_b32_e32 v13, 0
	v_lshlrev_b32_e32 v1, 4, v8
	v_add3_u32 v7, v0, v7, v14
	s_mul_i32 s2, s29, s15
	s_addc_u32 s6, s19, s3
	v_dual_mov_b32 v15, v13 :: v_dual_mov_b32 v14, v12
	v_lshl_or_b32 v23, v2, 9, v1
	v_lshlrev_b64 v[0:1], 4, v[4:5]
	s_add_i32 s3, s5, s2
	s_mul_i32 s2, s28, s15
	v_lshlrev_b64 v[2:3], 4, v[6:7]
	s_lshl_b64 s[2:3], s[2:3], 4
	v_lshl_or_b32 v8, v9, 7, v11
	v_add_co_u32 v0, vcc_lo, s4, v0
	s_add_u32 s2, s24, s2
	v_add_co_ci_u32_e32 v1, vcc_lo, s6, v1, vcc_lo
	s_addc_u32 s3, s25, s3
	v_add_co_u32 v2, vcc_lo, s2, v2
	v_add_co_ci_u32_e32 v3, vcc_lo, s3, v3, vcc_lo
	v_add_nc_u32_e32 v24, 0x1000, v8
	v_add_co_u32 v8, vcc_lo, v0, 8
	v_add_co_ci_u32_e32 v9, vcc_lo, 0, v1, vcc_lo
	v_add_co_u32 v10, vcc_lo, v2, 8
	v_dual_mov_b32 v0, v12 :: v_dual_mov_b32 v17, v13
	v_add_co_ci_u32_e32 v11, vcc_lo, 0, v3, vcc_lo
	v_mov_b32_e32 v2, v12
	v_dual_mov_b32 v16, v12 :: v_dual_mov_b32 v19, v13
	v_mov_b32_e32 v4, v12
	v_dual_mov_b32 v6, v12 :: v_dual_mov_b32 v7, v13
	v_lshl_add_u32 v25, v21, 7, 0x1000
	v_mov_b32_e32 v1, v13
	v_mov_b32_e32 v3, v13
	v_dual_mov_b32 v5, v13 :: v_dual_mov_b32 v18, v12
	s_mov_b64 s[2:3], 0
.LBB1323_2:                             ; =>This Inner Loop Header: Depth=1
	global_load_b128 v[26:29], v[8:9], off offset:-8
	global_load_b128 v[30:33], v[10:11], off offset:-8
	s_add_u32 s2, s2, 8
	v_add_co_u32 v8, vcc_lo, 0x80, v8
	s_addc_u32 s3, s3, 0
	v_add_co_ci_u32_e32 v9, vcc_lo, 0, v9, vcc_lo
	v_cmp_ge_u64_e64 s4, s[2:3], s[16:17]
	v_add_co_u32 v10, vcc_lo, 0x80, v10
	v_add_co_ci_u32_e32 v11, vcc_lo, 0, v11, vcc_lo
	s_waitcnt vmcnt(1)
	ds_store_b128 v23, v[26:29]
	s_waitcnt vmcnt(0)
	ds_store_b128 v24, v[30:33]
	s_waitcnt lgkmcnt(0)
	s_barrier
	buffer_gl0_inv
	ds_load_b128 v[26:29], v25
	ds_load_b128 v[30:33], v22
	ds_load_b128 v[34:37], v22 offset:256
	ds_load_b128 v[38:41], v25 offset:2048
	;; [unrolled: 1-line block ×13, first 2 shown]
	s_and_b32 vcc_lo, exec_lo, s4
	s_waitcnt lgkmcnt(13)
	v_mul_f64 v[86:87], v[28:29], v[32:33]
	v_mul_f64 v[88:89], v[26:27], v[32:33]
	s_waitcnt lgkmcnt(12)
	v_mul_f64 v[90:91], v[28:29], v[36:37]
	v_mul_f64 v[92:93], v[26:27], v[36:37]
	;; [unrolled: 3-line block ×3, first 2 shown]
	v_mul_f64 v[96:97], v[40:41], v[36:37]
	v_mul_f64 v[36:37], v[38:39], v[36:37]
	s_waitcnt lgkmcnt(8)
	v_mul_f64 v[98:99], v[44:45], v[52:53]
	v_mul_f64 v[100:101], v[42:43], v[52:53]
	s_waitcnt lgkmcnt(7)
	v_mul_f64 v[102:103], v[44:45], v[56:57]
	v_mul_f64 v[104:105], v[42:43], v[56:57]
	;; [unrolled: 1-line block ×6, first 2 shown]
	s_waitcnt lgkmcnt(3)
	v_mul_f64 v[112:113], v[58:59], v[72:73]
	s_waitcnt lgkmcnt(2)
	v_mul_f64 v[114:115], v[76:77], v[68:69]
	v_mul_f64 v[116:117], v[76:77], v[72:73]
	v_fma_f64 v[86:87], v[26:27], v[30:31], -v[86:87]
	v_fma_f64 v[88:89], v[28:29], v[30:31], v[88:89]
	v_fma_f64 v[90:91], v[26:27], v[34:35], -v[90:91]
	v_fma_f64 v[92:93], v[28:29], v[34:35], v[92:93]
	;; [unrolled: 2-line block ×4, first 2 shown]
	v_mul_f64 v[36:37], v[60:61], v[68:69]
	v_mul_f64 v[40:41], v[58:59], v[68:69]
	;; [unrolled: 1-line block ×5, first 2 shown]
	v_fma_f64 v[98:99], v[42:43], v[50:51], -v[98:99]
	v_fma_f64 v[100:101], v[44:45], v[50:51], v[100:101]
	v_fma_f64 v[42:43], v[42:43], v[54:55], -v[102:103]
	v_fma_f64 v[44:45], v[44:45], v[54:55], v[104:105]
	;; [unrolled: 2-line block ×4, first 2 shown]
	ds_load_b128 v[26:29], v22 offset:1792
	ds_load_b128 v[30:33], v22 offset:2048
	v_add_f64 v[52:53], v[6:7], v[86:87]
	v_add_f64 v[18:19], v[18:19], v[88:89]
	;; [unrolled: 1-line block ×8, first 2 shown]
	s_waitcnt lgkmcnt(2)
	v_mul_f64 v[86:87], v[64:65], v[84:85]
	v_mul_f64 v[88:89], v[62:63], v[84:85]
	s_waitcnt lgkmcnt(1)
	v_mul_f64 v[90:91], v[64:65], v[28:29]
	v_mul_f64 v[92:93], v[62:63], v[28:29]
	v_mul_f64 v[94:95], v[80:81], v[84:85]
	v_mul_f64 v[84:85], v[78:79], v[84:85]
	v_mul_f64 v[104:105], v[80:81], v[28:29]
	v_mul_f64 v[28:29], v[78:79], v[28:29]
	v_fma_f64 v[106:107], v[58:59], v[66:67], -v[36:37]
	v_fma_f64 v[108:109], v[60:61], v[66:67], v[40:41]
	v_fma_f64 v[58:59], v[58:59], v[70:71], -v[96:97]
	v_fma_f64 v[60:61], v[60:61], v[70:71], v[112:113]
	;; [unrolled: 2-line block ×4, first 2 shown]
	ds_load_b128 v[0:3], v22 offset:2304
	ds_load_b128 v[4:7], v25 offset:64
	v_add_f64 v[52:53], v[52:53], v[98:99]
	v_add_f64 v[72:73], v[18:19], v[100:101]
	;; [unrolled: 1-line block ×8, first 2 shown]
	ds_load_b128 v[12:15], v25 offset:2112
	ds_load_b128 v[16:19], v25 offset:80
	;; [unrolled: 1-line block ×4, first 2 shown]
	s_waitcnt lgkmcnt(4)
	v_mul_f64 v[56:57], v[6:7], v[32:33]
	v_mul_f64 v[74:75], v[4:5], v[32:33]
	;; [unrolled: 1-line block ×4, first 2 shown]
	v_fma_f64 v[86:87], v[62:63], v[82:83], -v[86:87]
	v_fma_f64 v[88:89], v[64:65], v[82:83], v[88:89]
	v_fma_f64 v[62:63], v[62:63], v[26:27], -v[90:91]
	v_fma_f64 v[64:65], v[64:65], v[26:27], v[92:93]
	;; [unrolled: 2-line block ×4, first 2 shown]
	s_waitcnt lgkmcnt(3)
	v_mul_f64 v[100:101], v[14:15], v[32:33]
	v_mul_f64 v[32:33], v[12:13], v[32:33]
	v_mul_f64 v[102:103], v[14:15], v[2:3]
	v_mul_f64 v[2:3], v[12:13], v[2:3]
	s_waitcnt lgkmcnt(0)
	v_mul_f64 v[92:93], v[18:19], v[40:41]
	v_mul_f64 v[94:95], v[16:17], v[40:41]
	v_add_f64 v[84:85], v[52:53], v[106:107]
	v_add_f64 v[72:73], v[72:73], v[108:109]
	;; [unrolled: 1-line block ×8, first 2 shown]
	ds_load_b128 v[26:29], v22 offset:2816
	ds_load_b128 v[42:45], v22 offset:3072
	;; [unrolled: 1-line block ×4, first 2 shown]
	v_mul_f64 v[106:107], v[36:37], v[40:41]
	v_mul_f64 v[40:41], v[34:35], v[40:41]
	v_fma_f64 v[56:57], v[4:5], v[30:31], -v[56:57]
	v_fma_f64 v[74:75], v[6:7], v[30:31], v[74:75]
	v_fma_f64 v[76:77], v[4:5], v[0:1], -v[76:77]
	v_fma_f64 v[98:99], v[6:7], v[0:1], v[98:99]
	s_waitcnt lgkmcnt(3)
	v_mul_f64 v[96:97], v[18:19], v[28:29]
	v_mul_f64 v[104:105], v[16:17], v[28:29]
	;; [unrolled: 1-line block ×4, first 2 shown]
	v_fma_f64 v[100:101], v[12:13], v[30:31], -v[100:101]
	v_fma_f64 v[32:33], v[14:15], v[30:31], v[32:33]
	v_fma_f64 v[102:103], v[12:13], v[0:1], -v[102:103]
	v_fma_f64 v[112:113], v[14:15], v[0:1], v[2:3]
	ds_load_b128 v[0:3], v25 offset:2144
	ds_load_b128 v[4:7], v25 offset:112
	;; [unrolled: 1-line block ×4, first 2 shown]
	v_add_f64 v[84:85], v[84:85], v[86:87]
	v_add_f64 v[72:73], v[72:73], v[88:89]
	;; [unrolled: 1-line block ×8, first 2 shown]
	s_waitcnt lgkmcnt(4)
	v_mul_f64 v[68:69], v[52:53], v[44:45]
	v_mul_f64 v[70:71], v[50:51], v[44:45]
	;; [unrolled: 1-line block ×4, first 2 shown]
	s_waitcnt lgkmcnt(3)
	v_mul_f64 v[82:83], v[2:3], v[44:45]
	v_mul_f64 v[44:45], v[0:1], v[44:45]
	;; [unrolled: 1-line block ×4, first 2 shown]
	v_fma_f64 v[88:89], v[16:17], v[38:39], -v[92:93]
	v_fma_f64 v[90:91], v[18:19], v[38:39], v[94:95]
	v_fma_f64 v[92:93], v[16:17], v[26:27], -v[96:97]
	v_fma_f64 v[94:95], v[18:19], v[26:27], v[104:105]
	;; [unrolled: 2-line block ×4, first 2 shown]
	ds_load_b128 v[16:19], v22 offset:3840
	s_waitcnt lgkmcnt(0)
	s_barrier
	buffer_gl0_inv
	v_add_f64 v[36:37], v[84:85], v[56:57]
	v_add_f64 v[40:41], v[72:73], v[74:75]
	;; [unrolled: 1-line block ×8, first 2 shown]
	v_mul_f64 v[64:65], v[6:7], v[30:31]
	v_mul_f64 v[66:67], v[4:5], v[30:31]
	;; [unrolled: 1-line block ×4, first 2 shown]
	v_fma_f64 v[68:69], v[50:51], v[42:43], -v[68:69]
	v_mul_f64 v[72:73], v[6:7], v[18:19]
	v_mul_f64 v[74:75], v[4:5], v[18:19]
	;; [unrolled: 1-line block ×4, first 2 shown]
	v_fma_f64 v[70:71], v[52:53], v[42:43], v[70:71]
	v_fma_f64 v[50:51], v[50:51], v[46:47], -v[78:79]
	v_fma_f64 v[52:53], v[52:53], v[46:47], v[80:81]
	v_fma_f64 v[78:79], v[0:1], v[42:43], -v[82:83]
	;; [unrolled: 2-line block ×3, first 2 shown]
	v_fma_f64 v[2:3], v[2:3], v[46:47], v[48:49]
	v_add_f64 v[36:37], v[36:37], v[88:89]
	v_add_f64 v[40:41], v[40:41], v[90:91]
	;; [unrolled: 1-line block ×8, first 2 shown]
	v_fma_f64 v[38:39], v[4:5], v[28:29], -v[64:65]
	v_fma_f64 v[54:55], v[6:7], v[28:29], v[66:67]
	v_fma_f64 v[58:59], v[12:13], v[28:29], -v[76:77]
	v_fma_f64 v[28:29], v[14:15], v[28:29], v[30:31]
	;; [unrolled: 2-line block ×4, first 2 shown]
	v_add_f64 v[6:7], v[36:37], v[68:69]
	v_add_f64 v[14:15], v[40:41], v[70:71]
	;; [unrolled: 1-line block ×16, first 2 shown]
	s_cbranch_vccz .LBB1323_2
.LBB1323_3:
	s_clause 0x1
	s_load_b128 s[4:7], s[0:1], 0x48
	s_load_b32 s2, s[0:1], 0x0
	v_add_nc_u32_e32 v21, s9, v21
	v_add_nc_u32_e32 v10, s8, v20
	s_delay_alu instid0(VALU_DEP_2) | instskip(NEXT) | instid1(VALU_DEP_2)
	v_ashrrev_i32_e32 v8, 31, v21
	v_cmp_le_i32_e64 s0, v21, v10
	s_waitcnt lgkmcnt(0)
	s_delay_alu instid0(VALU_DEP_2)
	v_mul_lo_u32 v11, v8, s4
	v_mul_lo_u32 v22, v21, s5
	v_mad_u64_u32 v[8:9], null, v21, s4, 0
	s_mul_i32 s1, s15, s7
	s_mul_hi_u32 s3, s15, s6
	s_mul_i32 s6, s15, s6
	s_add_i32 s7, s3, s1
	v_cmp_gt_i32_e32 vcc_lo, s2, v10
	s_lshl_b64 s[6:7], s[6:7], 4
	s_delay_alu instid0(VALU_DEP_2) | instskip(SKIP_3) | instid1(VALU_DEP_1)
	v_add3_u32 v9, v9, v22, v11
	s_add_u32 s3, s30, s6
	s_addc_u32 s6, s31, s7
	s_and_b32 s0, s0, vcc_lo
	v_lshlrev_b64 v[8:9], 4, v[8:9]
	s_delay_alu instid0(VALU_DEP_1) | instskip(NEXT) | instid1(VALU_DEP_1)
	v_add_co_u32 v20, s1, s3, v8
	v_add_co_ci_u32_e64 v22, s1, s6, v9, s1
	s_and_saveexec_b32 s7, s0
	s_cbranch_execz .LBB1323_5
; %bb.4:
	v_ashrrev_i32_e32 v11, 31, v10
	v_cmp_ne_u32_e64 s0, v21, v10
	s_delay_alu instid0(VALU_DEP_2) | instskip(NEXT) | instid1(VALU_DEP_2)
	v_lshlrev_b64 v[23:24], 4, v[10:11]
	v_cndmask_b32_e64 v9, 0, v19, s0
	v_cndmask_b32_e64 v8, 0, v18, s0
	s_delay_alu instid0(VALU_DEP_3) | instskip(NEXT) | instid1(VALU_DEP_1)
	v_add_co_u32 v23, s1, v20, v23
	v_add_co_ci_u32_e64 v24, s1, v22, v24, s1
	global_store_b128 v[23:24], v[6:9], off
.LBB1323_5:
	s_or_b32 exec_lo, exec_lo, s7
	v_add_nc_u32_e32 v8, 16, v10
	s_delay_alu instid0(VALU_DEP_1) | instskip(SKIP_1) | instid1(VALU_DEP_1)
	v_cmp_le_i32_e64 s1, v21, v8
	v_cmp_gt_i32_e64 s0, s2, v8
	s_and_b32 s1, s1, s0
	s_delay_alu instid0(SALU_CYCLE_1)
	s_and_saveexec_b32 s7, s1
	s_cbranch_execz .LBB1323_7
; %bb.6:
	v_ashrrev_i32_e32 v9, 31, v8
	v_cmp_ne_u32_e64 s1, v21, v8
	s_delay_alu instid0(VALU_DEP_2) | instskip(NEXT) | instid1(VALU_DEP_2)
	v_lshlrev_b64 v[18:19], 4, v[8:9]
	v_cndmask_b32_e64 v7, 0, v17, s1
	v_cndmask_b32_e64 v6, 0, v16, s1
	s_delay_alu instid0(VALU_DEP_3) | instskip(NEXT) | instid1(VALU_DEP_1)
	v_add_co_u32 v17, s2, v20, v18
	v_add_co_ci_u32_e64 v18, s2, v22, v19, s2
	global_store_b128 v[17:18], v[4:7], off
.LBB1323_7:
	s_or_b32 exec_lo, exec_lo, s7
	v_add_nc_u32_e32 v9, 16, v21
	s_delay_alu instid0(VALU_DEP_1) | instskip(SKIP_3) | instid1(VALU_DEP_4)
	v_ashrrev_i32_e32 v6, 31, v9
	v_mul_lo_u32 v7, v9, s5
	v_mad_u64_u32 v[4:5], null, v9, s4, 0
	v_cmp_le_i32_e64 s1, v9, v10
	v_mul_lo_u32 v6, v6, s4
	s_delay_alu instid0(VALU_DEP_2) | instskip(NEXT) | instid1(VALU_DEP_1)
	s_and_b32 s1, s1, vcc_lo
	v_add3_u32 v5, v5, v7, v6
	s_delay_alu instid0(VALU_DEP_1) | instskip(NEXT) | instid1(VALU_DEP_1)
	v_lshlrev_b64 v[4:5], 4, v[4:5]
	v_add_co_u32 v6, s2, s3, v4
	s_delay_alu instid0(VALU_DEP_1)
	v_add_co_ci_u32_e64 v7, s2, s6, v5, s2
	s_and_saveexec_b32 s2, s1
	s_cbranch_execz .LBB1323_9
; %bb.8:
	v_ashrrev_i32_e32 v11, 31, v10
	v_cmp_ne_u32_e32 vcc_lo, v9, v10
	s_delay_alu instid0(VALU_DEP_2) | instskip(SKIP_1) | instid1(VALU_DEP_2)
	v_lshlrev_b64 v[16:17], 4, v[10:11]
	v_dual_cndmask_b32 v5, 0, v15 :: v_dual_cndmask_b32 v4, 0, v14
	v_add_co_u32 v15, s1, v6, v16
	s_delay_alu instid0(VALU_DEP_1)
	v_add_co_ci_u32_e64 v16, s1, v7, v17, s1
	global_store_b128 v[15:16], v[2:5], off
.LBB1323_9:
	s_or_b32 exec_lo, exec_lo, s2
	v_cmp_le_i32_e32 vcc_lo, v9, v8
	s_and_b32 s0, vcc_lo, s0
	s_delay_alu instid0(SALU_CYCLE_1)
	s_and_saveexec_b32 s1, s0
	s_cbranch_execz .LBB1323_11
; %bb.10:
	v_ashrrev_i32_e32 v9, 31, v8
	v_cmp_ne_u32_e32 vcc_lo, v21, v10
	s_delay_alu instid0(VALU_DEP_2) | instskip(SKIP_1) | instid1(VALU_DEP_2)
	v_lshlrev_b64 v[4:5], 4, v[8:9]
	v_dual_cndmask_b32 v3, 0, v13 :: v_dual_cndmask_b32 v2, 0, v12
	v_add_co_u32 v4, s0, v6, v4
	s_delay_alu instid0(VALU_DEP_1)
	v_add_co_ci_u32_e64 v5, s0, v7, v5, s0
	global_store_b128 v[4:5], v[0:3], off
.LBB1323_11:
	s_nop 0
	s_sendmsg sendmsg(MSG_DEALLOC_VGPRS)
	s_endpgm
	.section	.rodata,"a",@progbits
	.p2align	6, 0x0
	.amdhsa_kernel _ZL37rocblas_syrkx_herkx_restricted_kernelIl19rocblas_complex_numIdELi16ELi32ELi8ELi1ELi0ELb1ELc84ELc76EKS1_S1_EviT_PT9_S3_lS5_S3_lPT10_S3_li
		.amdhsa_group_segment_fixed_size 8192
		.amdhsa_private_segment_fixed_size 0
		.amdhsa_kernarg_size 92
		.amdhsa_user_sgpr_count 13
		.amdhsa_user_sgpr_dispatch_ptr 0
		.amdhsa_user_sgpr_queue_ptr 0
		.amdhsa_user_sgpr_kernarg_segment_ptr 1
		.amdhsa_user_sgpr_dispatch_id 0
		.amdhsa_user_sgpr_private_segment_size 0
		.amdhsa_wavefront_size32 1
		.amdhsa_uses_dynamic_stack 0
		.amdhsa_enable_private_segment 0
		.amdhsa_system_sgpr_workgroup_id_x 1
		.amdhsa_system_sgpr_workgroup_id_y 1
		.amdhsa_system_sgpr_workgroup_id_z 1
		.amdhsa_system_sgpr_workgroup_info 0
		.amdhsa_system_vgpr_workitem_id 1
		.amdhsa_next_free_vgpr 118
		.amdhsa_next_free_sgpr 32
		.amdhsa_reserve_vcc 1
		.amdhsa_float_round_mode_32 0
		.amdhsa_float_round_mode_16_64 0
		.amdhsa_float_denorm_mode_32 3
		.amdhsa_float_denorm_mode_16_64 3
		.amdhsa_dx10_clamp 1
		.amdhsa_ieee_mode 1
		.amdhsa_fp16_overflow 0
		.amdhsa_workgroup_processor_mode 1
		.amdhsa_memory_ordered 1
		.amdhsa_forward_progress 0
		.amdhsa_shared_vgpr_count 0
		.amdhsa_exception_fp_ieee_invalid_op 0
		.amdhsa_exception_fp_denorm_src 0
		.amdhsa_exception_fp_ieee_div_zero 0
		.amdhsa_exception_fp_ieee_overflow 0
		.amdhsa_exception_fp_ieee_underflow 0
		.amdhsa_exception_fp_ieee_inexact 0
		.amdhsa_exception_int_div_zero 0
	.end_amdhsa_kernel
	.section	.text._ZL37rocblas_syrkx_herkx_restricted_kernelIl19rocblas_complex_numIdELi16ELi32ELi8ELi1ELi0ELb1ELc84ELc76EKS1_S1_EviT_PT9_S3_lS5_S3_lPT10_S3_li,"axG",@progbits,_ZL37rocblas_syrkx_herkx_restricted_kernelIl19rocblas_complex_numIdELi16ELi32ELi8ELi1ELi0ELb1ELc84ELc76EKS1_S1_EviT_PT9_S3_lS5_S3_lPT10_S3_li,comdat
.Lfunc_end1323:
	.size	_ZL37rocblas_syrkx_herkx_restricted_kernelIl19rocblas_complex_numIdELi16ELi32ELi8ELi1ELi0ELb1ELc84ELc76EKS1_S1_EviT_PT9_S3_lS5_S3_lPT10_S3_li, .Lfunc_end1323-_ZL37rocblas_syrkx_herkx_restricted_kernelIl19rocblas_complex_numIdELi16ELi32ELi8ELi1ELi0ELb1ELc84ELc76EKS1_S1_EviT_PT9_S3_lS5_S3_lPT10_S3_li
                                        ; -- End function
	.section	.AMDGPU.csdata,"",@progbits
; Kernel info:
; codeLenInByte = 3056
; NumSgprs: 34
; NumVgprs: 118
; ScratchSize: 0
; MemoryBound: 0
; FloatMode: 240
; IeeeMode: 1
; LDSByteSize: 8192 bytes/workgroup (compile time only)
; SGPRBlocks: 4
; VGPRBlocks: 14
; NumSGPRsForWavesPerEU: 34
; NumVGPRsForWavesPerEU: 118
; Occupancy: 12
; WaveLimiterHint : 1
; COMPUTE_PGM_RSRC2:SCRATCH_EN: 0
; COMPUTE_PGM_RSRC2:USER_SGPR: 13
; COMPUTE_PGM_RSRC2:TRAP_HANDLER: 0
; COMPUTE_PGM_RSRC2:TGID_X_EN: 1
; COMPUTE_PGM_RSRC2:TGID_Y_EN: 1
; COMPUTE_PGM_RSRC2:TGID_Z_EN: 1
; COMPUTE_PGM_RSRC2:TIDIG_COMP_CNT: 1
	.section	.text._ZL37rocblas_syrkx_herkx_restricted_kernelIl19rocblas_complex_numIdELi16ELi32ELi8ELi1ELi0ELb1ELc67ELc76EKS1_S1_EviT_PT9_S3_lS5_S3_lPT10_S3_li,"axG",@progbits,_ZL37rocblas_syrkx_herkx_restricted_kernelIl19rocblas_complex_numIdELi16ELi32ELi8ELi1ELi0ELb1ELc67ELc76EKS1_S1_EviT_PT9_S3_lS5_S3_lPT10_S3_li,comdat
	.globl	_ZL37rocblas_syrkx_herkx_restricted_kernelIl19rocblas_complex_numIdELi16ELi32ELi8ELi1ELi0ELb1ELc67ELc76EKS1_S1_EviT_PT9_S3_lS5_S3_lPT10_S3_li ; -- Begin function _ZL37rocblas_syrkx_herkx_restricted_kernelIl19rocblas_complex_numIdELi16ELi32ELi8ELi1ELi0ELb1ELc67ELc76EKS1_S1_EviT_PT9_S3_lS5_S3_lPT10_S3_li
	.p2align	8
	.type	_ZL37rocblas_syrkx_herkx_restricted_kernelIl19rocblas_complex_numIdELi16ELi32ELi8ELi1ELi0ELb1ELc67ELc76EKS1_S1_EviT_PT9_S3_lS5_S3_lPT10_S3_li,@function
_ZL37rocblas_syrkx_herkx_restricted_kernelIl19rocblas_complex_numIdELi16ELi32ELi8ELi1ELi0ELb1ELc67ELc76EKS1_S1_EviT_PT9_S3_lS5_S3_lPT10_S3_li: ; @_ZL37rocblas_syrkx_herkx_restricted_kernelIl19rocblas_complex_numIdELi16ELi32ELi8ELi1ELi0ELb1ELc67ELc76EKS1_S1_EviT_PT9_S3_lS5_S3_lPT10_S3_li
; %bb.0:
	s_load_b512 s[16:31], s[0:1], 0x8
	v_mov_b32_e32 v6, 0
	v_dual_mov_b32 v7, 0 :: v_dual_and_b32 v20, 0x3ff, v0
	v_bfe_u32 v21, v0, 10, 10
	s_delay_alu instid0(VALU_DEP_3) | instskip(NEXT) | instid1(VALU_DEP_3)
	v_mov_b32_e32 v4, v6
	v_dual_mov_b32 v2, v6 :: v_dual_mov_b32 v3, v7
	v_dual_mov_b32 v19, v7 :: v_dual_mov_b32 v18, v6
	v_mov_b32_e32 v5, v7
	v_dual_mov_b32 v17, v7 :: v_dual_mov_b32 v16, v6
	v_dual_mov_b32 v15, v7 :: v_dual_mov_b32 v14, v6
	;; [unrolled: 1-line block ×4, first 2 shown]
	s_lshl_b32 s8, s13, 5
	s_waitcnt lgkmcnt(0)
	v_cmp_lt_i64_e64 s2, s[16:17], 1
	s_lshl_b32 s9, s14, 5
	s_delay_alu instid0(VALU_DEP_1)
	s_and_b32 vcc_lo, exec_lo, s2
	s_cbranch_vccnz .LBB1324_3
; %bb.1:
	v_lshl_add_u32 v2, v21, 4, v20
	v_dual_mov_b32 v1, 0 :: v_dual_and_b32 v0, 7, v20
	v_lshlrev_b32_e32 v22, 4, v20
	s_mul_i32 s3, s23, s15
	s_delay_alu instid0(VALU_DEP_3)
	v_and_b32_e32 v8, 31, v2
	v_lshrrev_b32_e32 v9, 3, v2
	v_lshrrev_b32_e32 v2, 5, v2
	v_mov_b32_e32 v3, v1
	v_lshlrev_b32_e32 v11, 4, v0
	v_add_nc_u32_e32 v6, s8, v8
	v_add_nc_u32_e32 v10, s9, v9
	s_mul_hi_u32 s4, s22, s15
	s_mul_i32 s2, s22, s15
	s_add_i32 s3, s4, s3
	v_ashrrev_i32_e32 v7, 31, v6
	v_ashrrev_i32_e32 v12, 31, v10
	v_mad_u64_u32 v[4:5], null, s20, v6, v[2:3]
	v_mul_lo_u32 v3, s21, v6
	s_delay_alu instid0(VALU_DEP_4)
	v_mul_lo_u32 v13, s20, v7
	v_mul_lo_u32 v14, v10, s27
	v_mad_u64_u32 v[6:7], null, v10, s26, v[0:1]
	v_mul_lo_u32 v0, v12, s26
	s_lshl_b64 s[2:3], s[2:3], 4
	s_mul_hi_u32 s5, s28, s15
	s_add_u32 s4, s18, s2
	s_delay_alu instid0(VALU_DEP_4)
	v_add3_u32 v5, v3, v5, v13
	v_mov_b32_e32 v12, 0
	v_mov_b32_e32 v13, 0
	v_lshlrev_b32_e32 v1, 4, v8
	v_add3_u32 v7, v0, v7, v14
	s_mul_i32 s2, s29, s15
	s_addc_u32 s6, s19, s3
	v_dual_mov_b32 v15, v13 :: v_dual_mov_b32 v14, v12
	v_lshl_or_b32 v23, v2, 9, v1
	v_lshlrev_b64 v[0:1], 4, v[4:5]
	s_add_i32 s3, s5, s2
	s_mul_i32 s2, s28, s15
	v_lshlrev_b64 v[2:3], 4, v[6:7]
	s_lshl_b64 s[2:3], s[2:3], 4
	v_lshl_or_b32 v8, v9, 7, v11
	v_add_co_u32 v0, vcc_lo, s4, v0
	s_add_u32 s2, s24, s2
	v_add_co_ci_u32_e32 v1, vcc_lo, s6, v1, vcc_lo
	s_addc_u32 s3, s25, s3
	v_add_co_u32 v2, vcc_lo, s2, v2
	v_add_co_ci_u32_e32 v3, vcc_lo, s3, v3, vcc_lo
	v_add_nc_u32_e32 v24, 0x1000, v8
	v_add_co_u32 v8, vcc_lo, v0, 8
	v_add_co_ci_u32_e32 v9, vcc_lo, 0, v1, vcc_lo
	v_add_co_u32 v10, vcc_lo, v2, 8
	v_dual_mov_b32 v0, v12 :: v_dual_mov_b32 v17, v13
	v_add_co_ci_u32_e32 v11, vcc_lo, 0, v3, vcc_lo
	v_mov_b32_e32 v2, v12
	v_dual_mov_b32 v16, v12 :: v_dual_mov_b32 v19, v13
	v_mov_b32_e32 v4, v12
	v_dual_mov_b32 v6, v12 :: v_dual_mov_b32 v7, v13
	v_lshl_add_u32 v25, v21, 7, 0x1000
	v_mov_b32_e32 v1, v13
	v_mov_b32_e32 v3, v13
	v_dual_mov_b32 v5, v13 :: v_dual_mov_b32 v18, v12
	s_mov_b64 s[2:3], 0
.LBB1324_2:                             ; =>This Inner Loop Header: Depth=1
	global_load_b128 v[26:29], v[8:9], off offset:-8
	global_load_b128 v[30:33], v[10:11], off offset:-8
	s_add_u32 s2, s2, 8
	v_add_co_u32 v8, vcc_lo, 0x80, v8
	s_addc_u32 s3, s3, 0
	v_add_co_ci_u32_e32 v9, vcc_lo, 0, v9, vcc_lo
	v_cmp_ge_u64_e64 s4, s[2:3], s[16:17]
	v_add_co_u32 v10, vcc_lo, 0x80, v10
	v_add_co_ci_u32_e32 v11, vcc_lo, 0, v11, vcc_lo
	s_delay_alu instid0(VALU_DEP_3)
	s_and_b32 vcc_lo, exec_lo, s4
	s_waitcnt vmcnt(1)
	v_xor_b32_e32 v29, 0x80000000, v29
	ds_store_b128 v23, v[26:29]
	s_waitcnt vmcnt(0)
	ds_store_b128 v24, v[30:33]
	s_waitcnt lgkmcnt(0)
	s_barrier
	buffer_gl0_inv
	ds_load_b128 v[26:29], v25
	ds_load_b128 v[30:33], v22
	ds_load_b128 v[34:37], v22 offset:256
	ds_load_b128 v[38:41], v25 offset:2048
	;; [unrolled: 1-line block ×13, first 2 shown]
	s_waitcnt lgkmcnt(13)
	v_mul_f64 v[86:87], v[28:29], v[32:33]
	v_mul_f64 v[88:89], v[26:27], v[32:33]
	s_waitcnt lgkmcnt(12)
	v_mul_f64 v[90:91], v[28:29], v[36:37]
	v_mul_f64 v[92:93], v[26:27], v[36:37]
	;; [unrolled: 3-line block ×3, first 2 shown]
	v_mul_f64 v[96:97], v[40:41], v[36:37]
	v_mul_f64 v[36:37], v[38:39], v[36:37]
	s_waitcnt lgkmcnt(8)
	v_mul_f64 v[98:99], v[44:45], v[52:53]
	v_mul_f64 v[100:101], v[42:43], v[52:53]
	s_waitcnt lgkmcnt(7)
	v_mul_f64 v[102:103], v[44:45], v[56:57]
	v_mul_f64 v[104:105], v[42:43], v[56:57]
	;; [unrolled: 1-line block ×6, first 2 shown]
	s_waitcnt lgkmcnt(3)
	v_mul_f64 v[112:113], v[58:59], v[72:73]
	s_waitcnt lgkmcnt(2)
	v_mul_f64 v[114:115], v[76:77], v[68:69]
	v_mul_f64 v[116:117], v[76:77], v[72:73]
	v_fma_f64 v[86:87], v[26:27], v[30:31], -v[86:87]
	v_fma_f64 v[88:89], v[28:29], v[30:31], v[88:89]
	v_fma_f64 v[90:91], v[26:27], v[34:35], -v[90:91]
	v_fma_f64 v[92:93], v[28:29], v[34:35], v[92:93]
	;; [unrolled: 2-line block ×4, first 2 shown]
	v_mul_f64 v[36:37], v[60:61], v[68:69]
	v_mul_f64 v[40:41], v[58:59], v[68:69]
	;; [unrolled: 1-line block ×5, first 2 shown]
	v_fma_f64 v[98:99], v[42:43], v[50:51], -v[98:99]
	v_fma_f64 v[100:101], v[44:45], v[50:51], v[100:101]
	v_fma_f64 v[42:43], v[42:43], v[54:55], -v[102:103]
	v_fma_f64 v[44:45], v[44:45], v[54:55], v[104:105]
	;; [unrolled: 2-line block ×4, first 2 shown]
	ds_load_b128 v[26:29], v22 offset:1792
	ds_load_b128 v[30:33], v22 offset:2048
	v_add_f64 v[52:53], v[6:7], v[86:87]
	v_add_f64 v[18:19], v[18:19], v[88:89]
	;; [unrolled: 1-line block ×8, first 2 shown]
	s_waitcnt lgkmcnt(2)
	v_mul_f64 v[86:87], v[64:65], v[84:85]
	v_mul_f64 v[88:89], v[62:63], v[84:85]
	s_waitcnt lgkmcnt(1)
	v_mul_f64 v[90:91], v[64:65], v[28:29]
	v_mul_f64 v[92:93], v[62:63], v[28:29]
	;; [unrolled: 1-line block ×6, first 2 shown]
	v_fma_f64 v[106:107], v[58:59], v[66:67], -v[36:37]
	v_fma_f64 v[108:109], v[60:61], v[66:67], v[40:41]
	v_fma_f64 v[58:59], v[58:59], v[70:71], -v[96:97]
	v_fma_f64 v[60:61], v[60:61], v[70:71], v[112:113]
	;; [unrolled: 2-line block ×4, first 2 shown]
	ds_load_b128 v[0:3], v22 offset:2304
	ds_load_b128 v[4:7], v25 offset:64
	v_add_f64 v[52:53], v[52:53], v[98:99]
	v_add_f64 v[72:73], v[18:19], v[100:101]
	;; [unrolled: 1-line block ×8, first 2 shown]
	ds_load_b128 v[12:15], v25 offset:2112
	ds_load_b128 v[16:19], v25 offset:80
	;; [unrolled: 1-line block ×4, first 2 shown]
	s_waitcnt lgkmcnt(4)
	v_mul_f64 v[56:57], v[6:7], v[32:33]
	v_mul_f64 v[74:75], v[4:5], v[32:33]
	;; [unrolled: 1-line block ×4, first 2 shown]
	v_fma_f64 v[86:87], v[62:63], v[82:83], -v[86:87]
	v_fma_f64 v[88:89], v[64:65], v[82:83], v[88:89]
	v_fma_f64 v[62:63], v[62:63], v[26:27], -v[90:91]
	v_fma_f64 v[64:65], v[64:65], v[26:27], v[92:93]
	v_fma_f64 v[90:91], v[78:79], v[82:83], -v[94:95]
	v_fma_f64 v[82:83], v[80:81], v[82:83], v[84:85]
	v_fma_f64 v[78:79], v[78:79], v[26:27], -v[104:105]
	v_fma_f64 v[80:81], v[80:81], v[26:27], v[28:29]
	s_waitcnt lgkmcnt(3)
	v_mul_f64 v[100:101], v[14:15], v[32:33]
	v_mul_f64 v[32:33], v[12:13], v[32:33]
	;; [unrolled: 1-line block ×4, first 2 shown]
	s_waitcnt lgkmcnt(0)
	v_mul_f64 v[92:93], v[18:19], v[40:41]
	v_mul_f64 v[94:95], v[16:17], v[40:41]
	v_add_f64 v[84:85], v[52:53], v[106:107]
	v_add_f64 v[72:73], v[72:73], v[108:109]
	;; [unrolled: 1-line block ×8, first 2 shown]
	ds_load_b128 v[26:29], v22 offset:2816
	ds_load_b128 v[42:45], v22 offset:3072
	;; [unrolled: 1-line block ×4, first 2 shown]
	v_mul_f64 v[106:107], v[36:37], v[40:41]
	v_mul_f64 v[40:41], v[34:35], v[40:41]
	v_fma_f64 v[56:57], v[4:5], v[30:31], -v[56:57]
	v_fma_f64 v[74:75], v[6:7], v[30:31], v[74:75]
	v_fma_f64 v[76:77], v[4:5], v[0:1], -v[76:77]
	v_fma_f64 v[98:99], v[6:7], v[0:1], v[98:99]
	s_waitcnt lgkmcnt(3)
	v_mul_f64 v[96:97], v[18:19], v[28:29]
	v_mul_f64 v[104:105], v[16:17], v[28:29]
	;; [unrolled: 1-line block ×4, first 2 shown]
	v_fma_f64 v[100:101], v[12:13], v[30:31], -v[100:101]
	v_fma_f64 v[32:33], v[14:15], v[30:31], v[32:33]
	v_fma_f64 v[102:103], v[12:13], v[0:1], -v[102:103]
	v_fma_f64 v[112:113], v[14:15], v[0:1], v[2:3]
	ds_load_b128 v[0:3], v25 offset:2144
	ds_load_b128 v[4:7], v25 offset:112
	;; [unrolled: 1-line block ×4, first 2 shown]
	v_add_f64 v[84:85], v[84:85], v[86:87]
	v_add_f64 v[72:73], v[72:73], v[88:89]
	;; [unrolled: 1-line block ×8, first 2 shown]
	s_waitcnt lgkmcnt(4)
	v_mul_f64 v[68:69], v[52:53], v[44:45]
	v_mul_f64 v[70:71], v[50:51], v[44:45]
	;; [unrolled: 1-line block ×4, first 2 shown]
	s_waitcnt lgkmcnt(3)
	v_mul_f64 v[82:83], v[2:3], v[44:45]
	v_mul_f64 v[44:45], v[0:1], v[44:45]
	;; [unrolled: 1-line block ×4, first 2 shown]
	v_fma_f64 v[88:89], v[16:17], v[38:39], -v[92:93]
	v_fma_f64 v[90:91], v[18:19], v[38:39], v[94:95]
	v_fma_f64 v[92:93], v[16:17], v[26:27], -v[96:97]
	v_fma_f64 v[94:95], v[18:19], v[26:27], v[104:105]
	;; [unrolled: 2-line block ×4, first 2 shown]
	ds_load_b128 v[16:19], v22 offset:3840
	s_waitcnt lgkmcnt(0)
	s_barrier
	buffer_gl0_inv
	v_add_f64 v[36:37], v[84:85], v[56:57]
	v_add_f64 v[40:41], v[72:73], v[74:75]
	;; [unrolled: 1-line block ×8, first 2 shown]
	v_mul_f64 v[64:65], v[6:7], v[30:31]
	v_mul_f64 v[66:67], v[4:5], v[30:31]
	;; [unrolled: 1-line block ×4, first 2 shown]
	v_fma_f64 v[68:69], v[50:51], v[42:43], -v[68:69]
	v_mul_f64 v[72:73], v[6:7], v[18:19]
	v_mul_f64 v[74:75], v[4:5], v[18:19]
	;; [unrolled: 1-line block ×4, first 2 shown]
	v_fma_f64 v[70:71], v[52:53], v[42:43], v[70:71]
	v_fma_f64 v[50:51], v[50:51], v[46:47], -v[78:79]
	v_fma_f64 v[52:53], v[52:53], v[46:47], v[80:81]
	v_fma_f64 v[78:79], v[0:1], v[42:43], -v[82:83]
	;; [unrolled: 2-line block ×3, first 2 shown]
	v_fma_f64 v[2:3], v[2:3], v[46:47], v[48:49]
	v_add_f64 v[36:37], v[36:37], v[88:89]
	v_add_f64 v[40:41], v[40:41], v[90:91]
	v_add_f64 v[44:45], v[56:57], v[92:93]
	v_add_f64 v[46:47], v[58:59], v[94:95]
	v_add_f64 v[48:49], v[54:55], v[96:97]
	v_add_f64 v[32:33], v[32:33], v[38:39]
	v_add_f64 v[34:35], v[60:61], v[34:35]
	v_add_f64 v[26:27], v[62:63], v[26:27]
	v_fma_f64 v[38:39], v[4:5], v[28:29], -v[64:65]
	v_fma_f64 v[54:55], v[6:7], v[28:29], v[66:67]
	v_fma_f64 v[58:59], v[12:13], v[28:29], -v[76:77]
	v_fma_f64 v[28:29], v[14:15], v[28:29], v[30:31]
	;; [unrolled: 2-line block ×4, first 2 shown]
	v_add_f64 v[6:7], v[36:37], v[68:69]
	v_add_f64 v[14:15], v[40:41], v[70:71]
	;; [unrolled: 1-line block ×16, first 2 shown]
	s_cbranch_vccz .LBB1324_2
.LBB1324_3:
	s_clause 0x1
	s_load_b128 s[4:7], s[0:1], 0x48
	s_load_b32 s2, s[0:1], 0x0
	v_add_nc_u32_e32 v21, s9, v21
	v_add_nc_u32_e32 v10, s8, v20
	s_delay_alu instid0(VALU_DEP_2) | instskip(NEXT) | instid1(VALU_DEP_2)
	v_ashrrev_i32_e32 v8, 31, v21
	v_cmp_le_i32_e64 s0, v21, v10
	s_waitcnt lgkmcnt(0)
	s_delay_alu instid0(VALU_DEP_2)
	v_mul_lo_u32 v11, v8, s4
	v_mul_lo_u32 v22, v21, s5
	v_mad_u64_u32 v[8:9], null, v21, s4, 0
	s_mul_i32 s1, s15, s7
	s_mul_hi_u32 s3, s15, s6
	s_mul_i32 s6, s15, s6
	s_add_i32 s7, s3, s1
	v_cmp_gt_i32_e32 vcc_lo, s2, v10
	s_lshl_b64 s[6:7], s[6:7], 4
	s_delay_alu instid0(VALU_DEP_2) | instskip(SKIP_3) | instid1(VALU_DEP_1)
	v_add3_u32 v9, v9, v22, v11
	s_add_u32 s3, s30, s6
	s_addc_u32 s6, s31, s7
	s_and_b32 s0, s0, vcc_lo
	v_lshlrev_b64 v[8:9], 4, v[8:9]
	s_delay_alu instid0(VALU_DEP_1) | instskip(NEXT) | instid1(VALU_DEP_1)
	v_add_co_u32 v20, s1, s3, v8
	v_add_co_ci_u32_e64 v22, s1, s6, v9, s1
	s_and_saveexec_b32 s7, s0
	s_cbranch_execz .LBB1324_5
; %bb.4:
	v_ashrrev_i32_e32 v11, 31, v10
	v_cmp_ne_u32_e64 s0, v21, v10
	s_delay_alu instid0(VALU_DEP_2) | instskip(NEXT) | instid1(VALU_DEP_2)
	v_lshlrev_b64 v[23:24], 4, v[10:11]
	v_cndmask_b32_e64 v9, 0, v19, s0
	v_cndmask_b32_e64 v8, 0, v18, s0
	s_delay_alu instid0(VALU_DEP_3) | instskip(NEXT) | instid1(VALU_DEP_1)
	v_add_co_u32 v23, s1, v20, v23
	v_add_co_ci_u32_e64 v24, s1, v22, v24, s1
	global_store_b128 v[23:24], v[6:9], off
.LBB1324_5:
	s_or_b32 exec_lo, exec_lo, s7
	v_add_nc_u32_e32 v8, 16, v10
	s_delay_alu instid0(VALU_DEP_1) | instskip(SKIP_1) | instid1(VALU_DEP_1)
	v_cmp_le_i32_e64 s1, v21, v8
	v_cmp_gt_i32_e64 s0, s2, v8
	s_and_b32 s1, s1, s0
	s_delay_alu instid0(SALU_CYCLE_1)
	s_and_saveexec_b32 s7, s1
	s_cbranch_execz .LBB1324_7
; %bb.6:
	v_ashrrev_i32_e32 v9, 31, v8
	v_cmp_ne_u32_e64 s1, v21, v8
	s_delay_alu instid0(VALU_DEP_2) | instskip(NEXT) | instid1(VALU_DEP_2)
	v_lshlrev_b64 v[18:19], 4, v[8:9]
	v_cndmask_b32_e64 v7, 0, v17, s1
	v_cndmask_b32_e64 v6, 0, v16, s1
	s_delay_alu instid0(VALU_DEP_3) | instskip(NEXT) | instid1(VALU_DEP_1)
	v_add_co_u32 v17, s2, v20, v18
	v_add_co_ci_u32_e64 v18, s2, v22, v19, s2
	global_store_b128 v[17:18], v[4:7], off
.LBB1324_7:
	s_or_b32 exec_lo, exec_lo, s7
	v_add_nc_u32_e32 v9, 16, v21
	s_delay_alu instid0(VALU_DEP_1) | instskip(SKIP_3) | instid1(VALU_DEP_4)
	v_ashrrev_i32_e32 v6, 31, v9
	v_mul_lo_u32 v7, v9, s5
	v_mad_u64_u32 v[4:5], null, v9, s4, 0
	v_cmp_le_i32_e64 s1, v9, v10
	v_mul_lo_u32 v6, v6, s4
	s_delay_alu instid0(VALU_DEP_2) | instskip(NEXT) | instid1(VALU_DEP_1)
	s_and_b32 s1, s1, vcc_lo
	v_add3_u32 v5, v5, v7, v6
	s_delay_alu instid0(VALU_DEP_1) | instskip(NEXT) | instid1(VALU_DEP_1)
	v_lshlrev_b64 v[4:5], 4, v[4:5]
	v_add_co_u32 v6, s2, s3, v4
	s_delay_alu instid0(VALU_DEP_1)
	v_add_co_ci_u32_e64 v7, s2, s6, v5, s2
	s_and_saveexec_b32 s2, s1
	s_cbranch_execz .LBB1324_9
; %bb.8:
	v_ashrrev_i32_e32 v11, 31, v10
	v_cmp_ne_u32_e32 vcc_lo, v9, v10
	s_delay_alu instid0(VALU_DEP_2) | instskip(SKIP_1) | instid1(VALU_DEP_2)
	v_lshlrev_b64 v[16:17], 4, v[10:11]
	v_dual_cndmask_b32 v5, 0, v15 :: v_dual_cndmask_b32 v4, 0, v14
	v_add_co_u32 v15, s1, v6, v16
	s_delay_alu instid0(VALU_DEP_1)
	v_add_co_ci_u32_e64 v16, s1, v7, v17, s1
	global_store_b128 v[15:16], v[2:5], off
.LBB1324_9:
	s_or_b32 exec_lo, exec_lo, s2
	v_cmp_le_i32_e32 vcc_lo, v9, v8
	s_and_b32 s0, vcc_lo, s0
	s_delay_alu instid0(SALU_CYCLE_1)
	s_and_saveexec_b32 s1, s0
	s_cbranch_execz .LBB1324_11
; %bb.10:
	v_ashrrev_i32_e32 v9, 31, v8
	v_cmp_ne_u32_e32 vcc_lo, v21, v10
	s_delay_alu instid0(VALU_DEP_2) | instskip(SKIP_1) | instid1(VALU_DEP_2)
	v_lshlrev_b64 v[4:5], 4, v[8:9]
	v_dual_cndmask_b32 v3, 0, v13 :: v_dual_cndmask_b32 v2, 0, v12
	v_add_co_u32 v4, s0, v6, v4
	s_delay_alu instid0(VALU_DEP_1)
	v_add_co_ci_u32_e64 v5, s0, v7, v5, s0
	global_store_b128 v[4:5], v[0:3], off
.LBB1324_11:
	s_nop 0
	s_sendmsg sendmsg(MSG_DEALLOC_VGPRS)
	s_endpgm
	.section	.rodata,"a",@progbits
	.p2align	6, 0x0
	.amdhsa_kernel _ZL37rocblas_syrkx_herkx_restricted_kernelIl19rocblas_complex_numIdELi16ELi32ELi8ELi1ELi0ELb1ELc67ELc76EKS1_S1_EviT_PT9_S3_lS5_S3_lPT10_S3_li
		.amdhsa_group_segment_fixed_size 8192
		.amdhsa_private_segment_fixed_size 0
		.amdhsa_kernarg_size 92
		.amdhsa_user_sgpr_count 13
		.amdhsa_user_sgpr_dispatch_ptr 0
		.amdhsa_user_sgpr_queue_ptr 0
		.amdhsa_user_sgpr_kernarg_segment_ptr 1
		.amdhsa_user_sgpr_dispatch_id 0
		.amdhsa_user_sgpr_private_segment_size 0
		.amdhsa_wavefront_size32 1
		.amdhsa_uses_dynamic_stack 0
		.amdhsa_enable_private_segment 0
		.amdhsa_system_sgpr_workgroup_id_x 1
		.amdhsa_system_sgpr_workgroup_id_y 1
		.amdhsa_system_sgpr_workgroup_id_z 1
		.amdhsa_system_sgpr_workgroup_info 0
		.amdhsa_system_vgpr_workitem_id 1
		.amdhsa_next_free_vgpr 118
		.amdhsa_next_free_sgpr 32
		.amdhsa_reserve_vcc 1
		.amdhsa_float_round_mode_32 0
		.amdhsa_float_round_mode_16_64 0
		.amdhsa_float_denorm_mode_32 3
		.amdhsa_float_denorm_mode_16_64 3
		.amdhsa_dx10_clamp 1
		.amdhsa_ieee_mode 1
		.amdhsa_fp16_overflow 0
		.amdhsa_workgroup_processor_mode 1
		.amdhsa_memory_ordered 1
		.amdhsa_forward_progress 0
		.amdhsa_shared_vgpr_count 0
		.amdhsa_exception_fp_ieee_invalid_op 0
		.amdhsa_exception_fp_denorm_src 0
		.amdhsa_exception_fp_ieee_div_zero 0
		.amdhsa_exception_fp_ieee_overflow 0
		.amdhsa_exception_fp_ieee_underflow 0
		.amdhsa_exception_fp_ieee_inexact 0
		.amdhsa_exception_int_div_zero 0
	.end_amdhsa_kernel
	.section	.text._ZL37rocblas_syrkx_herkx_restricted_kernelIl19rocblas_complex_numIdELi16ELi32ELi8ELi1ELi0ELb1ELc67ELc76EKS1_S1_EviT_PT9_S3_lS5_S3_lPT10_S3_li,"axG",@progbits,_ZL37rocblas_syrkx_herkx_restricted_kernelIl19rocblas_complex_numIdELi16ELi32ELi8ELi1ELi0ELb1ELc67ELc76EKS1_S1_EviT_PT9_S3_lS5_S3_lPT10_S3_li,comdat
.Lfunc_end1324:
	.size	_ZL37rocblas_syrkx_herkx_restricted_kernelIl19rocblas_complex_numIdELi16ELi32ELi8ELi1ELi0ELb1ELc67ELc76EKS1_S1_EviT_PT9_S3_lS5_S3_lPT10_S3_li, .Lfunc_end1324-_ZL37rocblas_syrkx_herkx_restricted_kernelIl19rocblas_complex_numIdELi16ELi32ELi8ELi1ELi0ELb1ELc67ELc76EKS1_S1_EviT_PT9_S3_lS5_S3_lPT10_S3_li
                                        ; -- End function
	.section	.AMDGPU.csdata,"",@progbits
; Kernel info:
; codeLenInByte = 3068
; NumSgprs: 34
; NumVgprs: 118
; ScratchSize: 0
; MemoryBound: 0
; FloatMode: 240
; IeeeMode: 1
; LDSByteSize: 8192 bytes/workgroup (compile time only)
; SGPRBlocks: 4
; VGPRBlocks: 14
; NumSGPRsForWavesPerEU: 34
; NumVGPRsForWavesPerEU: 118
; Occupancy: 12
; WaveLimiterHint : 1
; COMPUTE_PGM_RSRC2:SCRATCH_EN: 0
; COMPUTE_PGM_RSRC2:USER_SGPR: 13
; COMPUTE_PGM_RSRC2:TRAP_HANDLER: 0
; COMPUTE_PGM_RSRC2:TGID_X_EN: 1
; COMPUTE_PGM_RSRC2:TGID_Y_EN: 1
; COMPUTE_PGM_RSRC2:TGID_Z_EN: 1
; COMPUTE_PGM_RSRC2:TIDIG_COMP_CNT: 1
	.section	.text._ZL37rocblas_syrkx_herkx_restricted_kernelIl19rocblas_complex_numIdELi16ELi32ELi8ELi1ELi0ELb1ELc78ELc76EKS1_S1_EviT_PT9_S3_lS5_S3_lPT10_S3_li,"axG",@progbits,_ZL37rocblas_syrkx_herkx_restricted_kernelIl19rocblas_complex_numIdELi16ELi32ELi8ELi1ELi0ELb1ELc78ELc76EKS1_S1_EviT_PT9_S3_lS5_S3_lPT10_S3_li,comdat
	.globl	_ZL37rocblas_syrkx_herkx_restricted_kernelIl19rocblas_complex_numIdELi16ELi32ELi8ELi1ELi0ELb1ELc78ELc76EKS1_S1_EviT_PT9_S3_lS5_S3_lPT10_S3_li ; -- Begin function _ZL37rocblas_syrkx_herkx_restricted_kernelIl19rocblas_complex_numIdELi16ELi32ELi8ELi1ELi0ELb1ELc78ELc76EKS1_S1_EviT_PT9_S3_lS5_S3_lPT10_S3_li
	.p2align	8
	.type	_ZL37rocblas_syrkx_herkx_restricted_kernelIl19rocblas_complex_numIdELi16ELi32ELi8ELi1ELi0ELb1ELc78ELc76EKS1_S1_EviT_PT9_S3_lS5_S3_lPT10_S3_li,@function
_ZL37rocblas_syrkx_herkx_restricted_kernelIl19rocblas_complex_numIdELi16ELi32ELi8ELi1ELi0ELb1ELc78ELc76EKS1_S1_EviT_PT9_S3_lS5_S3_lPT10_S3_li: ; @_ZL37rocblas_syrkx_herkx_restricted_kernelIl19rocblas_complex_numIdELi16ELi32ELi8ELi1ELi0ELb1ELc78ELc76EKS1_S1_EviT_PT9_S3_lS5_S3_lPT10_S3_li
; %bb.0:
	s_load_b512 s[16:31], s[0:1], 0x8
	v_mov_b32_e32 v6, 0
	v_dual_mov_b32 v7, 0 :: v_dual_and_b32 v20, 0x3ff, v0
	v_bfe_u32 v21, v0, 10, 10
	s_delay_alu instid0(VALU_DEP_3) | instskip(NEXT) | instid1(VALU_DEP_3)
	v_mov_b32_e32 v4, v6
	v_dual_mov_b32 v2, v6 :: v_dual_mov_b32 v3, v7
	v_dual_mov_b32 v19, v7 :: v_dual_mov_b32 v18, v6
	v_mov_b32_e32 v5, v7
	v_dual_mov_b32 v17, v7 :: v_dual_mov_b32 v16, v6
	v_dual_mov_b32 v15, v7 :: v_dual_mov_b32 v14, v6
	;; [unrolled: 1-line block ×4, first 2 shown]
	s_lshl_b32 s8, s13, 5
	s_waitcnt lgkmcnt(0)
	v_cmp_lt_i64_e64 s2, s[16:17], 1
	s_lshl_b32 s9, s14, 5
	s_delay_alu instid0(VALU_DEP_1)
	s_and_b32 vcc_lo, exec_lo, s2
	s_cbranch_vccnz .LBB1325_3
; %bb.1:
	v_lshl_add_u32 v1, v21, 4, v20
	v_and_b32_e32 v8, 7, v20
	s_mul_i32 s3, s23, s15
	s_mul_hi_u32 s5, s22, s15
	s_mul_i32 s2, s22, s15
	v_dual_mov_b32 v12, 0 :: v_dual_and_b32 v7, 31, v1
	v_lshrrev_b32_e32 v9, 3, v1
	v_mov_b32_e32 v13, 0
	v_lshrrev_b32_e32 v10, 5, v1
	s_delay_alu instid0(VALU_DEP_4) | instskip(SKIP_1) | instid1(VALU_DEP_3)
	v_add_nc_u32_e32 v0, s8, v7
	s_add_i32 s3, s5, s3
	v_dual_mov_b32 v15, v13 :: v_dual_add_nc_u32 v2, s9, v9
	s_lshl_b64 s[2:3], s[2:3], 4
	s_delay_alu instid0(VALU_DEP_2) | instskip(SKIP_1) | instid1(VALU_DEP_2)
	v_ashrrev_i32_e32 v1, 31, v0
	s_mul_i32 s6, s29, s15
	v_ashrrev_i32_e32 v3, 31, v2
	s_mul_hi_u32 s7, s28, s15
	s_add_u32 s10, s18, s2
	v_mad_u64_u32 v[4:5], null, v10, s20, v[0:1]
	s_delay_alu instid0(VALU_DEP_2) | instskip(SKIP_4) | instid1(VALU_DEP_2)
	v_mad_u64_u32 v[0:1], null, v8, s26, v[2:3]
	s_mul_i32 s4, s28, s15
	s_addc_u32 s11, s19, s3
	s_add_i32 s5, s7, s6
	s_lshl_b64 s[2:3], s[20:21], 7
	v_dual_mov_b32 v2, v5 :: v_dual_lshlrev_b32 v11, 4, v8
	s_lshl_b64 s[4:5], s[4:5], 4
	v_dual_mov_b32 v14, v12 :: v_dual_mov_b32 v17, v13
	s_delay_alu instid0(VALU_DEP_2)
	v_mad_u64_u32 v[5:6], null, v10, s21, v[2:3]
	v_mad_u64_u32 v[2:3], null, v8, s27, v[1:2]
	v_lshlrev_b32_e32 v22, 4, v20
	s_add_u32 s4, s24, s4
	s_addc_u32 s5, s25, s5
	v_lshlrev_b32_e32 v6, 4, v7
	v_lshl_or_b32 v7, v9, 7, v11
	v_dual_mov_b32 v16, v12 :: v_dual_mov_b32 v19, v13
	v_mov_b32_e32 v1, v2
	v_lshlrev_b64 v[2:3], 4, v[4:5]
	s_delay_alu instid0(VALU_DEP_4) | instskip(SKIP_1) | instid1(VALU_DEP_4)
	v_dual_mov_b32 v4, v12 :: v_dual_add_nc_u32 v25, 0x1000, v7
	v_lshl_add_u32 v23, v21, 7, 0x1000
	v_lshlrev_b64 v[0:1], 4, v[0:1]
	v_mov_b32_e32 v18, v12
	v_add_co_u32 v2, vcc_lo, s10, v2
	v_add_co_ci_u32_e32 v3, vcc_lo, s11, v3, vcc_lo
	s_delay_alu instid0(VALU_DEP_4) | instskip(SKIP_1) | instid1(VALU_DEP_4)
	v_add_co_u32 v0, vcc_lo, s4, v0
	v_add_co_ci_u32_e32 v1, vcc_lo, s5, v1, vcc_lo
	v_add_co_u32 v8, vcc_lo, v2, 8
	s_delay_alu instid0(VALU_DEP_4)
	v_add_co_ci_u32_e32 v9, vcc_lo, 0, v3, vcc_lo
	v_dual_mov_b32 v2, v12 :: v_dual_mov_b32 v5, v13
	v_mov_b32_e32 v3, v13
	v_lshl_or_b32 v24, v10, 9, v6
	v_add_co_u32 v10, vcc_lo, v0, 8
	v_add_co_ci_u32_e32 v11, vcc_lo, 0, v1, vcc_lo
	v_mov_b32_e32 v0, v12
	v_dual_mov_b32 v6, v12 :: v_dual_mov_b32 v1, v13
	v_mov_b32_e32 v7, v13
	s_lshl_b64 s[4:5], s[26:27], 7
	s_mov_b64 s[6:7], 0
.LBB1325_2:                             ; =>This Inner Loop Header: Depth=1
	global_load_b128 v[26:29], v[10:11], off offset:-8
	global_load_b128 v[30:33], v[8:9], off offset:-8
	s_add_u32 s6, s6, 8
	v_add_co_u32 v8, vcc_lo, v8, s2
	s_addc_u32 s7, s7, 0
	v_add_co_ci_u32_e32 v9, vcc_lo, s3, v9, vcc_lo
	v_cmp_ge_u64_e64 s10, s[6:7], s[16:17]
	v_add_co_u32 v10, vcc_lo, v10, s4
	v_add_co_ci_u32_e32 v11, vcc_lo, s5, v11, vcc_lo
	s_delay_alu instid0(VALU_DEP_3)
	s_and_b32 vcc_lo, exec_lo, s10
	s_waitcnt vmcnt(1)
	v_xor_b32_e32 v29, 0x80000000, v29
	s_waitcnt vmcnt(0)
	ds_store_b128 v24, v[30:33]
	ds_store_b128 v25, v[26:29]
	s_waitcnt lgkmcnt(0)
	s_barrier
	buffer_gl0_inv
	ds_load_b128 v[26:29], v23
	ds_load_b128 v[30:33], v22
	ds_load_b128 v[34:37], v22 offset:256
	ds_load_b128 v[38:41], v23 offset:2048
	ds_load_b128 v[42:45], v23 offset:16
	ds_load_b128 v[46:49], v23 offset:2064
	ds_load_b128 v[50:53], v22 offset:512
	ds_load_b128 v[54:57], v22 offset:768
	ds_load_b128 v[58:61], v23 offset:32
	ds_load_b128 v[62:65], v23 offset:48
	ds_load_b128 v[66:69], v22 offset:1024
	ds_load_b128 v[70:73], v22 offset:1280
	ds_load_b128 v[74:77], v23 offset:2080
	ds_load_b128 v[78:81], v23 offset:2096
	ds_load_b128 v[82:85], v22 offset:1536
	s_waitcnt lgkmcnt(13)
	v_mul_f64 v[86:87], v[28:29], v[32:33]
	v_mul_f64 v[88:89], v[26:27], v[32:33]
	s_waitcnt lgkmcnt(12)
	v_mul_f64 v[90:91], v[28:29], v[36:37]
	v_mul_f64 v[92:93], v[26:27], v[36:37]
	;; [unrolled: 3-line block ×3, first 2 shown]
	v_mul_f64 v[96:97], v[40:41], v[36:37]
	v_mul_f64 v[36:37], v[38:39], v[36:37]
	s_waitcnt lgkmcnt(8)
	v_mul_f64 v[98:99], v[44:45], v[52:53]
	v_mul_f64 v[100:101], v[42:43], v[52:53]
	s_waitcnt lgkmcnt(7)
	v_mul_f64 v[102:103], v[44:45], v[56:57]
	v_mul_f64 v[104:105], v[42:43], v[56:57]
	;; [unrolled: 1-line block ×6, first 2 shown]
	s_waitcnt lgkmcnt(3)
	v_mul_f64 v[112:113], v[58:59], v[72:73]
	s_waitcnt lgkmcnt(2)
	v_mul_f64 v[114:115], v[76:77], v[68:69]
	v_mul_f64 v[116:117], v[76:77], v[72:73]
	v_fma_f64 v[86:87], v[26:27], v[30:31], -v[86:87]
	v_fma_f64 v[88:89], v[28:29], v[30:31], v[88:89]
	v_fma_f64 v[90:91], v[26:27], v[34:35], -v[90:91]
	v_fma_f64 v[92:93], v[28:29], v[34:35], v[92:93]
	;; [unrolled: 2-line block ×4, first 2 shown]
	v_mul_f64 v[36:37], v[60:61], v[68:69]
	v_mul_f64 v[40:41], v[58:59], v[68:69]
	;; [unrolled: 1-line block ×5, first 2 shown]
	v_fma_f64 v[98:99], v[42:43], v[50:51], -v[98:99]
	v_fma_f64 v[100:101], v[44:45], v[50:51], v[100:101]
	v_fma_f64 v[42:43], v[42:43], v[54:55], -v[102:103]
	v_fma_f64 v[44:45], v[44:45], v[54:55], v[104:105]
	;; [unrolled: 2-line block ×4, first 2 shown]
	ds_load_b128 v[26:29], v22 offset:1792
	ds_load_b128 v[30:33], v22 offset:2048
	v_add_f64 v[52:53], v[6:7], v[86:87]
	v_add_f64 v[18:19], v[18:19], v[88:89]
	;; [unrolled: 1-line block ×8, first 2 shown]
	s_waitcnt lgkmcnt(2)
	v_mul_f64 v[86:87], v[64:65], v[84:85]
	v_mul_f64 v[88:89], v[62:63], v[84:85]
	s_waitcnt lgkmcnt(1)
	v_mul_f64 v[90:91], v[64:65], v[28:29]
	v_mul_f64 v[92:93], v[62:63], v[28:29]
	;; [unrolled: 1-line block ×6, first 2 shown]
	v_fma_f64 v[106:107], v[58:59], v[66:67], -v[36:37]
	v_fma_f64 v[108:109], v[60:61], v[66:67], v[40:41]
	v_fma_f64 v[58:59], v[58:59], v[70:71], -v[96:97]
	v_fma_f64 v[60:61], v[60:61], v[70:71], v[112:113]
	;; [unrolled: 2-line block ×4, first 2 shown]
	ds_load_b128 v[0:3], v22 offset:2304
	ds_load_b128 v[4:7], v23 offset:64
	v_add_f64 v[52:53], v[52:53], v[98:99]
	v_add_f64 v[72:73], v[18:19], v[100:101]
	v_add_f64 v[42:43], v[54:55], v[42:43]
	v_add_f64 v[44:45], v[16:17], v[44:45]
	v_add_f64 v[54:55], v[56:57], v[102:103]
	v_add_f64 v[50:51], v[14:15], v[50:51]
	v_add_f64 v[46:47], v[38:39], v[46:47]
	v_add_f64 v[48:49], v[12:13], v[48:49]
	ds_load_b128 v[12:15], v23 offset:2112
	ds_load_b128 v[16:19], v23 offset:80
	;; [unrolled: 1-line block ×4, first 2 shown]
	s_waitcnt lgkmcnt(4)
	v_mul_f64 v[56:57], v[6:7], v[32:33]
	v_mul_f64 v[74:75], v[4:5], v[32:33]
	;; [unrolled: 1-line block ×4, first 2 shown]
	v_fma_f64 v[86:87], v[62:63], v[82:83], -v[86:87]
	v_fma_f64 v[88:89], v[64:65], v[82:83], v[88:89]
	v_fma_f64 v[62:63], v[62:63], v[26:27], -v[90:91]
	v_fma_f64 v[64:65], v[64:65], v[26:27], v[92:93]
	;; [unrolled: 2-line block ×4, first 2 shown]
	s_waitcnt lgkmcnt(3)
	v_mul_f64 v[100:101], v[14:15], v[32:33]
	v_mul_f64 v[32:33], v[12:13], v[32:33]
	;; [unrolled: 1-line block ×4, first 2 shown]
	s_waitcnt lgkmcnt(0)
	v_mul_f64 v[92:93], v[18:19], v[40:41]
	v_mul_f64 v[94:95], v[16:17], v[40:41]
	v_add_f64 v[84:85], v[52:53], v[106:107]
	v_add_f64 v[72:73], v[72:73], v[108:109]
	;; [unrolled: 1-line block ×8, first 2 shown]
	ds_load_b128 v[26:29], v22 offset:2816
	ds_load_b128 v[42:45], v22 offset:3072
	;; [unrolled: 1-line block ×4, first 2 shown]
	v_mul_f64 v[106:107], v[36:37], v[40:41]
	v_mul_f64 v[40:41], v[34:35], v[40:41]
	v_fma_f64 v[56:57], v[4:5], v[30:31], -v[56:57]
	v_fma_f64 v[74:75], v[6:7], v[30:31], v[74:75]
	v_fma_f64 v[76:77], v[4:5], v[0:1], -v[76:77]
	v_fma_f64 v[98:99], v[6:7], v[0:1], v[98:99]
	s_waitcnt lgkmcnt(3)
	v_mul_f64 v[96:97], v[18:19], v[28:29]
	v_mul_f64 v[104:105], v[16:17], v[28:29]
	;; [unrolled: 1-line block ×4, first 2 shown]
	v_fma_f64 v[100:101], v[12:13], v[30:31], -v[100:101]
	v_fma_f64 v[32:33], v[14:15], v[30:31], v[32:33]
	v_fma_f64 v[102:103], v[12:13], v[0:1], -v[102:103]
	v_fma_f64 v[112:113], v[14:15], v[0:1], v[2:3]
	ds_load_b128 v[0:3], v23 offset:2144
	ds_load_b128 v[4:7], v23 offset:112
	;; [unrolled: 1-line block ×4, first 2 shown]
	v_add_f64 v[84:85], v[84:85], v[86:87]
	v_add_f64 v[72:73], v[72:73], v[88:89]
	;; [unrolled: 1-line block ×8, first 2 shown]
	s_waitcnt lgkmcnt(4)
	v_mul_f64 v[68:69], v[52:53], v[44:45]
	v_mul_f64 v[70:71], v[50:51], v[44:45]
	;; [unrolled: 1-line block ×4, first 2 shown]
	s_waitcnt lgkmcnt(3)
	v_mul_f64 v[82:83], v[2:3], v[44:45]
	v_mul_f64 v[44:45], v[0:1], v[44:45]
	;; [unrolled: 1-line block ×4, first 2 shown]
	v_fma_f64 v[88:89], v[16:17], v[38:39], -v[92:93]
	v_fma_f64 v[90:91], v[18:19], v[38:39], v[94:95]
	v_fma_f64 v[92:93], v[16:17], v[26:27], -v[96:97]
	v_fma_f64 v[94:95], v[18:19], v[26:27], v[104:105]
	v_fma_f64 v[96:97], v[34:35], v[38:39], -v[106:107]
	v_fma_f64 v[38:39], v[36:37], v[38:39], v[40:41]
	v_fma_f64 v[34:35], v[34:35], v[26:27], -v[108:109]
	v_fma_f64 v[26:27], v[36:37], v[26:27], v[110:111]
	ds_load_b128 v[16:19], v22 offset:3840
	s_waitcnt lgkmcnt(0)
	s_barrier
	buffer_gl0_inv
	v_add_f64 v[36:37], v[84:85], v[56:57]
	v_add_f64 v[40:41], v[72:73], v[74:75]
	;; [unrolled: 1-line block ×8, first 2 shown]
	v_mul_f64 v[64:65], v[6:7], v[30:31]
	v_mul_f64 v[66:67], v[4:5], v[30:31]
	;; [unrolled: 1-line block ×4, first 2 shown]
	v_fma_f64 v[68:69], v[50:51], v[42:43], -v[68:69]
	v_mul_f64 v[72:73], v[6:7], v[18:19]
	v_mul_f64 v[74:75], v[4:5], v[18:19]
	;; [unrolled: 1-line block ×4, first 2 shown]
	v_fma_f64 v[70:71], v[52:53], v[42:43], v[70:71]
	v_fma_f64 v[50:51], v[50:51], v[46:47], -v[78:79]
	v_fma_f64 v[52:53], v[52:53], v[46:47], v[80:81]
	v_fma_f64 v[78:79], v[0:1], v[42:43], -v[82:83]
	;; [unrolled: 2-line block ×3, first 2 shown]
	v_fma_f64 v[2:3], v[2:3], v[46:47], v[48:49]
	v_add_f64 v[36:37], v[36:37], v[88:89]
	v_add_f64 v[40:41], v[40:41], v[90:91]
	;; [unrolled: 1-line block ×8, first 2 shown]
	v_fma_f64 v[38:39], v[4:5], v[28:29], -v[64:65]
	v_fma_f64 v[54:55], v[6:7], v[28:29], v[66:67]
	v_fma_f64 v[58:59], v[12:13], v[28:29], -v[76:77]
	v_fma_f64 v[28:29], v[14:15], v[28:29], v[30:31]
	;; [unrolled: 2-line block ×4, first 2 shown]
	v_add_f64 v[6:7], v[36:37], v[68:69]
	v_add_f64 v[14:15], v[40:41], v[70:71]
	;; [unrolled: 1-line block ×16, first 2 shown]
	s_cbranch_vccz .LBB1325_2
.LBB1325_3:
	s_clause 0x1
	s_load_b128 s[4:7], s[0:1], 0x48
	s_load_b32 s2, s[0:1], 0x0
	v_add_nc_u32_e32 v21, s9, v21
	v_add_nc_u32_e32 v10, s8, v20
	s_delay_alu instid0(VALU_DEP_2) | instskip(NEXT) | instid1(VALU_DEP_2)
	v_ashrrev_i32_e32 v8, 31, v21
	v_cmp_le_i32_e64 s0, v21, v10
	s_waitcnt lgkmcnt(0)
	s_delay_alu instid0(VALU_DEP_2)
	v_mul_lo_u32 v11, v8, s4
	v_mul_lo_u32 v22, v21, s5
	v_mad_u64_u32 v[8:9], null, v21, s4, 0
	s_mul_i32 s1, s15, s7
	s_mul_hi_u32 s3, s15, s6
	s_mul_i32 s6, s15, s6
	s_add_i32 s7, s3, s1
	v_cmp_gt_i32_e32 vcc_lo, s2, v10
	s_lshl_b64 s[6:7], s[6:7], 4
	s_delay_alu instid0(VALU_DEP_2) | instskip(SKIP_3) | instid1(VALU_DEP_1)
	v_add3_u32 v9, v9, v22, v11
	s_add_u32 s3, s30, s6
	s_addc_u32 s6, s31, s7
	s_and_b32 s0, s0, vcc_lo
	v_lshlrev_b64 v[8:9], 4, v[8:9]
	s_delay_alu instid0(VALU_DEP_1) | instskip(NEXT) | instid1(VALU_DEP_1)
	v_add_co_u32 v20, s1, s3, v8
	v_add_co_ci_u32_e64 v22, s1, s6, v9, s1
	s_and_saveexec_b32 s7, s0
	s_cbranch_execz .LBB1325_5
; %bb.4:
	v_ashrrev_i32_e32 v11, 31, v10
	v_cmp_ne_u32_e64 s0, v21, v10
	s_delay_alu instid0(VALU_DEP_2) | instskip(NEXT) | instid1(VALU_DEP_2)
	v_lshlrev_b64 v[23:24], 4, v[10:11]
	v_cndmask_b32_e64 v9, 0, v19, s0
	v_cndmask_b32_e64 v8, 0, v18, s0
	s_delay_alu instid0(VALU_DEP_3) | instskip(NEXT) | instid1(VALU_DEP_1)
	v_add_co_u32 v23, s1, v20, v23
	v_add_co_ci_u32_e64 v24, s1, v22, v24, s1
	global_store_b128 v[23:24], v[6:9], off
.LBB1325_5:
	s_or_b32 exec_lo, exec_lo, s7
	v_add_nc_u32_e32 v8, 16, v10
	s_delay_alu instid0(VALU_DEP_1) | instskip(SKIP_1) | instid1(VALU_DEP_1)
	v_cmp_le_i32_e64 s1, v21, v8
	v_cmp_gt_i32_e64 s0, s2, v8
	s_and_b32 s1, s1, s0
	s_delay_alu instid0(SALU_CYCLE_1)
	s_and_saveexec_b32 s7, s1
	s_cbranch_execz .LBB1325_7
; %bb.6:
	v_ashrrev_i32_e32 v9, 31, v8
	v_cmp_ne_u32_e64 s1, v21, v8
	s_delay_alu instid0(VALU_DEP_2) | instskip(NEXT) | instid1(VALU_DEP_2)
	v_lshlrev_b64 v[18:19], 4, v[8:9]
	v_cndmask_b32_e64 v7, 0, v17, s1
	v_cndmask_b32_e64 v6, 0, v16, s1
	s_delay_alu instid0(VALU_DEP_3) | instskip(NEXT) | instid1(VALU_DEP_1)
	v_add_co_u32 v17, s2, v20, v18
	v_add_co_ci_u32_e64 v18, s2, v22, v19, s2
	global_store_b128 v[17:18], v[4:7], off
.LBB1325_7:
	s_or_b32 exec_lo, exec_lo, s7
	v_add_nc_u32_e32 v9, 16, v21
	s_delay_alu instid0(VALU_DEP_1) | instskip(SKIP_3) | instid1(VALU_DEP_4)
	v_ashrrev_i32_e32 v6, 31, v9
	v_mul_lo_u32 v7, v9, s5
	v_mad_u64_u32 v[4:5], null, v9, s4, 0
	v_cmp_le_i32_e64 s1, v9, v10
	v_mul_lo_u32 v6, v6, s4
	s_delay_alu instid0(VALU_DEP_2) | instskip(NEXT) | instid1(VALU_DEP_1)
	s_and_b32 s1, s1, vcc_lo
	v_add3_u32 v5, v5, v7, v6
	s_delay_alu instid0(VALU_DEP_1) | instskip(NEXT) | instid1(VALU_DEP_1)
	v_lshlrev_b64 v[4:5], 4, v[4:5]
	v_add_co_u32 v6, s2, s3, v4
	s_delay_alu instid0(VALU_DEP_1)
	v_add_co_ci_u32_e64 v7, s2, s6, v5, s2
	s_and_saveexec_b32 s2, s1
	s_cbranch_execz .LBB1325_9
; %bb.8:
	v_ashrrev_i32_e32 v11, 31, v10
	v_cmp_ne_u32_e32 vcc_lo, v9, v10
	s_delay_alu instid0(VALU_DEP_2) | instskip(SKIP_1) | instid1(VALU_DEP_2)
	v_lshlrev_b64 v[16:17], 4, v[10:11]
	v_dual_cndmask_b32 v5, 0, v15 :: v_dual_cndmask_b32 v4, 0, v14
	v_add_co_u32 v15, s1, v6, v16
	s_delay_alu instid0(VALU_DEP_1)
	v_add_co_ci_u32_e64 v16, s1, v7, v17, s1
	global_store_b128 v[15:16], v[2:5], off
.LBB1325_9:
	s_or_b32 exec_lo, exec_lo, s2
	v_cmp_le_i32_e32 vcc_lo, v9, v8
	s_and_b32 s0, vcc_lo, s0
	s_delay_alu instid0(SALU_CYCLE_1)
	s_and_saveexec_b32 s1, s0
	s_cbranch_execz .LBB1325_11
; %bb.10:
	v_ashrrev_i32_e32 v9, 31, v8
	v_cmp_ne_u32_e32 vcc_lo, v21, v10
	s_delay_alu instid0(VALU_DEP_2) | instskip(SKIP_1) | instid1(VALU_DEP_2)
	v_lshlrev_b64 v[4:5], 4, v[8:9]
	v_dual_cndmask_b32 v3, 0, v13 :: v_dual_cndmask_b32 v2, 0, v12
	v_add_co_u32 v4, s0, v6, v4
	s_delay_alu instid0(VALU_DEP_1)
	v_add_co_ci_u32_e64 v5, s0, v7, v5, s0
	global_store_b128 v[4:5], v[0:3], off
.LBB1325_11:
	s_nop 0
	s_sendmsg sendmsg(MSG_DEALLOC_VGPRS)
	s_endpgm
	.section	.rodata,"a",@progbits
	.p2align	6, 0x0
	.amdhsa_kernel _ZL37rocblas_syrkx_herkx_restricted_kernelIl19rocblas_complex_numIdELi16ELi32ELi8ELi1ELi0ELb1ELc78ELc76EKS1_S1_EviT_PT9_S3_lS5_S3_lPT10_S3_li
		.amdhsa_group_segment_fixed_size 8192
		.amdhsa_private_segment_fixed_size 0
		.amdhsa_kernarg_size 92
		.amdhsa_user_sgpr_count 13
		.amdhsa_user_sgpr_dispatch_ptr 0
		.amdhsa_user_sgpr_queue_ptr 0
		.amdhsa_user_sgpr_kernarg_segment_ptr 1
		.amdhsa_user_sgpr_dispatch_id 0
		.amdhsa_user_sgpr_private_segment_size 0
		.amdhsa_wavefront_size32 1
		.amdhsa_uses_dynamic_stack 0
		.amdhsa_enable_private_segment 0
		.amdhsa_system_sgpr_workgroup_id_x 1
		.amdhsa_system_sgpr_workgroup_id_y 1
		.amdhsa_system_sgpr_workgroup_id_z 1
		.amdhsa_system_sgpr_workgroup_info 0
		.amdhsa_system_vgpr_workitem_id 1
		.amdhsa_next_free_vgpr 118
		.amdhsa_next_free_sgpr 32
		.amdhsa_reserve_vcc 1
		.amdhsa_float_round_mode_32 0
		.amdhsa_float_round_mode_16_64 0
		.amdhsa_float_denorm_mode_32 3
		.amdhsa_float_denorm_mode_16_64 3
		.amdhsa_dx10_clamp 1
		.amdhsa_ieee_mode 1
		.amdhsa_fp16_overflow 0
		.amdhsa_workgroup_processor_mode 1
		.amdhsa_memory_ordered 1
		.amdhsa_forward_progress 0
		.amdhsa_shared_vgpr_count 0
		.amdhsa_exception_fp_ieee_invalid_op 0
		.amdhsa_exception_fp_denorm_src 0
		.amdhsa_exception_fp_ieee_div_zero 0
		.amdhsa_exception_fp_ieee_overflow 0
		.amdhsa_exception_fp_ieee_underflow 0
		.amdhsa_exception_fp_ieee_inexact 0
		.amdhsa_exception_int_div_zero 0
	.end_amdhsa_kernel
	.section	.text._ZL37rocblas_syrkx_herkx_restricted_kernelIl19rocblas_complex_numIdELi16ELi32ELi8ELi1ELi0ELb1ELc78ELc76EKS1_S1_EviT_PT9_S3_lS5_S3_lPT10_S3_li,"axG",@progbits,_ZL37rocblas_syrkx_herkx_restricted_kernelIl19rocblas_complex_numIdELi16ELi32ELi8ELi1ELi0ELb1ELc78ELc76EKS1_S1_EviT_PT9_S3_lS5_S3_lPT10_S3_li,comdat
.Lfunc_end1325:
	.size	_ZL37rocblas_syrkx_herkx_restricted_kernelIl19rocblas_complex_numIdELi16ELi32ELi8ELi1ELi0ELb1ELc78ELc76EKS1_S1_EviT_PT9_S3_lS5_S3_lPT10_S3_li, .Lfunc_end1325-_ZL37rocblas_syrkx_herkx_restricted_kernelIl19rocblas_complex_numIdELi16ELi32ELi8ELi1ELi0ELb1ELc78ELc76EKS1_S1_EviT_PT9_S3_lS5_S3_lPT10_S3_li
                                        ; -- End function
	.section	.AMDGPU.csdata,"",@progbits
; Kernel info:
; codeLenInByte = 3052
; NumSgprs: 34
; NumVgprs: 118
; ScratchSize: 0
; MemoryBound: 0
; FloatMode: 240
; IeeeMode: 1
; LDSByteSize: 8192 bytes/workgroup (compile time only)
; SGPRBlocks: 4
; VGPRBlocks: 14
; NumSGPRsForWavesPerEU: 34
; NumVGPRsForWavesPerEU: 118
; Occupancy: 12
; WaveLimiterHint : 1
; COMPUTE_PGM_RSRC2:SCRATCH_EN: 0
; COMPUTE_PGM_RSRC2:USER_SGPR: 13
; COMPUTE_PGM_RSRC2:TRAP_HANDLER: 0
; COMPUTE_PGM_RSRC2:TGID_X_EN: 1
; COMPUTE_PGM_RSRC2:TGID_Y_EN: 1
; COMPUTE_PGM_RSRC2:TGID_Z_EN: 1
; COMPUTE_PGM_RSRC2:TIDIG_COMP_CNT: 1
	.section	.text._ZL37rocblas_syrkx_herkx_restricted_kernelIl19rocblas_complex_numIdELi16ELi32ELi8ELi1ELi0ELb1ELc84ELc85EKS1_S1_EviT_PT9_S3_lS5_S3_lPT10_S3_li,"axG",@progbits,_ZL37rocblas_syrkx_herkx_restricted_kernelIl19rocblas_complex_numIdELi16ELi32ELi8ELi1ELi0ELb1ELc84ELc85EKS1_S1_EviT_PT9_S3_lS5_S3_lPT10_S3_li,comdat
	.globl	_ZL37rocblas_syrkx_herkx_restricted_kernelIl19rocblas_complex_numIdELi16ELi32ELi8ELi1ELi0ELb1ELc84ELc85EKS1_S1_EviT_PT9_S3_lS5_S3_lPT10_S3_li ; -- Begin function _ZL37rocblas_syrkx_herkx_restricted_kernelIl19rocblas_complex_numIdELi16ELi32ELi8ELi1ELi0ELb1ELc84ELc85EKS1_S1_EviT_PT9_S3_lS5_S3_lPT10_S3_li
	.p2align	8
	.type	_ZL37rocblas_syrkx_herkx_restricted_kernelIl19rocblas_complex_numIdELi16ELi32ELi8ELi1ELi0ELb1ELc84ELc85EKS1_S1_EviT_PT9_S3_lS5_S3_lPT10_S3_li,@function
_ZL37rocblas_syrkx_herkx_restricted_kernelIl19rocblas_complex_numIdELi16ELi32ELi8ELi1ELi0ELb1ELc84ELc85EKS1_S1_EviT_PT9_S3_lS5_S3_lPT10_S3_li: ; @_ZL37rocblas_syrkx_herkx_restricted_kernelIl19rocblas_complex_numIdELi16ELi32ELi8ELi1ELi0ELb1ELc84ELc85EKS1_S1_EviT_PT9_S3_lS5_S3_lPT10_S3_li
; %bb.0:
	s_load_b512 s[16:31], s[0:1], 0x8
	v_mov_b32_e32 v6, 0
	v_dual_mov_b32 v7, 0 :: v_dual_and_b32 v20, 0x3ff, v0
	v_bfe_u32 v21, v0, 10, 10
	s_delay_alu instid0(VALU_DEP_3) | instskip(NEXT) | instid1(VALU_DEP_3)
	v_mov_b32_e32 v4, v6
	v_dual_mov_b32 v2, v6 :: v_dual_mov_b32 v3, v7
	v_dual_mov_b32 v19, v7 :: v_dual_mov_b32 v18, v6
	v_mov_b32_e32 v5, v7
	v_dual_mov_b32 v17, v7 :: v_dual_mov_b32 v16, v6
	v_dual_mov_b32 v15, v7 :: v_dual_mov_b32 v14, v6
	;; [unrolled: 1-line block ×4, first 2 shown]
	s_lshl_b32 s8, s13, 5
	s_waitcnt lgkmcnt(0)
	v_cmp_lt_i64_e64 s2, s[16:17], 1
	s_lshl_b32 s9, s14, 5
	s_delay_alu instid0(VALU_DEP_1)
	s_and_b32 vcc_lo, exec_lo, s2
	s_cbranch_vccnz .LBB1326_3
; %bb.1:
	v_lshl_add_u32 v2, v21, 4, v20
	v_dual_mov_b32 v1, 0 :: v_dual_and_b32 v0, 7, v20
	v_lshlrev_b32_e32 v22, 4, v20
	s_mul_i32 s3, s23, s15
	s_delay_alu instid0(VALU_DEP_3)
	v_and_b32_e32 v8, 31, v2
	v_lshrrev_b32_e32 v9, 3, v2
	v_lshrrev_b32_e32 v2, 5, v2
	v_mov_b32_e32 v3, v1
	v_lshlrev_b32_e32 v11, 4, v0
	v_add_nc_u32_e32 v6, s8, v8
	v_add_nc_u32_e32 v10, s9, v9
	s_mul_hi_u32 s4, s22, s15
	s_mul_i32 s2, s22, s15
	s_add_i32 s3, s4, s3
	v_ashrrev_i32_e32 v7, 31, v6
	v_ashrrev_i32_e32 v12, 31, v10
	v_mad_u64_u32 v[4:5], null, s20, v6, v[2:3]
	v_mul_lo_u32 v3, s21, v6
	s_delay_alu instid0(VALU_DEP_4)
	v_mul_lo_u32 v13, s20, v7
	v_mul_lo_u32 v14, v10, s27
	v_mad_u64_u32 v[6:7], null, v10, s26, v[0:1]
	v_mul_lo_u32 v0, v12, s26
	s_lshl_b64 s[2:3], s[2:3], 4
	s_mul_hi_u32 s5, s28, s15
	s_add_u32 s4, s18, s2
	s_delay_alu instid0(VALU_DEP_4)
	v_add3_u32 v5, v3, v5, v13
	v_mov_b32_e32 v12, 0
	v_mov_b32_e32 v13, 0
	v_lshlrev_b32_e32 v1, 4, v8
	v_add3_u32 v7, v0, v7, v14
	s_mul_i32 s2, s29, s15
	s_addc_u32 s6, s19, s3
	v_dual_mov_b32 v15, v13 :: v_dual_mov_b32 v14, v12
	v_lshl_or_b32 v23, v2, 9, v1
	v_lshlrev_b64 v[0:1], 4, v[4:5]
	s_add_i32 s3, s5, s2
	s_mul_i32 s2, s28, s15
	v_lshlrev_b64 v[2:3], 4, v[6:7]
	s_lshl_b64 s[2:3], s[2:3], 4
	v_lshl_or_b32 v8, v9, 7, v11
	v_add_co_u32 v0, vcc_lo, s4, v0
	s_add_u32 s2, s24, s2
	v_add_co_ci_u32_e32 v1, vcc_lo, s6, v1, vcc_lo
	s_addc_u32 s3, s25, s3
	v_add_co_u32 v2, vcc_lo, s2, v2
	v_add_co_ci_u32_e32 v3, vcc_lo, s3, v3, vcc_lo
	v_add_nc_u32_e32 v24, 0x1000, v8
	v_add_co_u32 v8, vcc_lo, v0, 8
	v_add_co_ci_u32_e32 v9, vcc_lo, 0, v1, vcc_lo
	v_add_co_u32 v10, vcc_lo, v2, 8
	v_dual_mov_b32 v0, v12 :: v_dual_mov_b32 v17, v13
	v_add_co_ci_u32_e32 v11, vcc_lo, 0, v3, vcc_lo
	v_mov_b32_e32 v2, v12
	v_dual_mov_b32 v16, v12 :: v_dual_mov_b32 v19, v13
	v_mov_b32_e32 v4, v12
	v_dual_mov_b32 v6, v12 :: v_dual_mov_b32 v7, v13
	v_lshl_add_u32 v25, v21, 7, 0x1000
	v_mov_b32_e32 v1, v13
	v_mov_b32_e32 v3, v13
	v_dual_mov_b32 v5, v13 :: v_dual_mov_b32 v18, v12
	s_mov_b64 s[2:3], 0
.LBB1326_2:                             ; =>This Inner Loop Header: Depth=1
	global_load_b128 v[26:29], v[8:9], off offset:-8
	global_load_b128 v[30:33], v[10:11], off offset:-8
	s_add_u32 s2, s2, 8
	v_add_co_u32 v8, vcc_lo, 0x80, v8
	s_addc_u32 s3, s3, 0
	v_add_co_ci_u32_e32 v9, vcc_lo, 0, v9, vcc_lo
	v_cmp_ge_u64_e64 s4, s[2:3], s[16:17]
	v_add_co_u32 v10, vcc_lo, 0x80, v10
	v_add_co_ci_u32_e32 v11, vcc_lo, 0, v11, vcc_lo
	s_waitcnt vmcnt(1)
	ds_store_b128 v23, v[26:29]
	s_waitcnt vmcnt(0)
	ds_store_b128 v24, v[30:33]
	s_waitcnt lgkmcnt(0)
	s_barrier
	buffer_gl0_inv
	ds_load_b128 v[26:29], v25
	ds_load_b128 v[30:33], v22
	ds_load_b128 v[34:37], v22 offset:256
	ds_load_b128 v[38:41], v25 offset:2048
	;; [unrolled: 1-line block ×13, first 2 shown]
	s_and_b32 vcc_lo, exec_lo, s4
	s_waitcnt lgkmcnt(13)
	v_mul_f64 v[86:87], v[28:29], v[32:33]
	v_mul_f64 v[88:89], v[26:27], v[32:33]
	s_waitcnt lgkmcnt(12)
	v_mul_f64 v[90:91], v[28:29], v[36:37]
	v_mul_f64 v[92:93], v[26:27], v[36:37]
	s_waitcnt lgkmcnt(11)
	v_mul_f64 v[94:95], v[40:41], v[32:33]
	v_mul_f64 v[32:33], v[38:39], v[32:33]
	v_mul_f64 v[96:97], v[40:41], v[36:37]
	v_mul_f64 v[36:37], v[38:39], v[36:37]
	s_waitcnt lgkmcnt(8)
	v_mul_f64 v[98:99], v[44:45], v[52:53]
	v_mul_f64 v[100:101], v[42:43], v[52:53]
	s_waitcnt lgkmcnt(7)
	v_mul_f64 v[102:103], v[44:45], v[56:57]
	v_mul_f64 v[104:105], v[42:43], v[56:57]
	;; [unrolled: 1-line block ×6, first 2 shown]
	s_waitcnt lgkmcnt(3)
	v_mul_f64 v[112:113], v[58:59], v[72:73]
	s_waitcnt lgkmcnt(2)
	v_mul_f64 v[114:115], v[76:77], v[68:69]
	v_mul_f64 v[116:117], v[76:77], v[72:73]
	v_fma_f64 v[86:87], v[26:27], v[30:31], -v[86:87]
	v_fma_f64 v[88:89], v[28:29], v[30:31], v[88:89]
	v_fma_f64 v[90:91], v[26:27], v[34:35], -v[90:91]
	v_fma_f64 v[92:93], v[28:29], v[34:35], v[92:93]
	v_fma_f64 v[94:95], v[38:39], v[30:31], -v[94:95]
	v_fma_f64 v[110:111], v[40:41], v[30:31], v[32:33]
	v_fma_f64 v[38:39], v[38:39], v[34:35], -v[96:97]
	v_fma_f64 v[34:35], v[40:41], v[34:35], v[36:37]
	v_mul_f64 v[36:37], v[60:61], v[68:69]
	v_mul_f64 v[40:41], v[58:59], v[68:69]
	;; [unrolled: 1-line block ×5, first 2 shown]
	v_fma_f64 v[98:99], v[42:43], v[50:51], -v[98:99]
	v_fma_f64 v[100:101], v[44:45], v[50:51], v[100:101]
	v_fma_f64 v[42:43], v[42:43], v[54:55], -v[102:103]
	v_fma_f64 v[44:45], v[44:45], v[54:55], v[104:105]
	;; [unrolled: 2-line block ×4, first 2 shown]
	ds_load_b128 v[26:29], v22 offset:1792
	ds_load_b128 v[30:33], v22 offset:2048
	v_add_f64 v[52:53], v[6:7], v[86:87]
	v_add_f64 v[18:19], v[18:19], v[88:89]
	;; [unrolled: 1-line block ×8, first 2 shown]
	s_waitcnt lgkmcnt(2)
	v_mul_f64 v[86:87], v[64:65], v[84:85]
	v_mul_f64 v[88:89], v[62:63], v[84:85]
	s_waitcnt lgkmcnt(1)
	v_mul_f64 v[90:91], v[64:65], v[28:29]
	v_mul_f64 v[92:93], v[62:63], v[28:29]
	;; [unrolled: 1-line block ×6, first 2 shown]
	v_fma_f64 v[106:107], v[58:59], v[66:67], -v[36:37]
	v_fma_f64 v[108:109], v[60:61], v[66:67], v[40:41]
	v_fma_f64 v[58:59], v[58:59], v[70:71], -v[96:97]
	v_fma_f64 v[60:61], v[60:61], v[70:71], v[112:113]
	;; [unrolled: 2-line block ×4, first 2 shown]
	ds_load_b128 v[0:3], v22 offset:2304
	ds_load_b128 v[4:7], v25 offset:64
	v_add_f64 v[52:53], v[52:53], v[98:99]
	v_add_f64 v[72:73], v[18:19], v[100:101]
	;; [unrolled: 1-line block ×8, first 2 shown]
	ds_load_b128 v[12:15], v25 offset:2112
	ds_load_b128 v[16:19], v25 offset:80
	;; [unrolled: 1-line block ×4, first 2 shown]
	s_waitcnt lgkmcnt(4)
	v_mul_f64 v[56:57], v[6:7], v[32:33]
	v_mul_f64 v[74:75], v[4:5], v[32:33]
	;; [unrolled: 1-line block ×4, first 2 shown]
	v_fma_f64 v[86:87], v[62:63], v[82:83], -v[86:87]
	v_fma_f64 v[88:89], v[64:65], v[82:83], v[88:89]
	v_fma_f64 v[62:63], v[62:63], v[26:27], -v[90:91]
	v_fma_f64 v[64:65], v[64:65], v[26:27], v[92:93]
	v_fma_f64 v[90:91], v[78:79], v[82:83], -v[94:95]
	v_fma_f64 v[82:83], v[80:81], v[82:83], v[84:85]
	v_fma_f64 v[78:79], v[78:79], v[26:27], -v[104:105]
	v_fma_f64 v[80:81], v[80:81], v[26:27], v[28:29]
	s_waitcnt lgkmcnt(3)
	v_mul_f64 v[100:101], v[14:15], v[32:33]
	v_mul_f64 v[32:33], v[12:13], v[32:33]
	;; [unrolled: 1-line block ×4, first 2 shown]
	s_waitcnt lgkmcnt(0)
	v_mul_f64 v[92:93], v[18:19], v[40:41]
	v_mul_f64 v[94:95], v[16:17], v[40:41]
	v_add_f64 v[84:85], v[52:53], v[106:107]
	v_add_f64 v[72:73], v[72:73], v[108:109]
	;; [unrolled: 1-line block ×8, first 2 shown]
	ds_load_b128 v[26:29], v22 offset:2816
	ds_load_b128 v[42:45], v22 offset:3072
	;; [unrolled: 1-line block ×4, first 2 shown]
	v_mul_f64 v[106:107], v[36:37], v[40:41]
	v_mul_f64 v[40:41], v[34:35], v[40:41]
	v_fma_f64 v[56:57], v[4:5], v[30:31], -v[56:57]
	v_fma_f64 v[74:75], v[6:7], v[30:31], v[74:75]
	v_fma_f64 v[76:77], v[4:5], v[0:1], -v[76:77]
	v_fma_f64 v[98:99], v[6:7], v[0:1], v[98:99]
	s_waitcnt lgkmcnt(3)
	v_mul_f64 v[96:97], v[18:19], v[28:29]
	v_mul_f64 v[104:105], v[16:17], v[28:29]
	;; [unrolled: 1-line block ×4, first 2 shown]
	v_fma_f64 v[100:101], v[12:13], v[30:31], -v[100:101]
	v_fma_f64 v[32:33], v[14:15], v[30:31], v[32:33]
	v_fma_f64 v[102:103], v[12:13], v[0:1], -v[102:103]
	v_fma_f64 v[112:113], v[14:15], v[0:1], v[2:3]
	ds_load_b128 v[0:3], v25 offset:2144
	ds_load_b128 v[4:7], v25 offset:112
	;; [unrolled: 1-line block ×4, first 2 shown]
	v_add_f64 v[84:85], v[84:85], v[86:87]
	v_add_f64 v[72:73], v[72:73], v[88:89]
	;; [unrolled: 1-line block ×8, first 2 shown]
	s_waitcnt lgkmcnt(4)
	v_mul_f64 v[68:69], v[52:53], v[44:45]
	v_mul_f64 v[70:71], v[50:51], v[44:45]
	;; [unrolled: 1-line block ×4, first 2 shown]
	s_waitcnt lgkmcnt(3)
	v_mul_f64 v[82:83], v[2:3], v[44:45]
	v_mul_f64 v[44:45], v[0:1], v[44:45]
	;; [unrolled: 1-line block ×4, first 2 shown]
	v_fma_f64 v[88:89], v[16:17], v[38:39], -v[92:93]
	v_fma_f64 v[90:91], v[18:19], v[38:39], v[94:95]
	v_fma_f64 v[92:93], v[16:17], v[26:27], -v[96:97]
	v_fma_f64 v[94:95], v[18:19], v[26:27], v[104:105]
	;; [unrolled: 2-line block ×4, first 2 shown]
	ds_load_b128 v[16:19], v22 offset:3840
	s_waitcnt lgkmcnt(0)
	s_barrier
	buffer_gl0_inv
	v_add_f64 v[36:37], v[84:85], v[56:57]
	v_add_f64 v[40:41], v[72:73], v[74:75]
	;; [unrolled: 1-line block ×8, first 2 shown]
	v_mul_f64 v[64:65], v[6:7], v[30:31]
	v_mul_f64 v[66:67], v[4:5], v[30:31]
	;; [unrolled: 1-line block ×4, first 2 shown]
	v_fma_f64 v[68:69], v[50:51], v[42:43], -v[68:69]
	v_mul_f64 v[72:73], v[6:7], v[18:19]
	v_mul_f64 v[74:75], v[4:5], v[18:19]
	;; [unrolled: 1-line block ×4, first 2 shown]
	v_fma_f64 v[70:71], v[52:53], v[42:43], v[70:71]
	v_fma_f64 v[50:51], v[50:51], v[46:47], -v[78:79]
	v_fma_f64 v[52:53], v[52:53], v[46:47], v[80:81]
	v_fma_f64 v[78:79], v[0:1], v[42:43], -v[82:83]
	;; [unrolled: 2-line block ×3, first 2 shown]
	v_fma_f64 v[2:3], v[2:3], v[46:47], v[48:49]
	v_add_f64 v[36:37], v[36:37], v[88:89]
	v_add_f64 v[40:41], v[40:41], v[90:91]
	;; [unrolled: 1-line block ×8, first 2 shown]
	v_fma_f64 v[38:39], v[4:5], v[28:29], -v[64:65]
	v_fma_f64 v[54:55], v[6:7], v[28:29], v[66:67]
	v_fma_f64 v[58:59], v[12:13], v[28:29], -v[76:77]
	v_fma_f64 v[28:29], v[14:15], v[28:29], v[30:31]
	;; [unrolled: 2-line block ×4, first 2 shown]
	v_add_f64 v[6:7], v[36:37], v[68:69]
	v_add_f64 v[14:15], v[40:41], v[70:71]
	;; [unrolled: 1-line block ×16, first 2 shown]
	s_cbranch_vccz .LBB1326_2
.LBB1326_3:
	s_clause 0x1
	s_load_b128 s[4:7], s[0:1], 0x48
	s_load_b32 s2, s[0:1], 0x0
	v_add_nc_u32_e32 v21, s9, v21
	v_add_nc_u32_e32 v10, s8, v20
	s_delay_alu instid0(VALU_DEP_2) | instskip(NEXT) | instid1(VALU_DEP_2)
	v_ashrrev_i32_e32 v8, 31, v21
	v_cmp_le_i32_e64 s0, v10, v21
	s_waitcnt lgkmcnt(0)
	s_delay_alu instid0(VALU_DEP_2)
	v_mul_lo_u32 v11, v8, s4
	v_mul_lo_u32 v22, v21, s5
	v_mad_u64_u32 v[8:9], null, v21, s4, 0
	s_mul_i32 s1, s15, s7
	s_mul_hi_u32 s3, s15, s6
	s_mul_i32 s6, s15, s6
	s_add_i32 s7, s3, s1
	v_cmp_gt_i32_e32 vcc_lo, s2, v21
	s_lshl_b64 s[6:7], s[6:7], 4
	s_delay_alu instid0(VALU_DEP_2) | instskip(SKIP_3) | instid1(VALU_DEP_1)
	v_add3_u32 v9, v9, v22, v11
	s_add_u32 s3, s30, s6
	s_addc_u32 s6, s31, s7
	s_and_b32 s0, vcc_lo, s0
	v_lshlrev_b64 v[8:9], 4, v[8:9]
	s_delay_alu instid0(VALU_DEP_1) | instskip(NEXT) | instid1(VALU_DEP_1)
	v_add_co_u32 v20, s1, s3, v8
	v_add_co_ci_u32_e64 v22, s1, s6, v9, s1
	s_and_saveexec_b32 s7, s0
	s_cbranch_execz .LBB1326_5
; %bb.4:
	v_ashrrev_i32_e32 v11, 31, v10
	v_cmp_ne_u32_e64 s0, v21, v10
	s_delay_alu instid0(VALU_DEP_2) | instskip(NEXT) | instid1(VALU_DEP_2)
	v_lshlrev_b64 v[23:24], 4, v[10:11]
	v_cndmask_b32_e64 v9, 0, v19, s0
	v_cndmask_b32_e64 v8, 0, v18, s0
	s_delay_alu instid0(VALU_DEP_3) | instskip(NEXT) | instid1(VALU_DEP_1)
	v_add_co_u32 v23, s1, v20, v23
	v_add_co_ci_u32_e64 v24, s1, v22, v24, s1
	global_store_b128 v[23:24], v[6:9], off
.LBB1326_5:
	s_or_b32 exec_lo, exec_lo, s7
	v_add_nc_u32_e32 v8, 16, v10
	s_delay_alu instid0(VALU_DEP_1) | instskip(NEXT) | instid1(VALU_DEP_1)
	v_cmp_le_i32_e64 s0, v8, v21
	s_and_b32 s0, vcc_lo, s0
	s_delay_alu instid0(SALU_CYCLE_1)
	s_and_saveexec_b32 s1, s0
	s_cbranch_execz .LBB1326_7
; %bb.6:
	v_ashrrev_i32_e32 v9, 31, v8
	v_cmp_ne_u32_e32 vcc_lo, v21, v8
	s_delay_alu instid0(VALU_DEP_2) | instskip(SKIP_1) | instid1(VALU_DEP_2)
	v_lshlrev_b64 v[18:19], 4, v[8:9]
	v_dual_cndmask_b32 v7, 0, v17 :: v_dual_cndmask_b32 v6, 0, v16
	v_add_co_u32 v17, s0, v20, v18
	s_delay_alu instid0(VALU_DEP_1)
	v_add_co_ci_u32_e64 v18, s0, v22, v19, s0
	global_store_b128 v[17:18], v[4:7], off
.LBB1326_7:
	s_or_b32 exec_lo, exec_lo, s1
	v_add_nc_u32_e32 v9, 16, v21
	s_delay_alu instid0(VALU_DEP_1) | instskip(SKIP_3) | instid1(VALU_DEP_4)
	v_ashrrev_i32_e32 v6, 31, v9
	v_mul_lo_u32 v7, v9, s5
	v_mad_u64_u32 v[4:5], null, v9, s4, 0
	v_cmp_gt_i32_e32 vcc_lo, s2, v9
	v_mul_lo_u32 v6, v6, s4
	v_cmp_le_i32_e64 s0, v10, v9
	s_delay_alu instid0(VALU_DEP_1) | instskip(NEXT) | instid1(VALU_DEP_2)
	s_and_b32 s0, vcc_lo, s0
	v_add3_u32 v5, v5, v7, v6
	s_delay_alu instid0(VALU_DEP_1) | instskip(NEXT) | instid1(VALU_DEP_1)
	v_lshlrev_b64 v[4:5], 4, v[4:5]
	v_add_co_u32 v6, s1, s3, v4
	s_delay_alu instid0(VALU_DEP_1)
	v_add_co_ci_u32_e64 v7, s1, s6, v5, s1
	s_and_saveexec_b32 s2, s0
	s_cbranch_execz .LBB1326_9
; %bb.8:
	v_ashrrev_i32_e32 v11, 31, v10
	v_cmp_ne_u32_e64 s0, v9, v10
	s_delay_alu instid0(VALU_DEP_2) | instskip(NEXT) | instid1(VALU_DEP_2)
	v_lshlrev_b64 v[16:17], 4, v[10:11]
	v_cndmask_b32_e64 v5, 0, v15, s0
	v_cndmask_b32_e64 v4, 0, v14, s0
	s_delay_alu instid0(VALU_DEP_3) | instskip(NEXT) | instid1(VALU_DEP_1)
	v_add_co_u32 v15, s1, v6, v16
	v_add_co_ci_u32_e64 v16, s1, v7, v17, s1
	global_store_b128 v[15:16], v[2:5], off
.LBB1326_9:
	s_or_b32 exec_lo, exec_lo, s2
	v_cmp_le_i32_e64 s0, v8, v9
	s_delay_alu instid0(VALU_DEP_1) | instskip(NEXT) | instid1(SALU_CYCLE_1)
	s_and_b32 s0, vcc_lo, s0
	s_and_saveexec_b32 s1, s0
	s_cbranch_execz .LBB1326_11
; %bb.10:
	v_ashrrev_i32_e32 v9, 31, v8
	v_cmp_ne_u32_e32 vcc_lo, v21, v10
	s_delay_alu instid0(VALU_DEP_2) | instskip(SKIP_1) | instid1(VALU_DEP_2)
	v_lshlrev_b64 v[4:5], 4, v[8:9]
	v_dual_cndmask_b32 v3, 0, v13 :: v_dual_cndmask_b32 v2, 0, v12
	v_add_co_u32 v4, s0, v6, v4
	s_delay_alu instid0(VALU_DEP_1)
	v_add_co_ci_u32_e64 v5, s0, v7, v5, s0
	global_store_b128 v[4:5], v[0:3], off
.LBB1326_11:
	s_nop 0
	s_sendmsg sendmsg(MSG_DEALLOC_VGPRS)
	s_endpgm
	.section	.rodata,"a",@progbits
	.p2align	6, 0x0
	.amdhsa_kernel _ZL37rocblas_syrkx_herkx_restricted_kernelIl19rocblas_complex_numIdELi16ELi32ELi8ELi1ELi0ELb1ELc84ELc85EKS1_S1_EviT_PT9_S3_lS5_S3_lPT10_S3_li
		.amdhsa_group_segment_fixed_size 8192
		.amdhsa_private_segment_fixed_size 0
		.amdhsa_kernarg_size 92
		.amdhsa_user_sgpr_count 13
		.amdhsa_user_sgpr_dispatch_ptr 0
		.amdhsa_user_sgpr_queue_ptr 0
		.amdhsa_user_sgpr_kernarg_segment_ptr 1
		.amdhsa_user_sgpr_dispatch_id 0
		.amdhsa_user_sgpr_private_segment_size 0
		.amdhsa_wavefront_size32 1
		.amdhsa_uses_dynamic_stack 0
		.amdhsa_enable_private_segment 0
		.amdhsa_system_sgpr_workgroup_id_x 1
		.amdhsa_system_sgpr_workgroup_id_y 1
		.amdhsa_system_sgpr_workgroup_id_z 1
		.amdhsa_system_sgpr_workgroup_info 0
		.amdhsa_system_vgpr_workitem_id 1
		.amdhsa_next_free_vgpr 118
		.amdhsa_next_free_sgpr 32
		.amdhsa_reserve_vcc 1
		.amdhsa_float_round_mode_32 0
		.amdhsa_float_round_mode_16_64 0
		.amdhsa_float_denorm_mode_32 3
		.amdhsa_float_denorm_mode_16_64 3
		.amdhsa_dx10_clamp 1
		.amdhsa_ieee_mode 1
		.amdhsa_fp16_overflow 0
		.amdhsa_workgroup_processor_mode 1
		.amdhsa_memory_ordered 1
		.amdhsa_forward_progress 0
		.amdhsa_shared_vgpr_count 0
		.amdhsa_exception_fp_ieee_invalid_op 0
		.amdhsa_exception_fp_denorm_src 0
		.amdhsa_exception_fp_ieee_div_zero 0
		.amdhsa_exception_fp_ieee_overflow 0
		.amdhsa_exception_fp_ieee_underflow 0
		.amdhsa_exception_fp_ieee_inexact 0
		.amdhsa_exception_int_div_zero 0
	.end_amdhsa_kernel
	.section	.text._ZL37rocblas_syrkx_herkx_restricted_kernelIl19rocblas_complex_numIdELi16ELi32ELi8ELi1ELi0ELb1ELc84ELc85EKS1_S1_EviT_PT9_S3_lS5_S3_lPT10_S3_li,"axG",@progbits,_ZL37rocblas_syrkx_herkx_restricted_kernelIl19rocblas_complex_numIdELi16ELi32ELi8ELi1ELi0ELb1ELc84ELc85EKS1_S1_EviT_PT9_S3_lS5_S3_lPT10_S3_li,comdat
.Lfunc_end1326:
	.size	_ZL37rocblas_syrkx_herkx_restricted_kernelIl19rocblas_complex_numIdELi16ELi32ELi8ELi1ELi0ELb1ELc84ELc85EKS1_S1_EviT_PT9_S3_lS5_S3_lPT10_S3_li, .Lfunc_end1326-_ZL37rocblas_syrkx_herkx_restricted_kernelIl19rocblas_complex_numIdELi16ELi32ELi8ELi1ELi0ELb1ELc84ELc85EKS1_S1_EviT_PT9_S3_lS5_S3_lPT10_S3_li
                                        ; -- End function
	.section	.AMDGPU.csdata,"",@progbits
; Kernel info:
; codeLenInByte = 3056
; NumSgprs: 34
; NumVgprs: 118
; ScratchSize: 0
; MemoryBound: 0
; FloatMode: 240
; IeeeMode: 1
; LDSByteSize: 8192 bytes/workgroup (compile time only)
; SGPRBlocks: 4
; VGPRBlocks: 14
; NumSGPRsForWavesPerEU: 34
; NumVGPRsForWavesPerEU: 118
; Occupancy: 12
; WaveLimiterHint : 1
; COMPUTE_PGM_RSRC2:SCRATCH_EN: 0
; COMPUTE_PGM_RSRC2:USER_SGPR: 13
; COMPUTE_PGM_RSRC2:TRAP_HANDLER: 0
; COMPUTE_PGM_RSRC2:TGID_X_EN: 1
; COMPUTE_PGM_RSRC2:TGID_Y_EN: 1
; COMPUTE_PGM_RSRC2:TGID_Z_EN: 1
; COMPUTE_PGM_RSRC2:TIDIG_COMP_CNT: 1
	.section	.text._ZL37rocblas_syrkx_herkx_restricted_kernelIl19rocblas_complex_numIdELi16ELi32ELi8ELi1ELi0ELb1ELc67ELc85EKS1_S1_EviT_PT9_S3_lS5_S3_lPT10_S3_li,"axG",@progbits,_ZL37rocblas_syrkx_herkx_restricted_kernelIl19rocblas_complex_numIdELi16ELi32ELi8ELi1ELi0ELb1ELc67ELc85EKS1_S1_EviT_PT9_S3_lS5_S3_lPT10_S3_li,comdat
	.globl	_ZL37rocblas_syrkx_herkx_restricted_kernelIl19rocblas_complex_numIdELi16ELi32ELi8ELi1ELi0ELb1ELc67ELc85EKS1_S1_EviT_PT9_S3_lS5_S3_lPT10_S3_li ; -- Begin function _ZL37rocblas_syrkx_herkx_restricted_kernelIl19rocblas_complex_numIdELi16ELi32ELi8ELi1ELi0ELb1ELc67ELc85EKS1_S1_EviT_PT9_S3_lS5_S3_lPT10_S3_li
	.p2align	8
	.type	_ZL37rocblas_syrkx_herkx_restricted_kernelIl19rocblas_complex_numIdELi16ELi32ELi8ELi1ELi0ELb1ELc67ELc85EKS1_S1_EviT_PT9_S3_lS5_S3_lPT10_S3_li,@function
_ZL37rocblas_syrkx_herkx_restricted_kernelIl19rocblas_complex_numIdELi16ELi32ELi8ELi1ELi0ELb1ELc67ELc85EKS1_S1_EviT_PT9_S3_lS5_S3_lPT10_S3_li: ; @_ZL37rocblas_syrkx_herkx_restricted_kernelIl19rocblas_complex_numIdELi16ELi32ELi8ELi1ELi0ELb1ELc67ELc85EKS1_S1_EviT_PT9_S3_lS5_S3_lPT10_S3_li
; %bb.0:
	s_load_b512 s[16:31], s[0:1], 0x8
	v_mov_b32_e32 v6, 0
	v_dual_mov_b32 v7, 0 :: v_dual_and_b32 v20, 0x3ff, v0
	v_bfe_u32 v21, v0, 10, 10
	s_delay_alu instid0(VALU_DEP_3) | instskip(NEXT) | instid1(VALU_DEP_3)
	v_mov_b32_e32 v4, v6
	v_dual_mov_b32 v2, v6 :: v_dual_mov_b32 v3, v7
	v_dual_mov_b32 v19, v7 :: v_dual_mov_b32 v18, v6
	v_mov_b32_e32 v5, v7
	v_dual_mov_b32 v17, v7 :: v_dual_mov_b32 v16, v6
	v_dual_mov_b32 v15, v7 :: v_dual_mov_b32 v14, v6
	;; [unrolled: 1-line block ×4, first 2 shown]
	s_lshl_b32 s8, s13, 5
	s_waitcnt lgkmcnt(0)
	v_cmp_lt_i64_e64 s2, s[16:17], 1
	s_lshl_b32 s9, s14, 5
	s_delay_alu instid0(VALU_DEP_1)
	s_and_b32 vcc_lo, exec_lo, s2
	s_cbranch_vccnz .LBB1327_3
; %bb.1:
	v_lshl_add_u32 v2, v21, 4, v20
	v_dual_mov_b32 v1, 0 :: v_dual_and_b32 v0, 7, v20
	v_lshlrev_b32_e32 v22, 4, v20
	s_mul_i32 s3, s23, s15
	s_delay_alu instid0(VALU_DEP_3)
	v_and_b32_e32 v8, 31, v2
	v_lshrrev_b32_e32 v9, 3, v2
	v_lshrrev_b32_e32 v2, 5, v2
	v_mov_b32_e32 v3, v1
	v_lshlrev_b32_e32 v11, 4, v0
	v_add_nc_u32_e32 v6, s8, v8
	v_add_nc_u32_e32 v10, s9, v9
	s_mul_hi_u32 s4, s22, s15
	s_mul_i32 s2, s22, s15
	s_add_i32 s3, s4, s3
	v_ashrrev_i32_e32 v7, 31, v6
	v_ashrrev_i32_e32 v12, 31, v10
	v_mad_u64_u32 v[4:5], null, s20, v6, v[2:3]
	v_mul_lo_u32 v3, s21, v6
	s_delay_alu instid0(VALU_DEP_4)
	v_mul_lo_u32 v13, s20, v7
	v_mul_lo_u32 v14, v10, s27
	v_mad_u64_u32 v[6:7], null, v10, s26, v[0:1]
	v_mul_lo_u32 v0, v12, s26
	s_lshl_b64 s[2:3], s[2:3], 4
	s_mul_hi_u32 s5, s28, s15
	s_add_u32 s4, s18, s2
	s_delay_alu instid0(VALU_DEP_4)
	v_add3_u32 v5, v3, v5, v13
	v_mov_b32_e32 v12, 0
	v_mov_b32_e32 v13, 0
	v_lshlrev_b32_e32 v1, 4, v8
	v_add3_u32 v7, v0, v7, v14
	s_mul_i32 s2, s29, s15
	s_addc_u32 s6, s19, s3
	v_dual_mov_b32 v15, v13 :: v_dual_mov_b32 v14, v12
	v_lshl_or_b32 v23, v2, 9, v1
	v_lshlrev_b64 v[0:1], 4, v[4:5]
	s_add_i32 s3, s5, s2
	s_mul_i32 s2, s28, s15
	v_lshlrev_b64 v[2:3], 4, v[6:7]
	s_lshl_b64 s[2:3], s[2:3], 4
	v_lshl_or_b32 v8, v9, 7, v11
	v_add_co_u32 v0, vcc_lo, s4, v0
	s_add_u32 s2, s24, s2
	v_add_co_ci_u32_e32 v1, vcc_lo, s6, v1, vcc_lo
	s_addc_u32 s3, s25, s3
	v_add_co_u32 v2, vcc_lo, s2, v2
	v_add_co_ci_u32_e32 v3, vcc_lo, s3, v3, vcc_lo
	v_add_nc_u32_e32 v24, 0x1000, v8
	v_add_co_u32 v8, vcc_lo, v0, 8
	v_add_co_ci_u32_e32 v9, vcc_lo, 0, v1, vcc_lo
	v_add_co_u32 v10, vcc_lo, v2, 8
	v_dual_mov_b32 v0, v12 :: v_dual_mov_b32 v17, v13
	v_add_co_ci_u32_e32 v11, vcc_lo, 0, v3, vcc_lo
	v_mov_b32_e32 v2, v12
	v_dual_mov_b32 v16, v12 :: v_dual_mov_b32 v19, v13
	v_mov_b32_e32 v4, v12
	v_dual_mov_b32 v6, v12 :: v_dual_mov_b32 v7, v13
	v_lshl_add_u32 v25, v21, 7, 0x1000
	v_mov_b32_e32 v1, v13
	v_mov_b32_e32 v3, v13
	v_dual_mov_b32 v5, v13 :: v_dual_mov_b32 v18, v12
	s_mov_b64 s[2:3], 0
.LBB1327_2:                             ; =>This Inner Loop Header: Depth=1
	global_load_b128 v[26:29], v[8:9], off offset:-8
	global_load_b128 v[30:33], v[10:11], off offset:-8
	s_add_u32 s2, s2, 8
	v_add_co_u32 v8, vcc_lo, 0x80, v8
	s_addc_u32 s3, s3, 0
	v_add_co_ci_u32_e32 v9, vcc_lo, 0, v9, vcc_lo
	v_cmp_ge_u64_e64 s4, s[2:3], s[16:17]
	v_add_co_u32 v10, vcc_lo, 0x80, v10
	v_add_co_ci_u32_e32 v11, vcc_lo, 0, v11, vcc_lo
	s_delay_alu instid0(VALU_DEP_3)
	s_and_b32 vcc_lo, exec_lo, s4
	s_waitcnt vmcnt(1)
	v_xor_b32_e32 v29, 0x80000000, v29
	ds_store_b128 v23, v[26:29]
	s_waitcnt vmcnt(0)
	ds_store_b128 v24, v[30:33]
	s_waitcnt lgkmcnt(0)
	s_barrier
	buffer_gl0_inv
	ds_load_b128 v[26:29], v25
	ds_load_b128 v[30:33], v22
	ds_load_b128 v[34:37], v22 offset:256
	ds_load_b128 v[38:41], v25 offset:2048
	;; [unrolled: 1-line block ×13, first 2 shown]
	s_waitcnt lgkmcnt(13)
	v_mul_f64 v[86:87], v[28:29], v[32:33]
	v_mul_f64 v[88:89], v[26:27], v[32:33]
	s_waitcnt lgkmcnt(12)
	v_mul_f64 v[90:91], v[28:29], v[36:37]
	v_mul_f64 v[92:93], v[26:27], v[36:37]
	;; [unrolled: 3-line block ×3, first 2 shown]
	v_mul_f64 v[96:97], v[40:41], v[36:37]
	v_mul_f64 v[36:37], v[38:39], v[36:37]
	s_waitcnt lgkmcnt(8)
	v_mul_f64 v[98:99], v[44:45], v[52:53]
	v_mul_f64 v[100:101], v[42:43], v[52:53]
	s_waitcnt lgkmcnt(7)
	v_mul_f64 v[102:103], v[44:45], v[56:57]
	v_mul_f64 v[104:105], v[42:43], v[56:57]
	;; [unrolled: 1-line block ×6, first 2 shown]
	s_waitcnt lgkmcnt(3)
	v_mul_f64 v[112:113], v[58:59], v[72:73]
	s_waitcnt lgkmcnt(2)
	v_mul_f64 v[114:115], v[76:77], v[68:69]
	v_mul_f64 v[116:117], v[76:77], v[72:73]
	v_fma_f64 v[86:87], v[26:27], v[30:31], -v[86:87]
	v_fma_f64 v[88:89], v[28:29], v[30:31], v[88:89]
	v_fma_f64 v[90:91], v[26:27], v[34:35], -v[90:91]
	v_fma_f64 v[92:93], v[28:29], v[34:35], v[92:93]
	;; [unrolled: 2-line block ×4, first 2 shown]
	v_mul_f64 v[36:37], v[60:61], v[68:69]
	v_mul_f64 v[40:41], v[58:59], v[68:69]
	;; [unrolled: 1-line block ×5, first 2 shown]
	v_fma_f64 v[98:99], v[42:43], v[50:51], -v[98:99]
	v_fma_f64 v[100:101], v[44:45], v[50:51], v[100:101]
	v_fma_f64 v[42:43], v[42:43], v[54:55], -v[102:103]
	v_fma_f64 v[44:45], v[44:45], v[54:55], v[104:105]
	;; [unrolled: 2-line block ×4, first 2 shown]
	ds_load_b128 v[26:29], v22 offset:1792
	ds_load_b128 v[30:33], v22 offset:2048
	v_add_f64 v[52:53], v[6:7], v[86:87]
	v_add_f64 v[18:19], v[18:19], v[88:89]
	;; [unrolled: 1-line block ×8, first 2 shown]
	s_waitcnt lgkmcnt(2)
	v_mul_f64 v[86:87], v[64:65], v[84:85]
	v_mul_f64 v[88:89], v[62:63], v[84:85]
	s_waitcnt lgkmcnt(1)
	v_mul_f64 v[90:91], v[64:65], v[28:29]
	v_mul_f64 v[92:93], v[62:63], v[28:29]
	;; [unrolled: 1-line block ×6, first 2 shown]
	v_fma_f64 v[106:107], v[58:59], v[66:67], -v[36:37]
	v_fma_f64 v[108:109], v[60:61], v[66:67], v[40:41]
	v_fma_f64 v[58:59], v[58:59], v[70:71], -v[96:97]
	v_fma_f64 v[60:61], v[60:61], v[70:71], v[112:113]
	;; [unrolled: 2-line block ×4, first 2 shown]
	ds_load_b128 v[0:3], v22 offset:2304
	ds_load_b128 v[4:7], v25 offset:64
	v_add_f64 v[52:53], v[52:53], v[98:99]
	v_add_f64 v[72:73], v[18:19], v[100:101]
	;; [unrolled: 1-line block ×8, first 2 shown]
	ds_load_b128 v[12:15], v25 offset:2112
	ds_load_b128 v[16:19], v25 offset:80
	;; [unrolled: 1-line block ×4, first 2 shown]
	s_waitcnt lgkmcnt(4)
	v_mul_f64 v[56:57], v[6:7], v[32:33]
	v_mul_f64 v[74:75], v[4:5], v[32:33]
	;; [unrolled: 1-line block ×4, first 2 shown]
	v_fma_f64 v[86:87], v[62:63], v[82:83], -v[86:87]
	v_fma_f64 v[88:89], v[64:65], v[82:83], v[88:89]
	v_fma_f64 v[62:63], v[62:63], v[26:27], -v[90:91]
	v_fma_f64 v[64:65], v[64:65], v[26:27], v[92:93]
	;; [unrolled: 2-line block ×4, first 2 shown]
	s_waitcnt lgkmcnt(3)
	v_mul_f64 v[100:101], v[14:15], v[32:33]
	v_mul_f64 v[32:33], v[12:13], v[32:33]
	;; [unrolled: 1-line block ×4, first 2 shown]
	s_waitcnt lgkmcnt(0)
	v_mul_f64 v[92:93], v[18:19], v[40:41]
	v_mul_f64 v[94:95], v[16:17], v[40:41]
	v_add_f64 v[84:85], v[52:53], v[106:107]
	v_add_f64 v[72:73], v[72:73], v[108:109]
	;; [unrolled: 1-line block ×8, first 2 shown]
	ds_load_b128 v[26:29], v22 offset:2816
	ds_load_b128 v[42:45], v22 offset:3072
	;; [unrolled: 1-line block ×4, first 2 shown]
	v_mul_f64 v[106:107], v[36:37], v[40:41]
	v_mul_f64 v[40:41], v[34:35], v[40:41]
	v_fma_f64 v[56:57], v[4:5], v[30:31], -v[56:57]
	v_fma_f64 v[74:75], v[6:7], v[30:31], v[74:75]
	v_fma_f64 v[76:77], v[4:5], v[0:1], -v[76:77]
	v_fma_f64 v[98:99], v[6:7], v[0:1], v[98:99]
	s_waitcnt lgkmcnt(3)
	v_mul_f64 v[96:97], v[18:19], v[28:29]
	v_mul_f64 v[104:105], v[16:17], v[28:29]
	;; [unrolled: 1-line block ×4, first 2 shown]
	v_fma_f64 v[100:101], v[12:13], v[30:31], -v[100:101]
	v_fma_f64 v[32:33], v[14:15], v[30:31], v[32:33]
	v_fma_f64 v[102:103], v[12:13], v[0:1], -v[102:103]
	v_fma_f64 v[112:113], v[14:15], v[0:1], v[2:3]
	ds_load_b128 v[0:3], v25 offset:2144
	ds_load_b128 v[4:7], v25 offset:112
	;; [unrolled: 1-line block ×4, first 2 shown]
	v_add_f64 v[84:85], v[84:85], v[86:87]
	v_add_f64 v[72:73], v[72:73], v[88:89]
	;; [unrolled: 1-line block ×8, first 2 shown]
	s_waitcnt lgkmcnt(4)
	v_mul_f64 v[68:69], v[52:53], v[44:45]
	v_mul_f64 v[70:71], v[50:51], v[44:45]
	;; [unrolled: 1-line block ×4, first 2 shown]
	s_waitcnt lgkmcnt(3)
	v_mul_f64 v[82:83], v[2:3], v[44:45]
	v_mul_f64 v[44:45], v[0:1], v[44:45]
	;; [unrolled: 1-line block ×4, first 2 shown]
	v_fma_f64 v[88:89], v[16:17], v[38:39], -v[92:93]
	v_fma_f64 v[90:91], v[18:19], v[38:39], v[94:95]
	v_fma_f64 v[92:93], v[16:17], v[26:27], -v[96:97]
	v_fma_f64 v[94:95], v[18:19], v[26:27], v[104:105]
	;; [unrolled: 2-line block ×4, first 2 shown]
	ds_load_b128 v[16:19], v22 offset:3840
	s_waitcnt lgkmcnt(0)
	s_barrier
	buffer_gl0_inv
	v_add_f64 v[36:37], v[84:85], v[56:57]
	v_add_f64 v[40:41], v[72:73], v[74:75]
	;; [unrolled: 1-line block ×8, first 2 shown]
	v_mul_f64 v[64:65], v[6:7], v[30:31]
	v_mul_f64 v[66:67], v[4:5], v[30:31]
	v_mul_f64 v[76:77], v[14:15], v[30:31]
	v_mul_f64 v[30:31], v[12:13], v[30:31]
	v_fma_f64 v[68:69], v[50:51], v[42:43], -v[68:69]
	v_mul_f64 v[72:73], v[6:7], v[18:19]
	v_mul_f64 v[74:75], v[4:5], v[18:19]
	;; [unrolled: 1-line block ×4, first 2 shown]
	v_fma_f64 v[70:71], v[52:53], v[42:43], v[70:71]
	v_fma_f64 v[50:51], v[50:51], v[46:47], -v[78:79]
	v_fma_f64 v[52:53], v[52:53], v[46:47], v[80:81]
	v_fma_f64 v[78:79], v[0:1], v[42:43], -v[82:83]
	;; [unrolled: 2-line block ×3, first 2 shown]
	v_fma_f64 v[2:3], v[2:3], v[46:47], v[48:49]
	v_add_f64 v[36:37], v[36:37], v[88:89]
	v_add_f64 v[40:41], v[40:41], v[90:91]
	;; [unrolled: 1-line block ×8, first 2 shown]
	v_fma_f64 v[38:39], v[4:5], v[28:29], -v[64:65]
	v_fma_f64 v[54:55], v[6:7], v[28:29], v[66:67]
	v_fma_f64 v[58:59], v[12:13], v[28:29], -v[76:77]
	v_fma_f64 v[28:29], v[14:15], v[28:29], v[30:31]
	;; [unrolled: 2-line block ×4, first 2 shown]
	v_add_f64 v[6:7], v[36:37], v[68:69]
	v_add_f64 v[14:15], v[40:41], v[70:71]
	;; [unrolled: 1-line block ×16, first 2 shown]
	s_cbranch_vccz .LBB1327_2
.LBB1327_3:
	s_clause 0x1
	s_load_b128 s[4:7], s[0:1], 0x48
	s_load_b32 s2, s[0:1], 0x0
	v_add_nc_u32_e32 v21, s9, v21
	v_add_nc_u32_e32 v10, s8, v20
	s_delay_alu instid0(VALU_DEP_2) | instskip(NEXT) | instid1(VALU_DEP_2)
	v_ashrrev_i32_e32 v8, 31, v21
	v_cmp_le_i32_e64 s0, v10, v21
	s_waitcnt lgkmcnt(0)
	s_delay_alu instid0(VALU_DEP_2)
	v_mul_lo_u32 v11, v8, s4
	v_mul_lo_u32 v22, v21, s5
	v_mad_u64_u32 v[8:9], null, v21, s4, 0
	s_mul_i32 s1, s15, s7
	s_mul_hi_u32 s3, s15, s6
	s_mul_i32 s6, s15, s6
	s_add_i32 s7, s3, s1
	v_cmp_gt_i32_e32 vcc_lo, s2, v21
	s_lshl_b64 s[6:7], s[6:7], 4
	s_delay_alu instid0(VALU_DEP_2) | instskip(SKIP_3) | instid1(VALU_DEP_1)
	v_add3_u32 v9, v9, v22, v11
	s_add_u32 s3, s30, s6
	s_addc_u32 s6, s31, s7
	s_and_b32 s0, vcc_lo, s0
	v_lshlrev_b64 v[8:9], 4, v[8:9]
	s_delay_alu instid0(VALU_DEP_1) | instskip(NEXT) | instid1(VALU_DEP_1)
	v_add_co_u32 v20, s1, s3, v8
	v_add_co_ci_u32_e64 v22, s1, s6, v9, s1
	s_and_saveexec_b32 s7, s0
	s_cbranch_execz .LBB1327_5
; %bb.4:
	v_ashrrev_i32_e32 v11, 31, v10
	v_cmp_ne_u32_e64 s0, v21, v10
	s_delay_alu instid0(VALU_DEP_2) | instskip(NEXT) | instid1(VALU_DEP_2)
	v_lshlrev_b64 v[23:24], 4, v[10:11]
	v_cndmask_b32_e64 v9, 0, v19, s0
	v_cndmask_b32_e64 v8, 0, v18, s0
	s_delay_alu instid0(VALU_DEP_3) | instskip(NEXT) | instid1(VALU_DEP_1)
	v_add_co_u32 v23, s1, v20, v23
	v_add_co_ci_u32_e64 v24, s1, v22, v24, s1
	global_store_b128 v[23:24], v[6:9], off
.LBB1327_5:
	s_or_b32 exec_lo, exec_lo, s7
	v_add_nc_u32_e32 v8, 16, v10
	s_delay_alu instid0(VALU_DEP_1) | instskip(NEXT) | instid1(VALU_DEP_1)
	v_cmp_le_i32_e64 s0, v8, v21
	s_and_b32 s0, vcc_lo, s0
	s_delay_alu instid0(SALU_CYCLE_1)
	s_and_saveexec_b32 s1, s0
	s_cbranch_execz .LBB1327_7
; %bb.6:
	v_ashrrev_i32_e32 v9, 31, v8
	v_cmp_ne_u32_e32 vcc_lo, v21, v8
	s_delay_alu instid0(VALU_DEP_2) | instskip(SKIP_1) | instid1(VALU_DEP_2)
	v_lshlrev_b64 v[18:19], 4, v[8:9]
	v_dual_cndmask_b32 v7, 0, v17 :: v_dual_cndmask_b32 v6, 0, v16
	v_add_co_u32 v17, s0, v20, v18
	s_delay_alu instid0(VALU_DEP_1)
	v_add_co_ci_u32_e64 v18, s0, v22, v19, s0
	global_store_b128 v[17:18], v[4:7], off
.LBB1327_7:
	s_or_b32 exec_lo, exec_lo, s1
	v_add_nc_u32_e32 v9, 16, v21
	s_delay_alu instid0(VALU_DEP_1) | instskip(SKIP_3) | instid1(VALU_DEP_4)
	v_ashrrev_i32_e32 v6, 31, v9
	v_mul_lo_u32 v7, v9, s5
	v_mad_u64_u32 v[4:5], null, v9, s4, 0
	v_cmp_gt_i32_e32 vcc_lo, s2, v9
	v_mul_lo_u32 v6, v6, s4
	v_cmp_le_i32_e64 s0, v10, v9
	s_delay_alu instid0(VALU_DEP_1) | instskip(NEXT) | instid1(VALU_DEP_2)
	s_and_b32 s0, vcc_lo, s0
	v_add3_u32 v5, v5, v7, v6
	s_delay_alu instid0(VALU_DEP_1) | instskip(NEXT) | instid1(VALU_DEP_1)
	v_lshlrev_b64 v[4:5], 4, v[4:5]
	v_add_co_u32 v6, s1, s3, v4
	s_delay_alu instid0(VALU_DEP_1)
	v_add_co_ci_u32_e64 v7, s1, s6, v5, s1
	s_and_saveexec_b32 s2, s0
	s_cbranch_execz .LBB1327_9
; %bb.8:
	v_ashrrev_i32_e32 v11, 31, v10
	v_cmp_ne_u32_e64 s0, v9, v10
	s_delay_alu instid0(VALU_DEP_2) | instskip(NEXT) | instid1(VALU_DEP_2)
	v_lshlrev_b64 v[16:17], 4, v[10:11]
	v_cndmask_b32_e64 v5, 0, v15, s0
	v_cndmask_b32_e64 v4, 0, v14, s0
	s_delay_alu instid0(VALU_DEP_3) | instskip(NEXT) | instid1(VALU_DEP_1)
	v_add_co_u32 v15, s1, v6, v16
	v_add_co_ci_u32_e64 v16, s1, v7, v17, s1
	global_store_b128 v[15:16], v[2:5], off
.LBB1327_9:
	s_or_b32 exec_lo, exec_lo, s2
	v_cmp_le_i32_e64 s0, v8, v9
	s_delay_alu instid0(VALU_DEP_1) | instskip(NEXT) | instid1(SALU_CYCLE_1)
	s_and_b32 s0, vcc_lo, s0
	s_and_saveexec_b32 s1, s0
	s_cbranch_execz .LBB1327_11
; %bb.10:
	v_ashrrev_i32_e32 v9, 31, v8
	v_cmp_ne_u32_e32 vcc_lo, v21, v10
	s_delay_alu instid0(VALU_DEP_2) | instskip(SKIP_1) | instid1(VALU_DEP_2)
	v_lshlrev_b64 v[4:5], 4, v[8:9]
	v_dual_cndmask_b32 v3, 0, v13 :: v_dual_cndmask_b32 v2, 0, v12
	v_add_co_u32 v4, s0, v6, v4
	s_delay_alu instid0(VALU_DEP_1)
	v_add_co_ci_u32_e64 v5, s0, v7, v5, s0
	global_store_b128 v[4:5], v[0:3], off
.LBB1327_11:
	s_nop 0
	s_sendmsg sendmsg(MSG_DEALLOC_VGPRS)
	s_endpgm
	.section	.rodata,"a",@progbits
	.p2align	6, 0x0
	.amdhsa_kernel _ZL37rocblas_syrkx_herkx_restricted_kernelIl19rocblas_complex_numIdELi16ELi32ELi8ELi1ELi0ELb1ELc67ELc85EKS1_S1_EviT_PT9_S3_lS5_S3_lPT10_S3_li
		.amdhsa_group_segment_fixed_size 8192
		.amdhsa_private_segment_fixed_size 0
		.amdhsa_kernarg_size 92
		.amdhsa_user_sgpr_count 13
		.amdhsa_user_sgpr_dispatch_ptr 0
		.amdhsa_user_sgpr_queue_ptr 0
		.amdhsa_user_sgpr_kernarg_segment_ptr 1
		.amdhsa_user_sgpr_dispatch_id 0
		.amdhsa_user_sgpr_private_segment_size 0
		.amdhsa_wavefront_size32 1
		.amdhsa_uses_dynamic_stack 0
		.amdhsa_enable_private_segment 0
		.amdhsa_system_sgpr_workgroup_id_x 1
		.amdhsa_system_sgpr_workgroup_id_y 1
		.amdhsa_system_sgpr_workgroup_id_z 1
		.amdhsa_system_sgpr_workgroup_info 0
		.amdhsa_system_vgpr_workitem_id 1
		.amdhsa_next_free_vgpr 118
		.amdhsa_next_free_sgpr 32
		.amdhsa_reserve_vcc 1
		.amdhsa_float_round_mode_32 0
		.amdhsa_float_round_mode_16_64 0
		.amdhsa_float_denorm_mode_32 3
		.amdhsa_float_denorm_mode_16_64 3
		.amdhsa_dx10_clamp 1
		.amdhsa_ieee_mode 1
		.amdhsa_fp16_overflow 0
		.amdhsa_workgroup_processor_mode 1
		.amdhsa_memory_ordered 1
		.amdhsa_forward_progress 0
		.amdhsa_shared_vgpr_count 0
		.amdhsa_exception_fp_ieee_invalid_op 0
		.amdhsa_exception_fp_denorm_src 0
		.amdhsa_exception_fp_ieee_div_zero 0
		.amdhsa_exception_fp_ieee_overflow 0
		.amdhsa_exception_fp_ieee_underflow 0
		.amdhsa_exception_fp_ieee_inexact 0
		.amdhsa_exception_int_div_zero 0
	.end_amdhsa_kernel
	.section	.text._ZL37rocblas_syrkx_herkx_restricted_kernelIl19rocblas_complex_numIdELi16ELi32ELi8ELi1ELi0ELb1ELc67ELc85EKS1_S1_EviT_PT9_S3_lS5_S3_lPT10_S3_li,"axG",@progbits,_ZL37rocblas_syrkx_herkx_restricted_kernelIl19rocblas_complex_numIdELi16ELi32ELi8ELi1ELi0ELb1ELc67ELc85EKS1_S1_EviT_PT9_S3_lS5_S3_lPT10_S3_li,comdat
.Lfunc_end1327:
	.size	_ZL37rocblas_syrkx_herkx_restricted_kernelIl19rocblas_complex_numIdELi16ELi32ELi8ELi1ELi0ELb1ELc67ELc85EKS1_S1_EviT_PT9_S3_lS5_S3_lPT10_S3_li, .Lfunc_end1327-_ZL37rocblas_syrkx_herkx_restricted_kernelIl19rocblas_complex_numIdELi16ELi32ELi8ELi1ELi0ELb1ELc67ELc85EKS1_S1_EviT_PT9_S3_lS5_S3_lPT10_S3_li
                                        ; -- End function
	.section	.AMDGPU.csdata,"",@progbits
; Kernel info:
; codeLenInByte = 3068
; NumSgprs: 34
; NumVgprs: 118
; ScratchSize: 0
; MemoryBound: 0
; FloatMode: 240
; IeeeMode: 1
; LDSByteSize: 8192 bytes/workgroup (compile time only)
; SGPRBlocks: 4
; VGPRBlocks: 14
; NumSGPRsForWavesPerEU: 34
; NumVGPRsForWavesPerEU: 118
; Occupancy: 12
; WaveLimiterHint : 1
; COMPUTE_PGM_RSRC2:SCRATCH_EN: 0
; COMPUTE_PGM_RSRC2:USER_SGPR: 13
; COMPUTE_PGM_RSRC2:TRAP_HANDLER: 0
; COMPUTE_PGM_RSRC2:TGID_X_EN: 1
; COMPUTE_PGM_RSRC2:TGID_Y_EN: 1
; COMPUTE_PGM_RSRC2:TGID_Z_EN: 1
; COMPUTE_PGM_RSRC2:TIDIG_COMP_CNT: 1
	.section	.text._ZL37rocblas_syrkx_herkx_restricted_kernelIl19rocblas_complex_numIdELi16ELi32ELi8ELi1ELi0ELb1ELc78ELc85EKS1_S1_EviT_PT9_S3_lS5_S3_lPT10_S3_li,"axG",@progbits,_ZL37rocblas_syrkx_herkx_restricted_kernelIl19rocblas_complex_numIdELi16ELi32ELi8ELi1ELi0ELb1ELc78ELc85EKS1_S1_EviT_PT9_S3_lS5_S3_lPT10_S3_li,comdat
	.globl	_ZL37rocblas_syrkx_herkx_restricted_kernelIl19rocblas_complex_numIdELi16ELi32ELi8ELi1ELi0ELb1ELc78ELc85EKS1_S1_EviT_PT9_S3_lS5_S3_lPT10_S3_li ; -- Begin function _ZL37rocblas_syrkx_herkx_restricted_kernelIl19rocblas_complex_numIdELi16ELi32ELi8ELi1ELi0ELb1ELc78ELc85EKS1_S1_EviT_PT9_S3_lS5_S3_lPT10_S3_li
	.p2align	8
	.type	_ZL37rocblas_syrkx_herkx_restricted_kernelIl19rocblas_complex_numIdELi16ELi32ELi8ELi1ELi0ELb1ELc78ELc85EKS1_S1_EviT_PT9_S3_lS5_S3_lPT10_S3_li,@function
_ZL37rocblas_syrkx_herkx_restricted_kernelIl19rocblas_complex_numIdELi16ELi32ELi8ELi1ELi0ELb1ELc78ELc85EKS1_S1_EviT_PT9_S3_lS5_S3_lPT10_S3_li: ; @_ZL37rocblas_syrkx_herkx_restricted_kernelIl19rocblas_complex_numIdELi16ELi32ELi8ELi1ELi0ELb1ELc78ELc85EKS1_S1_EviT_PT9_S3_lS5_S3_lPT10_S3_li
; %bb.0:
	s_load_b512 s[16:31], s[0:1], 0x8
	v_mov_b32_e32 v6, 0
	v_dual_mov_b32 v7, 0 :: v_dual_and_b32 v20, 0x3ff, v0
	v_bfe_u32 v21, v0, 10, 10
	s_delay_alu instid0(VALU_DEP_3) | instskip(NEXT) | instid1(VALU_DEP_3)
	v_mov_b32_e32 v4, v6
	v_dual_mov_b32 v2, v6 :: v_dual_mov_b32 v3, v7
	v_dual_mov_b32 v19, v7 :: v_dual_mov_b32 v18, v6
	v_mov_b32_e32 v5, v7
	v_dual_mov_b32 v17, v7 :: v_dual_mov_b32 v16, v6
	v_dual_mov_b32 v15, v7 :: v_dual_mov_b32 v14, v6
	;; [unrolled: 1-line block ×4, first 2 shown]
	s_lshl_b32 s8, s13, 5
	s_waitcnt lgkmcnt(0)
	v_cmp_lt_i64_e64 s2, s[16:17], 1
	s_lshl_b32 s9, s14, 5
	s_delay_alu instid0(VALU_DEP_1)
	s_and_b32 vcc_lo, exec_lo, s2
	s_cbranch_vccnz .LBB1328_3
; %bb.1:
	v_lshl_add_u32 v1, v21, 4, v20
	v_and_b32_e32 v8, 7, v20
	s_mul_i32 s3, s23, s15
	s_mul_hi_u32 s5, s22, s15
	s_mul_i32 s2, s22, s15
	v_dual_mov_b32 v12, 0 :: v_dual_and_b32 v7, 31, v1
	v_lshrrev_b32_e32 v9, 3, v1
	v_mov_b32_e32 v13, 0
	v_lshrrev_b32_e32 v10, 5, v1
	s_delay_alu instid0(VALU_DEP_4) | instskip(SKIP_1) | instid1(VALU_DEP_3)
	v_add_nc_u32_e32 v0, s8, v7
	s_add_i32 s3, s5, s3
	v_dual_mov_b32 v15, v13 :: v_dual_add_nc_u32 v2, s9, v9
	s_lshl_b64 s[2:3], s[2:3], 4
	s_delay_alu instid0(VALU_DEP_2) | instskip(SKIP_1) | instid1(VALU_DEP_2)
	v_ashrrev_i32_e32 v1, 31, v0
	s_mul_i32 s6, s29, s15
	v_ashrrev_i32_e32 v3, 31, v2
	s_mul_hi_u32 s7, s28, s15
	s_add_u32 s10, s18, s2
	v_mad_u64_u32 v[4:5], null, v10, s20, v[0:1]
	s_delay_alu instid0(VALU_DEP_2) | instskip(SKIP_4) | instid1(VALU_DEP_2)
	v_mad_u64_u32 v[0:1], null, v8, s26, v[2:3]
	s_mul_i32 s4, s28, s15
	s_addc_u32 s11, s19, s3
	s_add_i32 s5, s7, s6
	s_lshl_b64 s[2:3], s[20:21], 7
	v_dual_mov_b32 v2, v5 :: v_dual_lshlrev_b32 v11, 4, v8
	s_lshl_b64 s[4:5], s[4:5], 4
	v_dual_mov_b32 v14, v12 :: v_dual_mov_b32 v17, v13
	s_delay_alu instid0(VALU_DEP_2)
	v_mad_u64_u32 v[5:6], null, v10, s21, v[2:3]
	v_mad_u64_u32 v[2:3], null, v8, s27, v[1:2]
	v_lshlrev_b32_e32 v22, 4, v20
	s_add_u32 s4, s24, s4
	s_addc_u32 s5, s25, s5
	v_lshlrev_b32_e32 v6, 4, v7
	v_lshl_or_b32 v7, v9, 7, v11
	v_dual_mov_b32 v16, v12 :: v_dual_mov_b32 v19, v13
	v_mov_b32_e32 v1, v2
	v_lshlrev_b64 v[2:3], 4, v[4:5]
	s_delay_alu instid0(VALU_DEP_4) | instskip(SKIP_1) | instid1(VALU_DEP_4)
	v_dual_mov_b32 v4, v12 :: v_dual_add_nc_u32 v25, 0x1000, v7
	v_lshl_add_u32 v23, v21, 7, 0x1000
	v_lshlrev_b64 v[0:1], 4, v[0:1]
	v_mov_b32_e32 v18, v12
	v_add_co_u32 v2, vcc_lo, s10, v2
	v_add_co_ci_u32_e32 v3, vcc_lo, s11, v3, vcc_lo
	s_delay_alu instid0(VALU_DEP_4) | instskip(SKIP_1) | instid1(VALU_DEP_4)
	v_add_co_u32 v0, vcc_lo, s4, v0
	v_add_co_ci_u32_e32 v1, vcc_lo, s5, v1, vcc_lo
	v_add_co_u32 v8, vcc_lo, v2, 8
	s_delay_alu instid0(VALU_DEP_4)
	v_add_co_ci_u32_e32 v9, vcc_lo, 0, v3, vcc_lo
	v_dual_mov_b32 v2, v12 :: v_dual_mov_b32 v5, v13
	v_mov_b32_e32 v3, v13
	v_lshl_or_b32 v24, v10, 9, v6
	v_add_co_u32 v10, vcc_lo, v0, 8
	v_add_co_ci_u32_e32 v11, vcc_lo, 0, v1, vcc_lo
	v_mov_b32_e32 v0, v12
	v_dual_mov_b32 v6, v12 :: v_dual_mov_b32 v1, v13
	v_mov_b32_e32 v7, v13
	s_lshl_b64 s[4:5], s[26:27], 7
	s_mov_b64 s[6:7], 0
.LBB1328_2:                             ; =>This Inner Loop Header: Depth=1
	global_load_b128 v[26:29], v[10:11], off offset:-8
	global_load_b128 v[30:33], v[8:9], off offset:-8
	s_add_u32 s6, s6, 8
	v_add_co_u32 v8, vcc_lo, v8, s2
	s_addc_u32 s7, s7, 0
	v_add_co_ci_u32_e32 v9, vcc_lo, s3, v9, vcc_lo
	v_cmp_ge_u64_e64 s10, s[6:7], s[16:17]
	v_add_co_u32 v10, vcc_lo, v10, s4
	v_add_co_ci_u32_e32 v11, vcc_lo, s5, v11, vcc_lo
	s_delay_alu instid0(VALU_DEP_3)
	s_and_b32 vcc_lo, exec_lo, s10
	s_waitcnt vmcnt(1)
	v_xor_b32_e32 v29, 0x80000000, v29
	s_waitcnt vmcnt(0)
	ds_store_b128 v24, v[30:33]
	ds_store_b128 v25, v[26:29]
	s_waitcnt lgkmcnt(0)
	s_barrier
	buffer_gl0_inv
	ds_load_b128 v[26:29], v23
	ds_load_b128 v[30:33], v22
	ds_load_b128 v[34:37], v22 offset:256
	ds_load_b128 v[38:41], v23 offset:2048
	;; [unrolled: 1-line block ×13, first 2 shown]
	s_waitcnt lgkmcnt(13)
	v_mul_f64 v[86:87], v[28:29], v[32:33]
	v_mul_f64 v[88:89], v[26:27], v[32:33]
	s_waitcnt lgkmcnt(12)
	v_mul_f64 v[90:91], v[28:29], v[36:37]
	v_mul_f64 v[92:93], v[26:27], v[36:37]
	;; [unrolled: 3-line block ×3, first 2 shown]
	v_mul_f64 v[96:97], v[40:41], v[36:37]
	v_mul_f64 v[36:37], v[38:39], v[36:37]
	s_waitcnt lgkmcnt(8)
	v_mul_f64 v[98:99], v[44:45], v[52:53]
	v_mul_f64 v[100:101], v[42:43], v[52:53]
	s_waitcnt lgkmcnt(7)
	v_mul_f64 v[102:103], v[44:45], v[56:57]
	v_mul_f64 v[104:105], v[42:43], v[56:57]
	;; [unrolled: 1-line block ×6, first 2 shown]
	s_waitcnt lgkmcnt(3)
	v_mul_f64 v[112:113], v[58:59], v[72:73]
	s_waitcnt lgkmcnt(2)
	v_mul_f64 v[114:115], v[76:77], v[68:69]
	v_mul_f64 v[116:117], v[76:77], v[72:73]
	v_fma_f64 v[86:87], v[26:27], v[30:31], -v[86:87]
	v_fma_f64 v[88:89], v[28:29], v[30:31], v[88:89]
	v_fma_f64 v[90:91], v[26:27], v[34:35], -v[90:91]
	v_fma_f64 v[92:93], v[28:29], v[34:35], v[92:93]
	;; [unrolled: 2-line block ×4, first 2 shown]
	v_mul_f64 v[36:37], v[60:61], v[68:69]
	v_mul_f64 v[40:41], v[58:59], v[68:69]
	;; [unrolled: 1-line block ×5, first 2 shown]
	v_fma_f64 v[98:99], v[42:43], v[50:51], -v[98:99]
	v_fma_f64 v[100:101], v[44:45], v[50:51], v[100:101]
	v_fma_f64 v[42:43], v[42:43], v[54:55], -v[102:103]
	v_fma_f64 v[44:45], v[44:45], v[54:55], v[104:105]
	;; [unrolled: 2-line block ×4, first 2 shown]
	ds_load_b128 v[26:29], v22 offset:1792
	ds_load_b128 v[30:33], v22 offset:2048
	v_add_f64 v[52:53], v[6:7], v[86:87]
	v_add_f64 v[18:19], v[18:19], v[88:89]
	;; [unrolled: 1-line block ×8, first 2 shown]
	s_waitcnt lgkmcnt(2)
	v_mul_f64 v[86:87], v[64:65], v[84:85]
	v_mul_f64 v[88:89], v[62:63], v[84:85]
	s_waitcnt lgkmcnt(1)
	v_mul_f64 v[90:91], v[64:65], v[28:29]
	v_mul_f64 v[92:93], v[62:63], v[28:29]
	;; [unrolled: 1-line block ×6, first 2 shown]
	v_fma_f64 v[106:107], v[58:59], v[66:67], -v[36:37]
	v_fma_f64 v[108:109], v[60:61], v[66:67], v[40:41]
	v_fma_f64 v[58:59], v[58:59], v[70:71], -v[96:97]
	v_fma_f64 v[60:61], v[60:61], v[70:71], v[112:113]
	;; [unrolled: 2-line block ×4, first 2 shown]
	ds_load_b128 v[0:3], v22 offset:2304
	ds_load_b128 v[4:7], v23 offset:64
	v_add_f64 v[52:53], v[52:53], v[98:99]
	v_add_f64 v[72:73], v[18:19], v[100:101]
	v_add_f64 v[42:43], v[54:55], v[42:43]
	v_add_f64 v[44:45], v[16:17], v[44:45]
	v_add_f64 v[54:55], v[56:57], v[102:103]
	v_add_f64 v[50:51], v[14:15], v[50:51]
	v_add_f64 v[46:47], v[38:39], v[46:47]
	v_add_f64 v[48:49], v[12:13], v[48:49]
	ds_load_b128 v[12:15], v23 offset:2112
	ds_load_b128 v[16:19], v23 offset:80
	;; [unrolled: 1-line block ×4, first 2 shown]
	s_waitcnt lgkmcnt(4)
	v_mul_f64 v[56:57], v[6:7], v[32:33]
	v_mul_f64 v[74:75], v[4:5], v[32:33]
	;; [unrolled: 1-line block ×4, first 2 shown]
	v_fma_f64 v[86:87], v[62:63], v[82:83], -v[86:87]
	v_fma_f64 v[88:89], v[64:65], v[82:83], v[88:89]
	v_fma_f64 v[62:63], v[62:63], v[26:27], -v[90:91]
	v_fma_f64 v[64:65], v[64:65], v[26:27], v[92:93]
	;; [unrolled: 2-line block ×4, first 2 shown]
	s_waitcnt lgkmcnt(3)
	v_mul_f64 v[100:101], v[14:15], v[32:33]
	v_mul_f64 v[32:33], v[12:13], v[32:33]
	;; [unrolled: 1-line block ×4, first 2 shown]
	s_waitcnt lgkmcnt(0)
	v_mul_f64 v[92:93], v[18:19], v[40:41]
	v_mul_f64 v[94:95], v[16:17], v[40:41]
	v_add_f64 v[84:85], v[52:53], v[106:107]
	v_add_f64 v[72:73], v[72:73], v[108:109]
	;; [unrolled: 1-line block ×8, first 2 shown]
	ds_load_b128 v[26:29], v22 offset:2816
	ds_load_b128 v[42:45], v22 offset:3072
	;; [unrolled: 1-line block ×4, first 2 shown]
	v_mul_f64 v[106:107], v[36:37], v[40:41]
	v_mul_f64 v[40:41], v[34:35], v[40:41]
	v_fma_f64 v[56:57], v[4:5], v[30:31], -v[56:57]
	v_fma_f64 v[74:75], v[6:7], v[30:31], v[74:75]
	v_fma_f64 v[76:77], v[4:5], v[0:1], -v[76:77]
	v_fma_f64 v[98:99], v[6:7], v[0:1], v[98:99]
	s_waitcnt lgkmcnt(3)
	v_mul_f64 v[96:97], v[18:19], v[28:29]
	v_mul_f64 v[104:105], v[16:17], v[28:29]
	;; [unrolled: 1-line block ×4, first 2 shown]
	v_fma_f64 v[100:101], v[12:13], v[30:31], -v[100:101]
	v_fma_f64 v[32:33], v[14:15], v[30:31], v[32:33]
	v_fma_f64 v[102:103], v[12:13], v[0:1], -v[102:103]
	v_fma_f64 v[112:113], v[14:15], v[0:1], v[2:3]
	ds_load_b128 v[0:3], v23 offset:2144
	ds_load_b128 v[4:7], v23 offset:112
	;; [unrolled: 1-line block ×4, first 2 shown]
	v_add_f64 v[84:85], v[84:85], v[86:87]
	v_add_f64 v[72:73], v[72:73], v[88:89]
	;; [unrolled: 1-line block ×8, first 2 shown]
	s_waitcnt lgkmcnt(4)
	v_mul_f64 v[68:69], v[52:53], v[44:45]
	v_mul_f64 v[70:71], v[50:51], v[44:45]
	;; [unrolled: 1-line block ×4, first 2 shown]
	s_waitcnt lgkmcnt(3)
	v_mul_f64 v[82:83], v[2:3], v[44:45]
	v_mul_f64 v[44:45], v[0:1], v[44:45]
	;; [unrolled: 1-line block ×4, first 2 shown]
	v_fma_f64 v[88:89], v[16:17], v[38:39], -v[92:93]
	v_fma_f64 v[90:91], v[18:19], v[38:39], v[94:95]
	v_fma_f64 v[92:93], v[16:17], v[26:27], -v[96:97]
	v_fma_f64 v[94:95], v[18:19], v[26:27], v[104:105]
	;; [unrolled: 2-line block ×4, first 2 shown]
	ds_load_b128 v[16:19], v22 offset:3840
	s_waitcnt lgkmcnt(0)
	s_barrier
	buffer_gl0_inv
	v_add_f64 v[36:37], v[84:85], v[56:57]
	v_add_f64 v[40:41], v[72:73], v[74:75]
	;; [unrolled: 1-line block ×8, first 2 shown]
	v_mul_f64 v[64:65], v[6:7], v[30:31]
	v_mul_f64 v[66:67], v[4:5], v[30:31]
	;; [unrolled: 1-line block ×4, first 2 shown]
	v_fma_f64 v[68:69], v[50:51], v[42:43], -v[68:69]
	v_mul_f64 v[72:73], v[6:7], v[18:19]
	v_mul_f64 v[74:75], v[4:5], v[18:19]
	v_mul_f64 v[84:85], v[14:15], v[18:19]
	v_mul_f64 v[18:19], v[12:13], v[18:19]
	v_fma_f64 v[70:71], v[52:53], v[42:43], v[70:71]
	v_fma_f64 v[50:51], v[50:51], v[46:47], -v[78:79]
	v_fma_f64 v[52:53], v[52:53], v[46:47], v[80:81]
	v_fma_f64 v[78:79], v[0:1], v[42:43], -v[82:83]
	;; [unrolled: 2-line block ×3, first 2 shown]
	v_fma_f64 v[2:3], v[2:3], v[46:47], v[48:49]
	v_add_f64 v[36:37], v[36:37], v[88:89]
	v_add_f64 v[40:41], v[40:41], v[90:91]
	;; [unrolled: 1-line block ×8, first 2 shown]
	v_fma_f64 v[38:39], v[4:5], v[28:29], -v[64:65]
	v_fma_f64 v[54:55], v[6:7], v[28:29], v[66:67]
	v_fma_f64 v[58:59], v[12:13], v[28:29], -v[76:77]
	v_fma_f64 v[28:29], v[14:15], v[28:29], v[30:31]
	;; [unrolled: 2-line block ×4, first 2 shown]
	v_add_f64 v[6:7], v[36:37], v[68:69]
	v_add_f64 v[14:15], v[40:41], v[70:71]
	;; [unrolled: 1-line block ×16, first 2 shown]
	s_cbranch_vccz .LBB1328_2
.LBB1328_3:
	s_clause 0x1
	s_load_b128 s[4:7], s[0:1], 0x48
	s_load_b32 s2, s[0:1], 0x0
	v_add_nc_u32_e32 v21, s9, v21
	v_add_nc_u32_e32 v10, s8, v20
	s_delay_alu instid0(VALU_DEP_2) | instskip(NEXT) | instid1(VALU_DEP_2)
	v_ashrrev_i32_e32 v8, 31, v21
	v_cmp_le_i32_e64 s0, v10, v21
	s_waitcnt lgkmcnt(0)
	s_delay_alu instid0(VALU_DEP_2)
	v_mul_lo_u32 v11, v8, s4
	v_mul_lo_u32 v22, v21, s5
	v_mad_u64_u32 v[8:9], null, v21, s4, 0
	s_mul_i32 s1, s15, s7
	s_mul_hi_u32 s3, s15, s6
	s_mul_i32 s6, s15, s6
	s_add_i32 s7, s3, s1
	v_cmp_gt_i32_e32 vcc_lo, s2, v21
	s_lshl_b64 s[6:7], s[6:7], 4
	s_delay_alu instid0(VALU_DEP_2) | instskip(SKIP_3) | instid1(VALU_DEP_1)
	v_add3_u32 v9, v9, v22, v11
	s_add_u32 s3, s30, s6
	s_addc_u32 s6, s31, s7
	s_and_b32 s0, vcc_lo, s0
	v_lshlrev_b64 v[8:9], 4, v[8:9]
	s_delay_alu instid0(VALU_DEP_1) | instskip(NEXT) | instid1(VALU_DEP_1)
	v_add_co_u32 v20, s1, s3, v8
	v_add_co_ci_u32_e64 v22, s1, s6, v9, s1
	s_and_saveexec_b32 s7, s0
	s_cbranch_execz .LBB1328_5
; %bb.4:
	v_ashrrev_i32_e32 v11, 31, v10
	v_cmp_ne_u32_e64 s0, v21, v10
	s_delay_alu instid0(VALU_DEP_2) | instskip(NEXT) | instid1(VALU_DEP_2)
	v_lshlrev_b64 v[23:24], 4, v[10:11]
	v_cndmask_b32_e64 v9, 0, v19, s0
	v_cndmask_b32_e64 v8, 0, v18, s0
	s_delay_alu instid0(VALU_DEP_3) | instskip(NEXT) | instid1(VALU_DEP_1)
	v_add_co_u32 v23, s1, v20, v23
	v_add_co_ci_u32_e64 v24, s1, v22, v24, s1
	global_store_b128 v[23:24], v[6:9], off
.LBB1328_5:
	s_or_b32 exec_lo, exec_lo, s7
	v_add_nc_u32_e32 v8, 16, v10
	s_delay_alu instid0(VALU_DEP_1) | instskip(NEXT) | instid1(VALU_DEP_1)
	v_cmp_le_i32_e64 s0, v8, v21
	s_and_b32 s0, vcc_lo, s0
	s_delay_alu instid0(SALU_CYCLE_1)
	s_and_saveexec_b32 s1, s0
	s_cbranch_execz .LBB1328_7
; %bb.6:
	v_ashrrev_i32_e32 v9, 31, v8
	v_cmp_ne_u32_e32 vcc_lo, v21, v8
	s_delay_alu instid0(VALU_DEP_2) | instskip(SKIP_1) | instid1(VALU_DEP_2)
	v_lshlrev_b64 v[18:19], 4, v[8:9]
	v_dual_cndmask_b32 v7, 0, v17 :: v_dual_cndmask_b32 v6, 0, v16
	v_add_co_u32 v17, s0, v20, v18
	s_delay_alu instid0(VALU_DEP_1)
	v_add_co_ci_u32_e64 v18, s0, v22, v19, s0
	global_store_b128 v[17:18], v[4:7], off
.LBB1328_7:
	s_or_b32 exec_lo, exec_lo, s1
	v_add_nc_u32_e32 v9, 16, v21
	s_delay_alu instid0(VALU_DEP_1) | instskip(SKIP_3) | instid1(VALU_DEP_4)
	v_ashrrev_i32_e32 v6, 31, v9
	v_mul_lo_u32 v7, v9, s5
	v_mad_u64_u32 v[4:5], null, v9, s4, 0
	v_cmp_gt_i32_e32 vcc_lo, s2, v9
	v_mul_lo_u32 v6, v6, s4
	v_cmp_le_i32_e64 s0, v10, v9
	s_delay_alu instid0(VALU_DEP_1) | instskip(NEXT) | instid1(VALU_DEP_2)
	s_and_b32 s0, vcc_lo, s0
	v_add3_u32 v5, v5, v7, v6
	s_delay_alu instid0(VALU_DEP_1) | instskip(NEXT) | instid1(VALU_DEP_1)
	v_lshlrev_b64 v[4:5], 4, v[4:5]
	v_add_co_u32 v6, s1, s3, v4
	s_delay_alu instid0(VALU_DEP_1)
	v_add_co_ci_u32_e64 v7, s1, s6, v5, s1
	s_and_saveexec_b32 s2, s0
	s_cbranch_execz .LBB1328_9
; %bb.8:
	v_ashrrev_i32_e32 v11, 31, v10
	v_cmp_ne_u32_e64 s0, v9, v10
	s_delay_alu instid0(VALU_DEP_2) | instskip(NEXT) | instid1(VALU_DEP_2)
	v_lshlrev_b64 v[16:17], 4, v[10:11]
	v_cndmask_b32_e64 v5, 0, v15, s0
	v_cndmask_b32_e64 v4, 0, v14, s0
	s_delay_alu instid0(VALU_DEP_3) | instskip(NEXT) | instid1(VALU_DEP_1)
	v_add_co_u32 v15, s1, v6, v16
	v_add_co_ci_u32_e64 v16, s1, v7, v17, s1
	global_store_b128 v[15:16], v[2:5], off
.LBB1328_9:
	s_or_b32 exec_lo, exec_lo, s2
	v_cmp_le_i32_e64 s0, v8, v9
	s_delay_alu instid0(VALU_DEP_1) | instskip(NEXT) | instid1(SALU_CYCLE_1)
	s_and_b32 s0, vcc_lo, s0
	s_and_saveexec_b32 s1, s0
	s_cbranch_execz .LBB1328_11
; %bb.10:
	v_ashrrev_i32_e32 v9, 31, v8
	v_cmp_ne_u32_e32 vcc_lo, v21, v10
	s_delay_alu instid0(VALU_DEP_2) | instskip(SKIP_1) | instid1(VALU_DEP_2)
	v_lshlrev_b64 v[4:5], 4, v[8:9]
	v_dual_cndmask_b32 v3, 0, v13 :: v_dual_cndmask_b32 v2, 0, v12
	v_add_co_u32 v4, s0, v6, v4
	s_delay_alu instid0(VALU_DEP_1)
	v_add_co_ci_u32_e64 v5, s0, v7, v5, s0
	global_store_b128 v[4:5], v[0:3], off
.LBB1328_11:
	s_nop 0
	s_sendmsg sendmsg(MSG_DEALLOC_VGPRS)
	s_endpgm
	.section	.rodata,"a",@progbits
	.p2align	6, 0x0
	.amdhsa_kernel _ZL37rocblas_syrkx_herkx_restricted_kernelIl19rocblas_complex_numIdELi16ELi32ELi8ELi1ELi0ELb1ELc78ELc85EKS1_S1_EviT_PT9_S3_lS5_S3_lPT10_S3_li
		.amdhsa_group_segment_fixed_size 8192
		.amdhsa_private_segment_fixed_size 0
		.amdhsa_kernarg_size 92
		.amdhsa_user_sgpr_count 13
		.amdhsa_user_sgpr_dispatch_ptr 0
		.amdhsa_user_sgpr_queue_ptr 0
		.amdhsa_user_sgpr_kernarg_segment_ptr 1
		.amdhsa_user_sgpr_dispatch_id 0
		.amdhsa_user_sgpr_private_segment_size 0
		.amdhsa_wavefront_size32 1
		.amdhsa_uses_dynamic_stack 0
		.amdhsa_enable_private_segment 0
		.amdhsa_system_sgpr_workgroup_id_x 1
		.amdhsa_system_sgpr_workgroup_id_y 1
		.amdhsa_system_sgpr_workgroup_id_z 1
		.amdhsa_system_sgpr_workgroup_info 0
		.amdhsa_system_vgpr_workitem_id 1
		.amdhsa_next_free_vgpr 118
		.amdhsa_next_free_sgpr 32
		.amdhsa_reserve_vcc 1
		.amdhsa_float_round_mode_32 0
		.amdhsa_float_round_mode_16_64 0
		.amdhsa_float_denorm_mode_32 3
		.amdhsa_float_denorm_mode_16_64 3
		.amdhsa_dx10_clamp 1
		.amdhsa_ieee_mode 1
		.amdhsa_fp16_overflow 0
		.amdhsa_workgroup_processor_mode 1
		.amdhsa_memory_ordered 1
		.amdhsa_forward_progress 0
		.amdhsa_shared_vgpr_count 0
		.amdhsa_exception_fp_ieee_invalid_op 0
		.amdhsa_exception_fp_denorm_src 0
		.amdhsa_exception_fp_ieee_div_zero 0
		.amdhsa_exception_fp_ieee_overflow 0
		.amdhsa_exception_fp_ieee_underflow 0
		.amdhsa_exception_fp_ieee_inexact 0
		.amdhsa_exception_int_div_zero 0
	.end_amdhsa_kernel
	.section	.text._ZL37rocblas_syrkx_herkx_restricted_kernelIl19rocblas_complex_numIdELi16ELi32ELi8ELi1ELi0ELb1ELc78ELc85EKS1_S1_EviT_PT9_S3_lS5_S3_lPT10_S3_li,"axG",@progbits,_ZL37rocblas_syrkx_herkx_restricted_kernelIl19rocblas_complex_numIdELi16ELi32ELi8ELi1ELi0ELb1ELc78ELc85EKS1_S1_EviT_PT9_S3_lS5_S3_lPT10_S3_li,comdat
.Lfunc_end1328:
	.size	_ZL37rocblas_syrkx_herkx_restricted_kernelIl19rocblas_complex_numIdELi16ELi32ELi8ELi1ELi0ELb1ELc78ELc85EKS1_S1_EviT_PT9_S3_lS5_S3_lPT10_S3_li, .Lfunc_end1328-_ZL37rocblas_syrkx_herkx_restricted_kernelIl19rocblas_complex_numIdELi16ELi32ELi8ELi1ELi0ELb1ELc78ELc85EKS1_S1_EviT_PT9_S3_lS5_S3_lPT10_S3_li
                                        ; -- End function
	.section	.AMDGPU.csdata,"",@progbits
; Kernel info:
; codeLenInByte = 3052
; NumSgprs: 34
; NumVgprs: 118
; ScratchSize: 0
; MemoryBound: 0
; FloatMode: 240
; IeeeMode: 1
; LDSByteSize: 8192 bytes/workgroup (compile time only)
; SGPRBlocks: 4
; VGPRBlocks: 14
; NumSGPRsForWavesPerEU: 34
; NumVGPRsForWavesPerEU: 118
; Occupancy: 12
; WaveLimiterHint : 1
; COMPUTE_PGM_RSRC2:SCRATCH_EN: 0
; COMPUTE_PGM_RSRC2:USER_SGPR: 13
; COMPUTE_PGM_RSRC2:TRAP_HANDLER: 0
; COMPUTE_PGM_RSRC2:TGID_X_EN: 1
; COMPUTE_PGM_RSRC2:TGID_Y_EN: 1
; COMPUTE_PGM_RSRC2:TGID_Z_EN: 1
; COMPUTE_PGM_RSRC2:TIDIG_COMP_CNT: 1
	.section	.text._ZL37rocblas_syrkx_herkx_restricted_kernelIl19rocblas_complex_numIdELi16ELi32ELi8ELin1ELi0ELb1ELc84ELc76EKS1_S1_EviT_PT9_S3_lS5_S3_lPT10_S3_li,"axG",@progbits,_ZL37rocblas_syrkx_herkx_restricted_kernelIl19rocblas_complex_numIdELi16ELi32ELi8ELin1ELi0ELb1ELc84ELc76EKS1_S1_EviT_PT9_S3_lS5_S3_lPT10_S3_li,comdat
	.globl	_ZL37rocblas_syrkx_herkx_restricted_kernelIl19rocblas_complex_numIdELi16ELi32ELi8ELin1ELi0ELb1ELc84ELc76EKS1_S1_EviT_PT9_S3_lS5_S3_lPT10_S3_li ; -- Begin function _ZL37rocblas_syrkx_herkx_restricted_kernelIl19rocblas_complex_numIdELi16ELi32ELi8ELin1ELi0ELb1ELc84ELc76EKS1_S1_EviT_PT9_S3_lS5_S3_lPT10_S3_li
	.p2align	8
	.type	_ZL37rocblas_syrkx_herkx_restricted_kernelIl19rocblas_complex_numIdELi16ELi32ELi8ELin1ELi0ELb1ELc84ELc76EKS1_S1_EviT_PT9_S3_lS5_S3_lPT10_S3_li,@function
_ZL37rocblas_syrkx_herkx_restricted_kernelIl19rocblas_complex_numIdELi16ELi32ELi8ELin1ELi0ELb1ELc84ELc76EKS1_S1_EviT_PT9_S3_lS5_S3_lPT10_S3_li: ; @_ZL37rocblas_syrkx_herkx_restricted_kernelIl19rocblas_complex_numIdELi16ELi32ELi8ELin1ELi0ELb1ELc84ELc76EKS1_S1_EviT_PT9_S3_lS5_S3_lPT10_S3_li
; %bb.0:
	s_load_b512 s[16:31], s[0:1], 0x8
	v_mov_b32_e32 v6, 0
	v_dual_mov_b32 v7, 0 :: v_dual_and_b32 v20, 0x3ff, v0
	v_bfe_u32 v21, v0, 10, 10
	s_delay_alu instid0(VALU_DEP_3) | instskip(NEXT) | instid1(VALU_DEP_3)
	v_mov_b32_e32 v4, v6
	v_dual_mov_b32 v2, v6 :: v_dual_mov_b32 v3, v7
	v_dual_mov_b32 v19, v7 :: v_dual_mov_b32 v18, v6
	v_mov_b32_e32 v5, v7
	v_dual_mov_b32 v17, v7 :: v_dual_mov_b32 v16, v6
	v_dual_mov_b32 v15, v7 :: v_dual_mov_b32 v14, v6
	;; [unrolled: 1-line block ×4, first 2 shown]
	s_lshl_b32 s8, s13, 5
	s_waitcnt lgkmcnt(0)
	v_cmp_lt_i64_e64 s2, s[16:17], 1
	s_lshl_b32 s9, s14, 5
	s_delay_alu instid0(VALU_DEP_1)
	s_and_b32 vcc_lo, exec_lo, s2
	s_cbranch_vccnz .LBB1329_3
; %bb.1:
	v_lshl_add_u32 v2, v21, 4, v20
	v_dual_mov_b32 v1, 0 :: v_dual_and_b32 v0, 7, v20
	v_lshlrev_b32_e32 v22, 4, v20
	s_mul_i32 s3, s23, s15
	s_delay_alu instid0(VALU_DEP_3)
	v_and_b32_e32 v8, 31, v2
	v_lshrrev_b32_e32 v9, 3, v2
	v_lshrrev_b32_e32 v2, 5, v2
	v_mov_b32_e32 v3, v1
	v_lshlrev_b32_e32 v11, 4, v0
	v_add_nc_u32_e32 v6, s8, v8
	v_add_nc_u32_e32 v10, s9, v9
	s_mul_hi_u32 s4, s22, s15
	s_mul_i32 s2, s22, s15
	s_add_i32 s3, s4, s3
	v_ashrrev_i32_e32 v7, 31, v6
	v_ashrrev_i32_e32 v12, 31, v10
	v_mad_u64_u32 v[4:5], null, s20, v6, v[2:3]
	v_mul_lo_u32 v3, s21, v6
	s_delay_alu instid0(VALU_DEP_4)
	v_mul_lo_u32 v13, s20, v7
	v_mul_lo_u32 v14, v10, s27
	v_mad_u64_u32 v[6:7], null, v10, s26, v[0:1]
	v_mul_lo_u32 v0, v12, s26
	s_lshl_b64 s[2:3], s[2:3], 4
	s_mul_hi_u32 s5, s28, s15
	s_add_u32 s4, s18, s2
	s_delay_alu instid0(VALU_DEP_4)
	v_add3_u32 v5, v3, v5, v13
	v_mov_b32_e32 v12, 0
	v_mov_b32_e32 v13, 0
	v_lshlrev_b32_e32 v1, 4, v8
	v_add3_u32 v7, v0, v7, v14
	s_mul_i32 s2, s29, s15
	s_addc_u32 s6, s19, s3
	v_dual_mov_b32 v15, v13 :: v_dual_mov_b32 v14, v12
	v_lshl_or_b32 v23, v2, 9, v1
	v_lshlrev_b64 v[0:1], 4, v[4:5]
	s_add_i32 s3, s5, s2
	s_mul_i32 s2, s28, s15
	v_lshlrev_b64 v[2:3], 4, v[6:7]
	s_lshl_b64 s[2:3], s[2:3], 4
	v_lshl_or_b32 v8, v9, 7, v11
	v_add_co_u32 v0, vcc_lo, s4, v0
	s_add_u32 s2, s24, s2
	v_add_co_ci_u32_e32 v1, vcc_lo, s6, v1, vcc_lo
	s_addc_u32 s3, s25, s3
	v_add_co_u32 v2, vcc_lo, s2, v2
	v_add_co_ci_u32_e32 v3, vcc_lo, s3, v3, vcc_lo
	v_add_nc_u32_e32 v24, 0x1000, v8
	v_add_co_u32 v8, vcc_lo, v0, 8
	v_add_co_ci_u32_e32 v9, vcc_lo, 0, v1, vcc_lo
	v_add_co_u32 v10, vcc_lo, v2, 8
	v_dual_mov_b32 v0, v12 :: v_dual_mov_b32 v17, v13
	v_add_co_ci_u32_e32 v11, vcc_lo, 0, v3, vcc_lo
	v_mov_b32_e32 v2, v12
	v_dual_mov_b32 v16, v12 :: v_dual_mov_b32 v19, v13
	v_mov_b32_e32 v4, v12
	v_dual_mov_b32 v6, v12 :: v_dual_mov_b32 v7, v13
	v_lshl_add_u32 v25, v21, 7, 0x1000
	v_mov_b32_e32 v1, v13
	v_mov_b32_e32 v3, v13
	v_dual_mov_b32 v5, v13 :: v_dual_mov_b32 v18, v12
	s_mov_b64 s[2:3], 0
.LBB1329_2:                             ; =>This Inner Loop Header: Depth=1
	global_load_b128 v[26:29], v[8:9], off offset:-8
	global_load_b128 v[30:33], v[10:11], off offset:-8
	s_add_u32 s2, s2, 8
	v_add_co_u32 v8, vcc_lo, 0x80, v8
	s_addc_u32 s3, s3, 0
	v_add_co_ci_u32_e32 v9, vcc_lo, 0, v9, vcc_lo
	v_cmp_ge_u64_e64 s4, s[2:3], s[16:17]
	v_add_co_u32 v10, vcc_lo, 0x80, v10
	v_add_co_ci_u32_e32 v11, vcc_lo, 0, v11, vcc_lo
	s_waitcnt vmcnt(1)
	ds_store_b128 v23, v[26:29]
	s_waitcnt vmcnt(0)
	ds_store_b128 v24, v[30:33]
	s_waitcnt lgkmcnt(0)
	s_barrier
	buffer_gl0_inv
	ds_load_b128 v[26:29], v25
	ds_load_b128 v[30:33], v22
	ds_load_b128 v[34:37], v22 offset:256
	ds_load_b128 v[38:41], v25 offset:2048
	;; [unrolled: 1-line block ×13, first 2 shown]
	s_and_b32 vcc_lo, exec_lo, s4
	s_waitcnt lgkmcnt(13)
	v_mul_f64 v[86:87], v[28:29], v[32:33]
	v_mul_f64 v[88:89], v[26:27], v[32:33]
	s_waitcnt lgkmcnt(12)
	v_mul_f64 v[90:91], v[28:29], v[36:37]
	v_mul_f64 v[92:93], v[26:27], v[36:37]
	;; [unrolled: 3-line block ×3, first 2 shown]
	v_mul_f64 v[96:97], v[40:41], v[36:37]
	v_mul_f64 v[36:37], v[38:39], v[36:37]
	s_waitcnt lgkmcnt(8)
	v_mul_f64 v[98:99], v[44:45], v[52:53]
	v_mul_f64 v[100:101], v[42:43], v[52:53]
	s_waitcnt lgkmcnt(7)
	v_mul_f64 v[102:103], v[44:45], v[56:57]
	v_mul_f64 v[104:105], v[42:43], v[56:57]
	;; [unrolled: 1-line block ×6, first 2 shown]
	s_waitcnt lgkmcnt(3)
	v_mul_f64 v[112:113], v[58:59], v[72:73]
	s_waitcnt lgkmcnt(2)
	v_mul_f64 v[114:115], v[76:77], v[68:69]
	v_mul_f64 v[116:117], v[76:77], v[72:73]
	v_fma_f64 v[86:87], v[26:27], v[30:31], -v[86:87]
	v_fma_f64 v[88:89], v[28:29], v[30:31], v[88:89]
	v_fma_f64 v[90:91], v[26:27], v[34:35], -v[90:91]
	v_fma_f64 v[92:93], v[28:29], v[34:35], v[92:93]
	;; [unrolled: 2-line block ×4, first 2 shown]
	v_mul_f64 v[36:37], v[60:61], v[68:69]
	v_mul_f64 v[40:41], v[58:59], v[68:69]
	;; [unrolled: 1-line block ×5, first 2 shown]
	v_fma_f64 v[98:99], v[42:43], v[50:51], -v[98:99]
	v_fma_f64 v[100:101], v[44:45], v[50:51], v[100:101]
	v_fma_f64 v[42:43], v[42:43], v[54:55], -v[102:103]
	v_fma_f64 v[44:45], v[44:45], v[54:55], v[104:105]
	;; [unrolled: 2-line block ×4, first 2 shown]
	ds_load_b128 v[26:29], v22 offset:1792
	ds_load_b128 v[30:33], v22 offset:2048
	v_add_f64 v[52:53], v[6:7], v[86:87]
	v_add_f64 v[18:19], v[18:19], v[88:89]
	;; [unrolled: 1-line block ×8, first 2 shown]
	s_waitcnt lgkmcnt(2)
	v_mul_f64 v[86:87], v[64:65], v[84:85]
	v_mul_f64 v[88:89], v[62:63], v[84:85]
	s_waitcnt lgkmcnt(1)
	v_mul_f64 v[90:91], v[64:65], v[28:29]
	v_mul_f64 v[92:93], v[62:63], v[28:29]
	;; [unrolled: 1-line block ×6, first 2 shown]
	v_fma_f64 v[106:107], v[58:59], v[66:67], -v[36:37]
	v_fma_f64 v[108:109], v[60:61], v[66:67], v[40:41]
	v_fma_f64 v[58:59], v[58:59], v[70:71], -v[96:97]
	v_fma_f64 v[60:61], v[60:61], v[70:71], v[112:113]
	;; [unrolled: 2-line block ×4, first 2 shown]
	ds_load_b128 v[0:3], v22 offset:2304
	ds_load_b128 v[4:7], v25 offset:64
	v_add_f64 v[52:53], v[52:53], v[98:99]
	v_add_f64 v[72:73], v[18:19], v[100:101]
	;; [unrolled: 1-line block ×8, first 2 shown]
	ds_load_b128 v[12:15], v25 offset:2112
	ds_load_b128 v[16:19], v25 offset:80
	;; [unrolled: 1-line block ×4, first 2 shown]
	s_waitcnt lgkmcnt(4)
	v_mul_f64 v[56:57], v[6:7], v[32:33]
	v_mul_f64 v[74:75], v[4:5], v[32:33]
	;; [unrolled: 1-line block ×4, first 2 shown]
	v_fma_f64 v[86:87], v[62:63], v[82:83], -v[86:87]
	v_fma_f64 v[88:89], v[64:65], v[82:83], v[88:89]
	v_fma_f64 v[62:63], v[62:63], v[26:27], -v[90:91]
	v_fma_f64 v[64:65], v[64:65], v[26:27], v[92:93]
	v_fma_f64 v[90:91], v[78:79], v[82:83], -v[94:95]
	v_fma_f64 v[82:83], v[80:81], v[82:83], v[84:85]
	v_fma_f64 v[78:79], v[78:79], v[26:27], -v[104:105]
	v_fma_f64 v[80:81], v[80:81], v[26:27], v[28:29]
	s_waitcnt lgkmcnt(3)
	v_mul_f64 v[100:101], v[14:15], v[32:33]
	v_mul_f64 v[32:33], v[12:13], v[32:33]
	;; [unrolled: 1-line block ×4, first 2 shown]
	s_waitcnt lgkmcnt(0)
	v_mul_f64 v[92:93], v[18:19], v[40:41]
	v_mul_f64 v[94:95], v[16:17], v[40:41]
	v_add_f64 v[84:85], v[52:53], v[106:107]
	v_add_f64 v[72:73], v[72:73], v[108:109]
	;; [unrolled: 1-line block ×8, first 2 shown]
	ds_load_b128 v[26:29], v22 offset:2816
	ds_load_b128 v[42:45], v22 offset:3072
	;; [unrolled: 1-line block ×4, first 2 shown]
	v_mul_f64 v[106:107], v[36:37], v[40:41]
	v_mul_f64 v[40:41], v[34:35], v[40:41]
	v_fma_f64 v[56:57], v[4:5], v[30:31], -v[56:57]
	v_fma_f64 v[74:75], v[6:7], v[30:31], v[74:75]
	v_fma_f64 v[76:77], v[4:5], v[0:1], -v[76:77]
	v_fma_f64 v[98:99], v[6:7], v[0:1], v[98:99]
	s_waitcnt lgkmcnt(3)
	v_mul_f64 v[96:97], v[18:19], v[28:29]
	v_mul_f64 v[104:105], v[16:17], v[28:29]
	;; [unrolled: 1-line block ×4, first 2 shown]
	v_fma_f64 v[100:101], v[12:13], v[30:31], -v[100:101]
	v_fma_f64 v[32:33], v[14:15], v[30:31], v[32:33]
	v_fma_f64 v[102:103], v[12:13], v[0:1], -v[102:103]
	v_fma_f64 v[112:113], v[14:15], v[0:1], v[2:3]
	ds_load_b128 v[0:3], v25 offset:2144
	ds_load_b128 v[4:7], v25 offset:112
	;; [unrolled: 1-line block ×4, first 2 shown]
	v_add_f64 v[84:85], v[84:85], v[86:87]
	v_add_f64 v[72:73], v[72:73], v[88:89]
	v_add_f64 v[58:59], v[58:59], v[62:63]
	v_add_f64 v[60:61], v[60:61], v[64:65]
	v_add_f64 v[54:55], v[54:55], v[90:91]
	v_add_f64 v[62:63], v[66:67], v[82:83]
	v_add_f64 v[64:65], v[68:69], v[78:79]
	v_add_f64 v[66:67], v[70:71], v[80:81]
	s_waitcnt lgkmcnt(4)
	v_mul_f64 v[68:69], v[52:53], v[44:45]
	v_mul_f64 v[70:71], v[50:51], v[44:45]
	;; [unrolled: 1-line block ×4, first 2 shown]
	s_waitcnt lgkmcnt(3)
	v_mul_f64 v[82:83], v[2:3], v[44:45]
	v_mul_f64 v[44:45], v[0:1], v[44:45]
	;; [unrolled: 1-line block ×4, first 2 shown]
	v_fma_f64 v[88:89], v[16:17], v[38:39], -v[92:93]
	v_fma_f64 v[90:91], v[18:19], v[38:39], v[94:95]
	v_fma_f64 v[92:93], v[16:17], v[26:27], -v[96:97]
	v_fma_f64 v[94:95], v[18:19], v[26:27], v[104:105]
	;; [unrolled: 2-line block ×4, first 2 shown]
	ds_load_b128 v[16:19], v22 offset:3840
	s_waitcnt lgkmcnt(0)
	s_barrier
	buffer_gl0_inv
	v_add_f64 v[36:37], v[84:85], v[56:57]
	v_add_f64 v[40:41], v[72:73], v[74:75]
	;; [unrolled: 1-line block ×8, first 2 shown]
	v_mul_f64 v[64:65], v[6:7], v[30:31]
	v_mul_f64 v[66:67], v[4:5], v[30:31]
	;; [unrolled: 1-line block ×4, first 2 shown]
	v_fma_f64 v[68:69], v[50:51], v[42:43], -v[68:69]
	v_mul_f64 v[72:73], v[6:7], v[18:19]
	v_mul_f64 v[74:75], v[4:5], v[18:19]
	;; [unrolled: 1-line block ×4, first 2 shown]
	v_fma_f64 v[70:71], v[52:53], v[42:43], v[70:71]
	v_fma_f64 v[50:51], v[50:51], v[46:47], -v[78:79]
	v_fma_f64 v[52:53], v[52:53], v[46:47], v[80:81]
	v_fma_f64 v[78:79], v[0:1], v[42:43], -v[82:83]
	;; [unrolled: 2-line block ×3, first 2 shown]
	v_fma_f64 v[2:3], v[2:3], v[46:47], v[48:49]
	v_add_f64 v[36:37], v[36:37], v[88:89]
	v_add_f64 v[40:41], v[40:41], v[90:91]
	;; [unrolled: 1-line block ×8, first 2 shown]
	v_fma_f64 v[38:39], v[4:5], v[28:29], -v[64:65]
	v_fma_f64 v[54:55], v[6:7], v[28:29], v[66:67]
	v_fma_f64 v[58:59], v[12:13], v[28:29], -v[76:77]
	v_fma_f64 v[28:29], v[14:15], v[28:29], v[30:31]
	v_fma_f64 v[4:5], v[4:5], v[16:17], -v[72:73]
	v_fma_f64 v[56:57], v[6:7], v[16:17], v[74:75]
	v_fma_f64 v[12:13], v[12:13], v[16:17], -v[84:85]
	v_fma_f64 v[30:31], v[14:15], v[16:17], v[18:19]
	v_add_f64 v[6:7], v[36:37], v[68:69]
	v_add_f64 v[14:15], v[40:41], v[70:71]
	v_add_f64 v[16:17], v[44:45], v[50:51]
	v_add_f64 v[36:37], v[46:47], v[52:53]
	v_add_f64 v[40:41], v[48:49], v[78:79]
	v_add_f64 v[32:33], v[32:33], v[42:43]
	v_add_f64 v[0:1], v[34:35], v[0:1]
	v_add_f64 v[26:27], v[26:27], v[2:3]
	v_add_f64 v[6:7], v[6:7], v[38:39]
	v_add_f64 v[18:19], v[14:15], v[54:55]
	v_add_f64 v[4:5], v[16:17], v[4:5]
	v_add_f64 v[16:17], v[36:37], v[56:57]
	v_add_f64 v[2:3], v[40:41], v[58:59]
	v_add_f64 v[14:15], v[32:33], v[28:29]
	v_add_f64 v[0:1], v[0:1], v[12:13]
	v_add_f64 v[12:13], v[26:27], v[30:31]
	s_cbranch_vccz .LBB1329_2
.LBB1329_3:
	s_clause 0x1
	s_load_b128 s[4:7], s[0:1], 0x48
	s_load_b32 s2, s[0:1], 0x0
	v_add_nc_u32_e32 v21, s9, v21
	v_add_nc_u32_e32 v10, s8, v20
	s_delay_alu instid0(VALU_DEP_2) | instskip(NEXT) | instid1(VALU_DEP_2)
	v_ashrrev_i32_e32 v8, 31, v21
	v_cmp_le_i32_e64 s0, v21, v10
	s_waitcnt lgkmcnt(0)
	s_delay_alu instid0(VALU_DEP_2)
	v_mul_lo_u32 v11, v8, s4
	v_mul_lo_u32 v22, v21, s5
	v_mad_u64_u32 v[8:9], null, v21, s4, 0
	s_mul_i32 s1, s15, s7
	s_mul_hi_u32 s3, s15, s6
	s_mul_i32 s6, s15, s6
	s_add_i32 s7, s3, s1
	v_cmp_gt_i32_e32 vcc_lo, s2, v10
	s_lshl_b64 s[6:7], s[6:7], 4
	s_delay_alu instid0(VALU_DEP_2) | instskip(SKIP_3) | instid1(VALU_DEP_1)
	v_add3_u32 v9, v9, v22, v11
	s_add_u32 s3, s30, s6
	s_addc_u32 s6, s31, s7
	s_and_b32 s0, s0, vcc_lo
	v_lshlrev_b64 v[8:9], 4, v[8:9]
	s_delay_alu instid0(VALU_DEP_1) | instskip(NEXT) | instid1(VALU_DEP_1)
	v_add_co_u32 v20, s1, s3, v8
	v_add_co_ci_u32_e64 v22, s1, s6, v9, s1
	s_and_saveexec_b32 s7, s0
	s_cbranch_execz .LBB1329_5
; %bb.4:
	v_ashrrev_i32_e32 v11, 31, v10
	v_cmp_ne_u32_e64 s0, v21, v10
	v_xor_b32_e32 v7, 0x80000000, v7
	s_delay_alu instid0(VALU_DEP_3) | instskip(NEXT) | instid1(VALU_DEP_3)
	v_lshlrev_b64 v[23:24], 4, v[10:11]
	v_cndmask_b32_e64 v9, 0, -v19, s0
	v_cndmask_b32_e64 v8, 0, v18, s0
	s_delay_alu instid0(VALU_DEP_3) | instskip(NEXT) | instid1(VALU_DEP_1)
	v_add_co_u32 v23, s1, v20, v23
	v_add_co_ci_u32_e64 v24, s1, v22, v24, s1
	global_store_b128 v[23:24], v[6:9], off
.LBB1329_5:
	s_or_b32 exec_lo, exec_lo, s7
	v_add_nc_u32_e32 v8, 16, v10
	s_delay_alu instid0(VALU_DEP_1) | instskip(SKIP_1) | instid1(VALU_DEP_1)
	v_cmp_le_i32_e64 s1, v21, v8
	v_cmp_gt_i32_e64 s0, s2, v8
	s_and_b32 s1, s1, s0
	s_delay_alu instid0(SALU_CYCLE_1)
	s_and_saveexec_b32 s7, s1
	s_cbranch_execz .LBB1329_7
; %bb.6:
	v_ashrrev_i32_e32 v9, 31, v8
	v_cmp_ne_u32_e64 s1, v21, v8
	v_xor_b32_e32 v5, 0x80000000, v5
	s_delay_alu instid0(VALU_DEP_3) | instskip(NEXT) | instid1(VALU_DEP_3)
	v_lshlrev_b64 v[18:19], 4, v[8:9]
	v_cndmask_b32_e64 v7, 0, -v17, s1
	v_cndmask_b32_e64 v6, 0, v16, s1
	s_delay_alu instid0(VALU_DEP_3) | instskip(NEXT) | instid1(VALU_DEP_1)
	v_add_co_u32 v17, s2, v20, v18
	v_add_co_ci_u32_e64 v18, s2, v22, v19, s2
	global_store_b128 v[17:18], v[4:7], off
.LBB1329_7:
	s_or_b32 exec_lo, exec_lo, s7
	v_add_nc_u32_e32 v9, 16, v21
	s_delay_alu instid0(VALU_DEP_1) | instskip(SKIP_3) | instid1(VALU_DEP_4)
	v_ashrrev_i32_e32 v6, 31, v9
	v_mul_lo_u32 v7, v9, s5
	v_mad_u64_u32 v[4:5], null, v9, s4, 0
	v_cmp_le_i32_e64 s1, v9, v10
	v_mul_lo_u32 v6, v6, s4
	s_delay_alu instid0(VALU_DEP_2) | instskip(NEXT) | instid1(VALU_DEP_1)
	s_and_b32 s1, s1, vcc_lo
	v_add3_u32 v5, v5, v7, v6
	s_delay_alu instid0(VALU_DEP_1) | instskip(NEXT) | instid1(VALU_DEP_1)
	v_lshlrev_b64 v[4:5], 4, v[4:5]
	v_add_co_u32 v6, s2, s3, v4
	s_delay_alu instid0(VALU_DEP_1)
	v_add_co_ci_u32_e64 v7, s2, s6, v5, s2
	s_and_saveexec_b32 s2, s1
	s_cbranch_execz .LBB1329_9
; %bb.8:
	v_ashrrev_i32_e32 v11, 31, v10
	v_cmp_ne_u32_e32 vcc_lo, v9, v10
	v_xor_b32_e32 v3, 0x80000000, v3
	s_delay_alu instid0(VALU_DEP_3) | instskip(SKIP_2) | instid1(VALU_DEP_3)
	v_lshlrev_b64 v[16:17], 4, v[10:11]
	v_cndmask_b32_e64 v5, 0, -v15, vcc_lo
	v_cndmask_b32_e32 v4, 0, v14, vcc_lo
	v_add_co_u32 v15, s1, v6, v16
	s_delay_alu instid0(VALU_DEP_1)
	v_add_co_ci_u32_e64 v16, s1, v7, v17, s1
	global_store_b128 v[15:16], v[2:5], off
.LBB1329_9:
	s_or_b32 exec_lo, exec_lo, s2
	v_cmp_le_i32_e32 vcc_lo, v9, v8
	s_and_b32 s0, vcc_lo, s0
	s_delay_alu instid0(SALU_CYCLE_1)
	s_and_saveexec_b32 s1, s0
	s_cbranch_execz .LBB1329_11
; %bb.10:
	v_ashrrev_i32_e32 v9, 31, v8
	v_cmp_ne_u32_e32 vcc_lo, v21, v10
	v_xor_b32_e32 v1, 0x80000000, v1
	s_delay_alu instid0(VALU_DEP_3) | instskip(SKIP_2) | instid1(VALU_DEP_3)
	v_lshlrev_b64 v[4:5], 4, v[8:9]
	v_cndmask_b32_e64 v3, 0, -v13, vcc_lo
	v_cndmask_b32_e32 v2, 0, v12, vcc_lo
	v_add_co_u32 v4, s0, v6, v4
	s_delay_alu instid0(VALU_DEP_1)
	v_add_co_ci_u32_e64 v5, s0, v7, v5, s0
	global_store_b128 v[4:5], v[0:3], off
.LBB1329_11:
	s_nop 0
	s_sendmsg sendmsg(MSG_DEALLOC_VGPRS)
	s_endpgm
	.section	.rodata,"a",@progbits
	.p2align	6, 0x0
	.amdhsa_kernel _ZL37rocblas_syrkx_herkx_restricted_kernelIl19rocblas_complex_numIdELi16ELi32ELi8ELin1ELi0ELb1ELc84ELc76EKS1_S1_EviT_PT9_S3_lS5_S3_lPT10_S3_li
		.amdhsa_group_segment_fixed_size 8192
		.amdhsa_private_segment_fixed_size 0
		.amdhsa_kernarg_size 92
		.amdhsa_user_sgpr_count 13
		.amdhsa_user_sgpr_dispatch_ptr 0
		.amdhsa_user_sgpr_queue_ptr 0
		.amdhsa_user_sgpr_kernarg_segment_ptr 1
		.amdhsa_user_sgpr_dispatch_id 0
		.amdhsa_user_sgpr_private_segment_size 0
		.amdhsa_wavefront_size32 1
		.amdhsa_uses_dynamic_stack 0
		.amdhsa_enable_private_segment 0
		.amdhsa_system_sgpr_workgroup_id_x 1
		.amdhsa_system_sgpr_workgroup_id_y 1
		.amdhsa_system_sgpr_workgroup_id_z 1
		.amdhsa_system_sgpr_workgroup_info 0
		.amdhsa_system_vgpr_workitem_id 1
		.amdhsa_next_free_vgpr 118
		.amdhsa_next_free_sgpr 32
		.amdhsa_reserve_vcc 1
		.amdhsa_float_round_mode_32 0
		.amdhsa_float_round_mode_16_64 0
		.amdhsa_float_denorm_mode_32 3
		.amdhsa_float_denorm_mode_16_64 3
		.amdhsa_dx10_clamp 1
		.amdhsa_ieee_mode 1
		.amdhsa_fp16_overflow 0
		.amdhsa_workgroup_processor_mode 1
		.amdhsa_memory_ordered 1
		.amdhsa_forward_progress 0
		.amdhsa_shared_vgpr_count 0
		.amdhsa_exception_fp_ieee_invalid_op 0
		.amdhsa_exception_fp_denorm_src 0
		.amdhsa_exception_fp_ieee_div_zero 0
		.amdhsa_exception_fp_ieee_overflow 0
		.amdhsa_exception_fp_ieee_underflow 0
		.amdhsa_exception_fp_ieee_inexact 0
		.amdhsa_exception_int_div_zero 0
	.end_amdhsa_kernel
	.section	.text._ZL37rocblas_syrkx_herkx_restricted_kernelIl19rocblas_complex_numIdELi16ELi32ELi8ELin1ELi0ELb1ELc84ELc76EKS1_S1_EviT_PT9_S3_lS5_S3_lPT10_S3_li,"axG",@progbits,_ZL37rocblas_syrkx_herkx_restricted_kernelIl19rocblas_complex_numIdELi16ELi32ELi8ELin1ELi0ELb1ELc84ELc76EKS1_S1_EviT_PT9_S3_lS5_S3_lPT10_S3_li,comdat
.Lfunc_end1329:
	.size	_ZL37rocblas_syrkx_herkx_restricted_kernelIl19rocblas_complex_numIdELi16ELi32ELi8ELin1ELi0ELb1ELc84ELc76EKS1_S1_EviT_PT9_S3_lS5_S3_lPT10_S3_li, .Lfunc_end1329-_ZL37rocblas_syrkx_herkx_restricted_kernelIl19rocblas_complex_numIdELi16ELi32ELi8ELin1ELi0ELb1ELc84ELc76EKS1_S1_EviT_PT9_S3_lS5_S3_lPT10_S3_li
                                        ; -- End function
	.section	.AMDGPU.csdata,"",@progbits
; Kernel info:
; codeLenInByte = 3096
; NumSgprs: 34
; NumVgprs: 118
; ScratchSize: 0
; MemoryBound: 0
; FloatMode: 240
; IeeeMode: 1
; LDSByteSize: 8192 bytes/workgroup (compile time only)
; SGPRBlocks: 4
; VGPRBlocks: 14
; NumSGPRsForWavesPerEU: 34
; NumVGPRsForWavesPerEU: 118
; Occupancy: 12
; WaveLimiterHint : 1
; COMPUTE_PGM_RSRC2:SCRATCH_EN: 0
; COMPUTE_PGM_RSRC2:USER_SGPR: 13
; COMPUTE_PGM_RSRC2:TRAP_HANDLER: 0
; COMPUTE_PGM_RSRC2:TGID_X_EN: 1
; COMPUTE_PGM_RSRC2:TGID_Y_EN: 1
; COMPUTE_PGM_RSRC2:TGID_Z_EN: 1
; COMPUTE_PGM_RSRC2:TIDIG_COMP_CNT: 1
	.section	.text._ZL37rocblas_syrkx_herkx_restricted_kernelIl19rocblas_complex_numIdELi16ELi32ELi8ELin1ELi0ELb1ELc67ELc76EKS1_S1_EviT_PT9_S3_lS5_S3_lPT10_S3_li,"axG",@progbits,_ZL37rocblas_syrkx_herkx_restricted_kernelIl19rocblas_complex_numIdELi16ELi32ELi8ELin1ELi0ELb1ELc67ELc76EKS1_S1_EviT_PT9_S3_lS5_S3_lPT10_S3_li,comdat
	.globl	_ZL37rocblas_syrkx_herkx_restricted_kernelIl19rocblas_complex_numIdELi16ELi32ELi8ELin1ELi0ELb1ELc67ELc76EKS1_S1_EviT_PT9_S3_lS5_S3_lPT10_S3_li ; -- Begin function _ZL37rocblas_syrkx_herkx_restricted_kernelIl19rocblas_complex_numIdELi16ELi32ELi8ELin1ELi0ELb1ELc67ELc76EKS1_S1_EviT_PT9_S3_lS5_S3_lPT10_S3_li
	.p2align	8
	.type	_ZL37rocblas_syrkx_herkx_restricted_kernelIl19rocblas_complex_numIdELi16ELi32ELi8ELin1ELi0ELb1ELc67ELc76EKS1_S1_EviT_PT9_S3_lS5_S3_lPT10_S3_li,@function
_ZL37rocblas_syrkx_herkx_restricted_kernelIl19rocblas_complex_numIdELi16ELi32ELi8ELin1ELi0ELb1ELc67ELc76EKS1_S1_EviT_PT9_S3_lS5_S3_lPT10_S3_li: ; @_ZL37rocblas_syrkx_herkx_restricted_kernelIl19rocblas_complex_numIdELi16ELi32ELi8ELin1ELi0ELb1ELc67ELc76EKS1_S1_EviT_PT9_S3_lS5_S3_lPT10_S3_li
; %bb.0:
	s_load_b512 s[16:31], s[0:1], 0x8
	v_mov_b32_e32 v6, 0
	v_dual_mov_b32 v7, 0 :: v_dual_and_b32 v20, 0x3ff, v0
	v_bfe_u32 v21, v0, 10, 10
	s_delay_alu instid0(VALU_DEP_3) | instskip(NEXT) | instid1(VALU_DEP_3)
	v_mov_b32_e32 v4, v6
	v_dual_mov_b32 v2, v6 :: v_dual_mov_b32 v3, v7
	v_dual_mov_b32 v19, v7 :: v_dual_mov_b32 v18, v6
	v_mov_b32_e32 v5, v7
	v_dual_mov_b32 v17, v7 :: v_dual_mov_b32 v16, v6
	v_dual_mov_b32 v15, v7 :: v_dual_mov_b32 v14, v6
	;; [unrolled: 1-line block ×4, first 2 shown]
	s_lshl_b32 s8, s13, 5
	s_waitcnt lgkmcnt(0)
	v_cmp_lt_i64_e64 s2, s[16:17], 1
	s_lshl_b32 s9, s14, 5
	s_delay_alu instid0(VALU_DEP_1)
	s_and_b32 vcc_lo, exec_lo, s2
	s_cbranch_vccnz .LBB1330_3
; %bb.1:
	v_lshl_add_u32 v2, v21, 4, v20
	v_dual_mov_b32 v1, 0 :: v_dual_and_b32 v0, 7, v20
	v_lshlrev_b32_e32 v22, 4, v20
	s_mul_i32 s3, s23, s15
	s_delay_alu instid0(VALU_DEP_3)
	v_and_b32_e32 v8, 31, v2
	v_lshrrev_b32_e32 v9, 3, v2
	v_lshrrev_b32_e32 v2, 5, v2
	v_mov_b32_e32 v3, v1
	v_lshlrev_b32_e32 v11, 4, v0
	v_add_nc_u32_e32 v6, s8, v8
	v_add_nc_u32_e32 v10, s9, v9
	s_mul_hi_u32 s4, s22, s15
	s_mul_i32 s2, s22, s15
	s_add_i32 s3, s4, s3
	v_ashrrev_i32_e32 v7, 31, v6
	v_ashrrev_i32_e32 v12, 31, v10
	v_mad_u64_u32 v[4:5], null, s20, v6, v[2:3]
	v_mul_lo_u32 v3, s21, v6
	s_delay_alu instid0(VALU_DEP_4)
	v_mul_lo_u32 v13, s20, v7
	v_mul_lo_u32 v14, v10, s27
	v_mad_u64_u32 v[6:7], null, v10, s26, v[0:1]
	v_mul_lo_u32 v0, v12, s26
	s_lshl_b64 s[2:3], s[2:3], 4
	s_mul_hi_u32 s5, s28, s15
	s_add_u32 s4, s18, s2
	s_delay_alu instid0(VALU_DEP_4)
	v_add3_u32 v5, v3, v5, v13
	v_mov_b32_e32 v12, 0
	v_mov_b32_e32 v13, 0
	v_lshlrev_b32_e32 v1, 4, v8
	v_add3_u32 v7, v0, v7, v14
	s_mul_i32 s2, s29, s15
	s_addc_u32 s6, s19, s3
	v_dual_mov_b32 v15, v13 :: v_dual_mov_b32 v14, v12
	v_lshl_or_b32 v23, v2, 9, v1
	v_lshlrev_b64 v[0:1], 4, v[4:5]
	s_add_i32 s3, s5, s2
	s_mul_i32 s2, s28, s15
	v_lshlrev_b64 v[2:3], 4, v[6:7]
	s_lshl_b64 s[2:3], s[2:3], 4
	v_lshl_or_b32 v8, v9, 7, v11
	v_add_co_u32 v0, vcc_lo, s4, v0
	s_add_u32 s2, s24, s2
	v_add_co_ci_u32_e32 v1, vcc_lo, s6, v1, vcc_lo
	s_addc_u32 s3, s25, s3
	v_add_co_u32 v2, vcc_lo, s2, v2
	v_add_co_ci_u32_e32 v3, vcc_lo, s3, v3, vcc_lo
	v_add_nc_u32_e32 v24, 0x1000, v8
	v_add_co_u32 v8, vcc_lo, v0, 8
	v_add_co_ci_u32_e32 v9, vcc_lo, 0, v1, vcc_lo
	v_add_co_u32 v10, vcc_lo, v2, 8
	v_dual_mov_b32 v0, v12 :: v_dual_mov_b32 v17, v13
	v_add_co_ci_u32_e32 v11, vcc_lo, 0, v3, vcc_lo
	v_mov_b32_e32 v2, v12
	v_dual_mov_b32 v16, v12 :: v_dual_mov_b32 v19, v13
	v_mov_b32_e32 v4, v12
	v_dual_mov_b32 v6, v12 :: v_dual_mov_b32 v7, v13
	v_lshl_add_u32 v25, v21, 7, 0x1000
	v_mov_b32_e32 v1, v13
	v_mov_b32_e32 v3, v13
	v_dual_mov_b32 v5, v13 :: v_dual_mov_b32 v18, v12
	s_mov_b64 s[2:3], 0
.LBB1330_2:                             ; =>This Inner Loop Header: Depth=1
	global_load_b128 v[26:29], v[8:9], off offset:-8
	global_load_b128 v[30:33], v[10:11], off offset:-8
	s_add_u32 s2, s2, 8
	v_add_co_u32 v8, vcc_lo, 0x80, v8
	s_addc_u32 s3, s3, 0
	v_add_co_ci_u32_e32 v9, vcc_lo, 0, v9, vcc_lo
	v_cmp_ge_u64_e64 s4, s[2:3], s[16:17]
	v_add_co_u32 v10, vcc_lo, 0x80, v10
	v_add_co_ci_u32_e32 v11, vcc_lo, 0, v11, vcc_lo
	s_delay_alu instid0(VALU_DEP_3)
	s_and_b32 vcc_lo, exec_lo, s4
	s_waitcnt vmcnt(1)
	v_xor_b32_e32 v29, 0x80000000, v29
	ds_store_b128 v23, v[26:29]
	s_waitcnt vmcnt(0)
	ds_store_b128 v24, v[30:33]
	s_waitcnt lgkmcnt(0)
	s_barrier
	buffer_gl0_inv
	ds_load_b128 v[26:29], v25
	ds_load_b128 v[30:33], v22
	ds_load_b128 v[34:37], v22 offset:256
	ds_load_b128 v[38:41], v25 offset:2048
	;; [unrolled: 1-line block ×13, first 2 shown]
	s_waitcnt lgkmcnt(13)
	v_mul_f64 v[86:87], v[28:29], v[32:33]
	v_mul_f64 v[88:89], v[26:27], v[32:33]
	s_waitcnt lgkmcnt(12)
	v_mul_f64 v[90:91], v[28:29], v[36:37]
	v_mul_f64 v[92:93], v[26:27], v[36:37]
	;; [unrolled: 3-line block ×3, first 2 shown]
	v_mul_f64 v[96:97], v[40:41], v[36:37]
	v_mul_f64 v[36:37], v[38:39], v[36:37]
	s_waitcnt lgkmcnt(8)
	v_mul_f64 v[98:99], v[44:45], v[52:53]
	v_mul_f64 v[100:101], v[42:43], v[52:53]
	s_waitcnt lgkmcnt(7)
	v_mul_f64 v[102:103], v[44:45], v[56:57]
	v_mul_f64 v[104:105], v[42:43], v[56:57]
	;; [unrolled: 1-line block ×6, first 2 shown]
	s_waitcnt lgkmcnt(3)
	v_mul_f64 v[112:113], v[58:59], v[72:73]
	s_waitcnt lgkmcnt(2)
	v_mul_f64 v[114:115], v[76:77], v[68:69]
	v_mul_f64 v[116:117], v[76:77], v[72:73]
	v_fma_f64 v[86:87], v[26:27], v[30:31], -v[86:87]
	v_fma_f64 v[88:89], v[28:29], v[30:31], v[88:89]
	v_fma_f64 v[90:91], v[26:27], v[34:35], -v[90:91]
	v_fma_f64 v[92:93], v[28:29], v[34:35], v[92:93]
	;; [unrolled: 2-line block ×4, first 2 shown]
	v_mul_f64 v[36:37], v[60:61], v[68:69]
	v_mul_f64 v[40:41], v[58:59], v[68:69]
	;; [unrolled: 1-line block ×5, first 2 shown]
	v_fma_f64 v[98:99], v[42:43], v[50:51], -v[98:99]
	v_fma_f64 v[100:101], v[44:45], v[50:51], v[100:101]
	v_fma_f64 v[42:43], v[42:43], v[54:55], -v[102:103]
	v_fma_f64 v[44:45], v[44:45], v[54:55], v[104:105]
	;; [unrolled: 2-line block ×4, first 2 shown]
	ds_load_b128 v[26:29], v22 offset:1792
	ds_load_b128 v[30:33], v22 offset:2048
	v_add_f64 v[52:53], v[6:7], v[86:87]
	v_add_f64 v[18:19], v[18:19], v[88:89]
	;; [unrolled: 1-line block ×8, first 2 shown]
	s_waitcnt lgkmcnt(2)
	v_mul_f64 v[86:87], v[64:65], v[84:85]
	v_mul_f64 v[88:89], v[62:63], v[84:85]
	s_waitcnt lgkmcnt(1)
	v_mul_f64 v[90:91], v[64:65], v[28:29]
	v_mul_f64 v[92:93], v[62:63], v[28:29]
	;; [unrolled: 1-line block ×6, first 2 shown]
	v_fma_f64 v[106:107], v[58:59], v[66:67], -v[36:37]
	v_fma_f64 v[108:109], v[60:61], v[66:67], v[40:41]
	v_fma_f64 v[58:59], v[58:59], v[70:71], -v[96:97]
	v_fma_f64 v[60:61], v[60:61], v[70:71], v[112:113]
	;; [unrolled: 2-line block ×4, first 2 shown]
	ds_load_b128 v[0:3], v22 offset:2304
	ds_load_b128 v[4:7], v25 offset:64
	v_add_f64 v[52:53], v[52:53], v[98:99]
	v_add_f64 v[72:73], v[18:19], v[100:101]
	v_add_f64 v[42:43], v[54:55], v[42:43]
	v_add_f64 v[44:45], v[16:17], v[44:45]
	v_add_f64 v[54:55], v[56:57], v[102:103]
	v_add_f64 v[50:51], v[14:15], v[50:51]
	v_add_f64 v[46:47], v[38:39], v[46:47]
	v_add_f64 v[48:49], v[12:13], v[48:49]
	ds_load_b128 v[12:15], v25 offset:2112
	ds_load_b128 v[16:19], v25 offset:80
	;; [unrolled: 1-line block ×4, first 2 shown]
	s_waitcnt lgkmcnt(4)
	v_mul_f64 v[56:57], v[6:7], v[32:33]
	v_mul_f64 v[74:75], v[4:5], v[32:33]
	;; [unrolled: 1-line block ×4, first 2 shown]
	v_fma_f64 v[86:87], v[62:63], v[82:83], -v[86:87]
	v_fma_f64 v[88:89], v[64:65], v[82:83], v[88:89]
	v_fma_f64 v[62:63], v[62:63], v[26:27], -v[90:91]
	v_fma_f64 v[64:65], v[64:65], v[26:27], v[92:93]
	;; [unrolled: 2-line block ×4, first 2 shown]
	s_waitcnt lgkmcnt(3)
	v_mul_f64 v[100:101], v[14:15], v[32:33]
	v_mul_f64 v[32:33], v[12:13], v[32:33]
	;; [unrolled: 1-line block ×4, first 2 shown]
	s_waitcnt lgkmcnt(0)
	v_mul_f64 v[92:93], v[18:19], v[40:41]
	v_mul_f64 v[94:95], v[16:17], v[40:41]
	v_add_f64 v[84:85], v[52:53], v[106:107]
	v_add_f64 v[72:73], v[72:73], v[108:109]
	;; [unrolled: 1-line block ×8, first 2 shown]
	ds_load_b128 v[26:29], v22 offset:2816
	ds_load_b128 v[42:45], v22 offset:3072
	;; [unrolled: 1-line block ×4, first 2 shown]
	v_mul_f64 v[106:107], v[36:37], v[40:41]
	v_mul_f64 v[40:41], v[34:35], v[40:41]
	v_fma_f64 v[56:57], v[4:5], v[30:31], -v[56:57]
	v_fma_f64 v[74:75], v[6:7], v[30:31], v[74:75]
	v_fma_f64 v[76:77], v[4:5], v[0:1], -v[76:77]
	v_fma_f64 v[98:99], v[6:7], v[0:1], v[98:99]
	s_waitcnt lgkmcnt(3)
	v_mul_f64 v[96:97], v[18:19], v[28:29]
	v_mul_f64 v[104:105], v[16:17], v[28:29]
	;; [unrolled: 1-line block ×4, first 2 shown]
	v_fma_f64 v[100:101], v[12:13], v[30:31], -v[100:101]
	v_fma_f64 v[32:33], v[14:15], v[30:31], v[32:33]
	v_fma_f64 v[102:103], v[12:13], v[0:1], -v[102:103]
	v_fma_f64 v[112:113], v[14:15], v[0:1], v[2:3]
	ds_load_b128 v[0:3], v25 offset:2144
	ds_load_b128 v[4:7], v25 offset:112
	;; [unrolled: 1-line block ×4, first 2 shown]
	v_add_f64 v[84:85], v[84:85], v[86:87]
	v_add_f64 v[72:73], v[72:73], v[88:89]
	;; [unrolled: 1-line block ×8, first 2 shown]
	s_waitcnt lgkmcnt(4)
	v_mul_f64 v[68:69], v[52:53], v[44:45]
	v_mul_f64 v[70:71], v[50:51], v[44:45]
	;; [unrolled: 1-line block ×4, first 2 shown]
	s_waitcnt lgkmcnt(3)
	v_mul_f64 v[82:83], v[2:3], v[44:45]
	v_mul_f64 v[44:45], v[0:1], v[44:45]
	;; [unrolled: 1-line block ×4, first 2 shown]
	v_fma_f64 v[88:89], v[16:17], v[38:39], -v[92:93]
	v_fma_f64 v[90:91], v[18:19], v[38:39], v[94:95]
	v_fma_f64 v[92:93], v[16:17], v[26:27], -v[96:97]
	v_fma_f64 v[94:95], v[18:19], v[26:27], v[104:105]
	;; [unrolled: 2-line block ×4, first 2 shown]
	ds_load_b128 v[16:19], v22 offset:3840
	s_waitcnt lgkmcnt(0)
	s_barrier
	buffer_gl0_inv
	v_add_f64 v[36:37], v[84:85], v[56:57]
	v_add_f64 v[40:41], v[72:73], v[74:75]
	;; [unrolled: 1-line block ×8, first 2 shown]
	v_mul_f64 v[64:65], v[6:7], v[30:31]
	v_mul_f64 v[66:67], v[4:5], v[30:31]
	;; [unrolled: 1-line block ×4, first 2 shown]
	v_fma_f64 v[68:69], v[50:51], v[42:43], -v[68:69]
	v_mul_f64 v[72:73], v[6:7], v[18:19]
	v_mul_f64 v[74:75], v[4:5], v[18:19]
	;; [unrolled: 1-line block ×4, first 2 shown]
	v_fma_f64 v[70:71], v[52:53], v[42:43], v[70:71]
	v_fma_f64 v[50:51], v[50:51], v[46:47], -v[78:79]
	v_fma_f64 v[52:53], v[52:53], v[46:47], v[80:81]
	v_fma_f64 v[78:79], v[0:1], v[42:43], -v[82:83]
	;; [unrolled: 2-line block ×3, first 2 shown]
	v_fma_f64 v[2:3], v[2:3], v[46:47], v[48:49]
	v_add_f64 v[36:37], v[36:37], v[88:89]
	v_add_f64 v[40:41], v[40:41], v[90:91]
	;; [unrolled: 1-line block ×8, first 2 shown]
	v_fma_f64 v[38:39], v[4:5], v[28:29], -v[64:65]
	v_fma_f64 v[54:55], v[6:7], v[28:29], v[66:67]
	v_fma_f64 v[58:59], v[12:13], v[28:29], -v[76:77]
	v_fma_f64 v[28:29], v[14:15], v[28:29], v[30:31]
	;; [unrolled: 2-line block ×4, first 2 shown]
	v_add_f64 v[6:7], v[36:37], v[68:69]
	v_add_f64 v[14:15], v[40:41], v[70:71]
	v_add_f64 v[16:17], v[44:45], v[50:51]
	v_add_f64 v[36:37], v[46:47], v[52:53]
	v_add_f64 v[40:41], v[48:49], v[78:79]
	v_add_f64 v[32:33], v[32:33], v[42:43]
	v_add_f64 v[0:1], v[34:35], v[0:1]
	v_add_f64 v[26:27], v[26:27], v[2:3]
	v_add_f64 v[6:7], v[6:7], v[38:39]
	v_add_f64 v[18:19], v[14:15], v[54:55]
	v_add_f64 v[4:5], v[16:17], v[4:5]
	v_add_f64 v[16:17], v[36:37], v[56:57]
	v_add_f64 v[2:3], v[40:41], v[58:59]
	v_add_f64 v[14:15], v[32:33], v[28:29]
	v_add_f64 v[0:1], v[0:1], v[12:13]
	v_add_f64 v[12:13], v[26:27], v[30:31]
	s_cbranch_vccz .LBB1330_2
.LBB1330_3:
	s_clause 0x1
	s_load_b128 s[4:7], s[0:1], 0x48
	s_load_b32 s2, s[0:1], 0x0
	v_add_nc_u32_e32 v21, s9, v21
	v_add_nc_u32_e32 v10, s8, v20
	s_delay_alu instid0(VALU_DEP_2) | instskip(NEXT) | instid1(VALU_DEP_2)
	v_ashrrev_i32_e32 v8, 31, v21
	v_cmp_le_i32_e64 s0, v21, v10
	s_waitcnt lgkmcnt(0)
	s_delay_alu instid0(VALU_DEP_2)
	v_mul_lo_u32 v11, v8, s4
	v_mul_lo_u32 v22, v21, s5
	v_mad_u64_u32 v[8:9], null, v21, s4, 0
	s_mul_i32 s1, s15, s7
	s_mul_hi_u32 s3, s15, s6
	s_mul_i32 s6, s15, s6
	s_add_i32 s7, s3, s1
	v_cmp_gt_i32_e32 vcc_lo, s2, v10
	s_lshl_b64 s[6:7], s[6:7], 4
	s_delay_alu instid0(VALU_DEP_2) | instskip(SKIP_3) | instid1(VALU_DEP_1)
	v_add3_u32 v9, v9, v22, v11
	s_add_u32 s3, s30, s6
	s_addc_u32 s6, s31, s7
	s_and_b32 s0, s0, vcc_lo
	v_lshlrev_b64 v[8:9], 4, v[8:9]
	s_delay_alu instid0(VALU_DEP_1) | instskip(NEXT) | instid1(VALU_DEP_1)
	v_add_co_u32 v20, s1, s3, v8
	v_add_co_ci_u32_e64 v22, s1, s6, v9, s1
	s_and_saveexec_b32 s7, s0
	s_cbranch_execz .LBB1330_5
; %bb.4:
	v_ashrrev_i32_e32 v11, 31, v10
	v_cmp_ne_u32_e64 s0, v21, v10
	v_xor_b32_e32 v7, 0x80000000, v7
	s_delay_alu instid0(VALU_DEP_3) | instskip(NEXT) | instid1(VALU_DEP_3)
	v_lshlrev_b64 v[23:24], 4, v[10:11]
	v_cndmask_b32_e64 v9, 0, -v19, s0
	v_cndmask_b32_e64 v8, 0, v18, s0
	s_delay_alu instid0(VALU_DEP_3) | instskip(NEXT) | instid1(VALU_DEP_1)
	v_add_co_u32 v23, s1, v20, v23
	v_add_co_ci_u32_e64 v24, s1, v22, v24, s1
	global_store_b128 v[23:24], v[6:9], off
.LBB1330_5:
	s_or_b32 exec_lo, exec_lo, s7
	v_add_nc_u32_e32 v8, 16, v10
	s_delay_alu instid0(VALU_DEP_1) | instskip(SKIP_1) | instid1(VALU_DEP_1)
	v_cmp_le_i32_e64 s1, v21, v8
	v_cmp_gt_i32_e64 s0, s2, v8
	s_and_b32 s1, s1, s0
	s_delay_alu instid0(SALU_CYCLE_1)
	s_and_saveexec_b32 s7, s1
	s_cbranch_execz .LBB1330_7
; %bb.6:
	v_ashrrev_i32_e32 v9, 31, v8
	v_cmp_ne_u32_e64 s1, v21, v8
	v_xor_b32_e32 v5, 0x80000000, v5
	s_delay_alu instid0(VALU_DEP_3) | instskip(NEXT) | instid1(VALU_DEP_3)
	v_lshlrev_b64 v[18:19], 4, v[8:9]
	v_cndmask_b32_e64 v7, 0, -v17, s1
	v_cndmask_b32_e64 v6, 0, v16, s1
	s_delay_alu instid0(VALU_DEP_3) | instskip(NEXT) | instid1(VALU_DEP_1)
	v_add_co_u32 v17, s2, v20, v18
	v_add_co_ci_u32_e64 v18, s2, v22, v19, s2
	global_store_b128 v[17:18], v[4:7], off
.LBB1330_7:
	s_or_b32 exec_lo, exec_lo, s7
	v_add_nc_u32_e32 v9, 16, v21
	s_delay_alu instid0(VALU_DEP_1) | instskip(SKIP_3) | instid1(VALU_DEP_4)
	v_ashrrev_i32_e32 v6, 31, v9
	v_mul_lo_u32 v7, v9, s5
	v_mad_u64_u32 v[4:5], null, v9, s4, 0
	v_cmp_le_i32_e64 s1, v9, v10
	v_mul_lo_u32 v6, v6, s4
	s_delay_alu instid0(VALU_DEP_2) | instskip(NEXT) | instid1(VALU_DEP_1)
	s_and_b32 s1, s1, vcc_lo
	v_add3_u32 v5, v5, v7, v6
	s_delay_alu instid0(VALU_DEP_1) | instskip(NEXT) | instid1(VALU_DEP_1)
	v_lshlrev_b64 v[4:5], 4, v[4:5]
	v_add_co_u32 v6, s2, s3, v4
	s_delay_alu instid0(VALU_DEP_1)
	v_add_co_ci_u32_e64 v7, s2, s6, v5, s2
	s_and_saveexec_b32 s2, s1
	s_cbranch_execz .LBB1330_9
; %bb.8:
	v_ashrrev_i32_e32 v11, 31, v10
	v_cmp_ne_u32_e32 vcc_lo, v9, v10
	v_xor_b32_e32 v3, 0x80000000, v3
	s_delay_alu instid0(VALU_DEP_3) | instskip(SKIP_2) | instid1(VALU_DEP_3)
	v_lshlrev_b64 v[16:17], 4, v[10:11]
	v_cndmask_b32_e64 v5, 0, -v15, vcc_lo
	v_cndmask_b32_e32 v4, 0, v14, vcc_lo
	v_add_co_u32 v15, s1, v6, v16
	s_delay_alu instid0(VALU_DEP_1)
	v_add_co_ci_u32_e64 v16, s1, v7, v17, s1
	global_store_b128 v[15:16], v[2:5], off
.LBB1330_9:
	s_or_b32 exec_lo, exec_lo, s2
	v_cmp_le_i32_e32 vcc_lo, v9, v8
	s_and_b32 s0, vcc_lo, s0
	s_delay_alu instid0(SALU_CYCLE_1)
	s_and_saveexec_b32 s1, s0
	s_cbranch_execz .LBB1330_11
; %bb.10:
	v_ashrrev_i32_e32 v9, 31, v8
	v_cmp_ne_u32_e32 vcc_lo, v21, v10
	v_xor_b32_e32 v1, 0x80000000, v1
	s_delay_alu instid0(VALU_DEP_3) | instskip(SKIP_2) | instid1(VALU_DEP_3)
	v_lshlrev_b64 v[4:5], 4, v[8:9]
	v_cndmask_b32_e64 v3, 0, -v13, vcc_lo
	v_cndmask_b32_e32 v2, 0, v12, vcc_lo
	v_add_co_u32 v4, s0, v6, v4
	s_delay_alu instid0(VALU_DEP_1)
	v_add_co_ci_u32_e64 v5, s0, v7, v5, s0
	global_store_b128 v[4:5], v[0:3], off
.LBB1330_11:
	s_nop 0
	s_sendmsg sendmsg(MSG_DEALLOC_VGPRS)
	s_endpgm
	.section	.rodata,"a",@progbits
	.p2align	6, 0x0
	.amdhsa_kernel _ZL37rocblas_syrkx_herkx_restricted_kernelIl19rocblas_complex_numIdELi16ELi32ELi8ELin1ELi0ELb1ELc67ELc76EKS1_S1_EviT_PT9_S3_lS5_S3_lPT10_S3_li
		.amdhsa_group_segment_fixed_size 8192
		.amdhsa_private_segment_fixed_size 0
		.amdhsa_kernarg_size 92
		.amdhsa_user_sgpr_count 13
		.amdhsa_user_sgpr_dispatch_ptr 0
		.amdhsa_user_sgpr_queue_ptr 0
		.amdhsa_user_sgpr_kernarg_segment_ptr 1
		.amdhsa_user_sgpr_dispatch_id 0
		.amdhsa_user_sgpr_private_segment_size 0
		.amdhsa_wavefront_size32 1
		.amdhsa_uses_dynamic_stack 0
		.amdhsa_enable_private_segment 0
		.amdhsa_system_sgpr_workgroup_id_x 1
		.amdhsa_system_sgpr_workgroup_id_y 1
		.amdhsa_system_sgpr_workgroup_id_z 1
		.amdhsa_system_sgpr_workgroup_info 0
		.amdhsa_system_vgpr_workitem_id 1
		.amdhsa_next_free_vgpr 118
		.amdhsa_next_free_sgpr 32
		.amdhsa_reserve_vcc 1
		.amdhsa_float_round_mode_32 0
		.amdhsa_float_round_mode_16_64 0
		.amdhsa_float_denorm_mode_32 3
		.amdhsa_float_denorm_mode_16_64 3
		.amdhsa_dx10_clamp 1
		.amdhsa_ieee_mode 1
		.amdhsa_fp16_overflow 0
		.amdhsa_workgroup_processor_mode 1
		.amdhsa_memory_ordered 1
		.amdhsa_forward_progress 0
		.amdhsa_shared_vgpr_count 0
		.amdhsa_exception_fp_ieee_invalid_op 0
		.amdhsa_exception_fp_denorm_src 0
		.amdhsa_exception_fp_ieee_div_zero 0
		.amdhsa_exception_fp_ieee_overflow 0
		.amdhsa_exception_fp_ieee_underflow 0
		.amdhsa_exception_fp_ieee_inexact 0
		.amdhsa_exception_int_div_zero 0
	.end_amdhsa_kernel
	.section	.text._ZL37rocblas_syrkx_herkx_restricted_kernelIl19rocblas_complex_numIdELi16ELi32ELi8ELin1ELi0ELb1ELc67ELc76EKS1_S1_EviT_PT9_S3_lS5_S3_lPT10_S3_li,"axG",@progbits,_ZL37rocblas_syrkx_herkx_restricted_kernelIl19rocblas_complex_numIdELi16ELi32ELi8ELin1ELi0ELb1ELc67ELc76EKS1_S1_EviT_PT9_S3_lS5_S3_lPT10_S3_li,comdat
.Lfunc_end1330:
	.size	_ZL37rocblas_syrkx_herkx_restricted_kernelIl19rocblas_complex_numIdELi16ELi32ELi8ELin1ELi0ELb1ELc67ELc76EKS1_S1_EviT_PT9_S3_lS5_S3_lPT10_S3_li, .Lfunc_end1330-_ZL37rocblas_syrkx_herkx_restricted_kernelIl19rocblas_complex_numIdELi16ELi32ELi8ELin1ELi0ELb1ELc67ELc76EKS1_S1_EviT_PT9_S3_lS5_S3_lPT10_S3_li
                                        ; -- End function
	.section	.AMDGPU.csdata,"",@progbits
; Kernel info:
; codeLenInByte = 3108
; NumSgprs: 34
; NumVgprs: 118
; ScratchSize: 0
; MemoryBound: 0
; FloatMode: 240
; IeeeMode: 1
; LDSByteSize: 8192 bytes/workgroup (compile time only)
; SGPRBlocks: 4
; VGPRBlocks: 14
; NumSGPRsForWavesPerEU: 34
; NumVGPRsForWavesPerEU: 118
; Occupancy: 12
; WaveLimiterHint : 1
; COMPUTE_PGM_RSRC2:SCRATCH_EN: 0
; COMPUTE_PGM_RSRC2:USER_SGPR: 13
; COMPUTE_PGM_RSRC2:TRAP_HANDLER: 0
; COMPUTE_PGM_RSRC2:TGID_X_EN: 1
; COMPUTE_PGM_RSRC2:TGID_Y_EN: 1
; COMPUTE_PGM_RSRC2:TGID_Z_EN: 1
; COMPUTE_PGM_RSRC2:TIDIG_COMP_CNT: 1
	.section	.text._ZL37rocblas_syrkx_herkx_restricted_kernelIl19rocblas_complex_numIdELi16ELi32ELi8ELin1ELi0ELb1ELc78ELc76EKS1_S1_EviT_PT9_S3_lS5_S3_lPT10_S3_li,"axG",@progbits,_ZL37rocblas_syrkx_herkx_restricted_kernelIl19rocblas_complex_numIdELi16ELi32ELi8ELin1ELi0ELb1ELc78ELc76EKS1_S1_EviT_PT9_S3_lS5_S3_lPT10_S3_li,comdat
	.globl	_ZL37rocblas_syrkx_herkx_restricted_kernelIl19rocblas_complex_numIdELi16ELi32ELi8ELin1ELi0ELb1ELc78ELc76EKS1_S1_EviT_PT9_S3_lS5_S3_lPT10_S3_li ; -- Begin function _ZL37rocblas_syrkx_herkx_restricted_kernelIl19rocblas_complex_numIdELi16ELi32ELi8ELin1ELi0ELb1ELc78ELc76EKS1_S1_EviT_PT9_S3_lS5_S3_lPT10_S3_li
	.p2align	8
	.type	_ZL37rocblas_syrkx_herkx_restricted_kernelIl19rocblas_complex_numIdELi16ELi32ELi8ELin1ELi0ELb1ELc78ELc76EKS1_S1_EviT_PT9_S3_lS5_S3_lPT10_S3_li,@function
_ZL37rocblas_syrkx_herkx_restricted_kernelIl19rocblas_complex_numIdELi16ELi32ELi8ELin1ELi0ELb1ELc78ELc76EKS1_S1_EviT_PT9_S3_lS5_S3_lPT10_S3_li: ; @_ZL37rocblas_syrkx_herkx_restricted_kernelIl19rocblas_complex_numIdELi16ELi32ELi8ELin1ELi0ELb1ELc78ELc76EKS1_S1_EviT_PT9_S3_lS5_S3_lPT10_S3_li
; %bb.0:
	s_load_b512 s[16:31], s[0:1], 0x8
	v_mov_b32_e32 v6, 0
	v_dual_mov_b32 v7, 0 :: v_dual_and_b32 v20, 0x3ff, v0
	v_bfe_u32 v21, v0, 10, 10
	s_delay_alu instid0(VALU_DEP_3) | instskip(NEXT) | instid1(VALU_DEP_3)
	v_mov_b32_e32 v4, v6
	v_dual_mov_b32 v2, v6 :: v_dual_mov_b32 v3, v7
	v_dual_mov_b32 v19, v7 :: v_dual_mov_b32 v18, v6
	v_mov_b32_e32 v5, v7
	v_dual_mov_b32 v17, v7 :: v_dual_mov_b32 v16, v6
	v_dual_mov_b32 v15, v7 :: v_dual_mov_b32 v14, v6
	;; [unrolled: 1-line block ×4, first 2 shown]
	s_lshl_b32 s8, s13, 5
	s_waitcnt lgkmcnt(0)
	v_cmp_lt_i64_e64 s2, s[16:17], 1
	s_lshl_b32 s9, s14, 5
	s_delay_alu instid0(VALU_DEP_1)
	s_and_b32 vcc_lo, exec_lo, s2
	s_cbranch_vccnz .LBB1331_3
; %bb.1:
	v_lshl_add_u32 v1, v21, 4, v20
	v_and_b32_e32 v8, 7, v20
	s_mul_i32 s3, s23, s15
	s_mul_hi_u32 s5, s22, s15
	s_mul_i32 s2, s22, s15
	v_dual_mov_b32 v12, 0 :: v_dual_and_b32 v7, 31, v1
	v_lshrrev_b32_e32 v9, 3, v1
	v_mov_b32_e32 v13, 0
	v_lshrrev_b32_e32 v10, 5, v1
	s_delay_alu instid0(VALU_DEP_4) | instskip(SKIP_1) | instid1(VALU_DEP_3)
	v_add_nc_u32_e32 v0, s8, v7
	s_add_i32 s3, s5, s3
	v_dual_mov_b32 v15, v13 :: v_dual_add_nc_u32 v2, s9, v9
	s_lshl_b64 s[2:3], s[2:3], 4
	s_delay_alu instid0(VALU_DEP_2) | instskip(SKIP_1) | instid1(VALU_DEP_2)
	v_ashrrev_i32_e32 v1, 31, v0
	s_mul_i32 s6, s29, s15
	v_ashrrev_i32_e32 v3, 31, v2
	s_mul_hi_u32 s7, s28, s15
	s_add_u32 s10, s18, s2
	v_mad_u64_u32 v[4:5], null, v10, s20, v[0:1]
	s_delay_alu instid0(VALU_DEP_2) | instskip(SKIP_4) | instid1(VALU_DEP_2)
	v_mad_u64_u32 v[0:1], null, v8, s26, v[2:3]
	s_mul_i32 s4, s28, s15
	s_addc_u32 s11, s19, s3
	s_add_i32 s5, s7, s6
	s_lshl_b64 s[2:3], s[20:21], 7
	v_dual_mov_b32 v2, v5 :: v_dual_lshlrev_b32 v11, 4, v8
	s_lshl_b64 s[4:5], s[4:5], 4
	v_dual_mov_b32 v14, v12 :: v_dual_mov_b32 v17, v13
	s_delay_alu instid0(VALU_DEP_2)
	v_mad_u64_u32 v[5:6], null, v10, s21, v[2:3]
	v_mad_u64_u32 v[2:3], null, v8, s27, v[1:2]
	v_lshlrev_b32_e32 v22, 4, v20
	s_add_u32 s4, s24, s4
	s_addc_u32 s5, s25, s5
	v_lshlrev_b32_e32 v6, 4, v7
	v_lshl_or_b32 v7, v9, 7, v11
	v_dual_mov_b32 v16, v12 :: v_dual_mov_b32 v19, v13
	v_mov_b32_e32 v1, v2
	v_lshlrev_b64 v[2:3], 4, v[4:5]
	s_delay_alu instid0(VALU_DEP_4) | instskip(SKIP_1) | instid1(VALU_DEP_4)
	v_dual_mov_b32 v4, v12 :: v_dual_add_nc_u32 v25, 0x1000, v7
	v_lshl_add_u32 v23, v21, 7, 0x1000
	v_lshlrev_b64 v[0:1], 4, v[0:1]
	v_mov_b32_e32 v18, v12
	v_add_co_u32 v2, vcc_lo, s10, v2
	v_add_co_ci_u32_e32 v3, vcc_lo, s11, v3, vcc_lo
	s_delay_alu instid0(VALU_DEP_4) | instskip(SKIP_1) | instid1(VALU_DEP_4)
	v_add_co_u32 v0, vcc_lo, s4, v0
	v_add_co_ci_u32_e32 v1, vcc_lo, s5, v1, vcc_lo
	v_add_co_u32 v8, vcc_lo, v2, 8
	s_delay_alu instid0(VALU_DEP_4)
	v_add_co_ci_u32_e32 v9, vcc_lo, 0, v3, vcc_lo
	v_dual_mov_b32 v2, v12 :: v_dual_mov_b32 v5, v13
	v_mov_b32_e32 v3, v13
	v_lshl_or_b32 v24, v10, 9, v6
	v_add_co_u32 v10, vcc_lo, v0, 8
	v_add_co_ci_u32_e32 v11, vcc_lo, 0, v1, vcc_lo
	v_mov_b32_e32 v0, v12
	v_dual_mov_b32 v6, v12 :: v_dual_mov_b32 v1, v13
	v_mov_b32_e32 v7, v13
	s_lshl_b64 s[4:5], s[26:27], 7
	s_mov_b64 s[6:7], 0
.LBB1331_2:                             ; =>This Inner Loop Header: Depth=1
	global_load_b128 v[26:29], v[10:11], off offset:-8
	global_load_b128 v[30:33], v[8:9], off offset:-8
	s_add_u32 s6, s6, 8
	v_add_co_u32 v8, vcc_lo, v8, s2
	s_addc_u32 s7, s7, 0
	v_add_co_ci_u32_e32 v9, vcc_lo, s3, v9, vcc_lo
	v_cmp_ge_u64_e64 s10, s[6:7], s[16:17]
	v_add_co_u32 v10, vcc_lo, v10, s4
	v_add_co_ci_u32_e32 v11, vcc_lo, s5, v11, vcc_lo
	s_delay_alu instid0(VALU_DEP_3)
	s_and_b32 vcc_lo, exec_lo, s10
	s_waitcnt vmcnt(1)
	v_xor_b32_e32 v29, 0x80000000, v29
	s_waitcnt vmcnt(0)
	ds_store_b128 v24, v[30:33]
	ds_store_b128 v25, v[26:29]
	s_waitcnt lgkmcnt(0)
	s_barrier
	buffer_gl0_inv
	ds_load_b128 v[26:29], v23
	ds_load_b128 v[30:33], v22
	ds_load_b128 v[34:37], v22 offset:256
	ds_load_b128 v[38:41], v23 offset:2048
	;; [unrolled: 1-line block ×13, first 2 shown]
	s_waitcnt lgkmcnt(13)
	v_mul_f64 v[86:87], v[28:29], v[32:33]
	v_mul_f64 v[88:89], v[26:27], v[32:33]
	s_waitcnt lgkmcnt(12)
	v_mul_f64 v[90:91], v[28:29], v[36:37]
	v_mul_f64 v[92:93], v[26:27], v[36:37]
	;; [unrolled: 3-line block ×3, first 2 shown]
	v_mul_f64 v[96:97], v[40:41], v[36:37]
	v_mul_f64 v[36:37], v[38:39], v[36:37]
	s_waitcnt lgkmcnt(8)
	v_mul_f64 v[98:99], v[44:45], v[52:53]
	v_mul_f64 v[100:101], v[42:43], v[52:53]
	s_waitcnt lgkmcnt(7)
	v_mul_f64 v[102:103], v[44:45], v[56:57]
	v_mul_f64 v[104:105], v[42:43], v[56:57]
	;; [unrolled: 1-line block ×6, first 2 shown]
	s_waitcnt lgkmcnt(3)
	v_mul_f64 v[112:113], v[58:59], v[72:73]
	s_waitcnt lgkmcnt(2)
	v_mul_f64 v[114:115], v[76:77], v[68:69]
	v_mul_f64 v[116:117], v[76:77], v[72:73]
	v_fma_f64 v[86:87], v[26:27], v[30:31], -v[86:87]
	v_fma_f64 v[88:89], v[28:29], v[30:31], v[88:89]
	v_fma_f64 v[90:91], v[26:27], v[34:35], -v[90:91]
	v_fma_f64 v[92:93], v[28:29], v[34:35], v[92:93]
	;; [unrolled: 2-line block ×4, first 2 shown]
	v_mul_f64 v[36:37], v[60:61], v[68:69]
	v_mul_f64 v[40:41], v[58:59], v[68:69]
	;; [unrolled: 1-line block ×5, first 2 shown]
	v_fma_f64 v[98:99], v[42:43], v[50:51], -v[98:99]
	v_fma_f64 v[100:101], v[44:45], v[50:51], v[100:101]
	v_fma_f64 v[42:43], v[42:43], v[54:55], -v[102:103]
	v_fma_f64 v[44:45], v[44:45], v[54:55], v[104:105]
	;; [unrolled: 2-line block ×4, first 2 shown]
	ds_load_b128 v[26:29], v22 offset:1792
	ds_load_b128 v[30:33], v22 offset:2048
	v_add_f64 v[52:53], v[6:7], v[86:87]
	v_add_f64 v[18:19], v[18:19], v[88:89]
	;; [unrolled: 1-line block ×8, first 2 shown]
	s_waitcnt lgkmcnt(2)
	v_mul_f64 v[86:87], v[64:65], v[84:85]
	v_mul_f64 v[88:89], v[62:63], v[84:85]
	s_waitcnt lgkmcnt(1)
	v_mul_f64 v[90:91], v[64:65], v[28:29]
	v_mul_f64 v[92:93], v[62:63], v[28:29]
	;; [unrolled: 1-line block ×6, first 2 shown]
	v_fma_f64 v[106:107], v[58:59], v[66:67], -v[36:37]
	v_fma_f64 v[108:109], v[60:61], v[66:67], v[40:41]
	v_fma_f64 v[58:59], v[58:59], v[70:71], -v[96:97]
	v_fma_f64 v[60:61], v[60:61], v[70:71], v[112:113]
	;; [unrolled: 2-line block ×4, first 2 shown]
	ds_load_b128 v[0:3], v22 offset:2304
	ds_load_b128 v[4:7], v23 offset:64
	v_add_f64 v[52:53], v[52:53], v[98:99]
	v_add_f64 v[72:73], v[18:19], v[100:101]
	;; [unrolled: 1-line block ×8, first 2 shown]
	ds_load_b128 v[12:15], v23 offset:2112
	ds_load_b128 v[16:19], v23 offset:80
	;; [unrolled: 1-line block ×4, first 2 shown]
	s_waitcnt lgkmcnt(4)
	v_mul_f64 v[56:57], v[6:7], v[32:33]
	v_mul_f64 v[74:75], v[4:5], v[32:33]
	;; [unrolled: 1-line block ×4, first 2 shown]
	v_fma_f64 v[86:87], v[62:63], v[82:83], -v[86:87]
	v_fma_f64 v[88:89], v[64:65], v[82:83], v[88:89]
	v_fma_f64 v[62:63], v[62:63], v[26:27], -v[90:91]
	v_fma_f64 v[64:65], v[64:65], v[26:27], v[92:93]
	;; [unrolled: 2-line block ×4, first 2 shown]
	s_waitcnt lgkmcnt(3)
	v_mul_f64 v[100:101], v[14:15], v[32:33]
	v_mul_f64 v[32:33], v[12:13], v[32:33]
	;; [unrolled: 1-line block ×4, first 2 shown]
	s_waitcnt lgkmcnt(0)
	v_mul_f64 v[92:93], v[18:19], v[40:41]
	v_mul_f64 v[94:95], v[16:17], v[40:41]
	v_add_f64 v[84:85], v[52:53], v[106:107]
	v_add_f64 v[72:73], v[72:73], v[108:109]
	;; [unrolled: 1-line block ×8, first 2 shown]
	ds_load_b128 v[26:29], v22 offset:2816
	ds_load_b128 v[42:45], v22 offset:3072
	;; [unrolled: 1-line block ×4, first 2 shown]
	v_mul_f64 v[106:107], v[36:37], v[40:41]
	v_mul_f64 v[40:41], v[34:35], v[40:41]
	v_fma_f64 v[56:57], v[4:5], v[30:31], -v[56:57]
	v_fma_f64 v[74:75], v[6:7], v[30:31], v[74:75]
	v_fma_f64 v[76:77], v[4:5], v[0:1], -v[76:77]
	v_fma_f64 v[98:99], v[6:7], v[0:1], v[98:99]
	s_waitcnt lgkmcnt(3)
	v_mul_f64 v[96:97], v[18:19], v[28:29]
	v_mul_f64 v[104:105], v[16:17], v[28:29]
	;; [unrolled: 1-line block ×4, first 2 shown]
	v_fma_f64 v[100:101], v[12:13], v[30:31], -v[100:101]
	v_fma_f64 v[32:33], v[14:15], v[30:31], v[32:33]
	v_fma_f64 v[102:103], v[12:13], v[0:1], -v[102:103]
	v_fma_f64 v[112:113], v[14:15], v[0:1], v[2:3]
	ds_load_b128 v[0:3], v23 offset:2144
	ds_load_b128 v[4:7], v23 offset:112
	;; [unrolled: 1-line block ×4, first 2 shown]
	v_add_f64 v[84:85], v[84:85], v[86:87]
	v_add_f64 v[72:73], v[72:73], v[88:89]
	;; [unrolled: 1-line block ×8, first 2 shown]
	s_waitcnt lgkmcnt(4)
	v_mul_f64 v[68:69], v[52:53], v[44:45]
	v_mul_f64 v[70:71], v[50:51], v[44:45]
	;; [unrolled: 1-line block ×4, first 2 shown]
	s_waitcnt lgkmcnt(3)
	v_mul_f64 v[82:83], v[2:3], v[44:45]
	v_mul_f64 v[44:45], v[0:1], v[44:45]
	;; [unrolled: 1-line block ×4, first 2 shown]
	v_fma_f64 v[88:89], v[16:17], v[38:39], -v[92:93]
	v_fma_f64 v[90:91], v[18:19], v[38:39], v[94:95]
	v_fma_f64 v[92:93], v[16:17], v[26:27], -v[96:97]
	v_fma_f64 v[94:95], v[18:19], v[26:27], v[104:105]
	;; [unrolled: 2-line block ×4, first 2 shown]
	ds_load_b128 v[16:19], v22 offset:3840
	s_waitcnt lgkmcnt(0)
	s_barrier
	buffer_gl0_inv
	v_add_f64 v[36:37], v[84:85], v[56:57]
	v_add_f64 v[40:41], v[72:73], v[74:75]
	;; [unrolled: 1-line block ×8, first 2 shown]
	v_mul_f64 v[64:65], v[6:7], v[30:31]
	v_mul_f64 v[66:67], v[4:5], v[30:31]
	;; [unrolled: 1-line block ×4, first 2 shown]
	v_fma_f64 v[68:69], v[50:51], v[42:43], -v[68:69]
	v_mul_f64 v[72:73], v[6:7], v[18:19]
	v_mul_f64 v[74:75], v[4:5], v[18:19]
	;; [unrolled: 1-line block ×4, first 2 shown]
	v_fma_f64 v[70:71], v[52:53], v[42:43], v[70:71]
	v_fma_f64 v[50:51], v[50:51], v[46:47], -v[78:79]
	v_fma_f64 v[52:53], v[52:53], v[46:47], v[80:81]
	v_fma_f64 v[78:79], v[0:1], v[42:43], -v[82:83]
	;; [unrolled: 2-line block ×3, first 2 shown]
	v_fma_f64 v[2:3], v[2:3], v[46:47], v[48:49]
	v_add_f64 v[36:37], v[36:37], v[88:89]
	v_add_f64 v[40:41], v[40:41], v[90:91]
	v_add_f64 v[44:45], v[56:57], v[92:93]
	v_add_f64 v[46:47], v[58:59], v[94:95]
	v_add_f64 v[48:49], v[54:55], v[96:97]
	v_add_f64 v[32:33], v[32:33], v[38:39]
	v_add_f64 v[34:35], v[60:61], v[34:35]
	v_add_f64 v[26:27], v[62:63], v[26:27]
	v_fma_f64 v[38:39], v[4:5], v[28:29], -v[64:65]
	v_fma_f64 v[54:55], v[6:7], v[28:29], v[66:67]
	v_fma_f64 v[58:59], v[12:13], v[28:29], -v[76:77]
	v_fma_f64 v[28:29], v[14:15], v[28:29], v[30:31]
	;; [unrolled: 2-line block ×4, first 2 shown]
	v_add_f64 v[6:7], v[36:37], v[68:69]
	v_add_f64 v[14:15], v[40:41], v[70:71]
	;; [unrolled: 1-line block ×16, first 2 shown]
	s_cbranch_vccz .LBB1331_2
.LBB1331_3:
	s_clause 0x1
	s_load_b128 s[4:7], s[0:1], 0x48
	s_load_b32 s2, s[0:1], 0x0
	v_add_nc_u32_e32 v21, s9, v21
	v_add_nc_u32_e32 v10, s8, v20
	s_delay_alu instid0(VALU_DEP_2) | instskip(NEXT) | instid1(VALU_DEP_2)
	v_ashrrev_i32_e32 v8, 31, v21
	v_cmp_le_i32_e64 s0, v21, v10
	s_waitcnt lgkmcnt(0)
	s_delay_alu instid0(VALU_DEP_2)
	v_mul_lo_u32 v11, v8, s4
	v_mul_lo_u32 v22, v21, s5
	v_mad_u64_u32 v[8:9], null, v21, s4, 0
	s_mul_i32 s1, s15, s7
	s_mul_hi_u32 s3, s15, s6
	s_mul_i32 s6, s15, s6
	s_add_i32 s7, s3, s1
	v_cmp_gt_i32_e32 vcc_lo, s2, v10
	s_lshl_b64 s[6:7], s[6:7], 4
	s_delay_alu instid0(VALU_DEP_2) | instskip(SKIP_3) | instid1(VALU_DEP_1)
	v_add3_u32 v9, v9, v22, v11
	s_add_u32 s3, s30, s6
	s_addc_u32 s6, s31, s7
	s_and_b32 s0, s0, vcc_lo
	v_lshlrev_b64 v[8:9], 4, v[8:9]
	s_delay_alu instid0(VALU_DEP_1) | instskip(NEXT) | instid1(VALU_DEP_1)
	v_add_co_u32 v20, s1, s3, v8
	v_add_co_ci_u32_e64 v22, s1, s6, v9, s1
	s_and_saveexec_b32 s7, s0
	s_cbranch_execz .LBB1331_5
; %bb.4:
	v_ashrrev_i32_e32 v11, 31, v10
	v_cmp_ne_u32_e64 s0, v21, v10
	v_xor_b32_e32 v7, 0x80000000, v7
	s_delay_alu instid0(VALU_DEP_3) | instskip(NEXT) | instid1(VALU_DEP_3)
	v_lshlrev_b64 v[23:24], 4, v[10:11]
	v_cndmask_b32_e64 v9, 0, -v19, s0
	v_cndmask_b32_e64 v8, 0, v18, s0
	s_delay_alu instid0(VALU_DEP_3) | instskip(NEXT) | instid1(VALU_DEP_1)
	v_add_co_u32 v23, s1, v20, v23
	v_add_co_ci_u32_e64 v24, s1, v22, v24, s1
	global_store_b128 v[23:24], v[6:9], off
.LBB1331_5:
	s_or_b32 exec_lo, exec_lo, s7
	v_add_nc_u32_e32 v8, 16, v10
	s_delay_alu instid0(VALU_DEP_1) | instskip(SKIP_1) | instid1(VALU_DEP_1)
	v_cmp_le_i32_e64 s1, v21, v8
	v_cmp_gt_i32_e64 s0, s2, v8
	s_and_b32 s1, s1, s0
	s_delay_alu instid0(SALU_CYCLE_1)
	s_and_saveexec_b32 s7, s1
	s_cbranch_execz .LBB1331_7
; %bb.6:
	v_ashrrev_i32_e32 v9, 31, v8
	v_cmp_ne_u32_e64 s1, v21, v8
	v_xor_b32_e32 v5, 0x80000000, v5
	s_delay_alu instid0(VALU_DEP_3) | instskip(NEXT) | instid1(VALU_DEP_3)
	v_lshlrev_b64 v[18:19], 4, v[8:9]
	v_cndmask_b32_e64 v7, 0, -v17, s1
	v_cndmask_b32_e64 v6, 0, v16, s1
	s_delay_alu instid0(VALU_DEP_3) | instskip(NEXT) | instid1(VALU_DEP_1)
	v_add_co_u32 v17, s2, v20, v18
	v_add_co_ci_u32_e64 v18, s2, v22, v19, s2
	global_store_b128 v[17:18], v[4:7], off
.LBB1331_7:
	s_or_b32 exec_lo, exec_lo, s7
	v_add_nc_u32_e32 v9, 16, v21
	s_delay_alu instid0(VALU_DEP_1) | instskip(SKIP_3) | instid1(VALU_DEP_4)
	v_ashrrev_i32_e32 v6, 31, v9
	v_mul_lo_u32 v7, v9, s5
	v_mad_u64_u32 v[4:5], null, v9, s4, 0
	v_cmp_le_i32_e64 s1, v9, v10
	v_mul_lo_u32 v6, v6, s4
	s_delay_alu instid0(VALU_DEP_2) | instskip(NEXT) | instid1(VALU_DEP_1)
	s_and_b32 s1, s1, vcc_lo
	v_add3_u32 v5, v5, v7, v6
	s_delay_alu instid0(VALU_DEP_1) | instskip(NEXT) | instid1(VALU_DEP_1)
	v_lshlrev_b64 v[4:5], 4, v[4:5]
	v_add_co_u32 v6, s2, s3, v4
	s_delay_alu instid0(VALU_DEP_1)
	v_add_co_ci_u32_e64 v7, s2, s6, v5, s2
	s_and_saveexec_b32 s2, s1
	s_cbranch_execz .LBB1331_9
; %bb.8:
	v_ashrrev_i32_e32 v11, 31, v10
	v_cmp_ne_u32_e32 vcc_lo, v9, v10
	v_xor_b32_e32 v3, 0x80000000, v3
	s_delay_alu instid0(VALU_DEP_3) | instskip(SKIP_2) | instid1(VALU_DEP_3)
	v_lshlrev_b64 v[16:17], 4, v[10:11]
	v_cndmask_b32_e64 v5, 0, -v15, vcc_lo
	v_cndmask_b32_e32 v4, 0, v14, vcc_lo
	v_add_co_u32 v15, s1, v6, v16
	s_delay_alu instid0(VALU_DEP_1)
	v_add_co_ci_u32_e64 v16, s1, v7, v17, s1
	global_store_b128 v[15:16], v[2:5], off
.LBB1331_9:
	s_or_b32 exec_lo, exec_lo, s2
	v_cmp_le_i32_e32 vcc_lo, v9, v8
	s_and_b32 s0, vcc_lo, s0
	s_delay_alu instid0(SALU_CYCLE_1)
	s_and_saveexec_b32 s1, s0
	s_cbranch_execz .LBB1331_11
; %bb.10:
	v_ashrrev_i32_e32 v9, 31, v8
	v_cmp_ne_u32_e32 vcc_lo, v21, v10
	v_xor_b32_e32 v1, 0x80000000, v1
	s_delay_alu instid0(VALU_DEP_3) | instskip(SKIP_2) | instid1(VALU_DEP_3)
	v_lshlrev_b64 v[4:5], 4, v[8:9]
	v_cndmask_b32_e64 v3, 0, -v13, vcc_lo
	v_cndmask_b32_e32 v2, 0, v12, vcc_lo
	v_add_co_u32 v4, s0, v6, v4
	s_delay_alu instid0(VALU_DEP_1)
	v_add_co_ci_u32_e64 v5, s0, v7, v5, s0
	global_store_b128 v[4:5], v[0:3], off
.LBB1331_11:
	s_nop 0
	s_sendmsg sendmsg(MSG_DEALLOC_VGPRS)
	s_endpgm
	.section	.rodata,"a",@progbits
	.p2align	6, 0x0
	.amdhsa_kernel _ZL37rocblas_syrkx_herkx_restricted_kernelIl19rocblas_complex_numIdELi16ELi32ELi8ELin1ELi0ELb1ELc78ELc76EKS1_S1_EviT_PT9_S3_lS5_S3_lPT10_S3_li
		.amdhsa_group_segment_fixed_size 8192
		.amdhsa_private_segment_fixed_size 0
		.amdhsa_kernarg_size 92
		.amdhsa_user_sgpr_count 13
		.amdhsa_user_sgpr_dispatch_ptr 0
		.amdhsa_user_sgpr_queue_ptr 0
		.amdhsa_user_sgpr_kernarg_segment_ptr 1
		.amdhsa_user_sgpr_dispatch_id 0
		.amdhsa_user_sgpr_private_segment_size 0
		.amdhsa_wavefront_size32 1
		.amdhsa_uses_dynamic_stack 0
		.amdhsa_enable_private_segment 0
		.amdhsa_system_sgpr_workgroup_id_x 1
		.amdhsa_system_sgpr_workgroup_id_y 1
		.amdhsa_system_sgpr_workgroup_id_z 1
		.amdhsa_system_sgpr_workgroup_info 0
		.amdhsa_system_vgpr_workitem_id 1
		.amdhsa_next_free_vgpr 118
		.amdhsa_next_free_sgpr 32
		.amdhsa_reserve_vcc 1
		.amdhsa_float_round_mode_32 0
		.amdhsa_float_round_mode_16_64 0
		.amdhsa_float_denorm_mode_32 3
		.amdhsa_float_denorm_mode_16_64 3
		.amdhsa_dx10_clamp 1
		.amdhsa_ieee_mode 1
		.amdhsa_fp16_overflow 0
		.amdhsa_workgroup_processor_mode 1
		.amdhsa_memory_ordered 1
		.amdhsa_forward_progress 0
		.amdhsa_shared_vgpr_count 0
		.amdhsa_exception_fp_ieee_invalid_op 0
		.amdhsa_exception_fp_denorm_src 0
		.amdhsa_exception_fp_ieee_div_zero 0
		.amdhsa_exception_fp_ieee_overflow 0
		.amdhsa_exception_fp_ieee_underflow 0
		.amdhsa_exception_fp_ieee_inexact 0
		.amdhsa_exception_int_div_zero 0
	.end_amdhsa_kernel
	.section	.text._ZL37rocblas_syrkx_herkx_restricted_kernelIl19rocblas_complex_numIdELi16ELi32ELi8ELin1ELi0ELb1ELc78ELc76EKS1_S1_EviT_PT9_S3_lS5_S3_lPT10_S3_li,"axG",@progbits,_ZL37rocblas_syrkx_herkx_restricted_kernelIl19rocblas_complex_numIdELi16ELi32ELi8ELin1ELi0ELb1ELc78ELc76EKS1_S1_EviT_PT9_S3_lS5_S3_lPT10_S3_li,comdat
.Lfunc_end1331:
	.size	_ZL37rocblas_syrkx_herkx_restricted_kernelIl19rocblas_complex_numIdELi16ELi32ELi8ELin1ELi0ELb1ELc78ELc76EKS1_S1_EviT_PT9_S3_lS5_S3_lPT10_S3_li, .Lfunc_end1331-_ZL37rocblas_syrkx_herkx_restricted_kernelIl19rocblas_complex_numIdELi16ELi32ELi8ELin1ELi0ELb1ELc78ELc76EKS1_S1_EviT_PT9_S3_lS5_S3_lPT10_S3_li
                                        ; -- End function
	.section	.AMDGPU.csdata,"",@progbits
; Kernel info:
; codeLenInByte = 3092
; NumSgprs: 34
; NumVgprs: 118
; ScratchSize: 0
; MemoryBound: 0
; FloatMode: 240
; IeeeMode: 1
; LDSByteSize: 8192 bytes/workgroup (compile time only)
; SGPRBlocks: 4
; VGPRBlocks: 14
; NumSGPRsForWavesPerEU: 34
; NumVGPRsForWavesPerEU: 118
; Occupancy: 12
; WaveLimiterHint : 1
; COMPUTE_PGM_RSRC2:SCRATCH_EN: 0
; COMPUTE_PGM_RSRC2:USER_SGPR: 13
; COMPUTE_PGM_RSRC2:TRAP_HANDLER: 0
; COMPUTE_PGM_RSRC2:TGID_X_EN: 1
; COMPUTE_PGM_RSRC2:TGID_Y_EN: 1
; COMPUTE_PGM_RSRC2:TGID_Z_EN: 1
; COMPUTE_PGM_RSRC2:TIDIG_COMP_CNT: 1
	.section	.text._ZL37rocblas_syrkx_herkx_restricted_kernelIl19rocblas_complex_numIdELi16ELi32ELi8ELin1ELi0ELb1ELc84ELc85EKS1_S1_EviT_PT9_S3_lS5_S3_lPT10_S3_li,"axG",@progbits,_ZL37rocblas_syrkx_herkx_restricted_kernelIl19rocblas_complex_numIdELi16ELi32ELi8ELin1ELi0ELb1ELc84ELc85EKS1_S1_EviT_PT9_S3_lS5_S3_lPT10_S3_li,comdat
	.globl	_ZL37rocblas_syrkx_herkx_restricted_kernelIl19rocblas_complex_numIdELi16ELi32ELi8ELin1ELi0ELb1ELc84ELc85EKS1_S1_EviT_PT9_S3_lS5_S3_lPT10_S3_li ; -- Begin function _ZL37rocblas_syrkx_herkx_restricted_kernelIl19rocblas_complex_numIdELi16ELi32ELi8ELin1ELi0ELb1ELc84ELc85EKS1_S1_EviT_PT9_S3_lS5_S3_lPT10_S3_li
	.p2align	8
	.type	_ZL37rocblas_syrkx_herkx_restricted_kernelIl19rocblas_complex_numIdELi16ELi32ELi8ELin1ELi0ELb1ELc84ELc85EKS1_S1_EviT_PT9_S3_lS5_S3_lPT10_S3_li,@function
_ZL37rocblas_syrkx_herkx_restricted_kernelIl19rocblas_complex_numIdELi16ELi32ELi8ELin1ELi0ELb1ELc84ELc85EKS1_S1_EviT_PT9_S3_lS5_S3_lPT10_S3_li: ; @_ZL37rocblas_syrkx_herkx_restricted_kernelIl19rocblas_complex_numIdELi16ELi32ELi8ELin1ELi0ELb1ELc84ELc85EKS1_S1_EviT_PT9_S3_lS5_S3_lPT10_S3_li
; %bb.0:
	s_load_b512 s[16:31], s[0:1], 0x8
	v_mov_b32_e32 v6, 0
	v_dual_mov_b32 v7, 0 :: v_dual_and_b32 v20, 0x3ff, v0
	v_bfe_u32 v21, v0, 10, 10
	s_delay_alu instid0(VALU_DEP_3) | instskip(NEXT) | instid1(VALU_DEP_3)
	v_mov_b32_e32 v4, v6
	v_dual_mov_b32 v2, v6 :: v_dual_mov_b32 v3, v7
	v_dual_mov_b32 v19, v7 :: v_dual_mov_b32 v18, v6
	v_mov_b32_e32 v5, v7
	v_dual_mov_b32 v17, v7 :: v_dual_mov_b32 v16, v6
	v_dual_mov_b32 v15, v7 :: v_dual_mov_b32 v14, v6
	;; [unrolled: 1-line block ×4, first 2 shown]
	s_lshl_b32 s8, s13, 5
	s_waitcnt lgkmcnt(0)
	v_cmp_lt_i64_e64 s2, s[16:17], 1
	s_lshl_b32 s9, s14, 5
	s_delay_alu instid0(VALU_DEP_1)
	s_and_b32 vcc_lo, exec_lo, s2
	s_cbranch_vccnz .LBB1332_3
; %bb.1:
	v_lshl_add_u32 v2, v21, 4, v20
	v_dual_mov_b32 v1, 0 :: v_dual_and_b32 v0, 7, v20
	v_lshlrev_b32_e32 v22, 4, v20
	s_mul_i32 s3, s23, s15
	s_delay_alu instid0(VALU_DEP_3)
	v_and_b32_e32 v8, 31, v2
	v_lshrrev_b32_e32 v9, 3, v2
	v_lshrrev_b32_e32 v2, 5, v2
	v_mov_b32_e32 v3, v1
	v_lshlrev_b32_e32 v11, 4, v0
	v_add_nc_u32_e32 v6, s8, v8
	v_add_nc_u32_e32 v10, s9, v9
	s_mul_hi_u32 s4, s22, s15
	s_mul_i32 s2, s22, s15
	s_add_i32 s3, s4, s3
	v_ashrrev_i32_e32 v7, 31, v6
	v_ashrrev_i32_e32 v12, 31, v10
	v_mad_u64_u32 v[4:5], null, s20, v6, v[2:3]
	v_mul_lo_u32 v3, s21, v6
	s_delay_alu instid0(VALU_DEP_4)
	v_mul_lo_u32 v13, s20, v7
	v_mul_lo_u32 v14, v10, s27
	v_mad_u64_u32 v[6:7], null, v10, s26, v[0:1]
	v_mul_lo_u32 v0, v12, s26
	s_lshl_b64 s[2:3], s[2:3], 4
	s_mul_hi_u32 s5, s28, s15
	s_add_u32 s4, s18, s2
	s_delay_alu instid0(VALU_DEP_4)
	v_add3_u32 v5, v3, v5, v13
	v_mov_b32_e32 v12, 0
	v_mov_b32_e32 v13, 0
	v_lshlrev_b32_e32 v1, 4, v8
	v_add3_u32 v7, v0, v7, v14
	s_mul_i32 s2, s29, s15
	s_addc_u32 s6, s19, s3
	v_dual_mov_b32 v15, v13 :: v_dual_mov_b32 v14, v12
	v_lshl_or_b32 v23, v2, 9, v1
	v_lshlrev_b64 v[0:1], 4, v[4:5]
	s_add_i32 s3, s5, s2
	s_mul_i32 s2, s28, s15
	v_lshlrev_b64 v[2:3], 4, v[6:7]
	s_lshl_b64 s[2:3], s[2:3], 4
	v_lshl_or_b32 v8, v9, 7, v11
	v_add_co_u32 v0, vcc_lo, s4, v0
	s_add_u32 s2, s24, s2
	v_add_co_ci_u32_e32 v1, vcc_lo, s6, v1, vcc_lo
	s_addc_u32 s3, s25, s3
	v_add_co_u32 v2, vcc_lo, s2, v2
	v_add_co_ci_u32_e32 v3, vcc_lo, s3, v3, vcc_lo
	v_add_nc_u32_e32 v24, 0x1000, v8
	v_add_co_u32 v8, vcc_lo, v0, 8
	v_add_co_ci_u32_e32 v9, vcc_lo, 0, v1, vcc_lo
	v_add_co_u32 v10, vcc_lo, v2, 8
	v_dual_mov_b32 v0, v12 :: v_dual_mov_b32 v17, v13
	v_add_co_ci_u32_e32 v11, vcc_lo, 0, v3, vcc_lo
	v_mov_b32_e32 v2, v12
	v_dual_mov_b32 v16, v12 :: v_dual_mov_b32 v19, v13
	v_mov_b32_e32 v4, v12
	v_dual_mov_b32 v6, v12 :: v_dual_mov_b32 v7, v13
	v_lshl_add_u32 v25, v21, 7, 0x1000
	v_mov_b32_e32 v1, v13
	v_mov_b32_e32 v3, v13
	v_dual_mov_b32 v5, v13 :: v_dual_mov_b32 v18, v12
	s_mov_b64 s[2:3], 0
.LBB1332_2:                             ; =>This Inner Loop Header: Depth=1
	global_load_b128 v[26:29], v[8:9], off offset:-8
	global_load_b128 v[30:33], v[10:11], off offset:-8
	s_add_u32 s2, s2, 8
	v_add_co_u32 v8, vcc_lo, 0x80, v8
	s_addc_u32 s3, s3, 0
	v_add_co_ci_u32_e32 v9, vcc_lo, 0, v9, vcc_lo
	v_cmp_ge_u64_e64 s4, s[2:3], s[16:17]
	v_add_co_u32 v10, vcc_lo, 0x80, v10
	v_add_co_ci_u32_e32 v11, vcc_lo, 0, v11, vcc_lo
	s_waitcnt vmcnt(1)
	ds_store_b128 v23, v[26:29]
	s_waitcnt vmcnt(0)
	ds_store_b128 v24, v[30:33]
	s_waitcnt lgkmcnt(0)
	s_barrier
	buffer_gl0_inv
	ds_load_b128 v[26:29], v25
	ds_load_b128 v[30:33], v22
	ds_load_b128 v[34:37], v22 offset:256
	ds_load_b128 v[38:41], v25 offset:2048
	;; [unrolled: 1-line block ×13, first 2 shown]
	s_and_b32 vcc_lo, exec_lo, s4
	s_waitcnt lgkmcnt(13)
	v_mul_f64 v[86:87], v[28:29], v[32:33]
	v_mul_f64 v[88:89], v[26:27], v[32:33]
	s_waitcnt lgkmcnt(12)
	v_mul_f64 v[90:91], v[28:29], v[36:37]
	v_mul_f64 v[92:93], v[26:27], v[36:37]
	;; [unrolled: 3-line block ×3, first 2 shown]
	v_mul_f64 v[96:97], v[40:41], v[36:37]
	v_mul_f64 v[36:37], v[38:39], v[36:37]
	s_waitcnt lgkmcnt(8)
	v_mul_f64 v[98:99], v[44:45], v[52:53]
	v_mul_f64 v[100:101], v[42:43], v[52:53]
	s_waitcnt lgkmcnt(7)
	v_mul_f64 v[102:103], v[44:45], v[56:57]
	v_mul_f64 v[104:105], v[42:43], v[56:57]
	;; [unrolled: 1-line block ×6, first 2 shown]
	s_waitcnt lgkmcnt(3)
	v_mul_f64 v[112:113], v[58:59], v[72:73]
	s_waitcnt lgkmcnt(2)
	v_mul_f64 v[114:115], v[76:77], v[68:69]
	v_mul_f64 v[116:117], v[76:77], v[72:73]
	v_fma_f64 v[86:87], v[26:27], v[30:31], -v[86:87]
	v_fma_f64 v[88:89], v[28:29], v[30:31], v[88:89]
	v_fma_f64 v[90:91], v[26:27], v[34:35], -v[90:91]
	v_fma_f64 v[92:93], v[28:29], v[34:35], v[92:93]
	;; [unrolled: 2-line block ×4, first 2 shown]
	v_mul_f64 v[36:37], v[60:61], v[68:69]
	v_mul_f64 v[40:41], v[58:59], v[68:69]
	;; [unrolled: 1-line block ×5, first 2 shown]
	v_fma_f64 v[98:99], v[42:43], v[50:51], -v[98:99]
	v_fma_f64 v[100:101], v[44:45], v[50:51], v[100:101]
	v_fma_f64 v[42:43], v[42:43], v[54:55], -v[102:103]
	v_fma_f64 v[44:45], v[44:45], v[54:55], v[104:105]
	v_fma_f64 v[102:103], v[46:47], v[50:51], -v[106:107]
	v_fma_f64 v[50:51], v[48:49], v[50:51], v[52:53]
	v_fma_f64 v[46:47], v[46:47], v[54:55], -v[108:109]
	v_fma_f64 v[48:49], v[48:49], v[54:55], v[56:57]
	ds_load_b128 v[26:29], v22 offset:1792
	ds_load_b128 v[30:33], v22 offset:2048
	v_add_f64 v[52:53], v[6:7], v[86:87]
	v_add_f64 v[18:19], v[18:19], v[88:89]
	;; [unrolled: 1-line block ×8, first 2 shown]
	s_waitcnt lgkmcnt(2)
	v_mul_f64 v[86:87], v[64:65], v[84:85]
	v_mul_f64 v[88:89], v[62:63], v[84:85]
	s_waitcnt lgkmcnt(1)
	v_mul_f64 v[90:91], v[64:65], v[28:29]
	v_mul_f64 v[92:93], v[62:63], v[28:29]
	;; [unrolled: 1-line block ×6, first 2 shown]
	v_fma_f64 v[106:107], v[58:59], v[66:67], -v[36:37]
	v_fma_f64 v[108:109], v[60:61], v[66:67], v[40:41]
	v_fma_f64 v[58:59], v[58:59], v[70:71], -v[96:97]
	v_fma_f64 v[60:61], v[60:61], v[70:71], v[112:113]
	;; [unrolled: 2-line block ×4, first 2 shown]
	ds_load_b128 v[0:3], v22 offset:2304
	ds_load_b128 v[4:7], v25 offset:64
	v_add_f64 v[52:53], v[52:53], v[98:99]
	v_add_f64 v[72:73], v[18:19], v[100:101]
	;; [unrolled: 1-line block ×8, first 2 shown]
	ds_load_b128 v[12:15], v25 offset:2112
	ds_load_b128 v[16:19], v25 offset:80
	;; [unrolled: 1-line block ×4, first 2 shown]
	s_waitcnt lgkmcnt(4)
	v_mul_f64 v[56:57], v[6:7], v[32:33]
	v_mul_f64 v[74:75], v[4:5], v[32:33]
	;; [unrolled: 1-line block ×4, first 2 shown]
	v_fma_f64 v[86:87], v[62:63], v[82:83], -v[86:87]
	v_fma_f64 v[88:89], v[64:65], v[82:83], v[88:89]
	v_fma_f64 v[62:63], v[62:63], v[26:27], -v[90:91]
	v_fma_f64 v[64:65], v[64:65], v[26:27], v[92:93]
	;; [unrolled: 2-line block ×4, first 2 shown]
	s_waitcnt lgkmcnt(3)
	v_mul_f64 v[100:101], v[14:15], v[32:33]
	v_mul_f64 v[32:33], v[12:13], v[32:33]
	;; [unrolled: 1-line block ×4, first 2 shown]
	s_waitcnt lgkmcnt(0)
	v_mul_f64 v[92:93], v[18:19], v[40:41]
	v_mul_f64 v[94:95], v[16:17], v[40:41]
	v_add_f64 v[84:85], v[52:53], v[106:107]
	v_add_f64 v[72:73], v[72:73], v[108:109]
	;; [unrolled: 1-line block ×8, first 2 shown]
	ds_load_b128 v[26:29], v22 offset:2816
	ds_load_b128 v[42:45], v22 offset:3072
	;; [unrolled: 1-line block ×4, first 2 shown]
	v_mul_f64 v[106:107], v[36:37], v[40:41]
	v_mul_f64 v[40:41], v[34:35], v[40:41]
	v_fma_f64 v[56:57], v[4:5], v[30:31], -v[56:57]
	v_fma_f64 v[74:75], v[6:7], v[30:31], v[74:75]
	v_fma_f64 v[76:77], v[4:5], v[0:1], -v[76:77]
	v_fma_f64 v[98:99], v[6:7], v[0:1], v[98:99]
	s_waitcnt lgkmcnt(3)
	v_mul_f64 v[96:97], v[18:19], v[28:29]
	v_mul_f64 v[104:105], v[16:17], v[28:29]
	;; [unrolled: 1-line block ×4, first 2 shown]
	v_fma_f64 v[100:101], v[12:13], v[30:31], -v[100:101]
	v_fma_f64 v[32:33], v[14:15], v[30:31], v[32:33]
	v_fma_f64 v[102:103], v[12:13], v[0:1], -v[102:103]
	v_fma_f64 v[112:113], v[14:15], v[0:1], v[2:3]
	ds_load_b128 v[0:3], v25 offset:2144
	ds_load_b128 v[4:7], v25 offset:112
	;; [unrolled: 1-line block ×4, first 2 shown]
	v_add_f64 v[84:85], v[84:85], v[86:87]
	v_add_f64 v[72:73], v[72:73], v[88:89]
	;; [unrolled: 1-line block ×8, first 2 shown]
	s_waitcnt lgkmcnt(4)
	v_mul_f64 v[68:69], v[52:53], v[44:45]
	v_mul_f64 v[70:71], v[50:51], v[44:45]
	;; [unrolled: 1-line block ×4, first 2 shown]
	s_waitcnt lgkmcnt(3)
	v_mul_f64 v[82:83], v[2:3], v[44:45]
	v_mul_f64 v[44:45], v[0:1], v[44:45]
	;; [unrolled: 1-line block ×4, first 2 shown]
	v_fma_f64 v[88:89], v[16:17], v[38:39], -v[92:93]
	v_fma_f64 v[90:91], v[18:19], v[38:39], v[94:95]
	v_fma_f64 v[92:93], v[16:17], v[26:27], -v[96:97]
	v_fma_f64 v[94:95], v[18:19], v[26:27], v[104:105]
	;; [unrolled: 2-line block ×4, first 2 shown]
	ds_load_b128 v[16:19], v22 offset:3840
	s_waitcnt lgkmcnt(0)
	s_barrier
	buffer_gl0_inv
	v_add_f64 v[36:37], v[84:85], v[56:57]
	v_add_f64 v[40:41], v[72:73], v[74:75]
	v_add_f64 v[56:57], v[58:59], v[76:77]
	v_add_f64 v[58:59], v[60:61], v[98:99]
	v_add_f64 v[54:55], v[54:55], v[100:101]
	v_add_f64 v[32:33], v[62:63], v[32:33]
	v_add_f64 v[60:61], v[64:65], v[102:103]
	v_add_f64 v[62:63], v[66:67], v[112:113]
	v_mul_f64 v[64:65], v[6:7], v[30:31]
	v_mul_f64 v[66:67], v[4:5], v[30:31]
	;; [unrolled: 1-line block ×4, first 2 shown]
	v_fma_f64 v[68:69], v[50:51], v[42:43], -v[68:69]
	v_mul_f64 v[72:73], v[6:7], v[18:19]
	v_mul_f64 v[74:75], v[4:5], v[18:19]
	;; [unrolled: 1-line block ×4, first 2 shown]
	v_fma_f64 v[70:71], v[52:53], v[42:43], v[70:71]
	v_fma_f64 v[50:51], v[50:51], v[46:47], -v[78:79]
	v_fma_f64 v[52:53], v[52:53], v[46:47], v[80:81]
	v_fma_f64 v[78:79], v[0:1], v[42:43], -v[82:83]
	;; [unrolled: 2-line block ×3, first 2 shown]
	v_fma_f64 v[2:3], v[2:3], v[46:47], v[48:49]
	v_add_f64 v[36:37], v[36:37], v[88:89]
	v_add_f64 v[40:41], v[40:41], v[90:91]
	;; [unrolled: 1-line block ×8, first 2 shown]
	v_fma_f64 v[38:39], v[4:5], v[28:29], -v[64:65]
	v_fma_f64 v[54:55], v[6:7], v[28:29], v[66:67]
	v_fma_f64 v[58:59], v[12:13], v[28:29], -v[76:77]
	v_fma_f64 v[28:29], v[14:15], v[28:29], v[30:31]
	;; [unrolled: 2-line block ×4, first 2 shown]
	v_add_f64 v[6:7], v[36:37], v[68:69]
	v_add_f64 v[14:15], v[40:41], v[70:71]
	;; [unrolled: 1-line block ×16, first 2 shown]
	s_cbranch_vccz .LBB1332_2
.LBB1332_3:
	s_clause 0x1
	s_load_b128 s[4:7], s[0:1], 0x48
	s_load_b32 s2, s[0:1], 0x0
	v_add_nc_u32_e32 v21, s9, v21
	v_add_nc_u32_e32 v10, s8, v20
	s_delay_alu instid0(VALU_DEP_2) | instskip(NEXT) | instid1(VALU_DEP_2)
	v_ashrrev_i32_e32 v8, 31, v21
	v_cmp_le_i32_e64 s0, v10, v21
	s_waitcnt lgkmcnt(0)
	s_delay_alu instid0(VALU_DEP_2)
	v_mul_lo_u32 v11, v8, s4
	v_mul_lo_u32 v22, v21, s5
	v_mad_u64_u32 v[8:9], null, v21, s4, 0
	s_mul_i32 s1, s15, s7
	s_mul_hi_u32 s3, s15, s6
	s_mul_i32 s6, s15, s6
	s_add_i32 s7, s3, s1
	v_cmp_gt_i32_e32 vcc_lo, s2, v21
	s_lshl_b64 s[6:7], s[6:7], 4
	s_delay_alu instid0(VALU_DEP_2) | instskip(SKIP_3) | instid1(VALU_DEP_1)
	v_add3_u32 v9, v9, v22, v11
	s_add_u32 s3, s30, s6
	s_addc_u32 s6, s31, s7
	s_and_b32 s0, vcc_lo, s0
	v_lshlrev_b64 v[8:9], 4, v[8:9]
	s_delay_alu instid0(VALU_DEP_1) | instskip(NEXT) | instid1(VALU_DEP_1)
	v_add_co_u32 v20, s1, s3, v8
	v_add_co_ci_u32_e64 v22, s1, s6, v9, s1
	s_and_saveexec_b32 s7, s0
	s_cbranch_execz .LBB1332_5
; %bb.4:
	v_ashrrev_i32_e32 v11, 31, v10
	v_cmp_ne_u32_e64 s0, v21, v10
	v_xor_b32_e32 v7, 0x80000000, v7
	s_delay_alu instid0(VALU_DEP_3) | instskip(NEXT) | instid1(VALU_DEP_3)
	v_lshlrev_b64 v[23:24], 4, v[10:11]
	v_cndmask_b32_e64 v9, 0, -v19, s0
	v_cndmask_b32_e64 v8, 0, v18, s0
	s_delay_alu instid0(VALU_DEP_3) | instskip(NEXT) | instid1(VALU_DEP_1)
	v_add_co_u32 v23, s1, v20, v23
	v_add_co_ci_u32_e64 v24, s1, v22, v24, s1
	global_store_b128 v[23:24], v[6:9], off
.LBB1332_5:
	s_or_b32 exec_lo, exec_lo, s7
	v_add_nc_u32_e32 v8, 16, v10
	s_delay_alu instid0(VALU_DEP_1) | instskip(NEXT) | instid1(VALU_DEP_1)
	v_cmp_le_i32_e64 s0, v8, v21
	s_and_b32 s0, vcc_lo, s0
	s_delay_alu instid0(SALU_CYCLE_1)
	s_and_saveexec_b32 s1, s0
	s_cbranch_execz .LBB1332_7
; %bb.6:
	v_ashrrev_i32_e32 v9, 31, v8
	v_cmp_ne_u32_e32 vcc_lo, v21, v8
	v_xor_b32_e32 v5, 0x80000000, v5
	s_delay_alu instid0(VALU_DEP_3) | instskip(SKIP_2) | instid1(VALU_DEP_3)
	v_lshlrev_b64 v[18:19], 4, v[8:9]
	v_cndmask_b32_e64 v7, 0, -v17, vcc_lo
	v_cndmask_b32_e32 v6, 0, v16, vcc_lo
	v_add_co_u32 v17, s0, v20, v18
	s_delay_alu instid0(VALU_DEP_1)
	v_add_co_ci_u32_e64 v18, s0, v22, v19, s0
	global_store_b128 v[17:18], v[4:7], off
.LBB1332_7:
	s_or_b32 exec_lo, exec_lo, s1
	v_add_nc_u32_e32 v9, 16, v21
	s_delay_alu instid0(VALU_DEP_1) | instskip(SKIP_3) | instid1(VALU_DEP_4)
	v_ashrrev_i32_e32 v6, 31, v9
	v_mul_lo_u32 v7, v9, s5
	v_mad_u64_u32 v[4:5], null, v9, s4, 0
	v_cmp_gt_i32_e32 vcc_lo, s2, v9
	v_mul_lo_u32 v6, v6, s4
	v_cmp_le_i32_e64 s0, v10, v9
	s_delay_alu instid0(VALU_DEP_1) | instskip(NEXT) | instid1(VALU_DEP_2)
	s_and_b32 s0, vcc_lo, s0
	v_add3_u32 v5, v5, v7, v6
	s_delay_alu instid0(VALU_DEP_1) | instskip(NEXT) | instid1(VALU_DEP_1)
	v_lshlrev_b64 v[4:5], 4, v[4:5]
	v_add_co_u32 v6, s1, s3, v4
	s_delay_alu instid0(VALU_DEP_1)
	v_add_co_ci_u32_e64 v7, s1, s6, v5, s1
	s_and_saveexec_b32 s2, s0
	s_cbranch_execz .LBB1332_9
; %bb.8:
	v_ashrrev_i32_e32 v11, 31, v10
	v_cmp_ne_u32_e64 s0, v9, v10
	v_xor_b32_e32 v3, 0x80000000, v3
	s_delay_alu instid0(VALU_DEP_3) | instskip(NEXT) | instid1(VALU_DEP_3)
	v_lshlrev_b64 v[16:17], 4, v[10:11]
	v_cndmask_b32_e64 v5, 0, -v15, s0
	v_cndmask_b32_e64 v4, 0, v14, s0
	s_delay_alu instid0(VALU_DEP_3) | instskip(NEXT) | instid1(VALU_DEP_1)
	v_add_co_u32 v15, s1, v6, v16
	v_add_co_ci_u32_e64 v16, s1, v7, v17, s1
	global_store_b128 v[15:16], v[2:5], off
.LBB1332_9:
	s_or_b32 exec_lo, exec_lo, s2
	v_cmp_le_i32_e64 s0, v8, v9
	s_delay_alu instid0(VALU_DEP_1) | instskip(NEXT) | instid1(SALU_CYCLE_1)
	s_and_b32 s0, vcc_lo, s0
	s_and_saveexec_b32 s1, s0
	s_cbranch_execz .LBB1332_11
; %bb.10:
	v_ashrrev_i32_e32 v9, 31, v8
	v_cmp_ne_u32_e32 vcc_lo, v21, v10
	v_xor_b32_e32 v1, 0x80000000, v1
	s_delay_alu instid0(VALU_DEP_3) | instskip(SKIP_2) | instid1(VALU_DEP_3)
	v_lshlrev_b64 v[4:5], 4, v[8:9]
	v_cndmask_b32_e64 v3, 0, -v13, vcc_lo
	v_cndmask_b32_e32 v2, 0, v12, vcc_lo
	v_add_co_u32 v4, s0, v6, v4
	s_delay_alu instid0(VALU_DEP_1)
	v_add_co_ci_u32_e64 v5, s0, v7, v5, s0
	global_store_b128 v[4:5], v[0:3], off
.LBB1332_11:
	s_nop 0
	s_sendmsg sendmsg(MSG_DEALLOC_VGPRS)
	s_endpgm
	.section	.rodata,"a",@progbits
	.p2align	6, 0x0
	.amdhsa_kernel _ZL37rocblas_syrkx_herkx_restricted_kernelIl19rocblas_complex_numIdELi16ELi32ELi8ELin1ELi0ELb1ELc84ELc85EKS1_S1_EviT_PT9_S3_lS5_S3_lPT10_S3_li
		.amdhsa_group_segment_fixed_size 8192
		.amdhsa_private_segment_fixed_size 0
		.amdhsa_kernarg_size 92
		.amdhsa_user_sgpr_count 13
		.amdhsa_user_sgpr_dispatch_ptr 0
		.amdhsa_user_sgpr_queue_ptr 0
		.amdhsa_user_sgpr_kernarg_segment_ptr 1
		.amdhsa_user_sgpr_dispatch_id 0
		.amdhsa_user_sgpr_private_segment_size 0
		.amdhsa_wavefront_size32 1
		.amdhsa_uses_dynamic_stack 0
		.amdhsa_enable_private_segment 0
		.amdhsa_system_sgpr_workgroup_id_x 1
		.amdhsa_system_sgpr_workgroup_id_y 1
		.amdhsa_system_sgpr_workgroup_id_z 1
		.amdhsa_system_sgpr_workgroup_info 0
		.amdhsa_system_vgpr_workitem_id 1
		.amdhsa_next_free_vgpr 118
		.amdhsa_next_free_sgpr 32
		.amdhsa_reserve_vcc 1
		.amdhsa_float_round_mode_32 0
		.amdhsa_float_round_mode_16_64 0
		.amdhsa_float_denorm_mode_32 3
		.amdhsa_float_denorm_mode_16_64 3
		.amdhsa_dx10_clamp 1
		.amdhsa_ieee_mode 1
		.amdhsa_fp16_overflow 0
		.amdhsa_workgroup_processor_mode 1
		.amdhsa_memory_ordered 1
		.amdhsa_forward_progress 0
		.amdhsa_shared_vgpr_count 0
		.amdhsa_exception_fp_ieee_invalid_op 0
		.amdhsa_exception_fp_denorm_src 0
		.amdhsa_exception_fp_ieee_div_zero 0
		.amdhsa_exception_fp_ieee_overflow 0
		.amdhsa_exception_fp_ieee_underflow 0
		.amdhsa_exception_fp_ieee_inexact 0
		.amdhsa_exception_int_div_zero 0
	.end_amdhsa_kernel
	.section	.text._ZL37rocblas_syrkx_herkx_restricted_kernelIl19rocblas_complex_numIdELi16ELi32ELi8ELin1ELi0ELb1ELc84ELc85EKS1_S1_EviT_PT9_S3_lS5_S3_lPT10_S3_li,"axG",@progbits,_ZL37rocblas_syrkx_herkx_restricted_kernelIl19rocblas_complex_numIdELi16ELi32ELi8ELin1ELi0ELb1ELc84ELc85EKS1_S1_EviT_PT9_S3_lS5_S3_lPT10_S3_li,comdat
.Lfunc_end1332:
	.size	_ZL37rocblas_syrkx_herkx_restricted_kernelIl19rocblas_complex_numIdELi16ELi32ELi8ELin1ELi0ELb1ELc84ELc85EKS1_S1_EviT_PT9_S3_lS5_S3_lPT10_S3_li, .Lfunc_end1332-_ZL37rocblas_syrkx_herkx_restricted_kernelIl19rocblas_complex_numIdELi16ELi32ELi8ELin1ELi0ELb1ELc84ELc85EKS1_S1_EviT_PT9_S3_lS5_S3_lPT10_S3_li
                                        ; -- End function
	.section	.AMDGPU.csdata,"",@progbits
; Kernel info:
; codeLenInByte = 3096
; NumSgprs: 34
; NumVgprs: 118
; ScratchSize: 0
; MemoryBound: 0
; FloatMode: 240
; IeeeMode: 1
; LDSByteSize: 8192 bytes/workgroup (compile time only)
; SGPRBlocks: 4
; VGPRBlocks: 14
; NumSGPRsForWavesPerEU: 34
; NumVGPRsForWavesPerEU: 118
; Occupancy: 12
; WaveLimiterHint : 1
; COMPUTE_PGM_RSRC2:SCRATCH_EN: 0
; COMPUTE_PGM_RSRC2:USER_SGPR: 13
; COMPUTE_PGM_RSRC2:TRAP_HANDLER: 0
; COMPUTE_PGM_RSRC2:TGID_X_EN: 1
; COMPUTE_PGM_RSRC2:TGID_Y_EN: 1
; COMPUTE_PGM_RSRC2:TGID_Z_EN: 1
; COMPUTE_PGM_RSRC2:TIDIG_COMP_CNT: 1
	.section	.text._ZL37rocblas_syrkx_herkx_restricted_kernelIl19rocblas_complex_numIdELi16ELi32ELi8ELin1ELi0ELb1ELc67ELc85EKS1_S1_EviT_PT9_S3_lS5_S3_lPT10_S3_li,"axG",@progbits,_ZL37rocblas_syrkx_herkx_restricted_kernelIl19rocblas_complex_numIdELi16ELi32ELi8ELin1ELi0ELb1ELc67ELc85EKS1_S1_EviT_PT9_S3_lS5_S3_lPT10_S3_li,comdat
	.globl	_ZL37rocblas_syrkx_herkx_restricted_kernelIl19rocblas_complex_numIdELi16ELi32ELi8ELin1ELi0ELb1ELc67ELc85EKS1_S1_EviT_PT9_S3_lS5_S3_lPT10_S3_li ; -- Begin function _ZL37rocblas_syrkx_herkx_restricted_kernelIl19rocblas_complex_numIdELi16ELi32ELi8ELin1ELi0ELb1ELc67ELc85EKS1_S1_EviT_PT9_S3_lS5_S3_lPT10_S3_li
	.p2align	8
	.type	_ZL37rocblas_syrkx_herkx_restricted_kernelIl19rocblas_complex_numIdELi16ELi32ELi8ELin1ELi0ELb1ELc67ELc85EKS1_S1_EviT_PT9_S3_lS5_S3_lPT10_S3_li,@function
_ZL37rocblas_syrkx_herkx_restricted_kernelIl19rocblas_complex_numIdELi16ELi32ELi8ELin1ELi0ELb1ELc67ELc85EKS1_S1_EviT_PT9_S3_lS5_S3_lPT10_S3_li: ; @_ZL37rocblas_syrkx_herkx_restricted_kernelIl19rocblas_complex_numIdELi16ELi32ELi8ELin1ELi0ELb1ELc67ELc85EKS1_S1_EviT_PT9_S3_lS5_S3_lPT10_S3_li
; %bb.0:
	s_load_b512 s[16:31], s[0:1], 0x8
	v_mov_b32_e32 v6, 0
	v_dual_mov_b32 v7, 0 :: v_dual_and_b32 v20, 0x3ff, v0
	v_bfe_u32 v21, v0, 10, 10
	s_delay_alu instid0(VALU_DEP_3) | instskip(NEXT) | instid1(VALU_DEP_3)
	v_mov_b32_e32 v4, v6
	v_dual_mov_b32 v2, v6 :: v_dual_mov_b32 v3, v7
	v_dual_mov_b32 v19, v7 :: v_dual_mov_b32 v18, v6
	v_mov_b32_e32 v5, v7
	v_dual_mov_b32 v17, v7 :: v_dual_mov_b32 v16, v6
	v_dual_mov_b32 v15, v7 :: v_dual_mov_b32 v14, v6
	;; [unrolled: 1-line block ×4, first 2 shown]
	s_lshl_b32 s8, s13, 5
	s_waitcnt lgkmcnt(0)
	v_cmp_lt_i64_e64 s2, s[16:17], 1
	s_lshl_b32 s9, s14, 5
	s_delay_alu instid0(VALU_DEP_1)
	s_and_b32 vcc_lo, exec_lo, s2
	s_cbranch_vccnz .LBB1333_3
; %bb.1:
	v_lshl_add_u32 v2, v21, 4, v20
	v_dual_mov_b32 v1, 0 :: v_dual_and_b32 v0, 7, v20
	v_lshlrev_b32_e32 v22, 4, v20
	s_mul_i32 s3, s23, s15
	s_delay_alu instid0(VALU_DEP_3)
	v_and_b32_e32 v8, 31, v2
	v_lshrrev_b32_e32 v9, 3, v2
	v_lshrrev_b32_e32 v2, 5, v2
	v_mov_b32_e32 v3, v1
	v_lshlrev_b32_e32 v11, 4, v0
	v_add_nc_u32_e32 v6, s8, v8
	v_add_nc_u32_e32 v10, s9, v9
	s_mul_hi_u32 s4, s22, s15
	s_mul_i32 s2, s22, s15
	s_add_i32 s3, s4, s3
	v_ashrrev_i32_e32 v7, 31, v6
	v_ashrrev_i32_e32 v12, 31, v10
	v_mad_u64_u32 v[4:5], null, s20, v6, v[2:3]
	v_mul_lo_u32 v3, s21, v6
	s_delay_alu instid0(VALU_DEP_4)
	v_mul_lo_u32 v13, s20, v7
	v_mul_lo_u32 v14, v10, s27
	v_mad_u64_u32 v[6:7], null, v10, s26, v[0:1]
	v_mul_lo_u32 v0, v12, s26
	s_lshl_b64 s[2:3], s[2:3], 4
	s_mul_hi_u32 s5, s28, s15
	s_add_u32 s4, s18, s2
	s_delay_alu instid0(VALU_DEP_4)
	v_add3_u32 v5, v3, v5, v13
	v_mov_b32_e32 v12, 0
	v_mov_b32_e32 v13, 0
	v_lshlrev_b32_e32 v1, 4, v8
	v_add3_u32 v7, v0, v7, v14
	s_mul_i32 s2, s29, s15
	s_addc_u32 s6, s19, s3
	v_dual_mov_b32 v15, v13 :: v_dual_mov_b32 v14, v12
	v_lshl_or_b32 v23, v2, 9, v1
	v_lshlrev_b64 v[0:1], 4, v[4:5]
	s_add_i32 s3, s5, s2
	s_mul_i32 s2, s28, s15
	v_lshlrev_b64 v[2:3], 4, v[6:7]
	s_lshl_b64 s[2:3], s[2:3], 4
	v_lshl_or_b32 v8, v9, 7, v11
	v_add_co_u32 v0, vcc_lo, s4, v0
	s_add_u32 s2, s24, s2
	v_add_co_ci_u32_e32 v1, vcc_lo, s6, v1, vcc_lo
	s_addc_u32 s3, s25, s3
	v_add_co_u32 v2, vcc_lo, s2, v2
	v_add_co_ci_u32_e32 v3, vcc_lo, s3, v3, vcc_lo
	v_add_nc_u32_e32 v24, 0x1000, v8
	v_add_co_u32 v8, vcc_lo, v0, 8
	v_add_co_ci_u32_e32 v9, vcc_lo, 0, v1, vcc_lo
	v_add_co_u32 v10, vcc_lo, v2, 8
	v_dual_mov_b32 v0, v12 :: v_dual_mov_b32 v17, v13
	v_add_co_ci_u32_e32 v11, vcc_lo, 0, v3, vcc_lo
	v_mov_b32_e32 v2, v12
	v_dual_mov_b32 v16, v12 :: v_dual_mov_b32 v19, v13
	v_mov_b32_e32 v4, v12
	v_dual_mov_b32 v6, v12 :: v_dual_mov_b32 v7, v13
	v_lshl_add_u32 v25, v21, 7, 0x1000
	v_mov_b32_e32 v1, v13
	v_mov_b32_e32 v3, v13
	v_dual_mov_b32 v5, v13 :: v_dual_mov_b32 v18, v12
	s_mov_b64 s[2:3], 0
.LBB1333_2:                             ; =>This Inner Loop Header: Depth=1
	global_load_b128 v[26:29], v[8:9], off offset:-8
	global_load_b128 v[30:33], v[10:11], off offset:-8
	s_add_u32 s2, s2, 8
	v_add_co_u32 v8, vcc_lo, 0x80, v8
	s_addc_u32 s3, s3, 0
	v_add_co_ci_u32_e32 v9, vcc_lo, 0, v9, vcc_lo
	v_cmp_ge_u64_e64 s4, s[2:3], s[16:17]
	v_add_co_u32 v10, vcc_lo, 0x80, v10
	v_add_co_ci_u32_e32 v11, vcc_lo, 0, v11, vcc_lo
	s_delay_alu instid0(VALU_DEP_3)
	s_and_b32 vcc_lo, exec_lo, s4
	s_waitcnt vmcnt(1)
	v_xor_b32_e32 v29, 0x80000000, v29
	ds_store_b128 v23, v[26:29]
	s_waitcnt vmcnt(0)
	ds_store_b128 v24, v[30:33]
	s_waitcnt lgkmcnt(0)
	s_barrier
	buffer_gl0_inv
	ds_load_b128 v[26:29], v25
	ds_load_b128 v[30:33], v22
	ds_load_b128 v[34:37], v22 offset:256
	ds_load_b128 v[38:41], v25 offset:2048
	;; [unrolled: 1-line block ×13, first 2 shown]
	s_waitcnt lgkmcnt(13)
	v_mul_f64 v[86:87], v[28:29], v[32:33]
	v_mul_f64 v[88:89], v[26:27], v[32:33]
	s_waitcnt lgkmcnt(12)
	v_mul_f64 v[90:91], v[28:29], v[36:37]
	v_mul_f64 v[92:93], v[26:27], v[36:37]
	;; [unrolled: 3-line block ×3, first 2 shown]
	v_mul_f64 v[96:97], v[40:41], v[36:37]
	v_mul_f64 v[36:37], v[38:39], v[36:37]
	s_waitcnt lgkmcnt(8)
	v_mul_f64 v[98:99], v[44:45], v[52:53]
	v_mul_f64 v[100:101], v[42:43], v[52:53]
	s_waitcnt lgkmcnt(7)
	v_mul_f64 v[102:103], v[44:45], v[56:57]
	v_mul_f64 v[104:105], v[42:43], v[56:57]
	;; [unrolled: 1-line block ×6, first 2 shown]
	s_waitcnt lgkmcnt(3)
	v_mul_f64 v[112:113], v[58:59], v[72:73]
	s_waitcnt lgkmcnt(2)
	v_mul_f64 v[114:115], v[76:77], v[68:69]
	v_mul_f64 v[116:117], v[76:77], v[72:73]
	v_fma_f64 v[86:87], v[26:27], v[30:31], -v[86:87]
	v_fma_f64 v[88:89], v[28:29], v[30:31], v[88:89]
	v_fma_f64 v[90:91], v[26:27], v[34:35], -v[90:91]
	v_fma_f64 v[92:93], v[28:29], v[34:35], v[92:93]
	;; [unrolled: 2-line block ×4, first 2 shown]
	v_mul_f64 v[36:37], v[60:61], v[68:69]
	v_mul_f64 v[40:41], v[58:59], v[68:69]
	;; [unrolled: 1-line block ×5, first 2 shown]
	v_fma_f64 v[98:99], v[42:43], v[50:51], -v[98:99]
	v_fma_f64 v[100:101], v[44:45], v[50:51], v[100:101]
	v_fma_f64 v[42:43], v[42:43], v[54:55], -v[102:103]
	v_fma_f64 v[44:45], v[44:45], v[54:55], v[104:105]
	;; [unrolled: 2-line block ×4, first 2 shown]
	ds_load_b128 v[26:29], v22 offset:1792
	ds_load_b128 v[30:33], v22 offset:2048
	v_add_f64 v[52:53], v[6:7], v[86:87]
	v_add_f64 v[18:19], v[18:19], v[88:89]
	;; [unrolled: 1-line block ×8, first 2 shown]
	s_waitcnt lgkmcnt(2)
	v_mul_f64 v[86:87], v[64:65], v[84:85]
	v_mul_f64 v[88:89], v[62:63], v[84:85]
	s_waitcnt lgkmcnt(1)
	v_mul_f64 v[90:91], v[64:65], v[28:29]
	v_mul_f64 v[92:93], v[62:63], v[28:29]
	;; [unrolled: 1-line block ×6, first 2 shown]
	v_fma_f64 v[106:107], v[58:59], v[66:67], -v[36:37]
	v_fma_f64 v[108:109], v[60:61], v[66:67], v[40:41]
	v_fma_f64 v[58:59], v[58:59], v[70:71], -v[96:97]
	v_fma_f64 v[60:61], v[60:61], v[70:71], v[112:113]
	;; [unrolled: 2-line block ×4, first 2 shown]
	ds_load_b128 v[0:3], v22 offset:2304
	ds_load_b128 v[4:7], v25 offset:64
	v_add_f64 v[52:53], v[52:53], v[98:99]
	v_add_f64 v[72:73], v[18:19], v[100:101]
	;; [unrolled: 1-line block ×8, first 2 shown]
	ds_load_b128 v[12:15], v25 offset:2112
	ds_load_b128 v[16:19], v25 offset:80
	;; [unrolled: 1-line block ×4, first 2 shown]
	s_waitcnt lgkmcnt(4)
	v_mul_f64 v[56:57], v[6:7], v[32:33]
	v_mul_f64 v[74:75], v[4:5], v[32:33]
	;; [unrolled: 1-line block ×4, first 2 shown]
	v_fma_f64 v[86:87], v[62:63], v[82:83], -v[86:87]
	v_fma_f64 v[88:89], v[64:65], v[82:83], v[88:89]
	v_fma_f64 v[62:63], v[62:63], v[26:27], -v[90:91]
	v_fma_f64 v[64:65], v[64:65], v[26:27], v[92:93]
	;; [unrolled: 2-line block ×4, first 2 shown]
	s_waitcnt lgkmcnt(3)
	v_mul_f64 v[100:101], v[14:15], v[32:33]
	v_mul_f64 v[32:33], v[12:13], v[32:33]
	;; [unrolled: 1-line block ×4, first 2 shown]
	s_waitcnt lgkmcnt(0)
	v_mul_f64 v[92:93], v[18:19], v[40:41]
	v_mul_f64 v[94:95], v[16:17], v[40:41]
	v_add_f64 v[84:85], v[52:53], v[106:107]
	v_add_f64 v[72:73], v[72:73], v[108:109]
	;; [unrolled: 1-line block ×8, first 2 shown]
	ds_load_b128 v[26:29], v22 offset:2816
	ds_load_b128 v[42:45], v22 offset:3072
	;; [unrolled: 1-line block ×4, first 2 shown]
	v_mul_f64 v[106:107], v[36:37], v[40:41]
	v_mul_f64 v[40:41], v[34:35], v[40:41]
	v_fma_f64 v[56:57], v[4:5], v[30:31], -v[56:57]
	v_fma_f64 v[74:75], v[6:7], v[30:31], v[74:75]
	v_fma_f64 v[76:77], v[4:5], v[0:1], -v[76:77]
	v_fma_f64 v[98:99], v[6:7], v[0:1], v[98:99]
	s_waitcnt lgkmcnt(3)
	v_mul_f64 v[96:97], v[18:19], v[28:29]
	v_mul_f64 v[104:105], v[16:17], v[28:29]
	;; [unrolled: 1-line block ×4, first 2 shown]
	v_fma_f64 v[100:101], v[12:13], v[30:31], -v[100:101]
	v_fma_f64 v[32:33], v[14:15], v[30:31], v[32:33]
	v_fma_f64 v[102:103], v[12:13], v[0:1], -v[102:103]
	v_fma_f64 v[112:113], v[14:15], v[0:1], v[2:3]
	ds_load_b128 v[0:3], v25 offset:2144
	ds_load_b128 v[4:7], v25 offset:112
	;; [unrolled: 1-line block ×4, first 2 shown]
	v_add_f64 v[84:85], v[84:85], v[86:87]
	v_add_f64 v[72:73], v[72:73], v[88:89]
	;; [unrolled: 1-line block ×8, first 2 shown]
	s_waitcnt lgkmcnt(4)
	v_mul_f64 v[68:69], v[52:53], v[44:45]
	v_mul_f64 v[70:71], v[50:51], v[44:45]
	;; [unrolled: 1-line block ×4, first 2 shown]
	s_waitcnt lgkmcnt(3)
	v_mul_f64 v[82:83], v[2:3], v[44:45]
	v_mul_f64 v[44:45], v[0:1], v[44:45]
	;; [unrolled: 1-line block ×4, first 2 shown]
	v_fma_f64 v[88:89], v[16:17], v[38:39], -v[92:93]
	v_fma_f64 v[90:91], v[18:19], v[38:39], v[94:95]
	v_fma_f64 v[92:93], v[16:17], v[26:27], -v[96:97]
	v_fma_f64 v[94:95], v[18:19], v[26:27], v[104:105]
	;; [unrolled: 2-line block ×4, first 2 shown]
	ds_load_b128 v[16:19], v22 offset:3840
	s_waitcnt lgkmcnt(0)
	s_barrier
	buffer_gl0_inv
	v_add_f64 v[36:37], v[84:85], v[56:57]
	v_add_f64 v[40:41], v[72:73], v[74:75]
	;; [unrolled: 1-line block ×8, first 2 shown]
	v_mul_f64 v[64:65], v[6:7], v[30:31]
	v_mul_f64 v[66:67], v[4:5], v[30:31]
	;; [unrolled: 1-line block ×4, first 2 shown]
	v_fma_f64 v[68:69], v[50:51], v[42:43], -v[68:69]
	v_mul_f64 v[72:73], v[6:7], v[18:19]
	v_mul_f64 v[74:75], v[4:5], v[18:19]
	;; [unrolled: 1-line block ×4, first 2 shown]
	v_fma_f64 v[70:71], v[52:53], v[42:43], v[70:71]
	v_fma_f64 v[50:51], v[50:51], v[46:47], -v[78:79]
	v_fma_f64 v[52:53], v[52:53], v[46:47], v[80:81]
	v_fma_f64 v[78:79], v[0:1], v[42:43], -v[82:83]
	;; [unrolled: 2-line block ×3, first 2 shown]
	v_fma_f64 v[2:3], v[2:3], v[46:47], v[48:49]
	v_add_f64 v[36:37], v[36:37], v[88:89]
	v_add_f64 v[40:41], v[40:41], v[90:91]
	;; [unrolled: 1-line block ×8, first 2 shown]
	v_fma_f64 v[38:39], v[4:5], v[28:29], -v[64:65]
	v_fma_f64 v[54:55], v[6:7], v[28:29], v[66:67]
	v_fma_f64 v[58:59], v[12:13], v[28:29], -v[76:77]
	v_fma_f64 v[28:29], v[14:15], v[28:29], v[30:31]
	;; [unrolled: 2-line block ×4, first 2 shown]
	v_add_f64 v[6:7], v[36:37], v[68:69]
	v_add_f64 v[14:15], v[40:41], v[70:71]
	;; [unrolled: 1-line block ×16, first 2 shown]
	s_cbranch_vccz .LBB1333_2
.LBB1333_3:
	s_clause 0x1
	s_load_b128 s[4:7], s[0:1], 0x48
	s_load_b32 s2, s[0:1], 0x0
	v_add_nc_u32_e32 v21, s9, v21
	v_add_nc_u32_e32 v10, s8, v20
	s_delay_alu instid0(VALU_DEP_2) | instskip(NEXT) | instid1(VALU_DEP_2)
	v_ashrrev_i32_e32 v8, 31, v21
	v_cmp_le_i32_e64 s0, v10, v21
	s_waitcnt lgkmcnt(0)
	s_delay_alu instid0(VALU_DEP_2)
	v_mul_lo_u32 v11, v8, s4
	v_mul_lo_u32 v22, v21, s5
	v_mad_u64_u32 v[8:9], null, v21, s4, 0
	s_mul_i32 s1, s15, s7
	s_mul_hi_u32 s3, s15, s6
	s_mul_i32 s6, s15, s6
	s_add_i32 s7, s3, s1
	v_cmp_gt_i32_e32 vcc_lo, s2, v21
	s_lshl_b64 s[6:7], s[6:7], 4
	s_delay_alu instid0(VALU_DEP_2) | instskip(SKIP_3) | instid1(VALU_DEP_1)
	v_add3_u32 v9, v9, v22, v11
	s_add_u32 s3, s30, s6
	s_addc_u32 s6, s31, s7
	s_and_b32 s0, vcc_lo, s0
	v_lshlrev_b64 v[8:9], 4, v[8:9]
	s_delay_alu instid0(VALU_DEP_1) | instskip(NEXT) | instid1(VALU_DEP_1)
	v_add_co_u32 v20, s1, s3, v8
	v_add_co_ci_u32_e64 v22, s1, s6, v9, s1
	s_and_saveexec_b32 s7, s0
	s_cbranch_execz .LBB1333_5
; %bb.4:
	v_ashrrev_i32_e32 v11, 31, v10
	v_cmp_ne_u32_e64 s0, v21, v10
	v_xor_b32_e32 v7, 0x80000000, v7
	s_delay_alu instid0(VALU_DEP_3) | instskip(NEXT) | instid1(VALU_DEP_3)
	v_lshlrev_b64 v[23:24], 4, v[10:11]
	v_cndmask_b32_e64 v9, 0, -v19, s0
	v_cndmask_b32_e64 v8, 0, v18, s0
	s_delay_alu instid0(VALU_DEP_3) | instskip(NEXT) | instid1(VALU_DEP_1)
	v_add_co_u32 v23, s1, v20, v23
	v_add_co_ci_u32_e64 v24, s1, v22, v24, s1
	global_store_b128 v[23:24], v[6:9], off
.LBB1333_5:
	s_or_b32 exec_lo, exec_lo, s7
	v_add_nc_u32_e32 v8, 16, v10
	s_delay_alu instid0(VALU_DEP_1) | instskip(NEXT) | instid1(VALU_DEP_1)
	v_cmp_le_i32_e64 s0, v8, v21
	s_and_b32 s0, vcc_lo, s0
	s_delay_alu instid0(SALU_CYCLE_1)
	s_and_saveexec_b32 s1, s0
	s_cbranch_execz .LBB1333_7
; %bb.6:
	v_ashrrev_i32_e32 v9, 31, v8
	v_cmp_ne_u32_e32 vcc_lo, v21, v8
	v_xor_b32_e32 v5, 0x80000000, v5
	s_delay_alu instid0(VALU_DEP_3) | instskip(SKIP_2) | instid1(VALU_DEP_3)
	v_lshlrev_b64 v[18:19], 4, v[8:9]
	v_cndmask_b32_e64 v7, 0, -v17, vcc_lo
	v_cndmask_b32_e32 v6, 0, v16, vcc_lo
	v_add_co_u32 v17, s0, v20, v18
	s_delay_alu instid0(VALU_DEP_1)
	v_add_co_ci_u32_e64 v18, s0, v22, v19, s0
	global_store_b128 v[17:18], v[4:7], off
.LBB1333_7:
	s_or_b32 exec_lo, exec_lo, s1
	v_add_nc_u32_e32 v9, 16, v21
	s_delay_alu instid0(VALU_DEP_1) | instskip(SKIP_3) | instid1(VALU_DEP_4)
	v_ashrrev_i32_e32 v6, 31, v9
	v_mul_lo_u32 v7, v9, s5
	v_mad_u64_u32 v[4:5], null, v9, s4, 0
	v_cmp_gt_i32_e32 vcc_lo, s2, v9
	v_mul_lo_u32 v6, v6, s4
	v_cmp_le_i32_e64 s0, v10, v9
	s_delay_alu instid0(VALU_DEP_1) | instskip(NEXT) | instid1(VALU_DEP_2)
	s_and_b32 s0, vcc_lo, s0
	v_add3_u32 v5, v5, v7, v6
	s_delay_alu instid0(VALU_DEP_1) | instskip(NEXT) | instid1(VALU_DEP_1)
	v_lshlrev_b64 v[4:5], 4, v[4:5]
	v_add_co_u32 v6, s1, s3, v4
	s_delay_alu instid0(VALU_DEP_1)
	v_add_co_ci_u32_e64 v7, s1, s6, v5, s1
	s_and_saveexec_b32 s2, s0
	s_cbranch_execz .LBB1333_9
; %bb.8:
	v_ashrrev_i32_e32 v11, 31, v10
	v_cmp_ne_u32_e64 s0, v9, v10
	v_xor_b32_e32 v3, 0x80000000, v3
	s_delay_alu instid0(VALU_DEP_3) | instskip(NEXT) | instid1(VALU_DEP_3)
	v_lshlrev_b64 v[16:17], 4, v[10:11]
	v_cndmask_b32_e64 v5, 0, -v15, s0
	v_cndmask_b32_e64 v4, 0, v14, s0
	s_delay_alu instid0(VALU_DEP_3) | instskip(NEXT) | instid1(VALU_DEP_1)
	v_add_co_u32 v15, s1, v6, v16
	v_add_co_ci_u32_e64 v16, s1, v7, v17, s1
	global_store_b128 v[15:16], v[2:5], off
.LBB1333_9:
	s_or_b32 exec_lo, exec_lo, s2
	v_cmp_le_i32_e64 s0, v8, v9
	s_delay_alu instid0(VALU_DEP_1) | instskip(NEXT) | instid1(SALU_CYCLE_1)
	s_and_b32 s0, vcc_lo, s0
	s_and_saveexec_b32 s1, s0
	s_cbranch_execz .LBB1333_11
; %bb.10:
	v_ashrrev_i32_e32 v9, 31, v8
	v_cmp_ne_u32_e32 vcc_lo, v21, v10
	v_xor_b32_e32 v1, 0x80000000, v1
	s_delay_alu instid0(VALU_DEP_3) | instskip(SKIP_2) | instid1(VALU_DEP_3)
	v_lshlrev_b64 v[4:5], 4, v[8:9]
	v_cndmask_b32_e64 v3, 0, -v13, vcc_lo
	v_cndmask_b32_e32 v2, 0, v12, vcc_lo
	v_add_co_u32 v4, s0, v6, v4
	s_delay_alu instid0(VALU_DEP_1)
	v_add_co_ci_u32_e64 v5, s0, v7, v5, s0
	global_store_b128 v[4:5], v[0:3], off
.LBB1333_11:
	s_nop 0
	s_sendmsg sendmsg(MSG_DEALLOC_VGPRS)
	s_endpgm
	.section	.rodata,"a",@progbits
	.p2align	6, 0x0
	.amdhsa_kernel _ZL37rocblas_syrkx_herkx_restricted_kernelIl19rocblas_complex_numIdELi16ELi32ELi8ELin1ELi0ELb1ELc67ELc85EKS1_S1_EviT_PT9_S3_lS5_S3_lPT10_S3_li
		.amdhsa_group_segment_fixed_size 8192
		.amdhsa_private_segment_fixed_size 0
		.amdhsa_kernarg_size 92
		.amdhsa_user_sgpr_count 13
		.amdhsa_user_sgpr_dispatch_ptr 0
		.amdhsa_user_sgpr_queue_ptr 0
		.amdhsa_user_sgpr_kernarg_segment_ptr 1
		.amdhsa_user_sgpr_dispatch_id 0
		.amdhsa_user_sgpr_private_segment_size 0
		.amdhsa_wavefront_size32 1
		.amdhsa_uses_dynamic_stack 0
		.amdhsa_enable_private_segment 0
		.amdhsa_system_sgpr_workgroup_id_x 1
		.amdhsa_system_sgpr_workgroup_id_y 1
		.amdhsa_system_sgpr_workgroup_id_z 1
		.amdhsa_system_sgpr_workgroup_info 0
		.amdhsa_system_vgpr_workitem_id 1
		.amdhsa_next_free_vgpr 118
		.amdhsa_next_free_sgpr 32
		.amdhsa_reserve_vcc 1
		.amdhsa_float_round_mode_32 0
		.amdhsa_float_round_mode_16_64 0
		.amdhsa_float_denorm_mode_32 3
		.amdhsa_float_denorm_mode_16_64 3
		.amdhsa_dx10_clamp 1
		.amdhsa_ieee_mode 1
		.amdhsa_fp16_overflow 0
		.amdhsa_workgroup_processor_mode 1
		.amdhsa_memory_ordered 1
		.amdhsa_forward_progress 0
		.amdhsa_shared_vgpr_count 0
		.amdhsa_exception_fp_ieee_invalid_op 0
		.amdhsa_exception_fp_denorm_src 0
		.amdhsa_exception_fp_ieee_div_zero 0
		.amdhsa_exception_fp_ieee_overflow 0
		.amdhsa_exception_fp_ieee_underflow 0
		.amdhsa_exception_fp_ieee_inexact 0
		.amdhsa_exception_int_div_zero 0
	.end_amdhsa_kernel
	.section	.text._ZL37rocblas_syrkx_herkx_restricted_kernelIl19rocblas_complex_numIdELi16ELi32ELi8ELin1ELi0ELb1ELc67ELc85EKS1_S1_EviT_PT9_S3_lS5_S3_lPT10_S3_li,"axG",@progbits,_ZL37rocblas_syrkx_herkx_restricted_kernelIl19rocblas_complex_numIdELi16ELi32ELi8ELin1ELi0ELb1ELc67ELc85EKS1_S1_EviT_PT9_S3_lS5_S3_lPT10_S3_li,comdat
.Lfunc_end1333:
	.size	_ZL37rocblas_syrkx_herkx_restricted_kernelIl19rocblas_complex_numIdELi16ELi32ELi8ELin1ELi0ELb1ELc67ELc85EKS1_S1_EviT_PT9_S3_lS5_S3_lPT10_S3_li, .Lfunc_end1333-_ZL37rocblas_syrkx_herkx_restricted_kernelIl19rocblas_complex_numIdELi16ELi32ELi8ELin1ELi0ELb1ELc67ELc85EKS1_S1_EviT_PT9_S3_lS5_S3_lPT10_S3_li
                                        ; -- End function
	.section	.AMDGPU.csdata,"",@progbits
; Kernel info:
; codeLenInByte = 3108
; NumSgprs: 34
; NumVgprs: 118
; ScratchSize: 0
; MemoryBound: 0
; FloatMode: 240
; IeeeMode: 1
; LDSByteSize: 8192 bytes/workgroup (compile time only)
; SGPRBlocks: 4
; VGPRBlocks: 14
; NumSGPRsForWavesPerEU: 34
; NumVGPRsForWavesPerEU: 118
; Occupancy: 12
; WaveLimiterHint : 1
; COMPUTE_PGM_RSRC2:SCRATCH_EN: 0
; COMPUTE_PGM_RSRC2:USER_SGPR: 13
; COMPUTE_PGM_RSRC2:TRAP_HANDLER: 0
; COMPUTE_PGM_RSRC2:TGID_X_EN: 1
; COMPUTE_PGM_RSRC2:TGID_Y_EN: 1
; COMPUTE_PGM_RSRC2:TGID_Z_EN: 1
; COMPUTE_PGM_RSRC2:TIDIG_COMP_CNT: 1
	.section	.text._ZL37rocblas_syrkx_herkx_restricted_kernelIl19rocblas_complex_numIdELi16ELi32ELi8ELin1ELi0ELb1ELc78ELc85EKS1_S1_EviT_PT9_S3_lS5_S3_lPT10_S3_li,"axG",@progbits,_ZL37rocblas_syrkx_herkx_restricted_kernelIl19rocblas_complex_numIdELi16ELi32ELi8ELin1ELi0ELb1ELc78ELc85EKS1_S1_EviT_PT9_S3_lS5_S3_lPT10_S3_li,comdat
	.globl	_ZL37rocblas_syrkx_herkx_restricted_kernelIl19rocblas_complex_numIdELi16ELi32ELi8ELin1ELi0ELb1ELc78ELc85EKS1_S1_EviT_PT9_S3_lS5_S3_lPT10_S3_li ; -- Begin function _ZL37rocblas_syrkx_herkx_restricted_kernelIl19rocblas_complex_numIdELi16ELi32ELi8ELin1ELi0ELb1ELc78ELc85EKS1_S1_EviT_PT9_S3_lS5_S3_lPT10_S3_li
	.p2align	8
	.type	_ZL37rocblas_syrkx_herkx_restricted_kernelIl19rocblas_complex_numIdELi16ELi32ELi8ELin1ELi0ELb1ELc78ELc85EKS1_S1_EviT_PT9_S3_lS5_S3_lPT10_S3_li,@function
_ZL37rocblas_syrkx_herkx_restricted_kernelIl19rocblas_complex_numIdELi16ELi32ELi8ELin1ELi0ELb1ELc78ELc85EKS1_S1_EviT_PT9_S3_lS5_S3_lPT10_S3_li: ; @_ZL37rocblas_syrkx_herkx_restricted_kernelIl19rocblas_complex_numIdELi16ELi32ELi8ELin1ELi0ELb1ELc78ELc85EKS1_S1_EviT_PT9_S3_lS5_S3_lPT10_S3_li
; %bb.0:
	s_load_b512 s[16:31], s[0:1], 0x8
	v_mov_b32_e32 v6, 0
	v_dual_mov_b32 v7, 0 :: v_dual_and_b32 v20, 0x3ff, v0
	v_bfe_u32 v21, v0, 10, 10
	s_delay_alu instid0(VALU_DEP_3) | instskip(NEXT) | instid1(VALU_DEP_3)
	v_mov_b32_e32 v4, v6
	v_dual_mov_b32 v2, v6 :: v_dual_mov_b32 v3, v7
	v_dual_mov_b32 v19, v7 :: v_dual_mov_b32 v18, v6
	v_mov_b32_e32 v5, v7
	v_dual_mov_b32 v17, v7 :: v_dual_mov_b32 v16, v6
	v_dual_mov_b32 v15, v7 :: v_dual_mov_b32 v14, v6
	v_dual_mov_b32 v0, v6 :: v_dual_mov_b32 v1, v7
	v_dual_mov_b32 v13, v7 :: v_dual_mov_b32 v12, v6
	s_lshl_b32 s8, s13, 5
	s_waitcnt lgkmcnt(0)
	v_cmp_lt_i64_e64 s2, s[16:17], 1
	s_lshl_b32 s9, s14, 5
	s_delay_alu instid0(VALU_DEP_1)
	s_and_b32 vcc_lo, exec_lo, s2
	s_cbranch_vccnz .LBB1334_3
; %bb.1:
	v_lshl_add_u32 v1, v21, 4, v20
	v_and_b32_e32 v8, 7, v20
	s_mul_i32 s3, s23, s15
	s_mul_hi_u32 s5, s22, s15
	s_mul_i32 s2, s22, s15
	v_dual_mov_b32 v12, 0 :: v_dual_and_b32 v7, 31, v1
	v_lshrrev_b32_e32 v9, 3, v1
	v_mov_b32_e32 v13, 0
	v_lshrrev_b32_e32 v10, 5, v1
	s_delay_alu instid0(VALU_DEP_4) | instskip(SKIP_1) | instid1(VALU_DEP_3)
	v_add_nc_u32_e32 v0, s8, v7
	s_add_i32 s3, s5, s3
	v_dual_mov_b32 v15, v13 :: v_dual_add_nc_u32 v2, s9, v9
	s_lshl_b64 s[2:3], s[2:3], 4
	s_delay_alu instid0(VALU_DEP_2) | instskip(SKIP_1) | instid1(VALU_DEP_2)
	v_ashrrev_i32_e32 v1, 31, v0
	s_mul_i32 s6, s29, s15
	v_ashrrev_i32_e32 v3, 31, v2
	s_mul_hi_u32 s7, s28, s15
	s_add_u32 s10, s18, s2
	v_mad_u64_u32 v[4:5], null, v10, s20, v[0:1]
	s_delay_alu instid0(VALU_DEP_2) | instskip(SKIP_4) | instid1(VALU_DEP_2)
	v_mad_u64_u32 v[0:1], null, v8, s26, v[2:3]
	s_mul_i32 s4, s28, s15
	s_addc_u32 s11, s19, s3
	s_add_i32 s5, s7, s6
	s_lshl_b64 s[2:3], s[20:21], 7
	v_dual_mov_b32 v2, v5 :: v_dual_lshlrev_b32 v11, 4, v8
	s_lshl_b64 s[4:5], s[4:5], 4
	v_dual_mov_b32 v14, v12 :: v_dual_mov_b32 v17, v13
	s_delay_alu instid0(VALU_DEP_2)
	v_mad_u64_u32 v[5:6], null, v10, s21, v[2:3]
	v_mad_u64_u32 v[2:3], null, v8, s27, v[1:2]
	v_lshlrev_b32_e32 v22, 4, v20
	s_add_u32 s4, s24, s4
	s_addc_u32 s5, s25, s5
	v_lshlrev_b32_e32 v6, 4, v7
	v_lshl_or_b32 v7, v9, 7, v11
	v_dual_mov_b32 v16, v12 :: v_dual_mov_b32 v19, v13
	v_mov_b32_e32 v1, v2
	v_lshlrev_b64 v[2:3], 4, v[4:5]
	s_delay_alu instid0(VALU_DEP_4) | instskip(SKIP_1) | instid1(VALU_DEP_4)
	v_dual_mov_b32 v4, v12 :: v_dual_add_nc_u32 v25, 0x1000, v7
	v_lshl_add_u32 v23, v21, 7, 0x1000
	v_lshlrev_b64 v[0:1], 4, v[0:1]
	v_mov_b32_e32 v18, v12
	v_add_co_u32 v2, vcc_lo, s10, v2
	v_add_co_ci_u32_e32 v3, vcc_lo, s11, v3, vcc_lo
	s_delay_alu instid0(VALU_DEP_4) | instskip(SKIP_1) | instid1(VALU_DEP_4)
	v_add_co_u32 v0, vcc_lo, s4, v0
	v_add_co_ci_u32_e32 v1, vcc_lo, s5, v1, vcc_lo
	v_add_co_u32 v8, vcc_lo, v2, 8
	s_delay_alu instid0(VALU_DEP_4)
	v_add_co_ci_u32_e32 v9, vcc_lo, 0, v3, vcc_lo
	v_dual_mov_b32 v2, v12 :: v_dual_mov_b32 v5, v13
	v_mov_b32_e32 v3, v13
	v_lshl_or_b32 v24, v10, 9, v6
	v_add_co_u32 v10, vcc_lo, v0, 8
	v_add_co_ci_u32_e32 v11, vcc_lo, 0, v1, vcc_lo
	v_mov_b32_e32 v0, v12
	v_dual_mov_b32 v6, v12 :: v_dual_mov_b32 v1, v13
	v_mov_b32_e32 v7, v13
	s_lshl_b64 s[4:5], s[26:27], 7
	s_mov_b64 s[6:7], 0
.LBB1334_2:                             ; =>This Inner Loop Header: Depth=1
	global_load_b128 v[26:29], v[10:11], off offset:-8
	global_load_b128 v[30:33], v[8:9], off offset:-8
	s_add_u32 s6, s6, 8
	v_add_co_u32 v8, vcc_lo, v8, s2
	s_addc_u32 s7, s7, 0
	v_add_co_ci_u32_e32 v9, vcc_lo, s3, v9, vcc_lo
	v_cmp_ge_u64_e64 s10, s[6:7], s[16:17]
	v_add_co_u32 v10, vcc_lo, v10, s4
	v_add_co_ci_u32_e32 v11, vcc_lo, s5, v11, vcc_lo
	s_delay_alu instid0(VALU_DEP_3)
	s_and_b32 vcc_lo, exec_lo, s10
	s_waitcnt vmcnt(1)
	v_xor_b32_e32 v29, 0x80000000, v29
	s_waitcnt vmcnt(0)
	ds_store_b128 v24, v[30:33]
	ds_store_b128 v25, v[26:29]
	s_waitcnt lgkmcnt(0)
	s_barrier
	buffer_gl0_inv
	ds_load_b128 v[26:29], v23
	ds_load_b128 v[30:33], v22
	ds_load_b128 v[34:37], v22 offset:256
	ds_load_b128 v[38:41], v23 offset:2048
	;; [unrolled: 1-line block ×13, first 2 shown]
	s_waitcnt lgkmcnt(13)
	v_mul_f64 v[86:87], v[28:29], v[32:33]
	v_mul_f64 v[88:89], v[26:27], v[32:33]
	s_waitcnt lgkmcnt(12)
	v_mul_f64 v[90:91], v[28:29], v[36:37]
	v_mul_f64 v[92:93], v[26:27], v[36:37]
	;; [unrolled: 3-line block ×3, first 2 shown]
	v_mul_f64 v[96:97], v[40:41], v[36:37]
	v_mul_f64 v[36:37], v[38:39], v[36:37]
	s_waitcnt lgkmcnt(8)
	v_mul_f64 v[98:99], v[44:45], v[52:53]
	v_mul_f64 v[100:101], v[42:43], v[52:53]
	s_waitcnt lgkmcnt(7)
	v_mul_f64 v[102:103], v[44:45], v[56:57]
	v_mul_f64 v[104:105], v[42:43], v[56:57]
	;; [unrolled: 1-line block ×6, first 2 shown]
	s_waitcnt lgkmcnt(3)
	v_mul_f64 v[112:113], v[58:59], v[72:73]
	s_waitcnt lgkmcnt(2)
	v_mul_f64 v[114:115], v[76:77], v[68:69]
	v_mul_f64 v[116:117], v[76:77], v[72:73]
	v_fma_f64 v[86:87], v[26:27], v[30:31], -v[86:87]
	v_fma_f64 v[88:89], v[28:29], v[30:31], v[88:89]
	v_fma_f64 v[90:91], v[26:27], v[34:35], -v[90:91]
	v_fma_f64 v[92:93], v[28:29], v[34:35], v[92:93]
	;; [unrolled: 2-line block ×4, first 2 shown]
	v_mul_f64 v[36:37], v[60:61], v[68:69]
	v_mul_f64 v[40:41], v[58:59], v[68:69]
	;; [unrolled: 1-line block ×5, first 2 shown]
	v_fma_f64 v[98:99], v[42:43], v[50:51], -v[98:99]
	v_fma_f64 v[100:101], v[44:45], v[50:51], v[100:101]
	v_fma_f64 v[42:43], v[42:43], v[54:55], -v[102:103]
	v_fma_f64 v[44:45], v[44:45], v[54:55], v[104:105]
	;; [unrolled: 2-line block ×4, first 2 shown]
	ds_load_b128 v[26:29], v22 offset:1792
	ds_load_b128 v[30:33], v22 offset:2048
	v_add_f64 v[52:53], v[6:7], v[86:87]
	v_add_f64 v[18:19], v[18:19], v[88:89]
	;; [unrolled: 1-line block ×8, first 2 shown]
	s_waitcnt lgkmcnt(2)
	v_mul_f64 v[86:87], v[64:65], v[84:85]
	v_mul_f64 v[88:89], v[62:63], v[84:85]
	s_waitcnt lgkmcnt(1)
	v_mul_f64 v[90:91], v[64:65], v[28:29]
	v_mul_f64 v[92:93], v[62:63], v[28:29]
	;; [unrolled: 1-line block ×6, first 2 shown]
	v_fma_f64 v[106:107], v[58:59], v[66:67], -v[36:37]
	v_fma_f64 v[108:109], v[60:61], v[66:67], v[40:41]
	v_fma_f64 v[58:59], v[58:59], v[70:71], -v[96:97]
	v_fma_f64 v[60:61], v[60:61], v[70:71], v[112:113]
	;; [unrolled: 2-line block ×4, first 2 shown]
	ds_load_b128 v[0:3], v22 offset:2304
	ds_load_b128 v[4:7], v23 offset:64
	v_add_f64 v[52:53], v[52:53], v[98:99]
	v_add_f64 v[72:73], v[18:19], v[100:101]
	;; [unrolled: 1-line block ×8, first 2 shown]
	ds_load_b128 v[12:15], v23 offset:2112
	ds_load_b128 v[16:19], v23 offset:80
	;; [unrolled: 1-line block ×4, first 2 shown]
	s_waitcnt lgkmcnt(4)
	v_mul_f64 v[56:57], v[6:7], v[32:33]
	v_mul_f64 v[74:75], v[4:5], v[32:33]
	;; [unrolled: 1-line block ×4, first 2 shown]
	v_fma_f64 v[86:87], v[62:63], v[82:83], -v[86:87]
	v_fma_f64 v[88:89], v[64:65], v[82:83], v[88:89]
	v_fma_f64 v[62:63], v[62:63], v[26:27], -v[90:91]
	v_fma_f64 v[64:65], v[64:65], v[26:27], v[92:93]
	;; [unrolled: 2-line block ×4, first 2 shown]
	s_waitcnt lgkmcnt(3)
	v_mul_f64 v[100:101], v[14:15], v[32:33]
	v_mul_f64 v[32:33], v[12:13], v[32:33]
	;; [unrolled: 1-line block ×4, first 2 shown]
	s_waitcnt lgkmcnt(0)
	v_mul_f64 v[92:93], v[18:19], v[40:41]
	v_mul_f64 v[94:95], v[16:17], v[40:41]
	v_add_f64 v[84:85], v[52:53], v[106:107]
	v_add_f64 v[72:73], v[72:73], v[108:109]
	;; [unrolled: 1-line block ×8, first 2 shown]
	ds_load_b128 v[26:29], v22 offset:2816
	ds_load_b128 v[42:45], v22 offset:3072
	;; [unrolled: 1-line block ×4, first 2 shown]
	v_mul_f64 v[106:107], v[36:37], v[40:41]
	v_mul_f64 v[40:41], v[34:35], v[40:41]
	v_fma_f64 v[56:57], v[4:5], v[30:31], -v[56:57]
	v_fma_f64 v[74:75], v[6:7], v[30:31], v[74:75]
	v_fma_f64 v[76:77], v[4:5], v[0:1], -v[76:77]
	v_fma_f64 v[98:99], v[6:7], v[0:1], v[98:99]
	s_waitcnt lgkmcnt(3)
	v_mul_f64 v[96:97], v[18:19], v[28:29]
	v_mul_f64 v[104:105], v[16:17], v[28:29]
	;; [unrolled: 1-line block ×4, first 2 shown]
	v_fma_f64 v[100:101], v[12:13], v[30:31], -v[100:101]
	v_fma_f64 v[32:33], v[14:15], v[30:31], v[32:33]
	v_fma_f64 v[102:103], v[12:13], v[0:1], -v[102:103]
	v_fma_f64 v[112:113], v[14:15], v[0:1], v[2:3]
	ds_load_b128 v[0:3], v23 offset:2144
	ds_load_b128 v[4:7], v23 offset:112
	;; [unrolled: 1-line block ×4, first 2 shown]
	v_add_f64 v[84:85], v[84:85], v[86:87]
	v_add_f64 v[72:73], v[72:73], v[88:89]
	;; [unrolled: 1-line block ×8, first 2 shown]
	s_waitcnt lgkmcnt(4)
	v_mul_f64 v[68:69], v[52:53], v[44:45]
	v_mul_f64 v[70:71], v[50:51], v[44:45]
	;; [unrolled: 1-line block ×4, first 2 shown]
	s_waitcnt lgkmcnt(3)
	v_mul_f64 v[82:83], v[2:3], v[44:45]
	v_mul_f64 v[44:45], v[0:1], v[44:45]
	;; [unrolled: 1-line block ×4, first 2 shown]
	v_fma_f64 v[88:89], v[16:17], v[38:39], -v[92:93]
	v_fma_f64 v[90:91], v[18:19], v[38:39], v[94:95]
	v_fma_f64 v[92:93], v[16:17], v[26:27], -v[96:97]
	v_fma_f64 v[94:95], v[18:19], v[26:27], v[104:105]
	;; [unrolled: 2-line block ×4, first 2 shown]
	ds_load_b128 v[16:19], v22 offset:3840
	s_waitcnt lgkmcnt(0)
	s_barrier
	buffer_gl0_inv
	v_add_f64 v[36:37], v[84:85], v[56:57]
	v_add_f64 v[40:41], v[72:73], v[74:75]
	;; [unrolled: 1-line block ×8, first 2 shown]
	v_mul_f64 v[64:65], v[6:7], v[30:31]
	v_mul_f64 v[66:67], v[4:5], v[30:31]
	v_mul_f64 v[76:77], v[14:15], v[30:31]
	v_mul_f64 v[30:31], v[12:13], v[30:31]
	v_fma_f64 v[68:69], v[50:51], v[42:43], -v[68:69]
	v_mul_f64 v[72:73], v[6:7], v[18:19]
	v_mul_f64 v[74:75], v[4:5], v[18:19]
	;; [unrolled: 1-line block ×4, first 2 shown]
	v_fma_f64 v[70:71], v[52:53], v[42:43], v[70:71]
	v_fma_f64 v[50:51], v[50:51], v[46:47], -v[78:79]
	v_fma_f64 v[52:53], v[52:53], v[46:47], v[80:81]
	v_fma_f64 v[78:79], v[0:1], v[42:43], -v[82:83]
	;; [unrolled: 2-line block ×3, first 2 shown]
	v_fma_f64 v[2:3], v[2:3], v[46:47], v[48:49]
	v_add_f64 v[36:37], v[36:37], v[88:89]
	v_add_f64 v[40:41], v[40:41], v[90:91]
	;; [unrolled: 1-line block ×8, first 2 shown]
	v_fma_f64 v[38:39], v[4:5], v[28:29], -v[64:65]
	v_fma_f64 v[54:55], v[6:7], v[28:29], v[66:67]
	v_fma_f64 v[58:59], v[12:13], v[28:29], -v[76:77]
	v_fma_f64 v[28:29], v[14:15], v[28:29], v[30:31]
	;; [unrolled: 2-line block ×4, first 2 shown]
	v_add_f64 v[6:7], v[36:37], v[68:69]
	v_add_f64 v[14:15], v[40:41], v[70:71]
	;; [unrolled: 1-line block ×16, first 2 shown]
	s_cbranch_vccz .LBB1334_2
.LBB1334_3:
	s_clause 0x1
	s_load_b128 s[4:7], s[0:1], 0x48
	s_load_b32 s2, s[0:1], 0x0
	v_add_nc_u32_e32 v21, s9, v21
	v_add_nc_u32_e32 v10, s8, v20
	s_delay_alu instid0(VALU_DEP_2) | instskip(NEXT) | instid1(VALU_DEP_2)
	v_ashrrev_i32_e32 v8, 31, v21
	v_cmp_le_i32_e64 s0, v10, v21
	s_waitcnt lgkmcnt(0)
	s_delay_alu instid0(VALU_DEP_2)
	v_mul_lo_u32 v11, v8, s4
	v_mul_lo_u32 v22, v21, s5
	v_mad_u64_u32 v[8:9], null, v21, s4, 0
	s_mul_i32 s1, s15, s7
	s_mul_hi_u32 s3, s15, s6
	s_mul_i32 s6, s15, s6
	s_add_i32 s7, s3, s1
	v_cmp_gt_i32_e32 vcc_lo, s2, v21
	s_lshl_b64 s[6:7], s[6:7], 4
	s_delay_alu instid0(VALU_DEP_2) | instskip(SKIP_3) | instid1(VALU_DEP_1)
	v_add3_u32 v9, v9, v22, v11
	s_add_u32 s3, s30, s6
	s_addc_u32 s6, s31, s7
	s_and_b32 s0, vcc_lo, s0
	v_lshlrev_b64 v[8:9], 4, v[8:9]
	s_delay_alu instid0(VALU_DEP_1) | instskip(NEXT) | instid1(VALU_DEP_1)
	v_add_co_u32 v20, s1, s3, v8
	v_add_co_ci_u32_e64 v22, s1, s6, v9, s1
	s_and_saveexec_b32 s7, s0
	s_cbranch_execz .LBB1334_5
; %bb.4:
	v_ashrrev_i32_e32 v11, 31, v10
	v_cmp_ne_u32_e64 s0, v21, v10
	v_xor_b32_e32 v7, 0x80000000, v7
	s_delay_alu instid0(VALU_DEP_3) | instskip(NEXT) | instid1(VALU_DEP_3)
	v_lshlrev_b64 v[23:24], 4, v[10:11]
	v_cndmask_b32_e64 v9, 0, -v19, s0
	v_cndmask_b32_e64 v8, 0, v18, s0
	s_delay_alu instid0(VALU_DEP_3) | instskip(NEXT) | instid1(VALU_DEP_1)
	v_add_co_u32 v23, s1, v20, v23
	v_add_co_ci_u32_e64 v24, s1, v22, v24, s1
	global_store_b128 v[23:24], v[6:9], off
.LBB1334_5:
	s_or_b32 exec_lo, exec_lo, s7
	v_add_nc_u32_e32 v8, 16, v10
	s_delay_alu instid0(VALU_DEP_1) | instskip(NEXT) | instid1(VALU_DEP_1)
	v_cmp_le_i32_e64 s0, v8, v21
	s_and_b32 s0, vcc_lo, s0
	s_delay_alu instid0(SALU_CYCLE_1)
	s_and_saveexec_b32 s1, s0
	s_cbranch_execz .LBB1334_7
; %bb.6:
	v_ashrrev_i32_e32 v9, 31, v8
	v_cmp_ne_u32_e32 vcc_lo, v21, v8
	v_xor_b32_e32 v5, 0x80000000, v5
	s_delay_alu instid0(VALU_DEP_3) | instskip(SKIP_2) | instid1(VALU_DEP_3)
	v_lshlrev_b64 v[18:19], 4, v[8:9]
	v_cndmask_b32_e64 v7, 0, -v17, vcc_lo
	v_cndmask_b32_e32 v6, 0, v16, vcc_lo
	v_add_co_u32 v17, s0, v20, v18
	s_delay_alu instid0(VALU_DEP_1)
	v_add_co_ci_u32_e64 v18, s0, v22, v19, s0
	global_store_b128 v[17:18], v[4:7], off
.LBB1334_7:
	s_or_b32 exec_lo, exec_lo, s1
	v_add_nc_u32_e32 v9, 16, v21
	s_delay_alu instid0(VALU_DEP_1) | instskip(SKIP_3) | instid1(VALU_DEP_4)
	v_ashrrev_i32_e32 v6, 31, v9
	v_mul_lo_u32 v7, v9, s5
	v_mad_u64_u32 v[4:5], null, v9, s4, 0
	v_cmp_gt_i32_e32 vcc_lo, s2, v9
	v_mul_lo_u32 v6, v6, s4
	v_cmp_le_i32_e64 s0, v10, v9
	s_delay_alu instid0(VALU_DEP_1) | instskip(NEXT) | instid1(VALU_DEP_2)
	s_and_b32 s0, vcc_lo, s0
	v_add3_u32 v5, v5, v7, v6
	s_delay_alu instid0(VALU_DEP_1) | instskip(NEXT) | instid1(VALU_DEP_1)
	v_lshlrev_b64 v[4:5], 4, v[4:5]
	v_add_co_u32 v6, s1, s3, v4
	s_delay_alu instid0(VALU_DEP_1)
	v_add_co_ci_u32_e64 v7, s1, s6, v5, s1
	s_and_saveexec_b32 s2, s0
	s_cbranch_execz .LBB1334_9
; %bb.8:
	v_ashrrev_i32_e32 v11, 31, v10
	v_cmp_ne_u32_e64 s0, v9, v10
	v_xor_b32_e32 v3, 0x80000000, v3
	s_delay_alu instid0(VALU_DEP_3) | instskip(NEXT) | instid1(VALU_DEP_3)
	v_lshlrev_b64 v[16:17], 4, v[10:11]
	v_cndmask_b32_e64 v5, 0, -v15, s0
	v_cndmask_b32_e64 v4, 0, v14, s0
	s_delay_alu instid0(VALU_DEP_3) | instskip(NEXT) | instid1(VALU_DEP_1)
	v_add_co_u32 v15, s1, v6, v16
	v_add_co_ci_u32_e64 v16, s1, v7, v17, s1
	global_store_b128 v[15:16], v[2:5], off
.LBB1334_9:
	s_or_b32 exec_lo, exec_lo, s2
	v_cmp_le_i32_e64 s0, v8, v9
	s_delay_alu instid0(VALU_DEP_1) | instskip(NEXT) | instid1(SALU_CYCLE_1)
	s_and_b32 s0, vcc_lo, s0
	s_and_saveexec_b32 s1, s0
	s_cbranch_execz .LBB1334_11
; %bb.10:
	v_ashrrev_i32_e32 v9, 31, v8
	v_cmp_ne_u32_e32 vcc_lo, v21, v10
	v_xor_b32_e32 v1, 0x80000000, v1
	s_delay_alu instid0(VALU_DEP_3) | instskip(SKIP_2) | instid1(VALU_DEP_3)
	v_lshlrev_b64 v[4:5], 4, v[8:9]
	v_cndmask_b32_e64 v3, 0, -v13, vcc_lo
	v_cndmask_b32_e32 v2, 0, v12, vcc_lo
	v_add_co_u32 v4, s0, v6, v4
	s_delay_alu instid0(VALU_DEP_1)
	v_add_co_ci_u32_e64 v5, s0, v7, v5, s0
	global_store_b128 v[4:5], v[0:3], off
.LBB1334_11:
	s_nop 0
	s_sendmsg sendmsg(MSG_DEALLOC_VGPRS)
	s_endpgm
	.section	.rodata,"a",@progbits
	.p2align	6, 0x0
	.amdhsa_kernel _ZL37rocblas_syrkx_herkx_restricted_kernelIl19rocblas_complex_numIdELi16ELi32ELi8ELin1ELi0ELb1ELc78ELc85EKS1_S1_EviT_PT9_S3_lS5_S3_lPT10_S3_li
		.amdhsa_group_segment_fixed_size 8192
		.amdhsa_private_segment_fixed_size 0
		.amdhsa_kernarg_size 92
		.amdhsa_user_sgpr_count 13
		.amdhsa_user_sgpr_dispatch_ptr 0
		.amdhsa_user_sgpr_queue_ptr 0
		.amdhsa_user_sgpr_kernarg_segment_ptr 1
		.amdhsa_user_sgpr_dispatch_id 0
		.amdhsa_user_sgpr_private_segment_size 0
		.amdhsa_wavefront_size32 1
		.amdhsa_uses_dynamic_stack 0
		.amdhsa_enable_private_segment 0
		.amdhsa_system_sgpr_workgroup_id_x 1
		.amdhsa_system_sgpr_workgroup_id_y 1
		.amdhsa_system_sgpr_workgroup_id_z 1
		.amdhsa_system_sgpr_workgroup_info 0
		.amdhsa_system_vgpr_workitem_id 1
		.amdhsa_next_free_vgpr 118
		.amdhsa_next_free_sgpr 32
		.amdhsa_reserve_vcc 1
		.amdhsa_float_round_mode_32 0
		.amdhsa_float_round_mode_16_64 0
		.amdhsa_float_denorm_mode_32 3
		.amdhsa_float_denorm_mode_16_64 3
		.amdhsa_dx10_clamp 1
		.amdhsa_ieee_mode 1
		.amdhsa_fp16_overflow 0
		.amdhsa_workgroup_processor_mode 1
		.amdhsa_memory_ordered 1
		.amdhsa_forward_progress 0
		.amdhsa_shared_vgpr_count 0
		.amdhsa_exception_fp_ieee_invalid_op 0
		.amdhsa_exception_fp_denorm_src 0
		.amdhsa_exception_fp_ieee_div_zero 0
		.amdhsa_exception_fp_ieee_overflow 0
		.amdhsa_exception_fp_ieee_underflow 0
		.amdhsa_exception_fp_ieee_inexact 0
		.amdhsa_exception_int_div_zero 0
	.end_amdhsa_kernel
	.section	.text._ZL37rocblas_syrkx_herkx_restricted_kernelIl19rocblas_complex_numIdELi16ELi32ELi8ELin1ELi0ELb1ELc78ELc85EKS1_S1_EviT_PT9_S3_lS5_S3_lPT10_S3_li,"axG",@progbits,_ZL37rocblas_syrkx_herkx_restricted_kernelIl19rocblas_complex_numIdELi16ELi32ELi8ELin1ELi0ELb1ELc78ELc85EKS1_S1_EviT_PT9_S3_lS5_S3_lPT10_S3_li,comdat
.Lfunc_end1334:
	.size	_ZL37rocblas_syrkx_herkx_restricted_kernelIl19rocblas_complex_numIdELi16ELi32ELi8ELin1ELi0ELb1ELc78ELc85EKS1_S1_EviT_PT9_S3_lS5_S3_lPT10_S3_li, .Lfunc_end1334-_ZL37rocblas_syrkx_herkx_restricted_kernelIl19rocblas_complex_numIdELi16ELi32ELi8ELin1ELi0ELb1ELc78ELc85EKS1_S1_EviT_PT9_S3_lS5_S3_lPT10_S3_li
                                        ; -- End function
	.section	.AMDGPU.csdata,"",@progbits
; Kernel info:
; codeLenInByte = 3092
; NumSgprs: 34
; NumVgprs: 118
; ScratchSize: 0
; MemoryBound: 0
; FloatMode: 240
; IeeeMode: 1
; LDSByteSize: 8192 bytes/workgroup (compile time only)
; SGPRBlocks: 4
; VGPRBlocks: 14
; NumSGPRsForWavesPerEU: 34
; NumVGPRsForWavesPerEU: 118
; Occupancy: 12
; WaveLimiterHint : 1
; COMPUTE_PGM_RSRC2:SCRATCH_EN: 0
; COMPUTE_PGM_RSRC2:USER_SGPR: 13
; COMPUTE_PGM_RSRC2:TRAP_HANDLER: 0
; COMPUTE_PGM_RSRC2:TGID_X_EN: 1
; COMPUTE_PGM_RSRC2:TGID_Y_EN: 1
; COMPUTE_PGM_RSRC2:TGID_Z_EN: 1
; COMPUTE_PGM_RSRC2:TIDIG_COMP_CNT: 1
	.section	.text._ZL37rocblas_syrkx_herkx_restricted_kernelIl19rocblas_complex_numIdELi16ELi32ELi8ELb1ELb1ELc84ELc76EKS1_S1_EviT_T0_PT8_S3_lS6_S3_lS4_PT9_S3_li,"axG",@progbits,_ZL37rocblas_syrkx_herkx_restricted_kernelIl19rocblas_complex_numIdELi16ELi32ELi8ELb1ELb1ELc84ELc76EKS1_S1_EviT_T0_PT8_S3_lS6_S3_lS4_PT9_S3_li,comdat
	.globl	_ZL37rocblas_syrkx_herkx_restricted_kernelIl19rocblas_complex_numIdELi16ELi32ELi8ELb1ELb1ELc84ELc76EKS1_S1_EviT_T0_PT8_S3_lS6_S3_lS4_PT9_S3_li ; -- Begin function _ZL37rocblas_syrkx_herkx_restricted_kernelIl19rocblas_complex_numIdELi16ELi32ELi8ELb1ELb1ELc84ELc76EKS1_S1_EviT_T0_PT8_S3_lS6_S3_lS4_PT9_S3_li
	.p2align	8
	.type	_ZL37rocblas_syrkx_herkx_restricted_kernelIl19rocblas_complex_numIdELi16ELi32ELi8ELb1ELb1ELc84ELc76EKS1_S1_EviT_T0_PT8_S3_lS6_S3_lS4_PT9_S3_li,@function
_ZL37rocblas_syrkx_herkx_restricted_kernelIl19rocblas_complex_numIdELi16ELi32ELi8ELb1ELb1ELc84ELc76EKS1_S1_EviT_T0_PT8_S3_lS6_S3_lS4_PT9_S3_li: ; @_ZL37rocblas_syrkx_herkx_restricted_kernelIl19rocblas_complex_numIdELi16ELi32ELi8ELb1ELb1ELc84ELc76EKS1_S1_EviT_T0_PT8_S3_lS6_S3_lS4_PT9_S3_li
; %bb.0:
	s_load_b512 s[16:31], s[0:1], 0x8
	v_mov_b32_e32 v16, 0
	v_dual_mov_b32 v17, 0 :: v_dual_and_b32 v20, 0x3ff, v0
	v_bfe_u32 v21, v0, 10, 10
	s_delay_alu instid0(VALU_DEP_3) | instskip(NEXT) | instid1(VALU_DEP_3)
	v_mov_b32_e32 v12, v16
	v_dual_mov_b32 v14, v16 :: v_dual_mov_b32 v15, v17
	v_dual_mov_b32 v19, v17 :: v_dual_mov_b32 v18, v16
	;; [unrolled: 1-line block ×6, first 2 shown]
	v_mov_b32_e32 v5, v17
	s_lshl_b32 s8, s13, 5
	s_waitcnt lgkmcnt(0)
	v_cmp_lt_i64_e64 s2, s[16:17], 1
	s_lshl_b32 s9, s14, 5
	s_delay_alu instid0(VALU_DEP_1)
	s_and_b32 vcc_lo, exec_lo, s2
	s_cbranch_vccnz .LBB1335_3
; %bb.1:
	v_lshl_add_u32 v2, v21, 4, v20
	v_dual_mov_b32 v1, 0 :: v_dual_and_b32 v0, 7, v20
	s_load_b64 s[2:3], s[0:1], 0x48
	v_lshlrev_b32_e32 v22, 4, v20
	s_delay_alu instid0(VALU_DEP_3)
	v_and_b32_e32 v8, 31, v2
	v_lshrrev_b32_e32 v9, 3, v2
	v_lshrrev_b32_e32 v2, 5, v2
	v_mov_b32_e32 v3, v1
	v_lshlrev_b32_e32 v11, 4, v0
	v_add_nc_u32_e32 v6, s8, v8
	v_add_nc_u32_e32 v10, s9, v9
	s_mul_i32 s5, s27, s15
	s_mul_hi_u32 s6, s26, s15
	s_mul_i32 s4, s26, s15
	v_ashrrev_i32_e32 v7, 31, v6
	v_ashrrev_i32_e32 v12, 31, v10
	v_mad_u64_u32 v[4:5], null, s24, v6, v[2:3]
	v_mul_lo_u32 v3, s25, v6
	s_delay_alu instid0(VALU_DEP_4)
	v_mul_lo_u32 v13, s24, v7
	v_mul_lo_u32 v14, v10, s31
	v_mad_u64_u32 v[6:7], null, v10, s30, v[0:1]
	v_mul_lo_u32 v0, v12, s30
	v_lshlrev_b32_e32 v1, 4, v8
	s_add_i32 s5, s6, s5
	s_waitcnt lgkmcnt(0)
	s_mul_i32 s3, s3, s15
	v_add3_u32 v5, v3, v5, v13
	s_lshl_b64 s[4:5], s[4:5], 4
	v_lshl_or_b32 v23, v2, 9, v1
	s_mul_hi_u32 s6, s2, s15
	v_add3_u32 v7, v0, v7, v14
	v_lshlrev_b64 v[0:1], 4, v[4:5]
	s_add_u32 s4, s22, s4
	s_addc_u32 s5, s23, s5
	s_add_i32 s3, s6, s3
	s_mul_i32 s2, s2, s15
	v_lshlrev_b64 v[2:3], 4, v[6:7]
	s_lshl_b64 s[2:3], s[2:3], 4
	v_add_co_u32 v0, vcc_lo, s4, v0
	s_add_u32 s2, s28, s2
	v_add_co_ci_u32_e32 v1, vcc_lo, s5, v1, vcc_lo
	v_mov_b32_e32 v4, 0
	v_lshl_or_b32 v8, v9, 7, v11
	s_addc_u32 s3, s29, s3
	v_add_co_u32 v2, vcc_lo, s2, v2
	v_mov_b32_e32 v5, 0
	v_add_co_ci_u32_e32 v3, vcc_lo, s3, v3, vcc_lo
	v_add_co_u32 v0, vcc_lo, v0, 8
	s_delay_alu instid0(VALU_DEP_3)
	v_dual_mov_b32 v9, v5 :: v_dual_add_nc_u32 v24, 0x1000, v8
	v_add_co_ci_u32_e32 v1, vcc_lo, 0, v1, vcc_lo
	v_mov_b32_e32 v11, v5
	v_add_co_u32 v2, vcc_lo, v2, 8
	v_dual_mov_b32 v10, v4 :: v_dual_mov_b32 v15, v5
	v_dual_mov_b32 v8, v4 :: v_dual_mov_b32 v13, v5
	;; [unrolled: 1-line block ×4, first 2 shown]
	v_mov_b32_e32 v17, v5
	v_lshl_add_u32 v25, v21, 7, 0x1000
	v_add_co_ci_u32_e32 v3, vcc_lo, 0, v3, vcc_lo
	v_mov_b32_e32 v6, v4
	v_mov_b32_e32 v18, v4
	;; [unrolled: 1-line block ×3, first 2 shown]
	s_mov_b64 s[2:3], 0
.LBB1335_2:                             ; =>This Inner Loop Header: Depth=1
	global_load_b128 v[26:29], v[0:1], off offset:-8
	global_load_b128 v[30:33], v[2:3], off offset:-8
	s_add_u32 s2, s2, 8
	v_add_co_u32 v0, vcc_lo, 0x80, v0
	s_addc_u32 s3, s3, 0
	v_add_co_ci_u32_e32 v1, vcc_lo, 0, v1, vcc_lo
	v_cmp_ge_u64_e64 s4, s[2:3], s[16:17]
	v_add_co_u32 v2, vcc_lo, 0x80, v2
	v_add_co_ci_u32_e32 v3, vcc_lo, 0, v3, vcc_lo
	s_waitcnt vmcnt(1)
	ds_store_b128 v23, v[26:29]
	s_waitcnt vmcnt(0)
	ds_store_b128 v24, v[30:33]
	s_waitcnt lgkmcnt(0)
	s_barrier
	buffer_gl0_inv
	ds_load_b128 v[26:29], v25
	ds_load_b128 v[30:33], v22
	ds_load_b128 v[34:37], v22 offset:256
	ds_load_b128 v[38:41], v25 offset:2048
	ds_load_b128 v[42:45], v25 offset:16
	ds_load_b128 v[46:49], v25 offset:2064
	ds_load_b128 v[50:53], v22 offset:512
	ds_load_b128 v[54:57], v22 offset:768
	ds_load_b128 v[58:61], v25 offset:32
	ds_load_b128 v[62:65], v25 offset:48
	ds_load_b128 v[66:69], v22 offset:1024
	ds_load_b128 v[70:73], v22 offset:1280
	ds_load_b128 v[74:77], v25 offset:2080
	ds_load_b128 v[78:81], v25 offset:2096
	ds_load_b128 v[82:85], v22 offset:1536
	s_and_b32 vcc_lo, exec_lo, s4
	s_waitcnt lgkmcnt(13)
	v_mul_f64 v[86:87], v[28:29], v[32:33]
	v_mul_f64 v[88:89], v[26:27], v[32:33]
	s_waitcnt lgkmcnt(12)
	v_mul_f64 v[90:91], v[28:29], v[36:37]
	v_mul_f64 v[92:93], v[26:27], v[36:37]
	;; [unrolled: 3-line block ×3, first 2 shown]
	v_mul_f64 v[96:97], v[40:41], v[36:37]
	v_mul_f64 v[36:37], v[38:39], v[36:37]
	s_waitcnt lgkmcnt(8)
	v_mul_f64 v[98:99], v[44:45], v[52:53]
	v_mul_f64 v[100:101], v[42:43], v[52:53]
	s_waitcnt lgkmcnt(7)
	v_mul_f64 v[102:103], v[44:45], v[56:57]
	v_mul_f64 v[104:105], v[42:43], v[56:57]
	;; [unrolled: 1-line block ×6, first 2 shown]
	s_waitcnt lgkmcnt(3)
	v_mul_f64 v[112:113], v[58:59], v[72:73]
	s_waitcnt lgkmcnt(2)
	v_mul_f64 v[114:115], v[76:77], v[68:69]
	v_mul_f64 v[116:117], v[76:77], v[72:73]
	v_fma_f64 v[86:87], v[26:27], v[30:31], -v[86:87]
	v_fma_f64 v[88:89], v[28:29], v[30:31], v[88:89]
	v_fma_f64 v[90:91], v[26:27], v[34:35], -v[90:91]
	v_fma_f64 v[92:93], v[28:29], v[34:35], v[92:93]
	;; [unrolled: 2-line block ×4, first 2 shown]
	v_mul_f64 v[36:37], v[60:61], v[68:69]
	v_mul_f64 v[40:41], v[58:59], v[68:69]
	;; [unrolled: 1-line block ×5, first 2 shown]
	v_fma_f64 v[98:99], v[42:43], v[50:51], -v[98:99]
	v_fma_f64 v[100:101], v[44:45], v[50:51], v[100:101]
	v_fma_f64 v[42:43], v[42:43], v[54:55], -v[102:103]
	v_fma_f64 v[44:45], v[44:45], v[54:55], v[104:105]
	;; [unrolled: 2-line block ×4, first 2 shown]
	ds_load_b128 v[26:29], v22 offset:1792
	ds_load_b128 v[30:33], v22 offset:2048
	s_waitcnt lgkmcnt(2)
	v_mul_f64 v[56:57], v[64:65], v[84:85]
	v_add_f64 v[16:17], v[16:17], v[86:87]
	v_add_f64 v[18:19], v[18:19], v[88:89]
	v_add_f64 v[12:13], v[12:13], v[90:91]
	v_add_f64 v[14:15], v[14:15], v[92:93]
	v_add_f64 v[52:53], v[8:9], v[94:95]
	v_add_f64 v[54:55], v[10:11], v[110:111]
	v_add_f64 v[38:39], v[6:7], v[38:39]
	v_add_f64 v[34:35], v[4:5], v[34:35]
	v_mul_f64 v[86:87], v[62:63], v[84:85]
	s_waitcnt lgkmcnt(1)
	v_mul_f64 v[88:89], v[64:65], v[28:29]
	v_mul_f64 v[90:91], v[62:63], v[28:29]
	;; [unrolled: 1-line block ×6, first 2 shown]
	v_fma_f64 v[104:105], v[58:59], v[66:67], -v[36:37]
	v_fma_f64 v[106:107], v[60:61], v[66:67], v[40:41]
	v_fma_f64 v[58:59], v[58:59], v[70:71], -v[96:97]
	v_fma_f64 v[60:61], v[60:61], v[70:71], v[112:113]
	;; [unrolled: 2-line block ×4, first 2 shown]
	ds_load_b128 v[4:7], v22 offset:2304
	ds_load_b128 v[8:11], v25 offset:64
	v_fma_f64 v[56:57], v[62:63], v[82:83], -v[56:57]
	v_add_f64 v[72:73], v[16:17], v[98:99]
	v_add_f64 v[74:75], v[18:19], v[100:101]
	;; [unrolled: 1-line block ×8, first 2 shown]
	ds_load_b128 v[12:15], v25 offset:2112
	ds_load_b128 v[16:19], v25 offset:80
	ds_load_b128 v[34:37], v25 offset:2128
	ds_load_b128 v[38:41], v22 offset:2560
	s_waitcnt lgkmcnt(4)
	v_mul_f64 v[54:55], v[10:11], v[32:33]
	v_mul_f64 v[76:77], v[8:9], v[32:33]
	;; [unrolled: 1-line block ×4, first 2 shown]
	v_fma_f64 v[86:87], v[64:65], v[82:83], v[86:87]
	v_fma_f64 v[62:63], v[62:63], v[26:27], -v[88:89]
	v_fma_f64 v[64:65], v[64:65], v[26:27], v[90:91]
	v_fma_f64 v[88:89], v[78:79], v[82:83], -v[92:93]
	;; [unrolled: 2-line block ×3, first 2 shown]
	v_fma_f64 v[80:81], v[80:81], v[26:27], v[28:29]
	s_waitcnt lgkmcnt(3)
	v_mul_f64 v[102:103], v[14:15], v[32:33]
	v_mul_f64 v[32:33], v[12:13], v[32:33]
	;; [unrolled: 1-line block ×4, first 2 shown]
	s_waitcnt lgkmcnt(0)
	v_mul_f64 v[90:91], v[18:19], v[40:41]
	v_mul_f64 v[92:93], v[16:17], v[40:41]
	v_add_f64 v[72:73], v[72:73], v[104:105]
	v_add_f64 v[74:75], v[74:75], v[106:107]
	;; [unrolled: 1-line block ×8, first 2 shown]
	ds_load_b128 v[26:29], v22 offset:2816
	ds_load_b128 v[42:45], v22 offset:3072
	;; [unrolled: 1-line block ×4, first 2 shown]
	v_mul_f64 v[104:105], v[36:37], v[40:41]
	v_mul_f64 v[40:41], v[34:35], v[40:41]
	v_fma_f64 v[54:55], v[8:9], v[30:31], -v[54:55]
	v_fma_f64 v[76:77], v[10:11], v[30:31], v[76:77]
	v_fma_f64 v[98:99], v[8:9], v[4:5], -v[98:99]
	v_fma_f64 v[100:101], v[10:11], v[4:5], v[100:101]
	s_waitcnt lgkmcnt(3)
	v_mul_f64 v[94:95], v[18:19], v[28:29]
	v_mul_f64 v[96:97], v[16:17], v[28:29]
	;; [unrolled: 1-line block ×4, first 2 shown]
	v_fma_f64 v[102:103], v[12:13], v[30:31], -v[102:103]
	v_fma_f64 v[32:33], v[14:15], v[30:31], v[32:33]
	v_fma_f64 v[108:109], v[12:13], v[4:5], -v[108:109]
	v_fma_f64 v[112:113], v[14:15], v[4:5], v[6:7]
	ds_load_b128 v[4:7], v25 offset:2144
	ds_load_b128 v[8:11], v25 offset:112
	ds_load_b128 v[12:15], v25 offset:2160
	ds_load_b128 v[28:31], v22 offset:3584
	v_add_f64 v[56:57], v[72:73], v[56:57]
	v_add_f64 v[72:73], v[74:75], v[86:87]
	;; [unrolled: 1-line block ×8, first 2 shown]
	s_waitcnt lgkmcnt(4)
	v_mul_f64 v[70:71], v[52:53], v[44:45]
	v_mul_f64 v[74:75], v[50:51], v[44:45]
	;; [unrolled: 1-line block ×4, first 2 shown]
	s_waitcnt lgkmcnt(3)
	v_mul_f64 v[82:83], v[6:7], v[44:45]
	v_mul_f64 v[44:45], v[4:5], v[44:45]
	;; [unrolled: 1-line block ×4, first 2 shown]
	v_fma_f64 v[86:87], v[16:17], v[38:39], -v[90:91]
	v_fma_f64 v[88:89], v[18:19], v[38:39], v[92:93]
	v_fma_f64 v[90:91], v[16:17], v[26:27], -v[94:95]
	v_fma_f64 v[92:93], v[18:19], v[26:27], v[96:97]
	;; [unrolled: 2-line block ×4, first 2 shown]
	ds_load_b128 v[16:19], v22 offset:3840
	s_waitcnt lgkmcnt(0)
	s_barrier
	buffer_gl0_inv
	v_add_f64 v[36:37], v[56:57], v[54:55]
	v_add_f64 v[40:41], v[72:73], v[76:77]
	;; [unrolled: 1-line block ×8, first 2 shown]
	v_mul_f64 v[64:65], v[10:11], v[30:31]
	v_mul_f64 v[66:67], v[8:9], v[30:31]
	;; [unrolled: 1-line block ×4, first 2 shown]
	v_fma_f64 v[70:71], v[50:51], v[42:43], -v[70:71]
	v_mul_f64 v[68:69], v[10:11], v[18:19]
	v_mul_f64 v[72:73], v[8:9], v[18:19]
	;; [unrolled: 1-line block ×4, first 2 shown]
	v_fma_f64 v[74:75], v[52:53], v[42:43], v[74:75]
	v_fma_f64 v[50:51], v[50:51], v[46:47], -v[78:79]
	v_fma_f64 v[52:53], v[52:53], v[46:47], v[80:81]
	v_fma_f64 v[78:79], v[4:5], v[42:43], -v[82:83]
	;; [unrolled: 2-line block ×3, first 2 shown]
	v_fma_f64 v[6:7], v[6:7], v[46:47], v[48:49]
	v_add_f64 v[36:37], v[36:37], v[86:87]
	v_add_f64 v[40:41], v[40:41], v[88:89]
	v_add_f64 v[44:45], v[54:55], v[90:91]
	v_add_f64 v[46:47], v[56:57], v[92:93]
	v_add_f64 v[48:49], v[58:59], v[94:95]
	v_add_f64 v[32:33], v[32:33], v[38:39]
	v_add_f64 v[34:35], v[60:61], v[34:35]
	v_add_f64 v[26:27], v[62:63], v[26:27]
	v_fma_f64 v[38:39], v[8:9], v[28:29], -v[64:65]
	v_fma_f64 v[54:55], v[10:11], v[28:29], v[66:67]
	v_fma_f64 v[56:57], v[12:13], v[28:29], -v[76:77]
	v_fma_f64 v[28:29], v[14:15], v[28:29], v[30:31]
	;; [unrolled: 2-line block ×4, first 2 shown]
	v_add_f64 v[12:13], v[36:37], v[70:71]
	v_add_f64 v[14:15], v[40:41], v[74:75]
	v_add_f64 v[36:37], v[44:45], v[50:51]
	v_add_f64 v[40:41], v[46:47], v[52:53]
	v_add_f64 v[44:45], v[48:49], v[78:79]
	v_add_f64 v[32:33], v[32:33], v[42:43]
	v_add_f64 v[4:5], v[34:35], v[4:5]
	v_add_f64 v[26:27], v[26:27], v[6:7]
	v_add_f64 v[16:17], v[12:13], v[38:39]
	v_add_f64 v[18:19], v[14:15], v[54:55]
	v_add_f64 v[12:13], v[36:37], v[8:9]
	v_add_f64 v[14:15], v[40:41], v[10:11]
	v_add_f64 v[8:9], v[44:45], v[56:57]
	v_add_f64 v[10:11], v[32:33], v[28:29]
	v_add_f64 v[6:7], v[4:5], v[30:31]
	v_add_f64 v[4:5], v[26:27], v[58:59]
	s_cbranch_vccz .LBB1335_2
.LBB1335_3:
	s_clause 0x1
	s_load_b128 s[4:7], s[0:1], 0x60
	s_load_b32 s2, s[0:1], 0x0
	v_add_nc_u32_e32 v21, s9, v21
	s_load_b64 s[10:11], s[0:1], 0x70
	s_delay_alu instid0(VALU_DEP_1) | instskip(SKIP_1) | instid1(VALU_DEP_1)
	v_ashrrev_i32_e32 v0, 31, v21
	s_waitcnt lgkmcnt(0)
	v_mul_lo_u32 v3, v0, s6
	v_mul_lo_u32 v22, v21, s7
	v_mad_u64_u32 v[1:2], null, v21, s6, 0
	s_mul_i32 s1, s15, s11
	s_mul_hi_u32 s3, s15, s10
	v_add_nc_u32_e32 v0, s8, v20
	s_mul_i32 s8, s15, s10
	s_add_i32 s9, s3, s1
	s_delay_alu instid0(VALU_DEP_2)
	v_add3_u32 v2, v2, v22, v3
	s_lshl_b64 s[8:9], s[8:9], 4
	v_cmp_le_i32_e64 s0, v21, v0
	s_add_u32 s3, s4, s8
	v_cmp_gt_i32_e32 vcc_lo, s2, v0
	v_lshlrev_b64 v[1:2], 4, v[1:2]
	s_addc_u32 s4, s5, s9
	s_and_b32 s0, s0, vcc_lo
	s_delay_alu instid0(VALU_DEP_1) | instskip(NEXT) | instid1(VALU_DEP_1)
	v_add_co_u32 v20, s1, s3, v1
	v_add_co_ci_u32_e64 v22, s1, s4, v2, s1
	s_and_saveexec_b32 s5, s0
	s_cbranch_execz .LBB1335_5
; %bb.4:
	v_mul_f64 v[1:2], s[18:19], v[18:19]
	v_mul_f64 v[18:19], s[20:21], v[18:19]
	v_cmp_ne_u32_e64 s0, v21, v0
	s_delay_alu instid0(VALU_DEP_3) | instskip(NEXT) | instid1(VALU_DEP_3)
	v_fma_f64 v[2:3], s[20:21], v[16:17], v[1:2]
	v_fma_f64 v[16:17], s[18:19], v[16:17], -v[18:19]
	v_ashrrev_i32_e32 v1, 31, v0
	s_delay_alu instid0(VALU_DEP_1) | instskip(NEXT) | instid1(VALU_DEP_1)
	v_lshlrev_b64 v[18:19], 4, v[0:1]
	v_add_co_u32 v23, s1, v20, v18
	s_delay_alu instid0(VALU_DEP_1)
	v_add_co_ci_u32_e64 v24, s1, v22, v19, s1
	v_cndmask_b32_e64 v19, 0, v3, s0
	v_cndmask_b32_e64 v18, 0, v2, s0
	global_store_b128 v[23:24], v[16:19], off
.LBB1335_5:
	s_or_b32 exec_lo, exec_lo, s5
	v_add_nc_u32_e32 v2, 16, v0
	s_delay_alu instid0(VALU_DEP_1) | instskip(SKIP_1) | instid1(VALU_DEP_1)
	v_cmp_le_i32_e64 s1, v21, v2
	v_cmp_gt_i32_e64 s0, s2, v2
	s_and_b32 s1, s1, s0
	s_delay_alu instid0(SALU_CYCLE_1)
	s_and_saveexec_b32 s5, s1
	s_cbranch_execz .LBB1335_7
; %bb.6:
	v_mul_f64 v[16:17], s[18:19], v[14:15]
	v_mul_f64 v[14:15], s[20:21], v[14:15]
	v_ashrrev_i32_e32 v3, 31, v2
	v_cmp_ne_u32_e64 s1, v21, v2
	s_delay_alu instid0(VALU_DEP_4) | instskip(NEXT) | instid1(VALU_DEP_4)
	v_fma_f64 v[16:17], s[20:21], v[12:13], v[16:17]
	v_fma_f64 v[12:13], s[18:19], v[12:13], -v[14:15]
	s_delay_alu instid0(VALU_DEP_4) | instskip(NEXT) | instid1(VALU_DEP_1)
	v_lshlrev_b64 v[14:15], 4, v[2:3]
	v_add_co_u32 v18, s2, v20, v14
	s_delay_alu instid0(VALU_DEP_1)
	v_add_co_ci_u32_e64 v19, s2, v22, v15, s2
	v_cndmask_b32_e64 v15, 0, v17, s1
	v_cndmask_b32_e64 v14, 0, v16, s1
	global_store_b128 v[18:19], v[12:15], off
.LBB1335_7:
	s_or_b32 exec_lo, exec_lo, s5
	v_add_nc_u32_e32 v3, 16, v21
	s_delay_alu instid0(VALU_DEP_1) | instskip(SKIP_3) | instid1(VALU_DEP_4)
	v_ashrrev_i32_e32 v1, 31, v3
	v_mul_lo_u32 v14, v3, s7
	v_mad_u64_u32 v[12:13], null, v3, s6, 0
	v_cmp_le_i32_e64 s1, v3, v0
	v_mul_lo_u32 v1, v1, s6
	s_delay_alu instid0(VALU_DEP_2) | instskip(NEXT) | instid1(VALU_DEP_1)
	s_and_b32 s1, s1, vcc_lo
	v_add3_u32 v13, v13, v14, v1
	s_delay_alu instid0(VALU_DEP_1) | instskip(NEXT) | instid1(VALU_DEP_1)
	v_lshlrev_b64 v[12:13], 4, v[12:13]
	v_add_co_u32 v12, s2, s3, v12
	s_delay_alu instid0(VALU_DEP_1)
	v_add_co_ci_u32_e64 v13, s2, s4, v13, s2
	s_and_saveexec_b32 s2, s1
	s_cbranch_execz .LBB1335_9
; %bb.8:
	v_mul_f64 v[14:15], s[18:19], v[10:11]
	v_mul_f64 v[10:11], s[20:21], v[10:11]
	v_ashrrev_i32_e32 v1, 31, v0
	v_cmp_ne_u32_e32 vcc_lo, v3, v0
	s_delay_alu instid0(VALU_DEP_4) | instskip(NEXT) | instid1(VALU_DEP_4)
	v_fma_f64 v[14:15], s[20:21], v[8:9], v[14:15]
	v_fma_f64 v[8:9], s[18:19], v[8:9], -v[10:11]
	s_delay_alu instid0(VALU_DEP_4) | instskip(NEXT) | instid1(VALU_DEP_1)
	v_lshlrev_b64 v[10:11], 4, v[0:1]
	v_add_co_u32 v16, s1, v12, v10
	s_delay_alu instid0(VALU_DEP_1)
	v_add_co_ci_u32_e64 v17, s1, v13, v11, s1
	v_dual_cndmask_b32 v11, 0, v15 :: v_dual_cndmask_b32 v10, 0, v14
	global_store_b128 v[16:17], v[8:11], off
.LBB1335_9:
	s_or_b32 exec_lo, exec_lo, s2
	v_cmp_le_i32_e32 vcc_lo, v3, v2
	s_and_b32 s0, vcc_lo, s0
	s_delay_alu instid0(SALU_CYCLE_1)
	s_and_saveexec_b32 s1, s0
	s_cbranch_execz .LBB1335_11
; %bb.10:
	v_mul_f64 v[8:9], s[18:19], v[4:5]
	v_mul_f64 v[3:4], s[20:21], v[4:5]
	v_cmp_ne_u32_e32 vcc_lo, v21, v0
	s_delay_alu instid0(VALU_DEP_3) | instskip(NEXT) | instid1(VALU_DEP_3)
	v_fma_f64 v[8:9], s[20:21], v[6:7], v[8:9]
	v_fma_f64 v[4:5], s[18:19], v[6:7], -v[3:4]
	v_ashrrev_i32_e32 v3, 31, v2
	s_delay_alu instid0(VALU_DEP_1) | instskip(NEXT) | instid1(VALU_DEP_1)
	v_lshlrev_b64 v[1:2], 4, v[2:3]
	v_add_co_u32 v0, s0, v12, v1
	s_delay_alu instid0(VALU_DEP_1)
	v_add_co_ci_u32_e64 v1, s0, v13, v2, s0
	v_dual_cndmask_b32 v7, 0, v9 :: v_dual_cndmask_b32 v6, 0, v8
	global_store_b128 v[0:1], v[4:7], off
.LBB1335_11:
	s_nop 0
	s_sendmsg sendmsg(MSG_DEALLOC_VGPRS)
	s_endpgm
	.section	.rodata,"a",@progbits
	.p2align	6, 0x0
	.amdhsa_kernel _ZL37rocblas_syrkx_herkx_restricted_kernelIl19rocblas_complex_numIdELi16ELi32ELi8ELb1ELb1ELc84ELc76EKS1_S1_EviT_T0_PT8_S3_lS6_S3_lS4_PT9_S3_li
		.amdhsa_group_segment_fixed_size 8192
		.amdhsa_private_segment_fixed_size 0
		.amdhsa_kernarg_size 124
		.amdhsa_user_sgpr_count 13
		.amdhsa_user_sgpr_dispatch_ptr 0
		.amdhsa_user_sgpr_queue_ptr 0
		.amdhsa_user_sgpr_kernarg_segment_ptr 1
		.amdhsa_user_sgpr_dispatch_id 0
		.amdhsa_user_sgpr_private_segment_size 0
		.amdhsa_wavefront_size32 1
		.amdhsa_uses_dynamic_stack 0
		.amdhsa_enable_private_segment 0
		.amdhsa_system_sgpr_workgroup_id_x 1
		.amdhsa_system_sgpr_workgroup_id_y 1
		.amdhsa_system_sgpr_workgroup_id_z 1
		.amdhsa_system_sgpr_workgroup_info 0
		.amdhsa_system_vgpr_workitem_id 1
		.amdhsa_next_free_vgpr 118
		.amdhsa_next_free_sgpr 32
		.amdhsa_reserve_vcc 1
		.amdhsa_float_round_mode_32 0
		.amdhsa_float_round_mode_16_64 0
		.amdhsa_float_denorm_mode_32 3
		.amdhsa_float_denorm_mode_16_64 3
		.amdhsa_dx10_clamp 1
		.amdhsa_ieee_mode 1
		.amdhsa_fp16_overflow 0
		.amdhsa_workgroup_processor_mode 1
		.amdhsa_memory_ordered 1
		.amdhsa_forward_progress 0
		.amdhsa_shared_vgpr_count 0
		.amdhsa_exception_fp_ieee_invalid_op 0
		.amdhsa_exception_fp_denorm_src 0
		.amdhsa_exception_fp_ieee_div_zero 0
		.amdhsa_exception_fp_ieee_overflow 0
		.amdhsa_exception_fp_ieee_underflow 0
		.amdhsa_exception_fp_ieee_inexact 0
		.amdhsa_exception_int_div_zero 0
	.end_amdhsa_kernel
	.section	.text._ZL37rocblas_syrkx_herkx_restricted_kernelIl19rocblas_complex_numIdELi16ELi32ELi8ELb1ELb1ELc84ELc76EKS1_S1_EviT_T0_PT8_S3_lS6_S3_lS4_PT9_S3_li,"axG",@progbits,_ZL37rocblas_syrkx_herkx_restricted_kernelIl19rocblas_complex_numIdELi16ELi32ELi8ELb1ELb1ELc84ELc76EKS1_S1_EviT_T0_PT8_S3_lS6_S3_lS4_PT9_S3_li,comdat
.Lfunc_end1335:
	.size	_ZL37rocblas_syrkx_herkx_restricted_kernelIl19rocblas_complex_numIdELi16ELi32ELi8ELb1ELb1ELc84ELc76EKS1_S1_EviT_T0_PT8_S3_lS6_S3_lS4_PT9_S3_li, .Lfunc_end1335-_ZL37rocblas_syrkx_herkx_restricted_kernelIl19rocblas_complex_numIdELi16ELi32ELi8ELb1ELb1ELc84ELc76EKS1_S1_EviT_T0_PT8_S3_lS6_S3_lS4_PT9_S3_li
                                        ; -- End function
	.section	.AMDGPU.csdata,"",@progbits
; Kernel info:
; codeLenInByte = 3216
; NumSgprs: 34
; NumVgprs: 118
; ScratchSize: 0
; MemoryBound: 0
; FloatMode: 240
; IeeeMode: 1
; LDSByteSize: 8192 bytes/workgroup (compile time only)
; SGPRBlocks: 4
; VGPRBlocks: 14
; NumSGPRsForWavesPerEU: 34
; NumVGPRsForWavesPerEU: 118
; Occupancy: 12
; WaveLimiterHint : 1
; COMPUTE_PGM_RSRC2:SCRATCH_EN: 0
; COMPUTE_PGM_RSRC2:USER_SGPR: 13
; COMPUTE_PGM_RSRC2:TRAP_HANDLER: 0
; COMPUTE_PGM_RSRC2:TGID_X_EN: 1
; COMPUTE_PGM_RSRC2:TGID_Y_EN: 1
; COMPUTE_PGM_RSRC2:TGID_Z_EN: 1
; COMPUTE_PGM_RSRC2:TIDIG_COMP_CNT: 1
	.section	.text._ZL37rocblas_syrkx_herkx_restricted_kernelIl19rocblas_complex_numIdELi16ELi32ELi8ELb1ELb1ELc67ELc76EKS1_S1_EviT_T0_PT8_S3_lS6_S3_lS4_PT9_S3_li,"axG",@progbits,_ZL37rocblas_syrkx_herkx_restricted_kernelIl19rocblas_complex_numIdELi16ELi32ELi8ELb1ELb1ELc67ELc76EKS1_S1_EviT_T0_PT8_S3_lS6_S3_lS4_PT9_S3_li,comdat
	.globl	_ZL37rocblas_syrkx_herkx_restricted_kernelIl19rocblas_complex_numIdELi16ELi32ELi8ELb1ELb1ELc67ELc76EKS1_S1_EviT_T0_PT8_S3_lS6_S3_lS4_PT9_S3_li ; -- Begin function _ZL37rocblas_syrkx_herkx_restricted_kernelIl19rocblas_complex_numIdELi16ELi32ELi8ELb1ELb1ELc67ELc76EKS1_S1_EviT_T0_PT8_S3_lS6_S3_lS4_PT9_S3_li
	.p2align	8
	.type	_ZL37rocblas_syrkx_herkx_restricted_kernelIl19rocblas_complex_numIdELi16ELi32ELi8ELb1ELb1ELc67ELc76EKS1_S1_EviT_T0_PT8_S3_lS6_S3_lS4_PT9_S3_li,@function
_ZL37rocblas_syrkx_herkx_restricted_kernelIl19rocblas_complex_numIdELi16ELi32ELi8ELb1ELb1ELc67ELc76EKS1_S1_EviT_T0_PT8_S3_lS6_S3_lS4_PT9_S3_li: ; @_ZL37rocblas_syrkx_herkx_restricted_kernelIl19rocblas_complex_numIdELi16ELi32ELi8ELb1ELb1ELc67ELc76EKS1_S1_EviT_T0_PT8_S3_lS6_S3_lS4_PT9_S3_li
; %bb.0:
	s_load_b512 s[16:31], s[0:1], 0x8
	v_mov_b32_e32 v16, 0
	v_dual_mov_b32 v17, 0 :: v_dual_and_b32 v20, 0x3ff, v0
	v_bfe_u32 v21, v0, 10, 10
	s_delay_alu instid0(VALU_DEP_3) | instskip(NEXT) | instid1(VALU_DEP_3)
	v_mov_b32_e32 v12, v16
	v_dual_mov_b32 v14, v16 :: v_dual_mov_b32 v15, v17
	v_dual_mov_b32 v19, v17 :: v_dual_mov_b32 v18, v16
	;; [unrolled: 1-line block ×6, first 2 shown]
	v_mov_b32_e32 v5, v17
	s_lshl_b32 s8, s13, 5
	s_waitcnt lgkmcnt(0)
	v_cmp_lt_i64_e64 s2, s[16:17], 1
	s_lshl_b32 s9, s14, 5
	s_delay_alu instid0(VALU_DEP_1)
	s_and_b32 vcc_lo, exec_lo, s2
	s_cbranch_vccnz .LBB1336_3
; %bb.1:
	v_lshl_add_u32 v2, v21, 4, v20
	v_dual_mov_b32 v1, 0 :: v_dual_and_b32 v0, 7, v20
	s_load_b64 s[2:3], s[0:1], 0x48
	v_lshlrev_b32_e32 v22, 4, v20
	s_delay_alu instid0(VALU_DEP_3)
	v_and_b32_e32 v8, 31, v2
	v_lshrrev_b32_e32 v9, 3, v2
	v_lshrrev_b32_e32 v2, 5, v2
	v_mov_b32_e32 v3, v1
	v_lshlrev_b32_e32 v11, 4, v0
	v_add_nc_u32_e32 v6, s8, v8
	v_add_nc_u32_e32 v10, s9, v9
	s_mul_i32 s5, s27, s15
	s_mul_hi_u32 s6, s26, s15
	s_mul_i32 s4, s26, s15
	v_ashrrev_i32_e32 v7, 31, v6
	v_ashrrev_i32_e32 v12, 31, v10
	v_mad_u64_u32 v[4:5], null, s24, v6, v[2:3]
	v_mul_lo_u32 v3, s25, v6
	s_delay_alu instid0(VALU_DEP_4)
	v_mul_lo_u32 v13, s24, v7
	v_mul_lo_u32 v14, v10, s31
	v_mad_u64_u32 v[6:7], null, v10, s30, v[0:1]
	v_mul_lo_u32 v0, v12, s30
	v_lshlrev_b32_e32 v1, 4, v8
	s_add_i32 s5, s6, s5
	s_waitcnt lgkmcnt(0)
	s_mul_i32 s3, s3, s15
	v_add3_u32 v5, v3, v5, v13
	s_lshl_b64 s[4:5], s[4:5], 4
	v_lshl_or_b32 v23, v2, 9, v1
	s_mul_hi_u32 s6, s2, s15
	v_add3_u32 v7, v0, v7, v14
	v_lshlrev_b64 v[0:1], 4, v[4:5]
	s_add_u32 s4, s22, s4
	s_addc_u32 s5, s23, s5
	s_add_i32 s3, s6, s3
	s_mul_i32 s2, s2, s15
	v_lshlrev_b64 v[2:3], 4, v[6:7]
	s_lshl_b64 s[2:3], s[2:3], 4
	v_add_co_u32 v0, vcc_lo, s4, v0
	s_add_u32 s2, s28, s2
	v_add_co_ci_u32_e32 v1, vcc_lo, s5, v1, vcc_lo
	v_mov_b32_e32 v4, 0
	v_lshl_or_b32 v8, v9, 7, v11
	s_addc_u32 s3, s29, s3
	v_add_co_u32 v2, vcc_lo, s2, v2
	v_mov_b32_e32 v5, 0
	v_add_co_ci_u32_e32 v3, vcc_lo, s3, v3, vcc_lo
	v_add_co_u32 v0, vcc_lo, v0, 8
	s_delay_alu instid0(VALU_DEP_3)
	v_dual_mov_b32 v9, v5 :: v_dual_add_nc_u32 v24, 0x1000, v8
	v_add_co_ci_u32_e32 v1, vcc_lo, 0, v1, vcc_lo
	v_mov_b32_e32 v11, v5
	v_add_co_u32 v2, vcc_lo, v2, 8
	v_dual_mov_b32 v10, v4 :: v_dual_mov_b32 v15, v5
	v_dual_mov_b32 v8, v4 :: v_dual_mov_b32 v13, v5
	;; [unrolled: 1-line block ×4, first 2 shown]
	v_mov_b32_e32 v17, v5
	v_lshl_add_u32 v25, v21, 7, 0x1000
	v_add_co_ci_u32_e32 v3, vcc_lo, 0, v3, vcc_lo
	v_mov_b32_e32 v6, v4
	v_mov_b32_e32 v18, v4
	;; [unrolled: 1-line block ×3, first 2 shown]
	s_mov_b64 s[2:3], 0
.LBB1336_2:                             ; =>This Inner Loop Header: Depth=1
	global_load_b128 v[26:29], v[0:1], off offset:-8
	global_load_b128 v[30:33], v[2:3], off offset:-8
	s_add_u32 s2, s2, 8
	v_add_co_u32 v0, vcc_lo, 0x80, v0
	s_addc_u32 s3, s3, 0
	v_add_co_ci_u32_e32 v1, vcc_lo, 0, v1, vcc_lo
	v_cmp_ge_u64_e64 s4, s[2:3], s[16:17]
	v_add_co_u32 v2, vcc_lo, 0x80, v2
	v_add_co_ci_u32_e32 v3, vcc_lo, 0, v3, vcc_lo
	s_delay_alu instid0(VALU_DEP_3)
	s_and_b32 vcc_lo, exec_lo, s4
	s_waitcnt vmcnt(1)
	v_xor_b32_e32 v29, 0x80000000, v29
	ds_store_b128 v23, v[26:29]
	s_waitcnt vmcnt(0)
	ds_store_b128 v24, v[30:33]
	s_waitcnt lgkmcnt(0)
	s_barrier
	buffer_gl0_inv
	ds_load_b128 v[26:29], v25
	ds_load_b128 v[30:33], v22
	ds_load_b128 v[34:37], v22 offset:256
	ds_load_b128 v[38:41], v25 offset:2048
	;; [unrolled: 1-line block ×13, first 2 shown]
	s_waitcnt lgkmcnt(13)
	v_mul_f64 v[86:87], v[28:29], v[32:33]
	v_mul_f64 v[88:89], v[26:27], v[32:33]
	s_waitcnt lgkmcnt(12)
	v_mul_f64 v[90:91], v[28:29], v[36:37]
	v_mul_f64 v[92:93], v[26:27], v[36:37]
	;; [unrolled: 3-line block ×3, first 2 shown]
	v_mul_f64 v[96:97], v[40:41], v[36:37]
	v_mul_f64 v[36:37], v[38:39], v[36:37]
	s_waitcnt lgkmcnt(8)
	v_mul_f64 v[98:99], v[44:45], v[52:53]
	v_mul_f64 v[100:101], v[42:43], v[52:53]
	s_waitcnt lgkmcnt(7)
	v_mul_f64 v[102:103], v[44:45], v[56:57]
	v_mul_f64 v[104:105], v[42:43], v[56:57]
	;; [unrolled: 1-line block ×6, first 2 shown]
	s_waitcnt lgkmcnt(3)
	v_mul_f64 v[112:113], v[58:59], v[72:73]
	s_waitcnt lgkmcnt(2)
	v_mul_f64 v[114:115], v[76:77], v[68:69]
	v_mul_f64 v[116:117], v[76:77], v[72:73]
	v_fma_f64 v[86:87], v[26:27], v[30:31], -v[86:87]
	v_fma_f64 v[88:89], v[28:29], v[30:31], v[88:89]
	v_fma_f64 v[90:91], v[26:27], v[34:35], -v[90:91]
	v_fma_f64 v[92:93], v[28:29], v[34:35], v[92:93]
	;; [unrolled: 2-line block ×4, first 2 shown]
	v_mul_f64 v[36:37], v[60:61], v[68:69]
	v_mul_f64 v[40:41], v[58:59], v[68:69]
	;; [unrolled: 1-line block ×5, first 2 shown]
	v_fma_f64 v[98:99], v[42:43], v[50:51], -v[98:99]
	v_fma_f64 v[100:101], v[44:45], v[50:51], v[100:101]
	v_fma_f64 v[42:43], v[42:43], v[54:55], -v[102:103]
	v_fma_f64 v[44:45], v[44:45], v[54:55], v[104:105]
	;; [unrolled: 2-line block ×4, first 2 shown]
	ds_load_b128 v[26:29], v22 offset:1792
	ds_load_b128 v[30:33], v22 offset:2048
	s_waitcnt lgkmcnt(2)
	v_mul_f64 v[56:57], v[64:65], v[84:85]
	v_add_f64 v[16:17], v[16:17], v[86:87]
	v_add_f64 v[18:19], v[18:19], v[88:89]
	;; [unrolled: 1-line block ×8, first 2 shown]
	v_mul_f64 v[86:87], v[62:63], v[84:85]
	s_waitcnt lgkmcnt(1)
	v_mul_f64 v[88:89], v[64:65], v[28:29]
	v_mul_f64 v[90:91], v[62:63], v[28:29]
	;; [unrolled: 1-line block ×6, first 2 shown]
	v_fma_f64 v[104:105], v[58:59], v[66:67], -v[36:37]
	v_fma_f64 v[106:107], v[60:61], v[66:67], v[40:41]
	v_fma_f64 v[58:59], v[58:59], v[70:71], -v[96:97]
	v_fma_f64 v[60:61], v[60:61], v[70:71], v[112:113]
	;; [unrolled: 2-line block ×4, first 2 shown]
	ds_load_b128 v[4:7], v22 offset:2304
	ds_load_b128 v[8:11], v25 offset:64
	v_fma_f64 v[56:57], v[62:63], v[82:83], -v[56:57]
	v_add_f64 v[72:73], v[16:17], v[98:99]
	v_add_f64 v[74:75], v[18:19], v[100:101]
	;; [unrolled: 1-line block ×8, first 2 shown]
	ds_load_b128 v[12:15], v25 offset:2112
	ds_load_b128 v[16:19], v25 offset:80
	;; [unrolled: 1-line block ×4, first 2 shown]
	s_waitcnt lgkmcnt(4)
	v_mul_f64 v[54:55], v[10:11], v[32:33]
	v_mul_f64 v[76:77], v[8:9], v[32:33]
	;; [unrolled: 1-line block ×4, first 2 shown]
	v_fma_f64 v[86:87], v[64:65], v[82:83], v[86:87]
	v_fma_f64 v[62:63], v[62:63], v[26:27], -v[88:89]
	v_fma_f64 v[64:65], v[64:65], v[26:27], v[90:91]
	v_fma_f64 v[88:89], v[78:79], v[82:83], -v[92:93]
	;; [unrolled: 2-line block ×3, first 2 shown]
	v_fma_f64 v[80:81], v[80:81], v[26:27], v[28:29]
	s_waitcnt lgkmcnt(3)
	v_mul_f64 v[102:103], v[14:15], v[32:33]
	v_mul_f64 v[32:33], v[12:13], v[32:33]
	;; [unrolled: 1-line block ×4, first 2 shown]
	s_waitcnt lgkmcnt(0)
	v_mul_f64 v[90:91], v[18:19], v[40:41]
	v_mul_f64 v[92:93], v[16:17], v[40:41]
	v_add_f64 v[72:73], v[72:73], v[104:105]
	v_add_f64 v[74:75], v[74:75], v[106:107]
	;; [unrolled: 1-line block ×8, first 2 shown]
	ds_load_b128 v[26:29], v22 offset:2816
	ds_load_b128 v[42:45], v22 offset:3072
	;; [unrolled: 1-line block ×4, first 2 shown]
	v_mul_f64 v[104:105], v[36:37], v[40:41]
	v_mul_f64 v[40:41], v[34:35], v[40:41]
	v_fma_f64 v[54:55], v[8:9], v[30:31], -v[54:55]
	v_fma_f64 v[76:77], v[10:11], v[30:31], v[76:77]
	v_fma_f64 v[98:99], v[8:9], v[4:5], -v[98:99]
	v_fma_f64 v[100:101], v[10:11], v[4:5], v[100:101]
	s_waitcnt lgkmcnt(3)
	v_mul_f64 v[94:95], v[18:19], v[28:29]
	v_mul_f64 v[96:97], v[16:17], v[28:29]
	;; [unrolled: 1-line block ×4, first 2 shown]
	v_fma_f64 v[102:103], v[12:13], v[30:31], -v[102:103]
	v_fma_f64 v[32:33], v[14:15], v[30:31], v[32:33]
	v_fma_f64 v[108:109], v[12:13], v[4:5], -v[108:109]
	v_fma_f64 v[112:113], v[14:15], v[4:5], v[6:7]
	ds_load_b128 v[4:7], v25 offset:2144
	ds_load_b128 v[8:11], v25 offset:112
	;; [unrolled: 1-line block ×4, first 2 shown]
	v_add_f64 v[56:57], v[72:73], v[56:57]
	v_add_f64 v[72:73], v[74:75], v[86:87]
	;; [unrolled: 1-line block ×8, first 2 shown]
	s_waitcnt lgkmcnt(4)
	v_mul_f64 v[70:71], v[52:53], v[44:45]
	v_mul_f64 v[74:75], v[50:51], v[44:45]
	;; [unrolled: 1-line block ×4, first 2 shown]
	s_waitcnt lgkmcnt(3)
	v_mul_f64 v[82:83], v[6:7], v[44:45]
	v_mul_f64 v[44:45], v[4:5], v[44:45]
	;; [unrolled: 1-line block ×4, first 2 shown]
	v_fma_f64 v[86:87], v[16:17], v[38:39], -v[90:91]
	v_fma_f64 v[88:89], v[18:19], v[38:39], v[92:93]
	v_fma_f64 v[90:91], v[16:17], v[26:27], -v[94:95]
	v_fma_f64 v[92:93], v[18:19], v[26:27], v[96:97]
	;; [unrolled: 2-line block ×4, first 2 shown]
	ds_load_b128 v[16:19], v22 offset:3840
	s_waitcnt lgkmcnt(0)
	s_barrier
	buffer_gl0_inv
	v_add_f64 v[36:37], v[56:57], v[54:55]
	v_add_f64 v[40:41], v[72:73], v[76:77]
	;; [unrolled: 1-line block ×8, first 2 shown]
	v_mul_f64 v[64:65], v[10:11], v[30:31]
	v_mul_f64 v[66:67], v[8:9], v[30:31]
	;; [unrolled: 1-line block ×4, first 2 shown]
	v_fma_f64 v[70:71], v[50:51], v[42:43], -v[70:71]
	v_mul_f64 v[68:69], v[10:11], v[18:19]
	v_mul_f64 v[72:73], v[8:9], v[18:19]
	;; [unrolled: 1-line block ×4, first 2 shown]
	v_fma_f64 v[74:75], v[52:53], v[42:43], v[74:75]
	v_fma_f64 v[50:51], v[50:51], v[46:47], -v[78:79]
	v_fma_f64 v[52:53], v[52:53], v[46:47], v[80:81]
	v_fma_f64 v[78:79], v[4:5], v[42:43], -v[82:83]
	v_fma_f64 v[42:43], v[6:7], v[42:43], v[44:45]
	v_fma_f64 v[4:5], v[4:5], v[46:47], -v[84:85]
	v_fma_f64 v[6:7], v[6:7], v[46:47], v[48:49]
	v_add_f64 v[36:37], v[36:37], v[86:87]
	v_add_f64 v[40:41], v[40:41], v[88:89]
	;; [unrolled: 1-line block ×8, first 2 shown]
	v_fma_f64 v[38:39], v[8:9], v[28:29], -v[64:65]
	v_fma_f64 v[54:55], v[10:11], v[28:29], v[66:67]
	v_fma_f64 v[56:57], v[12:13], v[28:29], -v[76:77]
	v_fma_f64 v[28:29], v[14:15], v[28:29], v[30:31]
	;; [unrolled: 2-line block ×4, first 2 shown]
	v_add_f64 v[12:13], v[36:37], v[70:71]
	v_add_f64 v[14:15], v[40:41], v[74:75]
	;; [unrolled: 1-line block ×16, first 2 shown]
	s_cbranch_vccz .LBB1336_2
.LBB1336_3:
	s_clause 0x1
	s_load_b128 s[4:7], s[0:1], 0x60
	s_load_b32 s2, s[0:1], 0x0
	v_add_nc_u32_e32 v21, s9, v21
	s_load_b64 s[10:11], s[0:1], 0x70
	s_delay_alu instid0(VALU_DEP_1) | instskip(SKIP_1) | instid1(VALU_DEP_1)
	v_ashrrev_i32_e32 v0, 31, v21
	s_waitcnt lgkmcnt(0)
	v_mul_lo_u32 v3, v0, s6
	v_mul_lo_u32 v22, v21, s7
	v_mad_u64_u32 v[1:2], null, v21, s6, 0
	s_mul_i32 s1, s15, s11
	s_mul_hi_u32 s3, s15, s10
	v_add_nc_u32_e32 v0, s8, v20
	s_mul_i32 s8, s15, s10
	s_add_i32 s9, s3, s1
	s_delay_alu instid0(VALU_DEP_2)
	v_add3_u32 v2, v2, v22, v3
	s_lshl_b64 s[8:9], s[8:9], 4
	v_cmp_le_i32_e64 s0, v21, v0
	s_add_u32 s3, s4, s8
	v_cmp_gt_i32_e32 vcc_lo, s2, v0
	v_lshlrev_b64 v[1:2], 4, v[1:2]
	s_addc_u32 s4, s5, s9
	s_and_b32 s0, s0, vcc_lo
	s_delay_alu instid0(VALU_DEP_1) | instskip(NEXT) | instid1(VALU_DEP_1)
	v_add_co_u32 v20, s1, s3, v1
	v_add_co_ci_u32_e64 v22, s1, s4, v2, s1
	s_and_saveexec_b32 s5, s0
	s_cbranch_execz .LBB1336_5
; %bb.4:
	v_mul_f64 v[1:2], s[18:19], v[18:19]
	v_mul_f64 v[18:19], s[20:21], v[18:19]
	v_cmp_ne_u32_e64 s0, v21, v0
	s_delay_alu instid0(VALU_DEP_3) | instskip(NEXT) | instid1(VALU_DEP_3)
	v_fma_f64 v[2:3], s[20:21], v[16:17], v[1:2]
	v_fma_f64 v[16:17], s[18:19], v[16:17], -v[18:19]
	v_ashrrev_i32_e32 v1, 31, v0
	s_delay_alu instid0(VALU_DEP_1) | instskip(NEXT) | instid1(VALU_DEP_1)
	v_lshlrev_b64 v[18:19], 4, v[0:1]
	v_add_co_u32 v23, s1, v20, v18
	s_delay_alu instid0(VALU_DEP_1)
	v_add_co_ci_u32_e64 v24, s1, v22, v19, s1
	v_cndmask_b32_e64 v19, 0, v3, s0
	v_cndmask_b32_e64 v18, 0, v2, s0
	global_store_b128 v[23:24], v[16:19], off
.LBB1336_5:
	s_or_b32 exec_lo, exec_lo, s5
	v_add_nc_u32_e32 v2, 16, v0
	s_delay_alu instid0(VALU_DEP_1) | instskip(SKIP_1) | instid1(VALU_DEP_1)
	v_cmp_le_i32_e64 s1, v21, v2
	v_cmp_gt_i32_e64 s0, s2, v2
	s_and_b32 s1, s1, s0
	s_delay_alu instid0(SALU_CYCLE_1)
	s_and_saveexec_b32 s5, s1
	s_cbranch_execz .LBB1336_7
; %bb.6:
	v_mul_f64 v[16:17], s[18:19], v[14:15]
	v_mul_f64 v[14:15], s[20:21], v[14:15]
	v_ashrrev_i32_e32 v3, 31, v2
	v_cmp_ne_u32_e64 s1, v21, v2
	s_delay_alu instid0(VALU_DEP_4) | instskip(NEXT) | instid1(VALU_DEP_4)
	v_fma_f64 v[16:17], s[20:21], v[12:13], v[16:17]
	v_fma_f64 v[12:13], s[18:19], v[12:13], -v[14:15]
	s_delay_alu instid0(VALU_DEP_4) | instskip(NEXT) | instid1(VALU_DEP_1)
	v_lshlrev_b64 v[14:15], 4, v[2:3]
	v_add_co_u32 v18, s2, v20, v14
	s_delay_alu instid0(VALU_DEP_1)
	v_add_co_ci_u32_e64 v19, s2, v22, v15, s2
	v_cndmask_b32_e64 v15, 0, v17, s1
	v_cndmask_b32_e64 v14, 0, v16, s1
	global_store_b128 v[18:19], v[12:15], off
.LBB1336_7:
	s_or_b32 exec_lo, exec_lo, s5
	v_add_nc_u32_e32 v3, 16, v21
	s_delay_alu instid0(VALU_DEP_1) | instskip(SKIP_3) | instid1(VALU_DEP_4)
	v_ashrrev_i32_e32 v1, 31, v3
	v_mul_lo_u32 v14, v3, s7
	v_mad_u64_u32 v[12:13], null, v3, s6, 0
	v_cmp_le_i32_e64 s1, v3, v0
	v_mul_lo_u32 v1, v1, s6
	s_delay_alu instid0(VALU_DEP_2) | instskip(NEXT) | instid1(VALU_DEP_1)
	s_and_b32 s1, s1, vcc_lo
	v_add3_u32 v13, v13, v14, v1
	s_delay_alu instid0(VALU_DEP_1) | instskip(NEXT) | instid1(VALU_DEP_1)
	v_lshlrev_b64 v[12:13], 4, v[12:13]
	v_add_co_u32 v12, s2, s3, v12
	s_delay_alu instid0(VALU_DEP_1)
	v_add_co_ci_u32_e64 v13, s2, s4, v13, s2
	s_and_saveexec_b32 s2, s1
	s_cbranch_execz .LBB1336_9
; %bb.8:
	v_mul_f64 v[14:15], s[18:19], v[10:11]
	v_mul_f64 v[10:11], s[20:21], v[10:11]
	v_ashrrev_i32_e32 v1, 31, v0
	v_cmp_ne_u32_e32 vcc_lo, v3, v0
	s_delay_alu instid0(VALU_DEP_4) | instskip(NEXT) | instid1(VALU_DEP_4)
	v_fma_f64 v[14:15], s[20:21], v[8:9], v[14:15]
	v_fma_f64 v[8:9], s[18:19], v[8:9], -v[10:11]
	s_delay_alu instid0(VALU_DEP_4) | instskip(NEXT) | instid1(VALU_DEP_1)
	v_lshlrev_b64 v[10:11], 4, v[0:1]
	v_add_co_u32 v16, s1, v12, v10
	s_delay_alu instid0(VALU_DEP_1)
	v_add_co_ci_u32_e64 v17, s1, v13, v11, s1
	v_dual_cndmask_b32 v11, 0, v15 :: v_dual_cndmask_b32 v10, 0, v14
	global_store_b128 v[16:17], v[8:11], off
.LBB1336_9:
	s_or_b32 exec_lo, exec_lo, s2
	v_cmp_le_i32_e32 vcc_lo, v3, v2
	s_and_b32 s0, vcc_lo, s0
	s_delay_alu instid0(SALU_CYCLE_1)
	s_and_saveexec_b32 s1, s0
	s_cbranch_execz .LBB1336_11
; %bb.10:
	v_mul_f64 v[8:9], s[18:19], v[4:5]
	v_mul_f64 v[3:4], s[20:21], v[4:5]
	v_cmp_ne_u32_e32 vcc_lo, v21, v0
	s_delay_alu instid0(VALU_DEP_3) | instskip(NEXT) | instid1(VALU_DEP_3)
	v_fma_f64 v[8:9], s[20:21], v[6:7], v[8:9]
	v_fma_f64 v[4:5], s[18:19], v[6:7], -v[3:4]
	v_ashrrev_i32_e32 v3, 31, v2
	s_delay_alu instid0(VALU_DEP_1) | instskip(NEXT) | instid1(VALU_DEP_1)
	v_lshlrev_b64 v[1:2], 4, v[2:3]
	v_add_co_u32 v0, s0, v12, v1
	s_delay_alu instid0(VALU_DEP_1)
	v_add_co_ci_u32_e64 v1, s0, v13, v2, s0
	v_dual_cndmask_b32 v7, 0, v9 :: v_dual_cndmask_b32 v6, 0, v8
	global_store_b128 v[0:1], v[4:7], off
.LBB1336_11:
	s_nop 0
	s_sendmsg sendmsg(MSG_DEALLOC_VGPRS)
	s_endpgm
	.section	.rodata,"a",@progbits
	.p2align	6, 0x0
	.amdhsa_kernel _ZL37rocblas_syrkx_herkx_restricted_kernelIl19rocblas_complex_numIdELi16ELi32ELi8ELb1ELb1ELc67ELc76EKS1_S1_EviT_T0_PT8_S3_lS6_S3_lS4_PT9_S3_li
		.amdhsa_group_segment_fixed_size 8192
		.amdhsa_private_segment_fixed_size 0
		.amdhsa_kernarg_size 124
		.amdhsa_user_sgpr_count 13
		.amdhsa_user_sgpr_dispatch_ptr 0
		.amdhsa_user_sgpr_queue_ptr 0
		.amdhsa_user_sgpr_kernarg_segment_ptr 1
		.amdhsa_user_sgpr_dispatch_id 0
		.amdhsa_user_sgpr_private_segment_size 0
		.amdhsa_wavefront_size32 1
		.amdhsa_uses_dynamic_stack 0
		.amdhsa_enable_private_segment 0
		.amdhsa_system_sgpr_workgroup_id_x 1
		.amdhsa_system_sgpr_workgroup_id_y 1
		.amdhsa_system_sgpr_workgroup_id_z 1
		.amdhsa_system_sgpr_workgroup_info 0
		.amdhsa_system_vgpr_workitem_id 1
		.amdhsa_next_free_vgpr 118
		.amdhsa_next_free_sgpr 32
		.amdhsa_reserve_vcc 1
		.amdhsa_float_round_mode_32 0
		.amdhsa_float_round_mode_16_64 0
		.amdhsa_float_denorm_mode_32 3
		.amdhsa_float_denorm_mode_16_64 3
		.amdhsa_dx10_clamp 1
		.amdhsa_ieee_mode 1
		.amdhsa_fp16_overflow 0
		.amdhsa_workgroup_processor_mode 1
		.amdhsa_memory_ordered 1
		.amdhsa_forward_progress 0
		.amdhsa_shared_vgpr_count 0
		.amdhsa_exception_fp_ieee_invalid_op 0
		.amdhsa_exception_fp_denorm_src 0
		.amdhsa_exception_fp_ieee_div_zero 0
		.amdhsa_exception_fp_ieee_overflow 0
		.amdhsa_exception_fp_ieee_underflow 0
		.amdhsa_exception_fp_ieee_inexact 0
		.amdhsa_exception_int_div_zero 0
	.end_amdhsa_kernel
	.section	.text._ZL37rocblas_syrkx_herkx_restricted_kernelIl19rocblas_complex_numIdELi16ELi32ELi8ELb1ELb1ELc67ELc76EKS1_S1_EviT_T0_PT8_S3_lS6_S3_lS4_PT9_S3_li,"axG",@progbits,_ZL37rocblas_syrkx_herkx_restricted_kernelIl19rocblas_complex_numIdELi16ELi32ELi8ELb1ELb1ELc67ELc76EKS1_S1_EviT_T0_PT8_S3_lS6_S3_lS4_PT9_S3_li,comdat
.Lfunc_end1336:
	.size	_ZL37rocblas_syrkx_herkx_restricted_kernelIl19rocblas_complex_numIdELi16ELi32ELi8ELb1ELb1ELc67ELc76EKS1_S1_EviT_T0_PT8_S3_lS6_S3_lS4_PT9_S3_li, .Lfunc_end1336-_ZL37rocblas_syrkx_herkx_restricted_kernelIl19rocblas_complex_numIdELi16ELi32ELi8ELb1ELb1ELc67ELc76EKS1_S1_EviT_T0_PT8_S3_lS6_S3_lS4_PT9_S3_li
                                        ; -- End function
	.section	.AMDGPU.csdata,"",@progbits
; Kernel info:
; codeLenInByte = 3228
; NumSgprs: 34
; NumVgprs: 118
; ScratchSize: 0
; MemoryBound: 0
; FloatMode: 240
; IeeeMode: 1
; LDSByteSize: 8192 bytes/workgroup (compile time only)
; SGPRBlocks: 4
; VGPRBlocks: 14
; NumSGPRsForWavesPerEU: 34
; NumVGPRsForWavesPerEU: 118
; Occupancy: 12
; WaveLimiterHint : 1
; COMPUTE_PGM_RSRC2:SCRATCH_EN: 0
; COMPUTE_PGM_RSRC2:USER_SGPR: 13
; COMPUTE_PGM_RSRC2:TRAP_HANDLER: 0
; COMPUTE_PGM_RSRC2:TGID_X_EN: 1
; COMPUTE_PGM_RSRC2:TGID_Y_EN: 1
; COMPUTE_PGM_RSRC2:TGID_Z_EN: 1
; COMPUTE_PGM_RSRC2:TIDIG_COMP_CNT: 1
	.section	.text._ZL37rocblas_syrkx_herkx_restricted_kernelIl19rocblas_complex_numIdELi16ELi32ELi8ELb1ELb1ELc78ELc76EKS1_S1_EviT_T0_PT8_S3_lS6_S3_lS4_PT9_S3_li,"axG",@progbits,_ZL37rocblas_syrkx_herkx_restricted_kernelIl19rocblas_complex_numIdELi16ELi32ELi8ELb1ELb1ELc78ELc76EKS1_S1_EviT_T0_PT8_S3_lS6_S3_lS4_PT9_S3_li,comdat
	.globl	_ZL37rocblas_syrkx_herkx_restricted_kernelIl19rocblas_complex_numIdELi16ELi32ELi8ELb1ELb1ELc78ELc76EKS1_S1_EviT_T0_PT8_S3_lS6_S3_lS4_PT9_S3_li ; -- Begin function _ZL37rocblas_syrkx_herkx_restricted_kernelIl19rocblas_complex_numIdELi16ELi32ELi8ELb1ELb1ELc78ELc76EKS1_S1_EviT_T0_PT8_S3_lS6_S3_lS4_PT9_S3_li
	.p2align	8
	.type	_ZL37rocblas_syrkx_herkx_restricted_kernelIl19rocblas_complex_numIdELi16ELi32ELi8ELb1ELb1ELc78ELc76EKS1_S1_EviT_T0_PT8_S3_lS6_S3_lS4_PT9_S3_li,@function
_ZL37rocblas_syrkx_herkx_restricted_kernelIl19rocblas_complex_numIdELi16ELi32ELi8ELb1ELb1ELc78ELc76EKS1_S1_EviT_T0_PT8_S3_lS6_S3_lS4_PT9_S3_li: ; @_ZL37rocblas_syrkx_herkx_restricted_kernelIl19rocblas_complex_numIdELi16ELi32ELi8ELb1ELb1ELc78ELc76EKS1_S1_EviT_T0_PT8_S3_lS6_S3_lS4_PT9_S3_li
; %bb.0:
	s_load_b512 s[16:31], s[0:1], 0x8
	v_mov_b32_e32 v16, 0
	v_dual_mov_b32 v17, 0 :: v_dual_and_b32 v20, 0x3ff, v0
	v_bfe_u32 v21, v0, 10, 10
	s_delay_alu instid0(VALU_DEP_3) | instskip(NEXT) | instid1(VALU_DEP_3)
	v_mov_b32_e32 v12, v16
	v_dual_mov_b32 v14, v16 :: v_dual_mov_b32 v15, v17
	v_dual_mov_b32 v19, v17 :: v_dual_mov_b32 v18, v16
	;; [unrolled: 1-line block ×6, first 2 shown]
	v_mov_b32_e32 v5, v17
	s_lshl_b32 s8, s13, 5
	s_waitcnt lgkmcnt(0)
	v_cmp_lt_i64_e64 s2, s[16:17], 1
	s_lshl_b32 s9, s14, 5
	s_delay_alu instid0(VALU_DEP_1)
	s_and_b32 vcc_lo, exec_lo, s2
	s_cbranch_vccnz .LBB1337_3
; %bb.1:
	v_lshl_add_u32 v1, v21, 4, v20
	v_and_b32_e32 v10, 7, v20
	s_load_b64 s[4:5], s[0:1], 0x48
	s_mul_i32 s3, s27, s15
	s_mul_hi_u32 s6, s26, s15
	v_dual_mov_b32 v4, 0 :: v_dual_and_b32 v9, 31, v1
	v_mov_b32_e32 v5, 0
	v_lshrrev_b32_e32 v11, 3, v1
	v_lshrrev_b32_e32 v12, 5, v1
	s_delay_alu instid0(VALU_DEP_4)
	v_add_nc_u32_e32 v0, s8, v9
	s_mul_i32 s2, s26, s15
	s_add_i32 s3, s6, s3
	v_add_nc_u32_e32 v2, s9, v11
	s_lshl_b64 s[2:3], s[2:3], 4
	v_ashrrev_i32_e32 v1, 31, v0
	s_add_u32 s6, s22, s2
	s_addc_u32 s7, s23, s3
	v_ashrrev_i32_e32 v3, 31, v2
	s_lshl_b64 s[2:3], s[24:25], 7
	v_mad_u64_u32 v[6:7], null, v12, s24, v[0:1]
	s_waitcnt lgkmcnt(0)
	s_mul_i32 s5, s5, s15
	v_mad_u64_u32 v[0:1], null, v10, s30, v[2:3]
	v_lshlrev_b32_e32 v3, 4, v10
	s_mul_hi_u32 s10, s4, s15
	s_mul_i32 s4, s4, s15
	s_delay_alu instid0(VALU_DEP_3)
	v_mov_b32_e32 v2, v7
	s_add_i32 s5, s10, s5
	v_lshl_add_u32 v23, v21, 7, 0x1000
	s_lshl_b64 s[4:5], s[4:5], 4
	v_mov_b32_e32 v15, v5
	v_mad_u64_u32 v[7:8], null, v12, s25, v[2:3]
	v_lshlrev_b32_e32 v8, 4, v9
	v_lshl_or_b32 v9, v11, 7, v3
	v_mad_u64_u32 v[2:3], null, v10, s31, v[1:2]
	v_lshlrev_b32_e32 v22, 4, v20
	s_add_u32 s4, s28, s4
	s_addc_u32 s5, s29, s5
	v_mov_b32_e32 v11, v5
	v_lshl_or_b32 v24, v12, 9, v8
	v_add_nc_u32_e32 v25, 0x1000, v9
	v_mov_b32_e32 v1, v2
	v_lshlrev_b64 v[2:3], 4, v[6:7]
	v_dual_mov_b32 v10, v4 :: v_dual_mov_b32 v9, v5
	v_dual_mov_b32 v8, v4 :: v_dual_mov_b32 v13, v5
	s_delay_alu instid0(VALU_DEP_4) | instskip(NEXT) | instid1(VALU_DEP_4)
	v_lshlrev_b64 v[0:1], 4, v[0:1]
	v_add_co_u32 v2, vcc_lo, s6, v2
	v_add_co_ci_u32_e32 v3, vcc_lo, s7, v3, vcc_lo
	v_dual_mov_b32 v14, v4 :: v_dual_mov_b32 v19, v5
	s_delay_alu instid0(VALU_DEP_4) | instskip(SKIP_3) | instid1(VALU_DEP_4)
	v_add_co_u32 v6, vcc_lo, s4, v0
	v_add_co_ci_u32_e32 v7, vcc_lo, s5, v1, vcc_lo
	v_add_co_u32 v0, vcc_lo, v2, 8
	v_add_co_ci_u32_e32 v1, vcc_lo, 0, v3, vcc_lo
	v_add_co_u32 v2, vcc_lo, v6, 8
	s_delay_alu instid0(VALU_DEP_4)
	v_add_co_ci_u32_e32 v3, vcc_lo, 0, v7, vcc_lo
	v_dual_mov_b32 v7, v5 :: v_dual_mov_b32 v12, v4
	v_dual_mov_b32 v17, v5 :: v_dual_mov_b32 v6, v4
	v_mov_b32_e32 v18, v4
	v_mov_b32_e32 v16, v4
	s_lshl_b64 s[4:5], s[30:31], 7
	s_mov_b64 s[6:7], 0
.LBB1337_2:                             ; =>This Inner Loop Header: Depth=1
	global_load_b128 v[26:29], v[2:3], off offset:-8
	global_load_b128 v[30:33], v[0:1], off offset:-8
	s_add_u32 s6, s6, 8
	v_add_co_u32 v0, vcc_lo, v0, s2
	s_addc_u32 s7, s7, 0
	v_add_co_ci_u32_e32 v1, vcc_lo, s3, v1, vcc_lo
	v_cmp_ge_u64_e64 s10, s[6:7], s[16:17]
	v_add_co_u32 v2, vcc_lo, v2, s4
	v_add_co_ci_u32_e32 v3, vcc_lo, s5, v3, vcc_lo
	s_delay_alu instid0(VALU_DEP_3)
	s_and_b32 vcc_lo, exec_lo, s10
	s_waitcnt vmcnt(1)
	v_xor_b32_e32 v29, 0x80000000, v29
	s_waitcnt vmcnt(0)
	ds_store_b128 v24, v[30:33]
	ds_store_b128 v25, v[26:29]
	s_waitcnt lgkmcnt(0)
	s_barrier
	buffer_gl0_inv
	ds_load_b128 v[26:29], v23
	ds_load_b128 v[30:33], v22
	ds_load_b128 v[34:37], v22 offset:256
	ds_load_b128 v[38:41], v23 offset:2048
	ds_load_b128 v[42:45], v23 offset:16
	ds_load_b128 v[46:49], v23 offset:2064
	ds_load_b128 v[50:53], v22 offset:512
	ds_load_b128 v[54:57], v22 offset:768
	ds_load_b128 v[58:61], v23 offset:32
	ds_load_b128 v[62:65], v23 offset:48
	ds_load_b128 v[66:69], v22 offset:1024
	ds_load_b128 v[70:73], v22 offset:1280
	ds_load_b128 v[74:77], v23 offset:2080
	ds_load_b128 v[78:81], v23 offset:2096
	ds_load_b128 v[82:85], v22 offset:1536
	s_waitcnt lgkmcnt(13)
	v_mul_f64 v[86:87], v[28:29], v[32:33]
	v_mul_f64 v[88:89], v[26:27], v[32:33]
	s_waitcnt lgkmcnt(12)
	v_mul_f64 v[90:91], v[28:29], v[36:37]
	v_mul_f64 v[92:93], v[26:27], v[36:37]
	;; [unrolled: 3-line block ×3, first 2 shown]
	v_mul_f64 v[96:97], v[40:41], v[36:37]
	v_mul_f64 v[36:37], v[38:39], v[36:37]
	s_waitcnt lgkmcnt(8)
	v_mul_f64 v[98:99], v[44:45], v[52:53]
	v_mul_f64 v[100:101], v[42:43], v[52:53]
	s_waitcnt lgkmcnt(7)
	v_mul_f64 v[102:103], v[44:45], v[56:57]
	v_mul_f64 v[104:105], v[42:43], v[56:57]
	;; [unrolled: 1-line block ×6, first 2 shown]
	s_waitcnt lgkmcnt(3)
	v_mul_f64 v[112:113], v[58:59], v[72:73]
	s_waitcnt lgkmcnt(2)
	v_mul_f64 v[114:115], v[76:77], v[68:69]
	v_mul_f64 v[116:117], v[76:77], v[72:73]
	v_fma_f64 v[86:87], v[26:27], v[30:31], -v[86:87]
	v_fma_f64 v[88:89], v[28:29], v[30:31], v[88:89]
	v_fma_f64 v[90:91], v[26:27], v[34:35], -v[90:91]
	v_fma_f64 v[92:93], v[28:29], v[34:35], v[92:93]
	;; [unrolled: 2-line block ×4, first 2 shown]
	v_mul_f64 v[36:37], v[60:61], v[68:69]
	v_mul_f64 v[40:41], v[58:59], v[68:69]
	;; [unrolled: 1-line block ×5, first 2 shown]
	v_fma_f64 v[98:99], v[42:43], v[50:51], -v[98:99]
	v_fma_f64 v[100:101], v[44:45], v[50:51], v[100:101]
	v_fma_f64 v[42:43], v[42:43], v[54:55], -v[102:103]
	v_fma_f64 v[44:45], v[44:45], v[54:55], v[104:105]
	;; [unrolled: 2-line block ×4, first 2 shown]
	ds_load_b128 v[26:29], v22 offset:1792
	ds_load_b128 v[30:33], v22 offset:2048
	s_waitcnt lgkmcnt(2)
	v_mul_f64 v[56:57], v[64:65], v[84:85]
	v_add_f64 v[16:17], v[16:17], v[86:87]
	v_add_f64 v[18:19], v[18:19], v[88:89]
	;; [unrolled: 1-line block ×8, first 2 shown]
	v_mul_f64 v[86:87], v[62:63], v[84:85]
	s_waitcnt lgkmcnt(1)
	v_mul_f64 v[88:89], v[64:65], v[28:29]
	v_mul_f64 v[90:91], v[62:63], v[28:29]
	;; [unrolled: 1-line block ×6, first 2 shown]
	v_fma_f64 v[104:105], v[58:59], v[66:67], -v[36:37]
	v_fma_f64 v[106:107], v[60:61], v[66:67], v[40:41]
	v_fma_f64 v[58:59], v[58:59], v[70:71], -v[96:97]
	v_fma_f64 v[60:61], v[60:61], v[70:71], v[112:113]
	;; [unrolled: 2-line block ×4, first 2 shown]
	ds_load_b128 v[4:7], v22 offset:2304
	ds_load_b128 v[8:11], v23 offset:64
	v_fma_f64 v[56:57], v[62:63], v[82:83], -v[56:57]
	v_add_f64 v[72:73], v[16:17], v[98:99]
	v_add_f64 v[74:75], v[18:19], v[100:101]
	v_add_f64 v[42:43], v[12:13], v[42:43]
	v_add_f64 v[44:45], v[14:15], v[44:45]
	v_add_f64 v[52:53], v[52:53], v[102:103]
	v_add_f64 v[50:51], v[54:55], v[50:51]
	v_add_f64 v[46:47], v[38:39], v[46:47]
	v_add_f64 v[48:49], v[34:35], v[48:49]
	ds_load_b128 v[12:15], v23 offset:2112
	ds_load_b128 v[16:19], v23 offset:80
	;; [unrolled: 1-line block ×4, first 2 shown]
	s_waitcnt lgkmcnt(4)
	v_mul_f64 v[54:55], v[10:11], v[32:33]
	v_mul_f64 v[76:77], v[8:9], v[32:33]
	;; [unrolled: 1-line block ×4, first 2 shown]
	v_fma_f64 v[86:87], v[64:65], v[82:83], v[86:87]
	v_fma_f64 v[62:63], v[62:63], v[26:27], -v[88:89]
	v_fma_f64 v[64:65], v[64:65], v[26:27], v[90:91]
	v_fma_f64 v[88:89], v[78:79], v[82:83], -v[92:93]
	;; [unrolled: 2-line block ×3, first 2 shown]
	v_fma_f64 v[80:81], v[80:81], v[26:27], v[28:29]
	s_waitcnt lgkmcnt(3)
	v_mul_f64 v[102:103], v[14:15], v[32:33]
	v_mul_f64 v[32:33], v[12:13], v[32:33]
	;; [unrolled: 1-line block ×4, first 2 shown]
	s_waitcnt lgkmcnt(0)
	v_mul_f64 v[90:91], v[18:19], v[40:41]
	v_mul_f64 v[92:93], v[16:17], v[40:41]
	v_add_f64 v[72:73], v[72:73], v[104:105]
	v_add_f64 v[74:75], v[74:75], v[106:107]
	;; [unrolled: 1-line block ×8, first 2 shown]
	ds_load_b128 v[26:29], v22 offset:2816
	ds_load_b128 v[42:45], v22 offset:3072
	ds_load_b128 v[46:49], v22 offset:3328
	ds_load_b128 v[50:53], v23 offset:96
	v_mul_f64 v[104:105], v[36:37], v[40:41]
	v_mul_f64 v[40:41], v[34:35], v[40:41]
	v_fma_f64 v[54:55], v[8:9], v[30:31], -v[54:55]
	v_fma_f64 v[76:77], v[10:11], v[30:31], v[76:77]
	v_fma_f64 v[98:99], v[8:9], v[4:5], -v[98:99]
	v_fma_f64 v[100:101], v[10:11], v[4:5], v[100:101]
	s_waitcnt lgkmcnt(3)
	v_mul_f64 v[94:95], v[18:19], v[28:29]
	v_mul_f64 v[96:97], v[16:17], v[28:29]
	;; [unrolled: 1-line block ×4, first 2 shown]
	v_fma_f64 v[102:103], v[12:13], v[30:31], -v[102:103]
	v_fma_f64 v[32:33], v[14:15], v[30:31], v[32:33]
	v_fma_f64 v[108:109], v[12:13], v[4:5], -v[108:109]
	v_fma_f64 v[112:113], v[14:15], v[4:5], v[6:7]
	ds_load_b128 v[4:7], v23 offset:2144
	ds_load_b128 v[8:11], v23 offset:112
	;; [unrolled: 1-line block ×4, first 2 shown]
	v_add_f64 v[56:57], v[72:73], v[56:57]
	v_add_f64 v[72:73], v[74:75], v[86:87]
	;; [unrolled: 1-line block ×8, first 2 shown]
	s_waitcnt lgkmcnt(4)
	v_mul_f64 v[70:71], v[52:53], v[44:45]
	v_mul_f64 v[74:75], v[50:51], v[44:45]
	;; [unrolled: 1-line block ×4, first 2 shown]
	s_waitcnt lgkmcnt(3)
	v_mul_f64 v[82:83], v[6:7], v[44:45]
	v_mul_f64 v[44:45], v[4:5], v[44:45]
	;; [unrolled: 1-line block ×4, first 2 shown]
	v_fma_f64 v[86:87], v[16:17], v[38:39], -v[90:91]
	v_fma_f64 v[88:89], v[18:19], v[38:39], v[92:93]
	v_fma_f64 v[90:91], v[16:17], v[26:27], -v[94:95]
	v_fma_f64 v[92:93], v[18:19], v[26:27], v[96:97]
	;; [unrolled: 2-line block ×4, first 2 shown]
	ds_load_b128 v[16:19], v22 offset:3840
	s_waitcnt lgkmcnt(0)
	s_barrier
	buffer_gl0_inv
	v_add_f64 v[36:37], v[56:57], v[54:55]
	v_add_f64 v[40:41], v[72:73], v[76:77]
	;; [unrolled: 1-line block ×8, first 2 shown]
	v_mul_f64 v[64:65], v[10:11], v[30:31]
	v_mul_f64 v[66:67], v[8:9], v[30:31]
	;; [unrolled: 1-line block ×4, first 2 shown]
	v_fma_f64 v[70:71], v[50:51], v[42:43], -v[70:71]
	v_mul_f64 v[68:69], v[10:11], v[18:19]
	v_mul_f64 v[72:73], v[8:9], v[18:19]
	;; [unrolled: 1-line block ×4, first 2 shown]
	v_fma_f64 v[74:75], v[52:53], v[42:43], v[74:75]
	v_fma_f64 v[50:51], v[50:51], v[46:47], -v[78:79]
	v_fma_f64 v[52:53], v[52:53], v[46:47], v[80:81]
	v_fma_f64 v[78:79], v[4:5], v[42:43], -v[82:83]
	v_fma_f64 v[42:43], v[6:7], v[42:43], v[44:45]
	v_fma_f64 v[4:5], v[4:5], v[46:47], -v[84:85]
	v_fma_f64 v[6:7], v[6:7], v[46:47], v[48:49]
	v_add_f64 v[36:37], v[36:37], v[86:87]
	v_add_f64 v[40:41], v[40:41], v[88:89]
	;; [unrolled: 1-line block ×8, first 2 shown]
	v_fma_f64 v[38:39], v[8:9], v[28:29], -v[64:65]
	v_fma_f64 v[54:55], v[10:11], v[28:29], v[66:67]
	v_fma_f64 v[56:57], v[12:13], v[28:29], -v[76:77]
	v_fma_f64 v[28:29], v[14:15], v[28:29], v[30:31]
	;; [unrolled: 2-line block ×4, first 2 shown]
	v_add_f64 v[12:13], v[36:37], v[70:71]
	v_add_f64 v[14:15], v[40:41], v[74:75]
	;; [unrolled: 1-line block ×16, first 2 shown]
	s_cbranch_vccz .LBB1337_2
.LBB1337_3:
	s_clause 0x1
	s_load_b128 s[4:7], s[0:1], 0x60
	s_load_b32 s2, s[0:1], 0x0
	v_add_nc_u32_e32 v21, s9, v21
	s_load_b64 s[10:11], s[0:1], 0x70
	s_delay_alu instid0(VALU_DEP_1) | instskip(SKIP_1) | instid1(VALU_DEP_1)
	v_ashrrev_i32_e32 v0, 31, v21
	s_waitcnt lgkmcnt(0)
	v_mul_lo_u32 v3, v0, s6
	v_mul_lo_u32 v22, v21, s7
	v_mad_u64_u32 v[1:2], null, v21, s6, 0
	s_mul_i32 s1, s15, s11
	s_mul_hi_u32 s3, s15, s10
	v_add_nc_u32_e32 v0, s8, v20
	s_mul_i32 s8, s15, s10
	s_add_i32 s9, s3, s1
	s_delay_alu instid0(VALU_DEP_2)
	v_add3_u32 v2, v2, v22, v3
	s_lshl_b64 s[8:9], s[8:9], 4
	v_cmp_le_i32_e64 s0, v21, v0
	s_add_u32 s3, s4, s8
	v_cmp_gt_i32_e32 vcc_lo, s2, v0
	v_lshlrev_b64 v[1:2], 4, v[1:2]
	s_addc_u32 s4, s5, s9
	s_and_b32 s0, s0, vcc_lo
	s_delay_alu instid0(VALU_DEP_1) | instskip(NEXT) | instid1(VALU_DEP_1)
	v_add_co_u32 v20, s1, s3, v1
	v_add_co_ci_u32_e64 v22, s1, s4, v2, s1
	s_and_saveexec_b32 s5, s0
	s_cbranch_execz .LBB1337_5
; %bb.4:
	v_mul_f64 v[1:2], s[18:19], v[18:19]
	v_mul_f64 v[18:19], s[20:21], v[18:19]
	v_cmp_ne_u32_e64 s0, v21, v0
	s_delay_alu instid0(VALU_DEP_3) | instskip(NEXT) | instid1(VALU_DEP_3)
	v_fma_f64 v[2:3], s[20:21], v[16:17], v[1:2]
	v_fma_f64 v[16:17], s[18:19], v[16:17], -v[18:19]
	v_ashrrev_i32_e32 v1, 31, v0
	s_delay_alu instid0(VALU_DEP_1) | instskip(NEXT) | instid1(VALU_DEP_1)
	v_lshlrev_b64 v[18:19], 4, v[0:1]
	v_add_co_u32 v23, s1, v20, v18
	s_delay_alu instid0(VALU_DEP_1)
	v_add_co_ci_u32_e64 v24, s1, v22, v19, s1
	v_cndmask_b32_e64 v19, 0, v3, s0
	v_cndmask_b32_e64 v18, 0, v2, s0
	global_store_b128 v[23:24], v[16:19], off
.LBB1337_5:
	s_or_b32 exec_lo, exec_lo, s5
	v_add_nc_u32_e32 v2, 16, v0
	s_delay_alu instid0(VALU_DEP_1) | instskip(SKIP_1) | instid1(VALU_DEP_1)
	v_cmp_le_i32_e64 s1, v21, v2
	v_cmp_gt_i32_e64 s0, s2, v2
	s_and_b32 s1, s1, s0
	s_delay_alu instid0(SALU_CYCLE_1)
	s_and_saveexec_b32 s5, s1
	s_cbranch_execz .LBB1337_7
; %bb.6:
	v_mul_f64 v[16:17], s[18:19], v[14:15]
	v_mul_f64 v[14:15], s[20:21], v[14:15]
	v_ashrrev_i32_e32 v3, 31, v2
	v_cmp_ne_u32_e64 s1, v21, v2
	s_delay_alu instid0(VALU_DEP_4) | instskip(NEXT) | instid1(VALU_DEP_4)
	v_fma_f64 v[16:17], s[20:21], v[12:13], v[16:17]
	v_fma_f64 v[12:13], s[18:19], v[12:13], -v[14:15]
	s_delay_alu instid0(VALU_DEP_4) | instskip(NEXT) | instid1(VALU_DEP_1)
	v_lshlrev_b64 v[14:15], 4, v[2:3]
	v_add_co_u32 v18, s2, v20, v14
	s_delay_alu instid0(VALU_DEP_1)
	v_add_co_ci_u32_e64 v19, s2, v22, v15, s2
	v_cndmask_b32_e64 v15, 0, v17, s1
	v_cndmask_b32_e64 v14, 0, v16, s1
	global_store_b128 v[18:19], v[12:15], off
.LBB1337_7:
	s_or_b32 exec_lo, exec_lo, s5
	v_add_nc_u32_e32 v3, 16, v21
	s_delay_alu instid0(VALU_DEP_1) | instskip(SKIP_3) | instid1(VALU_DEP_4)
	v_ashrrev_i32_e32 v1, 31, v3
	v_mul_lo_u32 v14, v3, s7
	v_mad_u64_u32 v[12:13], null, v3, s6, 0
	v_cmp_le_i32_e64 s1, v3, v0
	v_mul_lo_u32 v1, v1, s6
	s_delay_alu instid0(VALU_DEP_2) | instskip(NEXT) | instid1(VALU_DEP_1)
	s_and_b32 s1, s1, vcc_lo
	v_add3_u32 v13, v13, v14, v1
	s_delay_alu instid0(VALU_DEP_1) | instskip(NEXT) | instid1(VALU_DEP_1)
	v_lshlrev_b64 v[12:13], 4, v[12:13]
	v_add_co_u32 v12, s2, s3, v12
	s_delay_alu instid0(VALU_DEP_1)
	v_add_co_ci_u32_e64 v13, s2, s4, v13, s2
	s_and_saveexec_b32 s2, s1
	s_cbranch_execz .LBB1337_9
; %bb.8:
	v_mul_f64 v[14:15], s[18:19], v[10:11]
	v_mul_f64 v[10:11], s[20:21], v[10:11]
	v_ashrrev_i32_e32 v1, 31, v0
	v_cmp_ne_u32_e32 vcc_lo, v3, v0
	s_delay_alu instid0(VALU_DEP_4) | instskip(NEXT) | instid1(VALU_DEP_4)
	v_fma_f64 v[14:15], s[20:21], v[8:9], v[14:15]
	v_fma_f64 v[8:9], s[18:19], v[8:9], -v[10:11]
	s_delay_alu instid0(VALU_DEP_4) | instskip(NEXT) | instid1(VALU_DEP_1)
	v_lshlrev_b64 v[10:11], 4, v[0:1]
	v_add_co_u32 v16, s1, v12, v10
	s_delay_alu instid0(VALU_DEP_1)
	v_add_co_ci_u32_e64 v17, s1, v13, v11, s1
	v_dual_cndmask_b32 v11, 0, v15 :: v_dual_cndmask_b32 v10, 0, v14
	global_store_b128 v[16:17], v[8:11], off
.LBB1337_9:
	s_or_b32 exec_lo, exec_lo, s2
	v_cmp_le_i32_e32 vcc_lo, v3, v2
	s_and_b32 s0, vcc_lo, s0
	s_delay_alu instid0(SALU_CYCLE_1)
	s_and_saveexec_b32 s1, s0
	s_cbranch_execz .LBB1337_11
; %bb.10:
	v_mul_f64 v[8:9], s[18:19], v[4:5]
	v_mul_f64 v[3:4], s[20:21], v[4:5]
	v_cmp_ne_u32_e32 vcc_lo, v21, v0
	s_delay_alu instid0(VALU_DEP_3) | instskip(NEXT) | instid1(VALU_DEP_3)
	v_fma_f64 v[8:9], s[20:21], v[6:7], v[8:9]
	v_fma_f64 v[4:5], s[18:19], v[6:7], -v[3:4]
	v_ashrrev_i32_e32 v3, 31, v2
	s_delay_alu instid0(VALU_DEP_1) | instskip(NEXT) | instid1(VALU_DEP_1)
	v_lshlrev_b64 v[1:2], 4, v[2:3]
	v_add_co_u32 v0, s0, v12, v1
	s_delay_alu instid0(VALU_DEP_1)
	v_add_co_ci_u32_e64 v1, s0, v13, v2, s0
	v_dual_cndmask_b32 v7, 0, v9 :: v_dual_cndmask_b32 v6, 0, v8
	global_store_b128 v[0:1], v[4:7], off
.LBB1337_11:
	s_nop 0
	s_sendmsg sendmsg(MSG_DEALLOC_VGPRS)
	s_endpgm
	.section	.rodata,"a",@progbits
	.p2align	6, 0x0
	.amdhsa_kernel _ZL37rocblas_syrkx_herkx_restricted_kernelIl19rocblas_complex_numIdELi16ELi32ELi8ELb1ELb1ELc78ELc76EKS1_S1_EviT_T0_PT8_S3_lS6_S3_lS4_PT9_S3_li
		.amdhsa_group_segment_fixed_size 8192
		.amdhsa_private_segment_fixed_size 0
		.amdhsa_kernarg_size 124
		.amdhsa_user_sgpr_count 13
		.amdhsa_user_sgpr_dispatch_ptr 0
		.amdhsa_user_sgpr_queue_ptr 0
		.amdhsa_user_sgpr_kernarg_segment_ptr 1
		.amdhsa_user_sgpr_dispatch_id 0
		.amdhsa_user_sgpr_private_segment_size 0
		.amdhsa_wavefront_size32 1
		.amdhsa_uses_dynamic_stack 0
		.amdhsa_enable_private_segment 0
		.amdhsa_system_sgpr_workgroup_id_x 1
		.amdhsa_system_sgpr_workgroup_id_y 1
		.amdhsa_system_sgpr_workgroup_id_z 1
		.amdhsa_system_sgpr_workgroup_info 0
		.amdhsa_system_vgpr_workitem_id 1
		.amdhsa_next_free_vgpr 118
		.amdhsa_next_free_sgpr 32
		.amdhsa_reserve_vcc 1
		.amdhsa_float_round_mode_32 0
		.amdhsa_float_round_mode_16_64 0
		.amdhsa_float_denorm_mode_32 3
		.amdhsa_float_denorm_mode_16_64 3
		.amdhsa_dx10_clamp 1
		.amdhsa_ieee_mode 1
		.amdhsa_fp16_overflow 0
		.amdhsa_workgroup_processor_mode 1
		.amdhsa_memory_ordered 1
		.amdhsa_forward_progress 0
		.amdhsa_shared_vgpr_count 0
		.amdhsa_exception_fp_ieee_invalid_op 0
		.amdhsa_exception_fp_denorm_src 0
		.amdhsa_exception_fp_ieee_div_zero 0
		.amdhsa_exception_fp_ieee_overflow 0
		.amdhsa_exception_fp_ieee_underflow 0
		.amdhsa_exception_fp_ieee_inexact 0
		.amdhsa_exception_int_div_zero 0
	.end_amdhsa_kernel
	.section	.text._ZL37rocblas_syrkx_herkx_restricted_kernelIl19rocblas_complex_numIdELi16ELi32ELi8ELb1ELb1ELc78ELc76EKS1_S1_EviT_T0_PT8_S3_lS6_S3_lS4_PT9_S3_li,"axG",@progbits,_ZL37rocblas_syrkx_herkx_restricted_kernelIl19rocblas_complex_numIdELi16ELi32ELi8ELb1ELb1ELc78ELc76EKS1_S1_EviT_T0_PT8_S3_lS6_S3_lS4_PT9_S3_li,comdat
.Lfunc_end1337:
	.size	_ZL37rocblas_syrkx_herkx_restricted_kernelIl19rocblas_complex_numIdELi16ELi32ELi8ELb1ELb1ELc78ELc76EKS1_S1_EviT_T0_PT8_S3_lS6_S3_lS4_PT9_S3_li, .Lfunc_end1337-_ZL37rocblas_syrkx_herkx_restricted_kernelIl19rocblas_complex_numIdELi16ELi32ELi8ELb1ELb1ELc78ELc76EKS1_S1_EviT_T0_PT8_S3_lS6_S3_lS4_PT9_S3_li
                                        ; -- End function
	.section	.AMDGPU.csdata,"",@progbits
; Kernel info:
; codeLenInByte = 3204
; NumSgprs: 34
; NumVgprs: 118
; ScratchSize: 0
; MemoryBound: 0
; FloatMode: 240
; IeeeMode: 1
; LDSByteSize: 8192 bytes/workgroup (compile time only)
; SGPRBlocks: 4
; VGPRBlocks: 14
; NumSGPRsForWavesPerEU: 34
; NumVGPRsForWavesPerEU: 118
; Occupancy: 12
; WaveLimiterHint : 1
; COMPUTE_PGM_RSRC2:SCRATCH_EN: 0
; COMPUTE_PGM_RSRC2:USER_SGPR: 13
; COMPUTE_PGM_RSRC2:TRAP_HANDLER: 0
; COMPUTE_PGM_RSRC2:TGID_X_EN: 1
; COMPUTE_PGM_RSRC2:TGID_Y_EN: 1
; COMPUTE_PGM_RSRC2:TGID_Z_EN: 1
; COMPUTE_PGM_RSRC2:TIDIG_COMP_CNT: 1
	.section	.text._ZL37rocblas_syrkx_herkx_restricted_kernelIl19rocblas_complex_numIdELi16ELi32ELi8ELb1ELb1ELc84ELc85EKS1_S1_EviT_T0_PT8_S3_lS6_S3_lS4_PT9_S3_li,"axG",@progbits,_ZL37rocblas_syrkx_herkx_restricted_kernelIl19rocblas_complex_numIdELi16ELi32ELi8ELb1ELb1ELc84ELc85EKS1_S1_EviT_T0_PT8_S3_lS6_S3_lS4_PT9_S3_li,comdat
	.globl	_ZL37rocblas_syrkx_herkx_restricted_kernelIl19rocblas_complex_numIdELi16ELi32ELi8ELb1ELb1ELc84ELc85EKS1_S1_EviT_T0_PT8_S3_lS6_S3_lS4_PT9_S3_li ; -- Begin function _ZL37rocblas_syrkx_herkx_restricted_kernelIl19rocblas_complex_numIdELi16ELi32ELi8ELb1ELb1ELc84ELc85EKS1_S1_EviT_T0_PT8_S3_lS6_S3_lS4_PT9_S3_li
	.p2align	8
	.type	_ZL37rocblas_syrkx_herkx_restricted_kernelIl19rocblas_complex_numIdELi16ELi32ELi8ELb1ELb1ELc84ELc85EKS1_S1_EviT_T0_PT8_S3_lS6_S3_lS4_PT9_S3_li,@function
_ZL37rocblas_syrkx_herkx_restricted_kernelIl19rocblas_complex_numIdELi16ELi32ELi8ELb1ELb1ELc84ELc85EKS1_S1_EviT_T0_PT8_S3_lS6_S3_lS4_PT9_S3_li: ; @_ZL37rocblas_syrkx_herkx_restricted_kernelIl19rocblas_complex_numIdELi16ELi32ELi8ELb1ELb1ELc84ELc85EKS1_S1_EviT_T0_PT8_S3_lS6_S3_lS4_PT9_S3_li
; %bb.0:
	s_load_b512 s[16:31], s[0:1], 0x8
	v_mov_b32_e32 v16, 0
	v_dual_mov_b32 v17, 0 :: v_dual_and_b32 v20, 0x3ff, v0
	v_bfe_u32 v21, v0, 10, 10
	s_delay_alu instid0(VALU_DEP_3) | instskip(NEXT) | instid1(VALU_DEP_3)
	v_mov_b32_e32 v12, v16
	v_dual_mov_b32 v14, v16 :: v_dual_mov_b32 v15, v17
	v_dual_mov_b32 v19, v17 :: v_dual_mov_b32 v18, v16
	;; [unrolled: 1-line block ×6, first 2 shown]
	v_mov_b32_e32 v5, v17
	s_lshl_b32 s8, s13, 5
	s_waitcnt lgkmcnt(0)
	v_cmp_lt_i64_e64 s2, s[16:17], 1
	s_lshl_b32 s9, s14, 5
	s_delay_alu instid0(VALU_DEP_1)
	s_and_b32 vcc_lo, exec_lo, s2
	s_cbranch_vccnz .LBB1338_3
; %bb.1:
	v_lshl_add_u32 v2, v21, 4, v20
	v_dual_mov_b32 v1, 0 :: v_dual_and_b32 v0, 7, v20
	s_load_b64 s[2:3], s[0:1], 0x48
	v_lshlrev_b32_e32 v22, 4, v20
	s_delay_alu instid0(VALU_DEP_3)
	v_and_b32_e32 v8, 31, v2
	v_lshrrev_b32_e32 v9, 3, v2
	v_lshrrev_b32_e32 v2, 5, v2
	v_mov_b32_e32 v3, v1
	v_lshlrev_b32_e32 v11, 4, v0
	v_add_nc_u32_e32 v6, s8, v8
	v_add_nc_u32_e32 v10, s9, v9
	s_mul_i32 s5, s27, s15
	s_mul_hi_u32 s6, s26, s15
	s_mul_i32 s4, s26, s15
	v_ashrrev_i32_e32 v7, 31, v6
	v_ashrrev_i32_e32 v12, 31, v10
	v_mad_u64_u32 v[4:5], null, s24, v6, v[2:3]
	v_mul_lo_u32 v3, s25, v6
	s_delay_alu instid0(VALU_DEP_4)
	v_mul_lo_u32 v13, s24, v7
	v_mul_lo_u32 v14, v10, s31
	v_mad_u64_u32 v[6:7], null, v10, s30, v[0:1]
	v_mul_lo_u32 v0, v12, s30
	v_lshlrev_b32_e32 v1, 4, v8
	s_add_i32 s5, s6, s5
	s_waitcnt lgkmcnt(0)
	s_mul_i32 s3, s3, s15
	v_add3_u32 v5, v3, v5, v13
	s_lshl_b64 s[4:5], s[4:5], 4
	v_lshl_or_b32 v23, v2, 9, v1
	s_mul_hi_u32 s6, s2, s15
	v_add3_u32 v7, v0, v7, v14
	v_lshlrev_b64 v[0:1], 4, v[4:5]
	s_add_u32 s4, s22, s4
	s_addc_u32 s5, s23, s5
	s_add_i32 s3, s6, s3
	s_mul_i32 s2, s2, s15
	v_lshlrev_b64 v[2:3], 4, v[6:7]
	s_lshl_b64 s[2:3], s[2:3], 4
	v_add_co_u32 v0, vcc_lo, s4, v0
	s_add_u32 s2, s28, s2
	v_add_co_ci_u32_e32 v1, vcc_lo, s5, v1, vcc_lo
	v_mov_b32_e32 v4, 0
	v_lshl_or_b32 v8, v9, 7, v11
	s_addc_u32 s3, s29, s3
	v_add_co_u32 v2, vcc_lo, s2, v2
	v_mov_b32_e32 v5, 0
	v_add_co_ci_u32_e32 v3, vcc_lo, s3, v3, vcc_lo
	v_add_co_u32 v0, vcc_lo, v0, 8
	s_delay_alu instid0(VALU_DEP_3)
	v_dual_mov_b32 v9, v5 :: v_dual_add_nc_u32 v24, 0x1000, v8
	v_add_co_ci_u32_e32 v1, vcc_lo, 0, v1, vcc_lo
	v_mov_b32_e32 v11, v5
	v_add_co_u32 v2, vcc_lo, v2, 8
	v_dual_mov_b32 v10, v4 :: v_dual_mov_b32 v15, v5
	v_dual_mov_b32 v8, v4 :: v_dual_mov_b32 v13, v5
	;; [unrolled: 1-line block ×4, first 2 shown]
	v_mov_b32_e32 v17, v5
	v_lshl_add_u32 v25, v21, 7, 0x1000
	v_add_co_ci_u32_e32 v3, vcc_lo, 0, v3, vcc_lo
	v_mov_b32_e32 v6, v4
	v_mov_b32_e32 v18, v4
	;; [unrolled: 1-line block ×3, first 2 shown]
	s_mov_b64 s[2:3], 0
.LBB1338_2:                             ; =>This Inner Loop Header: Depth=1
	global_load_b128 v[26:29], v[0:1], off offset:-8
	global_load_b128 v[30:33], v[2:3], off offset:-8
	s_add_u32 s2, s2, 8
	v_add_co_u32 v0, vcc_lo, 0x80, v0
	s_addc_u32 s3, s3, 0
	v_add_co_ci_u32_e32 v1, vcc_lo, 0, v1, vcc_lo
	v_cmp_ge_u64_e64 s4, s[2:3], s[16:17]
	v_add_co_u32 v2, vcc_lo, 0x80, v2
	v_add_co_ci_u32_e32 v3, vcc_lo, 0, v3, vcc_lo
	s_waitcnt vmcnt(1)
	ds_store_b128 v23, v[26:29]
	s_waitcnt vmcnt(0)
	ds_store_b128 v24, v[30:33]
	s_waitcnt lgkmcnt(0)
	s_barrier
	buffer_gl0_inv
	ds_load_b128 v[26:29], v25
	ds_load_b128 v[30:33], v22
	ds_load_b128 v[34:37], v22 offset:256
	ds_load_b128 v[38:41], v25 offset:2048
	;; [unrolled: 1-line block ×13, first 2 shown]
	s_and_b32 vcc_lo, exec_lo, s4
	s_waitcnt lgkmcnt(13)
	v_mul_f64 v[86:87], v[28:29], v[32:33]
	v_mul_f64 v[88:89], v[26:27], v[32:33]
	s_waitcnt lgkmcnt(12)
	v_mul_f64 v[90:91], v[28:29], v[36:37]
	v_mul_f64 v[92:93], v[26:27], v[36:37]
	;; [unrolled: 3-line block ×3, first 2 shown]
	v_mul_f64 v[96:97], v[40:41], v[36:37]
	v_mul_f64 v[36:37], v[38:39], v[36:37]
	s_waitcnt lgkmcnt(8)
	v_mul_f64 v[98:99], v[44:45], v[52:53]
	v_mul_f64 v[100:101], v[42:43], v[52:53]
	s_waitcnt lgkmcnt(7)
	v_mul_f64 v[102:103], v[44:45], v[56:57]
	v_mul_f64 v[104:105], v[42:43], v[56:57]
	;; [unrolled: 1-line block ×6, first 2 shown]
	s_waitcnt lgkmcnt(3)
	v_mul_f64 v[112:113], v[58:59], v[72:73]
	s_waitcnt lgkmcnt(2)
	v_mul_f64 v[114:115], v[76:77], v[68:69]
	v_mul_f64 v[116:117], v[76:77], v[72:73]
	v_fma_f64 v[86:87], v[26:27], v[30:31], -v[86:87]
	v_fma_f64 v[88:89], v[28:29], v[30:31], v[88:89]
	v_fma_f64 v[90:91], v[26:27], v[34:35], -v[90:91]
	v_fma_f64 v[92:93], v[28:29], v[34:35], v[92:93]
	;; [unrolled: 2-line block ×4, first 2 shown]
	v_mul_f64 v[36:37], v[60:61], v[68:69]
	v_mul_f64 v[40:41], v[58:59], v[68:69]
	;; [unrolled: 1-line block ×5, first 2 shown]
	v_fma_f64 v[98:99], v[42:43], v[50:51], -v[98:99]
	v_fma_f64 v[100:101], v[44:45], v[50:51], v[100:101]
	v_fma_f64 v[42:43], v[42:43], v[54:55], -v[102:103]
	v_fma_f64 v[44:45], v[44:45], v[54:55], v[104:105]
	;; [unrolled: 2-line block ×4, first 2 shown]
	ds_load_b128 v[26:29], v22 offset:1792
	ds_load_b128 v[30:33], v22 offset:2048
	s_waitcnt lgkmcnt(2)
	v_mul_f64 v[56:57], v[64:65], v[84:85]
	v_add_f64 v[16:17], v[16:17], v[86:87]
	v_add_f64 v[18:19], v[18:19], v[88:89]
	;; [unrolled: 1-line block ×8, first 2 shown]
	v_mul_f64 v[86:87], v[62:63], v[84:85]
	s_waitcnt lgkmcnt(1)
	v_mul_f64 v[88:89], v[64:65], v[28:29]
	v_mul_f64 v[90:91], v[62:63], v[28:29]
	v_mul_f64 v[92:93], v[80:81], v[84:85]
	v_mul_f64 v[84:85], v[78:79], v[84:85]
	v_mul_f64 v[94:95], v[80:81], v[28:29]
	v_mul_f64 v[28:29], v[78:79], v[28:29]
	v_fma_f64 v[104:105], v[58:59], v[66:67], -v[36:37]
	v_fma_f64 v[106:107], v[60:61], v[66:67], v[40:41]
	v_fma_f64 v[58:59], v[58:59], v[70:71], -v[96:97]
	v_fma_f64 v[60:61], v[60:61], v[70:71], v[112:113]
	v_fma_f64 v[96:97], v[74:75], v[66:67], -v[114:115]
	v_fma_f64 v[66:67], v[76:77], v[66:67], v[68:69]
	v_fma_f64 v[68:69], v[74:75], v[70:71], -v[116:117]
	v_fma_f64 v[70:71], v[76:77], v[70:71], v[72:73]
	ds_load_b128 v[4:7], v22 offset:2304
	ds_load_b128 v[8:11], v25 offset:64
	v_fma_f64 v[56:57], v[62:63], v[82:83], -v[56:57]
	v_add_f64 v[72:73], v[16:17], v[98:99]
	v_add_f64 v[74:75], v[18:19], v[100:101]
	v_add_f64 v[42:43], v[12:13], v[42:43]
	v_add_f64 v[44:45], v[14:15], v[44:45]
	v_add_f64 v[52:53], v[52:53], v[102:103]
	v_add_f64 v[50:51], v[54:55], v[50:51]
	v_add_f64 v[46:47], v[38:39], v[46:47]
	v_add_f64 v[48:49], v[34:35], v[48:49]
	ds_load_b128 v[12:15], v25 offset:2112
	ds_load_b128 v[16:19], v25 offset:80
	;; [unrolled: 1-line block ×4, first 2 shown]
	s_waitcnt lgkmcnt(4)
	v_mul_f64 v[54:55], v[10:11], v[32:33]
	v_mul_f64 v[76:77], v[8:9], v[32:33]
	;; [unrolled: 1-line block ×4, first 2 shown]
	v_fma_f64 v[86:87], v[64:65], v[82:83], v[86:87]
	v_fma_f64 v[62:63], v[62:63], v[26:27], -v[88:89]
	v_fma_f64 v[64:65], v[64:65], v[26:27], v[90:91]
	v_fma_f64 v[88:89], v[78:79], v[82:83], -v[92:93]
	;; [unrolled: 2-line block ×3, first 2 shown]
	v_fma_f64 v[80:81], v[80:81], v[26:27], v[28:29]
	s_waitcnt lgkmcnt(3)
	v_mul_f64 v[102:103], v[14:15], v[32:33]
	v_mul_f64 v[32:33], v[12:13], v[32:33]
	;; [unrolled: 1-line block ×4, first 2 shown]
	s_waitcnt lgkmcnt(0)
	v_mul_f64 v[90:91], v[18:19], v[40:41]
	v_mul_f64 v[92:93], v[16:17], v[40:41]
	v_add_f64 v[72:73], v[72:73], v[104:105]
	v_add_f64 v[74:75], v[74:75], v[106:107]
	;; [unrolled: 1-line block ×8, first 2 shown]
	ds_load_b128 v[26:29], v22 offset:2816
	ds_load_b128 v[42:45], v22 offset:3072
	;; [unrolled: 1-line block ×4, first 2 shown]
	v_mul_f64 v[104:105], v[36:37], v[40:41]
	v_mul_f64 v[40:41], v[34:35], v[40:41]
	v_fma_f64 v[54:55], v[8:9], v[30:31], -v[54:55]
	v_fma_f64 v[76:77], v[10:11], v[30:31], v[76:77]
	v_fma_f64 v[98:99], v[8:9], v[4:5], -v[98:99]
	v_fma_f64 v[100:101], v[10:11], v[4:5], v[100:101]
	s_waitcnt lgkmcnt(3)
	v_mul_f64 v[94:95], v[18:19], v[28:29]
	v_mul_f64 v[96:97], v[16:17], v[28:29]
	;; [unrolled: 1-line block ×4, first 2 shown]
	v_fma_f64 v[102:103], v[12:13], v[30:31], -v[102:103]
	v_fma_f64 v[32:33], v[14:15], v[30:31], v[32:33]
	v_fma_f64 v[108:109], v[12:13], v[4:5], -v[108:109]
	v_fma_f64 v[112:113], v[14:15], v[4:5], v[6:7]
	ds_load_b128 v[4:7], v25 offset:2144
	ds_load_b128 v[8:11], v25 offset:112
	;; [unrolled: 1-line block ×4, first 2 shown]
	v_add_f64 v[56:57], v[72:73], v[56:57]
	v_add_f64 v[72:73], v[74:75], v[86:87]
	;; [unrolled: 1-line block ×8, first 2 shown]
	s_waitcnt lgkmcnt(4)
	v_mul_f64 v[70:71], v[52:53], v[44:45]
	v_mul_f64 v[74:75], v[50:51], v[44:45]
	;; [unrolled: 1-line block ×4, first 2 shown]
	s_waitcnt lgkmcnt(3)
	v_mul_f64 v[82:83], v[6:7], v[44:45]
	v_mul_f64 v[44:45], v[4:5], v[44:45]
	v_mul_f64 v[84:85], v[6:7], v[48:49]
	v_mul_f64 v[48:49], v[4:5], v[48:49]
	v_fma_f64 v[86:87], v[16:17], v[38:39], -v[90:91]
	v_fma_f64 v[88:89], v[18:19], v[38:39], v[92:93]
	v_fma_f64 v[90:91], v[16:17], v[26:27], -v[94:95]
	v_fma_f64 v[92:93], v[18:19], v[26:27], v[96:97]
	v_fma_f64 v[94:95], v[34:35], v[38:39], -v[104:105]
	v_fma_f64 v[38:39], v[36:37], v[38:39], v[40:41]
	v_fma_f64 v[34:35], v[34:35], v[26:27], -v[106:107]
	v_fma_f64 v[26:27], v[36:37], v[26:27], v[110:111]
	ds_load_b128 v[16:19], v22 offset:3840
	s_waitcnt lgkmcnt(0)
	s_barrier
	buffer_gl0_inv
	v_add_f64 v[36:37], v[56:57], v[54:55]
	v_add_f64 v[40:41], v[72:73], v[76:77]
	v_add_f64 v[54:55], v[58:59], v[98:99]
	v_add_f64 v[56:57], v[60:61], v[100:101]
	v_add_f64 v[58:59], v[62:63], v[102:103]
	v_add_f64 v[32:33], v[64:65], v[32:33]
	v_add_f64 v[60:61], v[66:67], v[108:109]
	v_add_f64 v[62:63], v[68:69], v[112:113]
	v_mul_f64 v[64:65], v[10:11], v[30:31]
	v_mul_f64 v[66:67], v[8:9], v[30:31]
	;; [unrolled: 1-line block ×4, first 2 shown]
	v_fma_f64 v[70:71], v[50:51], v[42:43], -v[70:71]
	v_mul_f64 v[68:69], v[10:11], v[18:19]
	v_mul_f64 v[72:73], v[8:9], v[18:19]
	;; [unrolled: 1-line block ×4, first 2 shown]
	v_fma_f64 v[74:75], v[52:53], v[42:43], v[74:75]
	v_fma_f64 v[50:51], v[50:51], v[46:47], -v[78:79]
	v_fma_f64 v[52:53], v[52:53], v[46:47], v[80:81]
	v_fma_f64 v[78:79], v[4:5], v[42:43], -v[82:83]
	;; [unrolled: 2-line block ×3, first 2 shown]
	v_fma_f64 v[6:7], v[6:7], v[46:47], v[48:49]
	v_add_f64 v[36:37], v[36:37], v[86:87]
	v_add_f64 v[40:41], v[40:41], v[88:89]
	;; [unrolled: 1-line block ×8, first 2 shown]
	v_fma_f64 v[38:39], v[8:9], v[28:29], -v[64:65]
	v_fma_f64 v[54:55], v[10:11], v[28:29], v[66:67]
	v_fma_f64 v[56:57], v[12:13], v[28:29], -v[76:77]
	v_fma_f64 v[28:29], v[14:15], v[28:29], v[30:31]
	;; [unrolled: 2-line block ×4, first 2 shown]
	v_add_f64 v[12:13], v[36:37], v[70:71]
	v_add_f64 v[14:15], v[40:41], v[74:75]
	;; [unrolled: 1-line block ×16, first 2 shown]
	s_cbranch_vccz .LBB1338_2
.LBB1338_3:
	s_clause 0x1
	s_load_b128 s[4:7], s[0:1], 0x60
	s_load_b32 s2, s[0:1], 0x0
	v_add_nc_u32_e32 v21, s9, v21
	s_load_b64 s[10:11], s[0:1], 0x70
	s_delay_alu instid0(VALU_DEP_1) | instskip(SKIP_1) | instid1(VALU_DEP_1)
	v_ashrrev_i32_e32 v0, 31, v21
	s_waitcnt lgkmcnt(0)
	v_mul_lo_u32 v3, v0, s6
	v_mul_lo_u32 v22, v21, s7
	v_mad_u64_u32 v[1:2], null, v21, s6, 0
	s_mul_i32 s1, s15, s11
	s_mul_hi_u32 s3, s15, s10
	v_add_nc_u32_e32 v0, s8, v20
	s_mul_i32 s8, s15, s10
	s_add_i32 s9, s3, s1
	v_cmp_gt_i32_e32 vcc_lo, s2, v21
	s_delay_alu instid0(VALU_DEP_3)
	v_add3_u32 v2, v2, v22, v3
	s_lshl_b64 s[8:9], s[8:9], 4
	v_cmp_le_i32_e64 s0, v0, v21
	s_add_u32 s3, s4, s8
	s_addc_u32 s4, s5, s9
	v_lshlrev_b64 v[1:2], 4, v[1:2]
	s_delay_alu instid0(VALU_DEP_2) | instskip(NEXT) | instid1(VALU_DEP_1)
	s_and_b32 s0, vcc_lo, s0
	v_add_co_u32 v20, s1, s3, v1
	s_delay_alu instid0(VALU_DEP_1)
	v_add_co_ci_u32_e64 v22, s1, s4, v2, s1
	s_and_saveexec_b32 s5, s0
	s_cbranch_execz .LBB1338_5
; %bb.4:
	v_mul_f64 v[1:2], s[18:19], v[18:19]
	v_mul_f64 v[18:19], s[20:21], v[18:19]
	v_cmp_ne_u32_e64 s0, v21, v0
	s_delay_alu instid0(VALU_DEP_3) | instskip(NEXT) | instid1(VALU_DEP_3)
	v_fma_f64 v[2:3], s[20:21], v[16:17], v[1:2]
	v_fma_f64 v[16:17], s[18:19], v[16:17], -v[18:19]
	v_ashrrev_i32_e32 v1, 31, v0
	s_delay_alu instid0(VALU_DEP_1) | instskip(NEXT) | instid1(VALU_DEP_1)
	v_lshlrev_b64 v[18:19], 4, v[0:1]
	v_add_co_u32 v23, s1, v20, v18
	s_delay_alu instid0(VALU_DEP_1)
	v_add_co_ci_u32_e64 v24, s1, v22, v19, s1
	v_cndmask_b32_e64 v19, 0, v3, s0
	v_cndmask_b32_e64 v18, 0, v2, s0
	global_store_b128 v[23:24], v[16:19], off
.LBB1338_5:
	s_or_b32 exec_lo, exec_lo, s5
	v_add_nc_u32_e32 v2, 16, v0
	s_delay_alu instid0(VALU_DEP_1) | instskip(NEXT) | instid1(VALU_DEP_1)
	v_cmp_le_i32_e64 s0, v2, v21
	s_and_b32 s0, vcc_lo, s0
	s_delay_alu instid0(SALU_CYCLE_1)
	s_and_saveexec_b32 s1, s0
	s_cbranch_execz .LBB1338_7
; %bb.6:
	v_mul_f64 v[16:17], s[18:19], v[14:15]
	v_mul_f64 v[14:15], s[20:21], v[14:15]
	v_ashrrev_i32_e32 v3, 31, v2
	v_cmp_ne_u32_e32 vcc_lo, v21, v2
	s_delay_alu instid0(VALU_DEP_4) | instskip(NEXT) | instid1(VALU_DEP_4)
	v_fma_f64 v[16:17], s[20:21], v[12:13], v[16:17]
	v_fma_f64 v[12:13], s[18:19], v[12:13], -v[14:15]
	s_delay_alu instid0(VALU_DEP_4) | instskip(NEXT) | instid1(VALU_DEP_1)
	v_lshlrev_b64 v[14:15], 4, v[2:3]
	v_add_co_u32 v18, s0, v20, v14
	s_delay_alu instid0(VALU_DEP_1)
	v_add_co_ci_u32_e64 v19, s0, v22, v15, s0
	v_dual_cndmask_b32 v15, 0, v17 :: v_dual_cndmask_b32 v14, 0, v16
	global_store_b128 v[18:19], v[12:15], off
.LBB1338_7:
	s_or_b32 exec_lo, exec_lo, s1
	v_add_nc_u32_e32 v3, 16, v21
	s_delay_alu instid0(VALU_DEP_1) | instskip(SKIP_3) | instid1(VALU_DEP_4)
	v_ashrrev_i32_e32 v1, 31, v3
	v_mul_lo_u32 v14, v3, s7
	v_mad_u64_u32 v[12:13], null, v3, s6, 0
	v_cmp_gt_i32_e32 vcc_lo, s2, v3
	v_mul_lo_u32 v1, v1, s6
	v_cmp_le_i32_e64 s0, v0, v3
	s_delay_alu instid0(VALU_DEP_1) | instskip(NEXT) | instid1(VALU_DEP_2)
	s_and_b32 s0, vcc_lo, s0
	v_add3_u32 v13, v13, v14, v1
	s_delay_alu instid0(VALU_DEP_1) | instskip(NEXT) | instid1(VALU_DEP_1)
	v_lshlrev_b64 v[12:13], 4, v[12:13]
	v_add_co_u32 v12, s1, s3, v12
	s_delay_alu instid0(VALU_DEP_1)
	v_add_co_ci_u32_e64 v13, s1, s4, v13, s1
	s_and_saveexec_b32 s2, s0
	s_cbranch_execz .LBB1338_9
; %bb.8:
	v_mul_f64 v[14:15], s[18:19], v[10:11]
	v_mul_f64 v[10:11], s[20:21], v[10:11]
	v_ashrrev_i32_e32 v1, 31, v0
	v_cmp_ne_u32_e64 s0, v3, v0
	s_delay_alu instid0(VALU_DEP_4) | instskip(NEXT) | instid1(VALU_DEP_4)
	v_fma_f64 v[14:15], s[20:21], v[8:9], v[14:15]
	v_fma_f64 v[8:9], s[18:19], v[8:9], -v[10:11]
	s_delay_alu instid0(VALU_DEP_4) | instskip(NEXT) | instid1(VALU_DEP_1)
	v_lshlrev_b64 v[10:11], 4, v[0:1]
	v_add_co_u32 v16, s1, v12, v10
	s_delay_alu instid0(VALU_DEP_1)
	v_add_co_ci_u32_e64 v17, s1, v13, v11, s1
	v_cndmask_b32_e64 v11, 0, v15, s0
	v_cndmask_b32_e64 v10, 0, v14, s0
	global_store_b128 v[16:17], v[8:11], off
.LBB1338_9:
	s_or_b32 exec_lo, exec_lo, s2
	v_cmp_le_i32_e64 s0, v2, v3
	s_delay_alu instid0(VALU_DEP_1) | instskip(NEXT) | instid1(SALU_CYCLE_1)
	s_and_b32 s0, vcc_lo, s0
	s_and_saveexec_b32 s1, s0
	s_cbranch_execz .LBB1338_11
; %bb.10:
	v_mul_f64 v[8:9], s[18:19], v[4:5]
	v_mul_f64 v[3:4], s[20:21], v[4:5]
	v_cmp_ne_u32_e32 vcc_lo, v21, v0
	s_delay_alu instid0(VALU_DEP_3) | instskip(NEXT) | instid1(VALU_DEP_3)
	v_fma_f64 v[8:9], s[20:21], v[6:7], v[8:9]
	v_fma_f64 v[4:5], s[18:19], v[6:7], -v[3:4]
	v_ashrrev_i32_e32 v3, 31, v2
	s_delay_alu instid0(VALU_DEP_1) | instskip(NEXT) | instid1(VALU_DEP_1)
	v_lshlrev_b64 v[1:2], 4, v[2:3]
	v_add_co_u32 v0, s0, v12, v1
	s_delay_alu instid0(VALU_DEP_1)
	v_add_co_ci_u32_e64 v1, s0, v13, v2, s0
	v_dual_cndmask_b32 v7, 0, v9 :: v_dual_cndmask_b32 v6, 0, v8
	global_store_b128 v[0:1], v[4:7], off
.LBB1338_11:
	s_nop 0
	s_sendmsg sendmsg(MSG_DEALLOC_VGPRS)
	s_endpgm
	.section	.rodata,"a",@progbits
	.p2align	6, 0x0
	.amdhsa_kernel _ZL37rocblas_syrkx_herkx_restricted_kernelIl19rocblas_complex_numIdELi16ELi32ELi8ELb1ELb1ELc84ELc85EKS1_S1_EviT_T0_PT8_S3_lS6_S3_lS4_PT9_S3_li
		.amdhsa_group_segment_fixed_size 8192
		.amdhsa_private_segment_fixed_size 0
		.amdhsa_kernarg_size 124
		.amdhsa_user_sgpr_count 13
		.amdhsa_user_sgpr_dispatch_ptr 0
		.amdhsa_user_sgpr_queue_ptr 0
		.amdhsa_user_sgpr_kernarg_segment_ptr 1
		.amdhsa_user_sgpr_dispatch_id 0
		.amdhsa_user_sgpr_private_segment_size 0
		.amdhsa_wavefront_size32 1
		.amdhsa_uses_dynamic_stack 0
		.amdhsa_enable_private_segment 0
		.amdhsa_system_sgpr_workgroup_id_x 1
		.amdhsa_system_sgpr_workgroup_id_y 1
		.amdhsa_system_sgpr_workgroup_id_z 1
		.amdhsa_system_sgpr_workgroup_info 0
		.amdhsa_system_vgpr_workitem_id 1
		.amdhsa_next_free_vgpr 118
		.amdhsa_next_free_sgpr 32
		.amdhsa_reserve_vcc 1
		.amdhsa_float_round_mode_32 0
		.amdhsa_float_round_mode_16_64 0
		.amdhsa_float_denorm_mode_32 3
		.amdhsa_float_denorm_mode_16_64 3
		.amdhsa_dx10_clamp 1
		.amdhsa_ieee_mode 1
		.amdhsa_fp16_overflow 0
		.amdhsa_workgroup_processor_mode 1
		.amdhsa_memory_ordered 1
		.amdhsa_forward_progress 0
		.amdhsa_shared_vgpr_count 0
		.amdhsa_exception_fp_ieee_invalid_op 0
		.amdhsa_exception_fp_denorm_src 0
		.amdhsa_exception_fp_ieee_div_zero 0
		.amdhsa_exception_fp_ieee_overflow 0
		.amdhsa_exception_fp_ieee_underflow 0
		.amdhsa_exception_fp_ieee_inexact 0
		.amdhsa_exception_int_div_zero 0
	.end_amdhsa_kernel
	.section	.text._ZL37rocblas_syrkx_herkx_restricted_kernelIl19rocblas_complex_numIdELi16ELi32ELi8ELb1ELb1ELc84ELc85EKS1_S1_EviT_T0_PT8_S3_lS6_S3_lS4_PT9_S3_li,"axG",@progbits,_ZL37rocblas_syrkx_herkx_restricted_kernelIl19rocblas_complex_numIdELi16ELi32ELi8ELb1ELb1ELc84ELc85EKS1_S1_EviT_T0_PT8_S3_lS6_S3_lS4_PT9_S3_li,comdat
.Lfunc_end1338:
	.size	_ZL37rocblas_syrkx_herkx_restricted_kernelIl19rocblas_complex_numIdELi16ELi32ELi8ELb1ELb1ELc84ELc85EKS1_S1_EviT_T0_PT8_S3_lS6_S3_lS4_PT9_S3_li, .Lfunc_end1338-_ZL37rocblas_syrkx_herkx_restricted_kernelIl19rocblas_complex_numIdELi16ELi32ELi8ELb1ELb1ELc84ELc85EKS1_S1_EviT_T0_PT8_S3_lS6_S3_lS4_PT9_S3_li
                                        ; -- End function
	.section	.AMDGPU.csdata,"",@progbits
; Kernel info:
; codeLenInByte = 3220
; NumSgprs: 34
; NumVgprs: 118
; ScratchSize: 0
; MemoryBound: 0
; FloatMode: 240
; IeeeMode: 1
; LDSByteSize: 8192 bytes/workgroup (compile time only)
; SGPRBlocks: 4
; VGPRBlocks: 14
; NumSGPRsForWavesPerEU: 34
; NumVGPRsForWavesPerEU: 118
; Occupancy: 12
; WaveLimiterHint : 1
; COMPUTE_PGM_RSRC2:SCRATCH_EN: 0
; COMPUTE_PGM_RSRC2:USER_SGPR: 13
; COMPUTE_PGM_RSRC2:TRAP_HANDLER: 0
; COMPUTE_PGM_RSRC2:TGID_X_EN: 1
; COMPUTE_PGM_RSRC2:TGID_Y_EN: 1
; COMPUTE_PGM_RSRC2:TGID_Z_EN: 1
; COMPUTE_PGM_RSRC2:TIDIG_COMP_CNT: 1
	.section	.text._ZL37rocblas_syrkx_herkx_restricted_kernelIl19rocblas_complex_numIdELi16ELi32ELi8ELb1ELb1ELc67ELc85EKS1_S1_EviT_T0_PT8_S3_lS6_S3_lS4_PT9_S3_li,"axG",@progbits,_ZL37rocblas_syrkx_herkx_restricted_kernelIl19rocblas_complex_numIdELi16ELi32ELi8ELb1ELb1ELc67ELc85EKS1_S1_EviT_T0_PT8_S3_lS6_S3_lS4_PT9_S3_li,comdat
	.globl	_ZL37rocblas_syrkx_herkx_restricted_kernelIl19rocblas_complex_numIdELi16ELi32ELi8ELb1ELb1ELc67ELc85EKS1_S1_EviT_T0_PT8_S3_lS6_S3_lS4_PT9_S3_li ; -- Begin function _ZL37rocblas_syrkx_herkx_restricted_kernelIl19rocblas_complex_numIdELi16ELi32ELi8ELb1ELb1ELc67ELc85EKS1_S1_EviT_T0_PT8_S3_lS6_S3_lS4_PT9_S3_li
	.p2align	8
	.type	_ZL37rocblas_syrkx_herkx_restricted_kernelIl19rocblas_complex_numIdELi16ELi32ELi8ELb1ELb1ELc67ELc85EKS1_S1_EviT_T0_PT8_S3_lS6_S3_lS4_PT9_S3_li,@function
_ZL37rocblas_syrkx_herkx_restricted_kernelIl19rocblas_complex_numIdELi16ELi32ELi8ELb1ELb1ELc67ELc85EKS1_S1_EviT_T0_PT8_S3_lS6_S3_lS4_PT9_S3_li: ; @_ZL37rocblas_syrkx_herkx_restricted_kernelIl19rocblas_complex_numIdELi16ELi32ELi8ELb1ELb1ELc67ELc85EKS1_S1_EviT_T0_PT8_S3_lS6_S3_lS4_PT9_S3_li
; %bb.0:
	s_load_b512 s[16:31], s[0:1], 0x8
	v_mov_b32_e32 v16, 0
	v_dual_mov_b32 v17, 0 :: v_dual_and_b32 v20, 0x3ff, v0
	v_bfe_u32 v21, v0, 10, 10
	s_delay_alu instid0(VALU_DEP_3) | instskip(NEXT) | instid1(VALU_DEP_3)
	v_mov_b32_e32 v12, v16
	v_dual_mov_b32 v14, v16 :: v_dual_mov_b32 v15, v17
	v_dual_mov_b32 v19, v17 :: v_dual_mov_b32 v18, v16
	;; [unrolled: 1-line block ×6, first 2 shown]
	v_mov_b32_e32 v5, v17
	s_lshl_b32 s8, s13, 5
	s_waitcnt lgkmcnt(0)
	v_cmp_lt_i64_e64 s2, s[16:17], 1
	s_lshl_b32 s9, s14, 5
	s_delay_alu instid0(VALU_DEP_1)
	s_and_b32 vcc_lo, exec_lo, s2
	s_cbranch_vccnz .LBB1339_3
; %bb.1:
	v_lshl_add_u32 v2, v21, 4, v20
	v_dual_mov_b32 v1, 0 :: v_dual_and_b32 v0, 7, v20
	s_load_b64 s[2:3], s[0:1], 0x48
	v_lshlrev_b32_e32 v22, 4, v20
	s_delay_alu instid0(VALU_DEP_3)
	v_and_b32_e32 v8, 31, v2
	v_lshrrev_b32_e32 v9, 3, v2
	v_lshrrev_b32_e32 v2, 5, v2
	v_mov_b32_e32 v3, v1
	v_lshlrev_b32_e32 v11, 4, v0
	v_add_nc_u32_e32 v6, s8, v8
	v_add_nc_u32_e32 v10, s9, v9
	s_mul_i32 s5, s27, s15
	s_mul_hi_u32 s6, s26, s15
	s_mul_i32 s4, s26, s15
	v_ashrrev_i32_e32 v7, 31, v6
	v_ashrrev_i32_e32 v12, 31, v10
	v_mad_u64_u32 v[4:5], null, s24, v6, v[2:3]
	v_mul_lo_u32 v3, s25, v6
	s_delay_alu instid0(VALU_DEP_4)
	v_mul_lo_u32 v13, s24, v7
	v_mul_lo_u32 v14, v10, s31
	v_mad_u64_u32 v[6:7], null, v10, s30, v[0:1]
	v_mul_lo_u32 v0, v12, s30
	v_lshlrev_b32_e32 v1, 4, v8
	s_add_i32 s5, s6, s5
	s_waitcnt lgkmcnt(0)
	s_mul_i32 s3, s3, s15
	v_add3_u32 v5, v3, v5, v13
	s_lshl_b64 s[4:5], s[4:5], 4
	v_lshl_or_b32 v23, v2, 9, v1
	s_mul_hi_u32 s6, s2, s15
	v_add3_u32 v7, v0, v7, v14
	v_lshlrev_b64 v[0:1], 4, v[4:5]
	s_add_u32 s4, s22, s4
	s_addc_u32 s5, s23, s5
	s_add_i32 s3, s6, s3
	s_mul_i32 s2, s2, s15
	v_lshlrev_b64 v[2:3], 4, v[6:7]
	s_lshl_b64 s[2:3], s[2:3], 4
	v_add_co_u32 v0, vcc_lo, s4, v0
	s_add_u32 s2, s28, s2
	v_add_co_ci_u32_e32 v1, vcc_lo, s5, v1, vcc_lo
	v_mov_b32_e32 v4, 0
	v_lshl_or_b32 v8, v9, 7, v11
	s_addc_u32 s3, s29, s3
	v_add_co_u32 v2, vcc_lo, s2, v2
	v_mov_b32_e32 v5, 0
	v_add_co_ci_u32_e32 v3, vcc_lo, s3, v3, vcc_lo
	v_add_co_u32 v0, vcc_lo, v0, 8
	s_delay_alu instid0(VALU_DEP_3)
	v_dual_mov_b32 v9, v5 :: v_dual_add_nc_u32 v24, 0x1000, v8
	v_add_co_ci_u32_e32 v1, vcc_lo, 0, v1, vcc_lo
	v_mov_b32_e32 v11, v5
	v_add_co_u32 v2, vcc_lo, v2, 8
	v_dual_mov_b32 v10, v4 :: v_dual_mov_b32 v15, v5
	v_dual_mov_b32 v8, v4 :: v_dual_mov_b32 v13, v5
	;; [unrolled: 1-line block ×4, first 2 shown]
	v_mov_b32_e32 v17, v5
	v_lshl_add_u32 v25, v21, 7, 0x1000
	v_add_co_ci_u32_e32 v3, vcc_lo, 0, v3, vcc_lo
	v_mov_b32_e32 v6, v4
	v_mov_b32_e32 v18, v4
	;; [unrolled: 1-line block ×3, first 2 shown]
	s_mov_b64 s[2:3], 0
.LBB1339_2:                             ; =>This Inner Loop Header: Depth=1
	global_load_b128 v[26:29], v[0:1], off offset:-8
	global_load_b128 v[30:33], v[2:3], off offset:-8
	s_add_u32 s2, s2, 8
	v_add_co_u32 v0, vcc_lo, 0x80, v0
	s_addc_u32 s3, s3, 0
	v_add_co_ci_u32_e32 v1, vcc_lo, 0, v1, vcc_lo
	v_cmp_ge_u64_e64 s4, s[2:3], s[16:17]
	v_add_co_u32 v2, vcc_lo, 0x80, v2
	v_add_co_ci_u32_e32 v3, vcc_lo, 0, v3, vcc_lo
	s_delay_alu instid0(VALU_DEP_3)
	s_and_b32 vcc_lo, exec_lo, s4
	s_waitcnt vmcnt(1)
	v_xor_b32_e32 v29, 0x80000000, v29
	ds_store_b128 v23, v[26:29]
	s_waitcnt vmcnt(0)
	ds_store_b128 v24, v[30:33]
	s_waitcnt lgkmcnt(0)
	s_barrier
	buffer_gl0_inv
	ds_load_b128 v[26:29], v25
	ds_load_b128 v[30:33], v22
	ds_load_b128 v[34:37], v22 offset:256
	ds_load_b128 v[38:41], v25 offset:2048
	;; [unrolled: 1-line block ×13, first 2 shown]
	s_waitcnt lgkmcnt(13)
	v_mul_f64 v[86:87], v[28:29], v[32:33]
	v_mul_f64 v[88:89], v[26:27], v[32:33]
	s_waitcnt lgkmcnt(12)
	v_mul_f64 v[90:91], v[28:29], v[36:37]
	v_mul_f64 v[92:93], v[26:27], v[36:37]
	;; [unrolled: 3-line block ×3, first 2 shown]
	v_mul_f64 v[96:97], v[40:41], v[36:37]
	v_mul_f64 v[36:37], v[38:39], v[36:37]
	s_waitcnt lgkmcnt(8)
	v_mul_f64 v[98:99], v[44:45], v[52:53]
	v_mul_f64 v[100:101], v[42:43], v[52:53]
	s_waitcnt lgkmcnt(7)
	v_mul_f64 v[102:103], v[44:45], v[56:57]
	v_mul_f64 v[104:105], v[42:43], v[56:57]
	;; [unrolled: 1-line block ×6, first 2 shown]
	s_waitcnt lgkmcnt(3)
	v_mul_f64 v[112:113], v[58:59], v[72:73]
	s_waitcnt lgkmcnt(2)
	v_mul_f64 v[114:115], v[76:77], v[68:69]
	v_mul_f64 v[116:117], v[76:77], v[72:73]
	v_fma_f64 v[86:87], v[26:27], v[30:31], -v[86:87]
	v_fma_f64 v[88:89], v[28:29], v[30:31], v[88:89]
	v_fma_f64 v[90:91], v[26:27], v[34:35], -v[90:91]
	v_fma_f64 v[92:93], v[28:29], v[34:35], v[92:93]
	;; [unrolled: 2-line block ×4, first 2 shown]
	v_mul_f64 v[36:37], v[60:61], v[68:69]
	v_mul_f64 v[40:41], v[58:59], v[68:69]
	;; [unrolled: 1-line block ×5, first 2 shown]
	v_fma_f64 v[98:99], v[42:43], v[50:51], -v[98:99]
	v_fma_f64 v[100:101], v[44:45], v[50:51], v[100:101]
	v_fma_f64 v[42:43], v[42:43], v[54:55], -v[102:103]
	v_fma_f64 v[44:45], v[44:45], v[54:55], v[104:105]
	;; [unrolled: 2-line block ×4, first 2 shown]
	ds_load_b128 v[26:29], v22 offset:1792
	ds_load_b128 v[30:33], v22 offset:2048
	s_waitcnt lgkmcnt(2)
	v_mul_f64 v[56:57], v[64:65], v[84:85]
	v_add_f64 v[16:17], v[16:17], v[86:87]
	v_add_f64 v[18:19], v[18:19], v[88:89]
	;; [unrolled: 1-line block ×8, first 2 shown]
	v_mul_f64 v[86:87], v[62:63], v[84:85]
	s_waitcnt lgkmcnt(1)
	v_mul_f64 v[88:89], v[64:65], v[28:29]
	v_mul_f64 v[90:91], v[62:63], v[28:29]
	v_mul_f64 v[92:93], v[80:81], v[84:85]
	v_mul_f64 v[84:85], v[78:79], v[84:85]
	v_mul_f64 v[94:95], v[80:81], v[28:29]
	v_mul_f64 v[28:29], v[78:79], v[28:29]
	v_fma_f64 v[104:105], v[58:59], v[66:67], -v[36:37]
	v_fma_f64 v[106:107], v[60:61], v[66:67], v[40:41]
	v_fma_f64 v[58:59], v[58:59], v[70:71], -v[96:97]
	v_fma_f64 v[60:61], v[60:61], v[70:71], v[112:113]
	;; [unrolled: 2-line block ×4, first 2 shown]
	ds_load_b128 v[4:7], v22 offset:2304
	ds_load_b128 v[8:11], v25 offset:64
	v_fma_f64 v[56:57], v[62:63], v[82:83], -v[56:57]
	v_add_f64 v[72:73], v[16:17], v[98:99]
	v_add_f64 v[74:75], v[18:19], v[100:101]
	;; [unrolled: 1-line block ×8, first 2 shown]
	ds_load_b128 v[12:15], v25 offset:2112
	ds_load_b128 v[16:19], v25 offset:80
	;; [unrolled: 1-line block ×4, first 2 shown]
	s_waitcnt lgkmcnt(4)
	v_mul_f64 v[54:55], v[10:11], v[32:33]
	v_mul_f64 v[76:77], v[8:9], v[32:33]
	;; [unrolled: 1-line block ×4, first 2 shown]
	v_fma_f64 v[86:87], v[64:65], v[82:83], v[86:87]
	v_fma_f64 v[62:63], v[62:63], v[26:27], -v[88:89]
	v_fma_f64 v[64:65], v[64:65], v[26:27], v[90:91]
	v_fma_f64 v[88:89], v[78:79], v[82:83], -v[92:93]
	v_fma_f64 v[82:83], v[80:81], v[82:83], v[84:85]
	v_fma_f64 v[78:79], v[78:79], v[26:27], -v[94:95]
	v_fma_f64 v[80:81], v[80:81], v[26:27], v[28:29]
	s_waitcnt lgkmcnt(3)
	v_mul_f64 v[102:103], v[14:15], v[32:33]
	v_mul_f64 v[32:33], v[12:13], v[32:33]
	;; [unrolled: 1-line block ×4, first 2 shown]
	s_waitcnt lgkmcnt(0)
	v_mul_f64 v[90:91], v[18:19], v[40:41]
	v_mul_f64 v[92:93], v[16:17], v[40:41]
	v_add_f64 v[72:73], v[72:73], v[104:105]
	v_add_f64 v[74:75], v[74:75], v[106:107]
	;; [unrolled: 1-line block ×8, first 2 shown]
	ds_load_b128 v[26:29], v22 offset:2816
	ds_load_b128 v[42:45], v22 offset:3072
	;; [unrolled: 1-line block ×4, first 2 shown]
	v_mul_f64 v[104:105], v[36:37], v[40:41]
	v_mul_f64 v[40:41], v[34:35], v[40:41]
	v_fma_f64 v[54:55], v[8:9], v[30:31], -v[54:55]
	v_fma_f64 v[76:77], v[10:11], v[30:31], v[76:77]
	v_fma_f64 v[98:99], v[8:9], v[4:5], -v[98:99]
	v_fma_f64 v[100:101], v[10:11], v[4:5], v[100:101]
	s_waitcnt lgkmcnt(3)
	v_mul_f64 v[94:95], v[18:19], v[28:29]
	v_mul_f64 v[96:97], v[16:17], v[28:29]
	;; [unrolled: 1-line block ×4, first 2 shown]
	v_fma_f64 v[102:103], v[12:13], v[30:31], -v[102:103]
	v_fma_f64 v[32:33], v[14:15], v[30:31], v[32:33]
	v_fma_f64 v[108:109], v[12:13], v[4:5], -v[108:109]
	v_fma_f64 v[112:113], v[14:15], v[4:5], v[6:7]
	ds_load_b128 v[4:7], v25 offset:2144
	ds_load_b128 v[8:11], v25 offset:112
	ds_load_b128 v[12:15], v25 offset:2160
	ds_load_b128 v[28:31], v22 offset:3584
	v_add_f64 v[56:57], v[72:73], v[56:57]
	v_add_f64 v[72:73], v[74:75], v[86:87]
	;; [unrolled: 1-line block ×8, first 2 shown]
	s_waitcnt lgkmcnt(4)
	v_mul_f64 v[70:71], v[52:53], v[44:45]
	v_mul_f64 v[74:75], v[50:51], v[44:45]
	v_mul_f64 v[78:79], v[52:53], v[48:49]
	v_mul_f64 v[80:81], v[50:51], v[48:49]
	s_waitcnt lgkmcnt(3)
	v_mul_f64 v[82:83], v[6:7], v[44:45]
	v_mul_f64 v[44:45], v[4:5], v[44:45]
	;; [unrolled: 1-line block ×4, first 2 shown]
	v_fma_f64 v[86:87], v[16:17], v[38:39], -v[90:91]
	v_fma_f64 v[88:89], v[18:19], v[38:39], v[92:93]
	v_fma_f64 v[90:91], v[16:17], v[26:27], -v[94:95]
	v_fma_f64 v[92:93], v[18:19], v[26:27], v[96:97]
	;; [unrolled: 2-line block ×4, first 2 shown]
	ds_load_b128 v[16:19], v22 offset:3840
	s_waitcnt lgkmcnt(0)
	s_barrier
	buffer_gl0_inv
	v_add_f64 v[36:37], v[56:57], v[54:55]
	v_add_f64 v[40:41], v[72:73], v[76:77]
	;; [unrolled: 1-line block ×8, first 2 shown]
	v_mul_f64 v[64:65], v[10:11], v[30:31]
	v_mul_f64 v[66:67], v[8:9], v[30:31]
	;; [unrolled: 1-line block ×4, first 2 shown]
	v_fma_f64 v[70:71], v[50:51], v[42:43], -v[70:71]
	v_mul_f64 v[68:69], v[10:11], v[18:19]
	v_mul_f64 v[72:73], v[8:9], v[18:19]
	;; [unrolled: 1-line block ×4, first 2 shown]
	v_fma_f64 v[74:75], v[52:53], v[42:43], v[74:75]
	v_fma_f64 v[50:51], v[50:51], v[46:47], -v[78:79]
	v_fma_f64 v[52:53], v[52:53], v[46:47], v[80:81]
	v_fma_f64 v[78:79], v[4:5], v[42:43], -v[82:83]
	;; [unrolled: 2-line block ×3, first 2 shown]
	v_fma_f64 v[6:7], v[6:7], v[46:47], v[48:49]
	v_add_f64 v[36:37], v[36:37], v[86:87]
	v_add_f64 v[40:41], v[40:41], v[88:89]
	;; [unrolled: 1-line block ×8, first 2 shown]
	v_fma_f64 v[38:39], v[8:9], v[28:29], -v[64:65]
	v_fma_f64 v[54:55], v[10:11], v[28:29], v[66:67]
	v_fma_f64 v[56:57], v[12:13], v[28:29], -v[76:77]
	v_fma_f64 v[28:29], v[14:15], v[28:29], v[30:31]
	;; [unrolled: 2-line block ×4, first 2 shown]
	v_add_f64 v[12:13], v[36:37], v[70:71]
	v_add_f64 v[14:15], v[40:41], v[74:75]
	;; [unrolled: 1-line block ×16, first 2 shown]
	s_cbranch_vccz .LBB1339_2
.LBB1339_3:
	s_clause 0x1
	s_load_b128 s[4:7], s[0:1], 0x60
	s_load_b32 s2, s[0:1], 0x0
	v_add_nc_u32_e32 v21, s9, v21
	s_load_b64 s[10:11], s[0:1], 0x70
	s_delay_alu instid0(VALU_DEP_1) | instskip(SKIP_1) | instid1(VALU_DEP_1)
	v_ashrrev_i32_e32 v0, 31, v21
	s_waitcnt lgkmcnt(0)
	v_mul_lo_u32 v3, v0, s6
	v_mul_lo_u32 v22, v21, s7
	v_mad_u64_u32 v[1:2], null, v21, s6, 0
	s_mul_i32 s1, s15, s11
	s_mul_hi_u32 s3, s15, s10
	v_add_nc_u32_e32 v0, s8, v20
	s_mul_i32 s8, s15, s10
	s_add_i32 s9, s3, s1
	v_cmp_gt_i32_e32 vcc_lo, s2, v21
	s_delay_alu instid0(VALU_DEP_3)
	v_add3_u32 v2, v2, v22, v3
	s_lshl_b64 s[8:9], s[8:9], 4
	v_cmp_le_i32_e64 s0, v0, v21
	s_add_u32 s3, s4, s8
	s_addc_u32 s4, s5, s9
	v_lshlrev_b64 v[1:2], 4, v[1:2]
	s_delay_alu instid0(VALU_DEP_2) | instskip(NEXT) | instid1(VALU_DEP_1)
	s_and_b32 s0, vcc_lo, s0
	v_add_co_u32 v20, s1, s3, v1
	s_delay_alu instid0(VALU_DEP_1)
	v_add_co_ci_u32_e64 v22, s1, s4, v2, s1
	s_and_saveexec_b32 s5, s0
	s_cbranch_execz .LBB1339_5
; %bb.4:
	v_mul_f64 v[1:2], s[18:19], v[18:19]
	v_mul_f64 v[18:19], s[20:21], v[18:19]
	v_cmp_ne_u32_e64 s0, v21, v0
	s_delay_alu instid0(VALU_DEP_3) | instskip(NEXT) | instid1(VALU_DEP_3)
	v_fma_f64 v[2:3], s[20:21], v[16:17], v[1:2]
	v_fma_f64 v[16:17], s[18:19], v[16:17], -v[18:19]
	v_ashrrev_i32_e32 v1, 31, v0
	s_delay_alu instid0(VALU_DEP_1) | instskip(NEXT) | instid1(VALU_DEP_1)
	v_lshlrev_b64 v[18:19], 4, v[0:1]
	v_add_co_u32 v23, s1, v20, v18
	s_delay_alu instid0(VALU_DEP_1)
	v_add_co_ci_u32_e64 v24, s1, v22, v19, s1
	v_cndmask_b32_e64 v19, 0, v3, s0
	v_cndmask_b32_e64 v18, 0, v2, s0
	global_store_b128 v[23:24], v[16:19], off
.LBB1339_5:
	s_or_b32 exec_lo, exec_lo, s5
	v_add_nc_u32_e32 v2, 16, v0
	s_delay_alu instid0(VALU_DEP_1) | instskip(NEXT) | instid1(VALU_DEP_1)
	v_cmp_le_i32_e64 s0, v2, v21
	s_and_b32 s0, vcc_lo, s0
	s_delay_alu instid0(SALU_CYCLE_1)
	s_and_saveexec_b32 s1, s0
	s_cbranch_execz .LBB1339_7
; %bb.6:
	v_mul_f64 v[16:17], s[18:19], v[14:15]
	v_mul_f64 v[14:15], s[20:21], v[14:15]
	v_ashrrev_i32_e32 v3, 31, v2
	v_cmp_ne_u32_e32 vcc_lo, v21, v2
	s_delay_alu instid0(VALU_DEP_4) | instskip(NEXT) | instid1(VALU_DEP_4)
	v_fma_f64 v[16:17], s[20:21], v[12:13], v[16:17]
	v_fma_f64 v[12:13], s[18:19], v[12:13], -v[14:15]
	s_delay_alu instid0(VALU_DEP_4) | instskip(NEXT) | instid1(VALU_DEP_1)
	v_lshlrev_b64 v[14:15], 4, v[2:3]
	v_add_co_u32 v18, s0, v20, v14
	s_delay_alu instid0(VALU_DEP_1)
	v_add_co_ci_u32_e64 v19, s0, v22, v15, s0
	v_dual_cndmask_b32 v15, 0, v17 :: v_dual_cndmask_b32 v14, 0, v16
	global_store_b128 v[18:19], v[12:15], off
.LBB1339_7:
	s_or_b32 exec_lo, exec_lo, s1
	v_add_nc_u32_e32 v3, 16, v21
	s_delay_alu instid0(VALU_DEP_1) | instskip(SKIP_3) | instid1(VALU_DEP_4)
	v_ashrrev_i32_e32 v1, 31, v3
	v_mul_lo_u32 v14, v3, s7
	v_mad_u64_u32 v[12:13], null, v3, s6, 0
	v_cmp_gt_i32_e32 vcc_lo, s2, v3
	v_mul_lo_u32 v1, v1, s6
	v_cmp_le_i32_e64 s0, v0, v3
	s_delay_alu instid0(VALU_DEP_1) | instskip(NEXT) | instid1(VALU_DEP_2)
	s_and_b32 s0, vcc_lo, s0
	v_add3_u32 v13, v13, v14, v1
	s_delay_alu instid0(VALU_DEP_1) | instskip(NEXT) | instid1(VALU_DEP_1)
	v_lshlrev_b64 v[12:13], 4, v[12:13]
	v_add_co_u32 v12, s1, s3, v12
	s_delay_alu instid0(VALU_DEP_1)
	v_add_co_ci_u32_e64 v13, s1, s4, v13, s1
	s_and_saveexec_b32 s2, s0
	s_cbranch_execz .LBB1339_9
; %bb.8:
	v_mul_f64 v[14:15], s[18:19], v[10:11]
	v_mul_f64 v[10:11], s[20:21], v[10:11]
	v_ashrrev_i32_e32 v1, 31, v0
	v_cmp_ne_u32_e64 s0, v3, v0
	s_delay_alu instid0(VALU_DEP_4) | instskip(NEXT) | instid1(VALU_DEP_4)
	v_fma_f64 v[14:15], s[20:21], v[8:9], v[14:15]
	v_fma_f64 v[8:9], s[18:19], v[8:9], -v[10:11]
	s_delay_alu instid0(VALU_DEP_4) | instskip(NEXT) | instid1(VALU_DEP_1)
	v_lshlrev_b64 v[10:11], 4, v[0:1]
	v_add_co_u32 v16, s1, v12, v10
	s_delay_alu instid0(VALU_DEP_1)
	v_add_co_ci_u32_e64 v17, s1, v13, v11, s1
	v_cndmask_b32_e64 v11, 0, v15, s0
	v_cndmask_b32_e64 v10, 0, v14, s0
	global_store_b128 v[16:17], v[8:11], off
.LBB1339_9:
	s_or_b32 exec_lo, exec_lo, s2
	v_cmp_le_i32_e64 s0, v2, v3
	s_delay_alu instid0(VALU_DEP_1) | instskip(NEXT) | instid1(SALU_CYCLE_1)
	s_and_b32 s0, vcc_lo, s0
	s_and_saveexec_b32 s1, s0
	s_cbranch_execz .LBB1339_11
; %bb.10:
	v_mul_f64 v[8:9], s[18:19], v[4:5]
	v_mul_f64 v[3:4], s[20:21], v[4:5]
	v_cmp_ne_u32_e32 vcc_lo, v21, v0
	s_delay_alu instid0(VALU_DEP_3) | instskip(NEXT) | instid1(VALU_DEP_3)
	v_fma_f64 v[8:9], s[20:21], v[6:7], v[8:9]
	v_fma_f64 v[4:5], s[18:19], v[6:7], -v[3:4]
	v_ashrrev_i32_e32 v3, 31, v2
	s_delay_alu instid0(VALU_DEP_1) | instskip(NEXT) | instid1(VALU_DEP_1)
	v_lshlrev_b64 v[1:2], 4, v[2:3]
	v_add_co_u32 v0, s0, v12, v1
	s_delay_alu instid0(VALU_DEP_1)
	v_add_co_ci_u32_e64 v1, s0, v13, v2, s0
	v_dual_cndmask_b32 v7, 0, v9 :: v_dual_cndmask_b32 v6, 0, v8
	global_store_b128 v[0:1], v[4:7], off
.LBB1339_11:
	s_nop 0
	s_sendmsg sendmsg(MSG_DEALLOC_VGPRS)
	s_endpgm
	.section	.rodata,"a",@progbits
	.p2align	6, 0x0
	.amdhsa_kernel _ZL37rocblas_syrkx_herkx_restricted_kernelIl19rocblas_complex_numIdELi16ELi32ELi8ELb1ELb1ELc67ELc85EKS1_S1_EviT_T0_PT8_S3_lS6_S3_lS4_PT9_S3_li
		.amdhsa_group_segment_fixed_size 8192
		.amdhsa_private_segment_fixed_size 0
		.amdhsa_kernarg_size 124
		.amdhsa_user_sgpr_count 13
		.amdhsa_user_sgpr_dispatch_ptr 0
		.amdhsa_user_sgpr_queue_ptr 0
		.amdhsa_user_sgpr_kernarg_segment_ptr 1
		.amdhsa_user_sgpr_dispatch_id 0
		.amdhsa_user_sgpr_private_segment_size 0
		.amdhsa_wavefront_size32 1
		.amdhsa_uses_dynamic_stack 0
		.amdhsa_enable_private_segment 0
		.amdhsa_system_sgpr_workgroup_id_x 1
		.amdhsa_system_sgpr_workgroup_id_y 1
		.amdhsa_system_sgpr_workgroup_id_z 1
		.amdhsa_system_sgpr_workgroup_info 0
		.amdhsa_system_vgpr_workitem_id 1
		.amdhsa_next_free_vgpr 118
		.amdhsa_next_free_sgpr 32
		.amdhsa_reserve_vcc 1
		.amdhsa_float_round_mode_32 0
		.amdhsa_float_round_mode_16_64 0
		.amdhsa_float_denorm_mode_32 3
		.amdhsa_float_denorm_mode_16_64 3
		.amdhsa_dx10_clamp 1
		.amdhsa_ieee_mode 1
		.amdhsa_fp16_overflow 0
		.amdhsa_workgroup_processor_mode 1
		.amdhsa_memory_ordered 1
		.amdhsa_forward_progress 0
		.amdhsa_shared_vgpr_count 0
		.amdhsa_exception_fp_ieee_invalid_op 0
		.amdhsa_exception_fp_denorm_src 0
		.amdhsa_exception_fp_ieee_div_zero 0
		.amdhsa_exception_fp_ieee_overflow 0
		.amdhsa_exception_fp_ieee_underflow 0
		.amdhsa_exception_fp_ieee_inexact 0
		.amdhsa_exception_int_div_zero 0
	.end_amdhsa_kernel
	.section	.text._ZL37rocblas_syrkx_herkx_restricted_kernelIl19rocblas_complex_numIdELi16ELi32ELi8ELb1ELb1ELc67ELc85EKS1_S1_EviT_T0_PT8_S3_lS6_S3_lS4_PT9_S3_li,"axG",@progbits,_ZL37rocblas_syrkx_herkx_restricted_kernelIl19rocblas_complex_numIdELi16ELi32ELi8ELb1ELb1ELc67ELc85EKS1_S1_EviT_T0_PT8_S3_lS6_S3_lS4_PT9_S3_li,comdat
.Lfunc_end1339:
	.size	_ZL37rocblas_syrkx_herkx_restricted_kernelIl19rocblas_complex_numIdELi16ELi32ELi8ELb1ELb1ELc67ELc85EKS1_S1_EviT_T0_PT8_S3_lS6_S3_lS4_PT9_S3_li, .Lfunc_end1339-_ZL37rocblas_syrkx_herkx_restricted_kernelIl19rocblas_complex_numIdELi16ELi32ELi8ELb1ELb1ELc67ELc85EKS1_S1_EviT_T0_PT8_S3_lS6_S3_lS4_PT9_S3_li
                                        ; -- End function
	.section	.AMDGPU.csdata,"",@progbits
; Kernel info:
; codeLenInByte = 3232
; NumSgprs: 34
; NumVgprs: 118
; ScratchSize: 0
; MemoryBound: 0
; FloatMode: 240
; IeeeMode: 1
; LDSByteSize: 8192 bytes/workgroup (compile time only)
; SGPRBlocks: 4
; VGPRBlocks: 14
; NumSGPRsForWavesPerEU: 34
; NumVGPRsForWavesPerEU: 118
; Occupancy: 12
; WaveLimiterHint : 1
; COMPUTE_PGM_RSRC2:SCRATCH_EN: 0
; COMPUTE_PGM_RSRC2:USER_SGPR: 13
; COMPUTE_PGM_RSRC2:TRAP_HANDLER: 0
; COMPUTE_PGM_RSRC2:TGID_X_EN: 1
; COMPUTE_PGM_RSRC2:TGID_Y_EN: 1
; COMPUTE_PGM_RSRC2:TGID_Z_EN: 1
; COMPUTE_PGM_RSRC2:TIDIG_COMP_CNT: 1
	.section	.text._ZL37rocblas_syrkx_herkx_restricted_kernelIl19rocblas_complex_numIdELi16ELi32ELi8ELb1ELb1ELc78ELc85EKS1_S1_EviT_T0_PT8_S3_lS6_S3_lS4_PT9_S3_li,"axG",@progbits,_ZL37rocblas_syrkx_herkx_restricted_kernelIl19rocblas_complex_numIdELi16ELi32ELi8ELb1ELb1ELc78ELc85EKS1_S1_EviT_T0_PT8_S3_lS6_S3_lS4_PT9_S3_li,comdat
	.globl	_ZL37rocblas_syrkx_herkx_restricted_kernelIl19rocblas_complex_numIdELi16ELi32ELi8ELb1ELb1ELc78ELc85EKS1_S1_EviT_T0_PT8_S3_lS6_S3_lS4_PT9_S3_li ; -- Begin function _ZL37rocblas_syrkx_herkx_restricted_kernelIl19rocblas_complex_numIdELi16ELi32ELi8ELb1ELb1ELc78ELc85EKS1_S1_EviT_T0_PT8_S3_lS6_S3_lS4_PT9_S3_li
	.p2align	8
	.type	_ZL37rocblas_syrkx_herkx_restricted_kernelIl19rocblas_complex_numIdELi16ELi32ELi8ELb1ELb1ELc78ELc85EKS1_S1_EviT_T0_PT8_S3_lS6_S3_lS4_PT9_S3_li,@function
_ZL37rocblas_syrkx_herkx_restricted_kernelIl19rocblas_complex_numIdELi16ELi32ELi8ELb1ELb1ELc78ELc85EKS1_S1_EviT_T0_PT8_S3_lS6_S3_lS4_PT9_S3_li: ; @_ZL37rocblas_syrkx_herkx_restricted_kernelIl19rocblas_complex_numIdELi16ELi32ELi8ELb1ELb1ELc78ELc85EKS1_S1_EviT_T0_PT8_S3_lS6_S3_lS4_PT9_S3_li
; %bb.0:
	s_load_b512 s[16:31], s[0:1], 0x8
	v_mov_b32_e32 v16, 0
	v_dual_mov_b32 v17, 0 :: v_dual_and_b32 v20, 0x3ff, v0
	v_bfe_u32 v21, v0, 10, 10
	s_delay_alu instid0(VALU_DEP_3) | instskip(NEXT) | instid1(VALU_DEP_3)
	v_mov_b32_e32 v12, v16
	v_dual_mov_b32 v14, v16 :: v_dual_mov_b32 v15, v17
	v_dual_mov_b32 v19, v17 :: v_dual_mov_b32 v18, v16
	;; [unrolled: 1-line block ×6, first 2 shown]
	v_mov_b32_e32 v5, v17
	s_lshl_b32 s8, s13, 5
	s_waitcnt lgkmcnt(0)
	v_cmp_lt_i64_e64 s2, s[16:17], 1
	s_lshl_b32 s9, s14, 5
	s_delay_alu instid0(VALU_DEP_1)
	s_and_b32 vcc_lo, exec_lo, s2
	s_cbranch_vccnz .LBB1340_3
; %bb.1:
	v_lshl_add_u32 v1, v21, 4, v20
	v_and_b32_e32 v10, 7, v20
	s_load_b64 s[4:5], s[0:1], 0x48
	s_mul_i32 s3, s27, s15
	s_mul_hi_u32 s6, s26, s15
	v_dual_mov_b32 v4, 0 :: v_dual_and_b32 v9, 31, v1
	v_mov_b32_e32 v5, 0
	v_lshrrev_b32_e32 v11, 3, v1
	v_lshrrev_b32_e32 v12, 5, v1
	s_delay_alu instid0(VALU_DEP_4)
	v_add_nc_u32_e32 v0, s8, v9
	s_mul_i32 s2, s26, s15
	s_add_i32 s3, s6, s3
	v_add_nc_u32_e32 v2, s9, v11
	s_lshl_b64 s[2:3], s[2:3], 4
	v_ashrrev_i32_e32 v1, 31, v0
	s_add_u32 s6, s22, s2
	s_addc_u32 s7, s23, s3
	v_ashrrev_i32_e32 v3, 31, v2
	s_lshl_b64 s[2:3], s[24:25], 7
	v_mad_u64_u32 v[6:7], null, v12, s24, v[0:1]
	s_waitcnt lgkmcnt(0)
	s_mul_i32 s5, s5, s15
	v_mad_u64_u32 v[0:1], null, v10, s30, v[2:3]
	v_lshlrev_b32_e32 v3, 4, v10
	s_mul_hi_u32 s10, s4, s15
	s_mul_i32 s4, s4, s15
	s_delay_alu instid0(VALU_DEP_3)
	v_mov_b32_e32 v2, v7
	s_add_i32 s5, s10, s5
	v_lshl_add_u32 v23, v21, 7, 0x1000
	s_lshl_b64 s[4:5], s[4:5], 4
	v_mov_b32_e32 v15, v5
	v_mad_u64_u32 v[7:8], null, v12, s25, v[2:3]
	v_lshlrev_b32_e32 v8, 4, v9
	v_lshl_or_b32 v9, v11, 7, v3
	v_mad_u64_u32 v[2:3], null, v10, s31, v[1:2]
	v_lshlrev_b32_e32 v22, 4, v20
	s_add_u32 s4, s28, s4
	s_addc_u32 s5, s29, s5
	v_mov_b32_e32 v11, v5
	v_lshl_or_b32 v24, v12, 9, v8
	v_add_nc_u32_e32 v25, 0x1000, v9
	v_mov_b32_e32 v1, v2
	v_lshlrev_b64 v[2:3], 4, v[6:7]
	v_dual_mov_b32 v10, v4 :: v_dual_mov_b32 v9, v5
	v_dual_mov_b32 v8, v4 :: v_dual_mov_b32 v13, v5
	s_delay_alu instid0(VALU_DEP_4) | instskip(NEXT) | instid1(VALU_DEP_4)
	v_lshlrev_b64 v[0:1], 4, v[0:1]
	v_add_co_u32 v2, vcc_lo, s6, v2
	v_add_co_ci_u32_e32 v3, vcc_lo, s7, v3, vcc_lo
	v_dual_mov_b32 v14, v4 :: v_dual_mov_b32 v19, v5
	s_delay_alu instid0(VALU_DEP_4) | instskip(SKIP_3) | instid1(VALU_DEP_4)
	v_add_co_u32 v6, vcc_lo, s4, v0
	v_add_co_ci_u32_e32 v7, vcc_lo, s5, v1, vcc_lo
	v_add_co_u32 v0, vcc_lo, v2, 8
	v_add_co_ci_u32_e32 v1, vcc_lo, 0, v3, vcc_lo
	v_add_co_u32 v2, vcc_lo, v6, 8
	s_delay_alu instid0(VALU_DEP_4)
	v_add_co_ci_u32_e32 v3, vcc_lo, 0, v7, vcc_lo
	v_dual_mov_b32 v7, v5 :: v_dual_mov_b32 v12, v4
	v_dual_mov_b32 v17, v5 :: v_dual_mov_b32 v6, v4
	v_mov_b32_e32 v18, v4
	v_mov_b32_e32 v16, v4
	s_lshl_b64 s[4:5], s[30:31], 7
	s_mov_b64 s[6:7], 0
.LBB1340_2:                             ; =>This Inner Loop Header: Depth=1
	global_load_b128 v[26:29], v[2:3], off offset:-8
	global_load_b128 v[30:33], v[0:1], off offset:-8
	s_add_u32 s6, s6, 8
	v_add_co_u32 v0, vcc_lo, v0, s2
	s_addc_u32 s7, s7, 0
	v_add_co_ci_u32_e32 v1, vcc_lo, s3, v1, vcc_lo
	v_cmp_ge_u64_e64 s10, s[6:7], s[16:17]
	v_add_co_u32 v2, vcc_lo, v2, s4
	v_add_co_ci_u32_e32 v3, vcc_lo, s5, v3, vcc_lo
	s_delay_alu instid0(VALU_DEP_3)
	s_and_b32 vcc_lo, exec_lo, s10
	s_waitcnt vmcnt(1)
	v_xor_b32_e32 v29, 0x80000000, v29
	s_waitcnt vmcnt(0)
	ds_store_b128 v24, v[30:33]
	ds_store_b128 v25, v[26:29]
	s_waitcnt lgkmcnt(0)
	s_barrier
	buffer_gl0_inv
	ds_load_b128 v[26:29], v23
	ds_load_b128 v[30:33], v22
	ds_load_b128 v[34:37], v22 offset:256
	ds_load_b128 v[38:41], v23 offset:2048
	;; [unrolled: 1-line block ×13, first 2 shown]
	s_waitcnt lgkmcnt(13)
	v_mul_f64 v[86:87], v[28:29], v[32:33]
	v_mul_f64 v[88:89], v[26:27], v[32:33]
	s_waitcnt lgkmcnt(12)
	v_mul_f64 v[90:91], v[28:29], v[36:37]
	v_mul_f64 v[92:93], v[26:27], v[36:37]
	;; [unrolled: 3-line block ×3, first 2 shown]
	v_mul_f64 v[96:97], v[40:41], v[36:37]
	v_mul_f64 v[36:37], v[38:39], v[36:37]
	s_waitcnt lgkmcnt(8)
	v_mul_f64 v[98:99], v[44:45], v[52:53]
	v_mul_f64 v[100:101], v[42:43], v[52:53]
	s_waitcnt lgkmcnt(7)
	v_mul_f64 v[102:103], v[44:45], v[56:57]
	v_mul_f64 v[104:105], v[42:43], v[56:57]
	;; [unrolled: 1-line block ×6, first 2 shown]
	s_waitcnt lgkmcnt(3)
	v_mul_f64 v[112:113], v[58:59], v[72:73]
	s_waitcnt lgkmcnt(2)
	v_mul_f64 v[114:115], v[76:77], v[68:69]
	v_mul_f64 v[116:117], v[76:77], v[72:73]
	v_fma_f64 v[86:87], v[26:27], v[30:31], -v[86:87]
	v_fma_f64 v[88:89], v[28:29], v[30:31], v[88:89]
	v_fma_f64 v[90:91], v[26:27], v[34:35], -v[90:91]
	v_fma_f64 v[92:93], v[28:29], v[34:35], v[92:93]
	;; [unrolled: 2-line block ×4, first 2 shown]
	v_mul_f64 v[36:37], v[60:61], v[68:69]
	v_mul_f64 v[40:41], v[58:59], v[68:69]
	;; [unrolled: 1-line block ×5, first 2 shown]
	v_fma_f64 v[98:99], v[42:43], v[50:51], -v[98:99]
	v_fma_f64 v[100:101], v[44:45], v[50:51], v[100:101]
	v_fma_f64 v[42:43], v[42:43], v[54:55], -v[102:103]
	v_fma_f64 v[44:45], v[44:45], v[54:55], v[104:105]
	;; [unrolled: 2-line block ×4, first 2 shown]
	ds_load_b128 v[26:29], v22 offset:1792
	ds_load_b128 v[30:33], v22 offset:2048
	s_waitcnt lgkmcnt(2)
	v_mul_f64 v[56:57], v[64:65], v[84:85]
	v_add_f64 v[16:17], v[16:17], v[86:87]
	v_add_f64 v[18:19], v[18:19], v[88:89]
	;; [unrolled: 1-line block ×8, first 2 shown]
	v_mul_f64 v[86:87], v[62:63], v[84:85]
	s_waitcnt lgkmcnt(1)
	v_mul_f64 v[88:89], v[64:65], v[28:29]
	v_mul_f64 v[90:91], v[62:63], v[28:29]
	;; [unrolled: 1-line block ×6, first 2 shown]
	v_fma_f64 v[104:105], v[58:59], v[66:67], -v[36:37]
	v_fma_f64 v[106:107], v[60:61], v[66:67], v[40:41]
	v_fma_f64 v[58:59], v[58:59], v[70:71], -v[96:97]
	v_fma_f64 v[60:61], v[60:61], v[70:71], v[112:113]
	;; [unrolled: 2-line block ×4, first 2 shown]
	ds_load_b128 v[4:7], v22 offset:2304
	ds_load_b128 v[8:11], v23 offset:64
	v_fma_f64 v[56:57], v[62:63], v[82:83], -v[56:57]
	v_add_f64 v[72:73], v[16:17], v[98:99]
	v_add_f64 v[74:75], v[18:19], v[100:101]
	;; [unrolled: 1-line block ×8, first 2 shown]
	ds_load_b128 v[12:15], v23 offset:2112
	ds_load_b128 v[16:19], v23 offset:80
	;; [unrolled: 1-line block ×4, first 2 shown]
	s_waitcnt lgkmcnt(4)
	v_mul_f64 v[54:55], v[10:11], v[32:33]
	v_mul_f64 v[76:77], v[8:9], v[32:33]
	;; [unrolled: 1-line block ×4, first 2 shown]
	v_fma_f64 v[86:87], v[64:65], v[82:83], v[86:87]
	v_fma_f64 v[62:63], v[62:63], v[26:27], -v[88:89]
	v_fma_f64 v[64:65], v[64:65], v[26:27], v[90:91]
	v_fma_f64 v[88:89], v[78:79], v[82:83], -v[92:93]
	v_fma_f64 v[82:83], v[80:81], v[82:83], v[84:85]
	v_fma_f64 v[78:79], v[78:79], v[26:27], -v[94:95]
	v_fma_f64 v[80:81], v[80:81], v[26:27], v[28:29]
	s_waitcnt lgkmcnt(3)
	v_mul_f64 v[102:103], v[14:15], v[32:33]
	v_mul_f64 v[32:33], v[12:13], v[32:33]
	;; [unrolled: 1-line block ×4, first 2 shown]
	s_waitcnt lgkmcnt(0)
	v_mul_f64 v[90:91], v[18:19], v[40:41]
	v_mul_f64 v[92:93], v[16:17], v[40:41]
	v_add_f64 v[72:73], v[72:73], v[104:105]
	v_add_f64 v[74:75], v[74:75], v[106:107]
	;; [unrolled: 1-line block ×8, first 2 shown]
	ds_load_b128 v[26:29], v22 offset:2816
	ds_load_b128 v[42:45], v22 offset:3072
	;; [unrolled: 1-line block ×4, first 2 shown]
	v_mul_f64 v[104:105], v[36:37], v[40:41]
	v_mul_f64 v[40:41], v[34:35], v[40:41]
	v_fma_f64 v[54:55], v[8:9], v[30:31], -v[54:55]
	v_fma_f64 v[76:77], v[10:11], v[30:31], v[76:77]
	v_fma_f64 v[98:99], v[8:9], v[4:5], -v[98:99]
	v_fma_f64 v[100:101], v[10:11], v[4:5], v[100:101]
	s_waitcnt lgkmcnt(3)
	v_mul_f64 v[94:95], v[18:19], v[28:29]
	v_mul_f64 v[96:97], v[16:17], v[28:29]
	v_mul_f64 v[106:107], v[36:37], v[28:29]
	v_mul_f64 v[110:111], v[34:35], v[28:29]
	v_fma_f64 v[102:103], v[12:13], v[30:31], -v[102:103]
	v_fma_f64 v[32:33], v[14:15], v[30:31], v[32:33]
	v_fma_f64 v[108:109], v[12:13], v[4:5], -v[108:109]
	v_fma_f64 v[112:113], v[14:15], v[4:5], v[6:7]
	ds_load_b128 v[4:7], v23 offset:2144
	ds_load_b128 v[8:11], v23 offset:112
	;; [unrolled: 1-line block ×4, first 2 shown]
	v_add_f64 v[56:57], v[72:73], v[56:57]
	v_add_f64 v[72:73], v[74:75], v[86:87]
	;; [unrolled: 1-line block ×8, first 2 shown]
	s_waitcnt lgkmcnt(4)
	v_mul_f64 v[70:71], v[52:53], v[44:45]
	v_mul_f64 v[74:75], v[50:51], v[44:45]
	;; [unrolled: 1-line block ×4, first 2 shown]
	s_waitcnt lgkmcnt(3)
	v_mul_f64 v[82:83], v[6:7], v[44:45]
	v_mul_f64 v[44:45], v[4:5], v[44:45]
	;; [unrolled: 1-line block ×4, first 2 shown]
	v_fma_f64 v[86:87], v[16:17], v[38:39], -v[90:91]
	v_fma_f64 v[88:89], v[18:19], v[38:39], v[92:93]
	v_fma_f64 v[90:91], v[16:17], v[26:27], -v[94:95]
	v_fma_f64 v[92:93], v[18:19], v[26:27], v[96:97]
	;; [unrolled: 2-line block ×4, first 2 shown]
	ds_load_b128 v[16:19], v22 offset:3840
	s_waitcnt lgkmcnt(0)
	s_barrier
	buffer_gl0_inv
	v_add_f64 v[36:37], v[56:57], v[54:55]
	v_add_f64 v[40:41], v[72:73], v[76:77]
	;; [unrolled: 1-line block ×8, first 2 shown]
	v_mul_f64 v[64:65], v[10:11], v[30:31]
	v_mul_f64 v[66:67], v[8:9], v[30:31]
	;; [unrolled: 1-line block ×4, first 2 shown]
	v_fma_f64 v[70:71], v[50:51], v[42:43], -v[70:71]
	v_mul_f64 v[68:69], v[10:11], v[18:19]
	v_mul_f64 v[72:73], v[8:9], v[18:19]
	;; [unrolled: 1-line block ×4, first 2 shown]
	v_fma_f64 v[74:75], v[52:53], v[42:43], v[74:75]
	v_fma_f64 v[50:51], v[50:51], v[46:47], -v[78:79]
	v_fma_f64 v[52:53], v[52:53], v[46:47], v[80:81]
	v_fma_f64 v[78:79], v[4:5], v[42:43], -v[82:83]
	;; [unrolled: 2-line block ×3, first 2 shown]
	v_fma_f64 v[6:7], v[6:7], v[46:47], v[48:49]
	v_add_f64 v[36:37], v[36:37], v[86:87]
	v_add_f64 v[40:41], v[40:41], v[88:89]
	;; [unrolled: 1-line block ×8, first 2 shown]
	v_fma_f64 v[38:39], v[8:9], v[28:29], -v[64:65]
	v_fma_f64 v[54:55], v[10:11], v[28:29], v[66:67]
	v_fma_f64 v[56:57], v[12:13], v[28:29], -v[76:77]
	v_fma_f64 v[28:29], v[14:15], v[28:29], v[30:31]
	;; [unrolled: 2-line block ×4, first 2 shown]
	v_add_f64 v[12:13], v[36:37], v[70:71]
	v_add_f64 v[14:15], v[40:41], v[74:75]
	;; [unrolled: 1-line block ×16, first 2 shown]
	s_cbranch_vccz .LBB1340_2
.LBB1340_3:
	s_clause 0x1
	s_load_b128 s[4:7], s[0:1], 0x60
	s_load_b32 s2, s[0:1], 0x0
	v_add_nc_u32_e32 v21, s9, v21
	s_load_b64 s[10:11], s[0:1], 0x70
	s_delay_alu instid0(VALU_DEP_1) | instskip(SKIP_1) | instid1(VALU_DEP_1)
	v_ashrrev_i32_e32 v0, 31, v21
	s_waitcnt lgkmcnt(0)
	v_mul_lo_u32 v3, v0, s6
	v_mul_lo_u32 v22, v21, s7
	v_mad_u64_u32 v[1:2], null, v21, s6, 0
	s_mul_i32 s1, s15, s11
	s_mul_hi_u32 s3, s15, s10
	v_add_nc_u32_e32 v0, s8, v20
	s_mul_i32 s8, s15, s10
	s_add_i32 s9, s3, s1
	v_cmp_gt_i32_e32 vcc_lo, s2, v21
	s_delay_alu instid0(VALU_DEP_3)
	v_add3_u32 v2, v2, v22, v3
	s_lshl_b64 s[8:9], s[8:9], 4
	v_cmp_le_i32_e64 s0, v0, v21
	s_add_u32 s3, s4, s8
	s_addc_u32 s4, s5, s9
	v_lshlrev_b64 v[1:2], 4, v[1:2]
	s_delay_alu instid0(VALU_DEP_2) | instskip(NEXT) | instid1(VALU_DEP_1)
	s_and_b32 s0, vcc_lo, s0
	v_add_co_u32 v20, s1, s3, v1
	s_delay_alu instid0(VALU_DEP_1)
	v_add_co_ci_u32_e64 v22, s1, s4, v2, s1
	s_and_saveexec_b32 s5, s0
	s_cbranch_execz .LBB1340_5
; %bb.4:
	v_mul_f64 v[1:2], s[18:19], v[18:19]
	v_mul_f64 v[18:19], s[20:21], v[18:19]
	v_cmp_ne_u32_e64 s0, v21, v0
	s_delay_alu instid0(VALU_DEP_3) | instskip(NEXT) | instid1(VALU_DEP_3)
	v_fma_f64 v[2:3], s[20:21], v[16:17], v[1:2]
	v_fma_f64 v[16:17], s[18:19], v[16:17], -v[18:19]
	v_ashrrev_i32_e32 v1, 31, v0
	s_delay_alu instid0(VALU_DEP_1) | instskip(NEXT) | instid1(VALU_DEP_1)
	v_lshlrev_b64 v[18:19], 4, v[0:1]
	v_add_co_u32 v23, s1, v20, v18
	s_delay_alu instid0(VALU_DEP_1)
	v_add_co_ci_u32_e64 v24, s1, v22, v19, s1
	v_cndmask_b32_e64 v19, 0, v3, s0
	v_cndmask_b32_e64 v18, 0, v2, s0
	global_store_b128 v[23:24], v[16:19], off
.LBB1340_5:
	s_or_b32 exec_lo, exec_lo, s5
	v_add_nc_u32_e32 v2, 16, v0
	s_delay_alu instid0(VALU_DEP_1) | instskip(NEXT) | instid1(VALU_DEP_1)
	v_cmp_le_i32_e64 s0, v2, v21
	s_and_b32 s0, vcc_lo, s0
	s_delay_alu instid0(SALU_CYCLE_1)
	s_and_saveexec_b32 s1, s0
	s_cbranch_execz .LBB1340_7
; %bb.6:
	v_mul_f64 v[16:17], s[18:19], v[14:15]
	v_mul_f64 v[14:15], s[20:21], v[14:15]
	v_ashrrev_i32_e32 v3, 31, v2
	v_cmp_ne_u32_e32 vcc_lo, v21, v2
	s_delay_alu instid0(VALU_DEP_4) | instskip(NEXT) | instid1(VALU_DEP_4)
	v_fma_f64 v[16:17], s[20:21], v[12:13], v[16:17]
	v_fma_f64 v[12:13], s[18:19], v[12:13], -v[14:15]
	s_delay_alu instid0(VALU_DEP_4) | instskip(NEXT) | instid1(VALU_DEP_1)
	v_lshlrev_b64 v[14:15], 4, v[2:3]
	v_add_co_u32 v18, s0, v20, v14
	s_delay_alu instid0(VALU_DEP_1)
	v_add_co_ci_u32_e64 v19, s0, v22, v15, s0
	v_dual_cndmask_b32 v15, 0, v17 :: v_dual_cndmask_b32 v14, 0, v16
	global_store_b128 v[18:19], v[12:15], off
.LBB1340_7:
	s_or_b32 exec_lo, exec_lo, s1
	v_add_nc_u32_e32 v3, 16, v21
	s_delay_alu instid0(VALU_DEP_1) | instskip(SKIP_3) | instid1(VALU_DEP_4)
	v_ashrrev_i32_e32 v1, 31, v3
	v_mul_lo_u32 v14, v3, s7
	v_mad_u64_u32 v[12:13], null, v3, s6, 0
	v_cmp_gt_i32_e32 vcc_lo, s2, v3
	v_mul_lo_u32 v1, v1, s6
	v_cmp_le_i32_e64 s0, v0, v3
	s_delay_alu instid0(VALU_DEP_1) | instskip(NEXT) | instid1(VALU_DEP_2)
	s_and_b32 s0, vcc_lo, s0
	v_add3_u32 v13, v13, v14, v1
	s_delay_alu instid0(VALU_DEP_1) | instskip(NEXT) | instid1(VALU_DEP_1)
	v_lshlrev_b64 v[12:13], 4, v[12:13]
	v_add_co_u32 v12, s1, s3, v12
	s_delay_alu instid0(VALU_DEP_1)
	v_add_co_ci_u32_e64 v13, s1, s4, v13, s1
	s_and_saveexec_b32 s2, s0
	s_cbranch_execz .LBB1340_9
; %bb.8:
	v_mul_f64 v[14:15], s[18:19], v[10:11]
	v_mul_f64 v[10:11], s[20:21], v[10:11]
	v_ashrrev_i32_e32 v1, 31, v0
	v_cmp_ne_u32_e64 s0, v3, v0
	s_delay_alu instid0(VALU_DEP_4) | instskip(NEXT) | instid1(VALU_DEP_4)
	v_fma_f64 v[14:15], s[20:21], v[8:9], v[14:15]
	v_fma_f64 v[8:9], s[18:19], v[8:9], -v[10:11]
	s_delay_alu instid0(VALU_DEP_4) | instskip(NEXT) | instid1(VALU_DEP_1)
	v_lshlrev_b64 v[10:11], 4, v[0:1]
	v_add_co_u32 v16, s1, v12, v10
	s_delay_alu instid0(VALU_DEP_1)
	v_add_co_ci_u32_e64 v17, s1, v13, v11, s1
	v_cndmask_b32_e64 v11, 0, v15, s0
	v_cndmask_b32_e64 v10, 0, v14, s0
	global_store_b128 v[16:17], v[8:11], off
.LBB1340_9:
	s_or_b32 exec_lo, exec_lo, s2
	v_cmp_le_i32_e64 s0, v2, v3
	s_delay_alu instid0(VALU_DEP_1) | instskip(NEXT) | instid1(SALU_CYCLE_1)
	s_and_b32 s0, vcc_lo, s0
	s_and_saveexec_b32 s1, s0
	s_cbranch_execz .LBB1340_11
; %bb.10:
	v_mul_f64 v[8:9], s[18:19], v[4:5]
	v_mul_f64 v[3:4], s[20:21], v[4:5]
	v_cmp_ne_u32_e32 vcc_lo, v21, v0
	s_delay_alu instid0(VALU_DEP_3) | instskip(NEXT) | instid1(VALU_DEP_3)
	v_fma_f64 v[8:9], s[20:21], v[6:7], v[8:9]
	v_fma_f64 v[4:5], s[18:19], v[6:7], -v[3:4]
	v_ashrrev_i32_e32 v3, 31, v2
	s_delay_alu instid0(VALU_DEP_1) | instskip(NEXT) | instid1(VALU_DEP_1)
	v_lshlrev_b64 v[1:2], 4, v[2:3]
	v_add_co_u32 v0, s0, v12, v1
	s_delay_alu instid0(VALU_DEP_1)
	v_add_co_ci_u32_e64 v1, s0, v13, v2, s0
	v_dual_cndmask_b32 v7, 0, v9 :: v_dual_cndmask_b32 v6, 0, v8
	global_store_b128 v[0:1], v[4:7], off
.LBB1340_11:
	s_nop 0
	s_sendmsg sendmsg(MSG_DEALLOC_VGPRS)
	s_endpgm
	.section	.rodata,"a",@progbits
	.p2align	6, 0x0
	.amdhsa_kernel _ZL37rocblas_syrkx_herkx_restricted_kernelIl19rocblas_complex_numIdELi16ELi32ELi8ELb1ELb1ELc78ELc85EKS1_S1_EviT_T0_PT8_S3_lS6_S3_lS4_PT9_S3_li
		.amdhsa_group_segment_fixed_size 8192
		.amdhsa_private_segment_fixed_size 0
		.amdhsa_kernarg_size 124
		.amdhsa_user_sgpr_count 13
		.amdhsa_user_sgpr_dispatch_ptr 0
		.amdhsa_user_sgpr_queue_ptr 0
		.amdhsa_user_sgpr_kernarg_segment_ptr 1
		.amdhsa_user_sgpr_dispatch_id 0
		.amdhsa_user_sgpr_private_segment_size 0
		.amdhsa_wavefront_size32 1
		.amdhsa_uses_dynamic_stack 0
		.amdhsa_enable_private_segment 0
		.amdhsa_system_sgpr_workgroup_id_x 1
		.amdhsa_system_sgpr_workgroup_id_y 1
		.amdhsa_system_sgpr_workgroup_id_z 1
		.amdhsa_system_sgpr_workgroup_info 0
		.amdhsa_system_vgpr_workitem_id 1
		.amdhsa_next_free_vgpr 118
		.amdhsa_next_free_sgpr 32
		.amdhsa_reserve_vcc 1
		.amdhsa_float_round_mode_32 0
		.amdhsa_float_round_mode_16_64 0
		.amdhsa_float_denorm_mode_32 3
		.amdhsa_float_denorm_mode_16_64 3
		.amdhsa_dx10_clamp 1
		.amdhsa_ieee_mode 1
		.amdhsa_fp16_overflow 0
		.amdhsa_workgroup_processor_mode 1
		.amdhsa_memory_ordered 1
		.amdhsa_forward_progress 0
		.amdhsa_shared_vgpr_count 0
		.amdhsa_exception_fp_ieee_invalid_op 0
		.amdhsa_exception_fp_denorm_src 0
		.amdhsa_exception_fp_ieee_div_zero 0
		.amdhsa_exception_fp_ieee_overflow 0
		.amdhsa_exception_fp_ieee_underflow 0
		.amdhsa_exception_fp_ieee_inexact 0
		.amdhsa_exception_int_div_zero 0
	.end_amdhsa_kernel
	.section	.text._ZL37rocblas_syrkx_herkx_restricted_kernelIl19rocblas_complex_numIdELi16ELi32ELi8ELb1ELb1ELc78ELc85EKS1_S1_EviT_T0_PT8_S3_lS6_S3_lS4_PT9_S3_li,"axG",@progbits,_ZL37rocblas_syrkx_herkx_restricted_kernelIl19rocblas_complex_numIdELi16ELi32ELi8ELb1ELb1ELc78ELc85EKS1_S1_EviT_T0_PT8_S3_lS6_S3_lS4_PT9_S3_li,comdat
.Lfunc_end1340:
	.size	_ZL37rocblas_syrkx_herkx_restricted_kernelIl19rocblas_complex_numIdELi16ELi32ELi8ELb1ELb1ELc78ELc85EKS1_S1_EviT_T0_PT8_S3_lS6_S3_lS4_PT9_S3_li, .Lfunc_end1340-_ZL37rocblas_syrkx_herkx_restricted_kernelIl19rocblas_complex_numIdELi16ELi32ELi8ELb1ELb1ELc78ELc85EKS1_S1_EviT_T0_PT8_S3_lS6_S3_lS4_PT9_S3_li
                                        ; -- End function
	.section	.AMDGPU.csdata,"",@progbits
; Kernel info:
; codeLenInByte = 3208
; NumSgprs: 34
; NumVgprs: 118
; ScratchSize: 0
; MemoryBound: 0
; FloatMode: 240
; IeeeMode: 1
; LDSByteSize: 8192 bytes/workgroup (compile time only)
; SGPRBlocks: 4
; VGPRBlocks: 14
; NumSGPRsForWavesPerEU: 34
; NumVGPRsForWavesPerEU: 118
; Occupancy: 12
; WaveLimiterHint : 1
; COMPUTE_PGM_RSRC2:SCRATCH_EN: 0
; COMPUTE_PGM_RSRC2:USER_SGPR: 13
; COMPUTE_PGM_RSRC2:TRAP_HANDLER: 0
; COMPUTE_PGM_RSRC2:TGID_X_EN: 1
; COMPUTE_PGM_RSRC2:TGID_Y_EN: 1
; COMPUTE_PGM_RSRC2:TGID_Z_EN: 1
; COMPUTE_PGM_RSRC2:TIDIG_COMP_CNT: 1
	.section	.text._ZL37rocblas_syrkx_herkx_restricted_kernelIl19rocblas_complex_numIdELi16ELi32ELi8ELb0ELb1ELc84ELc76EKS1_S1_EviT_T0_PT8_S3_lS6_S3_lS4_PT9_S3_li,"axG",@progbits,_ZL37rocblas_syrkx_herkx_restricted_kernelIl19rocblas_complex_numIdELi16ELi32ELi8ELb0ELb1ELc84ELc76EKS1_S1_EviT_T0_PT8_S3_lS6_S3_lS4_PT9_S3_li,comdat
	.globl	_ZL37rocblas_syrkx_herkx_restricted_kernelIl19rocblas_complex_numIdELi16ELi32ELi8ELb0ELb1ELc84ELc76EKS1_S1_EviT_T0_PT8_S3_lS6_S3_lS4_PT9_S3_li ; -- Begin function _ZL37rocblas_syrkx_herkx_restricted_kernelIl19rocblas_complex_numIdELi16ELi32ELi8ELb0ELb1ELc84ELc76EKS1_S1_EviT_T0_PT8_S3_lS6_S3_lS4_PT9_S3_li
	.p2align	8
	.type	_ZL37rocblas_syrkx_herkx_restricted_kernelIl19rocblas_complex_numIdELi16ELi32ELi8ELb0ELb1ELc84ELc76EKS1_S1_EviT_T0_PT8_S3_lS6_S3_lS4_PT9_S3_li,@function
_ZL37rocblas_syrkx_herkx_restricted_kernelIl19rocblas_complex_numIdELi16ELi32ELi8ELb0ELb1ELc84ELc76EKS1_S1_EviT_T0_PT8_S3_lS6_S3_lS4_PT9_S3_li: ; @_ZL37rocblas_syrkx_herkx_restricted_kernelIl19rocblas_complex_numIdELi16ELi32ELi8ELb0ELb1ELc84ELc76EKS1_S1_EviT_T0_PT8_S3_lS6_S3_lS4_PT9_S3_li
; %bb.0:
	s_clause 0x2
	s_load_b512 s[16:31], s[0:1], 0x8
	s_load_b128 s[36:39], s[0:1], 0x68
	s_load_b256 s[4:11], s[0:1], 0x48
	v_mov_b32_e32 v16, 0
	v_dual_mov_b32 v17, 0 :: v_dual_and_b32 v20, 0x3ff, v0
	v_bfe_u32 v21, v0, 10, 10
	s_delay_alu instid0(VALU_DEP_3) | instskip(NEXT) | instid1(VALU_DEP_3)
	v_mov_b32_e32 v8, v16
	v_dual_mov_b32 v10, v16 :: v_dual_mov_b32 v11, v17
	v_dual_mov_b32 v19, v17 :: v_dual_mov_b32 v18, v16
	;; [unrolled: 1-line block ×6, first 2 shown]
	v_mov_b32_e32 v5, v17
	s_waitcnt lgkmcnt(0)
	v_cmp_lt_i64_e64 s2, s[16:17], 1
	s_lshl_b32 s12, s13, 5
	s_lshl_b32 s13, s14, 5
	s_delay_alu instid0(VALU_DEP_1)
	s_and_b32 vcc_lo, exec_lo, s2
	s_cbranch_vccnz .LBB1341_3
; %bb.1:
	v_lshl_add_u32 v2, v21, 4, v20
	v_dual_mov_b32 v1, 0 :: v_dual_and_b32 v0, 7, v20
	v_lshlrev_b32_e32 v22, 4, v20
	s_mul_i32 s3, s27, s15
	s_delay_alu instid0(VALU_DEP_3)
	v_and_b32_e32 v8, 31, v2
	v_lshrrev_b32_e32 v9, 3, v2
	v_lshrrev_b32_e32 v2, 5, v2
	v_mov_b32_e32 v3, v1
	v_lshlrev_b32_e32 v11, 4, v0
	v_add_nc_u32_e32 v6, s12, v8
	v_add_nc_u32_e32 v10, s13, v9
	s_mul_hi_u32 s14, s26, s15
	s_mul_i32 s2, s26, s15
	s_add_i32 s3, s14, s3
	v_ashrrev_i32_e32 v7, 31, v6
	v_ashrrev_i32_e32 v12, 31, v10
	v_mad_u64_u32 v[4:5], null, s24, v6, v[2:3]
	v_mul_lo_u32 v3, s25, v6
	s_delay_alu instid0(VALU_DEP_4)
	v_mul_lo_u32 v13, s24, v7
	v_mul_lo_u32 v14, v10, s31
	v_mad_u64_u32 v[6:7], null, v10, s30, v[0:1]
	v_mul_lo_u32 v0, v12, s30
	v_lshlrev_b32_e32 v1, 4, v8
	s_lshl_b64 s[2:3], s[2:3], 4
	v_lshl_add_u32 v25, v21, 7, 0x1000
	v_add3_u32 v5, v3, v5, v13
	s_add_u32 s14, s22, s2
	v_lshl_or_b32 v23, v2, 9, v1
	s_mul_i32 s2, s5, s15
	v_add3_u32 v7, v0, v7, v14
	v_lshlrev_b64 v[0:1], 4, v[4:5]
	s_mul_hi_u32 s5, s4, s15
	s_addc_u32 s22, s23, s3
	s_add_i32 s3, s5, s2
	s_mul_i32 s2, s4, s15
	v_lshlrev_b64 v[2:3], 4, v[6:7]
	s_lshl_b64 s[2:3], s[2:3], 4
	v_add_co_u32 v0, vcc_lo, s14, v0
	s_add_u32 s2, s28, s2
	v_add_co_ci_u32_e32 v1, vcc_lo, s22, v1, vcc_lo
	v_mov_b32_e32 v4, 0
	v_lshl_or_b32 v8, v9, 7, v11
	s_addc_u32 s3, s29, s3
	v_add_co_u32 v2, vcc_lo, s2, v2
	v_mov_b32_e32 v5, 0
	v_add_co_ci_u32_e32 v3, vcc_lo, s3, v3, vcc_lo
	v_add_co_u32 v0, vcc_lo, v0, 8
	s_delay_alu instid0(VALU_DEP_3)
	v_dual_mov_b32 v13, v5 :: v_dual_add_nc_u32 v24, 0x1000, v8
	v_add_co_ci_u32_e32 v1, vcc_lo, 0, v1, vcc_lo
	v_mov_b32_e32 v15, v5
	v_add_co_u32 v2, vcc_lo, v2, 8
	v_dual_mov_b32 v14, v4 :: v_dual_mov_b32 v11, v5
	v_dual_mov_b32 v12, v4 :: v_dual_mov_b32 v9, v5
	;; [unrolled: 1-line block ×4, first 2 shown]
	v_mov_b32_e32 v17, v5
	v_add_co_ci_u32_e32 v3, vcc_lo, 0, v3, vcc_lo
	v_mov_b32_e32 v6, v4
	v_mov_b32_e32 v18, v4
	;; [unrolled: 1-line block ×3, first 2 shown]
	s_mov_b64 s[2:3], 0
.LBB1341_2:                             ; =>This Inner Loop Header: Depth=1
	global_load_b128 v[26:29], v[0:1], off offset:-8
	s_add_u32 s2, s2, 8
	s_addc_u32 s3, s3, 0
	v_add_co_u32 v0, vcc_lo, 0x80, v0
	v_add_co_ci_u32_e32 v1, vcc_lo, 0, v1, vcc_lo
	v_cmp_ge_u64_e64 s4, s[2:3], s[16:17]
	s_waitcnt vmcnt(0)
	ds_store_b128 v23, v[26:29]
	global_load_b128 v[26:29], v[2:3], off offset:-8
	v_add_co_u32 v2, vcc_lo, 0x80, v2
	v_add_co_ci_u32_e32 v3, vcc_lo, 0, v3, vcc_lo
	s_and_b32 vcc_lo, exec_lo, s4
	s_waitcnt vmcnt(0)
	ds_store_b128 v24, v[26:29]
	s_waitcnt lgkmcnt(0)
	s_barrier
	buffer_gl0_inv
	ds_load_b128 v[26:29], v25
	ds_load_b128 v[30:33], v25 offset:16
	ds_load_b128 v[34:37], v25 offset:32
	;; [unrolled: 1-line block ×3, first 2 shown]
	ds_load_b128 v[42:45], v22
	s_waitcnt lgkmcnt(0)
	v_mul_f64 v[46:47], v[28:29], v[44:45]
	v_mul_f64 v[48:49], v[26:27], v[44:45]
	s_delay_alu instid0(VALU_DEP_2) | instskip(NEXT) | instid1(VALU_DEP_2)
	v_fma_f64 v[46:47], v[26:27], v[42:43], -v[46:47]
	v_fma_f64 v[48:49], v[28:29], v[42:43], v[48:49]
	s_delay_alu instid0(VALU_DEP_2) | instskip(NEXT) | instid1(VALU_DEP_2)
	v_add_f64 v[46:47], v[16:17], v[46:47]
	v_add_f64 v[48:49], v[18:19], v[48:49]
	ds_load_b128 v[16:19], v22 offset:256
	s_waitcnt lgkmcnt(0)
	v_mul_f64 v[50:51], v[28:29], v[18:19]
	s_delay_alu instid0(VALU_DEP_1) | instskip(SKIP_1) | instid1(VALU_DEP_1)
	v_fma_f64 v[50:51], v[26:27], v[16:17], -v[50:51]
	v_mul_f64 v[26:27], v[26:27], v[18:19]
	v_fma_f64 v[26:27], v[28:29], v[16:17], v[26:27]
	s_delay_alu instid0(VALU_DEP_3) | instskip(NEXT) | instid1(VALU_DEP_2)
	v_add_f64 v[28:29], v[8:9], v[50:51]
	v_add_f64 v[26:27], v[10:11], v[26:27]
	ds_load_b128 v[8:11], v25 offset:2048
	s_waitcnt lgkmcnt(0)
	v_mul_f64 v[50:51], v[10:11], v[44:45]
	v_mul_f64 v[44:45], v[8:9], v[44:45]
	s_delay_alu instid0(VALU_DEP_2) | instskip(NEXT) | instid1(VALU_DEP_2)
	v_fma_f64 v[50:51], v[8:9], v[42:43], -v[50:51]
	v_fma_f64 v[42:43], v[10:11], v[42:43], v[44:45]
	s_delay_alu instid0(VALU_DEP_2) | instskip(SKIP_1) | instid1(VALU_DEP_3)
	v_add_f64 v[44:45], v[12:13], v[50:51]
	v_mul_f64 v[12:13], v[10:11], v[18:19]
	v_add_f64 v[42:43], v[14:15], v[42:43]
	s_delay_alu instid0(VALU_DEP_2) | instskip(SKIP_1) | instid1(VALU_DEP_1)
	v_fma_f64 v[12:13], v[8:9], v[16:17], -v[12:13]
	v_mul_f64 v[8:9], v[8:9], v[18:19]
	v_fma_f64 v[8:9], v[10:11], v[16:17], v[8:9]
	s_delay_alu instid0(VALU_DEP_3) | instskip(NEXT) | instid1(VALU_DEP_2)
	v_add_f64 v[16:17], v[6:7], v[12:13]
	v_add_f64 v[18:19], v[4:5], v[8:9]
	ds_load_b128 v[4:7], v22 offset:512
	s_waitcnt lgkmcnt(0)
	v_mul_f64 v[8:9], v[32:33], v[6:7]
	v_mul_f64 v[10:11], v[30:31], v[6:7]
	s_delay_alu instid0(VALU_DEP_2) | instskip(NEXT) | instid1(VALU_DEP_2)
	v_fma_f64 v[8:9], v[30:31], v[4:5], -v[8:9]
	v_fma_f64 v[10:11], v[32:33], v[4:5], v[10:11]
	s_delay_alu instid0(VALU_DEP_2) | instskip(NEXT) | instid1(VALU_DEP_2)
	v_add_f64 v[46:47], v[46:47], v[8:9]
	v_add_f64 v[48:49], v[48:49], v[10:11]
	ds_load_b128 v[8:11], v22 offset:768
	s_waitcnt lgkmcnt(0)
	v_mul_f64 v[12:13], v[32:33], v[10:11]
	v_mul_f64 v[14:15], v[30:31], v[10:11]
	s_delay_alu instid0(VALU_DEP_2) | instskip(NEXT) | instid1(VALU_DEP_2)
	v_fma_f64 v[12:13], v[30:31], v[8:9], -v[12:13]
	v_fma_f64 v[14:15], v[32:33], v[8:9], v[14:15]
	s_delay_alu instid0(VALU_DEP_2) | instskip(NEXT) | instid1(VALU_DEP_2)
	v_add_f64 v[28:29], v[28:29], v[12:13]
	v_add_f64 v[26:27], v[26:27], v[14:15]
	ds_load_b128 v[12:15], v25 offset:2064
	s_waitcnt lgkmcnt(0)
	v_mul_f64 v[30:31], v[14:15], v[6:7]
	v_mul_f64 v[6:7], v[12:13], v[6:7]
	s_delay_alu instid0(VALU_DEP_2) | instskip(NEXT) | instid1(VALU_DEP_2)
	v_fma_f64 v[30:31], v[12:13], v[4:5], -v[30:31]
	v_fma_f64 v[4:5], v[14:15], v[4:5], v[6:7]
	v_mul_f64 v[6:7], v[12:13], v[10:11]
	s_delay_alu instid0(VALU_DEP_3) | instskip(NEXT) | instid1(VALU_DEP_3)
	v_add_f64 v[30:31], v[44:45], v[30:31]
	v_add_f64 v[32:33], v[42:43], v[4:5]
	v_mul_f64 v[4:5], v[14:15], v[10:11]
	s_delay_alu instid0(VALU_DEP_4) | instskip(NEXT) | instid1(VALU_DEP_2)
	v_fma_f64 v[6:7], v[14:15], v[8:9], v[6:7]
	v_fma_f64 v[4:5], v[12:13], v[8:9], -v[4:5]
	s_delay_alu instid0(VALU_DEP_2) | instskip(NEXT) | instid1(VALU_DEP_2)
	v_add_f64 v[18:19], v[18:19], v[6:7]
	v_add_f64 v[16:17], v[16:17], v[4:5]
	ds_load_b128 v[4:7], v22 offset:1024
	s_waitcnt lgkmcnt(0)
	v_mul_f64 v[8:9], v[36:37], v[6:7]
	v_mul_f64 v[10:11], v[34:35], v[6:7]
	s_delay_alu instid0(VALU_DEP_2) | instskip(NEXT) | instid1(VALU_DEP_2)
	v_fma_f64 v[8:9], v[34:35], v[4:5], -v[8:9]
	v_fma_f64 v[10:11], v[36:37], v[4:5], v[10:11]
	s_delay_alu instid0(VALU_DEP_2) | instskip(NEXT) | instid1(VALU_DEP_2)
	v_add_f64 v[42:43], v[46:47], v[8:9]
	v_add_f64 v[44:45], v[48:49], v[10:11]
	ds_load_b128 v[8:11], v22 offset:1280
	s_waitcnt lgkmcnt(0)
	v_mul_f64 v[12:13], v[36:37], v[10:11]
	v_mul_f64 v[14:15], v[34:35], v[10:11]
	s_delay_alu instid0(VALU_DEP_2) | instskip(NEXT) | instid1(VALU_DEP_2)
	v_fma_f64 v[12:13], v[34:35], v[8:9], -v[12:13]
	v_fma_f64 v[14:15], v[36:37], v[8:9], v[14:15]
	s_delay_alu instid0(VALU_DEP_2) | instskip(NEXT) | instid1(VALU_DEP_2)
	v_add_f64 v[28:29], v[28:29], v[12:13]
	v_add_f64 v[26:27], v[26:27], v[14:15]
	ds_load_b128 v[12:15], v25 offset:2080
	s_waitcnt lgkmcnt(0)
	v_mul_f64 v[34:35], v[14:15], v[6:7]
	v_mul_f64 v[6:7], v[12:13], v[6:7]
	s_delay_alu instid0(VALU_DEP_2) | instskip(NEXT) | instid1(VALU_DEP_2)
	v_fma_f64 v[34:35], v[12:13], v[4:5], -v[34:35]
	v_fma_f64 v[4:5], v[14:15], v[4:5], v[6:7]
	v_mul_f64 v[6:7], v[12:13], v[10:11]
	s_delay_alu instid0(VALU_DEP_3) | instskip(NEXT) | instid1(VALU_DEP_3)
	v_add_f64 v[30:31], v[30:31], v[34:35]
	v_add_f64 v[32:33], v[32:33], v[4:5]
	v_mul_f64 v[4:5], v[14:15], v[10:11]
	s_delay_alu instid0(VALU_DEP_4) | instskip(NEXT) | instid1(VALU_DEP_2)
	v_fma_f64 v[6:7], v[14:15], v[8:9], v[6:7]
	v_fma_f64 v[4:5], v[12:13], v[8:9], -v[4:5]
	s_delay_alu instid0(VALU_DEP_2) | instskip(NEXT) | instid1(VALU_DEP_2)
	;; [unrolled: 38-line block ×3, first 2 shown]
	v_add_f64 v[18:19], v[18:19], v[6:7]
	v_add_f64 v[16:17], v[16:17], v[4:5]
	ds_load_b128 v[4:7], v25 offset:64
	ds_load_b128 v[8:11], v22 offset:2048
	s_waitcnt lgkmcnt(0)
	v_mul_f64 v[12:13], v[6:7], v[10:11]
	v_mul_f64 v[14:15], v[4:5], v[10:11]
	s_delay_alu instid0(VALU_DEP_2) | instskip(NEXT) | instid1(VALU_DEP_2)
	v_fma_f64 v[12:13], v[4:5], v[8:9], -v[12:13]
	v_fma_f64 v[14:15], v[6:7], v[8:9], v[14:15]
	s_delay_alu instid0(VALU_DEP_2) | instskip(NEXT) | instid1(VALU_DEP_2)
	v_add_f64 v[34:35], v[34:35], v[12:13]
	v_add_f64 v[36:37], v[36:37], v[14:15]
	ds_load_b128 v[12:15], v22 offset:2304
	s_waitcnt lgkmcnt(0)
	v_mul_f64 v[38:39], v[6:7], v[14:15]
	s_delay_alu instid0(VALU_DEP_1) | instskip(SKIP_1) | instid1(VALU_DEP_2)
	v_fma_f64 v[38:39], v[4:5], v[12:13], -v[38:39]
	v_mul_f64 v[4:5], v[4:5], v[14:15]
	v_add_f64 v[28:29], v[28:29], v[38:39]
	s_delay_alu instid0(VALU_DEP_2) | instskip(NEXT) | instid1(VALU_DEP_1)
	v_fma_f64 v[4:5], v[6:7], v[12:13], v[4:5]
	v_add_f64 v[26:27], v[26:27], v[4:5]
	ds_load_b128 v[4:7], v25 offset:2112
	s_waitcnt lgkmcnt(0)
	v_mul_f64 v[38:39], v[6:7], v[10:11]
	v_mul_f64 v[10:11], v[4:5], v[10:11]
	s_delay_alu instid0(VALU_DEP_2) | instskip(NEXT) | instid1(VALU_DEP_2)
	v_fma_f64 v[38:39], v[4:5], v[8:9], -v[38:39]
	v_fma_f64 v[8:9], v[6:7], v[8:9], v[10:11]
	s_delay_alu instid0(VALU_DEP_2) | instskip(NEXT) | instid1(VALU_DEP_2)
	v_add_f64 v[30:31], v[30:31], v[38:39]
	v_add_f64 v[32:33], v[32:33], v[8:9]
	v_mul_f64 v[8:9], v[6:7], v[14:15]
	s_delay_alu instid0(VALU_DEP_1) | instskip(SKIP_1) | instid1(VALU_DEP_2)
	v_fma_f64 v[8:9], v[4:5], v[12:13], -v[8:9]
	v_mul_f64 v[4:5], v[4:5], v[14:15]
	v_add_f64 v[16:17], v[16:17], v[8:9]
	s_delay_alu instid0(VALU_DEP_2) | instskip(NEXT) | instid1(VALU_DEP_1)
	v_fma_f64 v[4:5], v[6:7], v[12:13], v[4:5]
	v_add_f64 v[18:19], v[18:19], v[4:5]
	ds_load_b128 v[4:7], v25 offset:80
	ds_load_b128 v[8:11], v22 offset:2560
	s_waitcnt lgkmcnt(0)
	v_mul_f64 v[12:13], v[6:7], v[10:11]
	v_mul_f64 v[14:15], v[4:5], v[10:11]
	s_delay_alu instid0(VALU_DEP_2) | instskip(NEXT) | instid1(VALU_DEP_2)
	v_fma_f64 v[12:13], v[4:5], v[8:9], -v[12:13]
	v_fma_f64 v[14:15], v[6:7], v[8:9], v[14:15]
	s_delay_alu instid0(VALU_DEP_2) | instskip(NEXT) | instid1(VALU_DEP_2)
	v_add_f64 v[34:35], v[34:35], v[12:13]
	v_add_f64 v[36:37], v[36:37], v[14:15]
	ds_load_b128 v[12:15], v22 offset:2816
	s_waitcnt lgkmcnt(0)
	v_mul_f64 v[38:39], v[6:7], v[14:15]
	s_delay_alu instid0(VALU_DEP_1) | instskip(SKIP_1) | instid1(VALU_DEP_2)
	v_fma_f64 v[38:39], v[4:5], v[12:13], -v[38:39]
	v_mul_f64 v[4:5], v[4:5], v[14:15]
	v_add_f64 v[28:29], v[28:29], v[38:39]
	s_delay_alu instid0(VALU_DEP_2) | instskip(NEXT) | instid1(VALU_DEP_1)
	v_fma_f64 v[4:5], v[6:7], v[12:13], v[4:5]
	v_add_f64 v[26:27], v[26:27], v[4:5]
	ds_load_b128 v[4:7], v25 offset:2128
	s_waitcnt lgkmcnt(0)
	v_mul_f64 v[38:39], v[6:7], v[10:11]
	v_mul_f64 v[10:11], v[4:5], v[10:11]
	s_delay_alu instid0(VALU_DEP_2) | instskip(NEXT) | instid1(VALU_DEP_2)
	v_fma_f64 v[38:39], v[4:5], v[8:9], -v[38:39]
	v_fma_f64 v[8:9], v[6:7], v[8:9], v[10:11]
	s_delay_alu instid0(VALU_DEP_2) | instskip(NEXT) | instid1(VALU_DEP_2)
	v_add_f64 v[30:31], v[30:31], v[38:39]
	v_add_f64 v[32:33], v[32:33], v[8:9]
	v_mul_f64 v[8:9], v[6:7], v[14:15]
	s_delay_alu instid0(VALU_DEP_1) | instskip(SKIP_1) | instid1(VALU_DEP_2)
	v_fma_f64 v[8:9], v[4:5], v[12:13], -v[8:9]
	v_mul_f64 v[4:5], v[4:5], v[14:15]
	v_add_f64 v[16:17], v[16:17], v[8:9]
	s_delay_alu instid0(VALU_DEP_2) | instskip(NEXT) | instid1(VALU_DEP_1)
	v_fma_f64 v[4:5], v[6:7], v[12:13], v[4:5]
	;; [unrolled: 39-line block ×3, first 2 shown]
	v_add_f64 v[44:45], v[18:19], v[4:5]
	ds_load_b128 v[4:7], v25 offset:112
	ds_load_b128 v[12:15], v22 offset:3584
	ds_load_b128 v[26:29], v22 offset:3840
	s_waitcnt lgkmcnt(1)
	v_mul_f64 v[8:9], v[6:7], v[14:15]
	v_mul_f64 v[10:11], v[4:5], v[14:15]
	s_delay_alu instid0(VALU_DEP_2) | instskip(NEXT) | instid1(VALU_DEP_2)
	v_fma_f64 v[8:9], v[4:5], v[12:13], -v[8:9]
	v_fma_f64 v[10:11], v[6:7], v[12:13], v[10:11]
	s_delay_alu instid0(VALU_DEP_2) | instskip(SKIP_2) | instid1(VALU_DEP_3)
	v_add_f64 v[16:17], v[34:35], v[8:9]
	s_waitcnt lgkmcnt(0)
	v_mul_f64 v[8:9], v[6:7], v[28:29]
	v_add_f64 v[18:19], v[36:37], v[10:11]
	s_delay_alu instid0(VALU_DEP_2) | instskip(SKIP_1) | instid1(VALU_DEP_2)
	v_fma_f64 v[8:9], v[4:5], v[26:27], -v[8:9]
	v_mul_f64 v[4:5], v[4:5], v[28:29]
	v_add_f64 v[8:9], v[38:39], v[8:9]
	s_delay_alu instid0(VALU_DEP_2) | instskip(NEXT) | instid1(VALU_DEP_1)
	v_fma_f64 v[4:5], v[6:7], v[26:27], v[4:5]
	v_add_f64 v[10:11], v[40:41], v[4:5]
	ds_load_b128 v[4:7], v25 offset:2160
	s_waitcnt lgkmcnt(0)
	s_barrier
	buffer_gl0_inv
	v_mul_f64 v[34:35], v[6:7], v[14:15]
	v_mul_f64 v[14:15], v[4:5], v[14:15]
	s_delay_alu instid0(VALU_DEP_2) | instskip(NEXT) | instid1(VALU_DEP_2)
	v_fma_f64 v[34:35], v[4:5], v[12:13], -v[34:35]
	v_fma_f64 v[14:15], v[6:7], v[12:13], v[14:15]
	s_delay_alu instid0(VALU_DEP_2) | instskip(SKIP_1) | instid1(VALU_DEP_3)
	v_add_f64 v[12:13], v[30:31], v[34:35]
	v_mul_f64 v[30:31], v[6:7], v[28:29]
	v_add_f64 v[14:15], v[32:33], v[14:15]
	s_delay_alu instid0(VALU_DEP_2) | instskip(SKIP_1) | instid1(VALU_DEP_1)
	v_fma_f64 v[30:31], v[4:5], v[26:27], -v[30:31]
	v_mul_f64 v[4:5], v[4:5], v[28:29]
	v_fma_f64 v[4:5], v[6:7], v[26:27], v[4:5]
	s_delay_alu instid0(VALU_DEP_3) | instskip(NEXT) | instid1(VALU_DEP_2)
	v_add_f64 v[6:7], v[42:43], v[30:31]
	v_add_f64 v[4:5], v[44:45], v[4:5]
	s_cbranch_vccz .LBB1341_2
.LBB1341_3:
	v_add_nc_u32_e32 v21, s13, v21
	s_load_b32 s4, s[0:1], 0x0
	s_mul_i32 s1, s15, s39
	s_mul_hi_u32 s2, s15, s38
	s_mul_i32 s0, s15, s38
	v_ashrrev_i32_e32 v0, 31, v21
	v_mul_lo_u32 v3, v21, s37
	v_mad_u64_u32 v[1:2], null, v21, s36, 0
	s_add_i32 s1, s2, s1
	s_delay_alu instid0(VALU_DEP_3) | instskip(SKIP_1) | instid1(SALU_CYCLE_1)
	v_mul_lo_u32 v0, v0, s36
	s_lshl_b64 s[2:3], s[0:1], 4
	s_add_u32 s2, s10, s2
	s_addc_u32 s3, s11, s3
	s_delay_alu instid0(VALU_DEP_1) | instskip(SKIP_1) | instid1(VALU_DEP_2)
	v_add3_u32 v2, v2, v3, v0
	v_add_nc_u32_e32 v0, s12, v20
	v_lshlrev_b64 v[1:2], 4, v[1:2]
	s_delay_alu instid0(VALU_DEP_2) | instskip(SKIP_2) | instid1(VALU_DEP_3)
	v_cmp_le_i32_e64 s0, v21, v0
	s_waitcnt lgkmcnt(0)
	v_cmp_gt_i32_e32 vcc_lo, s4, v0
	v_add_co_u32 v20, s1, s2, v1
	s_delay_alu instid0(VALU_DEP_1) | instskip(SKIP_1) | instid1(SALU_CYCLE_1)
	v_add_co_ci_u32_e64 v22, s1, s3, v2, s1
	s_and_b32 s0, s0, vcc_lo
	s_and_saveexec_b32 s1, s0
	s_cbranch_execz .LBB1341_5
; %bb.4:
	v_ashrrev_i32_e32 v1, 31, v0
	v_mul_f64 v[27:28], s[18:19], v[18:19]
	v_mul_f64 v[18:19], s[20:21], v[18:19]
	s_delay_alu instid0(VALU_DEP_3) | instskip(NEXT) | instid1(VALU_DEP_1)
	v_lshlrev_b64 v[1:2], 4, v[0:1]
	v_add_co_u32 v1, s0, v20, v1
	s_delay_alu instid0(VALU_DEP_1)
	v_add_co_ci_u32_e64 v2, s0, v22, v2, s0
	v_cmp_ne_u32_e64 s0, v21, v0
	global_load_b128 v[23:26], v[1:2], off
	v_fma_f64 v[27:28], s[20:21], v[16:17], v[27:28]
	v_fma_f64 v[16:17], s[18:19], v[16:17], -v[18:19]
	s_waitcnt vmcnt(0)
	v_mul_f64 v[29:30], s[6:7], v[25:26]
	v_mul_f64 v[25:26], s[8:9], v[25:26]
	s_delay_alu instid0(VALU_DEP_2) | instskip(NEXT) | instid1(VALU_DEP_2)
	v_fma_f64 v[29:30], s[8:9], v[23:24], v[29:30]
	v_fma_f64 v[18:19], s[6:7], v[23:24], -v[25:26]
	s_delay_alu instid0(VALU_DEP_2) | instskip(NEXT) | instid1(VALU_DEP_2)
	v_add_f64 v[23:24], v[27:28], v[29:30]
	v_add_f64 v[16:17], v[16:17], v[18:19]
	s_delay_alu instid0(VALU_DEP_2) | instskip(NEXT) | instid1(VALU_DEP_3)
	v_cndmask_b32_e64 v19, 0, v24, s0
	v_cndmask_b32_e64 v18, 0, v23, s0
	global_store_b128 v[1:2], v[16:19], off
.LBB1341_5:
	s_or_b32 exec_lo, exec_lo, s1
	v_add_nc_u32_e32 v2, 16, v0
	s_delay_alu instid0(VALU_DEP_1) | instskip(SKIP_1) | instid1(VALU_DEP_1)
	v_cmp_le_i32_e64 s1, v21, v2
	v_cmp_gt_i32_e64 s0, s4, v2
	s_and_b32 s1, s1, s0
	s_delay_alu instid0(SALU_CYCLE_1)
	s_and_saveexec_b32 s4, s1
	s_cbranch_execz .LBB1341_7
; %bb.6:
	v_ashrrev_i32_e32 v3, 31, v2
	v_mul_f64 v[25:26], s[18:19], v[10:11]
	v_mul_f64 v[10:11], s[20:21], v[10:11]
	s_delay_alu instid0(VALU_DEP_3) | instskip(NEXT) | instid1(VALU_DEP_1)
	v_lshlrev_b64 v[16:17], 4, v[2:3]
	v_add_co_u32 v23, s1, v20, v16
	s_delay_alu instid0(VALU_DEP_1)
	v_add_co_ci_u32_e64 v24, s1, v22, v17, s1
	v_cmp_ne_u32_e64 s1, v21, v2
	global_load_b128 v[16:19], v[23:24], off
	v_fma_f64 v[25:26], s[20:21], v[8:9], v[25:26]
	v_fma_f64 v[8:9], s[18:19], v[8:9], -v[10:11]
	s_waitcnt vmcnt(0)
	v_mul_f64 v[27:28], s[6:7], v[18:19]
	v_mul_f64 v[18:19], s[8:9], v[18:19]
	s_delay_alu instid0(VALU_DEP_2) | instskip(NEXT) | instid1(VALU_DEP_2)
	v_fma_f64 v[27:28], s[8:9], v[16:17], v[27:28]
	v_fma_f64 v[10:11], s[6:7], v[16:17], -v[18:19]
	s_delay_alu instid0(VALU_DEP_2) | instskip(NEXT) | instid1(VALU_DEP_2)
	v_add_f64 v[16:17], v[25:26], v[27:28]
	v_add_f64 v[8:9], v[8:9], v[10:11]
	s_delay_alu instid0(VALU_DEP_2) | instskip(NEXT) | instid1(VALU_DEP_3)
	v_cndmask_b32_e64 v11, 0, v17, s1
	v_cndmask_b32_e64 v10, 0, v16, s1
	global_store_b128 v[23:24], v[8:11], off
.LBB1341_7:
	s_or_b32 exec_lo, exec_lo, s4
	v_add_nc_u32_e32 v3, 16, v21
	s_delay_alu instid0(VALU_DEP_1) | instskip(SKIP_3) | instid1(VALU_DEP_4)
	v_ashrrev_i32_e32 v1, 31, v3
	v_mul_lo_u32 v10, v3, s37
	v_mad_u64_u32 v[8:9], null, v3, s36, 0
	v_cmp_le_i32_e64 s1, v3, v0
	v_mul_lo_u32 v1, v1, s36
	s_delay_alu instid0(VALU_DEP_1) | instskip(NEXT) | instid1(VALU_DEP_1)
	v_add3_u32 v9, v9, v10, v1
	v_lshlrev_b64 v[8:9], 4, v[8:9]
	s_delay_alu instid0(VALU_DEP_1) | instskip(NEXT) | instid1(VALU_DEP_1)
	v_add_co_u32 v8, s2, s2, v8
	v_add_co_ci_u32_e64 v9, s2, s3, v9, s2
	s_and_b32 s2, s1, vcc_lo
	s_delay_alu instid0(SALU_CYCLE_1)
	s_and_saveexec_b32 s1, s2
	s_cbranch_execz .LBB1341_9
; %bb.8:
	v_ashrrev_i32_e32 v1, 31, v0
	s_delay_alu instid0(VALU_DEP_1) | instskip(NEXT) | instid1(VALU_DEP_1)
	v_lshlrev_b64 v[10:11], 4, v[0:1]
	v_add_co_u32 v22, vcc_lo, v8, v10
	s_delay_alu instid0(VALU_DEP_2)
	v_add_co_ci_u32_e32 v23, vcc_lo, v9, v11, vcc_lo
	v_mul_f64 v[10:11], s[18:19], v[14:15]
	v_mul_f64 v[14:15], s[20:21], v[14:15]
	v_cmp_ne_u32_e32 vcc_lo, v3, v0
	global_load_b128 v[16:19], v[22:23], off
	v_fma_f64 v[10:11], s[20:21], v[12:13], v[10:11]
	v_fma_f64 v[12:13], s[18:19], v[12:13], -v[14:15]
	s_waitcnt vmcnt(0)
	v_mul_f64 v[24:25], s[6:7], v[18:19]
	v_mul_f64 v[18:19], s[8:9], v[18:19]
	s_delay_alu instid0(VALU_DEP_2) | instskip(NEXT) | instid1(VALU_DEP_2)
	v_fma_f64 v[24:25], s[8:9], v[16:17], v[24:25]
	v_fma_f64 v[14:15], s[6:7], v[16:17], -v[18:19]
	s_delay_alu instid0(VALU_DEP_2) | instskip(NEXT) | instid1(VALU_DEP_2)
	v_add_f64 v[16:17], v[10:11], v[24:25]
	v_add_f64 v[10:11], v[12:13], v[14:15]
	s_delay_alu instid0(VALU_DEP_2)
	v_dual_cndmask_b32 v13, 0, v17 :: v_dual_cndmask_b32 v12, 0, v16
	global_store_b128 v[22:23], v[10:13], off
.LBB1341_9:
	s_or_b32 exec_lo, exec_lo, s1
	v_cmp_le_i32_e32 vcc_lo, v3, v2
	s_and_b32 s0, vcc_lo, s0
	s_delay_alu instid0(SALU_CYCLE_1)
	s_and_saveexec_b32 s1, s0
	s_cbranch_execz .LBB1341_11
; %bb.10:
	v_ashrrev_i32_e32 v3, 31, v2
	s_delay_alu instid0(VALU_DEP_1) | instskip(NEXT) | instid1(VALU_DEP_1)
	v_lshlrev_b64 v[1:2], 4, v[2:3]
	v_add_co_u32 v12, vcc_lo, v8, v1
	s_delay_alu instid0(VALU_DEP_2)
	v_add_co_ci_u32_e32 v13, vcc_lo, v9, v2, vcc_lo
	v_mul_f64 v[1:2], s[18:19], v[4:5]
	v_mul_f64 v[3:4], s[20:21], v[4:5]
	v_cmp_ne_u32_e32 vcc_lo, v21, v0
	global_load_b128 v[8:11], v[12:13], off
	v_fma_f64 v[1:2], s[20:21], v[6:7], v[1:2]
	v_fma_f64 v[3:4], s[18:19], v[6:7], -v[3:4]
	s_waitcnt vmcnt(0)
	v_mul_f64 v[14:15], s[6:7], v[10:11]
	v_mul_f64 v[10:11], s[8:9], v[10:11]
	s_delay_alu instid0(VALU_DEP_2) | instskip(NEXT) | instid1(VALU_DEP_2)
	v_fma_f64 v[14:15], s[8:9], v[8:9], v[14:15]
	v_fma_f64 v[5:6], s[6:7], v[8:9], -v[10:11]
	s_delay_alu instid0(VALU_DEP_2) | instskip(NEXT) | instid1(VALU_DEP_2)
	v_add_f64 v[7:8], v[1:2], v[14:15]
	v_add_f64 v[1:2], v[3:4], v[5:6]
	s_delay_alu instid0(VALU_DEP_2)
	v_dual_cndmask_b32 v4, 0, v8 :: v_dual_cndmask_b32 v3, 0, v7
	global_store_b128 v[12:13], v[1:4], off
.LBB1341_11:
	s_nop 0
	s_sendmsg sendmsg(MSG_DEALLOC_VGPRS)
	s_endpgm
	.section	.rodata,"a",@progbits
	.p2align	6, 0x0
	.amdhsa_kernel _ZL37rocblas_syrkx_herkx_restricted_kernelIl19rocblas_complex_numIdELi16ELi32ELi8ELb0ELb1ELc84ELc76EKS1_S1_EviT_T0_PT8_S3_lS6_S3_lS4_PT9_S3_li
		.amdhsa_group_segment_fixed_size 8192
		.amdhsa_private_segment_fixed_size 0
		.amdhsa_kernarg_size 124
		.amdhsa_user_sgpr_count 13
		.amdhsa_user_sgpr_dispatch_ptr 0
		.amdhsa_user_sgpr_queue_ptr 0
		.amdhsa_user_sgpr_kernarg_segment_ptr 1
		.amdhsa_user_sgpr_dispatch_id 0
		.amdhsa_user_sgpr_private_segment_size 0
		.amdhsa_wavefront_size32 1
		.amdhsa_uses_dynamic_stack 0
		.amdhsa_enable_private_segment 0
		.amdhsa_system_sgpr_workgroup_id_x 1
		.amdhsa_system_sgpr_workgroup_id_y 1
		.amdhsa_system_sgpr_workgroup_id_z 1
		.amdhsa_system_sgpr_workgroup_info 0
		.amdhsa_system_vgpr_workitem_id 1
		.amdhsa_next_free_vgpr 52
		.amdhsa_next_free_sgpr 40
		.amdhsa_reserve_vcc 1
		.amdhsa_float_round_mode_32 0
		.amdhsa_float_round_mode_16_64 0
		.amdhsa_float_denorm_mode_32 3
		.amdhsa_float_denorm_mode_16_64 3
		.amdhsa_dx10_clamp 1
		.amdhsa_ieee_mode 1
		.amdhsa_fp16_overflow 0
		.amdhsa_workgroup_processor_mode 1
		.amdhsa_memory_ordered 1
		.amdhsa_forward_progress 0
		.amdhsa_shared_vgpr_count 0
		.amdhsa_exception_fp_ieee_invalid_op 0
		.amdhsa_exception_fp_denorm_src 0
		.amdhsa_exception_fp_ieee_div_zero 0
		.amdhsa_exception_fp_ieee_overflow 0
		.amdhsa_exception_fp_ieee_underflow 0
		.amdhsa_exception_fp_ieee_inexact 0
		.amdhsa_exception_int_div_zero 0
	.end_amdhsa_kernel
	.section	.text._ZL37rocblas_syrkx_herkx_restricted_kernelIl19rocblas_complex_numIdELi16ELi32ELi8ELb0ELb1ELc84ELc76EKS1_S1_EviT_T0_PT8_S3_lS6_S3_lS4_PT9_S3_li,"axG",@progbits,_ZL37rocblas_syrkx_herkx_restricted_kernelIl19rocblas_complex_numIdELi16ELi32ELi8ELb0ELb1ELc84ELc76EKS1_S1_EviT_T0_PT8_S3_lS6_S3_lS4_PT9_S3_li,comdat
.Lfunc_end1341:
	.size	_ZL37rocblas_syrkx_herkx_restricted_kernelIl19rocblas_complex_numIdELi16ELi32ELi8ELb0ELb1ELc84ELc76EKS1_S1_EviT_T0_PT8_S3_lS6_S3_lS4_PT9_S3_li, .Lfunc_end1341-_ZL37rocblas_syrkx_herkx_restricted_kernelIl19rocblas_complex_numIdELi16ELi32ELi8ELb0ELb1ELc84ELc76EKS1_S1_EviT_T0_PT8_S3_lS6_S3_lS4_PT9_S3_li
                                        ; -- End function
	.section	.AMDGPU.csdata,"",@progbits
; Kernel info:
; codeLenInByte = 3760
; NumSgprs: 42
; NumVgprs: 52
; ScratchSize: 0
; MemoryBound: 0
; FloatMode: 240
; IeeeMode: 1
; LDSByteSize: 8192 bytes/workgroup (compile time only)
; SGPRBlocks: 5
; VGPRBlocks: 6
; NumSGPRsForWavesPerEU: 42
; NumVGPRsForWavesPerEU: 52
; Occupancy: 16
; WaveLimiterHint : 0
; COMPUTE_PGM_RSRC2:SCRATCH_EN: 0
; COMPUTE_PGM_RSRC2:USER_SGPR: 13
; COMPUTE_PGM_RSRC2:TRAP_HANDLER: 0
; COMPUTE_PGM_RSRC2:TGID_X_EN: 1
; COMPUTE_PGM_RSRC2:TGID_Y_EN: 1
; COMPUTE_PGM_RSRC2:TGID_Z_EN: 1
; COMPUTE_PGM_RSRC2:TIDIG_COMP_CNT: 1
	.section	.text._ZL37rocblas_syrkx_herkx_restricted_kernelIl19rocblas_complex_numIdELi16ELi32ELi8ELb0ELb1ELc67ELc76EKS1_S1_EviT_T0_PT8_S3_lS6_S3_lS4_PT9_S3_li,"axG",@progbits,_ZL37rocblas_syrkx_herkx_restricted_kernelIl19rocblas_complex_numIdELi16ELi32ELi8ELb0ELb1ELc67ELc76EKS1_S1_EviT_T0_PT8_S3_lS6_S3_lS4_PT9_S3_li,comdat
	.globl	_ZL37rocblas_syrkx_herkx_restricted_kernelIl19rocblas_complex_numIdELi16ELi32ELi8ELb0ELb1ELc67ELc76EKS1_S1_EviT_T0_PT8_S3_lS6_S3_lS4_PT9_S3_li ; -- Begin function _ZL37rocblas_syrkx_herkx_restricted_kernelIl19rocblas_complex_numIdELi16ELi32ELi8ELb0ELb1ELc67ELc76EKS1_S1_EviT_T0_PT8_S3_lS6_S3_lS4_PT9_S3_li
	.p2align	8
	.type	_ZL37rocblas_syrkx_herkx_restricted_kernelIl19rocblas_complex_numIdELi16ELi32ELi8ELb0ELb1ELc67ELc76EKS1_S1_EviT_T0_PT8_S3_lS6_S3_lS4_PT9_S3_li,@function
_ZL37rocblas_syrkx_herkx_restricted_kernelIl19rocblas_complex_numIdELi16ELi32ELi8ELb0ELb1ELc67ELc76EKS1_S1_EviT_T0_PT8_S3_lS6_S3_lS4_PT9_S3_li: ; @_ZL37rocblas_syrkx_herkx_restricted_kernelIl19rocblas_complex_numIdELi16ELi32ELi8ELb0ELb1ELc67ELc76EKS1_S1_EviT_T0_PT8_S3_lS6_S3_lS4_PT9_S3_li
; %bb.0:
	s_clause 0x2
	s_load_b512 s[16:31], s[0:1], 0x8
	s_load_b128 s[36:39], s[0:1], 0x68
	s_load_b256 s[4:11], s[0:1], 0x48
	v_mov_b32_e32 v16, 0
	v_dual_mov_b32 v17, 0 :: v_dual_and_b32 v20, 0x3ff, v0
	v_bfe_u32 v21, v0, 10, 10
	s_delay_alu instid0(VALU_DEP_3) | instskip(NEXT) | instid1(VALU_DEP_3)
	v_mov_b32_e32 v8, v16
	v_dual_mov_b32 v10, v16 :: v_dual_mov_b32 v11, v17
	v_dual_mov_b32 v19, v17 :: v_dual_mov_b32 v18, v16
	;; [unrolled: 1-line block ×6, first 2 shown]
	v_mov_b32_e32 v5, v17
	s_waitcnt lgkmcnt(0)
	v_cmp_lt_i64_e64 s2, s[16:17], 1
	s_lshl_b32 s12, s13, 5
	s_lshl_b32 s13, s14, 5
	s_delay_alu instid0(VALU_DEP_1)
	s_and_b32 vcc_lo, exec_lo, s2
	s_cbranch_vccnz .LBB1342_3
; %bb.1:
	v_lshl_add_u32 v2, v21, 4, v20
	v_dual_mov_b32 v1, 0 :: v_dual_and_b32 v0, 7, v20
	v_lshlrev_b32_e32 v22, 4, v20
	s_mul_i32 s3, s27, s15
	s_delay_alu instid0(VALU_DEP_3)
	v_and_b32_e32 v8, 31, v2
	v_lshrrev_b32_e32 v9, 3, v2
	v_lshrrev_b32_e32 v2, 5, v2
	v_mov_b32_e32 v3, v1
	v_lshlrev_b32_e32 v11, 4, v0
	v_add_nc_u32_e32 v6, s12, v8
	v_add_nc_u32_e32 v10, s13, v9
	s_mul_hi_u32 s14, s26, s15
	s_mul_i32 s2, s26, s15
	s_add_i32 s3, s14, s3
	v_ashrrev_i32_e32 v7, 31, v6
	v_ashrrev_i32_e32 v12, 31, v10
	v_mad_u64_u32 v[4:5], null, s24, v6, v[2:3]
	v_mul_lo_u32 v3, s25, v6
	s_delay_alu instid0(VALU_DEP_4)
	v_mul_lo_u32 v13, s24, v7
	v_mul_lo_u32 v14, v10, s31
	v_mad_u64_u32 v[6:7], null, v10, s30, v[0:1]
	v_mul_lo_u32 v0, v12, s30
	v_lshlrev_b32_e32 v1, 4, v8
	s_lshl_b64 s[2:3], s[2:3], 4
	v_lshl_add_u32 v25, v21, 7, 0x1000
	v_add3_u32 v5, v3, v5, v13
	s_add_u32 s14, s22, s2
	v_lshl_or_b32 v23, v2, 9, v1
	s_mul_i32 s2, s5, s15
	v_add3_u32 v7, v0, v7, v14
	v_lshlrev_b64 v[0:1], 4, v[4:5]
	s_mul_hi_u32 s5, s4, s15
	s_addc_u32 s22, s23, s3
	s_add_i32 s3, s5, s2
	s_mul_i32 s2, s4, s15
	v_lshlrev_b64 v[2:3], 4, v[6:7]
	s_lshl_b64 s[2:3], s[2:3], 4
	v_add_co_u32 v0, vcc_lo, s14, v0
	s_add_u32 s2, s28, s2
	v_add_co_ci_u32_e32 v1, vcc_lo, s22, v1, vcc_lo
	v_mov_b32_e32 v4, 0
	v_lshl_or_b32 v8, v9, 7, v11
	s_addc_u32 s3, s29, s3
	v_add_co_u32 v2, vcc_lo, s2, v2
	v_mov_b32_e32 v5, 0
	v_add_co_ci_u32_e32 v3, vcc_lo, s3, v3, vcc_lo
	v_add_co_u32 v0, vcc_lo, v0, 8
	s_delay_alu instid0(VALU_DEP_3)
	v_dual_mov_b32 v13, v5 :: v_dual_add_nc_u32 v24, 0x1000, v8
	v_add_co_ci_u32_e32 v1, vcc_lo, 0, v1, vcc_lo
	v_mov_b32_e32 v15, v5
	v_add_co_u32 v2, vcc_lo, v2, 8
	v_dual_mov_b32 v14, v4 :: v_dual_mov_b32 v11, v5
	v_dual_mov_b32 v12, v4 :: v_dual_mov_b32 v9, v5
	;; [unrolled: 1-line block ×4, first 2 shown]
	v_mov_b32_e32 v17, v5
	v_add_co_ci_u32_e32 v3, vcc_lo, 0, v3, vcc_lo
	v_mov_b32_e32 v6, v4
	v_mov_b32_e32 v18, v4
	;; [unrolled: 1-line block ×3, first 2 shown]
	s_mov_b64 s[2:3], 0
.LBB1342_2:                             ; =>This Inner Loop Header: Depth=1
	global_load_b128 v[26:29], v[0:1], off offset:-8
	s_add_u32 s2, s2, 8
	s_addc_u32 s3, s3, 0
	v_add_co_u32 v0, vcc_lo, 0x80, v0
	v_add_co_ci_u32_e32 v1, vcc_lo, 0, v1, vcc_lo
	v_cmp_ge_u64_e64 s4, s[2:3], s[16:17]
	s_waitcnt vmcnt(0)
	v_xor_b32_e32 v29, 0x80000000, v29
	ds_store_b128 v23, v[26:29]
	global_load_b128 v[26:29], v[2:3], off offset:-8
	v_add_co_u32 v2, vcc_lo, 0x80, v2
	v_add_co_ci_u32_e32 v3, vcc_lo, 0, v3, vcc_lo
	s_and_b32 vcc_lo, exec_lo, s4
	s_waitcnt vmcnt(0)
	ds_store_b128 v24, v[26:29]
	s_waitcnt lgkmcnt(0)
	s_barrier
	buffer_gl0_inv
	ds_load_b128 v[26:29], v25
	ds_load_b128 v[30:33], v25 offset:16
	ds_load_b128 v[34:37], v25 offset:32
	;; [unrolled: 1-line block ×3, first 2 shown]
	ds_load_b128 v[42:45], v22
	s_waitcnt lgkmcnt(0)
	v_mul_f64 v[46:47], v[28:29], v[44:45]
	v_mul_f64 v[48:49], v[26:27], v[44:45]
	s_delay_alu instid0(VALU_DEP_2) | instskip(NEXT) | instid1(VALU_DEP_2)
	v_fma_f64 v[46:47], v[26:27], v[42:43], -v[46:47]
	v_fma_f64 v[48:49], v[28:29], v[42:43], v[48:49]
	s_delay_alu instid0(VALU_DEP_2) | instskip(NEXT) | instid1(VALU_DEP_2)
	v_add_f64 v[46:47], v[16:17], v[46:47]
	v_add_f64 v[48:49], v[18:19], v[48:49]
	ds_load_b128 v[16:19], v22 offset:256
	s_waitcnt lgkmcnt(0)
	v_mul_f64 v[50:51], v[28:29], v[18:19]
	s_delay_alu instid0(VALU_DEP_1) | instskip(SKIP_1) | instid1(VALU_DEP_1)
	v_fma_f64 v[50:51], v[26:27], v[16:17], -v[50:51]
	v_mul_f64 v[26:27], v[26:27], v[18:19]
	v_fma_f64 v[26:27], v[28:29], v[16:17], v[26:27]
	s_delay_alu instid0(VALU_DEP_3) | instskip(NEXT) | instid1(VALU_DEP_2)
	v_add_f64 v[28:29], v[8:9], v[50:51]
	v_add_f64 v[26:27], v[10:11], v[26:27]
	ds_load_b128 v[8:11], v25 offset:2048
	s_waitcnt lgkmcnt(0)
	v_mul_f64 v[50:51], v[10:11], v[44:45]
	v_mul_f64 v[44:45], v[8:9], v[44:45]
	s_delay_alu instid0(VALU_DEP_2) | instskip(NEXT) | instid1(VALU_DEP_2)
	v_fma_f64 v[50:51], v[8:9], v[42:43], -v[50:51]
	v_fma_f64 v[42:43], v[10:11], v[42:43], v[44:45]
	s_delay_alu instid0(VALU_DEP_2) | instskip(SKIP_1) | instid1(VALU_DEP_3)
	v_add_f64 v[44:45], v[12:13], v[50:51]
	v_mul_f64 v[12:13], v[10:11], v[18:19]
	v_add_f64 v[42:43], v[14:15], v[42:43]
	s_delay_alu instid0(VALU_DEP_2) | instskip(SKIP_1) | instid1(VALU_DEP_1)
	v_fma_f64 v[12:13], v[8:9], v[16:17], -v[12:13]
	v_mul_f64 v[8:9], v[8:9], v[18:19]
	v_fma_f64 v[8:9], v[10:11], v[16:17], v[8:9]
	s_delay_alu instid0(VALU_DEP_3) | instskip(NEXT) | instid1(VALU_DEP_2)
	v_add_f64 v[16:17], v[6:7], v[12:13]
	v_add_f64 v[18:19], v[4:5], v[8:9]
	ds_load_b128 v[4:7], v22 offset:512
	s_waitcnt lgkmcnt(0)
	v_mul_f64 v[8:9], v[32:33], v[6:7]
	v_mul_f64 v[10:11], v[30:31], v[6:7]
	s_delay_alu instid0(VALU_DEP_2) | instskip(NEXT) | instid1(VALU_DEP_2)
	v_fma_f64 v[8:9], v[30:31], v[4:5], -v[8:9]
	v_fma_f64 v[10:11], v[32:33], v[4:5], v[10:11]
	s_delay_alu instid0(VALU_DEP_2) | instskip(NEXT) | instid1(VALU_DEP_2)
	v_add_f64 v[46:47], v[46:47], v[8:9]
	v_add_f64 v[48:49], v[48:49], v[10:11]
	ds_load_b128 v[8:11], v22 offset:768
	s_waitcnt lgkmcnt(0)
	v_mul_f64 v[12:13], v[32:33], v[10:11]
	v_mul_f64 v[14:15], v[30:31], v[10:11]
	s_delay_alu instid0(VALU_DEP_2) | instskip(NEXT) | instid1(VALU_DEP_2)
	v_fma_f64 v[12:13], v[30:31], v[8:9], -v[12:13]
	v_fma_f64 v[14:15], v[32:33], v[8:9], v[14:15]
	s_delay_alu instid0(VALU_DEP_2) | instskip(NEXT) | instid1(VALU_DEP_2)
	v_add_f64 v[28:29], v[28:29], v[12:13]
	v_add_f64 v[26:27], v[26:27], v[14:15]
	ds_load_b128 v[12:15], v25 offset:2064
	s_waitcnt lgkmcnt(0)
	v_mul_f64 v[30:31], v[14:15], v[6:7]
	v_mul_f64 v[6:7], v[12:13], v[6:7]
	s_delay_alu instid0(VALU_DEP_2) | instskip(NEXT) | instid1(VALU_DEP_2)
	v_fma_f64 v[30:31], v[12:13], v[4:5], -v[30:31]
	v_fma_f64 v[4:5], v[14:15], v[4:5], v[6:7]
	v_mul_f64 v[6:7], v[12:13], v[10:11]
	s_delay_alu instid0(VALU_DEP_3) | instskip(NEXT) | instid1(VALU_DEP_3)
	v_add_f64 v[30:31], v[44:45], v[30:31]
	v_add_f64 v[32:33], v[42:43], v[4:5]
	v_mul_f64 v[4:5], v[14:15], v[10:11]
	s_delay_alu instid0(VALU_DEP_4) | instskip(NEXT) | instid1(VALU_DEP_2)
	v_fma_f64 v[6:7], v[14:15], v[8:9], v[6:7]
	v_fma_f64 v[4:5], v[12:13], v[8:9], -v[4:5]
	s_delay_alu instid0(VALU_DEP_2) | instskip(NEXT) | instid1(VALU_DEP_2)
	v_add_f64 v[18:19], v[18:19], v[6:7]
	v_add_f64 v[16:17], v[16:17], v[4:5]
	ds_load_b128 v[4:7], v22 offset:1024
	s_waitcnt lgkmcnt(0)
	v_mul_f64 v[8:9], v[36:37], v[6:7]
	v_mul_f64 v[10:11], v[34:35], v[6:7]
	s_delay_alu instid0(VALU_DEP_2) | instskip(NEXT) | instid1(VALU_DEP_2)
	v_fma_f64 v[8:9], v[34:35], v[4:5], -v[8:9]
	v_fma_f64 v[10:11], v[36:37], v[4:5], v[10:11]
	s_delay_alu instid0(VALU_DEP_2) | instskip(NEXT) | instid1(VALU_DEP_2)
	v_add_f64 v[42:43], v[46:47], v[8:9]
	v_add_f64 v[44:45], v[48:49], v[10:11]
	ds_load_b128 v[8:11], v22 offset:1280
	s_waitcnt lgkmcnt(0)
	v_mul_f64 v[12:13], v[36:37], v[10:11]
	v_mul_f64 v[14:15], v[34:35], v[10:11]
	s_delay_alu instid0(VALU_DEP_2) | instskip(NEXT) | instid1(VALU_DEP_2)
	v_fma_f64 v[12:13], v[34:35], v[8:9], -v[12:13]
	v_fma_f64 v[14:15], v[36:37], v[8:9], v[14:15]
	s_delay_alu instid0(VALU_DEP_2) | instskip(NEXT) | instid1(VALU_DEP_2)
	v_add_f64 v[28:29], v[28:29], v[12:13]
	v_add_f64 v[26:27], v[26:27], v[14:15]
	ds_load_b128 v[12:15], v25 offset:2080
	s_waitcnt lgkmcnt(0)
	v_mul_f64 v[34:35], v[14:15], v[6:7]
	v_mul_f64 v[6:7], v[12:13], v[6:7]
	s_delay_alu instid0(VALU_DEP_2) | instskip(NEXT) | instid1(VALU_DEP_2)
	v_fma_f64 v[34:35], v[12:13], v[4:5], -v[34:35]
	v_fma_f64 v[4:5], v[14:15], v[4:5], v[6:7]
	v_mul_f64 v[6:7], v[12:13], v[10:11]
	s_delay_alu instid0(VALU_DEP_3) | instskip(NEXT) | instid1(VALU_DEP_3)
	v_add_f64 v[30:31], v[30:31], v[34:35]
	v_add_f64 v[32:33], v[32:33], v[4:5]
	v_mul_f64 v[4:5], v[14:15], v[10:11]
	s_delay_alu instid0(VALU_DEP_4) | instskip(NEXT) | instid1(VALU_DEP_2)
	v_fma_f64 v[6:7], v[14:15], v[8:9], v[6:7]
	v_fma_f64 v[4:5], v[12:13], v[8:9], -v[4:5]
	s_delay_alu instid0(VALU_DEP_2) | instskip(NEXT) | instid1(VALU_DEP_2)
	;; [unrolled: 38-line block ×3, first 2 shown]
	v_add_f64 v[18:19], v[18:19], v[6:7]
	v_add_f64 v[16:17], v[16:17], v[4:5]
	ds_load_b128 v[4:7], v25 offset:64
	ds_load_b128 v[8:11], v22 offset:2048
	s_waitcnt lgkmcnt(0)
	v_mul_f64 v[12:13], v[6:7], v[10:11]
	v_mul_f64 v[14:15], v[4:5], v[10:11]
	s_delay_alu instid0(VALU_DEP_2) | instskip(NEXT) | instid1(VALU_DEP_2)
	v_fma_f64 v[12:13], v[4:5], v[8:9], -v[12:13]
	v_fma_f64 v[14:15], v[6:7], v[8:9], v[14:15]
	s_delay_alu instid0(VALU_DEP_2) | instskip(NEXT) | instid1(VALU_DEP_2)
	v_add_f64 v[34:35], v[34:35], v[12:13]
	v_add_f64 v[36:37], v[36:37], v[14:15]
	ds_load_b128 v[12:15], v22 offset:2304
	s_waitcnt lgkmcnt(0)
	v_mul_f64 v[38:39], v[6:7], v[14:15]
	s_delay_alu instid0(VALU_DEP_1) | instskip(SKIP_1) | instid1(VALU_DEP_2)
	v_fma_f64 v[38:39], v[4:5], v[12:13], -v[38:39]
	v_mul_f64 v[4:5], v[4:5], v[14:15]
	v_add_f64 v[28:29], v[28:29], v[38:39]
	s_delay_alu instid0(VALU_DEP_2) | instskip(NEXT) | instid1(VALU_DEP_1)
	v_fma_f64 v[4:5], v[6:7], v[12:13], v[4:5]
	v_add_f64 v[26:27], v[26:27], v[4:5]
	ds_load_b128 v[4:7], v25 offset:2112
	s_waitcnt lgkmcnt(0)
	v_mul_f64 v[38:39], v[6:7], v[10:11]
	v_mul_f64 v[10:11], v[4:5], v[10:11]
	s_delay_alu instid0(VALU_DEP_2) | instskip(NEXT) | instid1(VALU_DEP_2)
	v_fma_f64 v[38:39], v[4:5], v[8:9], -v[38:39]
	v_fma_f64 v[8:9], v[6:7], v[8:9], v[10:11]
	s_delay_alu instid0(VALU_DEP_2) | instskip(NEXT) | instid1(VALU_DEP_2)
	v_add_f64 v[30:31], v[30:31], v[38:39]
	v_add_f64 v[32:33], v[32:33], v[8:9]
	v_mul_f64 v[8:9], v[6:7], v[14:15]
	s_delay_alu instid0(VALU_DEP_1) | instskip(SKIP_1) | instid1(VALU_DEP_2)
	v_fma_f64 v[8:9], v[4:5], v[12:13], -v[8:9]
	v_mul_f64 v[4:5], v[4:5], v[14:15]
	v_add_f64 v[16:17], v[16:17], v[8:9]
	s_delay_alu instid0(VALU_DEP_2) | instskip(NEXT) | instid1(VALU_DEP_1)
	v_fma_f64 v[4:5], v[6:7], v[12:13], v[4:5]
	v_add_f64 v[18:19], v[18:19], v[4:5]
	ds_load_b128 v[4:7], v25 offset:80
	ds_load_b128 v[8:11], v22 offset:2560
	s_waitcnt lgkmcnt(0)
	v_mul_f64 v[12:13], v[6:7], v[10:11]
	v_mul_f64 v[14:15], v[4:5], v[10:11]
	s_delay_alu instid0(VALU_DEP_2) | instskip(NEXT) | instid1(VALU_DEP_2)
	v_fma_f64 v[12:13], v[4:5], v[8:9], -v[12:13]
	v_fma_f64 v[14:15], v[6:7], v[8:9], v[14:15]
	s_delay_alu instid0(VALU_DEP_2) | instskip(NEXT) | instid1(VALU_DEP_2)
	v_add_f64 v[34:35], v[34:35], v[12:13]
	v_add_f64 v[36:37], v[36:37], v[14:15]
	ds_load_b128 v[12:15], v22 offset:2816
	s_waitcnt lgkmcnt(0)
	v_mul_f64 v[38:39], v[6:7], v[14:15]
	s_delay_alu instid0(VALU_DEP_1) | instskip(SKIP_1) | instid1(VALU_DEP_2)
	v_fma_f64 v[38:39], v[4:5], v[12:13], -v[38:39]
	v_mul_f64 v[4:5], v[4:5], v[14:15]
	v_add_f64 v[28:29], v[28:29], v[38:39]
	s_delay_alu instid0(VALU_DEP_2) | instskip(NEXT) | instid1(VALU_DEP_1)
	v_fma_f64 v[4:5], v[6:7], v[12:13], v[4:5]
	v_add_f64 v[26:27], v[26:27], v[4:5]
	ds_load_b128 v[4:7], v25 offset:2128
	s_waitcnt lgkmcnt(0)
	v_mul_f64 v[38:39], v[6:7], v[10:11]
	v_mul_f64 v[10:11], v[4:5], v[10:11]
	s_delay_alu instid0(VALU_DEP_2) | instskip(NEXT) | instid1(VALU_DEP_2)
	v_fma_f64 v[38:39], v[4:5], v[8:9], -v[38:39]
	v_fma_f64 v[8:9], v[6:7], v[8:9], v[10:11]
	s_delay_alu instid0(VALU_DEP_2) | instskip(NEXT) | instid1(VALU_DEP_2)
	v_add_f64 v[30:31], v[30:31], v[38:39]
	v_add_f64 v[32:33], v[32:33], v[8:9]
	v_mul_f64 v[8:9], v[6:7], v[14:15]
	s_delay_alu instid0(VALU_DEP_1) | instskip(SKIP_1) | instid1(VALU_DEP_2)
	v_fma_f64 v[8:9], v[4:5], v[12:13], -v[8:9]
	v_mul_f64 v[4:5], v[4:5], v[14:15]
	v_add_f64 v[16:17], v[16:17], v[8:9]
	s_delay_alu instid0(VALU_DEP_2) | instskip(NEXT) | instid1(VALU_DEP_1)
	v_fma_f64 v[4:5], v[6:7], v[12:13], v[4:5]
	;; [unrolled: 39-line block ×3, first 2 shown]
	v_add_f64 v[44:45], v[18:19], v[4:5]
	ds_load_b128 v[4:7], v25 offset:112
	ds_load_b128 v[12:15], v22 offset:3584
	;; [unrolled: 1-line block ×3, first 2 shown]
	s_waitcnt lgkmcnt(1)
	v_mul_f64 v[8:9], v[6:7], v[14:15]
	v_mul_f64 v[10:11], v[4:5], v[14:15]
	s_delay_alu instid0(VALU_DEP_2) | instskip(NEXT) | instid1(VALU_DEP_2)
	v_fma_f64 v[8:9], v[4:5], v[12:13], -v[8:9]
	v_fma_f64 v[10:11], v[6:7], v[12:13], v[10:11]
	s_delay_alu instid0(VALU_DEP_2) | instskip(SKIP_2) | instid1(VALU_DEP_3)
	v_add_f64 v[16:17], v[34:35], v[8:9]
	s_waitcnt lgkmcnt(0)
	v_mul_f64 v[8:9], v[6:7], v[28:29]
	v_add_f64 v[18:19], v[36:37], v[10:11]
	s_delay_alu instid0(VALU_DEP_2) | instskip(SKIP_1) | instid1(VALU_DEP_2)
	v_fma_f64 v[8:9], v[4:5], v[26:27], -v[8:9]
	v_mul_f64 v[4:5], v[4:5], v[28:29]
	v_add_f64 v[8:9], v[38:39], v[8:9]
	s_delay_alu instid0(VALU_DEP_2) | instskip(NEXT) | instid1(VALU_DEP_1)
	v_fma_f64 v[4:5], v[6:7], v[26:27], v[4:5]
	v_add_f64 v[10:11], v[40:41], v[4:5]
	ds_load_b128 v[4:7], v25 offset:2160
	s_waitcnt lgkmcnt(0)
	s_barrier
	buffer_gl0_inv
	v_mul_f64 v[34:35], v[6:7], v[14:15]
	v_mul_f64 v[14:15], v[4:5], v[14:15]
	s_delay_alu instid0(VALU_DEP_2) | instskip(NEXT) | instid1(VALU_DEP_2)
	v_fma_f64 v[34:35], v[4:5], v[12:13], -v[34:35]
	v_fma_f64 v[14:15], v[6:7], v[12:13], v[14:15]
	s_delay_alu instid0(VALU_DEP_2) | instskip(SKIP_1) | instid1(VALU_DEP_3)
	v_add_f64 v[12:13], v[30:31], v[34:35]
	v_mul_f64 v[30:31], v[6:7], v[28:29]
	v_add_f64 v[14:15], v[32:33], v[14:15]
	s_delay_alu instid0(VALU_DEP_2) | instskip(SKIP_1) | instid1(VALU_DEP_1)
	v_fma_f64 v[30:31], v[4:5], v[26:27], -v[30:31]
	v_mul_f64 v[4:5], v[4:5], v[28:29]
	v_fma_f64 v[4:5], v[6:7], v[26:27], v[4:5]
	s_delay_alu instid0(VALU_DEP_3) | instskip(NEXT) | instid1(VALU_DEP_2)
	v_add_f64 v[6:7], v[42:43], v[30:31]
	v_add_f64 v[4:5], v[44:45], v[4:5]
	s_cbranch_vccz .LBB1342_2
.LBB1342_3:
	v_add_nc_u32_e32 v21, s13, v21
	s_load_b32 s4, s[0:1], 0x0
	s_mul_i32 s1, s15, s39
	s_mul_hi_u32 s2, s15, s38
	s_mul_i32 s0, s15, s38
	v_ashrrev_i32_e32 v0, 31, v21
	v_mul_lo_u32 v3, v21, s37
	v_mad_u64_u32 v[1:2], null, v21, s36, 0
	s_add_i32 s1, s2, s1
	s_delay_alu instid0(VALU_DEP_3) | instskip(SKIP_1) | instid1(SALU_CYCLE_1)
	v_mul_lo_u32 v0, v0, s36
	s_lshl_b64 s[2:3], s[0:1], 4
	s_add_u32 s2, s10, s2
	s_addc_u32 s3, s11, s3
	s_delay_alu instid0(VALU_DEP_1) | instskip(SKIP_1) | instid1(VALU_DEP_2)
	v_add3_u32 v2, v2, v3, v0
	v_add_nc_u32_e32 v0, s12, v20
	v_lshlrev_b64 v[1:2], 4, v[1:2]
	s_delay_alu instid0(VALU_DEP_2) | instskip(SKIP_2) | instid1(VALU_DEP_3)
	v_cmp_le_i32_e64 s0, v21, v0
	s_waitcnt lgkmcnt(0)
	v_cmp_gt_i32_e32 vcc_lo, s4, v0
	v_add_co_u32 v20, s1, s2, v1
	s_delay_alu instid0(VALU_DEP_1) | instskip(SKIP_1) | instid1(SALU_CYCLE_1)
	v_add_co_ci_u32_e64 v22, s1, s3, v2, s1
	s_and_b32 s0, s0, vcc_lo
	s_and_saveexec_b32 s1, s0
	s_cbranch_execz .LBB1342_5
; %bb.4:
	v_ashrrev_i32_e32 v1, 31, v0
	v_mul_f64 v[27:28], s[18:19], v[18:19]
	v_mul_f64 v[18:19], s[20:21], v[18:19]
	s_delay_alu instid0(VALU_DEP_3) | instskip(NEXT) | instid1(VALU_DEP_1)
	v_lshlrev_b64 v[1:2], 4, v[0:1]
	v_add_co_u32 v1, s0, v20, v1
	s_delay_alu instid0(VALU_DEP_1)
	v_add_co_ci_u32_e64 v2, s0, v22, v2, s0
	v_cmp_ne_u32_e64 s0, v21, v0
	global_load_b128 v[23:26], v[1:2], off
	v_fma_f64 v[27:28], s[20:21], v[16:17], v[27:28]
	v_fma_f64 v[16:17], s[18:19], v[16:17], -v[18:19]
	s_waitcnt vmcnt(0)
	v_mul_f64 v[29:30], s[6:7], v[25:26]
	v_mul_f64 v[25:26], s[8:9], v[25:26]
	s_delay_alu instid0(VALU_DEP_2) | instskip(NEXT) | instid1(VALU_DEP_2)
	v_fma_f64 v[29:30], s[8:9], v[23:24], v[29:30]
	v_fma_f64 v[18:19], s[6:7], v[23:24], -v[25:26]
	s_delay_alu instid0(VALU_DEP_2) | instskip(NEXT) | instid1(VALU_DEP_2)
	v_add_f64 v[23:24], v[27:28], v[29:30]
	v_add_f64 v[16:17], v[16:17], v[18:19]
	s_delay_alu instid0(VALU_DEP_2) | instskip(NEXT) | instid1(VALU_DEP_3)
	v_cndmask_b32_e64 v19, 0, v24, s0
	v_cndmask_b32_e64 v18, 0, v23, s0
	global_store_b128 v[1:2], v[16:19], off
.LBB1342_5:
	s_or_b32 exec_lo, exec_lo, s1
	v_add_nc_u32_e32 v2, 16, v0
	s_delay_alu instid0(VALU_DEP_1) | instskip(SKIP_1) | instid1(VALU_DEP_1)
	v_cmp_le_i32_e64 s1, v21, v2
	v_cmp_gt_i32_e64 s0, s4, v2
	s_and_b32 s1, s1, s0
	s_delay_alu instid0(SALU_CYCLE_1)
	s_and_saveexec_b32 s4, s1
	s_cbranch_execz .LBB1342_7
; %bb.6:
	v_ashrrev_i32_e32 v3, 31, v2
	v_mul_f64 v[25:26], s[18:19], v[10:11]
	v_mul_f64 v[10:11], s[20:21], v[10:11]
	s_delay_alu instid0(VALU_DEP_3) | instskip(NEXT) | instid1(VALU_DEP_1)
	v_lshlrev_b64 v[16:17], 4, v[2:3]
	v_add_co_u32 v23, s1, v20, v16
	s_delay_alu instid0(VALU_DEP_1)
	v_add_co_ci_u32_e64 v24, s1, v22, v17, s1
	v_cmp_ne_u32_e64 s1, v21, v2
	global_load_b128 v[16:19], v[23:24], off
	v_fma_f64 v[25:26], s[20:21], v[8:9], v[25:26]
	v_fma_f64 v[8:9], s[18:19], v[8:9], -v[10:11]
	s_waitcnt vmcnt(0)
	v_mul_f64 v[27:28], s[6:7], v[18:19]
	v_mul_f64 v[18:19], s[8:9], v[18:19]
	s_delay_alu instid0(VALU_DEP_2) | instskip(NEXT) | instid1(VALU_DEP_2)
	v_fma_f64 v[27:28], s[8:9], v[16:17], v[27:28]
	v_fma_f64 v[10:11], s[6:7], v[16:17], -v[18:19]
	s_delay_alu instid0(VALU_DEP_2) | instskip(NEXT) | instid1(VALU_DEP_2)
	v_add_f64 v[16:17], v[25:26], v[27:28]
	v_add_f64 v[8:9], v[8:9], v[10:11]
	s_delay_alu instid0(VALU_DEP_2) | instskip(NEXT) | instid1(VALU_DEP_3)
	v_cndmask_b32_e64 v11, 0, v17, s1
	v_cndmask_b32_e64 v10, 0, v16, s1
	global_store_b128 v[23:24], v[8:11], off
.LBB1342_7:
	s_or_b32 exec_lo, exec_lo, s4
	v_add_nc_u32_e32 v3, 16, v21
	s_delay_alu instid0(VALU_DEP_1) | instskip(SKIP_3) | instid1(VALU_DEP_4)
	v_ashrrev_i32_e32 v1, 31, v3
	v_mul_lo_u32 v10, v3, s37
	v_mad_u64_u32 v[8:9], null, v3, s36, 0
	v_cmp_le_i32_e64 s1, v3, v0
	v_mul_lo_u32 v1, v1, s36
	s_delay_alu instid0(VALU_DEP_1) | instskip(NEXT) | instid1(VALU_DEP_1)
	v_add3_u32 v9, v9, v10, v1
	v_lshlrev_b64 v[8:9], 4, v[8:9]
	s_delay_alu instid0(VALU_DEP_1) | instskip(NEXT) | instid1(VALU_DEP_1)
	v_add_co_u32 v8, s2, s2, v8
	v_add_co_ci_u32_e64 v9, s2, s3, v9, s2
	s_and_b32 s2, s1, vcc_lo
	s_delay_alu instid0(SALU_CYCLE_1)
	s_and_saveexec_b32 s1, s2
	s_cbranch_execz .LBB1342_9
; %bb.8:
	v_ashrrev_i32_e32 v1, 31, v0
	s_delay_alu instid0(VALU_DEP_1) | instskip(NEXT) | instid1(VALU_DEP_1)
	v_lshlrev_b64 v[10:11], 4, v[0:1]
	v_add_co_u32 v22, vcc_lo, v8, v10
	s_delay_alu instid0(VALU_DEP_2)
	v_add_co_ci_u32_e32 v23, vcc_lo, v9, v11, vcc_lo
	v_mul_f64 v[10:11], s[18:19], v[14:15]
	v_mul_f64 v[14:15], s[20:21], v[14:15]
	v_cmp_ne_u32_e32 vcc_lo, v3, v0
	global_load_b128 v[16:19], v[22:23], off
	v_fma_f64 v[10:11], s[20:21], v[12:13], v[10:11]
	v_fma_f64 v[12:13], s[18:19], v[12:13], -v[14:15]
	s_waitcnt vmcnt(0)
	v_mul_f64 v[24:25], s[6:7], v[18:19]
	v_mul_f64 v[18:19], s[8:9], v[18:19]
	s_delay_alu instid0(VALU_DEP_2) | instskip(NEXT) | instid1(VALU_DEP_2)
	v_fma_f64 v[24:25], s[8:9], v[16:17], v[24:25]
	v_fma_f64 v[14:15], s[6:7], v[16:17], -v[18:19]
	s_delay_alu instid0(VALU_DEP_2) | instskip(NEXT) | instid1(VALU_DEP_2)
	v_add_f64 v[16:17], v[10:11], v[24:25]
	v_add_f64 v[10:11], v[12:13], v[14:15]
	s_delay_alu instid0(VALU_DEP_2)
	v_dual_cndmask_b32 v13, 0, v17 :: v_dual_cndmask_b32 v12, 0, v16
	global_store_b128 v[22:23], v[10:13], off
.LBB1342_9:
	s_or_b32 exec_lo, exec_lo, s1
	v_cmp_le_i32_e32 vcc_lo, v3, v2
	s_and_b32 s0, vcc_lo, s0
	s_delay_alu instid0(SALU_CYCLE_1)
	s_and_saveexec_b32 s1, s0
	s_cbranch_execz .LBB1342_11
; %bb.10:
	v_ashrrev_i32_e32 v3, 31, v2
	s_delay_alu instid0(VALU_DEP_1) | instskip(NEXT) | instid1(VALU_DEP_1)
	v_lshlrev_b64 v[1:2], 4, v[2:3]
	v_add_co_u32 v12, vcc_lo, v8, v1
	s_delay_alu instid0(VALU_DEP_2)
	v_add_co_ci_u32_e32 v13, vcc_lo, v9, v2, vcc_lo
	v_mul_f64 v[1:2], s[18:19], v[4:5]
	v_mul_f64 v[3:4], s[20:21], v[4:5]
	v_cmp_ne_u32_e32 vcc_lo, v21, v0
	global_load_b128 v[8:11], v[12:13], off
	v_fma_f64 v[1:2], s[20:21], v[6:7], v[1:2]
	v_fma_f64 v[3:4], s[18:19], v[6:7], -v[3:4]
	s_waitcnt vmcnt(0)
	v_mul_f64 v[14:15], s[6:7], v[10:11]
	v_mul_f64 v[10:11], s[8:9], v[10:11]
	s_delay_alu instid0(VALU_DEP_2) | instskip(NEXT) | instid1(VALU_DEP_2)
	v_fma_f64 v[14:15], s[8:9], v[8:9], v[14:15]
	v_fma_f64 v[5:6], s[6:7], v[8:9], -v[10:11]
	s_delay_alu instid0(VALU_DEP_2) | instskip(NEXT) | instid1(VALU_DEP_2)
	v_add_f64 v[7:8], v[1:2], v[14:15]
	v_add_f64 v[1:2], v[3:4], v[5:6]
	s_delay_alu instid0(VALU_DEP_2)
	v_dual_cndmask_b32 v4, 0, v8 :: v_dual_cndmask_b32 v3, 0, v7
	global_store_b128 v[12:13], v[1:4], off
.LBB1342_11:
	s_nop 0
	s_sendmsg sendmsg(MSG_DEALLOC_VGPRS)
	s_endpgm
	.section	.rodata,"a",@progbits
	.p2align	6, 0x0
	.amdhsa_kernel _ZL37rocblas_syrkx_herkx_restricted_kernelIl19rocblas_complex_numIdELi16ELi32ELi8ELb0ELb1ELc67ELc76EKS1_S1_EviT_T0_PT8_S3_lS6_S3_lS4_PT9_S3_li
		.amdhsa_group_segment_fixed_size 8192
		.amdhsa_private_segment_fixed_size 0
		.amdhsa_kernarg_size 124
		.amdhsa_user_sgpr_count 13
		.amdhsa_user_sgpr_dispatch_ptr 0
		.amdhsa_user_sgpr_queue_ptr 0
		.amdhsa_user_sgpr_kernarg_segment_ptr 1
		.amdhsa_user_sgpr_dispatch_id 0
		.amdhsa_user_sgpr_private_segment_size 0
		.amdhsa_wavefront_size32 1
		.amdhsa_uses_dynamic_stack 0
		.amdhsa_enable_private_segment 0
		.amdhsa_system_sgpr_workgroup_id_x 1
		.amdhsa_system_sgpr_workgroup_id_y 1
		.amdhsa_system_sgpr_workgroup_id_z 1
		.amdhsa_system_sgpr_workgroup_info 0
		.amdhsa_system_vgpr_workitem_id 1
		.amdhsa_next_free_vgpr 52
		.amdhsa_next_free_sgpr 40
		.amdhsa_reserve_vcc 1
		.amdhsa_float_round_mode_32 0
		.amdhsa_float_round_mode_16_64 0
		.amdhsa_float_denorm_mode_32 3
		.amdhsa_float_denorm_mode_16_64 3
		.amdhsa_dx10_clamp 1
		.amdhsa_ieee_mode 1
		.amdhsa_fp16_overflow 0
		.amdhsa_workgroup_processor_mode 1
		.amdhsa_memory_ordered 1
		.amdhsa_forward_progress 0
		.amdhsa_shared_vgpr_count 0
		.amdhsa_exception_fp_ieee_invalid_op 0
		.amdhsa_exception_fp_denorm_src 0
		.amdhsa_exception_fp_ieee_div_zero 0
		.amdhsa_exception_fp_ieee_overflow 0
		.amdhsa_exception_fp_ieee_underflow 0
		.amdhsa_exception_fp_ieee_inexact 0
		.amdhsa_exception_int_div_zero 0
	.end_amdhsa_kernel
	.section	.text._ZL37rocblas_syrkx_herkx_restricted_kernelIl19rocblas_complex_numIdELi16ELi32ELi8ELb0ELb1ELc67ELc76EKS1_S1_EviT_T0_PT8_S3_lS6_S3_lS4_PT9_S3_li,"axG",@progbits,_ZL37rocblas_syrkx_herkx_restricted_kernelIl19rocblas_complex_numIdELi16ELi32ELi8ELb0ELb1ELc67ELc76EKS1_S1_EviT_T0_PT8_S3_lS6_S3_lS4_PT9_S3_li,comdat
.Lfunc_end1342:
	.size	_ZL37rocblas_syrkx_herkx_restricted_kernelIl19rocblas_complex_numIdELi16ELi32ELi8ELb0ELb1ELc67ELc76EKS1_S1_EviT_T0_PT8_S3_lS6_S3_lS4_PT9_S3_li, .Lfunc_end1342-_ZL37rocblas_syrkx_herkx_restricted_kernelIl19rocblas_complex_numIdELi16ELi32ELi8ELb0ELb1ELc67ELc76EKS1_S1_EviT_T0_PT8_S3_lS6_S3_lS4_PT9_S3_li
                                        ; -- End function
	.section	.AMDGPU.csdata,"",@progbits
; Kernel info:
; codeLenInByte = 3768
; NumSgprs: 42
; NumVgprs: 52
; ScratchSize: 0
; MemoryBound: 0
; FloatMode: 240
; IeeeMode: 1
; LDSByteSize: 8192 bytes/workgroup (compile time only)
; SGPRBlocks: 5
; VGPRBlocks: 6
; NumSGPRsForWavesPerEU: 42
; NumVGPRsForWavesPerEU: 52
; Occupancy: 16
; WaveLimiterHint : 0
; COMPUTE_PGM_RSRC2:SCRATCH_EN: 0
; COMPUTE_PGM_RSRC2:USER_SGPR: 13
; COMPUTE_PGM_RSRC2:TRAP_HANDLER: 0
; COMPUTE_PGM_RSRC2:TGID_X_EN: 1
; COMPUTE_PGM_RSRC2:TGID_Y_EN: 1
; COMPUTE_PGM_RSRC2:TGID_Z_EN: 1
; COMPUTE_PGM_RSRC2:TIDIG_COMP_CNT: 1
	.section	.text._ZL37rocblas_syrkx_herkx_restricted_kernelIl19rocblas_complex_numIdELi16ELi32ELi8ELb0ELb1ELc78ELc76EKS1_S1_EviT_T0_PT8_S3_lS6_S3_lS4_PT9_S3_li,"axG",@progbits,_ZL37rocblas_syrkx_herkx_restricted_kernelIl19rocblas_complex_numIdELi16ELi32ELi8ELb0ELb1ELc78ELc76EKS1_S1_EviT_T0_PT8_S3_lS6_S3_lS4_PT9_S3_li,comdat
	.globl	_ZL37rocblas_syrkx_herkx_restricted_kernelIl19rocblas_complex_numIdELi16ELi32ELi8ELb0ELb1ELc78ELc76EKS1_S1_EviT_T0_PT8_S3_lS6_S3_lS4_PT9_S3_li ; -- Begin function _ZL37rocblas_syrkx_herkx_restricted_kernelIl19rocblas_complex_numIdELi16ELi32ELi8ELb0ELb1ELc78ELc76EKS1_S1_EviT_T0_PT8_S3_lS6_S3_lS4_PT9_S3_li
	.p2align	8
	.type	_ZL37rocblas_syrkx_herkx_restricted_kernelIl19rocblas_complex_numIdELi16ELi32ELi8ELb0ELb1ELc78ELc76EKS1_S1_EviT_T0_PT8_S3_lS6_S3_lS4_PT9_S3_li,@function
_ZL37rocblas_syrkx_herkx_restricted_kernelIl19rocblas_complex_numIdELi16ELi32ELi8ELb0ELb1ELc78ELc76EKS1_S1_EviT_T0_PT8_S3_lS6_S3_lS4_PT9_S3_li: ; @_ZL37rocblas_syrkx_herkx_restricted_kernelIl19rocblas_complex_numIdELi16ELi32ELi8ELb0ELb1ELc78ELc76EKS1_S1_EviT_T0_PT8_S3_lS6_S3_lS4_PT9_S3_li
; %bb.0:
	s_clause 0x2
	s_load_b512 s[16:31], s[0:1], 0x8
	s_load_b128 s[36:39], s[0:1], 0x68
	s_load_b256 s[4:11], s[0:1], 0x48
	v_mov_b32_e32 v16, 0
	v_dual_mov_b32 v17, 0 :: v_dual_and_b32 v20, 0x3ff, v0
	v_bfe_u32 v21, v0, 10, 10
	s_delay_alu instid0(VALU_DEP_3) | instskip(NEXT) | instid1(VALU_DEP_3)
	v_mov_b32_e32 v8, v16
	v_dual_mov_b32 v10, v16 :: v_dual_mov_b32 v11, v17
	v_dual_mov_b32 v19, v17 :: v_dual_mov_b32 v18, v16
	;; [unrolled: 1-line block ×6, first 2 shown]
	v_mov_b32_e32 v5, v17
	s_waitcnt lgkmcnt(0)
	v_cmp_lt_i64_e64 s2, s[16:17], 1
	s_lshl_b32 s33, s13, 5
	s_lshl_b32 s14, s14, 5
	s_delay_alu instid0(VALU_DEP_1)
	s_and_b32 vcc_lo, exec_lo, s2
	s_cbranch_vccnz .LBB1343_3
; %bb.1:
	v_lshl_add_u32 v1, v21, 4, v20
	v_and_b32_e32 v10, 7, v20
	s_mul_i32 s3, s27, s15
	s_mul_hi_u32 s12, s26, s15
	s_mul_i32 s2, s26, s15
	v_dual_mov_b32 v4, 0 :: v_dual_and_b32 v9, 31, v1
	v_lshrrev_b32_e32 v11, 3, v1
	v_mov_b32_e32 v5, 0
	v_lshrrev_b32_e32 v12, 5, v1
	s_delay_alu instid0(VALU_DEP_4) | instskip(SKIP_1) | instid1(VALU_DEP_3)
	v_add_nc_u32_e32 v0, s33, v9
	s_add_i32 s3, s12, s3
	v_dual_mov_b32 v15, v5 :: v_dual_add_nc_u32 v2, s14, v11
	s_lshl_b64 s[2:3], s[2:3], 4
	s_delay_alu instid0(VALU_DEP_2) | instskip(SKIP_1) | instid1(VALU_DEP_2)
	v_ashrrev_i32_e32 v1, 31, v0
	s_mul_i32 s5, s5, s15
	v_ashrrev_i32_e32 v3, 31, v2
	s_mul_hi_u32 s13, s4, s15
	s_add_u32 s12, s22, s2
	v_mad_u64_u32 v[6:7], null, v12, s24, v[0:1]
	s_delay_alu instid0(VALU_DEP_2) | instskip(SKIP_4) | instid1(VALU_DEP_2)
	v_mad_u64_u32 v[0:1], null, v10, s30, v[2:3]
	s_mul_i32 s4, s4, s15
	s_addc_u32 s22, s23, s3
	s_add_i32 s5, s13, s5
	s_lshl_b64 s[2:3], s[24:25], 7
	v_dual_mov_b32 v2, v7 :: v_dual_lshlrev_b32 v13, 4, v10
	s_lshl_b64 s[4:5], s[4:5], 4
	v_mov_b32_e32 v14, v4
	s_add_u32 s4, s28, s4
	s_delay_alu instid0(VALU_DEP_2)
	v_mad_u64_u32 v[7:8], null, v12, s25, v[2:3]
	v_mad_u64_u32 v[2:3], null, v10, s31, v[1:2]
	v_lshlrev_b32_e32 v22, 4, v20
	s_addc_u32 s5, s29, s5
	v_lshlrev_b32_e32 v8, 4, v9
	v_lshl_or_b32 v9, v11, 7, v13
	v_dual_mov_b32 v11, v5 :: v_dual_mov_b32 v10, v4
	v_mov_b32_e32 v19, v5
	v_mov_b32_e32 v1, v2
	v_lshlrev_b64 v[2:3], 4, v[6:7]
	v_lshl_or_b32 v24, v12, 9, v8
	v_mov_b32_e32 v13, v5
	v_add_nc_u32_e32 v25, 0x1000, v9
	v_lshlrev_b64 v[0:1], 4, v[0:1]
	v_dual_mov_b32 v12, v4 :: v_dual_mov_b32 v9, v5
	v_add_co_u32 v2, vcc_lo, s12, v2
	v_add_co_ci_u32_e32 v3, vcc_lo, s22, v3, vcc_lo
	s_delay_alu instid0(VALU_DEP_4) | instskip(SKIP_1) | instid1(VALU_DEP_4)
	v_add_co_u32 v6, vcc_lo, s4, v0
	v_add_co_ci_u32_e32 v7, vcc_lo, s5, v1, vcc_lo
	v_add_co_u32 v0, vcc_lo, v2, 8
	s_delay_alu instid0(VALU_DEP_4) | instskip(NEXT) | instid1(VALU_DEP_4)
	v_add_co_ci_u32_e32 v1, vcc_lo, 0, v3, vcc_lo
	v_add_co_u32 v2, vcc_lo, v6, 8
	s_delay_alu instid0(VALU_DEP_4)
	v_add_co_ci_u32_e32 v3, vcc_lo, 0, v7, vcc_lo
	v_dual_mov_b32 v7, v5 :: v_dual_mov_b32 v8, v4
	v_mov_b32_e32 v17, v5
	v_lshl_add_u32 v23, v21, 7, 0x1000
	v_mov_b32_e32 v6, v4
	v_mov_b32_e32 v18, v4
	;; [unrolled: 1-line block ×3, first 2 shown]
	s_lshl_b64 s[4:5], s[30:31], 7
	s_mov_b64 s[12:13], 0
.LBB1343_2:                             ; =>This Inner Loop Header: Depth=1
	global_load_b128 v[26:29], v[0:1], off offset:-8
	s_add_u32 s12, s12, 8
	s_addc_u32 s13, s13, 0
	v_add_co_u32 v0, vcc_lo, v0, s2
	v_add_co_ci_u32_e32 v1, vcc_lo, s3, v1, vcc_lo
	v_cmp_ge_u64_e64 s22, s[12:13], s[16:17]
	s_waitcnt vmcnt(0)
	ds_store_b128 v24, v[26:29]
	global_load_b128 v[26:29], v[2:3], off offset:-8
	v_add_co_u32 v2, vcc_lo, v2, s4
	v_add_co_ci_u32_e32 v3, vcc_lo, s5, v3, vcc_lo
	s_and_b32 vcc_lo, exec_lo, s22
	s_waitcnt vmcnt(0)
	v_xor_b32_e32 v29, 0x80000000, v29
	ds_store_b128 v25, v[26:29]
	s_waitcnt lgkmcnt(0)
	s_barrier
	buffer_gl0_inv
	ds_load_b128 v[26:29], v23
	ds_load_b128 v[30:33], v23 offset:16
	ds_load_b128 v[34:37], v23 offset:32
	;; [unrolled: 1-line block ×3, first 2 shown]
	ds_load_b128 v[42:45], v22
	s_waitcnt lgkmcnt(0)
	v_mul_f64 v[46:47], v[28:29], v[44:45]
	v_mul_f64 v[48:49], v[26:27], v[44:45]
	s_delay_alu instid0(VALU_DEP_2) | instskip(NEXT) | instid1(VALU_DEP_2)
	v_fma_f64 v[46:47], v[26:27], v[42:43], -v[46:47]
	v_fma_f64 v[48:49], v[28:29], v[42:43], v[48:49]
	s_delay_alu instid0(VALU_DEP_2) | instskip(NEXT) | instid1(VALU_DEP_2)
	v_add_f64 v[46:47], v[16:17], v[46:47]
	v_add_f64 v[48:49], v[18:19], v[48:49]
	ds_load_b128 v[16:19], v22 offset:256
	s_waitcnt lgkmcnt(0)
	v_mul_f64 v[50:51], v[28:29], v[18:19]
	s_delay_alu instid0(VALU_DEP_1) | instskip(SKIP_1) | instid1(VALU_DEP_1)
	v_fma_f64 v[50:51], v[26:27], v[16:17], -v[50:51]
	v_mul_f64 v[26:27], v[26:27], v[18:19]
	v_fma_f64 v[26:27], v[28:29], v[16:17], v[26:27]
	s_delay_alu instid0(VALU_DEP_3) | instskip(NEXT) | instid1(VALU_DEP_2)
	v_add_f64 v[28:29], v[8:9], v[50:51]
	v_add_f64 v[26:27], v[10:11], v[26:27]
	ds_load_b128 v[8:11], v23 offset:2048
	s_waitcnt lgkmcnt(0)
	v_mul_f64 v[50:51], v[10:11], v[44:45]
	v_mul_f64 v[44:45], v[8:9], v[44:45]
	s_delay_alu instid0(VALU_DEP_2) | instskip(NEXT) | instid1(VALU_DEP_2)
	v_fma_f64 v[50:51], v[8:9], v[42:43], -v[50:51]
	v_fma_f64 v[42:43], v[10:11], v[42:43], v[44:45]
	s_delay_alu instid0(VALU_DEP_2) | instskip(SKIP_1) | instid1(VALU_DEP_3)
	v_add_f64 v[44:45], v[12:13], v[50:51]
	v_mul_f64 v[12:13], v[10:11], v[18:19]
	v_add_f64 v[42:43], v[14:15], v[42:43]
	s_delay_alu instid0(VALU_DEP_2) | instskip(SKIP_1) | instid1(VALU_DEP_1)
	v_fma_f64 v[12:13], v[8:9], v[16:17], -v[12:13]
	v_mul_f64 v[8:9], v[8:9], v[18:19]
	v_fma_f64 v[8:9], v[10:11], v[16:17], v[8:9]
	s_delay_alu instid0(VALU_DEP_3) | instskip(NEXT) | instid1(VALU_DEP_2)
	v_add_f64 v[16:17], v[6:7], v[12:13]
	v_add_f64 v[18:19], v[4:5], v[8:9]
	ds_load_b128 v[4:7], v22 offset:512
	s_waitcnt lgkmcnt(0)
	v_mul_f64 v[8:9], v[32:33], v[6:7]
	v_mul_f64 v[10:11], v[30:31], v[6:7]
	s_delay_alu instid0(VALU_DEP_2) | instskip(NEXT) | instid1(VALU_DEP_2)
	v_fma_f64 v[8:9], v[30:31], v[4:5], -v[8:9]
	v_fma_f64 v[10:11], v[32:33], v[4:5], v[10:11]
	s_delay_alu instid0(VALU_DEP_2) | instskip(NEXT) | instid1(VALU_DEP_2)
	v_add_f64 v[46:47], v[46:47], v[8:9]
	v_add_f64 v[48:49], v[48:49], v[10:11]
	ds_load_b128 v[8:11], v22 offset:768
	s_waitcnt lgkmcnt(0)
	v_mul_f64 v[12:13], v[32:33], v[10:11]
	v_mul_f64 v[14:15], v[30:31], v[10:11]
	s_delay_alu instid0(VALU_DEP_2) | instskip(NEXT) | instid1(VALU_DEP_2)
	v_fma_f64 v[12:13], v[30:31], v[8:9], -v[12:13]
	v_fma_f64 v[14:15], v[32:33], v[8:9], v[14:15]
	s_delay_alu instid0(VALU_DEP_2) | instskip(NEXT) | instid1(VALU_DEP_2)
	v_add_f64 v[28:29], v[28:29], v[12:13]
	v_add_f64 v[26:27], v[26:27], v[14:15]
	ds_load_b128 v[12:15], v23 offset:2064
	s_waitcnt lgkmcnt(0)
	v_mul_f64 v[30:31], v[14:15], v[6:7]
	v_mul_f64 v[6:7], v[12:13], v[6:7]
	s_delay_alu instid0(VALU_DEP_2) | instskip(NEXT) | instid1(VALU_DEP_2)
	v_fma_f64 v[30:31], v[12:13], v[4:5], -v[30:31]
	v_fma_f64 v[4:5], v[14:15], v[4:5], v[6:7]
	v_mul_f64 v[6:7], v[12:13], v[10:11]
	s_delay_alu instid0(VALU_DEP_3) | instskip(NEXT) | instid1(VALU_DEP_3)
	v_add_f64 v[30:31], v[44:45], v[30:31]
	v_add_f64 v[32:33], v[42:43], v[4:5]
	v_mul_f64 v[4:5], v[14:15], v[10:11]
	s_delay_alu instid0(VALU_DEP_4) | instskip(NEXT) | instid1(VALU_DEP_2)
	v_fma_f64 v[6:7], v[14:15], v[8:9], v[6:7]
	v_fma_f64 v[4:5], v[12:13], v[8:9], -v[4:5]
	s_delay_alu instid0(VALU_DEP_2) | instskip(NEXT) | instid1(VALU_DEP_2)
	v_add_f64 v[18:19], v[18:19], v[6:7]
	v_add_f64 v[16:17], v[16:17], v[4:5]
	ds_load_b128 v[4:7], v22 offset:1024
	s_waitcnt lgkmcnt(0)
	v_mul_f64 v[8:9], v[36:37], v[6:7]
	v_mul_f64 v[10:11], v[34:35], v[6:7]
	s_delay_alu instid0(VALU_DEP_2) | instskip(NEXT) | instid1(VALU_DEP_2)
	v_fma_f64 v[8:9], v[34:35], v[4:5], -v[8:9]
	v_fma_f64 v[10:11], v[36:37], v[4:5], v[10:11]
	s_delay_alu instid0(VALU_DEP_2) | instskip(NEXT) | instid1(VALU_DEP_2)
	v_add_f64 v[42:43], v[46:47], v[8:9]
	v_add_f64 v[44:45], v[48:49], v[10:11]
	ds_load_b128 v[8:11], v22 offset:1280
	s_waitcnt lgkmcnt(0)
	v_mul_f64 v[12:13], v[36:37], v[10:11]
	v_mul_f64 v[14:15], v[34:35], v[10:11]
	s_delay_alu instid0(VALU_DEP_2) | instskip(NEXT) | instid1(VALU_DEP_2)
	v_fma_f64 v[12:13], v[34:35], v[8:9], -v[12:13]
	v_fma_f64 v[14:15], v[36:37], v[8:9], v[14:15]
	s_delay_alu instid0(VALU_DEP_2) | instskip(NEXT) | instid1(VALU_DEP_2)
	v_add_f64 v[28:29], v[28:29], v[12:13]
	v_add_f64 v[26:27], v[26:27], v[14:15]
	ds_load_b128 v[12:15], v23 offset:2080
	s_waitcnt lgkmcnt(0)
	v_mul_f64 v[34:35], v[14:15], v[6:7]
	v_mul_f64 v[6:7], v[12:13], v[6:7]
	s_delay_alu instid0(VALU_DEP_2) | instskip(NEXT) | instid1(VALU_DEP_2)
	v_fma_f64 v[34:35], v[12:13], v[4:5], -v[34:35]
	v_fma_f64 v[4:5], v[14:15], v[4:5], v[6:7]
	v_mul_f64 v[6:7], v[12:13], v[10:11]
	s_delay_alu instid0(VALU_DEP_3) | instskip(NEXT) | instid1(VALU_DEP_3)
	v_add_f64 v[30:31], v[30:31], v[34:35]
	v_add_f64 v[32:33], v[32:33], v[4:5]
	v_mul_f64 v[4:5], v[14:15], v[10:11]
	s_delay_alu instid0(VALU_DEP_4) | instskip(NEXT) | instid1(VALU_DEP_2)
	v_fma_f64 v[6:7], v[14:15], v[8:9], v[6:7]
	v_fma_f64 v[4:5], v[12:13], v[8:9], -v[4:5]
	s_delay_alu instid0(VALU_DEP_2) | instskip(NEXT) | instid1(VALU_DEP_2)
	v_add_f64 v[18:19], v[18:19], v[6:7]
	v_add_f64 v[16:17], v[16:17], v[4:5]
	ds_load_b128 v[4:7], v22 offset:1536
	s_waitcnt lgkmcnt(0)
	v_mul_f64 v[8:9], v[40:41], v[6:7]
	v_mul_f64 v[10:11], v[38:39], v[6:7]
	s_delay_alu instid0(VALU_DEP_2) | instskip(NEXT) | instid1(VALU_DEP_2)
	v_fma_f64 v[8:9], v[38:39], v[4:5], -v[8:9]
	v_fma_f64 v[10:11], v[40:41], v[4:5], v[10:11]
	s_delay_alu instid0(VALU_DEP_2) | instskip(NEXT) | instid1(VALU_DEP_2)
	v_add_f64 v[34:35], v[42:43], v[8:9]
	v_add_f64 v[36:37], v[44:45], v[10:11]
	ds_load_b128 v[8:11], v22 offset:1792
	s_waitcnt lgkmcnt(0)
	v_mul_f64 v[12:13], v[40:41], v[10:11]
	v_mul_f64 v[14:15], v[38:39], v[10:11]
	s_delay_alu instid0(VALU_DEP_2) | instskip(NEXT) | instid1(VALU_DEP_2)
	v_fma_f64 v[12:13], v[38:39], v[8:9], -v[12:13]
	v_fma_f64 v[14:15], v[40:41], v[8:9], v[14:15]
	s_delay_alu instid0(VALU_DEP_2) | instskip(NEXT) | instid1(VALU_DEP_2)
	v_add_f64 v[28:29], v[28:29], v[12:13]
	v_add_f64 v[26:27], v[26:27], v[14:15]
	ds_load_b128 v[12:15], v23 offset:2096
	s_waitcnt lgkmcnt(0)
	v_mul_f64 v[38:39], v[14:15], v[6:7]
	v_mul_f64 v[6:7], v[12:13], v[6:7]
	s_delay_alu instid0(VALU_DEP_2) | instskip(NEXT) | instid1(VALU_DEP_2)
	v_fma_f64 v[38:39], v[12:13], v[4:5], -v[38:39]
	v_fma_f64 v[4:5], v[14:15], v[4:5], v[6:7]
	v_mul_f64 v[6:7], v[12:13], v[10:11]
	s_delay_alu instid0(VALU_DEP_3) | instskip(NEXT) | instid1(VALU_DEP_3)
	v_add_f64 v[30:31], v[30:31], v[38:39]
	v_add_f64 v[32:33], v[32:33], v[4:5]
	v_mul_f64 v[4:5], v[14:15], v[10:11]
	s_delay_alu instid0(VALU_DEP_4) | instskip(NEXT) | instid1(VALU_DEP_2)
	v_fma_f64 v[6:7], v[14:15], v[8:9], v[6:7]
	v_fma_f64 v[4:5], v[12:13], v[8:9], -v[4:5]
	s_delay_alu instid0(VALU_DEP_2) | instskip(NEXT) | instid1(VALU_DEP_2)
	v_add_f64 v[18:19], v[18:19], v[6:7]
	v_add_f64 v[16:17], v[16:17], v[4:5]
	ds_load_b128 v[4:7], v23 offset:64
	ds_load_b128 v[8:11], v22 offset:2048
	s_waitcnt lgkmcnt(0)
	v_mul_f64 v[12:13], v[6:7], v[10:11]
	v_mul_f64 v[14:15], v[4:5], v[10:11]
	s_delay_alu instid0(VALU_DEP_2) | instskip(NEXT) | instid1(VALU_DEP_2)
	v_fma_f64 v[12:13], v[4:5], v[8:9], -v[12:13]
	v_fma_f64 v[14:15], v[6:7], v[8:9], v[14:15]
	s_delay_alu instid0(VALU_DEP_2) | instskip(NEXT) | instid1(VALU_DEP_2)
	v_add_f64 v[34:35], v[34:35], v[12:13]
	v_add_f64 v[36:37], v[36:37], v[14:15]
	ds_load_b128 v[12:15], v22 offset:2304
	s_waitcnt lgkmcnt(0)
	v_mul_f64 v[38:39], v[6:7], v[14:15]
	s_delay_alu instid0(VALU_DEP_1) | instskip(SKIP_1) | instid1(VALU_DEP_2)
	v_fma_f64 v[38:39], v[4:5], v[12:13], -v[38:39]
	v_mul_f64 v[4:5], v[4:5], v[14:15]
	v_add_f64 v[28:29], v[28:29], v[38:39]
	s_delay_alu instid0(VALU_DEP_2) | instskip(NEXT) | instid1(VALU_DEP_1)
	v_fma_f64 v[4:5], v[6:7], v[12:13], v[4:5]
	v_add_f64 v[26:27], v[26:27], v[4:5]
	ds_load_b128 v[4:7], v23 offset:2112
	s_waitcnt lgkmcnt(0)
	v_mul_f64 v[38:39], v[6:7], v[10:11]
	v_mul_f64 v[10:11], v[4:5], v[10:11]
	s_delay_alu instid0(VALU_DEP_2) | instskip(NEXT) | instid1(VALU_DEP_2)
	v_fma_f64 v[38:39], v[4:5], v[8:9], -v[38:39]
	v_fma_f64 v[8:9], v[6:7], v[8:9], v[10:11]
	s_delay_alu instid0(VALU_DEP_2) | instskip(NEXT) | instid1(VALU_DEP_2)
	v_add_f64 v[30:31], v[30:31], v[38:39]
	v_add_f64 v[32:33], v[32:33], v[8:9]
	v_mul_f64 v[8:9], v[6:7], v[14:15]
	s_delay_alu instid0(VALU_DEP_1) | instskip(SKIP_1) | instid1(VALU_DEP_2)
	v_fma_f64 v[8:9], v[4:5], v[12:13], -v[8:9]
	v_mul_f64 v[4:5], v[4:5], v[14:15]
	v_add_f64 v[16:17], v[16:17], v[8:9]
	s_delay_alu instid0(VALU_DEP_2) | instskip(NEXT) | instid1(VALU_DEP_1)
	v_fma_f64 v[4:5], v[6:7], v[12:13], v[4:5]
	v_add_f64 v[18:19], v[18:19], v[4:5]
	ds_load_b128 v[4:7], v23 offset:80
	ds_load_b128 v[8:11], v22 offset:2560
	s_waitcnt lgkmcnt(0)
	v_mul_f64 v[12:13], v[6:7], v[10:11]
	v_mul_f64 v[14:15], v[4:5], v[10:11]
	s_delay_alu instid0(VALU_DEP_2) | instskip(NEXT) | instid1(VALU_DEP_2)
	v_fma_f64 v[12:13], v[4:5], v[8:9], -v[12:13]
	v_fma_f64 v[14:15], v[6:7], v[8:9], v[14:15]
	s_delay_alu instid0(VALU_DEP_2) | instskip(NEXT) | instid1(VALU_DEP_2)
	v_add_f64 v[34:35], v[34:35], v[12:13]
	v_add_f64 v[36:37], v[36:37], v[14:15]
	ds_load_b128 v[12:15], v22 offset:2816
	s_waitcnt lgkmcnt(0)
	v_mul_f64 v[38:39], v[6:7], v[14:15]
	s_delay_alu instid0(VALU_DEP_1) | instskip(SKIP_1) | instid1(VALU_DEP_2)
	v_fma_f64 v[38:39], v[4:5], v[12:13], -v[38:39]
	v_mul_f64 v[4:5], v[4:5], v[14:15]
	v_add_f64 v[28:29], v[28:29], v[38:39]
	s_delay_alu instid0(VALU_DEP_2) | instskip(NEXT) | instid1(VALU_DEP_1)
	v_fma_f64 v[4:5], v[6:7], v[12:13], v[4:5]
	v_add_f64 v[26:27], v[26:27], v[4:5]
	ds_load_b128 v[4:7], v23 offset:2128
	s_waitcnt lgkmcnt(0)
	v_mul_f64 v[38:39], v[6:7], v[10:11]
	v_mul_f64 v[10:11], v[4:5], v[10:11]
	s_delay_alu instid0(VALU_DEP_2) | instskip(NEXT) | instid1(VALU_DEP_2)
	v_fma_f64 v[38:39], v[4:5], v[8:9], -v[38:39]
	v_fma_f64 v[8:9], v[6:7], v[8:9], v[10:11]
	s_delay_alu instid0(VALU_DEP_2) | instskip(NEXT) | instid1(VALU_DEP_2)
	v_add_f64 v[30:31], v[30:31], v[38:39]
	v_add_f64 v[32:33], v[32:33], v[8:9]
	v_mul_f64 v[8:9], v[6:7], v[14:15]
	s_delay_alu instid0(VALU_DEP_1) | instskip(SKIP_1) | instid1(VALU_DEP_2)
	v_fma_f64 v[8:9], v[4:5], v[12:13], -v[8:9]
	v_mul_f64 v[4:5], v[4:5], v[14:15]
	v_add_f64 v[16:17], v[16:17], v[8:9]
	s_delay_alu instid0(VALU_DEP_2) | instskip(NEXT) | instid1(VALU_DEP_1)
	v_fma_f64 v[4:5], v[6:7], v[12:13], v[4:5]
	;; [unrolled: 39-line block ×3, first 2 shown]
	v_add_f64 v[44:45], v[18:19], v[4:5]
	ds_load_b128 v[4:7], v23 offset:112
	ds_load_b128 v[12:15], v22 offset:3584
	;; [unrolled: 1-line block ×3, first 2 shown]
	s_waitcnt lgkmcnt(1)
	v_mul_f64 v[8:9], v[6:7], v[14:15]
	v_mul_f64 v[10:11], v[4:5], v[14:15]
	s_delay_alu instid0(VALU_DEP_2) | instskip(NEXT) | instid1(VALU_DEP_2)
	v_fma_f64 v[8:9], v[4:5], v[12:13], -v[8:9]
	v_fma_f64 v[10:11], v[6:7], v[12:13], v[10:11]
	s_delay_alu instid0(VALU_DEP_2) | instskip(SKIP_2) | instid1(VALU_DEP_3)
	v_add_f64 v[16:17], v[34:35], v[8:9]
	s_waitcnt lgkmcnt(0)
	v_mul_f64 v[8:9], v[6:7], v[28:29]
	v_add_f64 v[18:19], v[36:37], v[10:11]
	s_delay_alu instid0(VALU_DEP_2) | instskip(SKIP_1) | instid1(VALU_DEP_2)
	v_fma_f64 v[8:9], v[4:5], v[26:27], -v[8:9]
	v_mul_f64 v[4:5], v[4:5], v[28:29]
	v_add_f64 v[8:9], v[38:39], v[8:9]
	s_delay_alu instid0(VALU_DEP_2) | instskip(NEXT) | instid1(VALU_DEP_1)
	v_fma_f64 v[4:5], v[6:7], v[26:27], v[4:5]
	v_add_f64 v[10:11], v[40:41], v[4:5]
	ds_load_b128 v[4:7], v23 offset:2160
	s_waitcnt lgkmcnt(0)
	s_barrier
	buffer_gl0_inv
	v_mul_f64 v[34:35], v[6:7], v[14:15]
	v_mul_f64 v[14:15], v[4:5], v[14:15]
	s_delay_alu instid0(VALU_DEP_2) | instskip(NEXT) | instid1(VALU_DEP_2)
	v_fma_f64 v[34:35], v[4:5], v[12:13], -v[34:35]
	v_fma_f64 v[14:15], v[6:7], v[12:13], v[14:15]
	s_delay_alu instid0(VALU_DEP_2) | instskip(SKIP_1) | instid1(VALU_DEP_3)
	v_add_f64 v[12:13], v[30:31], v[34:35]
	v_mul_f64 v[30:31], v[6:7], v[28:29]
	v_add_f64 v[14:15], v[32:33], v[14:15]
	s_delay_alu instid0(VALU_DEP_2) | instskip(SKIP_1) | instid1(VALU_DEP_1)
	v_fma_f64 v[30:31], v[4:5], v[26:27], -v[30:31]
	v_mul_f64 v[4:5], v[4:5], v[28:29]
	v_fma_f64 v[4:5], v[6:7], v[26:27], v[4:5]
	s_delay_alu instid0(VALU_DEP_3) | instskip(NEXT) | instid1(VALU_DEP_2)
	v_add_f64 v[6:7], v[42:43], v[30:31]
	v_add_f64 v[4:5], v[44:45], v[4:5]
	s_cbranch_vccz .LBB1343_2
.LBB1343_3:
	v_add_nc_u32_e32 v21, s14, v21
	s_load_b32 s4, s[0:1], 0x0
	s_mul_i32 s1, s15, s39
	s_mul_hi_u32 s2, s15, s38
	s_mul_i32 s0, s15, s38
	v_ashrrev_i32_e32 v0, 31, v21
	v_mul_lo_u32 v3, v21, s37
	v_mad_u64_u32 v[1:2], null, v21, s36, 0
	s_add_i32 s1, s2, s1
	s_delay_alu instid0(VALU_DEP_3) | instskip(SKIP_1) | instid1(SALU_CYCLE_1)
	v_mul_lo_u32 v0, v0, s36
	s_lshl_b64 s[2:3], s[0:1], 4
	s_add_u32 s2, s10, s2
	s_addc_u32 s3, s11, s3
	s_delay_alu instid0(VALU_DEP_1) | instskip(SKIP_1) | instid1(VALU_DEP_2)
	v_add3_u32 v2, v2, v3, v0
	v_add_nc_u32_e32 v0, s33, v20
	v_lshlrev_b64 v[1:2], 4, v[1:2]
	s_delay_alu instid0(VALU_DEP_2) | instskip(SKIP_2) | instid1(VALU_DEP_3)
	v_cmp_le_i32_e64 s0, v21, v0
	s_waitcnt lgkmcnt(0)
	v_cmp_gt_i32_e32 vcc_lo, s4, v0
	v_add_co_u32 v20, s1, s2, v1
	s_delay_alu instid0(VALU_DEP_1) | instskip(SKIP_1) | instid1(SALU_CYCLE_1)
	v_add_co_ci_u32_e64 v22, s1, s3, v2, s1
	s_and_b32 s0, s0, vcc_lo
	s_and_saveexec_b32 s1, s0
	s_cbranch_execz .LBB1343_5
; %bb.4:
	v_ashrrev_i32_e32 v1, 31, v0
	v_mul_f64 v[27:28], s[18:19], v[18:19]
	v_mul_f64 v[18:19], s[20:21], v[18:19]
	s_delay_alu instid0(VALU_DEP_3) | instskip(NEXT) | instid1(VALU_DEP_1)
	v_lshlrev_b64 v[1:2], 4, v[0:1]
	v_add_co_u32 v1, s0, v20, v1
	s_delay_alu instid0(VALU_DEP_1)
	v_add_co_ci_u32_e64 v2, s0, v22, v2, s0
	v_cmp_ne_u32_e64 s0, v21, v0
	global_load_b128 v[23:26], v[1:2], off
	v_fma_f64 v[27:28], s[20:21], v[16:17], v[27:28]
	v_fma_f64 v[16:17], s[18:19], v[16:17], -v[18:19]
	s_waitcnt vmcnt(0)
	v_mul_f64 v[29:30], s[6:7], v[25:26]
	v_mul_f64 v[25:26], s[8:9], v[25:26]
	s_delay_alu instid0(VALU_DEP_2) | instskip(NEXT) | instid1(VALU_DEP_2)
	v_fma_f64 v[29:30], s[8:9], v[23:24], v[29:30]
	v_fma_f64 v[18:19], s[6:7], v[23:24], -v[25:26]
	s_delay_alu instid0(VALU_DEP_2) | instskip(NEXT) | instid1(VALU_DEP_2)
	v_add_f64 v[23:24], v[27:28], v[29:30]
	v_add_f64 v[16:17], v[16:17], v[18:19]
	s_delay_alu instid0(VALU_DEP_2) | instskip(NEXT) | instid1(VALU_DEP_3)
	v_cndmask_b32_e64 v19, 0, v24, s0
	v_cndmask_b32_e64 v18, 0, v23, s0
	global_store_b128 v[1:2], v[16:19], off
.LBB1343_5:
	s_or_b32 exec_lo, exec_lo, s1
	v_add_nc_u32_e32 v2, 16, v0
	s_delay_alu instid0(VALU_DEP_1) | instskip(SKIP_1) | instid1(VALU_DEP_1)
	v_cmp_le_i32_e64 s1, v21, v2
	v_cmp_gt_i32_e64 s0, s4, v2
	s_and_b32 s1, s1, s0
	s_delay_alu instid0(SALU_CYCLE_1)
	s_and_saveexec_b32 s4, s1
	s_cbranch_execz .LBB1343_7
; %bb.6:
	v_ashrrev_i32_e32 v3, 31, v2
	v_mul_f64 v[25:26], s[18:19], v[10:11]
	v_mul_f64 v[10:11], s[20:21], v[10:11]
	s_delay_alu instid0(VALU_DEP_3) | instskip(NEXT) | instid1(VALU_DEP_1)
	v_lshlrev_b64 v[16:17], 4, v[2:3]
	v_add_co_u32 v23, s1, v20, v16
	s_delay_alu instid0(VALU_DEP_1)
	v_add_co_ci_u32_e64 v24, s1, v22, v17, s1
	v_cmp_ne_u32_e64 s1, v21, v2
	global_load_b128 v[16:19], v[23:24], off
	v_fma_f64 v[25:26], s[20:21], v[8:9], v[25:26]
	v_fma_f64 v[8:9], s[18:19], v[8:9], -v[10:11]
	s_waitcnt vmcnt(0)
	v_mul_f64 v[27:28], s[6:7], v[18:19]
	v_mul_f64 v[18:19], s[8:9], v[18:19]
	s_delay_alu instid0(VALU_DEP_2) | instskip(NEXT) | instid1(VALU_DEP_2)
	v_fma_f64 v[27:28], s[8:9], v[16:17], v[27:28]
	v_fma_f64 v[10:11], s[6:7], v[16:17], -v[18:19]
	s_delay_alu instid0(VALU_DEP_2) | instskip(NEXT) | instid1(VALU_DEP_2)
	v_add_f64 v[16:17], v[25:26], v[27:28]
	v_add_f64 v[8:9], v[8:9], v[10:11]
	s_delay_alu instid0(VALU_DEP_2) | instskip(NEXT) | instid1(VALU_DEP_3)
	v_cndmask_b32_e64 v11, 0, v17, s1
	v_cndmask_b32_e64 v10, 0, v16, s1
	global_store_b128 v[23:24], v[8:11], off
.LBB1343_7:
	s_or_b32 exec_lo, exec_lo, s4
	v_add_nc_u32_e32 v3, 16, v21
	s_delay_alu instid0(VALU_DEP_1) | instskip(SKIP_3) | instid1(VALU_DEP_4)
	v_ashrrev_i32_e32 v1, 31, v3
	v_mul_lo_u32 v10, v3, s37
	v_mad_u64_u32 v[8:9], null, v3, s36, 0
	v_cmp_le_i32_e64 s1, v3, v0
	v_mul_lo_u32 v1, v1, s36
	s_delay_alu instid0(VALU_DEP_1) | instskip(NEXT) | instid1(VALU_DEP_1)
	v_add3_u32 v9, v9, v10, v1
	v_lshlrev_b64 v[8:9], 4, v[8:9]
	s_delay_alu instid0(VALU_DEP_1) | instskip(NEXT) | instid1(VALU_DEP_1)
	v_add_co_u32 v8, s2, s2, v8
	v_add_co_ci_u32_e64 v9, s2, s3, v9, s2
	s_and_b32 s2, s1, vcc_lo
	s_delay_alu instid0(SALU_CYCLE_1)
	s_and_saveexec_b32 s1, s2
	s_cbranch_execz .LBB1343_9
; %bb.8:
	v_ashrrev_i32_e32 v1, 31, v0
	s_delay_alu instid0(VALU_DEP_1) | instskip(NEXT) | instid1(VALU_DEP_1)
	v_lshlrev_b64 v[10:11], 4, v[0:1]
	v_add_co_u32 v22, vcc_lo, v8, v10
	s_delay_alu instid0(VALU_DEP_2)
	v_add_co_ci_u32_e32 v23, vcc_lo, v9, v11, vcc_lo
	v_mul_f64 v[10:11], s[18:19], v[14:15]
	v_mul_f64 v[14:15], s[20:21], v[14:15]
	v_cmp_ne_u32_e32 vcc_lo, v3, v0
	global_load_b128 v[16:19], v[22:23], off
	v_fma_f64 v[10:11], s[20:21], v[12:13], v[10:11]
	v_fma_f64 v[12:13], s[18:19], v[12:13], -v[14:15]
	s_waitcnt vmcnt(0)
	v_mul_f64 v[24:25], s[6:7], v[18:19]
	v_mul_f64 v[18:19], s[8:9], v[18:19]
	s_delay_alu instid0(VALU_DEP_2) | instskip(NEXT) | instid1(VALU_DEP_2)
	v_fma_f64 v[24:25], s[8:9], v[16:17], v[24:25]
	v_fma_f64 v[14:15], s[6:7], v[16:17], -v[18:19]
	s_delay_alu instid0(VALU_DEP_2) | instskip(NEXT) | instid1(VALU_DEP_2)
	v_add_f64 v[16:17], v[10:11], v[24:25]
	v_add_f64 v[10:11], v[12:13], v[14:15]
	s_delay_alu instid0(VALU_DEP_2)
	v_dual_cndmask_b32 v13, 0, v17 :: v_dual_cndmask_b32 v12, 0, v16
	global_store_b128 v[22:23], v[10:13], off
.LBB1343_9:
	s_or_b32 exec_lo, exec_lo, s1
	v_cmp_le_i32_e32 vcc_lo, v3, v2
	s_and_b32 s0, vcc_lo, s0
	s_delay_alu instid0(SALU_CYCLE_1)
	s_and_saveexec_b32 s1, s0
	s_cbranch_execz .LBB1343_11
; %bb.10:
	v_ashrrev_i32_e32 v3, 31, v2
	s_delay_alu instid0(VALU_DEP_1) | instskip(NEXT) | instid1(VALU_DEP_1)
	v_lshlrev_b64 v[1:2], 4, v[2:3]
	v_add_co_u32 v12, vcc_lo, v8, v1
	s_delay_alu instid0(VALU_DEP_2)
	v_add_co_ci_u32_e32 v13, vcc_lo, v9, v2, vcc_lo
	v_mul_f64 v[1:2], s[18:19], v[4:5]
	v_mul_f64 v[3:4], s[20:21], v[4:5]
	v_cmp_ne_u32_e32 vcc_lo, v21, v0
	global_load_b128 v[8:11], v[12:13], off
	v_fma_f64 v[1:2], s[20:21], v[6:7], v[1:2]
	v_fma_f64 v[3:4], s[18:19], v[6:7], -v[3:4]
	s_waitcnt vmcnt(0)
	v_mul_f64 v[14:15], s[6:7], v[10:11]
	v_mul_f64 v[10:11], s[8:9], v[10:11]
	s_delay_alu instid0(VALU_DEP_2) | instskip(NEXT) | instid1(VALU_DEP_2)
	v_fma_f64 v[14:15], s[8:9], v[8:9], v[14:15]
	v_fma_f64 v[5:6], s[6:7], v[8:9], -v[10:11]
	s_delay_alu instid0(VALU_DEP_2) | instskip(NEXT) | instid1(VALU_DEP_2)
	v_add_f64 v[7:8], v[1:2], v[14:15]
	v_add_f64 v[1:2], v[3:4], v[5:6]
	s_delay_alu instid0(VALU_DEP_2)
	v_dual_cndmask_b32 v4, 0, v8 :: v_dual_cndmask_b32 v3, 0, v7
	global_store_b128 v[12:13], v[1:4], off
.LBB1343_11:
	s_nop 0
	s_sendmsg sendmsg(MSG_DEALLOC_VGPRS)
	s_endpgm
	.section	.rodata,"a",@progbits
	.p2align	6, 0x0
	.amdhsa_kernel _ZL37rocblas_syrkx_herkx_restricted_kernelIl19rocblas_complex_numIdELi16ELi32ELi8ELb0ELb1ELc78ELc76EKS1_S1_EviT_T0_PT8_S3_lS6_S3_lS4_PT9_S3_li
		.amdhsa_group_segment_fixed_size 8192
		.amdhsa_private_segment_fixed_size 0
		.amdhsa_kernarg_size 124
		.amdhsa_user_sgpr_count 13
		.amdhsa_user_sgpr_dispatch_ptr 0
		.amdhsa_user_sgpr_queue_ptr 0
		.amdhsa_user_sgpr_kernarg_segment_ptr 1
		.amdhsa_user_sgpr_dispatch_id 0
		.amdhsa_user_sgpr_private_segment_size 0
		.amdhsa_wavefront_size32 1
		.amdhsa_uses_dynamic_stack 0
		.amdhsa_enable_private_segment 0
		.amdhsa_system_sgpr_workgroup_id_x 1
		.amdhsa_system_sgpr_workgroup_id_y 1
		.amdhsa_system_sgpr_workgroup_id_z 1
		.amdhsa_system_sgpr_workgroup_info 0
		.amdhsa_system_vgpr_workitem_id 1
		.amdhsa_next_free_vgpr 52
		.amdhsa_next_free_sgpr 40
		.amdhsa_reserve_vcc 1
		.amdhsa_float_round_mode_32 0
		.amdhsa_float_round_mode_16_64 0
		.amdhsa_float_denorm_mode_32 3
		.amdhsa_float_denorm_mode_16_64 3
		.amdhsa_dx10_clamp 1
		.amdhsa_ieee_mode 1
		.amdhsa_fp16_overflow 0
		.amdhsa_workgroup_processor_mode 1
		.amdhsa_memory_ordered 1
		.amdhsa_forward_progress 0
		.amdhsa_shared_vgpr_count 0
		.amdhsa_exception_fp_ieee_invalid_op 0
		.amdhsa_exception_fp_denorm_src 0
		.amdhsa_exception_fp_ieee_div_zero 0
		.amdhsa_exception_fp_ieee_overflow 0
		.amdhsa_exception_fp_ieee_underflow 0
		.amdhsa_exception_fp_ieee_inexact 0
		.amdhsa_exception_int_div_zero 0
	.end_amdhsa_kernel
	.section	.text._ZL37rocblas_syrkx_herkx_restricted_kernelIl19rocblas_complex_numIdELi16ELi32ELi8ELb0ELb1ELc78ELc76EKS1_S1_EviT_T0_PT8_S3_lS6_S3_lS4_PT9_S3_li,"axG",@progbits,_ZL37rocblas_syrkx_herkx_restricted_kernelIl19rocblas_complex_numIdELi16ELi32ELi8ELb0ELb1ELc78ELc76EKS1_S1_EviT_T0_PT8_S3_lS6_S3_lS4_PT9_S3_li,comdat
.Lfunc_end1343:
	.size	_ZL37rocblas_syrkx_herkx_restricted_kernelIl19rocblas_complex_numIdELi16ELi32ELi8ELb0ELb1ELc78ELc76EKS1_S1_EviT_T0_PT8_S3_lS6_S3_lS4_PT9_S3_li, .Lfunc_end1343-_ZL37rocblas_syrkx_herkx_restricted_kernelIl19rocblas_complex_numIdELi16ELi32ELi8ELb0ELb1ELc78ELc76EKS1_S1_EviT_T0_PT8_S3_lS6_S3_lS4_PT9_S3_li
                                        ; -- End function
	.section	.AMDGPU.csdata,"",@progbits
; Kernel info:
; codeLenInByte = 3752
; NumSgprs: 42
; NumVgprs: 52
; ScratchSize: 0
; MemoryBound: 0
; FloatMode: 240
; IeeeMode: 1
; LDSByteSize: 8192 bytes/workgroup (compile time only)
; SGPRBlocks: 5
; VGPRBlocks: 6
; NumSGPRsForWavesPerEU: 42
; NumVGPRsForWavesPerEU: 52
; Occupancy: 16
; WaveLimiterHint : 0
; COMPUTE_PGM_RSRC2:SCRATCH_EN: 0
; COMPUTE_PGM_RSRC2:USER_SGPR: 13
; COMPUTE_PGM_RSRC2:TRAP_HANDLER: 0
; COMPUTE_PGM_RSRC2:TGID_X_EN: 1
; COMPUTE_PGM_RSRC2:TGID_Y_EN: 1
; COMPUTE_PGM_RSRC2:TGID_Z_EN: 1
; COMPUTE_PGM_RSRC2:TIDIG_COMP_CNT: 1
	.section	.text._ZL37rocblas_syrkx_herkx_restricted_kernelIl19rocblas_complex_numIdELi16ELi32ELi8ELb0ELb1ELc84ELc85EKS1_S1_EviT_T0_PT8_S3_lS6_S3_lS4_PT9_S3_li,"axG",@progbits,_ZL37rocblas_syrkx_herkx_restricted_kernelIl19rocblas_complex_numIdELi16ELi32ELi8ELb0ELb1ELc84ELc85EKS1_S1_EviT_T0_PT8_S3_lS6_S3_lS4_PT9_S3_li,comdat
	.globl	_ZL37rocblas_syrkx_herkx_restricted_kernelIl19rocblas_complex_numIdELi16ELi32ELi8ELb0ELb1ELc84ELc85EKS1_S1_EviT_T0_PT8_S3_lS6_S3_lS4_PT9_S3_li ; -- Begin function _ZL37rocblas_syrkx_herkx_restricted_kernelIl19rocblas_complex_numIdELi16ELi32ELi8ELb0ELb1ELc84ELc85EKS1_S1_EviT_T0_PT8_S3_lS6_S3_lS4_PT9_S3_li
	.p2align	8
	.type	_ZL37rocblas_syrkx_herkx_restricted_kernelIl19rocblas_complex_numIdELi16ELi32ELi8ELb0ELb1ELc84ELc85EKS1_S1_EviT_T0_PT8_S3_lS6_S3_lS4_PT9_S3_li,@function
_ZL37rocblas_syrkx_herkx_restricted_kernelIl19rocblas_complex_numIdELi16ELi32ELi8ELb0ELb1ELc84ELc85EKS1_S1_EviT_T0_PT8_S3_lS6_S3_lS4_PT9_S3_li: ; @_ZL37rocblas_syrkx_herkx_restricted_kernelIl19rocblas_complex_numIdELi16ELi32ELi8ELb0ELb1ELc84ELc85EKS1_S1_EviT_T0_PT8_S3_lS6_S3_lS4_PT9_S3_li
; %bb.0:
	s_clause 0x2
	s_load_b512 s[16:31], s[0:1], 0x8
	s_load_b128 s[36:39], s[0:1], 0x68
	s_load_b256 s[4:11], s[0:1], 0x48
	v_mov_b32_e32 v16, 0
	v_dual_mov_b32 v17, 0 :: v_dual_and_b32 v20, 0x3ff, v0
	v_bfe_u32 v21, v0, 10, 10
	s_delay_alu instid0(VALU_DEP_3) | instskip(NEXT) | instid1(VALU_DEP_3)
	v_mov_b32_e32 v8, v16
	v_dual_mov_b32 v10, v16 :: v_dual_mov_b32 v11, v17
	v_dual_mov_b32 v19, v17 :: v_dual_mov_b32 v18, v16
	;; [unrolled: 1-line block ×6, first 2 shown]
	v_mov_b32_e32 v5, v17
	s_waitcnt lgkmcnt(0)
	v_cmp_lt_i64_e64 s2, s[16:17], 1
	s_lshl_b32 s12, s13, 5
	s_lshl_b32 s13, s14, 5
	s_delay_alu instid0(VALU_DEP_1)
	s_and_b32 vcc_lo, exec_lo, s2
	s_cbranch_vccnz .LBB1344_3
; %bb.1:
	v_lshl_add_u32 v2, v21, 4, v20
	v_dual_mov_b32 v1, 0 :: v_dual_and_b32 v0, 7, v20
	v_lshlrev_b32_e32 v22, 4, v20
	s_mul_i32 s3, s27, s15
	s_delay_alu instid0(VALU_DEP_3)
	v_and_b32_e32 v8, 31, v2
	v_lshrrev_b32_e32 v9, 3, v2
	v_lshrrev_b32_e32 v2, 5, v2
	v_mov_b32_e32 v3, v1
	v_lshlrev_b32_e32 v11, 4, v0
	v_add_nc_u32_e32 v6, s12, v8
	v_add_nc_u32_e32 v10, s13, v9
	s_mul_hi_u32 s14, s26, s15
	s_mul_i32 s2, s26, s15
	s_add_i32 s3, s14, s3
	v_ashrrev_i32_e32 v7, 31, v6
	v_ashrrev_i32_e32 v12, 31, v10
	v_mad_u64_u32 v[4:5], null, s24, v6, v[2:3]
	v_mul_lo_u32 v3, s25, v6
	s_delay_alu instid0(VALU_DEP_4)
	v_mul_lo_u32 v13, s24, v7
	v_mul_lo_u32 v14, v10, s31
	v_mad_u64_u32 v[6:7], null, v10, s30, v[0:1]
	v_mul_lo_u32 v0, v12, s30
	v_lshlrev_b32_e32 v1, 4, v8
	s_lshl_b64 s[2:3], s[2:3], 4
	v_lshl_add_u32 v25, v21, 7, 0x1000
	v_add3_u32 v5, v3, v5, v13
	s_add_u32 s14, s22, s2
	v_lshl_or_b32 v23, v2, 9, v1
	s_mul_i32 s2, s5, s15
	v_add3_u32 v7, v0, v7, v14
	v_lshlrev_b64 v[0:1], 4, v[4:5]
	s_mul_hi_u32 s5, s4, s15
	s_addc_u32 s22, s23, s3
	s_add_i32 s3, s5, s2
	s_mul_i32 s2, s4, s15
	v_lshlrev_b64 v[2:3], 4, v[6:7]
	s_lshl_b64 s[2:3], s[2:3], 4
	v_add_co_u32 v0, vcc_lo, s14, v0
	s_add_u32 s2, s28, s2
	v_add_co_ci_u32_e32 v1, vcc_lo, s22, v1, vcc_lo
	v_mov_b32_e32 v4, 0
	v_lshl_or_b32 v8, v9, 7, v11
	s_addc_u32 s3, s29, s3
	v_add_co_u32 v2, vcc_lo, s2, v2
	v_mov_b32_e32 v5, 0
	v_add_co_ci_u32_e32 v3, vcc_lo, s3, v3, vcc_lo
	v_add_co_u32 v0, vcc_lo, v0, 8
	s_delay_alu instid0(VALU_DEP_3)
	v_dual_mov_b32 v13, v5 :: v_dual_add_nc_u32 v24, 0x1000, v8
	v_add_co_ci_u32_e32 v1, vcc_lo, 0, v1, vcc_lo
	v_mov_b32_e32 v15, v5
	v_add_co_u32 v2, vcc_lo, v2, 8
	v_dual_mov_b32 v14, v4 :: v_dual_mov_b32 v11, v5
	v_dual_mov_b32 v12, v4 :: v_dual_mov_b32 v9, v5
	v_dual_mov_b32 v7, v5 :: v_dual_mov_b32 v10, v4
	v_dual_mov_b32 v19, v5 :: v_dual_mov_b32 v8, v4
	v_mov_b32_e32 v17, v5
	v_add_co_ci_u32_e32 v3, vcc_lo, 0, v3, vcc_lo
	v_mov_b32_e32 v6, v4
	v_mov_b32_e32 v18, v4
	;; [unrolled: 1-line block ×3, first 2 shown]
	s_mov_b64 s[2:3], 0
.LBB1344_2:                             ; =>This Inner Loop Header: Depth=1
	global_load_b128 v[26:29], v[0:1], off offset:-8
	s_add_u32 s2, s2, 8
	s_addc_u32 s3, s3, 0
	v_add_co_u32 v0, vcc_lo, 0x80, v0
	v_add_co_ci_u32_e32 v1, vcc_lo, 0, v1, vcc_lo
	v_cmp_ge_u64_e64 s4, s[2:3], s[16:17]
	s_waitcnt vmcnt(0)
	ds_store_b128 v23, v[26:29]
	global_load_b128 v[26:29], v[2:3], off offset:-8
	v_add_co_u32 v2, vcc_lo, 0x80, v2
	v_add_co_ci_u32_e32 v3, vcc_lo, 0, v3, vcc_lo
	s_and_b32 vcc_lo, exec_lo, s4
	s_waitcnt vmcnt(0)
	ds_store_b128 v24, v[26:29]
	s_waitcnt lgkmcnt(0)
	s_barrier
	buffer_gl0_inv
	ds_load_b128 v[26:29], v25
	ds_load_b128 v[30:33], v25 offset:16
	ds_load_b128 v[34:37], v25 offset:32
	;; [unrolled: 1-line block ×3, first 2 shown]
	ds_load_b128 v[42:45], v22
	s_waitcnt lgkmcnt(0)
	v_mul_f64 v[46:47], v[28:29], v[44:45]
	v_mul_f64 v[48:49], v[26:27], v[44:45]
	s_delay_alu instid0(VALU_DEP_2) | instskip(NEXT) | instid1(VALU_DEP_2)
	v_fma_f64 v[46:47], v[26:27], v[42:43], -v[46:47]
	v_fma_f64 v[48:49], v[28:29], v[42:43], v[48:49]
	s_delay_alu instid0(VALU_DEP_2) | instskip(NEXT) | instid1(VALU_DEP_2)
	v_add_f64 v[46:47], v[16:17], v[46:47]
	v_add_f64 v[48:49], v[18:19], v[48:49]
	ds_load_b128 v[16:19], v22 offset:256
	s_waitcnt lgkmcnt(0)
	v_mul_f64 v[50:51], v[28:29], v[18:19]
	s_delay_alu instid0(VALU_DEP_1) | instskip(SKIP_1) | instid1(VALU_DEP_1)
	v_fma_f64 v[50:51], v[26:27], v[16:17], -v[50:51]
	v_mul_f64 v[26:27], v[26:27], v[18:19]
	v_fma_f64 v[26:27], v[28:29], v[16:17], v[26:27]
	s_delay_alu instid0(VALU_DEP_3) | instskip(NEXT) | instid1(VALU_DEP_2)
	v_add_f64 v[28:29], v[8:9], v[50:51]
	v_add_f64 v[26:27], v[10:11], v[26:27]
	ds_load_b128 v[8:11], v25 offset:2048
	s_waitcnt lgkmcnt(0)
	v_mul_f64 v[50:51], v[10:11], v[44:45]
	v_mul_f64 v[44:45], v[8:9], v[44:45]
	s_delay_alu instid0(VALU_DEP_2) | instskip(NEXT) | instid1(VALU_DEP_2)
	v_fma_f64 v[50:51], v[8:9], v[42:43], -v[50:51]
	v_fma_f64 v[42:43], v[10:11], v[42:43], v[44:45]
	s_delay_alu instid0(VALU_DEP_2) | instskip(SKIP_1) | instid1(VALU_DEP_3)
	v_add_f64 v[44:45], v[12:13], v[50:51]
	v_mul_f64 v[12:13], v[10:11], v[18:19]
	v_add_f64 v[42:43], v[14:15], v[42:43]
	s_delay_alu instid0(VALU_DEP_2) | instskip(SKIP_1) | instid1(VALU_DEP_1)
	v_fma_f64 v[12:13], v[8:9], v[16:17], -v[12:13]
	v_mul_f64 v[8:9], v[8:9], v[18:19]
	v_fma_f64 v[8:9], v[10:11], v[16:17], v[8:9]
	s_delay_alu instid0(VALU_DEP_3) | instskip(NEXT) | instid1(VALU_DEP_2)
	v_add_f64 v[16:17], v[6:7], v[12:13]
	v_add_f64 v[18:19], v[4:5], v[8:9]
	ds_load_b128 v[4:7], v22 offset:512
	s_waitcnt lgkmcnt(0)
	v_mul_f64 v[8:9], v[32:33], v[6:7]
	v_mul_f64 v[10:11], v[30:31], v[6:7]
	s_delay_alu instid0(VALU_DEP_2) | instskip(NEXT) | instid1(VALU_DEP_2)
	v_fma_f64 v[8:9], v[30:31], v[4:5], -v[8:9]
	v_fma_f64 v[10:11], v[32:33], v[4:5], v[10:11]
	s_delay_alu instid0(VALU_DEP_2) | instskip(NEXT) | instid1(VALU_DEP_2)
	v_add_f64 v[46:47], v[46:47], v[8:9]
	v_add_f64 v[48:49], v[48:49], v[10:11]
	ds_load_b128 v[8:11], v22 offset:768
	s_waitcnt lgkmcnt(0)
	v_mul_f64 v[12:13], v[32:33], v[10:11]
	v_mul_f64 v[14:15], v[30:31], v[10:11]
	s_delay_alu instid0(VALU_DEP_2) | instskip(NEXT) | instid1(VALU_DEP_2)
	v_fma_f64 v[12:13], v[30:31], v[8:9], -v[12:13]
	v_fma_f64 v[14:15], v[32:33], v[8:9], v[14:15]
	s_delay_alu instid0(VALU_DEP_2) | instskip(NEXT) | instid1(VALU_DEP_2)
	v_add_f64 v[28:29], v[28:29], v[12:13]
	v_add_f64 v[26:27], v[26:27], v[14:15]
	ds_load_b128 v[12:15], v25 offset:2064
	s_waitcnt lgkmcnt(0)
	v_mul_f64 v[30:31], v[14:15], v[6:7]
	v_mul_f64 v[6:7], v[12:13], v[6:7]
	s_delay_alu instid0(VALU_DEP_2) | instskip(NEXT) | instid1(VALU_DEP_2)
	v_fma_f64 v[30:31], v[12:13], v[4:5], -v[30:31]
	v_fma_f64 v[4:5], v[14:15], v[4:5], v[6:7]
	v_mul_f64 v[6:7], v[12:13], v[10:11]
	s_delay_alu instid0(VALU_DEP_3) | instskip(NEXT) | instid1(VALU_DEP_3)
	v_add_f64 v[30:31], v[44:45], v[30:31]
	v_add_f64 v[32:33], v[42:43], v[4:5]
	v_mul_f64 v[4:5], v[14:15], v[10:11]
	s_delay_alu instid0(VALU_DEP_4) | instskip(NEXT) | instid1(VALU_DEP_2)
	v_fma_f64 v[6:7], v[14:15], v[8:9], v[6:7]
	v_fma_f64 v[4:5], v[12:13], v[8:9], -v[4:5]
	s_delay_alu instid0(VALU_DEP_2) | instskip(NEXT) | instid1(VALU_DEP_2)
	v_add_f64 v[18:19], v[18:19], v[6:7]
	v_add_f64 v[16:17], v[16:17], v[4:5]
	ds_load_b128 v[4:7], v22 offset:1024
	s_waitcnt lgkmcnt(0)
	v_mul_f64 v[8:9], v[36:37], v[6:7]
	v_mul_f64 v[10:11], v[34:35], v[6:7]
	s_delay_alu instid0(VALU_DEP_2) | instskip(NEXT) | instid1(VALU_DEP_2)
	v_fma_f64 v[8:9], v[34:35], v[4:5], -v[8:9]
	v_fma_f64 v[10:11], v[36:37], v[4:5], v[10:11]
	s_delay_alu instid0(VALU_DEP_2) | instskip(NEXT) | instid1(VALU_DEP_2)
	v_add_f64 v[42:43], v[46:47], v[8:9]
	v_add_f64 v[44:45], v[48:49], v[10:11]
	ds_load_b128 v[8:11], v22 offset:1280
	s_waitcnt lgkmcnt(0)
	v_mul_f64 v[12:13], v[36:37], v[10:11]
	v_mul_f64 v[14:15], v[34:35], v[10:11]
	s_delay_alu instid0(VALU_DEP_2) | instskip(NEXT) | instid1(VALU_DEP_2)
	v_fma_f64 v[12:13], v[34:35], v[8:9], -v[12:13]
	v_fma_f64 v[14:15], v[36:37], v[8:9], v[14:15]
	s_delay_alu instid0(VALU_DEP_2) | instskip(NEXT) | instid1(VALU_DEP_2)
	v_add_f64 v[28:29], v[28:29], v[12:13]
	v_add_f64 v[26:27], v[26:27], v[14:15]
	ds_load_b128 v[12:15], v25 offset:2080
	s_waitcnt lgkmcnt(0)
	v_mul_f64 v[34:35], v[14:15], v[6:7]
	v_mul_f64 v[6:7], v[12:13], v[6:7]
	s_delay_alu instid0(VALU_DEP_2) | instskip(NEXT) | instid1(VALU_DEP_2)
	v_fma_f64 v[34:35], v[12:13], v[4:5], -v[34:35]
	v_fma_f64 v[4:5], v[14:15], v[4:5], v[6:7]
	v_mul_f64 v[6:7], v[12:13], v[10:11]
	s_delay_alu instid0(VALU_DEP_3) | instskip(NEXT) | instid1(VALU_DEP_3)
	v_add_f64 v[30:31], v[30:31], v[34:35]
	v_add_f64 v[32:33], v[32:33], v[4:5]
	v_mul_f64 v[4:5], v[14:15], v[10:11]
	s_delay_alu instid0(VALU_DEP_4) | instskip(NEXT) | instid1(VALU_DEP_2)
	v_fma_f64 v[6:7], v[14:15], v[8:9], v[6:7]
	v_fma_f64 v[4:5], v[12:13], v[8:9], -v[4:5]
	s_delay_alu instid0(VALU_DEP_2) | instskip(NEXT) | instid1(VALU_DEP_2)
	;; [unrolled: 38-line block ×3, first 2 shown]
	v_add_f64 v[18:19], v[18:19], v[6:7]
	v_add_f64 v[16:17], v[16:17], v[4:5]
	ds_load_b128 v[4:7], v25 offset:64
	ds_load_b128 v[8:11], v22 offset:2048
	s_waitcnt lgkmcnt(0)
	v_mul_f64 v[12:13], v[6:7], v[10:11]
	v_mul_f64 v[14:15], v[4:5], v[10:11]
	s_delay_alu instid0(VALU_DEP_2) | instskip(NEXT) | instid1(VALU_DEP_2)
	v_fma_f64 v[12:13], v[4:5], v[8:9], -v[12:13]
	v_fma_f64 v[14:15], v[6:7], v[8:9], v[14:15]
	s_delay_alu instid0(VALU_DEP_2) | instskip(NEXT) | instid1(VALU_DEP_2)
	v_add_f64 v[34:35], v[34:35], v[12:13]
	v_add_f64 v[36:37], v[36:37], v[14:15]
	ds_load_b128 v[12:15], v22 offset:2304
	s_waitcnt lgkmcnt(0)
	v_mul_f64 v[38:39], v[6:7], v[14:15]
	s_delay_alu instid0(VALU_DEP_1) | instskip(SKIP_1) | instid1(VALU_DEP_2)
	v_fma_f64 v[38:39], v[4:5], v[12:13], -v[38:39]
	v_mul_f64 v[4:5], v[4:5], v[14:15]
	v_add_f64 v[28:29], v[28:29], v[38:39]
	s_delay_alu instid0(VALU_DEP_2) | instskip(NEXT) | instid1(VALU_DEP_1)
	v_fma_f64 v[4:5], v[6:7], v[12:13], v[4:5]
	v_add_f64 v[26:27], v[26:27], v[4:5]
	ds_load_b128 v[4:7], v25 offset:2112
	s_waitcnt lgkmcnt(0)
	v_mul_f64 v[38:39], v[6:7], v[10:11]
	v_mul_f64 v[10:11], v[4:5], v[10:11]
	s_delay_alu instid0(VALU_DEP_2) | instskip(NEXT) | instid1(VALU_DEP_2)
	v_fma_f64 v[38:39], v[4:5], v[8:9], -v[38:39]
	v_fma_f64 v[8:9], v[6:7], v[8:9], v[10:11]
	s_delay_alu instid0(VALU_DEP_2) | instskip(NEXT) | instid1(VALU_DEP_2)
	v_add_f64 v[30:31], v[30:31], v[38:39]
	v_add_f64 v[32:33], v[32:33], v[8:9]
	v_mul_f64 v[8:9], v[6:7], v[14:15]
	s_delay_alu instid0(VALU_DEP_1) | instskip(SKIP_1) | instid1(VALU_DEP_2)
	v_fma_f64 v[8:9], v[4:5], v[12:13], -v[8:9]
	v_mul_f64 v[4:5], v[4:5], v[14:15]
	v_add_f64 v[16:17], v[16:17], v[8:9]
	s_delay_alu instid0(VALU_DEP_2) | instskip(NEXT) | instid1(VALU_DEP_1)
	v_fma_f64 v[4:5], v[6:7], v[12:13], v[4:5]
	v_add_f64 v[18:19], v[18:19], v[4:5]
	ds_load_b128 v[4:7], v25 offset:80
	ds_load_b128 v[8:11], v22 offset:2560
	s_waitcnt lgkmcnt(0)
	v_mul_f64 v[12:13], v[6:7], v[10:11]
	v_mul_f64 v[14:15], v[4:5], v[10:11]
	s_delay_alu instid0(VALU_DEP_2) | instskip(NEXT) | instid1(VALU_DEP_2)
	v_fma_f64 v[12:13], v[4:5], v[8:9], -v[12:13]
	v_fma_f64 v[14:15], v[6:7], v[8:9], v[14:15]
	s_delay_alu instid0(VALU_DEP_2) | instskip(NEXT) | instid1(VALU_DEP_2)
	v_add_f64 v[34:35], v[34:35], v[12:13]
	v_add_f64 v[36:37], v[36:37], v[14:15]
	ds_load_b128 v[12:15], v22 offset:2816
	s_waitcnt lgkmcnt(0)
	v_mul_f64 v[38:39], v[6:7], v[14:15]
	s_delay_alu instid0(VALU_DEP_1) | instskip(SKIP_1) | instid1(VALU_DEP_2)
	v_fma_f64 v[38:39], v[4:5], v[12:13], -v[38:39]
	v_mul_f64 v[4:5], v[4:5], v[14:15]
	v_add_f64 v[28:29], v[28:29], v[38:39]
	s_delay_alu instid0(VALU_DEP_2) | instskip(NEXT) | instid1(VALU_DEP_1)
	v_fma_f64 v[4:5], v[6:7], v[12:13], v[4:5]
	v_add_f64 v[26:27], v[26:27], v[4:5]
	ds_load_b128 v[4:7], v25 offset:2128
	s_waitcnt lgkmcnt(0)
	v_mul_f64 v[38:39], v[6:7], v[10:11]
	v_mul_f64 v[10:11], v[4:5], v[10:11]
	s_delay_alu instid0(VALU_DEP_2) | instskip(NEXT) | instid1(VALU_DEP_2)
	v_fma_f64 v[38:39], v[4:5], v[8:9], -v[38:39]
	v_fma_f64 v[8:9], v[6:7], v[8:9], v[10:11]
	s_delay_alu instid0(VALU_DEP_2) | instskip(NEXT) | instid1(VALU_DEP_2)
	v_add_f64 v[30:31], v[30:31], v[38:39]
	v_add_f64 v[32:33], v[32:33], v[8:9]
	v_mul_f64 v[8:9], v[6:7], v[14:15]
	s_delay_alu instid0(VALU_DEP_1) | instskip(SKIP_1) | instid1(VALU_DEP_2)
	v_fma_f64 v[8:9], v[4:5], v[12:13], -v[8:9]
	v_mul_f64 v[4:5], v[4:5], v[14:15]
	v_add_f64 v[16:17], v[16:17], v[8:9]
	s_delay_alu instid0(VALU_DEP_2) | instskip(NEXT) | instid1(VALU_DEP_1)
	v_fma_f64 v[4:5], v[6:7], v[12:13], v[4:5]
	;; [unrolled: 39-line block ×3, first 2 shown]
	v_add_f64 v[44:45], v[18:19], v[4:5]
	ds_load_b128 v[4:7], v25 offset:112
	ds_load_b128 v[12:15], v22 offset:3584
	;; [unrolled: 1-line block ×3, first 2 shown]
	s_waitcnt lgkmcnt(1)
	v_mul_f64 v[8:9], v[6:7], v[14:15]
	v_mul_f64 v[10:11], v[4:5], v[14:15]
	s_delay_alu instid0(VALU_DEP_2) | instskip(NEXT) | instid1(VALU_DEP_2)
	v_fma_f64 v[8:9], v[4:5], v[12:13], -v[8:9]
	v_fma_f64 v[10:11], v[6:7], v[12:13], v[10:11]
	s_delay_alu instid0(VALU_DEP_2) | instskip(SKIP_2) | instid1(VALU_DEP_3)
	v_add_f64 v[16:17], v[34:35], v[8:9]
	s_waitcnt lgkmcnt(0)
	v_mul_f64 v[8:9], v[6:7], v[28:29]
	v_add_f64 v[18:19], v[36:37], v[10:11]
	s_delay_alu instid0(VALU_DEP_2) | instskip(SKIP_1) | instid1(VALU_DEP_2)
	v_fma_f64 v[8:9], v[4:5], v[26:27], -v[8:9]
	v_mul_f64 v[4:5], v[4:5], v[28:29]
	v_add_f64 v[8:9], v[38:39], v[8:9]
	s_delay_alu instid0(VALU_DEP_2) | instskip(NEXT) | instid1(VALU_DEP_1)
	v_fma_f64 v[4:5], v[6:7], v[26:27], v[4:5]
	v_add_f64 v[10:11], v[40:41], v[4:5]
	ds_load_b128 v[4:7], v25 offset:2160
	s_waitcnt lgkmcnt(0)
	s_barrier
	buffer_gl0_inv
	v_mul_f64 v[34:35], v[6:7], v[14:15]
	v_mul_f64 v[14:15], v[4:5], v[14:15]
	s_delay_alu instid0(VALU_DEP_2) | instskip(NEXT) | instid1(VALU_DEP_2)
	v_fma_f64 v[34:35], v[4:5], v[12:13], -v[34:35]
	v_fma_f64 v[14:15], v[6:7], v[12:13], v[14:15]
	s_delay_alu instid0(VALU_DEP_2) | instskip(SKIP_1) | instid1(VALU_DEP_3)
	v_add_f64 v[12:13], v[30:31], v[34:35]
	v_mul_f64 v[30:31], v[6:7], v[28:29]
	v_add_f64 v[14:15], v[32:33], v[14:15]
	s_delay_alu instid0(VALU_DEP_2) | instskip(SKIP_1) | instid1(VALU_DEP_1)
	v_fma_f64 v[30:31], v[4:5], v[26:27], -v[30:31]
	v_mul_f64 v[4:5], v[4:5], v[28:29]
	v_fma_f64 v[4:5], v[6:7], v[26:27], v[4:5]
	s_delay_alu instid0(VALU_DEP_3) | instskip(NEXT) | instid1(VALU_DEP_2)
	v_add_f64 v[6:7], v[42:43], v[30:31]
	v_add_f64 v[4:5], v[44:45], v[4:5]
	s_cbranch_vccz .LBB1344_2
.LBB1344_3:
	v_add_nc_u32_e32 v21, s13, v21
	s_load_b32 s2, s[0:1], 0x0
	s_mul_i32 s1, s15, s39
	s_mul_hi_u32 s3, s15, s38
	s_mul_i32 s0, s15, s38
	v_ashrrev_i32_e32 v0, 31, v21
	v_mul_lo_u32 v3, v21, s37
	v_mad_u64_u32 v[1:2], null, v21, s36, 0
	s_add_i32 s1, s3, s1
	s_delay_alu instid0(VALU_DEP_3) | instskip(SKIP_1) | instid1(SALU_CYCLE_1)
	v_mul_lo_u32 v0, v0, s36
	s_lshl_b64 s[4:5], s[0:1], 4
	s_add_u32 s3, s10, s4
	s_addc_u32 s4, s11, s5
	s_delay_alu instid0(VALU_DEP_1) | instskip(SKIP_3) | instid1(VALU_DEP_3)
	v_add3_u32 v2, v2, v3, v0
	v_add_nc_u32_e32 v0, s12, v20
	s_waitcnt lgkmcnt(0)
	v_cmp_gt_i32_e32 vcc_lo, s2, v21
	v_lshlrev_b64 v[1:2], 4, v[1:2]
	s_delay_alu instid0(VALU_DEP_3) | instskip(NEXT) | instid1(VALU_DEP_1)
	v_cmp_le_i32_e64 s0, v0, v21
	s_and_b32 s0, vcc_lo, s0
	s_delay_alu instid0(VALU_DEP_2) | instskip(NEXT) | instid1(VALU_DEP_1)
	v_add_co_u32 v20, s1, s3, v1
	v_add_co_ci_u32_e64 v22, s1, s4, v2, s1
	s_and_saveexec_b32 s1, s0
	s_cbranch_execz .LBB1344_5
; %bb.4:
	v_ashrrev_i32_e32 v1, 31, v0
	v_mul_f64 v[27:28], s[18:19], v[18:19]
	v_mul_f64 v[18:19], s[20:21], v[18:19]
	s_delay_alu instid0(VALU_DEP_3) | instskip(NEXT) | instid1(VALU_DEP_1)
	v_lshlrev_b64 v[1:2], 4, v[0:1]
	v_add_co_u32 v1, s0, v20, v1
	s_delay_alu instid0(VALU_DEP_1)
	v_add_co_ci_u32_e64 v2, s0, v22, v2, s0
	v_cmp_ne_u32_e64 s0, v21, v0
	global_load_b128 v[23:26], v[1:2], off
	v_fma_f64 v[27:28], s[20:21], v[16:17], v[27:28]
	v_fma_f64 v[16:17], s[18:19], v[16:17], -v[18:19]
	s_waitcnt vmcnt(0)
	v_mul_f64 v[29:30], s[6:7], v[25:26]
	v_mul_f64 v[25:26], s[8:9], v[25:26]
	s_delay_alu instid0(VALU_DEP_2) | instskip(NEXT) | instid1(VALU_DEP_2)
	v_fma_f64 v[29:30], s[8:9], v[23:24], v[29:30]
	v_fma_f64 v[18:19], s[6:7], v[23:24], -v[25:26]
	s_delay_alu instid0(VALU_DEP_2) | instskip(NEXT) | instid1(VALU_DEP_2)
	v_add_f64 v[23:24], v[27:28], v[29:30]
	v_add_f64 v[16:17], v[16:17], v[18:19]
	s_delay_alu instid0(VALU_DEP_2) | instskip(NEXT) | instid1(VALU_DEP_3)
	v_cndmask_b32_e64 v19, 0, v24, s0
	v_cndmask_b32_e64 v18, 0, v23, s0
	global_store_b128 v[1:2], v[16:19], off
.LBB1344_5:
	s_or_b32 exec_lo, exec_lo, s1
	v_add_nc_u32_e32 v2, 16, v0
	s_delay_alu instid0(VALU_DEP_1) | instskip(NEXT) | instid1(VALU_DEP_1)
	v_cmp_le_i32_e64 s0, v2, v21
	s_and_b32 s1, vcc_lo, s0
	s_delay_alu instid0(SALU_CYCLE_1)
	s_and_saveexec_b32 s0, s1
	s_cbranch_execz .LBB1344_7
; %bb.6:
	v_ashrrev_i32_e32 v3, 31, v2
	v_mul_f64 v[25:26], s[18:19], v[10:11]
	v_mul_f64 v[10:11], s[20:21], v[10:11]
	s_delay_alu instid0(VALU_DEP_3) | instskip(NEXT) | instid1(VALU_DEP_1)
	v_lshlrev_b64 v[16:17], 4, v[2:3]
	v_add_co_u32 v23, vcc_lo, v20, v16
	s_delay_alu instid0(VALU_DEP_2)
	v_add_co_ci_u32_e32 v24, vcc_lo, v22, v17, vcc_lo
	v_cmp_ne_u32_e32 vcc_lo, v21, v2
	global_load_b128 v[16:19], v[23:24], off
	v_fma_f64 v[25:26], s[20:21], v[8:9], v[25:26]
	v_fma_f64 v[8:9], s[18:19], v[8:9], -v[10:11]
	s_waitcnt vmcnt(0)
	v_mul_f64 v[27:28], s[6:7], v[18:19]
	v_mul_f64 v[18:19], s[8:9], v[18:19]
	s_delay_alu instid0(VALU_DEP_2) | instskip(NEXT) | instid1(VALU_DEP_2)
	v_fma_f64 v[27:28], s[8:9], v[16:17], v[27:28]
	v_fma_f64 v[10:11], s[6:7], v[16:17], -v[18:19]
	s_delay_alu instid0(VALU_DEP_2) | instskip(NEXT) | instid1(VALU_DEP_2)
	v_add_f64 v[16:17], v[25:26], v[27:28]
	v_add_f64 v[8:9], v[8:9], v[10:11]
	s_delay_alu instid0(VALU_DEP_2)
	v_dual_cndmask_b32 v11, 0, v17 :: v_dual_cndmask_b32 v10, 0, v16
	global_store_b128 v[23:24], v[8:11], off
.LBB1344_7:
	s_or_b32 exec_lo, exec_lo, s0
	v_add_nc_u32_e32 v3, 16, v21
	s_delay_alu instid0(VALU_DEP_1) | instskip(SKIP_3) | instid1(VALU_DEP_4)
	v_ashrrev_i32_e32 v1, 31, v3
	v_mul_lo_u32 v10, v3, s37
	v_mad_u64_u32 v[8:9], null, v3, s36, 0
	v_cmp_gt_i32_e32 vcc_lo, s2, v3
	v_mul_lo_u32 v1, v1, s36
	v_cmp_le_i32_e64 s0, v0, v3
	s_delay_alu instid0(VALU_DEP_1) | instskip(NEXT) | instid1(VALU_DEP_2)
	s_and_b32 s0, vcc_lo, s0
	v_add3_u32 v9, v9, v10, v1
	s_delay_alu instid0(VALU_DEP_1) | instskip(NEXT) | instid1(VALU_DEP_1)
	v_lshlrev_b64 v[8:9], 4, v[8:9]
	v_add_co_u32 v8, s1, s3, v8
	s_delay_alu instid0(VALU_DEP_1)
	v_add_co_ci_u32_e64 v9, s1, s4, v9, s1
	s_and_saveexec_b32 s1, s0
	s_cbranch_execz .LBB1344_9
; %bb.8:
	v_ashrrev_i32_e32 v1, 31, v0
	s_delay_alu instid0(VALU_DEP_1) | instskip(NEXT) | instid1(VALU_DEP_1)
	v_lshlrev_b64 v[10:11], 4, v[0:1]
	v_add_co_u32 v22, s0, v8, v10
	s_delay_alu instid0(VALU_DEP_1)
	v_add_co_ci_u32_e64 v23, s0, v9, v11, s0
	v_mul_f64 v[10:11], s[18:19], v[14:15]
	v_mul_f64 v[14:15], s[20:21], v[14:15]
	v_cmp_ne_u32_e64 s0, v3, v0
	global_load_b128 v[16:19], v[22:23], off
	v_fma_f64 v[10:11], s[20:21], v[12:13], v[10:11]
	v_fma_f64 v[12:13], s[18:19], v[12:13], -v[14:15]
	s_waitcnt vmcnt(0)
	v_mul_f64 v[24:25], s[6:7], v[18:19]
	v_mul_f64 v[18:19], s[8:9], v[18:19]
	s_delay_alu instid0(VALU_DEP_2) | instskip(NEXT) | instid1(VALU_DEP_2)
	v_fma_f64 v[24:25], s[8:9], v[16:17], v[24:25]
	v_fma_f64 v[14:15], s[6:7], v[16:17], -v[18:19]
	s_delay_alu instid0(VALU_DEP_2) | instskip(NEXT) | instid1(VALU_DEP_2)
	v_add_f64 v[16:17], v[10:11], v[24:25]
	v_add_f64 v[10:11], v[12:13], v[14:15]
	s_delay_alu instid0(VALU_DEP_2) | instskip(NEXT) | instid1(VALU_DEP_3)
	v_cndmask_b32_e64 v13, 0, v17, s0
	v_cndmask_b32_e64 v12, 0, v16, s0
	global_store_b128 v[22:23], v[10:13], off
.LBB1344_9:
	s_or_b32 exec_lo, exec_lo, s1
	v_cmp_le_i32_e64 s0, v2, v3
	s_delay_alu instid0(VALU_DEP_1) | instskip(NEXT) | instid1(SALU_CYCLE_1)
	s_and_b32 s0, vcc_lo, s0
	s_and_saveexec_b32 s1, s0
	s_cbranch_execz .LBB1344_11
; %bb.10:
	v_ashrrev_i32_e32 v3, 31, v2
	s_delay_alu instid0(VALU_DEP_1) | instskip(NEXT) | instid1(VALU_DEP_1)
	v_lshlrev_b64 v[1:2], 4, v[2:3]
	v_add_co_u32 v12, vcc_lo, v8, v1
	s_delay_alu instid0(VALU_DEP_2)
	v_add_co_ci_u32_e32 v13, vcc_lo, v9, v2, vcc_lo
	v_mul_f64 v[1:2], s[18:19], v[4:5]
	v_mul_f64 v[3:4], s[20:21], v[4:5]
	v_cmp_ne_u32_e32 vcc_lo, v21, v0
	global_load_b128 v[8:11], v[12:13], off
	v_fma_f64 v[1:2], s[20:21], v[6:7], v[1:2]
	v_fma_f64 v[3:4], s[18:19], v[6:7], -v[3:4]
	s_waitcnt vmcnt(0)
	v_mul_f64 v[14:15], s[6:7], v[10:11]
	v_mul_f64 v[10:11], s[8:9], v[10:11]
	s_delay_alu instid0(VALU_DEP_2) | instskip(NEXT) | instid1(VALU_DEP_2)
	v_fma_f64 v[14:15], s[8:9], v[8:9], v[14:15]
	v_fma_f64 v[5:6], s[6:7], v[8:9], -v[10:11]
	s_delay_alu instid0(VALU_DEP_2) | instskip(NEXT) | instid1(VALU_DEP_2)
	v_add_f64 v[7:8], v[1:2], v[14:15]
	v_add_f64 v[1:2], v[3:4], v[5:6]
	s_delay_alu instid0(VALU_DEP_2)
	v_dual_cndmask_b32 v4, 0, v8 :: v_dual_cndmask_b32 v3, 0, v7
	global_store_b128 v[12:13], v[1:4], off
.LBB1344_11:
	s_nop 0
	s_sendmsg sendmsg(MSG_DEALLOC_VGPRS)
	s_endpgm
	.section	.rodata,"a",@progbits
	.p2align	6, 0x0
	.amdhsa_kernel _ZL37rocblas_syrkx_herkx_restricted_kernelIl19rocblas_complex_numIdELi16ELi32ELi8ELb0ELb1ELc84ELc85EKS1_S1_EviT_T0_PT8_S3_lS6_S3_lS4_PT9_S3_li
		.amdhsa_group_segment_fixed_size 8192
		.amdhsa_private_segment_fixed_size 0
		.amdhsa_kernarg_size 124
		.amdhsa_user_sgpr_count 13
		.amdhsa_user_sgpr_dispatch_ptr 0
		.amdhsa_user_sgpr_queue_ptr 0
		.amdhsa_user_sgpr_kernarg_segment_ptr 1
		.amdhsa_user_sgpr_dispatch_id 0
		.amdhsa_user_sgpr_private_segment_size 0
		.amdhsa_wavefront_size32 1
		.amdhsa_uses_dynamic_stack 0
		.amdhsa_enable_private_segment 0
		.amdhsa_system_sgpr_workgroup_id_x 1
		.amdhsa_system_sgpr_workgroup_id_y 1
		.amdhsa_system_sgpr_workgroup_id_z 1
		.amdhsa_system_sgpr_workgroup_info 0
		.amdhsa_system_vgpr_workitem_id 1
		.amdhsa_next_free_vgpr 52
		.amdhsa_next_free_sgpr 40
		.amdhsa_reserve_vcc 1
		.amdhsa_float_round_mode_32 0
		.amdhsa_float_round_mode_16_64 0
		.amdhsa_float_denorm_mode_32 3
		.amdhsa_float_denorm_mode_16_64 3
		.amdhsa_dx10_clamp 1
		.amdhsa_ieee_mode 1
		.amdhsa_fp16_overflow 0
		.amdhsa_workgroup_processor_mode 1
		.amdhsa_memory_ordered 1
		.amdhsa_forward_progress 0
		.amdhsa_shared_vgpr_count 0
		.amdhsa_exception_fp_ieee_invalid_op 0
		.amdhsa_exception_fp_denorm_src 0
		.amdhsa_exception_fp_ieee_div_zero 0
		.amdhsa_exception_fp_ieee_overflow 0
		.amdhsa_exception_fp_ieee_underflow 0
		.amdhsa_exception_fp_ieee_inexact 0
		.amdhsa_exception_int_div_zero 0
	.end_amdhsa_kernel
	.section	.text._ZL37rocblas_syrkx_herkx_restricted_kernelIl19rocblas_complex_numIdELi16ELi32ELi8ELb0ELb1ELc84ELc85EKS1_S1_EviT_T0_PT8_S3_lS6_S3_lS4_PT9_S3_li,"axG",@progbits,_ZL37rocblas_syrkx_herkx_restricted_kernelIl19rocblas_complex_numIdELi16ELi32ELi8ELb0ELb1ELc84ELc85EKS1_S1_EviT_T0_PT8_S3_lS6_S3_lS4_PT9_S3_li,comdat
.Lfunc_end1344:
	.size	_ZL37rocblas_syrkx_herkx_restricted_kernelIl19rocblas_complex_numIdELi16ELi32ELi8ELb0ELb1ELc84ELc85EKS1_S1_EviT_T0_PT8_S3_lS6_S3_lS4_PT9_S3_li, .Lfunc_end1344-_ZL37rocblas_syrkx_herkx_restricted_kernelIl19rocblas_complex_numIdELi16ELi32ELi8ELb0ELb1ELc84ELc85EKS1_S1_EviT_T0_PT8_S3_lS6_S3_lS4_PT9_S3_li
                                        ; -- End function
	.section	.AMDGPU.csdata,"",@progbits
; Kernel info:
; codeLenInByte = 3760
; NumSgprs: 42
; NumVgprs: 52
; ScratchSize: 0
; MemoryBound: 0
; FloatMode: 240
; IeeeMode: 1
; LDSByteSize: 8192 bytes/workgroup (compile time only)
; SGPRBlocks: 5
; VGPRBlocks: 6
; NumSGPRsForWavesPerEU: 42
; NumVGPRsForWavesPerEU: 52
; Occupancy: 16
; WaveLimiterHint : 0
; COMPUTE_PGM_RSRC2:SCRATCH_EN: 0
; COMPUTE_PGM_RSRC2:USER_SGPR: 13
; COMPUTE_PGM_RSRC2:TRAP_HANDLER: 0
; COMPUTE_PGM_RSRC2:TGID_X_EN: 1
; COMPUTE_PGM_RSRC2:TGID_Y_EN: 1
; COMPUTE_PGM_RSRC2:TGID_Z_EN: 1
; COMPUTE_PGM_RSRC2:TIDIG_COMP_CNT: 1
	.section	.text._ZL37rocblas_syrkx_herkx_restricted_kernelIl19rocblas_complex_numIdELi16ELi32ELi8ELb0ELb1ELc67ELc85EKS1_S1_EviT_T0_PT8_S3_lS6_S3_lS4_PT9_S3_li,"axG",@progbits,_ZL37rocblas_syrkx_herkx_restricted_kernelIl19rocblas_complex_numIdELi16ELi32ELi8ELb0ELb1ELc67ELc85EKS1_S1_EviT_T0_PT8_S3_lS6_S3_lS4_PT9_S3_li,comdat
	.globl	_ZL37rocblas_syrkx_herkx_restricted_kernelIl19rocblas_complex_numIdELi16ELi32ELi8ELb0ELb1ELc67ELc85EKS1_S1_EviT_T0_PT8_S3_lS6_S3_lS4_PT9_S3_li ; -- Begin function _ZL37rocblas_syrkx_herkx_restricted_kernelIl19rocblas_complex_numIdELi16ELi32ELi8ELb0ELb1ELc67ELc85EKS1_S1_EviT_T0_PT8_S3_lS6_S3_lS4_PT9_S3_li
	.p2align	8
	.type	_ZL37rocblas_syrkx_herkx_restricted_kernelIl19rocblas_complex_numIdELi16ELi32ELi8ELb0ELb1ELc67ELc85EKS1_S1_EviT_T0_PT8_S3_lS6_S3_lS4_PT9_S3_li,@function
_ZL37rocblas_syrkx_herkx_restricted_kernelIl19rocblas_complex_numIdELi16ELi32ELi8ELb0ELb1ELc67ELc85EKS1_S1_EviT_T0_PT8_S3_lS6_S3_lS4_PT9_S3_li: ; @_ZL37rocblas_syrkx_herkx_restricted_kernelIl19rocblas_complex_numIdELi16ELi32ELi8ELb0ELb1ELc67ELc85EKS1_S1_EviT_T0_PT8_S3_lS6_S3_lS4_PT9_S3_li
; %bb.0:
	s_clause 0x2
	s_load_b512 s[16:31], s[0:1], 0x8
	s_load_b128 s[36:39], s[0:1], 0x68
	s_load_b256 s[4:11], s[0:1], 0x48
	v_mov_b32_e32 v16, 0
	v_dual_mov_b32 v17, 0 :: v_dual_and_b32 v20, 0x3ff, v0
	v_bfe_u32 v21, v0, 10, 10
	s_delay_alu instid0(VALU_DEP_3) | instskip(NEXT) | instid1(VALU_DEP_3)
	v_mov_b32_e32 v8, v16
	v_dual_mov_b32 v10, v16 :: v_dual_mov_b32 v11, v17
	v_dual_mov_b32 v19, v17 :: v_dual_mov_b32 v18, v16
	;; [unrolled: 1-line block ×6, first 2 shown]
	v_mov_b32_e32 v5, v17
	s_waitcnt lgkmcnt(0)
	v_cmp_lt_i64_e64 s2, s[16:17], 1
	s_lshl_b32 s12, s13, 5
	s_lshl_b32 s13, s14, 5
	s_delay_alu instid0(VALU_DEP_1)
	s_and_b32 vcc_lo, exec_lo, s2
	s_cbranch_vccnz .LBB1345_3
; %bb.1:
	v_lshl_add_u32 v2, v21, 4, v20
	v_dual_mov_b32 v1, 0 :: v_dual_and_b32 v0, 7, v20
	v_lshlrev_b32_e32 v22, 4, v20
	s_mul_i32 s3, s27, s15
	s_delay_alu instid0(VALU_DEP_3)
	v_and_b32_e32 v8, 31, v2
	v_lshrrev_b32_e32 v9, 3, v2
	v_lshrrev_b32_e32 v2, 5, v2
	v_mov_b32_e32 v3, v1
	v_lshlrev_b32_e32 v11, 4, v0
	v_add_nc_u32_e32 v6, s12, v8
	v_add_nc_u32_e32 v10, s13, v9
	s_mul_hi_u32 s14, s26, s15
	s_mul_i32 s2, s26, s15
	s_add_i32 s3, s14, s3
	v_ashrrev_i32_e32 v7, 31, v6
	v_ashrrev_i32_e32 v12, 31, v10
	v_mad_u64_u32 v[4:5], null, s24, v6, v[2:3]
	v_mul_lo_u32 v3, s25, v6
	s_delay_alu instid0(VALU_DEP_4)
	v_mul_lo_u32 v13, s24, v7
	v_mul_lo_u32 v14, v10, s31
	v_mad_u64_u32 v[6:7], null, v10, s30, v[0:1]
	v_mul_lo_u32 v0, v12, s30
	v_lshlrev_b32_e32 v1, 4, v8
	s_lshl_b64 s[2:3], s[2:3], 4
	v_lshl_add_u32 v25, v21, 7, 0x1000
	v_add3_u32 v5, v3, v5, v13
	s_add_u32 s14, s22, s2
	v_lshl_or_b32 v23, v2, 9, v1
	s_mul_i32 s2, s5, s15
	v_add3_u32 v7, v0, v7, v14
	v_lshlrev_b64 v[0:1], 4, v[4:5]
	s_mul_hi_u32 s5, s4, s15
	s_addc_u32 s22, s23, s3
	s_add_i32 s3, s5, s2
	s_mul_i32 s2, s4, s15
	v_lshlrev_b64 v[2:3], 4, v[6:7]
	s_lshl_b64 s[2:3], s[2:3], 4
	v_add_co_u32 v0, vcc_lo, s14, v0
	s_add_u32 s2, s28, s2
	v_add_co_ci_u32_e32 v1, vcc_lo, s22, v1, vcc_lo
	v_mov_b32_e32 v4, 0
	v_lshl_or_b32 v8, v9, 7, v11
	s_addc_u32 s3, s29, s3
	v_add_co_u32 v2, vcc_lo, s2, v2
	v_mov_b32_e32 v5, 0
	v_add_co_ci_u32_e32 v3, vcc_lo, s3, v3, vcc_lo
	v_add_co_u32 v0, vcc_lo, v0, 8
	s_delay_alu instid0(VALU_DEP_3)
	v_dual_mov_b32 v13, v5 :: v_dual_add_nc_u32 v24, 0x1000, v8
	v_add_co_ci_u32_e32 v1, vcc_lo, 0, v1, vcc_lo
	v_mov_b32_e32 v15, v5
	v_add_co_u32 v2, vcc_lo, v2, 8
	v_dual_mov_b32 v14, v4 :: v_dual_mov_b32 v11, v5
	v_dual_mov_b32 v12, v4 :: v_dual_mov_b32 v9, v5
	;; [unrolled: 1-line block ×4, first 2 shown]
	v_mov_b32_e32 v17, v5
	v_add_co_ci_u32_e32 v3, vcc_lo, 0, v3, vcc_lo
	v_mov_b32_e32 v6, v4
	v_mov_b32_e32 v18, v4
	;; [unrolled: 1-line block ×3, first 2 shown]
	s_mov_b64 s[2:3], 0
.LBB1345_2:                             ; =>This Inner Loop Header: Depth=1
	global_load_b128 v[26:29], v[0:1], off offset:-8
	s_add_u32 s2, s2, 8
	s_addc_u32 s3, s3, 0
	v_add_co_u32 v0, vcc_lo, 0x80, v0
	v_add_co_ci_u32_e32 v1, vcc_lo, 0, v1, vcc_lo
	v_cmp_ge_u64_e64 s4, s[2:3], s[16:17]
	s_waitcnt vmcnt(0)
	v_xor_b32_e32 v29, 0x80000000, v29
	ds_store_b128 v23, v[26:29]
	global_load_b128 v[26:29], v[2:3], off offset:-8
	v_add_co_u32 v2, vcc_lo, 0x80, v2
	v_add_co_ci_u32_e32 v3, vcc_lo, 0, v3, vcc_lo
	s_and_b32 vcc_lo, exec_lo, s4
	s_waitcnt vmcnt(0)
	ds_store_b128 v24, v[26:29]
	s_waitcnt lgkmcnt(0)
	s_barrier
	buffer_gl0_inv
	ds_load_b128 v[26:29], v25
	ds_load_b128 v[30:33], v25 offset:16
	ds_load_b128 v[34:37], v25 offset:32
	;; [unrolled: 1-line block ×3, first 2 shown]
	ds_load_b128 v[42:45], v22
	s_waitcnt lgkmcnt(0)
	v_mul_f64 v[46:47], v[28:29], v[44:45]
	v_mul_f64 v[48:49], v[26:27], v[44:45]
	s_delay_alu instid0(VALU_DEP_2) | instskip(NEXT) | instid1(VALU_DEP_2)
	v_fma_f64 v[46:47], v[26:27], v[42:43], -v[46:47]
	v_fma_f64 v[48:49], v[28:29], v[42:43], v[48:49]
	s_delay_alu instid0(VALU_DEP_2) | instskip(NEXT) | instid1(VALU_DEP_2)
	v_add_f64 v[46:47], v[16:17], v[46:47]
	v_add_f64 v[48:49], v[18:19], v[48:49]
	ds_load_b128 v[16:19], v22 offset:256
	s_waitcnt lgkmcnt(0)
	v_mul_f64 v[50:51], v[28:29], v[18:19]
	s_delay_alu instid0(VALU_DEP_1) | instskip(SKIP_1) | instid1(VALU_DEP_1)
	v_fma_f64 v[50:51], v[26:27], v[16:17], -v[50:51]
	v_mul_f64 v[26:27], v[26:27], v[18:19]
	v_fma_f64 v[26:27], v[28:29], v[16:17], v[26:27]
	s_delay_alu instid0(VALU_DEP_3) | instskip(NEXT) | instid1(VALU_DEP_2)
	v_add_f64 v[28:29], v[8:9], v[50:51]
	v_add_f64 v[26:27], v[10:11], v[26:27]
	ds_load_b128 v[8:11], v25 offset:2048
	s_waitcnt lgkmcnt(0)
	v_mul_f64 v[50:51], v[10:11], v[44:45]
	v_mul_f64 v[44:45], v[8:9], v[44:45]
	s_delay_alu instid0(VALU_DEP_2) | instskip(NEXT) | instid1(VALU_DEP_2)
	v_fma_f64 v[50:51], v[8:9], v[42:43], -v[50:51]
	v_fma_f64 v[42:43], v[10:11], v[42:43], v[44:45]
	s_delay_alu instid0(VALU_DEP_2) | instskip(SKIP_1) | instid1(VALU_DEP_3)
	v_add_f64 v[44:45], v[12:13], v[50:51]
	v_mul_f64 v[12:13], v[10:11], v[18:19]
	v_add_f64 v[42:43], v[14:15], v[42:43]
	s_delay_alu instid0(VALU_DEP_2) | instskip(SKIP_1) | instid1(VALU_DEP_1)
	v_fma_f64 v[12:13], v[8:9], v[16:17], -v[12:13]
	v_mul_f64 v[8:9], v[8:9], v[18:19]
	v_fma_f64 v[8:9], v[10:11], v[16:17], v[8:9]
	s_delay_alu instid0(VALU_DEP_3) | instskip(NEXT) | instid1(VALU_DEP_2)
	v_add_f64 v[16:17], v[6:7], v[12:13]
	v_add_f64 v[18:19], v[4:5], v[8:9]
	ds_load_b128 v[4:7], v22 offset:512
	s_waitcnt lgkmcnt(0)
	v_mul_f64 v[8:9], v[32:33], v[6:7]
	v_mul_f64 v[10:11], v[30:31], v[6:7]
	s_delay_alu instid0(VALU_DEP_2) | instskip(NEXT) | instid1(VALU_DEP_2)
	v_fma_f64 v[8:9], v[30:31], v[4:5], -v[8:9]
	v_fma_f64 v[10:11], v[32:33], v[4:5], v[10:11]
	s_delay_alu instid0(VALU_DEP_2) | instskip(NEXT) | instid1(VALU_DEP_2)
	v_add_f64 v[46:47], v[46:47], v[8:9]
	v_add_f64 v[48:49], v[48:49], v[10:11]
	ds_load_b128 v[8:11], v22 offset:768
	s_waitcnt lgkmcnt(0)
	v_mul_f64 v[12:13], v[32:33], v[10:11]
	v_mul_f64 v[14:15], v[30:31], v[10:11]
	s_delay_alu instid0(VALU_DEP_2) | instskip(NEXT) | instid1(VALU_DEP_2)
	v_fma_f64 v[12:13], v[30:31], v[8:9], -v[12:13]
	v_fma_f64 v[14:15], v[32:33], v[8:9], v[14:15]
	s_delay_alu instid0(VALU_DEP_2) | instskip(NEXT) | instid1(VALU_DEP_2)
	v_add_f64 v[28:29], v[28:29], v[12:13]
	v_add_f64 v[26:27], v[26:27], v[14:15]
	ds_load_b128 v[12:15], v25 offset:2064
	s_waitcnt lgkmcnt(0)
	v_mul_f64 v[30:31], v[14:15], v[6:7]
	v_mul_f64 v[6:7], v[12:13], v[6:7]
	s_delay_alu instid0(VALU_DEP_2) | instskip(NEXT) | instid1(VALU_DEP_2)
	v_fma_f64 v[30:31], v[12:13], v[4:5], -v[30:31]
	v_fma_f64 v[4:5], v[14:15], v[4:5], v[6:7]
	v_mul_f64 v[6:7], v[12:13], v[10:11]
	s_delay_alu instid0(VALU_DEP_3) | instskip(NEXT) | instid1(VALU_DEP_3)
	v_add_f64 v[30:31], v[44:45], v[30:31]
	v_add_f64 v[32:33], v[42:43], v[4:5]
	v_mul_f64 v[4:5], v[14:15], v[10:11]
	s_delay_alu instid0(VALU_DEP_4) | instskip(NEXT) | instid1(VALU_DEP_2)
	v_fma_f64 v[6:7], v[14:15], v[8:9], v[6:7]
	v_fma_f64 v[4:5], v[12:13], v[8:9], -v[4:5]
	s_delay_alu instid0(VALU_DEP_2) | instskip(NEXT) | instid1(VALU_DEP_2)
	v_add_f64 v[18:19], v[18:19], v[6:7]
	v_add_f64 v[16:17], v[16:17], v[4:5]
	ds_load_b128 v[4:7], v22 offset:1024
	s_waitcnt lgkmcnt(0)
	v_mul_f64 v[8:9], v[36:37], v[6:7]
	v_mul_f64 v[10:11], v[34:35], v[6:7]
	s_delay_alu instid0(VALU_DEP_2) | instskip(NEXT) | instid1(VALU_DEP_2)
	v_fma_f64 v[8:9], v[34:35], v[4:5], -v[8:9]
	v_fma_f64 v[10:11], v[36:37], v[4:5], v[10:11]
	s_delay_alu instid0(VALU_DEP_2) | instskip(NEXT) | instid1(VALU_DEP_2)
	v_add_f64 v[42:43], v[46:47], v[8:9]
	v_add_f64 v[44:45], v[48:49], v[10:11]
	ds_load_b128 v[8:11], v22 offset:1280
	s_waitcnt lgkmcnt(0)
	v_mul_f64 v[12:13], v[36:37], v[10:11]
	v_mul_f64 v[14:15], v[34:35], v[10:11]
	s_delay_alu instid0(VALU_DEP_2) | instskip(NEXT) | instid1(VALU_DEP_2)
	v_fma_f64 v[12:13], v[34:35], v[8:9], -v[12:13]
	v_fma_f64 v[14:15], v[36:37], v[8:9], v[14:15]
	s_delay_alu instid0(VALU_DEP_2) | instskip(NEXT) | instid1(VALU_DEP_2)
	v_add_f64 v[28:29], v[28:29], v[12:13]
	v_add_f64 v[26:27], v[26:27], v[14:15]
	ds_load_b128 v[12:15], v25 offset:2080
	s_waitcnt lgkmcnt(0)
	v_mul_f64 v[34:35], v[14:15], v[6:7]
	v_mul_f64 v[6:7], v[12:13], v[6:7]
	s_delay_alu instid0(VALU_DEP_2) | instskip(NEXT) | instid1(VALU_DEP_2)
	v_fma_f64 v[34:35], v[12:13], v[4:5], -v[34:35]
	v_fma_f64 v[4:5], v[14:15], v[4:5], v[6:7]
	v_mul_f64 v[6:7], v[12:13], v[10:11]
	s_delay_alu instid0(VALU_DEP_3) | instskip(NEXT) | instid1(VALU_DEP_3)
	v_add_f64 v[30:31], v[30:31], v[34:35]
	v_add_f64 v[32:33], v[32:33], v[4:5]
	v_mul_f64 v[4:5], v[14:15], v[10:11]
	s_delay_alu instid0(VALU_DEP_4) | instskip(NEXT) | instid1(VALU_DEP_2)
	v_fma_f64 v[6:7], v[14:15], v[8:9], v[6:7]
	v_fma_f64 v[4:5], v[12:13], v[8:9], -v[4:5]
	s_delay_alu instid0(VALU_DEP_2) | instskip(NEXT) | instid1(VALU_DEP_2)
	;; [unrolled: 38-line block ×3, first 2 shown]
	v_add_f64 v[18:19], v[18:19], v[6:7]
	v_add_f64 v[16:17], v[16:17], v[4:5]
	ds_load_b128 v[4:7], v25 offset:64
	ds_load_b128 v[8:11], v22 offset:2048
	s_waitcnt lgkmcnt(0)
	v_mul_f64 v[12:13], v[6:7], v[10:11]
	v_mul_f64 v[14:15], v[4:5], v[10:11]
	s_delay_alu instid0(VALU_DEP_2) | instskip(NEXT) | instid1(VALU_DEP_2)
	v_fma_f64 v[12:13], v[4:5], v[8:9], -v[12:13]
	v_fma_f64 v[14:15], v[6:7], v[8:9], v[14:15]
	s_delay_alu instid0(VALU_DEP_2) | instskip(NEXT) | instid1(VALU_DEP_2)
	v_add_f64 v[34:35], v[34:35], v[12:13]
	v_add_f64 v[36:37], v[36:37], v[14:15]
	ds_load_b128 v[12:15], v22 offset:2304
	s_waitcnt lgkmcnt(0)
	v_mul_f64 v[38:39], v[6:7], v[14:15]
	s_delay_alu instid0(VALU_DEP_1) | instskip(SKIP_1) | instid1(VALU_DEP_2)
	v_fma_f64 v[38:39], v[4:5], v[12:13], -v[38:39]
	v_mul_f64 v[4:5], v[4:5], v[14:15]
	v_add_f64 v[28:29], v[28:29], v[38:39]
	s_delay_alu instid0(VALU_DEP_2) | instskip(NEXT) | instid1(VALU_DEP_1)
	v_fma_f64 v[4:5], v[6:7], v[12:13], v[4:5]
	v_add_f64 v[26:27], v[26:27], v[4:5]
	ds_load_b128 v[4:7], v25 offset:2112
	s_waitcnt lgkmcnt(0)
	v_mul_f64 v[38:39], v[6:7], v[10:11]
	v_mul_f64 v[10:11], v[4:5], v[10:11]
	s_delay_alu instid0(VALU_DEP_2) | instskip(NEXT) | instid1(VALU_DEP_2)
	v_fma_f64 v[38:39], v[4:5], v[8:9], -v[38:39]
	v_fma_f64 v[8:9], v[6:7], v[8:9], v[10:11]
	s_delay_alu instid0(VALU_DEP_2) | instskip(NEXT) | instid1(VALU_DEP_2)
	v_add_f64 v[30:31], v[30:31], v[38:39]
	v_add_f64 v[32:33], v[32:33], v[8:9]
	v_mul_f64 v[8:9], v[6:7], v[14:15]
	s_delay_alu instid0(VALU_DEP_1) | instskip(SKIP_1) | instid1(VALU_DEP_2)
	v_fma_f64 v[8:9], v[4:5], v[12:13], -v[8:9]
	v_mul_f64 v[4:5], v[4:5], v[14:15]
	v_add_f64 v[16:17], v[16:17], v[8:9]
	s_delay_alu instid0(VALU_DEP_2) | instskip(NEXT) | instid1(VALU_DEP_1)
	v_fma_f64 v[4:5], v[6:7], v[12:13], v[4:5]
	v_add_f64 v[18:19], v[18:19], v[4:5]
	ds_load_b128 v[4:7], v25 offset:80
	ds_load_b128 v[8:11], v22 offset:2560
	s_waitcnt lgkmcnt(0)
	v_mul_f64 v[12:13], v[6:7], v[10:11]
	v_mul_f64 v[14:15], v[4:5], v[10:11]
	s_delay_alu instid0(VALU_DEP_2) | instskip(NEXT) | instid1(VALU_DEP_2)
	v_fma_f64 v[12:13], v[4:5], v[8:9], -v[12:13]
	v_fma_f64 v[14:15], v[6:7], v[8:9], v[14:15]
	s_delay_alu instid0(VALU_DEP_2) | instskip(NEXT) | instid1(VALU_DEP_2)
	v_add_f64 v[34:35], v[34:35], v[12:13]
	v_add_f64 v[36:37], v[36:37], v[14:15]
	ds_load_b128 v[12:15], v22 offset:2816
	s_waitcnt lgkmcnt(0)
	v_mul_f64 v[38:39], v[6:7], v[14:15]
	s_delay_alu instid0(VALU_DEP_1) | instskip(SKIP_1) | instid1(VALU_DEP_2)
	v_fma_f64 v[38:39], v[4:5], v[12:13], -v[38:39]
	v_mul_f64 v[4:5], v[4:5], v[14:15]
	v_add_f64 v[28:29], v[28:29], v[38:39]
	s_delay_alu instid0(VALU_DEP_2) | instskip(NEXT) | instid1(VALU_DEP_1)
	v_fma_f64 v[4:5], v[6:7], v[12:13], v[4:5]
	v_add_f64 v[26:27], v[26:27], v[4:5]
	ds_load_b128 v[4:7], v25 offset:2128
	s_waitcnt lgkmcnt(0)
	v_mul_f64 v[38:39], v[6:7], v[10:11]
	v_mul_f64 v[10:11], v[4:5], v[10:11]
	s_delay_alu instid0(VALU_DEP_2) | instskip(NEXT) | instid1(VALU_DEP_2)
	v_fma_f64 v[38:39], v[4:5], v[8:9], -v[38:39]
	v_fma_f64 v[8:9], v[6:7], v[8:9], v[10:11]
	s_delay_alu instid0(VALU_DEP_2) | instskip(NEXT) | instid1(VALU_DEP_2)
	v_add_f64 v[30:31], v[30:31], v[38:39]
	v_add_f64 v[32:33], v[32:33], v[8:9]
	v_mul_f64 v[8:9], v[6:7], v[14:15]
	s_delay_alu instid0(VALU_DEP_1) | instskip(SKIP_1) | instid1(VALU_DEP_2)
	v_fma_f64 v[8:9], v[4:5], v[12:13], -v[8:9]
	v_mul_f64 v[4:5], v[4:5], v[14:15]
	v_add_f64 v[16:17], v[16:17], v[8:9]
	s_delay_alu instid0(VALU_DEP_2) | instskip(NEXT) | instid1(VALU_DEP_1)
	v_fma_f64 v[4:5], v[6:7], v[12:13], v[4:5]
	;; [unrolled: 39-line block ×3, first 2 shown]
	v_add_f64 v[44:45], v[18:19], v[4:5]
	ds_load_b128 v[4:7], v25 offset:112
	ds_load_b128 v[12:15], v22 offset:3584
	;; [unrolled: 1-line block ×3, first 2 shown]
	s_waitcnt lgkmcnt(1)
	v_mul_f64 v[8:9], v[6:7], v[14:15]
	v_mul_f64 v[10:11], v[4:5], v[14:15]
	s_delay_alu instid0(VALU_DEP_2) | instskip(NEXT) | instid1(VALU_DEP_2)
	v_fma_f64 v[8:9], v[4:5], v[12:13], -v[8:9]
	v_fma_f64 v[10:11], v[6:7], v[12:13], v[10:11]
	s_delay_alu instid0(VALU_DEP_2) | instskip(SKIP_2) | instid1(VALU_DEP_3)
	v_add_f64 v[16:17], v[34:35], v[8:9]
	s_waitcnt lgkmcnt(0)
	v_mul_f64 v[8:9], v[6:7], v[28:29]
	v_add_f64 v[18:19], v[36:37], v[10:11]
	s_delay_alu instid0(VALU_DEP_2) | instskip(SKIP_1) | instid1(VALU_DEP_2)
	v_fma_f64 v[8:9], v[4:5], v[26:27], -v[8:9]
	v_mul_f64 v[4:5], v[4:5], v[28:29]
	v_add_f64 v[8:9], v[38:39], v[8:9]
	s_delay_alu instid0(VALU_DEP_2) | instskip(NEXT) | instid1(VALU_DEP_1)
	v_fma_f64 v[4:5], v[6:7], v[26:27], v[4:5]
	v_add_f64 v[10:11], v[40:41], v[4:5]
	ds_load_b128 v[4:7], v25 offset:2160
	s_waitcnt lgkmcnt(0)
	s_barrier
	buffer_gl0_inv
	v_mul_f64 v[34:35], v[6:7], v[14:15]
	v_mul_f64 v[14:15], v[4:5], v[14:15]
	s_delay_alu instid0(VALU_DEP_2) | instskip(NEXT) | instid1(VALU_DEP_2)
	v_fma_f64 v[34:35], v[4:5], v[12:13], -v[34:35]
	v_fma_f64 v[14:15], v[6:7], v[12:13], v[14:15]
	s_delay_alu instid0(VALU_DEP_2) | instskip(SKIP_1) | instid1(VALU_DEP_3)
	v_add_f64 v[12:13], v[30:31], v[34:35]
	v_mul_f64 v[30:31], v[6:7], v[28:29]
	v_add_f64 v[14:15], v[32:33], v[14:15]
	s_delay_alu instid0(VALU_DEP_2) | instskip(SKIP_1) | instid1(VALU_DEP_1)
	v_fma_f64 v[30:31], v[4:5], v[26:27], -v[30:31]
	v_mul_f64 v[4:5], v[4:5], v[28:29]
	v_fma_f64 v[4:5], v[6:7], v[26:27], v[4:5]
	s_delay_alu instid0(VALU_DEP_3) | instskip(NEXT) | instid1(VALU_DEP_2)
	v_add_f64 v[6:7], v[42:43], v[30:31]
	v_add_f64 v[4:5], v[44:45], v[4:5]
	s_cbranch_vccz .LBB1345_2
.LBB1345_3:
	v_add_nc_u32_e32 v21, s13, v21
	s_load_b32 s2, s[0:1], 0x0
	s_mul_i32 s1, s15, s39
	s_mul_hi_u32 s3, s15, s38
	s_mul_i32 s0, s15, s38
	v_ashrrev_i32_e32 v0, 31, v21
	v_mul_lo_u32 v3, v21, s37
	v_mad_u64_u32 v[1:2], null, v21, s36, 0
	s_add_i32 s1, s3, s1
	s_delay_alu instid0(VALU_DEP_3) | instskip(SKIP_1) | instid1(SALU_CYCLE_1)
	v_mul_lo_u32 v0, v0, s36
	s_lshl_b64 s[4:5], s[0:1], 4
	s_add_u32 s3, s10, s4
	s_addc_u32 s4, s11, s5
	s_delay_alu instid0(VALU_DEP_1) | instskip(SKIP_3) | instid1(VALU_DEP_3)
	v_add3_u32 v2, v2, v3, v0
	v_add_nc_u32_e32 v0, s12, v20
	s_waitcnt lgkmcnt(0)
	v_cmp_gt_i32_e32 vcc_lo, s2, v21
	v_lshlrev_b64 v[1:2], 4, v[1:2]
	s_delay_alu instid0(VALU_DEP_3) | instskip(NEXT) | instid1(VALU_DEP_1)
	v_cmp_le_i32_e64 s0, v0, v21
	s_and_b32 s0, vcc_lo, s0
	s_delay_alu instid0(VALU_DEP_2) | instskip(NEXT) | instid1(VALU_DEP_1)
	v_add_co_u32 v20, s1, s3, v1
	v_add_co_ci_u32_e64 v22, s1, s4, v2, s1
	s_and_saveexec_b32 s1, s0
	s_cbranch_execz .LBB1345_5
; %bb.4:
	v_ashrrev_i32_e32 v1, 31, v0
	v_mul_f64 v[27:28], s[18:19], v[18:19]
	v_mul_f64 v[18:19], s[20:21], v[18:19]
	s_delay_alu instid0(VALU_DEP_3) | instskip(NEXT) | instid1(VALU_DEP_1)
	v_lshlrev_b64 v[1:2], 4, v[0:1]
	v_add_co_u32 v1, s0, v20, v1
	s_delay_alu instid0(VALU_DEP_1)
	v_add_co_ci_u32_e64 v2, s0, v22, v2, s0
	v_cmp_ne_u32_e64 s0, v21, v0
	global_load_b128 v[23:26], v[1:2], off
	v_fma_f64 v[27:28], s[20:21], v[16:17], v[27:28]
	v_fma_f64 v[16:17], s[18:19], v[16:17], -v[18:19]
	s_waitcnt vmcnt(0)
	v_mul_f64 v[29:30], s[6:7], v[25:26]
	v_mul_f64 v[25:26], s[8:9], v[25:26]
	s_delay_alu instid0(VALU_DEP_2) | instskip(NEXT) | instid1(VALU_DEP_2)
	v_fma_f64 v[29:30], s[8:9], v[23:24], v[29:30]
	v_fma_f64 v[18:19], s[6:7], v[23:24], -v[25:26]
	s_delay_alu instid0(VALU_DEP_2) | instskip(NEXT) | instid1(VALU_DEP_2)
	v_add_f64 v[23:24], v[27:28], v[29:30]
	v_add_f64 v[16:17], v[16:17], v[18:19]
	s_delay_alu instid0(VALU_DEP_2) | instskip(NEXT) | instid1(VALU_DEP_3)
	v_cndmask_b32_e64 v19, 0, v24, s0
	v_cndmask_b32_e64 v18, 0, v23, s0
	global_store_b128 v[1:2], v[16:19], off
.LBB1345_5:
	s_or_b32 exec_lo, exec_lo, s1
	v_add_nc_u32_e32 v2, 16, v0
	s_delay_alu instid0(VALU_DEP_1) | instskip(NEXT) | instid1(VALU_DEP_1)
	v_cmp_le_i32_e64 s0, v2, v21
	s_and_b32 s1, vcc_lo, s0
	s_delay_alu instid0(SALU_CYCLE_1)
	s_and_saveexec_b32 s0, s1
	s_cbranch_execz .LBB1345_7
; %bb.6:
	v_ashrrev_i32_e32 v3, 31, v2
	v_mul_f64 v[25:26], s[18:19], v[10:11]
	v_mul_f64 v[10:11], s[20:21], v[10:11]
	s_delay_alu instid0(VALU_DEP_3) | instskip(NEXT) | instid1(VALU_DEP_1)
	v_lshlrev_b64 v[16:17], 4, v[2:3]
	v_add_co_u32 v23, vcc_lo, v20, v16
	s_delay_alu instid0(VALU_DEP_2)
	v_add_co_ci_u32_e32 v24, vcc_lo, v22, v17, vcc_lo
	v_cmp_ne_u32_e32 vcc_lo, v21, v2
	global_load_b128 v[16:19], v[23:24], off
	v_fma_f64 v[25:26], s[20:21], v[8:9], v[25:26]
	v_fma_f64 v[8:9], s[18:19], v[8:9], -v[10:11]
	s_waitcnt vmcnt(0)
	v_mul_f64 v[27:28], s[6:7], v[18:19]
	v_mul_f64 v[18:19], s[8:9], v[18:19]
	s_delay_alu instid0(VALU_DEP_2) | instskip(NEXT) | instid1(VALU_DEP_2)
	v_fma_f64 v[27:28], s[8:9], v[16:17], v[27:28]
	v_fma_f64 v[10:11], s[6:7], v[16:17], -v[18:19]
	s_delay_alu instid0(VALU_DEP_2) | instskip(NEXT) | instid1(VALU_DEP_2)
	v_add_f64 v[16:17], v[25:26], v[27:28]
	v_add_f64 v[8:9], v[8:9], v[10:11]
	s_delay_alu instid0(VALU_DEP_2)
	v_dual_cndmask_b32 v11, 0, v17 :: v_dual_cndmask_b32 v10, 0, v16
	global_store_b128 v[23:24], v[8:11], off
.LBB1345_7:
	s_or_b32 exec_lo, exec_lo, s0
	v_add_nc_u32_e32 v3, 16, v21
	s_delay_alu instid0(VALU_DEP_1) | instskip(SKIP_3) | instid1(VALU_DEP_4)
	v_ashrrev_i32_e32 v1, 31, v3
	v_mul_lo_u32 v10, v3, s37
	v_mad_u64_u32 v[8:9], null, v3, s36, 0
	v_cmp_gt_i32_e32 vcc_lo, s2, v3
	v_mul_lo_u32 v1, v1, s36
	v_cmp_le_i32_e64 s0, v0, v3
	s_delay_alu instid0(VALU_DEP_1) | instskip(NEXT) | instid1(VALU_DEP_2)
	s_and_b32 s0, vcc_lo, s0
	v_add3_u32 v9, v9, v10, v1
	s_delay_alu instid0(VALU_DEP_1) | instskip(NEXT) | instid1(VALU_DEP_1)
	v_lshlrev_b64 v[8:9], 4, v[8:9]
	v_add_co_u32 v8, s1, s3, v8
	s_delay_alu instid0(VALU_DEP_1)
	v_add_co_ci_u32_e64 v9, s1, s4, v9, s1
	s_and_saveexec_b32 s1, s0
	s_cbranch_execz .LBB1345_9
; %bb.8:
	v_ashrrev_i32_e32 v1, 31, v0
	s_delay_alu instid0(VALU_DEP_1) | instskip(NEXT) | instid1(VALU_DEP_1)
	v_lshlrev_b64 v[10:11], 4, v[0:1]
	v_add_co_u32 v22, s0, v8, v10
	s_delay_alu instid0(VALU_DEP_1)
	v_add_co_ci_u32_e64 v23, s0, v9, v11, s0
	v_mul_f64 v[10:11], s[18:19], v[14:15]
	v_mul_f64 v[14:15], s[20:21], v[14:15]
	v_cmp_ne_u32_e64 s0, v3, v0
	global_load_b128 v[16:19], v[22:23], off
	v_fma_f64 v[10:11], s[20:21], v[12:13], v[10:11]
	v_fma_f64 v[12:13], s[18:19], v[12:13], -v[14:15]
	s_waitcnt vmcnt(0)
	v_mul_f64 v[24:25], s[6:7], v[18:19]
	v_mul_f64 v[18:19], s[8:9], v[18:19]
	s_delay_alu instid0(VALU_DEP_2) | instskip(NEXT) | instid1(VALU_DEP_2)
	v_fma_f64 v[24:25], s[8:9], v[16:17], v[24:25]
	v_fma_f64 v[14:15], s[6:7], v[16:17], -v[18:19]
	s_delay_alu instid0(VALU_DEP_2) | instskip(NEXT) | instid1(VALU_DEP_2)
	v_add_f64 v[16:17], v[10:11], v[24:25]
	v_add_f64 v[10:11], v[12:13], v[14:15]
	s_delay_alu instid0(VALU_DEP_2) | instskip(NEXT) | instid1(VALU_DEP_3)
	v_cndmask_b32_e64 v13, 0, v17, s0
	v_cndmask_b32_e64 v12, 0, v16, s0
	global_store_b128 v[22:23], v[10:13], off
.LBB1345_9:
	s_or_b32 exec_lo, exec_lo, s1
	v_cmp_le_i32_e64 s0, v2, v3
	s_delay_alu instid0(VALU_DEP_1) | instskip(NEXT) | instid1(SALU_CYCLE_1)
	s_and_b32 s0, vcc_lo, s0
	s_and_saveexec_b32 s1, s0
	s_cbranch_execz .LBB1345_11
; %bb.10:
	v_ashrrev_i32_e32 v3, 31, v2
	s_delay_alu instid0(VALU_DEP_1) | instskip(NEXT) | instid1(VALU_DEP_1)
	v_lshlrev_b64 v[1:2], 4, v[2:3]
	v_add_co_u32 v12, vcc_lo, v8, v1
	s_delay_alu instid0(VALU_DEP_2)
	v_add_co_ci_u32_e32 v13, vcc_lo, v9, v2, vcc_lo
	v_mul_f64 v[1:2], s[18:19], v[4:5]
	v_mul_f64 v[3:4], s[20:21], v[4:5]
	v_cmp_ne_u32_e32 vcc_lo, v21, v0
	global_load_b128 v[8:11], v[12:13], off
	v_fma_f64 v[1:2], s[20:21], v[6:7], v[1:2]
	v_fma_f64 v[3:4], s[18:19], v[6:7], -v[3:4]
	s_waitcnt vmcnt(0)
	v_mul_f64 v[14:15], s[6:7], v[10:11]
	v_mul_f64 v[10:11], s[8:9], v[10:11]
	s_delay_alu instid0(VALU_DEP_2) | instskip(NEXT) | instid1(VALU_DEP_2)
	v_fma_f64 v[14:15], s[8:9], v[8:9], v[14:15]
	v_fma_f64 v[5:6], s[6:7], v[8:9], -v[10:11]
	s_delay_alu instid0(VALU_DEP_2) | instskip(NEXT) | instid1(VALU_DEP_2)
	v_add_f64 v[7:8], v[1:2], v[14:15]
	v_add_f64 v[1:2], v[3:4], v[5:6]
	s_delay_alu instid0(VALU_DEP_2)
	v_dual_cndmask_b32 v4, 0, v8 :: v_dual_cndmask_b32 v3, 0, v7
	global_store_b128 v[12:13], v[1:4], off
.LBB1345_11:
	s_nop 0
	s_sendmsg sendmsg(MSG_DEALLOC_VGPRS)
	s_endpgm
	.section	.rodata,"a",@progbits
	.p2align	6, 0x0
	.amdhsa_kernel _ZL37rocblas_syrkx_herkx_restricted_kernelIl19rocblas_complex_numIdELi16ELi32ELi8ELb0ELb1ELc67ELc85EKS1_S1_EviT_T0_PT8_S3_lS6_S3_lS4_PT9_S3_li
		.amdhsa_group_segment_fixed_size 8192
		.amdhsa_private_segment_fixed_size 0
		.amdhsa_kernarg_size 124
		.amdhsa_user_sgpr_count 13
		.amdhsa_user_sgpr_dispatch_ptr 0
		.amdhsa_user_sgpr_queue_ptr 0
		.amdhsa_user_sgpr_kernarg_segment_ptr 1
		.amdhsa_user_sgpr_dispatch_id 0
		.amdhsa_user_sgpr_private_segment_size 0
		.amdhsa_wavefront_size32 1
		.amdhsa_uses_dynamic_stack 0
		.amdhsa_enable_private_segment 0
		.amdhsa_system_sgpr_workgroup_id_x 1
		.amdhsa_system_sgpr_workgroup_id_y 1
		.amdhsa_system_sgpr_workgroup_id_z 1
		.amdhsa_system_sgpr_workgroup_info 0
		.amdhsa_system_vgpr_workitem_id 1
		.amdhsa_next_free_vgpr 52
		.amdhsa_next_free_sgpr 40
		.amdhsa_reserve_vcc 1
		.amdhsa_float_round_mode_32 0
		.amdhsa_float_round_mode_16_64 0
		.amdhsa_float_denorm_mode_32 3
		.amdhsa_float_denorm_mode_16_64 3
		.amdhsa_dx10_clamp 1
		.amdhsa_ieee_mode 1
		.amdhsa_fp16_overflow 0
		.amdhsa_workgroup_processor_mode 1
		.amdhsa_memory_ordered 1
		.amdhsa_forward_progress 0
		.amdhsa_shared_vgpr_count 0
		.amdhsa_exception_fp_ieee_invalid_op 0
		.amdhsa_exception_fp_denorm_src 0
		.amdhsa_exception_fp_ieee_div_zero 0
		.amdhsa_exception_fp_ieee_overflow 0
		.amdhsa_exception_fp_ieee_underflow 0
		.amdhsa_exception_fp_ieee_inexact 0
		.amdhsa_exception_int_div_zero 0
	.end_amdhsa_kernel
	.section	.text._ZL37rocblas_syrkx_herkx_restricted_kernelIl19rocblas_complex_numIdELi16ELi32ELi8ELb0ELb1ELc67ELc85EKS1_S1_EviT_T0_PT8_S3_lS6_S3_lS4_PT9_S3_li,"axG",@progbits,_ZL37rocblas_syrkx_herkx_restricted_kernelIl19rocblas_complex_numIdELi16ELi32ELi8ELb0ELb1ELc67ELc85EKS1_S1_EviT_T0_PT8_S3_lS6_S3_lS4_PT9_S3_li,comdat
.Lfunc_end1345:
	.size	_ZL37rocblas_syrkx_herkx_restricted_kernelIl19rocblas_complex_numIdELi16ELi32ELi8ELb0ELb1ELc67ELc85EKS1_S1_EviT_T0_PT8_S3_lS6_S3_lS4_PT9_S3_li, .Lfunc_end1345-_ZL37rocblas_syrkx_herkx_restricted_kernelIl19rocblas_complex_numIdELi16ELi32ELi8ELb0ELb1ELc67ELc85EKS1_S1_EviT_T0_PT8_S3_lS6_S3_lS4_PT9_S3_li
                                        ; -- End function
	.section	.AMDGPU.csdata,"",@progbits
; Kernel info:
; codeLenInByte = 3768
; NumSgprs: 42
; NumVgprs: 52
; ScratchSize: 0
; MemoryBound: 0
; FloatMode: 240
; IeeeMode: 1
; LDSByteSize: 8192 bytes/workgroup (compile time only)
; SGPRBlocks: 5
; VGPRBlocks: 6
; NumSGPRsForWavesPerEU: 42
; NumVGPRsForWavesPerEU: 52
; Occupancy: 16
; WaveLimiterHint : 0
; COMPUTE_PGM_RSRC2:SCRATCH_EN: 0
; COMPUTE_PGM_RSRC2:USER_SGPR: 13
; COMPUTE_PGM_RSRC2:TRAP_HANDLER: 0
; COMPUTE_PGM_RSRC2:TGID_X_EN: 1
; COMPUTE_PGM_RSRC2:TGID_Y_EN: 1
; COMPUTE_PGM_RSRC2:TGID_Z_EN: 1
; COMPUTE_PGM_RSRC2:TIDIG_COMP_CNT: 1
	.section	.text._ZL37rocblas_syrkx_herkx_restricted_kernelIl19rocblas_complex_numIdELi16ELi32ELi8ELb0ELb1ELc78ELc85EKS1_S1_EviT_T0_PT8_S3_lS6_S3_lS4_PT9_S3_li,"axG",@progbits,_ZL37rocblas_syrkx_herkx_restricted_kernelIl19rocblas_complex_numIdELi16ELi32ELi8ELb0ELb1ELc78ELc85EKS1_S1_EviT_T0_PT8_S3_lS6_S3_lS4_PT9_S3_li,comdat
	.globl	_ZL37rocblas_syrkx_herkx_restricted_kernelIl19rocblas_complex_numIdELi16ELi32ELi8ELb0ELb1ELc78ELc85EKS1_S1_EviT_T0_PT8_S3_lS6_S3_lS4_PT9_S3_li ; -- Begin function _ZL37rocblas_syrkx_herkx_restricted_kernelIl19rocblas_complex_numIdELi16ELi32ELi8ELb0ELb1ELc78ELc85EKS1_S1_EviT_T0_PT8_S3_lS6_S3_lS4_PT9_S3_li
	.p2align	8
	.type	_ZL37rocblas_syrkx_herkx_restricted_kernelIl19rocblas_complex_numIdELi16ELi32ELi8ELb0ELb1ELc78ELc85EKS1_S1_EviT_T0_PT8_S3_lS6_S3_lS4_PT9_S3_li,@function
_ZL37rocblas_syrkx_herkx_restricted_kernelIl19rocblas_complex_numIdELi16ELi32ELi8ELb0ELb1ELc78ELc85EKS1_S1_EviT_T0_PT8_S3_lS6_S3_lS4_PT9_S3_li: ; @_ZL37rocblas_syrkx_herkx_restricted_kernelIl19rocblas_complex_numIdELi16ELi32ELi8ELb0ELb1ELc78ELc85EKS1_S1_EviT_T0_PT8_S3_lS6_S3_lS4_PT9_S3_li
; %bb.0:
	s_clause 0x2
	s_load_b512 s[16:31], s[0:1], 0x8
	s_load_b128 s[36:39], s[0:1], 0x68
	s_load_b256 s[4:11], s[0:1], 0x48
	v_mov_b32_e32 v16, 0
	v_dual_mov_b32 v17, 0 :: v_dual_and_b32 v20, 0x3ff, v0
	v_bfe_u32 v21, v0, 10, 10
	s_delay_alu instid0(VALU_DEP_3) | instskip(NEXT) | instid1(VALU_DEP_3)
	v_mov_b32_e32 v8, v16
	v_dual_mov_b32 v10, v16 :: v_dual_mov_b32 v11, v17
	v_dual_mov_b32 v19, v17 :: v_dual_mov_b32 v18, v16
	;; [unrolled: 1-line block ×6, first 2 shown]
	v_mov_b32_e32 v5, v17
	s_waitcnt lgkmcnt(0)
	v_cmp_lt_i64_e64 s2, s[16:17], 1
	s_lshl_b32 s33, s13, 5
	s_lshl_b32 s14, s14, 5
	s_delay_alu instid0(VALU_DEP_1)
	s_and_b32 vcc_lo, exec_lo, s2
	s_cbranch_vccnz .LBB1346_3
; %bb.1:
	v_lshl_add_u32 v1, v21, 4, v20
	v_and_b32_e32 v10, 7, v20
	s_mul_i32 s3, s27, s15
	s_mul_hi_u32 s12, s26, s15
	s_mul_i32 s2, s26, s15
	v_dual_mov_b32 v4, 0 :: v_dual_and_b32 v9, 31, v1
	v_lshrrev_b32_e32 v11, 3, v1
	v_mov_b32_e32 v5, 0
	v_lshrrev_b32_e32 v12, 5, v1
	s_delay_alu instid0(VALU_DEP_4) | instskip(SKIP_1) | instid1(VALU_DEP_3)
	v_add_nc_u32_e32 v0, s33, v9
	s_add_i32 s3, s12, s3
	v_dual_mov_b32 v15, v5 :: v_dual_add_nc_u32 v2, s14, v11
	s_lshl_b64 s[2:3], s[2:3], 4
	s_delay_alu instid0(VALU_DEP_2) | instskip(SKIP_1) | instid1(VALU_DEP_2)
	v_ashrrev_i32_e32 v1, 31, v0
	s_mul_i32 s5, s5, s15
	v_ashrrev_i32_e32 v3, 31, v2
	s_mul_hi_u32 s13, s4, s15
	s_add_u32 s12, s22, s2
	v_mad_u64_u32 v[6:7], null, v12, s24, v[0:1]
	s_delay_alu instid0(VALU_DEP_2) | instskip(SKIP_4) | instid1(VALU_DEP_2)
	v_mad_u64_u32 v[0:1], null, v10, s30, v[2:3]
	s_mul_i32 s4, s4, s15
	s_addc_u32 s22, s23, s3
	s_add_i32 s5, s13, s5
	s_lshl_b64 s[2:3], s[24:25], 7
	v_dual_mov_b32 v2, v7 :: v_dual_lshlrev_b32 v13, 4, v10
	s_lshl_b64 s[4:5], s[4:5], 4
	v_mov_b32_e32 v14, v4
	s_add_u32 s4, s28, s4
	s_delay_alu instid0(VALU_DEP_2)
	v_mad_u64_u32 v[7:8], null, v12, s25, v[2:3]
	v_mad_u64_u32 v[2:3], null, v10, s31, v[1:2]
	v_lshlrev_b32_e32 v22, 4, v20
	s_addc_u32 s5, s29, s5
	v_lshlrev_b32_e32 v8, 4, v9
	v_lshl_or_b32 v9, v11, 7, v13
	v_dual_mov_b32 v11, v5 :: v_dual_mov_b32 v10, v4
	v_mov_b32_e32 v19, v5
	v_mov_b32_e32 v1, v2
	v_lshlrev_b64 v[2:3], 4, v[6:7]
	v_lshl_or_b32 v24, v12, 9, v8
	v_mov_b32_e32 v13, v5
	v_add_nc_u32_e32 v25, 0x1000, v9
	v_lshlrev_b64 v[0:1], 4, v[0:1]
	v_dual_mov_b32 v12, v4 :: v_dual_mov_b32 v9, v5
	v_add_co_u32 v2, vcc_lo, s12, v2
	v_add_co_ci_u32_e32 v3, vcc_lo, s22, v3, vcc_lo
	s_delay_alu instid0(VALU_DEP_4) | instskip(SKIP_1) | instid1(VALU_DEP_4)
	v_add_co_u32 v6, vcc_lo, s4, v0
	v_add_co_ci_u32_e32 v7, vcc_lo, s5, v1, vcc_lo
	v_add_co_u32 v0, vcc_lo, v2, 8
	s_delay_alu instid0(VALU_DEP_4) | instskip(NEXT) | instid1(VALU_DEP_4)
	v_add_co_ci_u32_e32 v1, vcc_lo, 0, v3, vcc_lo
	v_add_co_u32 v2, vcc_lo, v6, 8
	s_delay_alu instid0(VALU_DEP_4)
	v_add_co_ci_u32_e32 v3, vcc_lo, 0, v7, vcc_lo
	v_dual_mov_b32 v7, v5 :: v_dual_mov_b32 v8, v4
	v_mov_b32_e32 v17, v5
	v_lshl_add_u32 v23, v21, 7, 0x1000
	v_mov_b32_e32 v6, v4
	v_mov_b32_e32 v18, v4
	;; [unrolled: 1-line block ×3, first 2 shown]
	s_lshl_b64 s[4:5], s[30:31], 7
	s_mov_b64 s[12:13], 0
.LBB1346_2:                             ; =>This Inner Loop Header: Depth=1
	global_load_b128 v[26:29], v[0:1], off offset:-8
	s_add_u32 s12, s12, 8
	s_addc_u32 s13, s13, 0
	v_add_co_u32 v0, vcc_lo, v0, s2
	v_add_co_ci_u32_e32 v1, vcc_lo, s3, v1, vcc_lo
	v_cmp_ge_u64_e64 s22, s[12:13], s[16:17]
	s_waitcnt vmcnt(0)
	ds_store_b128 v24, v[26:29]
	global_load_b128 v[26:29], v[2:3], off offset:-8
	v_add_co_u32 v2, vcc_lo, v2, s4
	v_add_co_ci_u32_e32 v3, vcc_lo, s5, v3, vcc_lo
	s_and_b32 vcc_lo, exec_lo, s22
	s_waitcnt vmcnt(0)
	v_xor_b32_e32 v29, 0x80000000, v29
	ds_store_b128 v25, v[26:29]
	s_waitcnt lgkmcnt(0)
	s_barrier
	buffer_gl0_inv
	ds_load_b128 v[26:29], v23
	ds_load_b128 v[30:33], v23 offset:16
	ds_load_b128 v[34:37], v23 offset:32
	;; [unrolled: 1-line block ×3, first 2 shown]
	ds_load_b128 v[42:45], v22
	s_waitcnt lgkmcnt(0)
	v_mul_f64 v[46:47], v[28:29], v[44:45]
	v_mul_f64 v[48:49], v[26:27], v[44:45]
	s_delay_alu instid0(VALU_DEP_2) | instskip(NEXT) | instid1(VALU_DEP_2)
	v_fma_f64 v[46:47], v[26:27], v[42:43], -v[46:47]
	v_fma_f64 v[48:49], v[28:29], v[42:43], v[48:49]
	s_delay_alu instid0(VALU_DEP_2) | instskip(NEXT) | instid1(VALU_DEP_2)
	v_add_f64 v[46:47], v[16:17], v[46:47]
	v_add_f64 v[48:49], v[18:19], v[48:49]
	ds_load_b128 v[16:19], v22 offset:256
	s_waitcnt lgkmcnt(0)
	v_mul_f64 v[50:51], v[28:29], v[18:19]
	s_delay_alu instid0(VALU_DEP_1) | instskip(SKIP_1) | instid1(VALU_DEP_1)
	v_fma_f64 v[50:51], v[26:27], v[16:17], -v[50:51]
	v_mul_f64 v[26:27], v[26:27], v[18:19]
	v_fma_f64 v[26:27], v[28:29], v[16:17], v[26:27]
	s_delay_alu instid0(VALU_DEP_3) | instskip(NEXT) | instid1(VALU_DEP_2)
	v_add_f64 v[28:29], v[8:9], v[50:51]
	v_add_f64 v[26:27], v[10:11], v[26:27]
	ds_load_b128 v[8:11], v23 offset:2048
	s_waitcnt lgkmcnt(0)
	v_mul_f64 v[50:51], v[10:11], v[44:45]
	v_mul_f64 v[44:45], v[8:9], v[44:45]
	s_delay_alu instid0(VALU_DEP_2) | instskip(NEXT) | instid1(VALU_DEP_2)
	v_fma_f64 v[50:51], v[8:9], v[42:43], -v[50:51]
	v_fma_f64 v[42:43], v[10:11], v[42:43], v[44:45]
	s_delay_alu instid0(VALU_DEP_2) | instskip(SKIP_1) | instid1(VALU_DEP_3)
	v_add_f64 v[44:45], v[12:13], v[50:51]
	v_mul_f64 v[12:13], v[10:11], v[18:19]
	v_add_f64 v[42:43], v[14:15], v[42:43]
	s_delay_alu instid0(VALU_DEP_2) | instskip(SKIP_1) | instid1(VALU_DEP_1)
	v_fma_f64 v[12:13], v[8:9], v[16:17], -v[12:13]
	v_mul_f64 v[8:9], v[8:9], v[18:19]
	v_fma_f64 v[8:9], v[10:11], v[16:17], v[8:9]
	s_delay_alu instid0(VALU_DEP_3) | instskip(NEXT) | instid1(VALU_DEP_2)
	v_add_f64 v[16:17], v[6:7], v[12:13]
	v_add_f64 v[18:19], v[4:5], v[8:9]
	ds_load_b128 v[4:7], v22 offset:512
	s_waitcnt lgkmcnt(0)
	v_mul_f64 v[8:9], v[32:33], v[6:7]
	v_mul_f64 v[10:11], v[30:31], v[6:7]
	s_delay_alu instid0(VALU_DEP_2) | instskip(NEXT) | instid1(VALU_DEP_2)
	v_fma_f64 v[8:9], v[30:31], v[4:5], -v[8:9]
	v_fma_f64 v[10:11], v[32:33], v[4:5], v[10:11]
	s_delay_alu instid0(VALU_DEP_2) | instskip(NEXT) | instid1(VALU_DEP_2)
	v_add_f64 v[46:47], v[46:47], v[8:9]
	v_add_f64 v[48:49], v[48:49], v[10:11]
	ds_load_b128 v[8:11], v22 offset:768
	s_waitcnt lgkmcnt(0)
	v_mul_f64 v[12:13], v[32:33], v[10:11]
	v_mul_f64 v[14:15], v[30:31], v[10:11]
	s_delay_alu instid0(VALU_DEP_2) | instskip(NEXT) | instid1(VALU_DEP_2)
	v_fma_f64 v[12:13], v[30:31], v[8:9], -v[12:13]
	v_fma_f64 v[14:15], v[32:33], v[8:9], v[14:15]
	s_delay_alu instid0(VALU_DEP_2) | instskip(NEXT) | instid1(VALU_DEP_2)
	v_add_f64 v[28:29], v[28:29], v[12:13]
	v_add_f64 v[26:27], v[26:27], v[14:15]
	ds_load_b128 v[12:15], v23 offset:2064
	s_waitcnt lgkmcnt(0)
	v_mul_f64 v[30:31], v[14:15], v[6:7]
	v_mul_f64 v[6:7], v[12:13], v[6:7]
	s_delay_alu instid0(VALU_DEP_2) | instskip(NEXT) | instid1(VALU_DEP_2)
	v_fma_f64 v[30:31], v[12:13], v[4:5], -v[30:31]
	v_fma_f64 v[4:5], v[14:15], v[4:5], v[6:7]
	v_mul_f64 v[6:7], v[12:13], v[10:11]
	s_delay_alu instid0(VALU_DEP_3) | instskip(NEXT) | instid1(VALU_DEP_3)
	v_add_f64 v[30:31], v[44:45], v[30:31]
	v_add_f64 v[32:33], v[42:43], v[4:5]
	v_mul_f64 v[4:5], v[14:15], v[10:11]
	s_delay_alu instid0(VALU_DEP_4) | instskip(NEXT) | instid1(VALU_DEP_2)
	v_fma_f64 v[6:7], v[14:15], v[8:9], v[6:7]
	v_fma_f64 v[4:5], v[12:13], v[8:9], -v[4:5]
	s_delay_alu instid0(VALU_DEP_2) | instskip(NEXT) | instid1(VALU_DEP_2)
	v_add_f64 v[18:19], v[18:19], v[6:7]
	v_add_f64 v[16:17], v[16:17], v[4:5]
	ds_load_b128 v[4:7], v22 offset:1024
	s_waitcnt lgkmcnt(0)
	v_mul_f64 v[8:9], v[36:37], v[6:7]
	v_mul_f64 v[10:11], v[34:35], v[6:7]
	s_delay_alu instid0(VALU_DEP_2) | instskip(NEXT) | instid1(VALU_DEP_2)
	v_fma_f64 v[8:9], v[34:35], v[4:5], -v[8:9]
	v_fma_f64 v[10:11], v[36:37], v[4:5], v[10:11]
	s_delay_alu instid0(VALU_DEP_2) | instskip(NEXT) | instid1(VALU_DEP_2)
	v_add_f64 v[42:43], v[46:47], v[8:9]
	v_add_f64 v[44:45], v[48:49], v[10:11]
	ds_load_b128 v[8:11], v22 offset:1280
	s_waitcnt lgkmcnt(0)
	v_mul_f64 v[12:13], v[36:37], v[10:11]
	v_mul_f64 v[14:15], v[34:35], v[10:11]
	s_delay_alu instid0(VALU_DEP_2) | instskip(NEXT) | instid1(VALU_DEP_2)
	v_fma_f64 v[12:13], v[34:35], v[8:9], -v[12:13]
	v_fma_f64 v[14:15], v[36:37], v[8:9], v[14:15]
	s_delay_alu instid0(VALU_DEP_2) | instskip(NEXT) | instid1(VALU_DEP_2)
	v_add_f64 v[28:29], v[28:29], v[12:13]
	v_add_f64 v[26:27], v[26:27], v[14:15]
	ds_load_b128 v[12:15], v23 offset:2080
	s_waitcnt lgkmcnt(0)
	v_mul_f64 v[34:35], v[14:15], v[6:7]
	v_mul_f64 v[6:7], v[12:13], v[6:7]
	s_delay_alu instid0(VALU_DEP_2) | instskip(NEXT) | instid1(VALU_DEP_2)
	v_fma_f64 v[34:35], v[12:13], v[4:5], -v[34:35]
	v_fma_f64 v[4:5], v[14:15], v[4:5], v[6:7]
	v_mul_f64 v[6:7], v[12:13], v[10:11]
	s_delay_alu instid0(VALU_DEP_3) | instskip(NEXT) | instid1(VALU_DEP_3)
	v_add_f64 v[30:31], v[30:31], v[34:35]
	v_add_f64 v[32:33], v[32:33], v[4:5]
	v_mul_f64 v[4:5], v[14:15], v[10:11]
	s_delay_alu instid0(VALU_DEP_4) | instskip(NEXT) | instid1(VALU_DEP_2)
	v_fma_f64 v[6:7], v[14:15], v[8:9], v[6:7]
	v_fma_f64 v[4:5], v[12:13], v[8:9], -v[4:5]
	s_delay_alu instid0(VALU_DEP_2) | instskip(NEXT) | instid1(VALU_DEP_2)
	;; [unrolled: 38-line block ×3, first 2 shown]
	v_add_f64 v[18:19], v[18:19], v[6:7]
	v_add_f64 v[16:17], v[16:17], v[4:5]
	ds_load_b128 v[4:7], v23 offset:64
	ds_load_b128 v[8:11], v22 offset:2048
	s_waitcnt lgkmcnt(0)
	v_mul_f64 v[12:13], v[6:7], v[10:11]
	v_mul_f64 v[14:15], v[4:5], v[10:11]
	s_delay_alu instid0(VALU_DEP_2) | instskip(NEXT) | instid1(VALU_DEP_2)
	v_fma_f64 v[12:13], v[4:5], v[8:9], -v[12:13]
	v_fma_f64 v[14:15], v[6:7], v[8:9], v[14:15]
	s_delay_alu instid0(VALU_DEP_2) | instskip(NEXT) | instid1(VALU_DEP_2)
	v_add_f64 v[34:35], v[34:35], v[12:13]
	v_add_f64 v[36:37], v[36:37], v[14:15]
	ds_load_b128 v[12:15], v22 offset:2304
	s_waitcnt lgkmcnt(0)
	v_mul_f64 v[38:39], v[6:7], v[14:15]
	s_delay_alu instid0(VALU_DEP_1) | instskip(SKIP_1) | instid1(VALU_DEP_2)
	v_fma_f64 v[38:39], v[4:5], v[12:13], -v[38:39]
	v_mul_f64 v[4:5], v[4:5], v[14:15]
	v_add_f64 v[28:29], v[28:29], v[38:39]
	s_delay_alu instid0(VALU_DEP_2) | instskip(NEXT) | instid1(VALU_DEP_1)
	v_fma_f64 v[4:5], v[6:7], v[12:13], v[4:5]
	v_add_f64 v[26:27], v[26:27], v[4:5]
	ds_load_b128 v[4:7], v23 offset:2112
	s_waitcnt lgkmcnt(0)
	v_mul_f64 v[38:39], v[6:7], v[10:11]
	v_mul_f64 v[10:11], v[4:5], v[10:11]
	s_delay_alu instid0(VALU_DEP_2) | instskip(NEXT) | instid1(VALU_DEP_2)
	v_fma_f64 v[38:39], v[4:5], v[8:9], -v[38:39]
	v_fma_f64 v[8:9], v[6:7], v[8:9], v[10:11]
	s_delay_alu instid0(VALU_DEP_2) | instskip(NEXT) | instid1(VALU_DEP_2)
	v_add_f64 v[30:31], v[30:31], v[38:39]
	v_add_f64 v[32:33], v[32:33], v[8:9]
	v_mul_f64 v[8:9], v[6:7], v[14:15]
	s_delay_alu instid0(VALU_DEP_1) | instskip(SKIP_1) | instid1(VALU_DEP_2)
	v_fma_f64 v[8:9], v[4:5], v[12:13], -v[8:9]
	v_mul_f64 v[4:5], v[4:5], v[14:15]
	v_add_f64 v[16:17], v[16:17], v[8:9]
	s_delay_alu instid0(VALU_DEP_2) | instskip(NEXT) | instid1(VALU_DEP_1)
	v_fma_f64 v[4:5], v[6:7], v[12:13], v[4:5]
	v_add_f64 v[18:19], v[18:19], v[4:5]
	ds_load_b128 v[4:7], v23 offset:80
	ds_load_b128 v[8:11], v22 offset:2560
	s_waitcnt lgkmcnt(0)
	v_mul_f64 v[12:13], v[6:7], v[10:11]
	v_mul_f64 v[14:15], v[4:5], v[10:11]
	s_delay_alu instid0(VALU_DEP_2) | instskip(NEXT) | instid1(VALU_DEP_2)
	v_fma_f64 v[12:13], v[4:5], v[8:9], -v[12:13]
	v_fma_f64 v[14:15], v[6:7], v[8:9], v[14:15]
	s_delay_alu instid0(VALU_DEP_2) | instskip(NEXT) | instid1(VALU_DEP_2)
	v_add_f64 v[34:35], v[34:35], v[12:13]
	v_add_f64 v[36:37], v[36:37], v[14:15]
	ds_load_b128 v[12:15], v22 offset:2816
	s_waitcnt lgkmcnt(0)
	v_mul_f64 v[38:39], v[6:7], v[14:15]
	s_delay_alu instid0(VALU_DEP_1) | instskip(SKIP_1) | instid1(VALU_DEP_2)
	v_fma_f64 v[38:39], v[4:5], v[12:13], -v[38:39]
	v_mul_f64 v[4:5], v[4:5], v[14:15]
	v_add_f64 v[28:29], v[28:29], v[38:39]
	s_delay_alu instid0(VALU_DEP_2) | instskip(NEXT) | instid1(VALU_DEP_1)
	v_fma_f64 v[4:5], v[6:7], v[12:13], v[4:5]
	v_add_f64 v[26:27], v[26:27], v[4:5]
	ds_load_b128 v[4:7], v23 offset:2128
	s_waitcnt lgkmcnt(0)
	v_mul_f64 v[38:39], v[6:7], v[10:11]
	v_mul_f64 v[10:11], v[4:5], v[10:11]
	s_delay_alu instid0(VALU_DEP_2) | instskip(NEXT) | instid1(VALU_DEP_2)
	v_fma_f64 v[38:39], v[4:5], v[8:9], -v[38:39]
	v_fma_f64 v[8:9], v[6:7], v[8:9], v[10:11]
	s_delay_alu instid0(VALU_DEP_2) | instskip(NEXT) | instid1(VALU_DEP_2)
	v_add_f64 v[30:31], v[30:31], v[38:39]
	v_add_f64 v[32:33], v[32:33], v[8:9]
	v_mul_f64 v[8:9], v[6:7], v[14:15]
	s_delay_alu instid0(VALU_DEP_1) | instskip(SKIP_1) | instid1(VALU_DEP_2)
	v_fma_f64 v[8:9], v[4:5], v[12:13], -v[8:9]
	v_mul_f64 v[4:5], v[4:5], v[14:15]
	v_add_f64 v[16:17], v[16:17], v[8:9]
	s_delay_alu instid0(VALU_DEP_2) | instskip(NEXT) | instid1(VALU_DEP_1)
	v_fma_f64 v[4:5], v[6:7], v[12:13], v[4:5]
	v_add_f64 v[18:19], v[18:19], v[4:5]
	ds_load_b128 v[4:7], v23 offset:96
	ds_load_b128 v[8:11], v22 offset:3072
	s_waitcnt lgkmcnt(0)
	v_mul_f64 v[12:13], v[6:7], v[10:11]
	v_mul_f64 v[14:15], v[4:5], v[10:11]
	s_delay_alu instid0(VALU_DEP_2) | instskip(NEXT) | instid1(VALU_DEP_2)
	v_fma_f64 v[12:13], v[4:5], v[8:9], -v[12:13]
	v_fma_f64 v[14:15], v[6:7], v[8:9], v[14:15]
	s_delay_alu instid0(VALU_DEP_2) | instskip(NEXT) | instid1(VALU_DEP_2)
	v_add_f64 v[34:35], v[34:35], v[12:13]
	v_add_f64 v[36:37], v[36:37], v[14:15]
	ds_load_b128 v[12:15], v22 offset:3328
	s_waitcnt lgkmcnt(0)
	v_mul_f64 v[38:39], v[6:7], v[14:15]
	s_delay_alu instid0(VALU_DEP_1) | instskip(SKIP_1) | instid1(VALU_DEP_2)
	v_fma_f64 v[38:39], v[4:5], v[12:13], -v[38:39]
	v_mul_f64 v[4:5], v[4:5], v[14:15]
	v_add_f64 v[38:39], v[28:29], v[38:39]
	s_delay_alu instid0(VALU_DEP_2) | instskip(NEXT) | instid1(VALU_DEP_1)
	v_fma_f64 v[4:5], v[6:7], v[12:13], v[4:5]
	v_add_f64 v[40:41], v[26:27], v[4:5]
	ds_load_b128 v[4:7], v23 offset:2144
	s_waitcnt lgkmcnt(0)
	v_mul_f64 v[26:27], v[6:7], v[10:11]
	v_mul_f64 v[10:11], v[4:5], v[10:11]
	s_delay_alu instid0(VALU_DEP_2) | instskip(NEXT) | instid1(VALU_DEP_2)
	v_fma_f64 v[26:27], v[4:5], v[8:9], -v[26:27]
	v_fma_f64 v[8:9], v[6:7], v[8:9], v[10:11]
	s_delay_alu instid0(VALU_DEP_2) | instskip(NEXT) | instid1(VALU_DEP_2)
	v_add_f64 v[30:31], v[30:31], v[26:27]
	v_add_f64 v[32:33], v[32:33], v[8:9]
	v_mul_f64 v[8:9], v[6:7], v[14:15]
	s_delay_alu instid0(VALU_DEP_1) | instskip(SKIP_1) | instid1(VALU_DEP_2)
	v_fma_f64 v[8:9], v[4:5], v[12:13], -v[8:9]
	v_mul_f64 v[4:5], v[4:5], v[14:15]
	v_add_f64 v[42:43], v[16:17], v[8:9]
	s_delay_alu instid0(VALU_DEP_2) | instskip(NEXT) | instid1(VALU_DEP_1)
	v_fma_f64 v[4:5], v[6:7], v[12:13], v[4:5]
	v_add_f64 v[44:45], v[18:19], v[4:5]
	ds_load_b128 v[4:7], v23 offset:112
	ds_load_b128 v[12:15], v22 offset:3584
	;; [unrolled: 1-line block ×3, first 2 shown]
	s_waitcnt lgkmcnt(1)
	v_mul_f64 v[8:9], v[6:7], v[14:15]
	v_mul_f64 v[10:11], v[4:5], v[14:15]
	s_delay_alu instid0(VALU_DEP_2) | instskip(NEXT) | instid1(VALU_DEP_2)
	v_fma_f64 v[8:9], v[4:5], v[12:13], -v[8:9]
	v_fma_f64 v[10:11], v[6:7], v[12:13], v[10:11]
	s_delay_alu instid0(VALU_DEP_2) | instskip(SKIP_2) | instid1(VALU_DEP_3)
	v_add_f64 v[16:17], v[34:35], v[8:9]
	s_waitcnt lgkmcnt(0)
	v_mul_f64 v[8:9], v[6:7], v[28:29]
	v_add_f64 v[18:19], v[36:37], v[10:11]
	s_delay_alu instid0(VALU_DEP_2) | instskip(SKIP_1) | instid1(VALU_DEP_2)
	v_fma_f64 v[8:9], v[4:5], v[26:27], -v[8:9]
	v_mul_f64 v[4:5], v[4:5], v[28:29]
	v_add_f64 v[8:9], v[38:39], v[8:9]
	s_delay_alu instid0(VALU_DEP_2) | instskip(NEXT) | instid1(VALU_DEP_1)
	v_fma_f64 v[4:5], v[6:7], v[26:27], v[4:5]
	v_add_f64 v[10:11], v[40:41], v[4:5]
	ds_load_b128 v[4:7], v23 offset:2160
	s_waitcnt lgkmcnt(0)
	s_barrier
	buffer_gl0_inv
	v_mul_f64 v[34:35], v[6:7], v[14:15]
	v_mul_f64 v[14:15], v[4:5], v[14:15]
	s_delay_alu instid0(VALU_DEP_2) | instskip(NEXT) | instid1(VALU_DEP_2)
	v_fma_f64 v[34:35], v[4:5], v[12:13], -v[34:35]
	v_fma_f64 v[14:15], v[6:7], v[12:13], v[14:15]
	s_delay_alu instid0(VALU_DEP_2) | instskip(SKIP_1) | instid1(VALU_DEP_3)
	v_add_f64 v[12:13], v[30:31], v[34:35]
	v_mul_f64 v[30:31], v[6:7], v[28:29]
	v_add_f64 v[14:15], v[32:33], v[14:15]
	s_delay_alu instid0(VALU_DEP_2) | instskip(SKIP_1) | instid1(VALU_DEP_1)
	v_fma_f64 v[30:31], v[4:5], v[26:27], -v[30:31]
	v_mul_f64 v[4:5], v[4:5], v[28:29]
	v_fma_f64 v[4:5], v[6:7], v[26:27], v[4:5]
	s_delay_alu instid0(VALU_DEP_3) | instskip(NEXT) | instid1(VALU_DEP_2)
	v_add_f64 v[6:7], v[42:43], v[30:31]
	v_add_f64 v[4:5], v[44:45], v[4:5]
	s_cbranch_vccz .LBB1346_2
.LBB1346_3:
	v_add_nc_u32_e32 v21, s14, v21
	s_load_b32 s2, s[0:1], 0x0
	s_mul_i32 s1, s15, s39
	s_mul_hi_u32 s3, s15, s38
	s_mul_i32 s0, s15, s38
	v_ashrrev_i32_e32 v0, 31, v21
	v_mul_lo_u32 v3, v21, s37
	v_mad_u64_u32 v[1:2], null, v21, s36, 0
	s_add_i32 s1, s3, s1
	s_delay_alu instid0(VALU_DEP_3) | instskip(SKIP_1) | instid1(SALU_CYCLE_1)
	v_mul_lo_u32 v0, v0, s36
	s_lshl_b64 s[4:5], s[0:1], 4
	s_add_u32 s3, s10, s4
	s_addc_u32 s4, s11, s5
	s_delay_alu instid0(VALU_DEP_1) | instskip(SKIP_3) | instid1(VALU_DEP_3)
	v_add3_u32 v2, v2, v3, v0
	v_add_nc_u32_e32 v0, s33, v20
	s_waitcnt lgkmcnt(0)
	v_cmp_gt_i32_e32 vcc_lo, s2, v21
	v_lshlrev_b64 v[1:2], 4, v[1:2]
	s_delay_alu instid0(VALU_DEP_3) | instskip(NEXT) | instid1(VALU_DEP_1)
	v_cmp_le_i32_e64 s0, v0, v21
	s_and_b32 s0, vcc_lo, s0
	s_delay_alu instid0(VALU_DEP_2) | instskip(NEXT) | instid1(VALU_DEP_1)
	v_add_co_u32 v20, s1, s3, v1
	v_add_co_ci_u32_e64 v22, s1, s4, v2, s1
	s_and_saveexec_b32 s1, s0
	s_cbranch_execz .LBB1346_5
; %bb.4:
	v_ashrrev_i32_e32 v1, 31, v0
	v_mul_f64 v[27:28], s[18:19], v[18:19]
	v_mul_f64 v[18:19], s[20:21], v[18:19]
	s_delay_alu instid0(VALU_DEP_3) | instskip(NEXT) | instid1(VALU_DEP_1)
	v_lshlrev_b64 v[1:2], 4, v[0:1]
	v_add_co_u32 v1, s0, v20, v1
	s_delay_alu instid0(VALU_DEP_1)
	v_add_co_ci_u32_e64 v2, s0, v22, v2, s0
	v_cmp_ne_u32_e64 s0, v21, v0
	global_load_b128 v[23:26], v[1:2], off
	v_fma_f64 v[27:28], s[20:21], v[16:17], v[27:28]
	v_fma_f64 v[16:17], s[18:19], v[16:17], -v[18:19]
	s_waitcnt vmcnt(0)
	v_mul_f64 v[29:30], s[6:7], v[25:26]
	v_mul_f64 v[25:26], s[8:9], v[25:26]
	s_delay_alu instid0(VALU_DEP_2) | instskip(NEXT) | instid1(VALU_DEP_2)
	v_fma_f64 v[29:30], s[8:9], v[23:24], v[29:30]
	v_fma_f64 v[18:19], s[6:7], v[23:24], -v[25:26]
	s_delay_alu instid0(VALU_DEP_2) | instskip(NEXT) | instid1(VALU_DEP_2)
	v_add_f64 v[23:24], v[27:28], v[29:30]
	v_add_f64 v[16:17], v[16:17], v[18:19]
	s_delay_alu instid0(VALU_DEP_2) | instskip(NEXT) | instid1(VALU_DEP_3)
	v_cndmask_b32_e64 v19, 0, v24, s0
	v_cndmask_b32_e64 v18, 0, v23, s0
	global_store_b128 v[1:2], v[16:19], off
.LBB1346_5:
	s_or_b32 exec_lo, exec_lo, s1
	v_add_nc_u32_e32 v2, 16, v0
	s_delay_alu instid0(VALU_DEP_1) | instskip(NEXT) | instid1(VALU_DEP_1)
	v_cmp_le_i32_e64 s0, v2, v21
	s_and_b32 s1, vcc_lo, s0
	s_delay_alu instid0(SALU_CYCLE_1)
	s_and_saveexec_b32 s0, s1
	s_cbranch_execz .LBB1346_7
; %bb.6:
	v_ashrrev_i32_e32 v3, 31, v2
	v_mul_f64 v[25:26], s[18:19], v[10:11]
	v_mul_f64 v[10:11], s[20:21], v[10:11]
	s_delay_alu instid0(VALU_DEP_3) | instskip(NEXT) | instid1(VALU_DEP_1)
	v_lshlrev_b64 v[16:17], 4, v[2:3]
	v_add_co_u32 v23, vcc_lo, v20, v16
	s_delay_alu instid0(VALU_DEP_2)
	v_add_co_ci_u32_e32 v24, vcc_lo, v22, v17, vcc_lo
	v_cmp_ne_u32_e32 vcc_lo, v21, v2
	global_load_b128 v[16:19], v[23:24], off
	v_fma_f64 v[25:26], s[20:21], v[8:9], v[25:26]
	v_fma_f64 v[8:9], s[18:19], v[8:9], -v[10:11]
	s_waitcnt vmcnt(0)
	v_mul_f64 v[27:28], s[6:7], v[18:19]
	v_mul_f64 v[18:19], s[8:9], v[18:19]
	s_delay_alu instid0(VALU_DEP_2) | instskip(NEXT) | instid1(VALU_DEP_2)
	v_fma_f64 v[27:28], s[8:9], v[16:17], v[27:28]
	v_fma_f64 v[10:11], s[6:7], v[16:17], -v[18:19]
	s_delay_alu instid0(VALU_DEP_2) | instskip(NEXT) | instid1(VALU_DEP_2)
	v_add_f64 v[16:17], v[25:26], v[27:28]
	v_add_f64 v[8:9], v[8:9], v[10:11]
	s_delay_alu instid0(VALU_DEP_2)
	v_dual_cndmask_b32 v11, 0, v17 :: v_dual_cndmask_b32 v10, 0, v16
	global_store_b128 v[23:24], v[8:11], off
.LBB1346_7:
	s_or_b32 exec_lo, exec_lo, s0
	v_add_nc_u32_e32 v3, 16, v21
	s_delay_alu instid0(VALU_DEP_1) | instskip(SKIP_3) | instid1(VALU_DEP_4)
	v_ashrrev_i32_e32 v1, 31, v3
	v_mul_lo_u32 v10, v3, s37
	v_mad_u64_u32 v[8:9], null, v3, s36, 0
	v_cmp_gt_i32_e32 vcc_lo, s2, v3
	v_mul_lo_u32 v1, v1, s36
	v_cmp_le_i32_e64 s0, v0, v3
	s_delay_alu instid0(VALU_DEP_1) | instskip(NEXT) | instid1(VALU_DEP_2)
	s_and_b32 s0, vcc_lo, s0
	v_add3_u32 v9, v9, v10, v1
	s_delay_alu instid0(VALU_DEP_1) | instskip(NEXT) | instid1(VALU_DEP_1)
	v_lshlrev_b64 v[8:9], 4, v[8:9]
	v_add_co_u32 v8, s1, s3, v8
	s_delay_alu instid0(VALU_DEP_1)
	v_add_co_ci_u32_e64 v9, s1, s4, v9, s1
	s_and_saveexec_b32 s1, s0
	s_cbranch_execz .LBB1346_9
; %bb.8:
	v_ashrrev_i32_e32 v1, 31, v0
	s_delay_alu instid0(VALU_DEP_1) | instskip(NEXT) | instid1(VALU_DEP_1)
	v_lshlrev_b64 v[10:11], 4, v[0:1]
	v_add_co_u32 v22, s0, v8, v10
	s_delay_alu instid0(VALU_DEP_1)
	v_add_co_ci_u32_e64 v23, s0, v9, v11, s0
	v_mul_f64 v[10:11], s[18:19], v[14:15]
	v_mul_f64 v[14:15], s[20:21], v[14:15]
	v_cmp_ne_u32_e64 s0, v3, v0
	global_load_b128 v[16:19], v[22:23], off
	v_fma_f64 v[10:11], s[20:21], v[12:13], v[10:11]
	v_fma_f64 v[12:13], s[18:19], v[12:13], -v[14:15]
	s_waitcnt vmcnt(0)
	v_mul_f64 v[24:25], s[6:7], v[18:19]
	v_mul_f64 v[18:19], s[8:9], v[18:19]
	s_delay_alu instid0(VALU_DEP_2) | instskip(NEXT) | instid1(VALU_DEP_2)
	v_fma_f64 v[24:25], s[8:9], v[16:17], v[24:25]
	v_fma_f64 v[14:15], s[6:7], v[16:17], -v[18:19]
	s_delay_alu instid0(VALU_DEP_2) | instskip(NEXT) | instid1(VALU_DEP_2)
	v_add_f64 v[16:17], v[10:11], v[24:25]
	v_add_f64 v[10:11], v[12:13], v[14:15]
	s_delay_alu instid0(VALU_DEP_2) | instskip(NEXT) | instid1(VALU_DEP_3)
	v_cndmask_b32_e64 v13, 0, v17, s0
	v_cndmask_b32_e64 v12, 0, v16, s0
	global_store_b128 v[22:23], v[10:13], off
.LBB1346_9:
	s_or_b32 exec_lo, exec_lo, s1
	v_cmp_le_i32_e64 s0, v2, v3
	s_delay_alu instid0(VALU_DEP_1) | instskip(NEXT) | instid1(SALU_CYCLE_1)
	s_and_b32 s0, vcc_lo, s0
	s_and_saveexec_b32 s1, s0
	s_cbranch_execz .LBB1346_11
; %bb.10:
	v_ashrrev_i32_e32 v3, 31, v2
	s_delay_alu instid0(VALU_DEP_1) | instskip(NEXT) | instid1(VALU_DEP_1)
	v_lshlrev_b64 v[1:2], 4, v[2:3]
	v_add_co_u32 v12, vcc_lo, v8, v1
	s_delay_alu instid0(VALU_DEP_2)
	v_add_co_ci_u32_e32 v13, vcc_lo, v9, v2, vcc_lo
	v_mul_f64 v[1:2], s[18:19], v[4:5]
	v_mul_f64 v[3:4], s[20:21], v[4:5]
	v_cmp_ne_u32_e32 vcc_lo, v21, v0
	global_load_b128 v[8:11], v[12:13], off
	v_fma_f64 v[1:2], s[20:21], v[6:7], v[1:2]
	v_fma_f64 v[3:4], s[18:19], v[6:7], -v[3:4]
	s_waitcnt vmcnt(0)
	v_mul_f64 v[14:15], s[6:7], v[10:11]
	v_mul_f64 v[10:11], s[8:9], v[10:11]
	s_delay_alu instid0(VALU_DEP_2) | instskip(NEXT) | instid1(VALU_DEP_2)
	v_fma_f64 v[14:15], s[8:9], v[8:9], v[14:15]
	v_fma_f64 v[5:6], s[6:7], v[8:9], -v[10:11]
	s_delay_alu instid0(VALU_DEP_2) | instskip(NEXT) | instid1(VALU_DEP_2)
	v_add_f64 v[7:8], v[1:2], v[14:15]
	v_add_f64 v[1:2], v[3:4], v[5:6]
	s_delay_alu instid0(VALU_DEP_2)
	v_dual_cndmask_b32 v4, 0, v8 :: v_dual_cndmask_b32 v3, 0, v7
	global_store_b128 v[12:13], v[1:4], off
.LBB1346_11:
	s_nop 0
	s_sendmsg sendmsg(MSG_DEALLOC_VGPRS)
	s_endpgm
	.section	.rodata,"a",@progbits
	.p2align	6, 0x0
	.amdhsa_kernel _ZL37rocblas_syrkx_herkx_restricted_kernelIl19rocblas_complex_numIdELi16ELi32ELi8ELb0ELb1ELc78ELc85EKS1_S1_EviT_T0_PT8_S3_lS6_S3_lS4_PT9_S3_li
		.amdhsa_group_segment_fixed_size 8192
		.amdhsa_private_segment_fixed_size 0
		.amdhsa_kernarg_size 124
		.amdhsa_user_sgpr_count 13
		.amdhsa_user_sgpr_dispatch_ptr 0
		.amdhsa_user_sgpr_queue_ptr 0
		.amdhsa_user_sgpr_kernarg_segment_ptr 1
		.amdhsa_user_sgpr_dispatch_id 0
		.amdhsa_user_sgpr_private_segment_size 0
		.amdhsa_wavefront_size32 1
		.amdhsa_uses_dynamic_stack 0
		.amdhsa_enable_private_segment 0
		.amdhsa_system_sgpr_workgroup_id_x 1
		.amdhsa_system_sgpr_workgroup_id_y 1
		.amdhsa_system_sgpr_workgroup_id_z 1
		.amdhsa_system_sgpr_workgroup_info 0
		.amdhsa_system_vgpr_workitem_id 1
		.amdhsa_next_free_vgpr 52
		.amdhsa_next_free_sgpr 40
		.amdhsa_reserve_vcc 1
		.amdhsa_float_round_mode_32 0
		.amdhsa_float_round_mode_16_64 0
		.amdhsa_float_denorm_mode_32 3
		.amdhsa_float_denorm_mode_16_64 3
		.amdhsa_dx10_clamp 1
		.amdhsa_ieee_mode 1
		.amdhsa_fp16_overflow 0
		.amdhsa_workgroup_processor_mode 1
		.amdhsa_memory_ordered 1
		.amdhsa_forward_progress 0
		.amdhsa_shared_vgpr_count 0
		.amdhsa_exception_fp_ieee_invalid_op 0
		.amdhsa_exception_fp_denorm_src 0
		.amdhsa_exception_fp_ieee_div_zero 0
		.amdhsa_exception_fp_ieee_overflow 0
		.amdhsa_exception_fp_ieee_underflow 0
		.amdhsa_exception_fp_ieee_inexact 0
		.amdhsa_exception_int_div_zero 0
	.end_amdhsa_kernel
	.section	.text._ZL37rocblas_syrkx_herkx_restricted_kernelIl19rocblas_complex_numIdELi16ELi32ELi8ELb0ELb1ELc78ELc85EKS1_S1_EviT_T0_PT8_S3_lS6_S3_lS4_PT9_S3_li,"axG",@progbits,_ZL37rocblas_syrkx_herkx_restricted_kernelIl19rocblas_complex_numIdELi16ELi32ELi8ELb0ELb1ELc78ELc85EKS1_S1_EviT_T0_PT8_S3_lS6_S3_lS4_PT9_S3_li,comdat
.Lfunc_end1346:
	.size	_ZL37rocblas_syrkx_herkx_restricted_kernelIl19rocblas_complex_numIdELi16ELi32ELi8ELb0ELb1ELc78ELc85EKS1_S1_EviT_T0_PT8_S3_lS6_S3_lS4_PT9_S3_li, .Lfunc_end1346-_ZL37rocblas_syrkx_herkx_restricted_kernelIl19rocblas_complex_numIdELi16ELi32ELi8ELb0ELb1ELc78ELc85EKS1_S1_EviT_T0_PT8_S3_lS6_S3_lS4_PT9_S3_li
                                        ; -- End function
	.section	.AMDGPU.csdata,"",@progbits
; Kernel info:
; codeLenInByte = 3752
; NumSgprs: 42
; NumVgprs: 52
; ScratchSize: 0
; MemoryBound: 0
; FloatMode: 240
; IeeeMode: 1
; LDSByteSize: 8192 bytes/workgroup (compile time only)
; SGPRBlocks: 5
; VGPRBlocks: 6
; NumSGPRsForWavesPerEU: 42
; NumVGPRsForWavesPerEU: 52
; Occupancy: 16
; WaveLimiterHint : 0
; COMPUTE_PGM_RSRC2:SCRATCH_EN: 0
; COMPUTE_PGM_RSRC2:USER_SGPR: 13
; COMPUTE_PGM_RSRC2:TRAP_HANDLER: 0
; COMPUTE_PGM_RSRC2:TGID_X_EN: 1
; COMPUTE_PGM_RSRC2:TGID_Y_EN: 1
; COMPUTE_PGM_RSRC2:TGID_Z_EN: 1
; COMPUTE_PGM_RSRC2:TIDIG_COMP_CNT: 1
	.section	.text._ZL41rocblas_syrkx_herkx_small_restrict_kernelIl19rocblas_complex_numIdELi16ELb1ELb1ELc84ELc76EKS1_S1_EviT_T0_PT6_S3_lS6_S3_lS4_PT7_S3_li,"axG",@progbits,_ZL41rocblas_syrkx_herkx_small_restrict_kernelIl19rocblas_complex_numIdELi16ELb1ELb1ELc84ELc76EKS1_S1_EviT_T0_PT6_S3_lS6_S3_lS4_PT7_S3_li,comdat
	.globl	_ZL41rocblas_syrkx_herkx_small_restrict_kernelIl19rocblas_complex_numIdELi16ELb1ELb1ELc84ELc76EKS1_S1_EviT_T0_PT6_S3_lS6_S3_lS4_PT7_S3_li ; -- Begin function _ZL41rocblas_syrkx_herkx_small_restrict_kernelIl19rocblas_complex_numIdELi16ELb1ELb1ELc84ELc76EKS1_S1_EviT_T0_PT6_S3_lS6_S3_lS4_PT7_S3_li
	.p2align	8
	.type	_ZL41rocblas_syrkx_herkx_small_restrict_kernelIl19rocblas_complex_numIdELi16ELb1ELb1ELc84ELc76EKS1_S1_EviT_T0_PT6_S3_lS6_S3_lS4_PT7_S3_li,@function
_ZL41rocblas_syrkx_herkx_small_restrict_kernelIl19rocblas_complex_numIdELi16ELb1ELb1ELc84ELc76EKS1_S1_EviT_T0_PT6_S3_lS6_S3_lS4_PT7_S3_li: ; @_ZL41rocblas_syrkx_herkx_small_restrict_kernelIl19rocblas_complex_numIdELi16ELb1ELb1ELc84ELc76EKS1_S1_EviT_T0_PT6_S3_lS6_S3_lS4_PT7_S3_li
; %bb.0:
	s_load_b512 s[16:31], s[0:1], 0x8
	v_dual_mov_b32 v6, 0 :: v_dual_and_b32 v3, 0x3ff, v0
	v_bfe_u32 v2, v0, 10, 10
	v_mov_b32_e32 v7, 0
	s_delay_alu instid0(VALU_DEP_3) | instskip(NEXT) | instid1(VALU_DEP_3)
	v_lshl_add_u32 v0, s13, 4, v3
	v_lshl_add_u32 v10, s14, 4, v2
	s_delay_alu instid0(VALU_DEP_3) | instskip(NEXT) | instid1(VALU_DEP_3)
	v_dual_mov_b32 v9, v7 :: v_dual_mov_b32 v8, v6
	v_ashrrev_i32_e32 v1, 31, v0
	s_delay_alu instid0(VALU_DEP_3) | instskip(SKIP_2) | instid1(VALU_DEP_1)
	v_ashrrev_i32_e32 v11, 31, v10
	s_waitcnt lgkmcnt(0)
	v_cmp_lt_i64_e64 s2, s[16:17], 1
	s_and_b32 vcc_lo, exec_lo, s2
	s_cbranch_vccnz .LBB1347_3
; %bb.1:
	s_load_b64 s[2:3], s[0:1], 0x48
	v_mul_lo_u32 v9, s31, v10
	v_mul_lo_u32 v14, s30, v11
	v_mad_u64_u32 v[4:5], null, s30, v10, 0
	v_mul_lo_u32 v15, s25, v0
	v_mul_lo_u32 v16, s24, v1
	v_mad_u64_u32 v[6:7], null, s24, v0, 0
	v_lshlrev_b32_e32 v12, 4, v3
	s_mul_i32 s4, s27, s15
	v_add3_u32 v5, v5, v14, v9
	s_mul_hi_u32 s5, s26, s15
	v_lshlrev_b32_e32 v8, 8, v2
	s_add_i32 s5, s5, s4
	s_delay_alu instid0(VALU_DEP_4)
	v_add3_u32 v7, v7, v16, v15
	v_lshlrev_b64 v[3:4], 4, v[4:5]
	s_mul_i32 s4, s26, s15
	v_lshlrev_b32_e32 v2, 4, v2
	v_add_nc_u32_e32 v13, 0x1000, v8
	s_waitcnt lgkmcnt(0)
	s_mul_i32 s3, s3, s15
	s_mul_hi_u32 s6, s2, s15
	s_mul_i32 s2, s2, s15
	s_add_i32 s3, s6, s3
	v_lshlrev_b64 v[5:6], 4, v[6:7]
	s_lshl_b64 s[2:3], s[2:3], 4
	v_add_nc_u32_e32 v14, v12, v8
	v_add_co_u32 v3, vcc_lo, v3, s2
	v_add_co_ci_u32_e32 v4, vcc_lo, s3, v4, vcc_lo
	s_lshl_b64 s[2:3], s[4:5], 4
	s_delay_alu instid0(SALU_CYCLE_1) | instskip(SKIP_3) | instid1(VALU_DEP_4)
	v_add_co_u32 v5, vcc_lo, v5, s2
	v_add_co_ci_u32_e32 v6, vcc_lo, s3, v6, vcc_lo
	v_add_co_u32 v3, vcc_lo, v3, v12
	v_add_co_ci_u32_e32 v4, vcc_lo, 0, v4, vcc_lo
	v_add_co_u32 v5, vcc_lo, v5, v2
	s_delay_alu instid0(VALU_DEP_4)
	v_add_co_ci_u32_e32 v8, vcc_lo, 0, v6, vcc_lo
	v_mov_b32_e32 v6, 0
	v_mov_b32_e32 v7, 0
	v_add_co_u32 v2, vcc_lo, s28, v3
	v_add_co_ci_u32_e32 v3, vcc_lo, s29, v4, vcc_lo
	v_add_co_u32 v4, vcc_lo, s22, v5
	v_add_co_ci_u32_e32 v5, vcc_lo, s23, v8, vcc_lo
	v_mov_b32_e32 v9, v7
	v_dual_mov_b32 v8, v6 :: v_dual_add_nc_u32 v15, v13, v12
	s_mov_b64 s[2:3], 0
.LBB1347_2:                             ; =>This Inner Loop Header: Depth=1
	global_load_b128 v[16:19], v[4:5], off
	global_load_b128 v[20:23], v[2:3], off
	s_add_u32 s2, s2, 16
	v_add_co_u32 v2, vcc_lo, 0x100, v2
	s_addc_u32 s3, s3, 0
	v_add_co_ci_u32_e32 v3, vcc_lo, 0, v3, vcc_lo
	v_cmp_lt_i64_e64 s4, s[2:3], s[16:17]
	v_add_co_u32 v4, vcc_lo, 0x100, v4
	v_add_co_ci_u32_e32 v5, vcc_lo, 0, v5, vcc_lo
	s_waitcnt vmcnt(1)
	ds_store_2addr_b64 v14, v[16:17], v[18:19] offset1:1
	s_waitcnt vmcnt(0)
	ds_store_2addr_b64 v15, v[20:21], v[22:23] offset1:1
	s_waitcnt lgkmcnt(0)
	s_barrier
	buffer_gl0_inv
	ds_load_b128 v[16:19], v12
	ds_load_b128 v[20:23], v13
	ds_load_b128 v[24:27], v13 offset:16
	ds_load_b128 v[28:31], v12 offset:256
	s_and_b32 vcc_lo, exec_lo, s4
	s_waitcnt lgkmcnt(2)
	v_mul_f64 v[32:33], v[22:23], v[18:19]
	v_mul_f64 v[18:19], v[20:21], v[18:19]
	s_waitcnt lgkmcnt(0)
	v_mul_f64 v[38:39], v[26:27], v[30:31]
	v_mul_f64 v[40:41], v[24:25], v[30:31]
	s_delay_alu instid0(VALU_DEP_4) | instskip(NEXT) | instid1(VALU_DEP_4)
	v_fma_f64 v[42:43], v[20:21], v[16:17], -v[32:33]
	v_fma_f64 v[44:45], v[22:23], v[16:17], v[18:19]
	ds_load_b128 v[16:19], v12 offset:512
	ds_load_b128 v[20:23], v13 offset:32
	;; [unrolled: 1-line block ×4, first 2 shown]
	v_fma_f64 v[24:25], v[24:25], v[28:29], -v[38:39]
	v_fma_f64 v[26:27], v[26:27], v[28:29], v[40:41]
	s_waitcnt lgkmcnt(2)
	v_mul_f64 v[46:47], v[22:23], v[18:19]
	v_mul_f64 v[18:19], v[20:21], v[18:19]
	s_waitcnt lgkmcnt(0)
	v_mul_f64 v[28:29], v[32:33], v[36:37]
	v_mul_f64 v[36:37], v[30:31], v[36:37]
	v_add_f64 v[8:9], v[8:9], v[42:43]
	v_add_f64 v[6:7], v[6:7], v[44:45]
	v_fma_f64 v[38:39], v[20:21], v[16:17], -v[46:47]
	v_fma_f64 v[40:41], v[22:23], v[16:17], v[18:19]
	v_fma_f64 v[28:29], v[30:31], v[34:35], -v[28:29]
	v_fma_f64 v[30:31], v[32:33], v[34:35], v[36:37]
	v_add_f64 v[42:43], v[8:9], v[24:25]
	v_add_f64 v[44:45], v[6:7], v[26:27]
	ds_load_b128 v[6:9], v12 offset:1024
	ds_load_b128 v[16:19], v13 offset:64
	;; [unrolled: 1-line block ×4, first 2 shown]
	s_waitcnt lgkmcnt(2)
	v_mul_f64 v[46:47], v[18:19], v[8:9]
	v_mul_f64 v[8:9], v[16:17], v[8:9]
	s_waitcnt lgkmcnt(0)
	v_mul_f64 v[36:37], v[22:23], v[26:27]
	v_add_f64 v[32:33], v[42:43], v[38:39]
	v_add_f64 v[34:35], v[44:45], v[40:41]
	v_mul_f64 v[38:39], v[20:21], v[26:27]
	v_fma_f64 v[40:41], v[16:17], v[6:7], -v[46:47]
	v_fma_f64 v[42:43], v[18:19], v[6:7], v[8:9]
	v_fma_f64 v[20:21], v[20:21], v[24:25], -v[36:37]
	v_add_f64 v[44:45], v[32:33], v[28:29]
	v_add_f64 v[34:35], v[34:35], v[30:31]
	ds_load_b128 v[6:9], v12 offset:1536
	ds_load_b128 v[16:19], v13 offset:96
	;; [unrolled: 1-line block ×4, first 2 shown]
	v_fma_f64 v[22:23], v[22:23], v[24:25], v[38:39]
	s_waitcnt lgkmcnt(2)
	v_mul_f64 v[46:47], v[18:19], v[8:9]
	v_mul_f64 v[8:9], v[16:17], v[8:9]
	s_waitcnt lgkmcnt(0)
	v_mul_f64 v[36:37], v[28:29], v[32:33]
	v_mul_f64 v[38:39], v[26:27], v[32:33]
	v_add_f64 v[24:25], v[44:45], v[40:41]
	v_add_f64 v[34:35], v[34:35], v[42:43]
	v_fma_f64 v[40:41], v[16:17], v[6:7], -v[46:47]
	v_fma_f64 v[42:43], v[18:19], v[6:7], v[8:9]
	v_fma_f64 v[26:27], v[26:27], v[30:31], -v[36:37]
	v_fma_f64 v[28:29], v[28:29], v[30:31], v[38:39]
	v_add_f64 v[24:25], v[24:25], v[20:21]
	v_add_f64 v[44:45], v[34:35], v[22:23]
	ds_load_b128 v[6:9], v12 offset:2048
	ds_load_b128 v[16:19], v13 offset:128
	;; [unrolled: 1-line block ×4, first 2 shown]
	s_waitcnt lgkmcnt(2)
	v_mul_f64 v[46:47], v[18:19], v[8:9]
	v_mul_f64 v[8:9], v[16:17], v[8:9]
	s_waitcnt lgkmcnt(0)
	v_mul_f64 v[36:37], v[22:23], v[34:35]
	v_mul_f64 v[34:35], v[20:21], v[34:35]
	v_add_f64 v[24:25], v[24:25], v[40:41]
	v_add_f64 v[30:31], v[44:45], v[42:43]
	v_fma_f64 v[38:39], v[16:17], v[6:7], -v[46:47]
	v_fma_f64 v[40:41], v[18:19], v[6:7], v[8:9]
	v_fma_f64 v[20:21], v[20:21], v[32:33], -v[36:37]
	v_fma_f64 v[22:23], v[22:23], v[32:33], v[34:35]
	v_add_f64 v[42:43], v[24:25], v[26:27]
	v_add_f64 v[44:45], v[30:31], v[28:29]
	ds_load_b128 v[6:9], v12 offset:2560
	ds_load_b128 v[16:19], v13 offset:160
	;; [unrolled: 1-line block ×4, first 2 shown]
	s_waitcnt lgkmcnt(2)
	v_mul_f64 v[46:47], v[18:19], v[8:9]
	v_mul_f64 v[8:9], v[16:17], v[8:9]
	s_waitcnt lgkmcnt(0)
	v_mul_f64 v[36:37], v[26:27], v[30:31]
	v_add_f64 v[32:33], v[42:43], v[38:39]
	v_add_f64 v[34:35], v[44:45], v[40:41]
	v_mul_f64 v[38:39], v[24:25], v[30:31]
	v_fma_f64 v[40:41], v[16:17], v[6:7], -v[46:47]
	v_fma_f64 v[42:43], v[18:19], v[6:7], v[8:9]
	v_fma_f64 v[24:25], v[24:25], v[28:29], -v[36:37]
	v_add_f64 v[44:45], v[32:33], v[20:21]
	v_add_f64 v[34:35], v[34:35], v[22:23]
	ds_load_b128 v[6:9], v12 offset:3072
	ds_load_b128 v[16:19], v13 offset:192
	;; [unrolled: 1-line block ×4, first 2 shown]
	v_fma_f64 v[26:27], v[26:27], v[28:29], v[38:39]
	s_waitcnt lgkmcnt(2)
	v_mul_f64 v[46:47], v[18:19], v[8:9]
	v_mul_f64 v[8:9], v[16:17], v[8:9]
	s_waitcnt lgkmcnt(0)
	v_mul_f64 v[36:37], v[22:23], v[32:33]
	v_mul_f64 v[38:39], v[20:21], v[32:33]
	v_add_f64 v[28:29], v[44:45], v[40:41]
	v_add_f64 v[34:35], v[34:35], v[42:43]
	v_fma_f64 v[40:41], v[16:17], v[6:7], -v[46:47]
	v_fma_f64 v[42:43], v[18:19], v[6:7], v[8:9]
	v_fma_f64 v[20:21], v[20:21], v[30:31], -v[36:37]
	v_fma_f64 v[22:23], v[22:23], v[30:31], v[38:39]
	v_add_f64 v[28:29], v[28:29], v[24:25]
	v_add_f64 v[44:45], v[34:35], v[26:27]
	ds_load_b128 v[6:9], v12 offset:3584
	ds_load_b128 v[16:19], v13 offset:224
	ds_load_b128 v[24:27], v13 offset:240
	ds_load_b128 v[32:35], v12 offset:3840
	s_waitcnt lgkmcnt(0)
	s_barrier
	buffer_gl0_inv
	v_mul_f64 v[46:47], v[18:19], v[8:9]
	v_mul_f64 v[8:9], v[16:17], v[8:9]
	;; [unrolled: 1-line block ×4, first 2 shown]
	v_add_f64 v[28:29], v[28:29], v[40:41]
	v_add_f64 v[30:31], v[44:45], v[42:43]
	v_fma_f64 v[16:17], v[16:17], v[6:7], -v[46:47]
	v_fma_f64 v[6:7], v[18:19], v[6:7], v[8:9]
	s_delay_alu instid0(VALU_DEP_4) | instskip(NEXT) | instid1(VALU_DEP_4)
	v_add_f64 v[8:9], v[28:29], v[20:21]
	v_add_f64 v[18:19], v[30:31], v[22:23]
	v_fma_f64 v[20:21], v[24:25], v[32:33], -v[36:37]
	v_fma_f64 v[22:23], v[26:27], v[32:33], v[34:35]
	s_delay_alu instid0(VALU_DEP_4) | instskip(NEXT) | instid1(VALU_DEP_4)
	v_add_f64 v[8:9], v[8:9], v[16:17]
	v_add_f64 v[6:7], v[18:19], v[6:7]
	s_delay_alu instid0(VALU_DEP_2) | instskip(NEXT) | instid1(VALU_DEP_2)
	v_add_f64 v[8:9], v[8:9], v[20:21]
	v_add_f64 v[6:7], v[6:7], v[22:23]
	s_cbranch_vccnz .LBB1347_2
.LBB1347_3:
	s_mov_b32 s2, exec_lo
	v_cmpx_le_i32_e64 v10, v0
	s_cbranch_execz .LBB1347_5
; %bb.4:
	s_delay_alu instid0(VALU_DEP_2)
	v_mul_f64 v[2:3], s[18:19], v[6:7]
	v_mul_f64 v[4:5], s[20:21], v[6:7]
	s_clause 0x1
	s_load_b128 s[4:7], s[0:1], 0x60
	s_load_b64 s[0:1], s[0:1], 0x70
	s_waitcnt lgkmcnt(0)
	s_mul_i32 s1, s15, s1
	s_mul_hi_u32 s2, s15, s0
	s_mul_i32 s0, s15, s0
	s_add_i32 s1, s2, s1
	s_delay_alu instid0(SALU_CYCLE_1) | instskip(NEXT) | instid1(SALU_CYCLE_1)
	s_lshl_b64 s[0:1], s[0:1], 4
	s_add_u32 s0, s4, s0
	s_addc_u32 s1, s5, s1
	s_delay_alu instid0(VALU_DEP_2) | instskip(NEXT) | instid1(VALU_DEP_2)
	v_fma_f64 v[6:7], s[20:21], v[8:9], v[2:3]
	v_fma_f64 v[2:3], s[18:19], v[8:9], -v[4:5]
	v_mul_lo_u32 v8, v10, s7
	v_mul_lo_u32 v9, v11, s6
	v_mad_u64_u32 v[4:5], null, v10, s6, 0
	s_delay_alu instid0(VALU_DEP_1) | instskip(SKIP_1) | instid1(VALU_DEP_2)
	v_add3_u32 v5, v5, v8, v9
	v_lshlrev_b64 v[8:9], 4, v[0:1]
	v_lshlrev_b64 v[4:5], 4, v[4:5]
	s_delay_alu instid0(VALU_DEP_1) | instskip(NEXT) | instid1(VALU_DEP_2)
	v_add_co_u32 v1, vcc_lo, s0, v4
	v_add_co_ci_u32_e32 v4, vcc_lo, s1, v5, vcc_lo
	v_cmp_ne_u32_e32 vcc_lo, v0, v10
	s_delay_alu instid0(VALU_DEP_3) | instskip(NEXT) | instid1(VALU_DEP_1)
	v_add_co_u32 v0, s0, v1, v8
	v_add_co_ci_u32_e64 v1, s0, v4, v9, s0
	v_dual_cndmask_b32 v5, 0, v7 :: v_dual_cndmask_b32 v4, 0, v6
	global_store_b128 v[0:1], v[2:5], off
.LBB1347_5:
	s_nop 0
	s_sendmsg sendmsg(MSG_DEALLOC_VGPRS)
	s_endpgm
	.section	.rodata,"a",@progbits
	.p2align	6, 0x0
	.amdhsa_kernel _ZL41rocblas_syrkx_herkx_small_restrict_kernelIl19rocblas_complex_numIdELi16ELb1ELb1ELc84ELc76EKS1_S1_EviT_T0_PT6_S3_lS6_S3_lS4_PT7_S3_li
		.amdhsa_group_segment_fixed_size 8192
		.amdhsa_private_segment_fixed_size 0
		.amdhsa_kernarg_size 124
		.amdhsa_user_sgpr_count 13
		.amdhsa_user_sgpr_dispatch_ptr 0
		.amdhsa_user_sgpr_queue_ptr 0
		.amdhsa_user_sgpr_kernarg_segment_ptr 1
		.amdhsa_user_sgpr_dispatch_id 0
		.amdhsa_user_sgpr_private_segment_size 0
		.amdhsa_wavefront_size32 1
		.amdhsa_uses_dynamic_stack 0
		.amdhsa_enable_private_segment 0
		.amdhsa_system_sgpr_workgroup_id_x 1
		.amdhsa_system_sgpr_workgroup_id_y 1
		.amdhsa_system_sgpr_workgroup_id_z 1
		.amdhsa_system_sgpr_workgroup_info 0
		.amdhsa_system_vgpr_workitem_id 1
		.amdhsa_next_free_vgpr 48
		.amdhsa_next_free_sgpr 32
		.amdhsa_reserve_vcc 1
		.amdhsa_float_round_mode_32 0
		.amdhsa_float_round_mode_16_64 0
		.amdhsa_float_denorm_mode_32 3
		.amdhsa_float_denorm_mode_16_64 3
		.amdhsa_dx10_clamp 1
		.amdhsa_ieee_mode 1
		.amdhsa_fp16_overflow 0
		.amdhsa_workgroup_processor_mode 1
		.amdhsa_memory_ordered 1
		.amdhsa_forward_progress 0
		.amdhsa_shared_vgpr_count 0
		.amdhsa_exception_fp_ieee_invalid_op 0
		.amdhsa_exception_fp_denorm_src 0
		.amdhsa_exception_fp_ieee_div_zero 0
		.amdhsa_exception_fp_ieee_overflow 0
		.amdhsa_exception_fp_ieee_underflow 0
		.amdhsa_exception_fp_ieee_inexact 0
		.amdhsa_exception_int_div_zero 0
	.end_amdhsa_kernel
	.section	.text._ZL41rocblas_syrkx_herkx_small_restrict_kernelIl19rocblas_complex_numIdELi16ELb1ELb1ELc84ELc76EKS1_S1_EviT_T0_PT6_S3_lS6_S3_lS4_PT7_S3_li,"axG",@progbits,_ZL41rocblas_syrkx_herkx_small_restrict_kernelIl19rocblas_complex_numIdELi16ELb1ELb1ELc84ELc76EKS1_S1_EviT_T0_PT6_S3_lS6_S3_lS4_PT7_S3_li,comdat
.Lfunc_end1347:
	.size	_ZL41rocblas_syrkx_herkx_small_restrict_kernelIl19rocblas_complex_numIdELi16ELb1ELb1ELc84ELc76EKS1_S1_EviT_T0_PT6_S3_lS6_S3_lS4_PT7_S3_li, .Lfunc_end1347-_ZL41rocblas_syrkx_herkx_small_restrict_kernelIl19rocblas_complex_numIdELi16ELb1ELb1ELc84ELc76EKS1_S1_EviT_T0_PT6_S3_lS6_S3_lS4_PT7_S3_li
                                        ; -- End function
	.section	.AMDGPU.csdata,"",@progbits
; Kernel info:
; codeLenInByte = 1816
; NumSgprs: 34
; NumVgprs: 48
; ScratchSize: 0
; MemoryBound: 0
; FloatMode: 240
; IeeeMode: 1
; LDSByteSize: 8192 bytes/workgroup (compile time only)
; SGPRBlocks: 4
; VGPRBlocks: 5
; NumSGPRsForWavesPerEU: 34
; NumVGPRsForWavesPerEU: 48
; Occupancy: 16
; WaveLimiterHint : 0
; COMPUTE_PGM_RSRC2:SCRATCH_EN: 0
; COMPUTE_PGM_RSRC2:USER_SGPR: 13
; COMPUTE_PGM_RSRC2:TRAP_HANDLER: 0
; COMPUTE_PGM_RSRC2:TGID_X_EN: 1
; COMPUTE_PGM_RSRC2:TGID_Y_EN: 1
; COMPUTE_PGM_RSRC2:TGID_Z_EN: 1
; COMPUTE_PGM_RSRC2:TIDIG_COMP_CNT: 1
	.section	.text._ZL41rocblas_syrkx_herkx_small_restrict_kernelIl19rocblas_complex_numIdELi16ELb1ELb1ELc67ELc76EKS1_S1_EviT_T0_PT6_S3_lS6_S3_lS4_PT7_S3_li,"axG",@progbits,_ZL41rocblas_syrkx_herkx_small_restrict_kernelIl19rocblas_complex_numIdELi16ELb1ELb1ELc67ELc76EKS1_S1_EviT_T0_PT6_S3_lS6_S3_lS4_PT7_S3_li,comdat
	.globl	_ZL41rocblas_syrkx_herkx_small_restrict_kernelIl19rocblas_complex_numIdELi16ELb1ELb1ELc67ELc76EKS1_S1_EviT_T0_PT6_S3_lS6_S3_lS4_PT7_S3_li ; -- Begin function _ZL41rocblas_syrkx_herkx_small_restrict_kernelIl19rocblas_complex_numIdELi16ELb1ELb1ELc67ELc76EKS1_S1_EviT_T0_PT6_S3_lS6_S3_lS4_PT7_S3_li
	.p2align	8
	.type	_ZL41rocblas_syrkx_herkx_small_restrict_kernelIl19rocblas_complex_numIdELi16ELb1ELb1ELc67ELc76EKS1_S1_EviT_T0_PT6_S3_lS6_S3_lS4_PT7_S3_li,@function
_ZL41rocblas_syrkx_herkx_small_restrict_kernelIl19rocblas_complex_numIdELi16ELb1ELb1ELc67ELc76EKS1_S1_EviT_T0_PT6_S3_lS6_S3_lS4_PT7_S3_li: ; @_ZL41rocblas_syrkx_herkx_small_restrict_kernelIl19rocblas_complex_numIdELi16ELb1ELb1ELc67ELc76EKS1_S1_EviT_T0_PT6_S3_lS6_S3_lS4_PT7_S3_li
; %bb.0:
	s_load_b512 s[16:31], s[0:1], 0x8
	v_dual_mov_b32 v6, 0 :: v_dual_and_b32 v3, 0x3ff, v0
	v_bfe_u32 v2, v0, 10, 10
	v_mov_b32_e32 v7, 0
	s_delay_alu instid0(VALU_DEP_3) | instskip(NEXT) | instid1(VALU_DEP_3)
	v_lshl_add_u32 v0, s13, 4, v3
	v_lshl_add_u32 v10, s14, 4, v2
	s_delay_alu instid0(VALU_DEP_3) | instskip(NEXT) | instid1(VALU_DEP_3)
	v_dual_mov_b32 v9, v7 :: v_dual_mov_b32 v8, v6
	v_ashrrev_i32_e32 v1, 31, v0
	s_delay_alu instid0(VALU_DEP_3) | instskip(SKIP_2) | instid1(VALU_DEP_1)
	v_ashrrev_i32_e32 v11, 31, v10
	s_waitcnt lgkmcnt(0)
	v_cmp_lt_i64_e64 s2, s[16:17], 1
	s_and_b32 vcc_lo, exec_lo, s2
	s_cbranch_vccnz .LBB1348_3
; %bb.1:
	s_load_b64 s[2:3], s[0:1], 0x48
	v_mul_lo_u32 v9, s31, v10
	v_mul_lo_u32 v14, s30, v11
	v_mad_u64_u32 v[4:5], null, s30, v10, 0
	v_mul_lo_u32 v15, s25, v0
	v_mul_lo_u32 v16, s24, v1
	v_mad_u64_u32 v[6:7], null, s24, v0, 0
	v_lshlrev_b32_e32 v12, 4, v3
	s_mul_i32 s4, s27, s15
	v_add3_u32 v5, v5, v14, v9
	s_mul_hi_u32 s5, s26, s15
	v_lshlrev_b32_e32 v8, 8, v2
	s_add_i32 s5, s5, s4
	s_delay_alu instid0(VALU_DEP_4)
	v_add3_u32 v7, v7, v16, v15
	v_lshlrev_b64 v[3:4], 4, v[4:5]
	s_mul_i32 s4, s26, s15
	v_lshlrev_b32_e32 v2, 4, v2
	s_lshl_b64 s[4:5], s[4:5], 4
	v_lshlrev_b64 v[5:6], 4, v[6:7]
	s_waitcnt lgkmcnt(0)
	s_mul_i32 s3, s3, s15
	s_mul_hi_u32 s6, s2, s15
	s_mul_i32 s2, s2, s15
	s_add_i32 s3, s6, s3
	v_add_co_u32 v5, vcc_lo, v5, s4
	s_lshl_b64 s[2:3], s[2:3], 4
	v_add_co_ci_u32_e32 v6, vcc_lo, s5, v6, vcc_lo
	v_add_co_u32 v3, vcc_lo, v3, s2
	v_add_co_ci_u32_e32 v4, vcc_lo, s3, v4, vcc_lo
	v_add_co_u32 v2, vcc_lo, v5, v2
	s_delay_alu instid0(VALU_DEP_4) | instskip(NEXT) | instid1(VALU_DEP_4)
	v_add_co_ci_u32_e32 v5, vcc_lo, 0, v6, vcc_lo
	v_add_co_u32 v3, vcc_lo, v3, v12
	s_delay_alu instid0(VALU_DEP_4)
	v_add_co_ci_u32_e32 v4, vcc_lo, 0, v4, vcc_lo
	v_mov_b32_e32 v6, 0
	v_mov_b32_e32 v7, 0
	v_add_nc_u32_e32 v13, 0x1000, v8
	v_add_nc_u32_e32 v14, v12, v8
	v_add_co_u32 v8, vcc_lo, v2, s22
	v_add_co_ci_u32_e32 v5, vcc_lo, s23, v5, vcc_lo
	v_add_co_u32 v2, vcc_lo, s28, v3
	v_add_co_ci_u32_e32 v3, vcc_lo, s29, v4, vcc_lo
	s_delay_alu instid0(VALU_DEP_4)
	v_add_co_u32 v4, vcc_lo, v8, 8
	v_dual_mov_b32 v9, v7 :: v_dual_mov_b32 v8, v6
	v_add_nc_u32_e32 v15, v13, v12
	v_add_co_ci_u32_e32 v5, vcc_lo, 0, v5, vcc_lo
	s_mov_b64 s[2:3], 0
.LBB1348_2:                             ; =>This Inner Loop Header: Depth=1
	global_load_b128 v[16:19], v[4:5], off offset:-8
	global_load_b128 v[20:23], v[2:3], off
	s_add_u32 s2, s2, 16
	v_add_co_u32 v2, vcc_lo, 0x100, v2
	s_addc_u32 s3, s3, 0
	v_add_co_ci_u32_e32 v3, vcc_lo, 0, v3, vcc_lo
	v_cmp_lt_i64_e64 s4, s[2:3], s[16:17]
	v_add_co_u32 v4, vcc_lo, 0x100, v4
	v_add_co_ci_u32_e32 v5, vcc_lo, 0, v5, vcc_lo
	s_delay_alu instid0(VALU_DEP_3)
	s_and_b32 vcc_lo, exec_lo, s4
	s_waitcnt vmcnt(1)
	v_xor_b32_e32 v19, 0x80000000, v19
	ds_store_b128 v14, v[16:19]
	s_waitcnt vmcnt(0)
	ds_store_2addr_b64 v15, v[20:21], v[22:23] offset1:1
	s_waitcnt lgkmcnt(0)
	s_barrier
	buffer_gl0_inv
	ds_load_b128 v[16:19], v12
	ds_load_b128 v[20:23], v13
	ds_load_b128 v[24:27], v13 offset:16
	ds_load_b128 v[28:31], v12 offset:256
	s_waitcnt lgkmcnt(2)
	v_mul_f64 v[32:33], v[22:23], v[18:19]
	v_mul_f64 v[18:19], v[20:21], v[18:19]
	s_waitcnt lgkmcnt(0)
	v_mul_f64 v[38:39], v[26:27], v[30:31]
	v_mul_f64 v[40:41], v[24:25], v[30:31]
	s_delay_alu instid0(VALU_DEP_4) | instskip(NEXT) | instid1(VALU_DEP_4)
	v_fma_f64 v[42:43], v[20:21], v[16:17], -v[32:33]
	v_fma_f64 v[44:45], v[22:23], v[16:17], v[18:19]
	ds_load_b128 v[16:19], v12 offset:512
	ds_load_b128 v[20:23], v13 offset:32
	;; [unrolled: 1-line block ×4, first 2 shown]
	v_fma_f64 v[24:25], v[24:25], v[28:29], -v[38:39]
	v_fma_f64 v[26:27], v[26:27], v[28:29], v[40:41]
	s_waitcnt lgkmcnt(2)
	v_mul_f64 v[46:47], v[22:23], v[18:19]
	v_mul_f64 v[18:19], v[20:21], v[18:19]
	s_waitcnt lgkmcnt(0)
	v_mul_f64 v[28:29], v[32:33], v[36:37]
	v_mul_f64 v[36:37], v[30:31], v[36:37]
	v_add_f64 v[8:9], v[8:9], v[42:43]
	v_add_f64 v[6:7], v[6:7], v[44:45]
	v_fma_f64 v[38:39], v[20:21], v[16:17], -v[46:47]
	v_fma_f64 v[40:41], v[22:23], v[16:17], v[18:19]
	v_fma_f64 v[28:29], v[30:31], v[34:35], -v[28:29]
	v_fma_f64 v[30:31], v[32:33], v[34:35], v[36:37]
	v_add_f64 v[42:43], v[8:9], v[24:25]
	v_add_f64 v[44:45], v[6:7], v[26:27]
	ds_load_b128 v[6:9], v12 offset:1024
	ds_load_b128 v[16:19], v13 offset:64
	;; [unrolled: 1-line block ×4, first 2 shown]
	s_waitcnt lgkmcnt(2)
	v_mul_f64 v[46:47], v[18:19], v[8:9]
	v_mul_f64 v[8:9], v[16:17], v[8:9]
	s_waitcnt lgkmcnt(0)
	v_mul_f64 v[36:37], v[22:23], v[26:27]
	v_add_f64 v[32:33], v[42:43], v[38:39]
	v_add_f64 v[34:35], v[44:45], v[40:41]
	v_mul_f64 v[38:39], v[20:21], v[26:27]
	v_fma_f64 v[40:41], v[16:17], v[6:7], -v[46:47]
	v_fma_f64 v[42:43], v[18:19], v[6:7], v[8:9]
	v_fma_f64 v[20:21], v[20:21], v[24:25], -v[36:37]
	v_add_f64 v[44:45], v[32:33], v[28:29]
	v_add_f64 v[34:35], v[34:35], v[30:31]
	ds_load_b128 v[6:9], v12 offset:1536
	ds_load_b128 v[16:19], v13 offset:96
	;; [unrolled: 1-line block ×4, first 2 shown]
	v_fma_f64 v[22:23], v[22:23], v[24:25], v[38:39]
	s_waitcnt lgkmcnt(2)
	v_mul_f64 v[46:47], v[18:19], v[8:9]
	v_mul_f64 v[8:9], v[16:17], v[8:9]
	s_waitcnt lgkmcnt(0)
	v_mul_f64 v[36:37], v[28:29], v[32:33]
	v_mul_f64 v[38:39], v[26:27], v[32:33]
	v_add_f64 v[24:25], v[44:45], v[40:41]
	v_add_f64 v[34:35], v[34:35], v[42:43]
	v_fma_f64 v[40:41], v[16:17], v[6:7], -v[46:47]
	v_fma_f64 v[42:43], v[18:19], v[6:7], v[8:9]
	v_fma_f64 v[26:27], v[26:27], v[30:31], -v[36:37]
	v_fma_f64 v[28:29], v[28:29], v[30:31], v[38:39]
	v_add_f64 v[24:25], v[24:25], v[20:21]
	v_add_f64 v[44:45], v[34:35], v[22:23]
	ds_load_b128 v[6:9], v12 offset:2048
	ds_load_b128 v[16:19], v13 offset:128
	;; [unrolled: 1-line block ×4, first 2 shown]
	s_waitcnt lgkmcnt(2)
	v_mul_f64 v[46:47], v[18:19], v[8:9]
	v_mul_f64 v[8:9], v[16:17], v[8:9]
	s_waitcnt lgkmcnt(0)
	v_mul_f64 v[36:37], v[22:23], v[34:35]
	v_mul_f64 v[34:35], v[20:21], v[34:35]
	v_add_f64 v[24:25], v[24:25], v[40:41]
	v_add_f64 v[30:31], v[44:45], v[42:43]
	v_fma_f64 v[38:39], v[16:17], v[6:7], -v[46:47]
	v_fma_f64 v[40:41], v[18:19], v[6:7], v[8:9]
	v_fma_f64 v[20:21], v[20:21], v[32:33], -v[36:37]
	v_fma_f64 v[22:23], v[22:23], v[32:33], v[34:35]
	v_add_f64 v[42:43], v[24:25], v[26:27]
	v_add_f64 v[44:45], v[30:31], v[28:29]
	ds_load_b128 v[6:9], v12 offset:2560
	ds_load_b128 v[16:19], v13 offset:160
	;; [unrolled: 1-line block ×4, first 2 shown]
	s_waitcnt lgkmcnt(2)
	v_mul_f64 v[46:47], v[18:19], v[8:9]
	v_mul_f64 v[8:9], v[16:17], v[8:9]
	s_waitcnt lgkmcnt(0)
	v_mul_f64 v[36:37], v[26:27], v[30:31]
	v_add_f64 v[32:33], v[42:43], v[38:39]
	v_add_f64 v[34:35], v[44:45], v[40:41]
	v_mul_f64 v[38:39], v[24:25], v[30:31]
	v_fma_f64 v[40:41], v[16:17], v[6:7], -v[46:47]
	v_fma_f64 v[42:43], v[18:19], v[6:7], v[8:9]
	v_fma_f64 v[24:25], v[24:25], v[28:29], -v[36:37]
	v_add_f64 v[44:45], v[32:33], v[20:21]
	v_add_f64 v[34:35], v[34:35], v[22:23]
	ds_load_b128 v[6:9], v12 offset:3072
	ds_load_b128 v[16:19], v13 offset:192
	;; [unrolled: 1-line block ×4, first 2 shown]
	v_fma_f64 v[26:27], v[26:27], v[28:29], v[38:39]
	s_waitcnt lgkmcnt(2)
	v_mul_f64 v[46:47], v[18:19], v[8:9]
	v_mul_f64 v[8:9], v[16:17], v[8:9]
	s_waitcnt lgkmcnt(0)
	v_mul_f64 v[36:37], v[22:23], v[32:33]
	v_mul_f64 v[38:39], v[20:21], v[32:33]
	v_add_f64 v[28:29], v[44:45], v[40:41]
	v_add_f64 v[34:35], v[34:35], v[42:43]
	v_fma_f64 v[40:41], v[16:17], v[6:7], -v[46:47]
	v_fma_f64 v[42:43], v[18:19], v[6:7], v[8:9]
	v_fma_f64 v[20:21], v[20:21], v[30:31], -v[36:37]
	v_fma_f64 v[22:23], v[22:23], v[30:31], v[38:39]
	v_add_f64 v[28:29], v[28:29], v[24:25]
	v_add_f64 v[44:45], v[34:35], v[26:27]
	ds_load_b128 v[6:9], v12 offset:3584
	ds_load_b128 v[16:19], v13 offset:224
	;; [unrolled: 1-line block ×4, first 2 shown]
	s_waitcnt lgkmcnt(0)
	s_barrier
	buffer_gl0_inv
	v_mul_f64 v[46:47], v[18:19], v[8:9]
	v_mul_f64 v[8:9], v[16:17], v[8:9]
	;; [unrolled: 1-line block ×4, first 2 shown]
	v_add_f64 v[28:29], v[28:29], v[40:41]
	v_add_f64 v[30:31], v[44:45], v[42:43]
	v_fma_f64 v[16:17], v[16:17], v[6:7], -v[46:47]
	v_fma_f64 v[6:7], v[18:19], v[6:7], v[8:9]
	s_delay_alu instid0(VALU_DEP_4) | instskip(NEXT) | instid1(VALU_DEP_4)
	v_add_f64 v[8:9], v[28:29], v[20:21]
	v_add_f64 v[18:19], v[30:31], v[22:23]
	v_fma_f64 v[20:21], v[24:25], v[32:33], -v[36:37]
	v_fma_f64 v[22:23], v[26:27], v[32:33], v[34:35]
	s_delay_alu instid0(VALU_DEP_4) | instskip(NEXT) | instid1(VALU_DEP_4)
	v_add_f64 v[8:9], v[8:9], v[16:17]
	v_add_f64 v[6:7], v[18:19], v[6:7]
	s_delay_alu instid0(VALU_DEP_2) | instskip(NEXT) | instid1(VALU_DEP_2)
	v_add_f64 v[8:9], v[8:9], v[20:21]
	v_add_f64 v[6:7], v[6:7], v[22:23]
	s_cbranch_vccnz .LBB1348_2
.LBB1348_3:
	s_mov_b32 s2, exec_lo
	v_cmpx_le_i32_e64 v10, v0
	s_cbranch_execz .LBB1348_5
; %bb.4:
	s_delay_alu instid0(VALU_DEP_2)
	v_mul_f64 v[2:3], s[18:19], v[6:7]
	v_mul_f64 v[4:5], s[20:21], v[6:7]
	s_clause 0x1
	s_load_b128 s[4:7], s[0:1], 0x60
	s_load_b64 s[0:1], s[0:1], 0x70
	s_waitcnt lgkmcnt(0)
	s_mul_i32 s1, s15, s1
	s_mul_hi_u32 s2, s15, s0
	s_mul_i32 s0, s15, s0
	s_add_i32 s1, s2, s1
	s_delay_alu instid0(SALU_CYCLE_1) | instskip(NEXT) | instid1(SALU_CYCLE_1)
	s_lshl_b64 s[0:1], s[0:1], 4
	s_add_u32 s0, s4, s0
	s_addc_u32 s1, s5, s1
	s_delay_alu instid0(VALU_DEP_2) | instskip(NEXT) | instid1(VALU_DEP_2)
	v_fma_f64 v[6:7], s[20:21], v[8:9], v[2:3]
	v_fma_f64 v[2:3], s[18:19], v[8:9], -v[4:5]
	v_mul_lo_u32 v8, v10, s7
	v_mul_lo_u32 v9, v11, s6
	v_mad_u64_u32 v[4:5], null, v10, s6, 0
	s_delay_alu instid0(VALU_DEP_1) | instskip(SKIP_1) | instid1(VALU_DEP_2)
	v_add3_u32 v5, v5, v8, v9
	v_lshlrev_b64 v[8:9], 4, v[0:1]
	v_lshlrev_b64 v[4:5], 4, v[4:5]
	s_delay_alu instid0(VALU_DEP_1) | instskip(NEXT) | instid1(VALU_DEP_2)
	v_add_co_u32 v1, vcc_lo, s0, v4
	v_add_co_ci_u32_e32 v4, vcc_lo, s1, v5, vcc_lo
	v_cmp_ne_u32_e32 vcc_lo, v0, v10
	s_delay_alu instid0(VALU_DEP_3) | instskip(NEXT) | instid1(VALU_DEP_1)
	v_add_co_u32 v0, s0, v1, v8
	v_add_co_ci_u32_e64 v1, s0, v4, v9, s0
	v_dual_cndmask_b32 v5, 0, v7 :: v_dual_cndmask_b32 v4, 0, v6
	global_store_b128 v[0:1], v[2:5], off
.LBB1348_5:
	s_nop 0
	s_sendmsg sendmsg(MSG_DEALLOC_VGPRS)
	s_endpgm
	.section	.rodata,"a",@progbits
	.p2align	6, 0x0
	.amdhsa_kernel _ZL41rocblas_syrkx_herkx_small_restrict_kernelIl19rocblas_complex_numIdELi16ELb1ELb1ELc67ELc76EKS1_S1_EviT_T0_PT6_S3_lS6_S3_lS4_PT7_S3_li
		.amdhsa_group_segment_fixed_size 8192
		.amdhsa_private_segment_fixed_size 0
		.amdhsa_kernarg_size 124
		.amdhsa_user_sgpr_count 13
		.amdhsa_user_sgpr_dispatch_ptr 0
		.amdhsa_user_sgpr_queue_ptr 0
		.amdhsa_user_sgpr_kernarg_segment_ptr 1
		.amdhsa_user_sgpr_dispatch_id 0
		.amdhsa_user_sgpr_private_segment_size 0
		.amdhsa_wavefront_size32 1
		.amdhsa_uses_dynamic_stack 0
		.amdhsa_enable_private_segment 0
		.amdhsa_system_sgpr_workgroup_id_x 1
		.amdhsa_system_sgpr_workgroup_id_y 1
		.amdhsa_system_sgpr_workgroup_id_z 1
		.amdhsa_system_sgpr_workgroup_info 0
		.amdhsa_system_vgpr_workitem_id 1
		.amdhsa_next_free_vgpr 48
		.amdhsa_next_free_sgpr 32
		.amdhsa_reserve_vcc 1
		.amdhsa_float_round_mode_32 0
		.amdhsa_float_round_mode_16_64 0
		.amdhsa_float_denorm_mode_32 3
		.amdhsa_float_denorm_mode_16_64 3
		.amdhsa_dx10_clamp 1
		.amdhsa_ieee_mode 1
		.amdhsa_fp16_overflow 0
		.amdhsa_workgroup_processor_mode 1
		.amdhsa_memory_ordered 1
		.amdhsa_forward_progress 0
		.amdhsa_shared_vgpr_count 0
		.amdhsa_exception_fp_ieee_invalid_op 0
		.amdhsa_exception_fp_denorm_src 0
		.amdhsa_exception_fp_ieee_div_zero 0
		.amdhsa_exception_fp_ieee_overflow 0
		.amdhsa_exception_fp_ieee_underflow 0
		.amdhsa_exception_fp_ieee_inexact 0
		.amdhsa_exception_int_div_zero 0
	.end_amdhsa_kernel
	.section	.text._ZL41rocblas_syrkx_herkx_small_restrict_kernelIl19rocblas_complex_numIdELi16ELb1ELb1ELc67ELc76EKS1_S1_EviT_T0_PT6_S3_lS6_S3_lS4_PT7_S3_li,"axG",@progbits,_ZL41rocblas_syrkx_herkx_small_restrict_kernelIl19rocblas_complex_numIdELi16ELb1ELb1ELc67ELc76EKS1_S1_EviT_T0_PT6_S3_lS6_S3_lS4_PT7_S3_li,comdat
.Lfunc_end1348:
	.size	_ZL41rocblas_syrkx_herkx_small_restrict_kernelIl19rocblas_complex_numIdELi16ELb1ELb1ELc67ELc76EKS1_S1_EviT_T0_PT6_S3_lS6_S3_lS4_PT7_S3_li, .Lfunc_end1348-_ZL41rocblas_syrkx_herkx_small_restrict_kernelIl19rocblas_complex_numIdELi16ELb1ELb1ELc67ELc76EKS1_S1_EviT_T0_PT6_S3_lS6_S3_lS4_PT7_S3_li
                                        ; -- End function
	.section	.AMDGPU.csdata,"",@progbits
; Kernel info:
; codeLenInByte = 1844
; NumSgprs: 34
; NumVgprs: 48
; ScratchSize: 0
; MemoryBound: 0
; FloatMode: 240
; IeeeMode: 1
; LDSByteSize: 8192 bytes/workgroup (compile time only)
; SGPRBlocks: 4
; VGPRBlocks: 5
; NumSGPRsForWavesPerEU: 34
; NumVGPRsForWavesPerEU: 48
; Occupancy: 16
; WaveLimiterHint : 0
; COMPUTE_PGM_RSRC2:SCRATCH_EN: 0
; COMPUTE_PGM_RSRC2:USER_SGPR: 13
; COMPUTE_PGM_RSRC2:TRAP_HANDLER: 0
; COMPUTE_PGM_RSRC2:TGID_X_EN: 1
; COMPUTE_PGM_RSRC2:TGID_Y_EN: 1
; COMPUTE_PGM_RSRC2:TGID_Z_EN: 1
; COMPUTE_PGM_RSRC2:TIDIG_COMP_CNT: 1
	.section	.text._ZL41rocblas_syrkx_herkx_small_restrict_kernelIl19rocblas_complex_numIdELi16ELb1ELb1ELc78ELc76EKS1_S1_EviT_T0_PT6_S3_lS6_S3_lS4_PT7_S3_li,"axG",@progbits,_ZL41rocblas_syrkx_herkx_small_restrict_kernelIl19rocblas_complex_numIdELi16ELb1ELb1ELc78ELc76EKS1_S1_EviT_T0_PT6_S3_lS6_S3_lS4_PT7_S3_li,comdat
	.globl	_ZL41rocblas_syrkx_herkx_small_restrict_kernelIl19rocblas_complex_numIdELi16ELb1ELb1ELc78ELc76EKS1_S1_EviT_T0_PT6_S3_lS6_S3_lS4_PT7_S3_li ; -- Begin function _ZL41rocblas_syrkx_herkx_small_restrict_kernelIl19rocblas_complex_numIdELi16ELb1ELb1ELc78ELc76EKS1_S1_EviT_T0_PT6_S3_lS6_S3_lS4_PT7_S3_li
	.p2align	8
	.type	_ZL41rocblas_syrkx_herkx_small_restrict_kernelIl19rocblas_complex_numIdELi16ELb1ELb1ELc78ELc76EKS1_S1_EviT_T0_PT6_S3_lS6_S3_lS4_PT7_S3_li,@function
_ZL41rocblas_syrkx_herkx_small_restrict_kernelIl19rocblas_complex_numIdELi16ELb1ELb1ELc78ELc76EKS1_S1_EviT_T0_PT6_S3_lS6_S3_lS4_PT7_S3_li: ; @_ZL41rocblas_syrkx_herkx_small_restrict_kernelIl19rocblas_complex_numIdELi16ELb1ELb1ELc78ELc76EKS1_S1_EviT_T0_PT6_S3_lS6_S3_lS4_PT7_S3_li
; %bb.0:
	s_load_b512 s[16:31], s[0:1], 0x8
	v_dual_mov_b32 v8, 0 :: v_dual_and_b32 v5, 0x3ff, v0
	v_bfe_u32 v4, v0, 10, 10
	v_mov_b32_e32 v9, 0
	s_delay_alu instid0(VALU_DEP_3) | instskip(NEXT) | instid1(VALU_DEP_3)
	v_lshl_add_u32 v0, s13, 4, v5
	v_lshl_add_u32 v2, s14, 4, v4
	s_delay_alu instid0(VALU_DEP_3) | instskip(NEXT) | instid1(VALU_DEP_3)
	v_dual_mov_b32 v11, v9 :: v_dual_mov_b32 v10, v8
	v_ashrrev_i32_e32 v1, 31, v0
	s_delay_alu instid0(VALU_DEP_3) | instskip(SKIP_2) | instid1(VALU_DEP_1)
	v_ashrrev_i32_e32 v3, 31, v2
	s_waitcnt lgkmcnt(0)
	v_cmp_lt_i64_e64 s2, s[16:17], 1
	s_and_b32 vcc_lo, exec_lo, s2
	s_cbranch_vccnz .LBB1349_3
; %bb.1:
	v_mad_u64_u32 v[6:7], null, s30, v5, 0
	v_mad_u64_u32 v[8:9], null, s24, v4, 0
	s_load_b64 s[2:3], s[0:1], 0x48
	v_lshlrev_b32_e32 v18, 8, v4
	s_mul_i32 s5, s27, s15
	s_mul_hi_u32 s6, s26, s15
	v_lshlrev_b64 v[10:11], 4, v[2:3]
	s_add_i32 s5, s6, s5
	s_delay_alu instid0(VALU_DEP_3) | instskip(SKIP_3) | instid1(VALU_DEP_2)
	v_mad_u64_u32 v[14:15], null, s31, v5, v[7:8]
	v_dual_mov_b32 v5, v9 :: v_dual_lshlrev_b32 v12, 4, v5
	s_mul_i32 s4, s26, s15
	v_add_nc_u32_e32 v13, 0x1000, v18
	v_mad_u64_u32 v[16:17], null, s25, v4, v[5:6]
	s_delay_alu instid0(VALU_DEP_3) | instskip(SKIP_3) | instid1(VALU_DEP_1)
	v_dual_mov_b32 v7, v14 :: v_dual_add_nc_u32 v14, v12, v18
	s_waitcnt lgkmcnt(0)
	s_mul_i32 s3, s3, s15
	s_mul_hi_u32 s6, s2, s15
	v_lshlrev_b64 v[4:5], 4, v[6:7]
	s_mul_i32 s2, s2, s15
	s_add_i32 s3, s6, s3
	v_mov_b32_e32 v9, v16
	s_lshl_b64 s[2:3], s[2:3], 4
	s_mov_b64 s[6:7], 0
	v_add_co_u32 v6, vcc_lo, s2, v4
	v_add_co_ci_u32_e32 v7, vcc_lo, s3, v5, vcc_lo
	v_lshlrev_b64 v[4:5], 4, v[8:9]
	s_delay_alu instid0(VALU_DEP_3) | instskip(SKIP_1) | instid1(VALU_DEP_3)
	v_add_co_u32 v6, vcc_lo, v6, v10
	s_lshl_b64 s[2:3], s[4:5], 4
	v_add_co_ci_u32_e32 v7, vcc_lo, v7, v11, vcc_lo
	s_delay_alu instid0(VALU_DEP_3) | instskip(NEXT) | instid1(VALU_DEP_4)
	v_add_co_u32 v8, vcc_lo, s2, v4
	v_add_co_ci_u32_e32 v9, vcc_lo, s3, v5, vcc_lo
	v_lshlrev_b64 v[4:5], 4, v[0:1]
	v_add_co_u32 v6, vcc_lo, v6, s28
	v_add_co_ci_u32_e32 v7, vcc_lo, s29, v7, vcc_lo
	s_lshl_b64 s[2:3], s[30:31], 8
	s_delay_alu instid0(VALU_DEP_3) | instskip(NEXT) | instid1(VALU_DEP_4)
	v_add_co_u32 v10, vcc_lo, v8, v4
	v_add_co_ci_u32_e32 v11, vcc_lo, v9, v5, vcc_lo
	v_mov_b32_e32 v8, 0
	v_mov_b32_e32 v9, 0
	v_add_co_u32 v4, vcc_lo, v6, 8
	v_add_co_ci_u32_e32 v5, vcc_lo, 0, v7, vcc_lo
	v_add_co_u32 v6, vcc_lo, s22, v10
	v_add_co_ci_u32_e32 v7, vcc_lo, s23, v11, vcc_lo
	v_mov_b32_e32 v11, v9
	v_dual_mov_b32 v10, v8 :: v_dual_add_nc_u32 v15, v13, v12
	s_lshl_b64 s[4:5], s[24:25], 8
.LBB1349_2:                             ; =>This Inner Loop Header: Depth=1
	global_load_b128 v[16:19], v[4:5], off offset:-8
	global_load_b128 v[20:23], v[6:7], off
	s_add_u32 s6, s6, 16
	v_add_co_u32 v4, vcc_lo, v4, s2
	s_addc_u32 s7, s7, 0
	v_add_co_ci_u32_e32 v5, vcc_lo, s3, v5, vcc_lo
	v_cmp_lt_i64_e64 s8, s[6:7], s[16:17]
	v_add_co_u32 v6, vcc_lo, v6, s4
	v_add_co_ci_u32_e32 v7, vcc_lo, s5, v7, vcc_lo
	s_delay_alu instid0(VALU_DEP_3)
	s_and_b32 vcc_lo, exec_lo, s8
	s_waitcnt vmcnt(1)
	v_xor_b32_e32 v19, 0x80000000, v19
	s_waitcnt vmcnt(0)
	ds_store_2addr_b64 v14, v[20:21], v[22:23] offset1:1
	ds_store_b128 v15, v[16:19]
	s_waitcnt lgkmcnt(0)
	s_barrier
	buffer_gl0_inv
	ds_load_b128 v[16:19], v12
	ds_load_b128 v[20:23], v13
	ds_load_b128 v[24:27], v13 offset:16
	ds_load_b128 v[28:31], v12 offset:256
	s_waitcnt lgkmcnt(2)
	v_mul_f64 v[32:33], v[22:23], v[18:19]
	v_mul_f64 v[18:19], v[20:21], v[18:19]
	s_waitcnt lgkmcnt(0)
	v_mul_f64 v[38:39], v[26:27], v[30:31]
	v_mul_f64 v[40:41], v[24:25], v[30:31]
	s_delay_alu instid0(VALU_DEP_4) | instskip(NEXT) | instid1(VALU_DEP_4)
	v_fma_f64 v[42:43], v[20:21], v[16:17], -v[32:33]
	v_fma_f64 v[44:45], v[22:23], v[16:17], v[18:19]
	ds_load_b128 v[16:19], v12 offset:512
	ds_load_b128 v[20:23], v13 offset:32
	;; [unrolled: 1-line block ×4, first 2 shown]
	v_fma_f64 v[24:25], v[24:25], v[28:29], -v[38:39]
	v_fma_f64 v[26:27], v[26:27], v[28:29], v[40:41]
	s_waitcnt lgkmcnt(2)
	v_mul_f64 v[46:47], v[22:23], v[18:19]
	v_mul_f64 v[18:19], v[20:21], v[18:19]
	s_waitcnt lgkmcnt(0)
	v_mul_f64 v[28:29], v[32:33], v[36:37]
	v_mul_f64 v[36:37], v[30:31], v[36:37]
	v_add_f64 v[10:11], v[10:11], v[42:43]
	v_add_f64 v[8:9], v[8:9], v[44:45]
	v_fma_f64 v[38:39], v[20:21], v[16:17], -v[46:47]
	v_fma_f64 v[40:41], v[22:23], v[16:17], v[18:19]
	v_fma_f64 v[28:29], v[30:31], v[34:35], -v[28:29]
	v_fma_f64 v[30:31], v[32:33], v[34:35], v[36:37]
	v_add_f64 v[42:43], v[10:11], v[24:25]
	v_add_f64 v[44:45], v[8:9], v[26:27]
	ds_load_b128 v[8:11], v12 offset:1024
	ds_load_b128 v[16:19], v13 offset:64
	;; [unrolled: 1-line block ×4, first 2 shown]
	s_waitcnt lgkmcnt(2)
	v_mul_f64 v[46:47], v[18:19], v[10:11]
	v_mul_f64 v[10:11], v[16:17], v[10:11]
	s_waitcnt lgkmcnt(0)
	v_mul_f64 v[36:37], v[22:23], v[26:27]
	v_add_f64 v[32:33], v[42:43], v[38:39]
	v_add_f64 v[34:35], v[44:45], v[40:41]
	v_mul_f64 v[38:39], v[20:21], v[26:27]
	v_fma_f64 v[40:41], v[16:17], v[8:9], -v[46:47]
	v_fma_f64 v[42:43], v[18:19], v[8:9], v[10:11]
	v_fma_f64 v[20:21], v[20:21], v[24:25], -v[36:37]
	v_add_f64 v[44:45], v[32:33], v[28:29]
	v_add_f64 v[34:35], v[34:35], v[30:31]
	ds_load_b128 v[8:11], v12 offset:1536
	ds_load_b128 v[16:19], v13 offset:96
	;; [unrolled: 1-line block ×4, first 2 shown]
	v_fma_f64 v[22:23], v[22:23], v[24:25], v[38:39]
	s_waitcnt lgkmcnt(2)
	v_mul_f64 v[46:47], v[18:19], v[10:11]
	v_mul_f64 v[10:11], v[16:17], v[10:11]
	s_waitcnt lgkmcnt(0)
	v_mul_f64 v[36:37], v[28:29], v[32:33]
	v_mul_f64 v[38:39], v[26:27], v[32:33]
	v_add_f64 v[24:25], v[44:45], v[40:41]
	v_add_f64 v[34:35], v[34:35], v[42:43]
	v_fma_f64 v[40:41], v[16:17], v[8:9], -v[46:47]
	v_fma_f64 v[42:43], v[18:19], v[8:9], v[10:11]
	v_fma_f64 v[26:27], v[26:27], v[30:31], -v[36:37]
	v_fma_f64 v[28:29], v[28:29], v[30:31], v[38:39]
	v_add_f64 v[24:25], v[24:25], v[20:21]
	v_add_f64 v[44:45], v[34:35], v[22:23]
	ds_load_b128 v[8:11], v12 offset:2048
	ds_load_b128 v[16:19], v13 offset:128
	;; [unrolled: 1-line block ×4, first 2 shown]
	s_waitcnt lgkmcnt(2)
	v_mul_f64 v[46:47], v[18:19], v[10:11]
	v_mul_f64 v[10:11], v[16:17], v[10:11]
	s_waitcnt lgkmcnt(0)
	v_mul_f64 v[36:37], v[22:23], v[34:35]
	v_mul_f64 v[34:35], v[20:21], v[34:35]
	v_add_f64 v[24:25], v[24:25], v[40:41]
	v_add_f64 v[30:31], v[44:45], v[42:43]
	v_fma_f64 v[38:39], v[16:17], v[8:9], -v[46:47]
	v_fma_f64 v[40:41], v[18:19], v[8:9], v[10:11]
	v_fma_f64 v[20:21], v[20:21], v[32:33], -v[36:37]
	v_fma_f64 v[22:23], v[22:23], v[32:33], v[34:35]
	v_add_f64 v[42:43], v[24:25], v[26:27]
	v_add_f64 v[44:45], v[30:31], v[28:29]
	ds_load_b128 v[8:11], v12 offset:2560
	ds_load_b128 v[16:19], v13 offset:160
	;; [unrolled: 1-line block ×4, first 2 shown]
	s_waitcnt lgkmcnt(2)
	v_mul_f64 v[46:47], v[18:19], v[10:11]
	v_mul_f64 v[10:11], v[16:17], v[10:11]
	s_waitcnt lgkmcnt(0)
	v_mul_f64 v[36:37], v[26:27], v[30:31]
	v_add_f64 v[32:33], v[42:43], v[38:39]
	v_add_f64 v[34:35], v[44:45], v[40:41]
	v_mul_f64 v[38:39], v[24:25], v[30:31]
	v_fma_f64 v[40:41], v[16:17], v[8:9], -v[46:47]
	v_fma_f64 v[42:43], v[18:19], v[8:9], v[10:11]
	v_fma_f64 v[24:25], v[24:25], v[28:29], -v[36:37]
	v_add_f64 v[44:45], v[32:33], v[20:21]
	v_add_f64 v[34:35], v[34:35], v[22:23]
	ds_load_b128 v[8:11], v12 offset:3072
	ds_load_b128 v[16:19], v13 offset:192
	;; [unrolled: 1-line block ×4, first 2 shown]
	v_fma_f64 v[26:27], v[26:27], v[28:29], v[38:39]
	s_waitcnt lgkmcnt(2)
	v_mul_f64 v[46:47], v[18:19], v[10:11]
	v_mul_f64 v[10:11], v[16:17], v[10:11]
	s_waitcnt lgkmcnt(0)
	v_mul_f64 v[36:37], v[22:23], v[32:33]
	v_mul_f64 v[38:39], v[20:21], v[32:33]
	v_add_f64 v[28:29], v[44:45], v[40:41]
	v_add_f64 v[34:35], v[34:35], v[42:43]
	v_fma_f64 v[40:41], v[16:17], v[8:9], -v[46:47]
	v_fma_f64 v[42:43], v[18:19], v[8:9], v[10:11]
	v_fma_f64 v[20:21], v[20:21], v[30:31], -v[36:37]
	v_fma_f64 v[22:23], v[22:23], v[30:31], v[38:39]
	v_add_f64 v[28:29], v[28:29], v[24:25]
	v_add_f64 v[44:45], v[34:35], v[26:27]
	ds_load_b128 v[8:11], v12 offset:3584
	ds_load_b128 v[16:19], v13 offset:224
	;; [unrolled: 1-line block ×4, first 2 shown]
	s_waitcnt lgkmcnt(0)
	s_barrier
	buffer_gl0_inv
	v_mul_f64 v[46:47], v[18:19], v[10:11]
	v_mul_f64 v[10:11], v[16:17], v[10:11]
	;; [unrolled: 1-line block ×4, first 2 shown]
	v_add_f64 v[28:29], v[28:29], v[40:41]
	v_add_f64 v[30:31], v[44:45], v[42:43]
	v_fma_f64 v[16:17], v[16:17], v[8:9], -v[46:47]
	v_fma_f64 v[8:9], v[18:19], v[8:9], v[10:11]
	s_delay_alu instid0(VALU_DEP_4) | instskip(NEXT) | instid1(VALU_DEP_4)
	v_add_f64 v[10:11], v[28:29], v[20:21]
	v_add_f64 v[18:19], v[30:31], v[22:23]
	v_fma_f64 v[20:21], v[24:25], v[32:33], -v[36:37]
	v_fma_f64 v[22:23], v[26:27], v[32:33], v[34:35]
	s_delay_alu instid0(VALU_DEP_4) | instskip(NEXT) | instid1(VALU_DEP_4)
	v_add_f64 v[10:11], v[10:11], v[16:17]
	v_add_f64 v[8:9], v[18:19], v[8:9]
	s_delay_alu instid0(VALU_DEP_2) | instskip(NEXT) | instid1(VALU_DEP_2)
	v_add_f64 v[10:11], v[10:11], v[20:21]
	v_add_f64 v[8:9], v[8:9], v[22:23]
	s_cbranch_vccnz .LBB1349_2
.LBB1349_3:
	s_mov_b32 s2, exec_lo
	v_cmpx_le_i32_e64 v2, v0
	s_cbranch_execz .LBB1349_5
; %bb.4:
	s_delay_alu instid0(VALU_DEP_2)
	v_mul_f64 v[4:5], s[18:19], v[8:9]
	v_mul_f64 v[6:7], s[20:21], v[8:9]
	s_clause 0x1
	s_load_b128 s[4:7], s[0:1], 0x60
	s_load_b64 s[0:1], s[0:1], 0x70
	s_waitcnt lgkmcnt(0)
	v_mul_lo_u32 v3, v3, s6
	s_mul_i32 s1, s15, s1
	s_mul_hi_u32 s2, s15, s0
	s_mul_i32 s0, s15, s0
	s_add_i32 s1, s2, s1
	s_delay_alu instid0(SALU_CYCLE_1) | instskip(NEXT) | instid1(SALU_CYCLE_1)
	s_lshl_b64 s[0:1], s[0:1], 4
	s_add_u32 s0, s4, s0
	s_addc_u32 s1, s5, s1
	s_delay_alu instid0(VALU_DEP_3) | instskip(NEXT) | instid1(VALU_DEP_3)
	v_fma_f64 v[8:9], s[20:21], v[10:11], v[4:5]
	v_fma_f64 v[4:5], s[18:19], v[10:11], -v[6:7]
	v_mul_lo_u32 v10, v2, s7
	v_mad_u64_u32 v[6:7], null, v2, s6, 0
	s_delay_alu instid0(VALU_DEP_1) | instskip(SKIP_1) | instid1(VALU_DEP_2)
	v_add3_u32 v7, v7, v10, v3
	v_lshlrev_b64 v[10:11], 4, v[0:1]
	v_lshlrev_b64 v[6:7], 4, v[6:7]
	s_delay_alu instid0(VALU_DEP_1) | instskip(NEXT) | instid1(VALU_DEP_2)
	v_add_co_u32 v1, vcc_lo, s0, v6
	v_add_co_ci_u32_e32 v3, vcc_lo, s1, v7, vcc_lo
	v_cmp_ne_u32_e32 vcc_lo, v0, v2
	s_delay_alu instid0(VALU_DEP_3) | instskip(NEXT) | instid1(VALU_DEP_1)
	v_add_co_u32 v0, s0, v1, v10
	v_add_co_ci_u32_e64 v1, s0, v3, v11, s0
	v_dual_cndmask_b32 v7, 0, v9 :: v_dual_cndmask_b32 v6, 0, v8
	global_store_b128 v[0:1], v[4:7], off
.LBB1349_5:
	s_nop 0
	s_sendmsg sendmsg(MSG_DEALLOC_VGPRS)
	s_endpgm
	.section	.rodata,"a",@progbits
	.p2align	6, 0x0
	.amdhsa_kernel _ZL41rocblas_syrkx_herkx_small_restrict_kernelIl19rocblas_complex_numIdELi16ELb1ELb1ELc78ELc76EKS1_S1_EviT_T0_PT6_S3_lS6_S3_lS4_PT7_S3_li
		.amdhsa_group_segment_fixed_size 8192
		.amdhsa_private_segment_fixed_size 0
		.amdhsa_kernarg_size 124
		.amdhsa_user_sgpr_count 13
		.amdhsa_user_sgpr_dispatch_ptr 0
		.amdhsa_user_sgpr_queue_ptr 0
		.amdhsa_user_sgpr_kernarg_segment_ptr 1
		.amdhsa_user_sgpr_dispatch_id 0
		.amdhsa_user_sgpr_private_segment_size 0
		.amdhsa_wavefront_size32 1
		.amdhsa_uses_dynamic_stack 0
		.amdhsa_enable_private_segment 0
		.amdhsa_system_sgpr_workgroup_id_x 1
		.amdhsa_system_sgpr_workgroup_id_y 1
		.amdhsa_system_sgpr_workgroup_id_z 1
		.amdhsa_system_sgpr_workgroup_info 0
		.amdhsa_system_vgpr_workitem_id 1
		.amdhsa_next_free_vgpr 48
		.amdhsa_next_free_sgpr 32
		.amdhsa_reserve_vcc 1
		.amdhsa_float_round_mode_32 0
		.amdhsa_float_round_mode_16_64 0
		.amdhsa_float_denorm_mode_32 3
		.amdhsa_float_denorm_mode_16_64 3
		.amdhsa_dx10_clamp 1
		.amdhsa_ieee_mode 1
		.amdhsa_fp16_overflow 0
		.amdhsa_workgroup_processor_mode 1
		.amdhsa_memory_ordered 1
		.amdhsa_forward_progress 0
		.amdhsa_shared_vgpr_count 0
		.amdhsa_exception_fp_ieee_invalid_op 0
		.amdhsa_exception_fp_denorm_src 0
		.amdhsa_exception_fp_ieee_div_zero 0
		.amdhsa_exception_fp_ieee_overflow 0
		.amdhsa_exception_fp_ieee_underflow 0
		.amdhsa_exception_fp_ieee_inexact 0
		.amdhsa_exception_int_div_zero 0
	.end_amdhsa_kernel
	.section	.text._ZL41rocblas_syrkx_herkx_small_restrict_kernelIl19rocblas_complex_numIdELi16ELb1ELb1ELc78ELc76EKS1_S1_EviT_T0_PT6_S3_lS6_S3_lS4_PT7_S3_li,"axG",@progbits,_ZL41rocblas_syrkx_herkx_small_restrict_kernelIl19rocblas_complex_numIdELi16ELb1ELb1ELc78ELc76EKS1_S1_EviT_T0_PT6_S3_lS6_S3_lS4_PT7_S3_li,comdat
.Lfunc_end1349:
	.size	_ZL41rocblas_syrkx_herkx_small_restrict_kernelIl19rocblas_complex_numIdELi16ELb1ELb1ELc78ELc76EKS1_S1_EviT_T0_PT6_S3_lS6_S3_lS4_PT7_S3_li, .Lfunc_end1349-_ZL41rocblas_syrkx_herkx_small_restrict_kernelIl19rocblas_complex_numIdELi16ELb1ELb1ELc78ELc76EKS1_S1_EviT_T0_PT6_S3_lS6_S3_lS4_PT7_S3_li
                                        ; -- End function
	.section	.AMDGPU.csdata,"",@progbits
; Kernel info:
; codeLenInByte = 1840
; NumSgprs: 34
; NumVgprs: 48
; ScratchSize: 0
; MemoryBound: 0
; FloatMode: 240
; IeeeMode: 1
; LDSByteSize: 8192 bytes/workgroup (compile time only)
; SGPRBlocks: 4
; VGPRBlocks: 5
; NumSGPRsForWavesPerEU: 34
; NumVGPRsForWavesPerEU: 48
; Occupancy: 16
; WaveLimiterHint : 0
; COMPUTE_PGM_RSRC2:SCRATCH_EN: 0
; COMPUTE_PGM_RSRC2:USER_SGPR: 13
; COMPUTE_PGM_RSRC2:TRAP_HANDLER: 0
; COMPUTE_PGM_RSRC2:TGID_X_EN: 1
; COMPUTE_PGM_RSRC2:TGID_Y_EN: 1
; COMPUTE_PGM_RSRC2:TGID_Z_EN: 1
; COMPUTE_PGM_RSRC2:TIDIG_COMP_CNT: 1
	.section	.text._ZL41rocblas_syrkx_herkx_small_restrict_kernelIl19rocblas_complex_numIdELi16ELb1ELb1ELc84ELc85EKS1_S1_EviT_T0_PT6_S3_lS6_S3_lS4_PT7_S3_li,"axG",@progbits,_ZL41rocblas_syrkx_herkx_small_restrict_kernelIl19rocblas_complex_numIdELi16ELb1ELb1ELc84ELc85EKS1_S1_EviT_T0_PT6_S3_lS6_S3_lS4_PT7_S3_li,comdat
	.globl	_ZL41rocblas_syrkx_herkx_small_restrict_kernelIl19rocblas_complex_numIdELi16ELb1ELb1ELc84ELc85EKS1_S1_EviT_T0_PT6_S3_lS6_S3_lS4_PT7_S3_li ; -- Begin function _ZL41rocblas_syrkx_herkx_small_restrict_kernelIl19rocblas_complex_numIdELi16ELb1ELb1ELc84ELc85EKS1_S1_EviT_T0_PT6_S3_lS6_S3_lS4_PT7_S3_li
	.p2align	8
	.type	_ZL41rocblas_syrkx_herkx_small_restrict_kernelIl19rocblas_complex_numIdELi16ELb1ELb1ELc84ELc85EKS1_S1_EviT_T0_PT6_S3_lS6_S3_lS4_PT7_S3_li,@function
_ZL41rocblas_syrkx_herkx_small_restrict_kernelIl19rocblas_complex_numIdELi16ELb1ELb1ELc84ELc85EKS1_S1_EviT_T0_PT6_S3_lS6_S3_lS4_PT7_S3_li: ; @_ZL41rocblas_syrkx_herkx_small_restrict_kernelIl19rocblas_complex_numIdELi16ELb1ELb1ELc84ELc85EKS1_S1_EviT_T0_PT6_S3_lS6_S3_lS4_PT7_S3_li
; %bb.0:
	s_load_b512 s[16:31], s[0:1], 0x8
	v_dual_mov_b32 v6, 0 :: v_dual_and_b32 v3, 0x3ff, v0
	v_bfe_u32 v2, v0, 10, 10
	v_mov_b32_e32 v7, 0
	s_delay_alu instid0(VALU_DEP_3) | instskip(NEXT) | instid1(VALU_DEP_3)
	v_lshl_add_u32 v0, s13, 4, v3
	v_lshl_add_u32 v10, s14, 4, v2
	s_delay_alu instid0(VALU_DEP_3) | instskip(NEXT) | instid1(VALU_DEP_3)
	v_dual_mov_b32 v9, v7 :: v_dual_mov_b32 v8, v6
	v_ashrrev_i32_e32 v1, 31, v0
	s_delay_alu instid0(VALU_DEP_3) | instskip(SKIP_2) | instid1(VALU_DEP_1)
	v_ashrrev_i32_e32 v11, 31, v10
	s_waitcnt lgkmcnt(0)
	v_cmp_lt_i64_e64 s2, s[16:17], 1
	s_and_b32 vcc_lo, exec_lo, s2
	s_cbranch_vccnz .LBB1350_3
; %bb.1:
	s_load_b64 s[2:3], s[0:1], 0x48
	v_mul_lo_u32 v9, s31, v10
	v_mul_lo_u32 v14, s30, v11
	v_mad_u64_u32 v[4:5], null, s30, v10, 0
	v_mul_lo_u32 v15, s25, v0
	v_mul_lo_u32 v16, s24, v1
	v_mad_u64_u32 v[6:7], null, s24, v0, 0
	v_lshlrev_b32_e32 v12, 4, v3
	s_mul_i32 s4, s27, s15
	v_add3_u32 v5, v5, v14, v9
	s_mul_hi_u32 s5, s26, s15
	v_lshlrev_b32_e32 v8, 8, v2
	s_add_i32 s5, s5, s4
	s_delay_alu instid0(VALU_DEP_4)
	v_add3_u32 v7, v7, v16, v15
	v_lshlrev_b64 v[3:4], 4, v[4:5]
	s_mul_i32 s4, s26, s15
	v_lshlrev_b32_e32 v2, 4, v2
	v_add_nc_u32_e32 v13, 0x1000, v8
	s_waitcnt lgkmcnt(0)
	s_mul_i32 s3, s3, s15
	s_mul_hi_u32 s6, s2, s15
	s_mul_i32 s2, s2, s15
	s_add_i32 s3, s6, s3
	v_lshlrev_b64 v[5:6], 4, v[6:7]
	s_lshl_b64 s[2:3], s[2:3], 4
	v_add_nc_u32_e32 v14, v12, v8
	v_add_co_u32 v3, vcc_lo, v3, s2
	v_add_co_ci_u32_e32 v4, vcc_lo, s3, v4, vcc_lo
	s_lshl_b64 s[2:3], s[4:5], 4
	s_delay_alu instid0(SALU_CYCLE_1) | instskip(SKIP_3) | instid1(VALU_DEP_4)
	v_add_co_u32 v5, vcc_lo, v5, s2
	v_add_co_ci_u32_e32 v6, vcc_lo, s3, v6, vcc_lo
	v_add_co_u32 v3, vcc_lo, v3, v12
	v_add_co_ci_u32_e32 v4, vcc_lo, 0, v4, vcc_lo
	v_add_co_u32 v5, vcc_lo, v5, v2
	s_delay_alu instid0(VALU_DEP_4)
	v_add_co_ci_u32_e32 v8, vcc_lo, 0, v6, vcc_lo
	v_mov_b32_e32 v6, 0
	v_mov_b32_e32 v7, 0
	v_add_co_u32 v2, vcc_lo, s28, v3
	v_add_co_ci_u32_e32 v3, vcc_lo, s29, v4, vcc_lo
	v_add_co_u32 v4, vcc_lo, s22, v5
	v_add_co_ci_u32_e32 v5, vcc_lo, s23, v8, vcc_lo
	v_mov_b32_e32 v9, v7
	v_dual_mov_b32 v8, v6 :: v_dual_add_nc_u32 v15, v13, v12
	s_mov_b64 s[2:3], 0
.LBB1350_2:                             ; =>This Inner Loop Header: Depth=1
	global_load_b128 v[16:19], v[4:5], off
	global_load_b128 v[20:23], v[2:3], off
	s_add_u32 s2, s2, 16
	v_add_co_u32 v2, vcc_lo, 0x100, v2
	s_addc_u32 s3, s3, 0
	v_add_co_ci_u32_e32 v3, vcc_lo, 0, v3, vcc_lo
	v_cmp_lt_i64_e64 s4, s[2:3], s[16:17]
	v_add_co_u32 v4, vcc_lo, 0x100, v4
	v_add_co_ci_u32_e32 v5, vcc_lo, 0, v5, vcc_lo
	s_waitcnt vmcnt(1)
	ds_store_2addr_b64 v14, v[16:17], v[18:19] offset1:1
	s_waitcnt vmcnt(0)
	ds_store_2addr_b64 v15, v[20:21], v[22:23] offset1:1
	s_waitcnt lgkmcnt(0)
	s_barrier
	buffer_gl0_inv
	ds_load_b128 v[16:19], v12
	ds_load_b128 v[20:23], v13
	ds_load_b128 v[24:27], v13 offset:16
	ds_load_b128 v[28:31], v12 offset:256
	s_and_b32 vcc_lo, exec_lo, s4
	s_waitcnt lgkmcnt(2)
	v_mul_f64 v[32:33], v[22:23], v[18:19]
	v_mul_f64 v[18:19], v[20:21], v[18:19]
	s_waitcnt lgkmcnt(0)
	v_mul_f64 v[38:39], v[26:27], v[30:31]
	v_mul_f64 v[40:41], v[24:25], v[30:31]
	s_delay_alu instid0(VALU_DEP_4) | instskip(NEXT) | instid1(VALU_DEP_4)
	v_fma_f64 v[42:43], v[20:21], v[16:17], -v[32:33]
	v_fma_f64 v[44:45], v[22:23], v[16:17], v[18:19]
	ds_load_b128 v[16:19], v12 offset:512
	ds_load_b128 v[20:23], v13 offset:32
	;; [unrolled: 1-line block ×4, first 2 shown]
	v_fma_f64 v[24:25], v[24:25], v[28:29], -v[38:39]
	v_fma_f64 v[26:27], v[26:27], v[28:29], v[40:41]
	s_waitcnt lgkmcnt(2)
	v_mul_f64 v[46:47], v[22:23], v[18:19]
	v_mul_f64 v[18:19], v[20:21], v[18:19]
	s_waitcnt lgkmcnt(0)
	v_mul_f64 v[28:29], v[32:33], v[36:37]
	v_mul_f64 v[36:37], v[30:31], v[36:37]
	v_add_f64 v[8:9], v[8:9], v[42:43]
	v_add_f64 v[6:7], v[6:7], v[44:45]
	v_fma_f64 v[38:39], v[20:21], v[16:17], -v[46:47]
	v_fma_f64 v[40:41], v[22:23], v[16:17], v[18:19]
	v_fma_f64 v[28:29], v[30:31], v[34:35], -v[28:29]
	v_fma_f64 v[30:31], v[32:33], v[34:35], v[36:37]
	v_add_f64 v[42:43], v[8:9], v[24:25]
	v_add_f64 v[44:45], v[6:7], v[26:27]
	ds_load_b128 v[6:9], v12 offset:1024
	ds_load_b128 v[16:19], v13 offset:64
	;; [unrolled: 1-line block ×4, first 2 shown]
	s_waitcnt lgkmcnt(2)
	v_mul_f64 v[46:47], v[18:19], v[8:9]
	v_mul_f64 v[8:9], v[16:17], v[8:9]
	s_waitcnt lgkmcnt(0)
	v_mul_f64 v[36:37], v[22:23], v[26:27]
	v_add_f64 v[32:33], v[42:43], v[38:39]
	v_add_f64 v[34:35], v[44:45], v[40:41]
	v_mul_f64 v[38:39], v[20:21], v[26:27]
	v_fma_f64 v[40:41], v[16:17], v[6:7], -v[46:47]
	v_fma_f64 v[42:43], v[18:19], v[6:7], v[8:9]
	v_fma_f64 v[20:21], v[20:21], v[24:25], -v[36:37]
	v_add_f64 v[44:45], v[32:33], v[28:29]
	v_add_f64 v[34:35], v[34:35], v[30:31]
	ds_load_b128 v[6:9], v12 offset:1536
	ds_load_b128 v[16:19], v13 offset:96
	;; [unrolled: 1-line block ×4, first 2 shown]
	v_fma_f64 v[22:23], v[22:23], v[24:25], v[38:39]
	s_waitcnt lgkmcnt(2)
	v_mul_f64 v[46:47], v[18:19], v[8:9]
	v_mul_f64 v[8:9], v[16:17], v[8:9]
	s_waitcnt lgkmcnt(0)
	v_mul_f64 v[36:37], v[28:29], v[32:33]
	v_mul_f64 v[38:39], v[26:27], v[32:33]
	v_add_f64 v[24:25], v[44:45], v[40:41]
	v_add_f64 v[34:35], v[34:35], v[42:43]
	v_fma_f64 v[40:41], v[16:17], v[6:7], -v[46:47]
	v_fma_f64 v[42:43], v[18:19], v[6:7], v[8:9]
	v_fma_f64 v[26:27], v[26:27], v[30:31], -v[36:37]
	v_fma_f64 v[28:29], v[28:29], v[30:31], v[38:39]
	v_add_f64 v[24:25], v[24:25], v[20:21]
	v_add_f64 v[44:45], v[34:35], v[22:23]
	ds_load_b128 v[6:9], v12 offset:2048
	ds_load_b128 v[16:19], v13 offset:128
	;; [unrolled: 1-line block ×4, first 2 shown]
	s_waitcnt lgkmcnt(2)
	v_mul_f64 v[46:47], v[18:19], v[8:9]
	v_mul_f64 v[8:9], v[16:17], v[8:9]
	s_waitcnt lgkmcnt(0)
	v_mul_f64 v[36:37], v[22:23], v[34:35]
	v_mul_f64 v[34:35], v[20:21], v[34:35]
	v_add_f64 v[24:25], v[24:25], v[40:41]
	v_add_f64 v[30:31], v[44:45], v[42:43]
	v_fma_f64 v[38:39], v[16:17], v[6:7], -v[46:47]
	v_fma_f64 v[40:41], v[18:19], v[6:7], v[8:9]
	v_fma_f64 v[20:21], v[20:21], v[32:33], -v[36:37]
	v_fma_f64 v[22:23], v[22:23], v[32:33], v[34:35]
	v_add_f64 v[42:43], v[24:25], v[26:27]
	v_add_f64 v[44:45], v[30:31], v[28:29]
	ds_load_b128 v[6:9], v12 offset:2560
	ds_load_b128 v[16:19], v13 offset:160
	;; [unrolled: 1-line block ×4, first 2 shown]
	s_waitcnt lgkmcnt(2)
	v_mul_f64 v[46:47], v[18:19], v[8:9]
	v_mul_f64 v[8:9], v[16:17], v[8:9]
	s_waitcnt lgkmcnt(0)
	v_mul_f64 v[36:37], v[26:27], v[30:31]
	v_add_f64 v[32:33], v[42:43], v[38:39]
	v_add_f64 v[34:35], v[44:45], v[40:41]
	v_mul_f64 v[38:39], v[24:25], v[30:31]
	v_fma_f64 v[40:41], v[16:17], v[6:7], -v[46:47]
	v_fma_f64 v[42:43], v[18:19], v[6:7], v[8:9]
	v_fma_f64 v[24:25], v[24:25], v[28:29], -v[36:37]
	v_add_f64 v[44:45], v[32:33], v[20:21]
	v_add_f64 v[34:35], v[34:35], v[22:23]
	ds_load_b128 v[6:9], v12 offset:3072
	ds_load_b128 v[16:19], v13 offset:192
	;; [unrolled: 1-line block ×4, first 2 shown]
	v_fma_f64 v[26:27], v[26:27], v[28:29], v[38:39]
	s_waitcnt lgkmcnt(2)
	v_mul_f64 v[46:47], v[18:19], v[8:9]
	v_mul_f64 v[8:9], v[16:17], v[8:9]
	s_waitcnt lgkmcnt(0)
	v_mul_f64 v[36:37], v[22:23], v[32:33]
	v_mul_f64 v[38:39], v[20:21], v[32:33]
	v_add_f64 v[28:29], v[44:45], v[40:41]
	v_add_f64 v[34:35], v[34:35], v[42:43]
	v_fma_f64 v[40:41], v[16:17], v[6:7], -v[46:47]
	v_fma_f64 v[42:43], v[18:19], v[6:7], v[8:9]
	v_fma_f64 v[20:21], v[20:21], v[30:31], -v[36:37]
	v_fma_f64 v[22:23], v[22:23], v[30:31], v[38:39]
	v_add_f64 v[28:29], v[28:29], v[24:25]
	v_add_f64 v[44:45], v[34:35], v[26:27]
	ds_load_b128 v[6:9], v12 offset:3584
	ds_load_b128 v[16:19], v13 offset:224
	;; [unrolled: 1-line block ×4, first 2 shown]
	s_waitcnt lgkmcnt(0)
	s_barrier
	buffer_gl0_inv
	v_mul_f64 v[46:47], v[18:19], v[8:9]
	v_mul_f64 v[8:9], v[16:17], v[8:9]
	;; [unrolled: 1-line block ×4, first 2 shown]
	v_add_f64 v[28:29], v[28:29], v[40:41]
	v_add_f64 v[30:31], v[44:45], v[42:43]
	v_fma_f64 v[16:17], v[16:17], v[6:7], -v[46:47]
	v_fma_f64 v[6:7], v[18:19], v[6:7], v[8:9]
	s_delay_alu instid0(VALU_DEP_4) | instskip(NEXT) | instid1(VALU_DEP_4)
	v_add_f64 v[8:9], v[28:29], v[20:21]
	v_add_f64 v[18:19], v[30:31], v[22:23]
	v_fma_f64 v[20:21], v[24:25], v[32:33], -v[36:37]
	v_fma_f64 v[22:23], v[26:27], v[32:33], v[34:35]
	s_delay_alu instid0(VALU_DEP_4) | instskip(NEXT) | instid1(VALU_DEP_4)
	v_add_f64 v[8:9], v[8:9], v[16:17]
	v_add_f64 v[6:7], v[18:19], v[6:7]
	s_delay_alu instid0(VALU_DEP_2) | instskip(NEXT) | instid1(VALU_DEP_2)
	v_add_f64 v[8:9], v[8:9], v[20:21]
	v_add_f64 v[6:7], v[6:7], v[22:23]
	s_cbranch_vccnz .LBB1350_2
.LBB1350_3:
	s_mov_b32 s2, exec_lo
	v_cmpx_le_i32_e64 v0, v10
	s_cbranch_execz .LBB1350_5
; %bb.4:
	s_delay_alu instid0(VALU_DEP_2)
	v_mul_f64 v[2:3], s[18:19], v[6:7]
	v_mul_f64 v[4:5], s[20:21], v[6:7]
	s_clause 0x1
	s_load_b128 s[4:7], s[0:1], 0x60
	s_load_b64 s[0:1], s[0:1], 0x70
	s_waitcnt lgkmcnt(0)
	s_mul_i32 s1, s15, s1
	s_mul_hi_u32 s2, s15, s0
	s_mul_i32 s0, s15, s0
	s_add_i32 s1, s2, s1
	s_delay_alu instid0(SALU_CYCLE_1) | instskip(NEXT) | instid1(SALU_CYCLE_1)
	s_lshl_b64 s[0:1], s[0:1], 4
	s_add_u32 s0, s4, s0
	s_addc_u32 s1, s5, s1
	s_delay_alu instid0(VALU_DEP_2) | instskip(NEXT) | instid1(VALU_DEP_2)
	v_fma_f64 v[6:7], s[20:21], v[8:9], v[2:3]
	v_fma_f64 v[2:3], s[18:19], v[8:9], -v[4:5]
	v_mul_lo_u32 v8, v10, s7
	v_mul_lo_u32 v9, v11, s6
	v_mad_u64_u32 v[4:5], null, v10, s6, 0
	s_delay_alu instid0(VALU_DEP_1) | instskip(SKIP_1) | instid1(VALU_DEP_2)
	v_add3_u32 v5, v5, v8, v9
	v_lshlrev_b64 v[8:9], 4, v[0:1]
	v_lshlrev_b64 v[4:5], 4, v[4:5]
	s_delay_alu instid0(VALU_DEP_1) | instskip(NEXT) | instid1(VALU_DEP_2)
	v_add_co_u32 v1, vcc_lo, s0, v4
	v_add_co_ci_u32_e32 v4, vcc_lo, s1, v5, vcc_lo
	v_cmp_ne_u32_e32 vcc_lo, v0, v10
	s_delay_alu instid0(VALU_DEP_3) | instskip(NEXT) | instid1(VALU_DEP_1)
	v_add_co_u32 v0, s0, v1, v8
	v_add_co_ci_u32_e64 v1, s0, v4, v9, s0
	v_dual_cndmask_b32 v5, 0, v7 :: v_dual_cndmask_b32 v4, 0, v6
	global_store_b128 v[0:1], v[2:5], off
.LBB1350_5:
	s_nop 0
	s_sendmsg sendmsg(MSG_DEALLOC_VGPRS)
	s_endpgm
	.section	.rodata,"a",@progbits
	.p2align	6, 0x0
	.amdhsa_kernel _ZL41rocblas_syrkx_herkx_small_restrict_kernelIl19rocblas_complex_numIdELi16ELb1ELb1ELc84ELc85EKS1_S1_EviT_T0_PT6_S3_lS6_S3_lS4_PT7_S3_li
		.amdhsa_group_segment_fixed_size 8192
		.amdhsa_private_segment_fixed_size 0
		.amdhsa_kernarg_size 124
		.amdhsa_user_sgpr_count 13
		.amdhsa_user_sgpr_dispatch_ptr 0
		.amdhsa_user_sgpr_queue_ptr 0
		.amdhsa_user_sgpr_kernarg_segment_ptr 1
		.amdhsa_user_sgpr_dispatch_id 0
		.amdhsa_user_sgpr_private_segment_size 0
		.amdhsa_wavefront_size32 1
		.amdhsa_uses_dynamic_stack 0
		.amdhsa_enable_private_segment 0
		.amdhsa_system_sgpr_workgroup_id_x 1
		.amdhsa_system_sgpr_workgroup_id_y 1
		.amdhsa_system_sgpr_workgroup_id_z 1
		.amdhsa_system_sgpr_workgroup_info 0
		.amdhsa_system_vgpr_workitem_id 1
		.amdhsa_next_free_vgpr 48
		.amdhsa_next_free_sgpr 32
		.amdhsa_reserve_vcc 1
		.amdhsa_float_round_mode_32 0
		.amdhsa_float_round_mode_16_64 0
		.amdhsa_float_denorm_mode_32 3
		.amdhsa_float_denorm_mode_16_64 3
		.amdhsa_dx10_clamp 1
		.amdhsa_ieee_mode 1
		.amdhsa_fp16_overflow 0
		.amdhsa_workgroup_processor_mode 1
		.amdhsa_memory_ordered 1
		.amdhsa_forward_progress 0
		.amdhsa_shared_vgpr_count 0
		.amdhsa_exception_fp_ieee_invalid_op 0
		.amdhsa_exception_fp_denorm_src 0
		.amdhsa_exception_fp_ieee_div_zero 0
		.amdhsa_exception_fp_ieee_overflow 0
		.amdhsa_exception_fp_ieee_underflow 0
		.amdhsa_exception_fp_ieee_inexact 0
		.amdhsa_exception_int_div_zero 0
	.end_amdhsa_kernel
	.section	.text._ZL41rocblas_syrkx_herkx_small_restrict_kernelIl19rocblas_complex_numIdELi16ELb1ELb1ELc84ELc85EKS1_S1_EviT_T0_PT6_S3_lS6_S3_lS4_PT7_S3_li,"axG",@progbits,_ZL41rocblas_syrkx_herkx_small_restrict_kernelIl19rocblas_complex_numIdELi16ELb1ELb1ELc84ELc85EKS1_S1_EviT_T0_PT6_S3_lS6_S3_lS4_PT7_S3_li,comdat
.Lfunc_end1350:
	.size	_ZL41rocblas_syrkx_herkx_small_restrict_kernelIl19rocblas_complex_numIdELi16ELb1ELb1ELc84ELc85EKS1_S1_EviT_T0_PT6_S3_lS6_S3_lS4_PT7_S3_li, .Lfunc_end1350-_ZL41rocblas_syrkx_herkx_small_restrict_kernelIl19rocblas_complex_numIdELi16ELb1ELb1ELc84ELc85EKS1_S1_EviT_T0_PT6_S3_lS6_S3_lS4_PT7_S3_li
                                        ; -- End function
	.section	.AMDGPU.csdata,"",@progbits
; Kernel info:
; codeLenInByte = 1816
; NumSgprs: 34
; NumVgprs: 48
; ScratchSize: 0
; MemoryBound: 0
; FloatMode: 240
; IeeeMode: 1
; LDSByteSize: 8192 bytes/workgroup (compile time only)
; SGPRBlocks: 4
; VGPRBlocks: 5
; NumSGPRsForWavesPerEU: 34
; NumVGPRsForWavesPerEU: 48
; Occupancy: 16
; WaveLimiterHint : 0
; COMPUTE_PGM_RSRC2:SCRATCH_EN: 0
; COMPUTE_PGM_RSRC2:USER_SGPR: 13
; COMPUTE_PGM_RSRC2:TRAP_HANDLER: 0
; COMPUTE_PGM_RSRC2:TGID_X_EN: 1
; COMPUTE_PGM_RSRC2:TGID_Y_EN: 1
; COMPUTE_PGM_RSRC2:TGID_Z_EN: 1
; COMPUTE_PGM_RSRC2:TIDIG_COMP_CNT: 1
	.section	.text._ZL41rocblas_syrkx_herkx_small_restrict_kernelIl19rocblas_complex_numIdELi16ELb1ELb1ELc67ELc85EKS1_S1_EviT_T0_PT6_S3_lS6_S3_lS4_PT7_S3_li,"axG",@progbits,_ZL41rocblas_syrkx_herkx_small_restrict_kernelIl19rocblas_complex_numIdELi16ELb1ELb1ELc67ELc85EKS1_S1_EviT_T0_PT6_S3_lS6_S3_lS4_PT7_S3_li,comdat
	.globl	_ZL41rocblas_syrkx_herkx_small_restrict_kernelIl19rocblas_complex_numIdELi16ELb1ELb1ELc67ELc85EKS1_S1_EviT_T0_PT6_S3_lS6_S3_lS4_PT7_S3_li ; -- Begin function _ZL41rocblas_syrkx_herkx_small_restrict_kernelIl19rocblas_complex_numIdELi16ELb1ELb1ELc67ELc85EKS1_S1_EviT_T0_PT6_S3_lS6_S3_lS4_PT7_S3_li
	.p2align	8
	.type	_ZL41rocblas_syrkx_herkx_small_restrict_kernelIl19rocblas_complex_numIdELi16ELb1ELb1ELc67ELc85EKS1_S1_EviT_T0_PT6_S3_lS6_S3_lS4_PT7_S3_li,@function
_ZL41rocblas_syrkx_herkx_small_restrict_kernelIl19rocblas_complex_numIdELi16ELb1ELb1ELc67ELc85EKS1_S1_EviT_T0_PT6_S3_lS6_S3_lS4_PT7_S3_li: ; @_ZL41rocblas_syrkx_herkx_small_restrict_kernelIl19rocblas_complex_numIdELi16ELb1ELb1ELc67ELc85EKS1_S1_EviT_T0_PT6_S3_lS6_S3_lS4_PT7_S3_li
; %bb.0:
	s_load_b512 s[16:31], s[0:1], 0x8
	v_dual_mov_b32 v6, 0 :: v_dual_and_b32 v3, 0x3ff, v0
	v_bfe_u32 v2, v0, 10, 10
	v_mov_b32_e32 v7, 0
	s_delay_alu instid0(VALU_DEP_3) | instskip(NEXT) | instid1(VALU_DEP_3)
	v_lshl_add_u32 v0, s13, 4, v3
	v_lshl_add_u32 v10, s14, 4, v2
	s_delay_alu instid0(VALU_DEP_3) | instskip(NEXT) | instid1(VALU_DEP_3)
	v_dual_mov_b32 v9, v7 :: v_dual_mov_b32 v8, v6
	v_ashrrev_i32_e32 v1, 31, v0
	s_delay_alu instid0(VALU_DEP_3) | instskip(SKIP_2) | instid1(VALU_DEP_1)
	v_ashrrev_i32_e32 v11, 31, v10
	s_waitcnt lgkmcnt(0)
	v_cmp_lt_i64_e64 s2, s[16:17], 1
	s_and_b32 vcc_lo, exec_lo, s2
	s_cbranch_vccnz .LBB1351_3
; %bb.1:
	s_load_b64 s[2:3], s[0:1], 0x48
	v_mul_lo_u32 v9, s31, v10
	v_mul_lo_u32 v14, s30, v11
	v_mad_u64_u32 v[4:5], null, s30, v10, 0
	v_mul_lo_u32 v15, s25, v0
	v_mul_lo_u32 v16, s24, v1
	v_mad_u64_u32 v[6:7], null, s24, v0, 0
	v_lshlrev_b32_e32 v12, 4, v3
	s_mul_i32 s4, s27, s15
	v_add3_u32 v5, v5, v14, v9
	s_mul_hi_u32 s5, s26, s15
	v_lshlrev_b32_e32 v8, 8, v2
	s_add_i32 s5, s5, s4
	s_delay_alu instid0(VALU_DEP_4)
	v_add3_u32 v7, v7, v16, v15
	v_lshlrev_b64 v[3:4], 4, v[4:5]
	s_mul_i32 s4, s26, s15
	v_lshlrev_b32_e32 v2, 4, v2
	s_lshl_b64 s[4:5], s[4:5], 4
	v_lshlrev_b64 v[5:6], 4, v[6:7]
	s_waitcnt lgkmcnt(0)
	s_mul_i32 s3, s3, s15
	s_mul_hi_u32 s6, s2, s15
	s_mul_i32 s2, s2, s15
	s_add_i32 s3, s6, s3
	v_add_co_u32 v5, vcc_lo, v5, s4
	s_lshl_b64 s[2:3], s[2:3], 4
	v_add_co_ci_u32_e32 v6, vcc_lo, s5, v6, vcc_lo
	v_add_co_u32 v3, vcc_lo, v3, s2
	v_add_co_ci_u32_e32 v4, vcc_lo, s3, v4, vcc_lo
	v_add_co_u32 v2, vcc_lo, v5, v2
	s_delay_alu instid0(VALU_DEP_4) | instskip(NEXT) | instid1(VALU_DEP_4)
	v_add_co_ci_u32_e32 v5, vcc_lo, 0, v6, vcc_lo
	v_add_co_u32 v3, vcc_lo, v3, v12
	s_delay_alu instid0(VALU_DEP_4)
	v_add_co_ci_u32_e32 v4, vcc_lo, 0, v4, vcc_lo
	v_mov_b32_e32 v6, 0
	v_mov_b32_e32 v7, 0
	v_add_nc_u32_e32 v13, 0x1000, v8
	v_add_nc_u32_e32 v14, v12, v8
	v_add_co_u32 v8, vcc_lo, v2, s22
	v_add_co_ci_u32_e32 v5, vcc_lo, s23, v5, vcc_lo
	v_add_co_u32 v2, vcc_lo, s28, v3
	v_add_co_ci_u32_e32 v3, vcc_lo, s29, v4, vcc_lo
	s_delay_alu instid0(VALU_DEP_4)
	v_add_co_u32 v4, vcc_lo, v8, 8
	v_dual_mov_b32 v9, v7 :: v_dual_mov_b32 v8, v6
	v_add_nc_u32_e32 v15, v13, v12
	v_add_co_ci_u32_e32 v5, vcc_lo, 0, v5, vcc_lo
	s_mov_b64 s[2:3], 0
.LBB1351_2:                             ; =>This Inner Loop Header: Depth=1
	global_load_b128 v[16:19], v[4:5], off offset:-8
	global_load_b128 v[20:23], v[2:3], off
	s_add_u32 s2, s2, 16
	v_add_co_u32 v2, vcc_lo, 0x100, v2
	s_addc_u32 s3, s3, 0
	v_add_co_ci_u32_e32 v3, vcc_lo, 0, v3, vcc_lo
	v_cmp_lt_i64_e64 s4, s[2:3], s[16:17]
	v_add_co_u32 v4, vcc_lo, 0x100, v4
	v_add_co_ci_u32_e32 v5, vcc_lo, 0, v5, vcc_lo
	s_delay_alu instid0(VALU_DEP_3)
	s_and_b32 vcc_lo, exec_lo, s4
	s_waitcnt vmcnt(1)
	v_xor_b32_e32 v19, 0x80000000, v19
	ds_store_b128 v14, v[16:19]
	s_waitcnt vmcnt(0)
	ds_store_2addr_b64 v15, v[20:21], v[22:23] offset1:1
	s_waitcnt lgkmcnt(0)
	s_barrier
	buffer_gl0_inv
	ds_load_b128 v[16:19], v12
	ds_load_b128 v[20:23], v13
	ds_load_b128 v[24:27], v13 offset:16
	ds_load_b128 v[28:31], v12 offset:256
	s_waitcnt lgkmcnt(2)
	v_mul_f64 v[32:33], v[22:23], v[18:19]
	v_mul_f64 v[18:19], v[20:21], v[18:19]
	s_waitcnt lgkmcnt(0)
	v_mul_f64 v[38:39], v[26:27], v[30:31]
	v_mul_f64 v[40:41], v[24:25], v[30:31]
	s_delay_alu instid0(VALU_DEP_4) | instskip(NEXT) | instid1(VALU_DEP_4)
	v_fma_f64 v[42:43], v[20:21], v[16:17], -v[32:33]
	v_fma_f64 v[44:45], v[22:23], v[16:17], v[18:19]
	ds_load_b128 v[16:19], v12 offset:512
	ds_load_b128 v[20:23], v13 offset:32
	;; [unrolled: 1-line block ×4, first 2 shown]
	v_fma_f64 v[24:25], v[24:25], v[28:29], -v[38:39]
	v_fma_f64 v[26:27], v[26:27], v[28:29], v[40:41]
	s_waitcnt lgkmcnt(2)
	v_mul_f64 v[46:47], v[22:23], v[18:19]
	v_mul_f64 v[18:19], v[20:21], v[18:19]
	s_waitcnt lgkmcnt(0)
	v_mul_f64 v[28:29], v[32:33], v[36:37]
	v_mul_f64 v[36:37], v[30:31], v[36:37]
	v_add_f64 v[8:9], v[8:9], v[42:43]
	v_add_f64 v[6:7], v[6:7], v[44:45]
	v_fma_f64 v[38:39], v[20:21], v[16:17], -v[46:47]
	v_fma_f64 v[40:41], v[22:23], v[16:17], v[18:19]
	v_fma_f64 v[28:29], v[30:31], v[34:35], -v[28:29]
	v_fma_f64 v[30:31], v[32:33], v[34:35], v[36:37]
	v_add_f64 v[42:43], v[8:9], v[24:25]
	v_add_f64 v[44:45], v[6:7], v[26:27]
	ds_load_b128 v[6:9], v12 offset:1024
	ds_load_b128 v[16:19], v13 offset:64
	;; [unrolled: 1-line block ×4, first 2 shown]
	s_waitcnt lgkmcnt(2)
	v_mul_f64 v[46:47], v[18:19], v[8:9]
	v_mul_f64 v[8:9], v[16:17], v[8:9]
	s_waitcnt lgkmcnt(0)
	v_mul_f64 v[36:37], v[22:23], v[26:27]
	v_add_f64 v[32:33], v[42:43], v[38:39]
	v_add_f64 v[34:35], v[44:45], v[40:41]
	v_mul_f64 v[38:39], v[20:21], v[26:27]
	v_fma_f64 v[40:41], v[16:17], v[6:7], -v[46:47]
	v_fma_f64 v[42:43], v[18:19], v[6:7], v[8:9]
	v_fma_f64 v[20:21], v[20:21], v[24:25], -v[36:37]
	v_add_f64 v[44:45], v[32:33], v[28:29]
	v_add_f64 v[34:35], v[34:35], v[30:31]
	ds_load_b128 v[6:9], v12 offset:1536
	ds_load_b128 v[16:19], v13 offset:96
	;; [unrolled: 1-line block ×4, first 2 shown]
	v_fma_f64 v[22:23], v[22:23], v[24:25], v[38:39]
	s_waitcnt lgkmcnt(2)
	v_mul_f64 v[46:47], v[18:19], v[8:9]
	v_mul_f64 v[8:9], v[16:17], v[8:9]
	s_waitcnt lgkmcnt(0)
	v_mul_f64 v[36:37], v[28:29], v[32:33]
	v_mul_f64 v[38:39], v[26:27], v[32:33]
	v_add_f64 v[24:25], v[44:45], v[40:41]
	v_add_f64 v[34:35], v[34:35], v[42:43]
	v_fma_f64 v[40:41], v[16:17], v[6:7], -v[46:47]
	v_fma_f64 v[42:43], v[18:19], v[6:7], v[8:9]
	v_fma_f64 v[26:27], v[26:27], v[30:31], -v[36:37]
	v_fma_f64 v[28:29], v[28:29], v[30:31], v[38:39]
	v_add_f64 v[24:25], v[24:25], v[20:21]
	v_add_f64 v[44:45], v[34:35], v[22:23]
	ds_load_b128 v[6:9], v12 offset:2048
	ds_load_b128 v[16:19], v13 offset:128
	ds_load_b128 v[20:23], v13 offset:144
	ds_load_b128 v[32:35], v12 offset:2304
	s_waitcnt lgkmcnt(2)
	v_mul_f64 v[46:47], v[18:19], v[8:9]
	v_mul_f64 v[8:9], v[16:17], v[8:9]
	s_waitcnt lgkmcnt(0)
	v_mul_f64 v[36:37], v[22:23], v[34:35]
	v_mul_f64 v[34:35], v[20:21], v[34:35]
	v_add_f64 v[24:25], v[24:25], v[40:41]
	v_add_f64 v[30:31], v[44:45], v[42:43]
	v_fma_f64 v[38:39], v[16:17], v[6:7], -v[46:47]
	v_fma_f64 v[40:41], v[18:19], v[6:7], v[8:9]
	v_fma_f64 v[20:21], v[20:21], v[32:33], -v[36:37]
	v_fma_f64 v[22:23], v[22:23], v[32:33], v[34:35]
	v_add_f64 v[42:43], v[24:25], v[26:27]
	v_add_f64 v[44:45], v[30:31], v[28:29]
	ds_load_b128 v[6:9], v12 offset:2560
	ds_load_b128 v[16:19], v13 offset:160
	ds_load_b128 v[24:27], v13 offset:176
	ds_load_b128 v[28:31], v12 offset:2816
	s_waitcnt lgkmcnt(2)
	v_mul_f64 v[46:47], v[18:19], v[8:9]
	v_mul_f64 v[8:9], v[16:17], v[8:9]
	s_waitcnt lgkmcnt(0)
	v_mul_f64 v[36:37], v[26:27], v[30:31]
	v_add_f64 v[32:33], v[42:43], v[38:39]
	v_add_f64 v[34:35], v[44:45], v[40:41]
	v_mul_f64 v[38:39], v[24:25], v[30:31]
	v_fma_f64 v[40:41], v[16:17], v[6:7], -v[46:47]
	v_fma_f64 v[42:43], v[18:19], v[6:7], v[8:9]
	v_fma_f64 v[24:25], v[24:25], v[28:29], -v[36:37]
	v_add_f64 v[44:45], v[32:33], v[20:21]
	v_add_f64 v[34:35], v[34:35], v[22:23]
	ds_load_b128 v[6:9], v12 offset:3072
	ds_load_b128 v[16:19], v13 offset:192
	;; [unrolled: 1-line block ×4, first 2 shown]
	v_fma_f64 v[26:27], v[26:27], v[28:29], v[38:39]
	s_waitcnt lgkmcnt(2)
	v_mul_f64 v[46:47], v[18:19], v[8:9]
	v_mul_f64 v[8:9], v[16:17], v[8:9]
	s_waitcnt lgkmcnt(0)
	v_mul_f64 v[36:37], v[22:23], v[32:33]
	v_mul_f64 v[38:39], v[20:21], v[32:33]
	v_add_f64 v[28:29], v[44:45], v[40:41]
	v_add_f64 v[34:35], v[34:35], v[42:43]
	v_fma_f64 v[40:41], v[16:17], v[6:7], -v[46:47]
	v_fma_f64 v[42:43], v[18:19], v[6:7], v[8:9]
	v_fma_f64 v[20:21], v[20:21], v[30:31], -v[36:37]
	v_fma_f64 v[22:23], v[22:23], v[30:31], v[38:39]
	v_add_f64 v[28:29], v[28:29], v[24:25]
	v_add_f64 v[44:45], v[34:35], v[26:27]
	ds_load_b128 v[6:9], v12 offset:3584
	ds_load_b128 v[16:19], v13 offset:224
	;; [unrolled: 1-line block ×4, first 2 shown]
	s_waitcnt lgkmcnt(0)
	s_barrier
	buffer_gl0_inv
	v_mul_f64 v[46:47], v[18:19], v[8:9]
	v_mul_f64 v[8:9], v[16:17], v[8:9]
	;; [unrolled: 1-line block ×4, first 2 shown]
	v_add_f64 v[28:29], v[28:29], v[40:41]
	v_add_f64 v[30:31], v[44:45], v[42:43]
	v_fma_f64 v[16:17], v[16:17], v[6:7], -v[46:47]
	v_fma_f64 v[6:7], v[18:19], v[6:7], v[8:9]
	s_delay_alu instid0(VALU_DEP_4) | instskip(NEXT) | instid1(VALU_DEP_4)
	v_add_f64 v[8:9], v[28:29], v[20:21]
	v_add_f64 v[18:19], v[30:31], v[22:23]
	v_fma_f64 v[20:21], v[24:25], v[32:33], -v[36:37]
	v_fma_f64 v[22:23], v[26:27], v[32:33], v[34:35]
	s_delay_alu instid0(VALU_DEP_4) | instskip(NEXT) | instid1(VALU_DEP_4)
	v_add_f64 v[8:9], v[8:9], v[16:17]
	v_add_f64 v[6:7], v[18:19], v[6:7]
	s_delay_alu instid0(VALU_DEP_2) | instskip(NEXT) | instid1(VALU_DEP_2)
	v_add_f64 v[8:9], v[8:9], v[20:21]
	v_add_f64 v[6:7], v[6:7], v[22:23]
	s_cbranch_vccnz .LBB1351_2
.LBB1351_3:
	s_mov_b32 s2, exec_lo
	v_cmpx_le_i32_e64 v0, v10
	s_cbranch_execz .LBB1351_5
; %bb.4:
	s_delay_alu instid0(VALU_DEP_2)
	v_mul_f64 v[2:3], s[18:19], v[6:7]
	v_mul_f64 v[4:5], s[20:21], v[6:7]
	s_clause 0x1
	s_load_b128 s[4:7], s[0:1], 0x60
	s_load_b64 s[0:1], s[0:1], 0x70
	s_waitcnt lgkmcnt(0)
	s_mul_i32 s1, s15, s1
	s_mul_hi_u32 s2, s15, s0
	s_mul_i32 s0, s15, s0
	s_add_i32 s1, s2, s1
	s_delay_alu instid0(SALU_CYCLE_1) | instskip(NEXT) | instid1(SALU_CYCLE_1)
	s_lshl_b64 s[0:1], s[0:1], 4
	s_add_u32 s0, s4, s0
	s_addc_u32 s1, s5, s1
	s_delay_alu instid0(VALU_DEP_2) | instskip(NEXT) | instid1(VALU_DEP_2)
	v_fma_f64 v[6:7], s[20:21], v[8:9], v[2:3]
	v_fma_f64 v[2:3], s[18:19], v[8:9], -v[4:5]
	v_mul_lo_u32 v8, v10, s7
	v_mul_lo_u32 v9, v11, s6
	v_mad_u64_u32 v[4:5], null, v10, s6, 0
	s_delay_alu instid0(VALU_DEP_1) | instskip(SKIP_1) | instid1(VALU_DEP_2)
	v_add3_u32 v5, v5, v8, v9
	v_lshlrev_b64 v[8:9], 4, v[0:1]
	v_lshlrev_b64 v[4:5], 4, v[4:5]
	s_delay_alu instid0(VALU_DEP_1) | instskip(NEXT) | instid1(VALU_DEP_2)
	v_add_co_u32 v1, vcc_lo, s0, v4
	v_add_co_ci_u32_e32 v4, vcc_lo, s1, v5, vcc_lo
	v_cmp_ne_u32_e32 vcc_lo, v0, v10
	s_delay_alu instid0(VALU_DEP_3) | instskip(NEXT) | instid1(VALU_DEP_1)
	v_add_co_u32 v0, s0, v1, v8
	v_add_co_ci_u32_e64 v1, s0, v4, v9, s0
	v_dual_cndmask_b32 v5, 0, v7 :: v_dual_cndmask_b32 v4, 0, v6
	global_store_b128 v[0:1], v[2:5], off
.LBB1351_5:
	s_nop 0
	s_sendmsg sendmsg(MSG_DEALLOC_VGPRS)
	s_endpgm
	.section	.rodata,"a",@progbits
	.p2align	6, 0x0
	.amdhsa_kernel _ZL41rocblas_syrkx_herkx_small_restrict_kernelIl19rocblas_complex_numIdELi16ELb1ELb1ELc67ELc85EKS1_S1_EviT_T0_PT6_S3_lS6_S3_lS4_PT7_S3_li
		.amdhsa_group_segment_fixed_size 8192
		.amdhsa_private_segment_fixed_size 0
		.amdhsa_kernarg_size 124
		.amdhsa_user_sgpr_count 13
		.amdhsa_user_sgpr_dispatch_ptr 0
		.amdhsa_user_sgpr_queue_ptr 0
		.amdhsa_user_sgpr_kernarg_segment_ptr 1
		.amdhsa_user_sgpr_dispatch_id 0
		.amdhsa_user_sgpr_private_segment_size 0
		.amdhsa_wavefront_size32 1
		.amdhsa_uses_dynamic_stack 0
		.amdhsa_enable_private_segment 0
		.amdhsa_system_sgpr_workgroup_id_x 1
		.amdhsa_system_sgpr_workgroup_id_y 1
		.amdhsa_system_sgpr_workgroup_id_z 1
		.amdhsa_system_sgpr_workgroup_info 0
		.amdhsa_system_vgpr_workitem_id 1
		.amdhsa_next_free_vgpr 48
		.amdhsa_next_free_sgpr 32
		.amdhsa_reserve_vcc 1
		.amdhsa_float_round_mode_32 0
		.amdhsa_float_round_mode_16_64 0
		.amdhsa_float_denorm_mode_32 3
		.amdhsa_float_denorm_mode_16_64 3
		.amdhsa_dx10_clamp 1
		.amdhsa_ieee_mode 1
		.amdhsa_fp16_overflow 0
		.amdhsa_workgroup_processor_mode 1
		.amdhsa_memory_ordered 1
		.amdhsa_forward_progress 0
		.amdhsa_shared_vgpr_count 0
		.amdhsa_exception_fp_ieee_invalid_op 0
		.amdhsa_exception_fp_denorm_src 0
		.amdhsa_exception_fp_ieee_div_zero 0
		.amdhsa_exception_fp_ieee_overflow 0
		.amdhsa_exception_fp_ieee_underflow 0
		.amdhsa_exception_fp_ieee_inexact 0
		.amdhsa_exception_int_div_zero 0
	.end_amdhsa_kernel
	.section	.text._ZL41rocblas_syrkx_herkx_small_restrict_kernelIl19rocblas_complex_numIdELi16ELb1ELb1ELc67ELc85EKS1_S1_EviT_T0_PT6_S3_lS6_S3_lS4_PT7_S3_li,"axG",@progbits,_ZL41rocblas_syrkx_herkx_small_restrict_kernelIl19rocblas_complex_numIdELi16ELb1ELb1ELc67ELc85EKS1_S1_EviT_T0_PT6_S3_lS6_S3_lS4_PT7_S3_li,comdat
.Lfunc_end1351:
	.size	_ZL41rocblas_syrkx_herkx_small_restrict_kernelIl19rocblas_complex_numIdELi16ELb1ELb1ELc67ELc85EKS1_S1_EviT_T0_PT6_S3_lS6_S3_lS4_PT7_S3_li, .Lfunc_end1351-_ZL41rocblas_syrkx_herkx_small_restrict_kernelIl19rocblas_complex_numIdELi16ELb1ELb1ELc67ELc85EKS1_S1_EviT_T0_PT6_S3_lS6_S3_lS4_PT7_S3_li
                                        ; -- End function
	.section	.AMDGPU.csdata,"",@progbits
; Kernel info:
; codeLenInByte = 1844
; NumSgprs: 34
; NumVgprs: 48
; ScratchSize: 0
; MemoryBound: 0
; FloatMode: 240
; IeeeMode: 1
; LDSByteSize: 8192 bytes/workgroup (compile time only)
; SGPRBlocks: 4
; VGPRBlocks: 5
; NumSGPRsForWavesPerEU: 34
; NumVGPRsForWavesPerEU: 48
; Occupancy: 16
; WaveLimiterHint : 0
; COMPUTE_PGM_RSRC2:SCRATCH_EN: 0
; COMPUTE_PGM_RSRC2:USER_SGPR: 13
; COMPUTE_PGM_RSRC2:TRAP_HANDLER: 0
; COMPUTE_PGM_RSRC2:TGID_X_EN: 1
; COMPUTE_PGM_RSRC2:TGID_Y_EN: 1
; COMPUTE_PGM_RSRC2:TGID_Z_EN: 1
; COMPUTE_PGM_RSRC2:TIDIG_COMP_CNT: 1
	.section	.text._ZL41rocblas_syrkx_herkx_small_restrict_kernelIl19rocblas_complex_numIdELi16ELb1ELb1ELc78ELc85EKS1_S1_EviT_T0_PT6_S3_lS6_S3_lS4_PT7_S3_li,"axG",@progbits,_ZL41rocblas_syrkx_herkx_small_restrict_kernelIl19rocblas_complex_numIdELi16ELb1ELb1ELc78ELc85EKS1_S1_EviT_T0_PT6_S3_lS6_S3_lS4_PT7_S3_li,comdat
	.globl	_ZL41rocblas_syrkx_herkx_small_restrict_kernelIl19rocblas_complex_numIdELi16ELb1ELb1ELc78ELc85EKS1_S1_EviT_T0_PT6_S3_lS6_S3_lS4_PT7_S3_li ; -- Begin function _ZL41rocblas_syrkx_herkx_small_restrict_kernelIl19rocblas_complex_numIdELi16ELb1ELb1ELc78ELc85EKS1_S1_EviT_T0_PT6_S3_lS6_S3_lS4_PT7_S3_li
	.p2align	8
	.type	_ZL41rocblas_syrkx_herkx_small_restrict_kernelIl19rocblas_complex_numIdELi16ELb1ELb1ELc78ELc85EKS1_S1_EviT_T0_PT6_S3_lS6_S3_lS4_PT7_S3_li,@function
_ZL41rocblas_syrkx_herkx_small_restrict_kernelIl19rocblas_complex_numIdELi16ELb1ELb1ELc78ELc85EKS1_S1_EviT_T0_PT6_S3_lS6_S3_lS4_PT7_S3_li: ; @_ZL41rocblas_syrkx_herkx_small_restrict_kernelIl19rocblas_complex_numIdELi16ELb1ELb1ELc78ELc85EKS1_S1_EviT_T0_PT6_S3_lS6_S3_lS4_PT7_S3_li
; %bb.0:
	s_load_b512 s[16:31], s[0:1], 0x8
	v_dual_mov_b32 v8, 0 :: v_dual_and_b32 v5, 0x3ff, v0
	v_bfe_u32 v4, v0, 10, 10
	v_mov_b32_e32 v9, 0
	s_delay_alu instid0(VALU_DEP_3) | instskip(NEXT) | instid1(VALU_DEP_3)
	v_lshl_add_u32 v0, s13, 4, v5
	v_lshl_add_u32 v2, s14, 4, v4
	s_delay_alu instid0(VALU_DEP_3) | instskip(NEXT) | instid1(VALU_DEP_3)
	v_dual_mov_b32 v11, v9 :: v_dual_mov_b32 v10, v8
	v_ashrrev_i32_e32 v1, 31, v0
	s_delay_alu instid0(VALU_DEP_3) | instskip(SKIP_2) | instid1(VALU_DEP_1)
	v_ashrrev_i32_e32 v3, 31, v2
	s_waitcnt lgkmcnt(0)
	v_cmp_lt_i64_e64 s2, s[16:17], 1
	s_and_b32 vcc_lo, exec_lo, s2
	s_cbranch_vccnz .LBB1352_3
; %bb.1:
	v_mad_u64_u32 v[6:7], null, s30, v5, 0
	v_mad_u64_u32 v[8:9], null, s24, v4, 0
	s_load_b64 s[2:3], s[0:1], 0x48
	v_lshlrev_b32_e32 v18, 8, v4
	s_mul_i32 s5, s27, s15
	s_mul_hi_u32 s6, s26, s15
	v_lshlrev_b64 v[10:11], 4, v[2:3]
	s_add_i32 s5, s6, s5
	s_delay_alu instid0(VALU_DEP_3) | instskip(SKIP_3) | instid1(VALU_DEP_2)
	v_mad_u64_u32 v[14:15], null, s31, v5, v[7:8]
	v_dual_mov_b32 v5, v9 :: v_dual_lshlrev_b32 v12, 4, v5
	s_mul_i32 s4, s26, s15
	v_add_nc_u32_e32 v13, 0x1000, v18
	v_mad_u64_u32 v[16:17], null, s25, v4, v[5:6]
	s_delay_alu instid0(VALU_DEP_3) | instskip(SKIP_3) | instid1(VALU_DEP_1)
	v_dual_mov_b32 v7, v14 :: v_dual_add_nc_u32 v14, v12, v18
	s_waitcnt lgkmcnt(0)
	s_mul_i32 s3, s3, s15
	s_mul_hi_u32 s6, s2, s15
	v_lshlrev_b64 v[4:5], 4, v[6:7]
	s_mul_i32 s2, s2, s15
	s_add_i32 s3, s6, s3
	v_mov_b32_e32 v9, v16
	s_lshl_b64 s[2:3], s[2:3], 4
	s_mov_b64 s[6:7], 0
	v_add_co_u32 v6, vcc_lo, s2, v4
	v_add_co_ci_u32_e32 v7, vcc_lo, s3, v5, vcc_lo
	v_lshlrev_b64 v[4:5], 4, v[8:9]
	s_delay_alu instid0(VALU_DEP_3) | instskip(SKIP_1) | instid1(VALU_DEP_3)
	v_add_co_u32 v6, vcc_lo, v6, v10
	s_lshl_b64 s[2:3], s[4:5], 4
	v_add_co_ci_u32_e32 v7, vcc_lo, v7, v11, vcc_lo
	s_delay_alu instid0(VALU_DEP_3) | instskip(NEXT) | instid1(VALU_DEP_4)
	v_add_co_u32 v8, vcc_lo, s2, v4
	v_add_co_ci_u32_e32 v9, vcc_lo, s3, v5, vcc_lo
	v_lshlrev_b64 v[4:5], 4, v[0:1]
	v_add_co_u32 v6, vcc_lo, v6, s28
	v_add_co_ci_u32_e32 v7, vcc_lo, s29, v7, vcc_lo
	s_lshl_b64 s[2:3], s[30:31], 8
	s_delay_alu instid0(VALU_DEP_3) | instskip(NEXT) | instid1(VALU_DEP_4)
	v_add_co_u32 v10, vcc_lo, v8, v4
	v_add_co_ci_u32_e32 v11, vcc_lo, v9, v5, vcc_lo
	v_mov_b32_e32 v8, 0
	v_mov_b32_e32 v9, 0
	v_add_co_u32 v4, vcc_lo, v6, 8
	v_add_co_ci_u32_e32 v5, vcc_lo, 0, v7, vcc_lo
	v_add_co_u32 v6, vcc_lo, s22, v10
	v_add_co_ci_u32_e32 v7, vcc_lo, s23, v11, vcc_lo
	v_mov_b32_e32 v11, v9
	v_dual_mov_b32 v10, v8 :: v_dual_add_nc_u32 v15, v13, v12
	s_lshl_b64 s[4:5], s[24:25], 8
.LBB1352_2:                             ; =>This Inner Loop Header: Depth=1
	global_load_b128 v[16:19], v[4:5], off offset:-8
	global_load_b128 v[20:23], v[6:7], off
	s_add_u32 s6, s6, 16
	v_add_co_u32 v4, vcc_lo, v4, s2
	s_addc_u32 s7, s7, 0
	v_add_co_ci_u32_e32 v5, vcc_lo, s3, v5, vcc_lo
	v_cmp_lt_i64_e64 s8, s[6:7], s[16:17]
	v_add_co_u32 v6, vcc_lo, v6, s4
	v_add_co_ci_u32_e32 v7, vcc_lo, s5, v7, vcc_lo
	s_delay_alu instid0(VALU_DEP_3)
	s_and_b32 vcc_lo, exec_lo, s8
	s_waitcnt vmcnt(1)
	v_xor_b32_e32 v19, 0x80000000, v19
	s_waitcnt vmcnt(0)
	ds_store_2addr_b64 v14, v[20:21], v[22:23] offset1:1
	ds_store_b128 v15, v[16:19]
	s_waitcnt lgkmcnt(0)
	s_barrier
	buffer_gl0_inv
	ds_load_b128 v[16:19], v12
	ds_load_b128 v[20:23], v13
	ds_load_b128 v[24:27], v13 offset:16
	ds_load_b128 v[28:31], v12 offset:256
	s_waitcnt lgkmcnt(2)
	v_mul_f64 v[32:33], v[22:23], v[18:19]
	v_mul_f64 v[18:19], v[20:21], v[18:19]
	s_waitcnt lgkmcnt(0)
	v_mul_f64 v[38:39], v[26:27], v[30:31]
	v_mul_f64 v[40:41], v[24:25], v[30:31]
	s_delay_alu instid0(VALU_DEP_4) | instskip(NEXT) | instid1(VALU_DEP_4)
	v_fma_f64 v[42:43], v[20:21], v[16:17], -v[32:33]
	v_fma_f64 v[44:45], v[22:23], v[16:17], v[18:19]
	ds_load_b128 v[16:19], v12 offset:512
	ds_load_b128 v[20:23], v13 offset:32
	;; [unrolled: 1-line block ×4, first 2 shown]
	v_fma_f64 v[24:25], v[24:25], v[28:29], -v[38:39]
	v_fma_f64 v[26:27], v[26:27], v[28:29], v[40:41]
	s_waitcnt lgkmcnt(2)
	v_mul_f64 v[46:47], v[22:23], v[18:19]
	v_mul_f64 v[18:19], v[20:21], v[18:19]
	s_waitcnt lgkmcnt(0)
	v_mul_f64 v[28:29], v[32:33], v[36:37]
	v_mul_f64 v[36:37], v[30:31], v[36:37]
	v_add_f64 v[10:11], v[10:11], v[42:43]
	v_add_f64 v[8:9], v[8:9], v[44:45]
	v_fma_f64 v[38:39], v[20:21], v[16:17], -v[46:47]
	v_fma_f64 v[40:41], v[22:23], v[16:17], v[18:19]
	v_fma_f64 v[28:29], v[30:31], v[34:35], -v[28:29]
	v_fma_f64 v[30:31], v[32:33], v[34:35], v[36:37]
	v_add_f64 v[42:43], v[10:11], v[24:25]
	v_add_f64 v[44:45], v[8:9], v[26:27]
	ds_load_b128 v[8:11], v12 offset:1024
	ds_load_b128 v[16:19], v13 offset:64
	;; [unrolled: 1-line block ×4, first 2 shown]
	s_waitcnt lgkmcnt(2)
	v_mul_f64 v[46:47], v[18:19], v[10:11]
	v_mul_f64 v[10:11], v[16:17], v[10:11]
	s_waitcnt lgkmcnt(0)
	v_mul_f64 v[36:37], v[22:23], v[26:27]
	v_add_f64 v[32:33], v[42:43], v[38:39]
	v_add_f64 v[34:35], v[44:45], v[40:41]
	v_mul_f64 v[38:39], v[20:21], v[26:27]
	v_fma_f64 v[40:41], v[16:17], v[8:9], -v[46:47]
	v_fma_f64 v[42:43], v[18:19], v[8:9], v[10:11]
	v_fma_f64 v[20:21], v[20:21], v[24:25], -v[36:37]
	v_add_f64 v[44:45], v[32:33], v[28:29]
	v_add_f64 v[34:35], v[34:35], v[30:31]
	ds_load_b128 v[8:11], v12 offset:1536
	ds_load_b128 v[16:19], v13 offset:96
	;; [unrolled: 1-line block ×4, first 2 shown]
	v_fma_f64 v[22:23], v[22:23], v[24:25], v[38:39]
	s_waitcnt lgkmcnt(2)
	v_mul_f64 v[46:47], v[18:19], v[10:11]
	v_mul_f64 v[10:11], v[16:17], v[10:11]
	s_waitcnt lgkmcnt(0)
	v_mul_f64 v[36:37], v[28:29], v[32:33]
	v_mul_f64 v[38:39], v[26:27], v[32:33]
	v_add_f64 v[24:25], v[44:45], v[40:41]
	v_add_f64 v[34:35], v[34:35], v[42:43]
	v_fma_f64 v[40:41], v[16:17], v[8:9], -v[46:47]
	v_fma_f64 v[42:43], v[18:19], v[8:9], v[10:11]
	v_fma_f64 v[26:27], v[26:27], v[30:31], -v[36:37]
	v_fma_f64 v[28:29], v[28:29], v[30:31], v[38:39]
	v_add_f64 v[24:25], v[24:25], v[20:21]
	v_add_f64 v[44:45], v[34:35], v[22:23]
	ds_load_b128 v[8:11], v12 offset:2048
	ds_load_b128 v[16:19], v13 offset:128
	;; [unrolled: 1-line block ×4, first 2 shown]
	s_waitcnt lgkmcnt(2)
	v_mul_f64 v[46:47], v[18:19], v[10:11]
	v_mul_f64 v[10:11], v[16:17], v[10:11]
	s_waitcnt lgkmcnt(0)
	v_mul_f64 v[36:37], v[22:23], v[34:35]
	v_mul_f64 v[34:35], v[20:21], v[34:35]
	v_add_f64 v[24:25], v[24:25], v[40:41]
	v_add_f64 v[30:31], v[44:45], v[42:43]
	v_fma_f64 v[38:39], v[16:17], v[8:9], -v[46:47]
	v_fma_f64 v[40:41], v[18:19], v[8:9], v[10:11]
	v_fma_f64 v[20:21], v[20:21], v[32:33], -v[36:37]
	v_fma_f64 v[22:23], v[22:23], v[32:33], v[34:35]
	v_add_f64 v[42:43], v[24:25], v[26:27]
	v_add_f64 v[44:45], v[30:31], v[28:29]
	ds_load_b128 v[8:11], v12 offset:2560
	ds_load_b128 v[16:19], v13 offset:160
	ds_load_b128 v[24:27], v13 offset:176
	ds_load_b128 v[28:31], v12 offset:2816
	s_waitcnt lgkmcnt(2)
	v_mul_f64 v[46:47], v[18:19], v[10:11]
	v_mul_f64 v[10:11], v[16:17], v[10:11]
	s_waitcnt lgkmcnt(0)
	v_mul_f64 v[36:37], v[26:27], v[30:31]
	v_add_f64 v[32:33], v[42:43], v[38:39]
	v_add_f64 v[34:35], v[44:45], v[40:41]
	v_mul_f64 v[38:39], v[24:25], v[30:31]
	v_fma_f64 v[40:41], v[16:17], v[8:9], -v[46:47]
	v_fma_f64 v[42:43], v[18:19], v[8:9], v[10:11]
	v_fma_f64 v[24:25], v[24:25], v[28:29], -v[36:37]
	v_add_f64 v[44:45], v[32:33], v[20:21]
	v_add_f64 v[34:35], v[34:35], v[22:23]
	ds_load_b128 v[8:11], v12 offset:3072
	ds_load_b128 v[16:19], v13 offset:192
	;; [unrolled: 1-line block ×4, first 2 shown]
	v_fma_f64 v[26:27], v[26:27], v[28:29], v[38:39]
	s_waitcnt lgkmcnt(2)
	v_mul_f64 v[46:47], v[18:19], v[10:11]
	v_mul_f64 v[10:11], v[16:17], v[10:11]
	s_waitcnt lgkmcnt(0)
	v_mul_f64 v[36:37], v[22:23], v[32:33]
	v_mul_f64 v[38:39], v[20:21], v[32:33]
	v_add_f64 v[28:29], v[44:45], v[40:41]
	v_add_f64 v[34:35], v[34:35], v[42:43]
	v_fma_f64 v[40:41], v[16:17], v[8:9], -v[46:47]
	v_fma_f64 v[42:43], v[18:19], v[8:9], v[10:11]
	v_fma_f64 v[20:21], v[20:21], v[30:31], -v[36:37]
	v_fma_f64 v[22:23], v[22:23], v[30:31], v[38:39]
	v_add_f64 v[28:29], v[28:29], v[24:25]
	v_add_f64 v[44:45], v[34:35], v[26:27]
	ds_load_b128 v[8:11], v12 offset:3584
	ds_load_b128 v[16:19], v13 offset:224
	;; [unrolled: 1-line block ×4, first 2 shown]
	s_waitcnt lgkmcnt(0)
	s_barrier
	buffer_gl0_inv
	v_mul_f64 v[46:47], v[18:19], v[10:11]
	v_mul_f64 v[10:11], v[16:17], v[10:11]
	;; [unrolled: 1-line block ×4, first 2 shown]
	v_add_f64 v[28:29], v[28:29], v[40:41]
	v_add_f64 v[30:31], v[44:45], v[42:43]
	v_fma_f64 v[16:17], v[16:17], v[8:9], -v[46:47]
	v_fma_f64 v[8:9], v[18:19], v[8:9], v[10:11]
	s_delay_alu instid0(VALU_DEP_4) | instskip(NEXT) | instid1(VALU_DEP_4)
	v_add_f64 v[10:11], v[28:29], v[20:21]
	v_add_f64 v[18:19], v[30:31], v[22:23]
	v_fma_f64 v[20:21], v[24:25], v[32:33], -v[36:37]
	v_fma_f64 v[22:23], v[26:27], v[32:33], v[34:35]
	s_delay_alu instid0(VALU_DEP_4) | instskip(NEXT) | instid1(VALU_DEP_4)
	v_add_f64 v[10:11], v[10:11], v[16:17]
	v_add_f64 v[8:9], v[18:19], v[8:9]
	s_delay_alu instid0(VALU_DEP_2) | instskip(NEXT) | instid1(VALU_DEP_2)
	v_add_f64 v[10:11], v[10:11], v[20:21]
	v_add_f64 v[8:9], v[8:9], v[22:23]
	s_cbranch_vccnz .LBB1352_2
.LBB1352_3:
	s_mov_b32 s2, exec_lo
	v_cmpx_le_i32_e64 v0, v2
	s_cbranch_execz .LBB1352_5
; %bb.4:
	s_delay_alu instid0(VALU_DEP_2)
	v_mul_f64 v[4:5], s[18:19], v[8:9]
	v_mul_f64 v[6:7], s[20:21], v[8:9]
	s_clause 0x1
	s_load_b128 s[4:7], s[0:1], 0x60
	s_load_b64 s[0:1], s[0:1], 0x70
	s_waitcnt lgkmcnt(0)
	v_mul_lo_u32 v3, v3, s6
	s_mul_i32 s1, s15, s1
	s_mul_hi_u32 s2, s15, s0
	s_mul_i32 s0, s15, s0
	s_add_i32 s1, s2, s1
	s_delay_alu instid0(SALU_CYCLE_1) | instskip(NEXT) | instid1(SALU_CYCLE_1)
	s_lshl_b64 s[0:1], s[0:1], 4
	s_add_u32 s0, s4, s0
	s_addc_u32 s1, s5, s1
	s_delay_alu instid0(VALU_DEP_3) | instskip(NEXT) | instid1(VALU_DEP_3)
	v_fma_f64 v[8:9], s[20:21], v[10:11], v[4:5]
	v_fma_f64 v[4:5], s[18:19], v[10:11], -v[6:7]
	v_mul_lo_u32 v10, v2, s7
	v_mad_u64_u32 v[6:7], null, v2, s6, 0
	s_delay_alu instid0(VALU_DEP_1) | instskip(SKIP_1) | instid1(VALU_DEP_2)
	v_add3_u32 v7, v7, v10, v3
	v_lshlrev_b64 v[10:11], 4, v[0:1]
	v_lshlrev_b64 v[6:7], 4, v[6:7]
	s_delay_alu instid0(VALU_DEP_1) | instskip(NEXT) | instid1(VALU_DEP_2)
	v_add_co_u32 v1, vcc_lo, s0, v6
	v_add_co_ci_u32_e32 v3, vcc_lo, s1, v7, vcc_lo
	v_cmp_ne_u32_e32 vcc_lo, v0, v2
	s_delay_alu instid0(VALU_DEP_3) | instskip(NEXT) | instid1(VALU_DEP_1)
	v_add_co_u32 v0, s0, v1, v10
	v_add_co_ci_u32_e64 v1, s0, v3, v11, s0
	v_dual_cndmask_b32 v7, 0, v9 :: v_dual_cndmask_b32 v6, 0, v8
	global_store_b128 v[0:1], v[4:7], off
.LBB1352_5:
	s_nop 0
	s_sendmsg sendmsg(MSG_DEALLOC_VGPRS)
	s_endpgm
	.section	.rodata,"a",@progbits
	.p2align	6, 0x0
	.amdhsa_kernel _ZL41rocblas_syrkx_herkx_small_restrict_kernelIl19rocblas_complex_numIdELi16ELb1ELb1ELc78ELc85EKS1_S1_EviT_T0_PT6_S3_lS6_S3_lS4_PT7_S3_li
		.amdhsa_group_segment_fixed_size 8192
		.amdhsa_private_segment_fixed_size 0
		.amdhsa_kernarg_size 124
		.amdhsa_user_sgpr_count 13
		.amdhsa_user_sgpr_dispatch_ptr 0
		.amdhsa_user_sgpr_queue_ptr 0
		.amdhsa_user_sgpr_kernarg_segment_ptr 1
		.amdhsa_user_sgpr_dispatch_id 0
		.amdhsa_user_sgpr_private_segment_size 0
		.amdhsa_wavefront_size32 1
		.amdhsa_uses_dynamic_stack 0
		.amdhsa_enable_private_segment 0
		.amdhsa_system_sgpr_workgroup_id_x 1
		.amdhsa_system_sgpr_workgroup_id_y 1
		.amdhsa_system_sgpr_workgroup_id_z 1
		.amdhsa_system_sgpr_workgroup_info 0
		.amdhsa_system_vgpr_workitem_id 1
		.amdhsa_next_free_vgpr 48
		.amdhsa_next_free_sgpr 32
		.amdhsa_reserve_vcc 1
		.amdhsa_float_round_mode_32 0
		.amdhsa_float_round_mode_16_64 0
		.amdhsa_float_denorm_mode_32 3
		.amdhsa_float_denorm_mode_16_64 3
		.amdhsa_dx10_clamp 1
		.amdhsa_ieee_mode 1
		.amdhsa_fp16_overflow 0
		.amdhsa_workgroup_processor_mode 1
		.amdhsa_memory_ordered 1
		.amdhsa_forward_progress 0
		.amdhsa_shared_vgpr_count 0
		.amdhsa_exception_fp_ieee_invalid_op 0
		.amdhsa_exception_fp_denorm_src 0
		.amdhsa_exception_fp_ieee_div_zero 0
		.amdhsa_exception_fp_ieee_overflow 0
		.amdhsa_exception_fp_ieee_underflow 0
		.amdhsa_exception_fp_ieee_inexact 0
		.amdhsa_exception_int_div_zero 0
	.end_amdhsa_kernel
	.section	.text._ZL41rocblas_syrkx_herkx_small_restrict_kernelIl19rocblas_complex_numIdELi16ELb1ELb1ELc78ELc85EKS1_S1_EviT_T0_PT6_S3_lS6_S3_lS4_PT7_S3_li,"axG",@progbits,_ZL41rocblas_syrkx_herkx_small_restrict_kernelIl19rocblas_complex_numIdELi16ELb1ELb1ELc78ELc85EKS1_S1_EviT_T0_PT6_S3_lS6_S3_lS4_PT7_S3_li,comdat
.Lfunc_end1352:
	.size	_ZL41rocblas_syrkx_herkx_small_restrict_kernelIl19rocblas_complex_numIdELi16ELb1ELb1ELc78ELc85EKS1_S1_EviT_T0_PT6_S3_lS6_S3_lS4_PT7_S3_li, .Lfunc_end1352-_ZL41rocblas_syrkx_herkx_small_restrict_kernelIl19rocblas_complex_numIdELi16ELb1ELb1ELc78ELc85EKS1_S1_EviT_T0_PT6_S3_lS6_S3_lS4_PT7_S3_li
                                        ; -- End function
	.section	.AMDGPU.csdata,"",@progbits
; Kernel info:
; codeLenInByte = 1840
; NumSgprs: 34
; NumVgprs: 48
; ScratchSize: 0
; MemoryBound: 0
; FloatMode: 240
; IeeeMode: 1
; LDSByteSize: 8192 bytes/workgroup (compile time only)
; SGPRBlocks: 4
; VGPRBlocks: 5
; NumSGPRsForWavesPerEU: 34
; NumVGPRsForWavesPerEU: 48
; Occupancy: 16
; WaveLimiterHint : 0
; COMPUTE_PGM_RSRC2:SCRATCH_EN: 0
; COMPUTE_PGM_RSRC2:USER_SGPR: 13
; COMPUTE_PGM_RSRC2:TRAP_HANDLER: 0
; COMPUTE_PGM_RSRC2:TGID_X_EN: 1
; COMPUTE_PGM_RSRC2:TGID_Y_EN: 1
; COMPUTE_PGM_RSRC2:TGID_Z_EN: 1
; COMPUTE_PGM_RSRC2:TIDIG_COMP_CNT: 1
	.section	.text._ZL41rocblas_syrkx_herkx_small_restrict_kernelIl19rocblas_complex_numIdELi16ELb0ELb1ELc84ELc76EKS1_S1_EviT_T0_PT6_S3_lS6_S3_lS4_PT7_S3_li,"axG",@progbits,_ZL41rocblas_syrkx_herkx_small_restrict_kernelIl19rocblas_complex_numIdELi16ELb0ELb1ELc84ELc76EKS1_S1_EviT_T0_PT6_S3_lS6_S3_lS4_PT7_S3_li,comdat
	.globl	_ZL41rocblas_syrkx_herkx_small_restrict_kernelIl19rocblas_complex_numIdELi16ELb0ELb1ELc84ELc76EKS1_S1_EviT_T0_PT6_S3_lS6_S3_lS4_PT7_S3_li ; -- Begin function _ZL41rocblas_syrkx_herkx_small_restrict_kernelIl19rocblas_complex_numIdELi16ELb0ELb1ELc84ELc76EKS1_S1_EviT_T0_PT6_S3_lS6_S3_lS4_PT7_S3_li
	.p2align	8
	.type	_ZL41rocblas_syrkx_herkx_small_restrict_kernelIl19rocblas_complex_numIdELi16ELb0ELb1ELc84ELc76EKS1_S1_EviT_T0_PT6_S3_lS6_S3_lS4_PT7_S3_li,@function
_ZL41rocblas_syrkx_herkx_small_restrict_kernelIl19rocblas_complex_numIdELi16ELb0ELb1ELc84ELc76EKS1_S1_EviT_T0_PT6_S3_lS6_S3_lS4_PT7_S3_li: ; @_ZL41rocblas_syrkx_herkx_small_restrict_kernelIl19rocblas_complex_numIdELi16ELb0ELb1ELc84ELc76EKS1_S1_EviT_T0_PT6_S3_lS6_S3_lS4_PT7_S3_li
; %bb.0:
	s_clause 0x2
	s_load_b512 s[16:31], s[0:1], 0x8
	s_load_b128 s[8:11], s[0:1], 0x68
	s_load_b256 s[0:7], s[0:1], 0x48
	v_dual_mov_b32 v6, 0 :: v_dual_and_b32 v3, 0x3ff, v0
	v_bfe_u32 v2, v0, 10, 10
	v_mov_b32_e32 v7, 0
	s_delay_alu instid0(VALU_DEP_3) | instskip(NEXT) | instid1(VALU_DEP_3)
	v_lshl_add_u32 v0, s13, 4, v3
	v_lshl_add_u32 v10, s14, 4, v2
	s_delay_alu instid0(VALU_DEP_3) | instskip(NEXT) | instid1(VALU_DEP_3)
	v_dual_mov_b32 v9, v7 :: v_dual_mov_b32 v8, v6
	v_ashrrev_i32_e32 v1, 31, v0
	s_delay_alu instid0(VALU_DEP_3) | instskip(SKIP_2) | instid1(VALU_DEP_1)
	v_ashrrev_i32_e32 v11, 31, v10
	s_waitcnt lgkmcnt(0)
	v_cmp_lt_i64_e64 s12, s[16:17], 1
	s_and_b32 vcc_lo, exec_lo, s12
	s_cbranch_vccnz .LBB1353_3
; %bb.1:
	v_mul_lo_u32 v9, s31, v10
	v_mul_lo_u32 v15, s30, v11
	v_mad_u64_u32 v[4:5], null, s30, v10, 0
	v_lshlrev_b32_e32 v12, 4, v3
	v_mul_lo_u32 v3, s25, v0
	v_mul_lo_u32 v16, s24, v1
	v_mad_u64_u32 v[6:7], null, s24, v0, 0
	s_mul_i32 s1, s1, s15
	v_add3_u32 v5, v5, v15, v9
	s_mul_hi_u32 s12, s0, s15
	s_mul_i32 s0, s0, s15
	s_add_i32 s1, s12, s1
	s_mul_i32 s12, s27, s15
	s_delay_alu instid0(VALU_DEP_2)
	v_add3_u32 v7, v7, v16, v3
	v_lshlrev_b64 v[3:4], 4, v[4:5]
	s_lshl_b64 s[0:1], s[0:1], 4
	s_mul_hi_u32 s13, s26, s15
	v_lshlrev_b32_e32 v8, 8, v2
	v_lshlrev_b64 v[5:6], 4, v[6:7]
	s_add_i32 s13, s13, s12
	s_mul_i32 s12, s26, s15
	v_add_co_u32 v3, vcc_lo, v3, s0
	v_add_co_ci_u32_e32 v4, vcc_lo, s1, v4, vcc_lo
	s_lshl_b64 s[0:1], s[12:13], 4
	v_lshlrev_b32_e32 v2, 4, v2
	v_add_co_u32 v5, vcc_lo, v5, s0
	v_add_co_ci_u32_e32 v6, vcc_lo, s1, v6, vcc_lo
	v_add_co_u32 v3, vcc_lo, v3, v12
	v_add_co_ci_u32_e32 v4, vcc_lo, 0, v4, vcc_lo
	s_delay_alu instid0(VALU_DEP_4)
	v_add_co_u32 v5, vcc_lo, v5, v2
	v_add_nc_u32_e32 v13, 0x1000, v8
	v_add_nc_u32_e32 v14, v12, v8
	v_add_co_ci_u32_e32 v8, vcc_lo, 0, v6, vcc_lo
	v_mov_b32_e32 v6, 0
	v_mov_b32_e32 v7, 0
	v_add_co_u32 v2, vcc_lo, s28, v3
	v_add_co_ci_u32_e32 v3, vcc_lo, s29, v4, vcc_lo
	v_add_co_u32 v4, vcc_lo, s22, v5
	v_add_co_ci_u32_e32 v5, vcc_lo, s23, v8, vcc_lo
	v_mov_b32_e32 v9, v7
	v_dual_mov_b32 v8, v6 :: v_dual_add_nc_u32 v15, v13, v12
	s_mov_b64 s[0:1], 0
.LBB1353_2:                             ; =>This Inner Loop Header: Depth=1
	global_load_b128 v[16:19], v[4:5], off
	global_load_b128 v[20:23], v[2:3], off
	s_add_u32 s0, s0, 16
	v_add_co_u32 v2, vcc_lo, 0x100, v2
	s_addc_u32 s1, s1, 0
	v_add_co_ci_u32_e32 v3, vcc_lo, 0, v3, vcc_lo
	v_cmp_lt_i64_e64 s12, s[0:1], s[16:17]
	v_add_co_u32 v4, vcc_lo, 0x100, v4
	v_add_co_ci_u32_e32 v5, vcc_lo, 0, v5, vcc_lo
	s_waitcnt vmcnt(1)
	ds_store_2addr_b64 v14, v[16:17], v[18:19] offset1:1
	s_waitcnt vmcnt(0)
	ds_store_2addr_b64 v15, v[20:21], v[22:23] offset1:1
	s_waitcnt lgkmcnt(0)
	s_barrier
	buffer_gl0_inv
	ds_load_b128 v[16:19], v12
	ds_load_b128 v[20:23], v13
	ds_load_b128 v[24:27], v13 offset:16
	ds_load_b128 v[28:31], v12 offset:256
	s_and_b32 vcc_lo, exec_lo, s12
	s_waitcnt lgkmcnt(2)
	v_mul_f64 v[32:33], v[22:23], v[18:19]
	v_mul_f64 v[18:19], v[20:21], v[18:19]
	s_waitcnt lgkmcnt(0)
	v_mul_f64 v[38:39], v[26:27], v[30:31]
	v_mul_f64 v[40:41], v[24:25], v[30:31]
	s_delay_alu instid0(VALU_DEP_4) | instskip(NEXT) | instid1(VALU_DEP_4)
	v_fma_f64 v[42:43], v[20:21], v[16:17], -v[32:33]
	v_fma_f64 v[44:45], v[22:23], v[16:17], v[18:19]
	ds_load_b128 v[16:19], v12 offset:512
	ds_load_b128 v[20:23], v13 offset:32
	;; [unrolled: 1-line block ×4, first 2 shown]
	v_fma_f64 v[24:25], v[24:25], v[28:29], -v[38:39]
	v_fma_f64 v[26:27], v[26:27], v[28:29], v[40:41]
	s_waitcnt lgkmcnt(2)
	v_mul_f64 v[46:47], v[22:23], v[18:19]
	v_mul_f64 v[18:19], v[20:21], v[18:19]
	s_waitcnt lgkmcnt(0)
	v_mul_f64 v[28:29], v[32:33], v[36:37]
	v_mul_f64 v[36:37], v[30:31], v[36:37]
	v_add_f64 v[8:9], v[8:9], v[42:43]
	v_add_f64 v[6:7], v[6:7], v[44:45]
	v_fma_f64 v[38:39], v[20:21], v[16:17], -v[46:47]
	v_fma_f64 v[40:41], v[22:23], v[16:17], v[18:19]
	v_fma_f64 v[28:29], v[30:31], v[34:35], -v[28:29]
	v_fma_f64 v[30:31], v[32:33], v[34:35], v[36:37]
	v_add_f64 v[42:43], v[8:9], v[24:25]
	v_add_f64 v[44:45], v[6:7], v[26:27]
	ds_load_b128 v[6:9], v12 offset:1024
	ds_load_b128 v[16:19], v13 offset:64
	;; [unrolled: 1-line block ×4, first 2 shown]
	s_waitcnt lgkmcnt(2)
	v_mul_f64 v[46:47], v[18:19], v[8:9]
	v_mul_f64 v[8:9], v[16:17], v[8:9]
	s_waitcnt lgkmcnt(0)
	v_mul_f64 v[36:37], v[22:23], v[26:27]
	v_add_f64 v[32:33], v[42:43], v[38:39]
	v_add_f64 v[34:35], v[44:45], v[40:41]
	v_mul_f64 v[38:39], v[20:21], v[26:27]
	v_fma_f64 v[40:41], v[16:17], v[6:7], -v[46:47]
	v_fma_f64 v[42:43], v[18:19], v[6:7], v[8:9]
	v_fma_f64 v[20:21], v[20:21], v[24:25], -v[36:37]
	v_add_f64 v[44:45], v[32:33], v[28:29]
	v_add_f64 v[34:35], v[34:35], v[30:31]
	ds_load_b128 v[6:9], v12 offset:1536
	ds_load_b128 v[16:19], v13 offset:96
	;; [unrolled: 1-line block ×4, first 2 shown]
	v_fma_f64 v[22:23], v[22:23], v[24:25], v[38:39]
	s_waitcnt lgkmcnt(2)
	v_mul_f64 v[46:47], v[18:19], v[8:9]
	v_mul_f64 v[8:9], v[16:17], v[8:9]
	s_waitcnt lgkmcnt(0)
	v_mul_f64 v[36:37], v[28:29], v[32:33]
	v_mul_f64 v[38:39], v[26:27], v[32:33]
	v_add_f64 v[24:25], v[44:45], v[40:41]
	v_add_f64 v[34:35], v[34:35], v[42:43]
	v_fma_f64 v[40:41], v[16:17], v[6:7], -v[46:47]
	v_fma_f64 v[42:43], v[18:19], v[6:7], v[8:9]
	v_fma_f64 v[26:27], v[26:27], v[30:31], -v[36:37]
	v_fma_f64 v[28:29], v[28:29], v[30:31], v[38:39]
	v_add_f64 v[24:25], v[24:25], v[20:21]
	v_add_f64 v[44:45], v[34:35], v[22:23]
	ds_load_b128 v[6:9], v12 offset:2048
	ds_load_b128 v[16:19], v13 offset:128
	;; [unrolled: 1-line block ×4, first 2 shown]
	s_waitcnt lgkmcnt(2)
	v_mul_f64 v[46:47], v[18:19], v[8:9]
	v_mul_f64 v[8:9], v[16:17], v[8:9]
	s_waitcnt lgkmcnt(0)
	v_mul_f64 v[36:37], v[22:23], v[34:35]
	v_mul_f64 v[34:35], v[20:21], v[34:35]
	v_add_f64 v[24:25], v[24:25], v[40:41]
	v_add_f64 v[30:31], v[44:45], v[42:43]
	v_fma_f64 v[38:39], v[16:17], v[6:7], -v[46:47]
	v_fma_f64 v[40:41], v[18:19], v[6:7], v[8:9]
	v_fma_f64 v[20:21], v[20:21], v[32:33], -v[36:37]
	v_fma_f64 v[22:23], v[22:23], v[32:33], v[34:35]
	v_add_f64 v[42:43], v[24:25], v[26:27]
	v_add_f64 v[44:45], v[30:31], v[28:29]
	ds_load_b128 v[6:9], v12 offset:2560
	ds_load_b128 v[16:19], v13 offset:160
	;; [unrolled: 1-line block ×4, first 2 shown]
	s_waitcnt lgkmcnt(2)
	v_mul_f64 v[46:47], v[18:19], v[8:9]
	v_mul_f64 v[8:9], v[16:17], v[8:9]
	s_waitcnt lgkmcnt(0)
	v_mul_f64 v[36:37], v[26:27], v[30:31]
	v_add_f64 v[32:33], v[42:43], v[38:39]
	v_add_f64 v[34:35], v[44:45], v[40:41]
	v_mul_f64 v[38:39], v[24:25], v[30:31]
	v_fma_f64 v[40:41], v[16:17], v[6:7], -v[46:47]
	v_fma_f64 v[42:43], v[18:19], v[6:7], v[8:9]
	v_fma_f64 v[24:25], v[24:25], v[28:29], -v[36:37]
	v_add_f64 v[44:45], v[32:33], v[20:21]
	v_add_f64 v[34:35], v[34:35], v[22:23]
	ds_load_b128 v[6:9], v12 offset:3072
	ds_load_b128 v[16:19], v13 offset:192
	;; [unrolled: 1-line block ×4, first 2 shown]
	v_fma_f64 v[26:27], v[26:27], v[28:29], v[38:39]
	s_waitcnt lgkmcnt(2)
	v_mul_f64 v[46:47], v[18:19], v[8:9]
	v_mul_f64 v[8:9], v[16:17], v[8:9]
	s_waitcnt lgkmcnt(0)
	v_mul_f64 v[36:37], v[22:23], v[32:33]
	v_mul_f64 v[38:39], v[20:21], v[32:33]
	v_add_f64 v[28:29], v[44:45], v[40:41]
	v_add_f64 v[34:35], v[34:35], v[42:43]
	v_fma_f64 v[40:41], v[16:17], v[6:7], -v[46:47]
	v_fma_f64 v[42:43], v[18:19], v[6:7], v[8:9]
	v_fma_f64 v[20:21], v[20:21], v[30:31], -v[36:37]
	v_fma_f64 v[22:23], v[22:23], v[30:31], v[38:39]
	v_add_f64 v[28:29], v[28:29], v[24:25]
	v_add_f64 v[44:45], v[34:35], v[26:27]
	ds_load_b128 v[6:9], v12 offset:3584
	ds_load_b128 v[16:19], v13 offset:224
	;; [unrolled: 1-line block ×4, first 2 shown]
	s_waitcnt lgkmcnt(0)
	s_barrier
	buffer_gl0_inv
	v_mul_f64 v[46:47], v[18:19], v[8:9]
	v_mul_f64 v[8:9], v[16:17], v[8:9]
	;; [unrolled: 1-line block ×4, first 2 shown]
	v_add_f64 v[28:29], v[28:29], v[40:41]
	v_add_f64 v[30:31], v[44:45], v[42:43]
	v_fma_f64 v[16:17], v[16:17], v[6:7], -v[46:47]
	v_fma_f64 v[6:7], v[18:19], v[6:7], v[8:9]
	s_delay_alu instid0(VALU_DEP_4) | instskip(NEXT) | instid1(VALU_DEP_4)
	v_add_f64 v[8:9], v[28:29], v[20:21]
	v_add_f64 v[18:19], v[30:31], v[22:23]
	v_fma_f64 v[20:21], v[24:25], v[32:33], -v[36:37]
	v_fma_f64 v[22:23], v[26:27], v[32:33], v[34:35]
	s_delay_alu instid0(VALU_DEP_4) | instskip(NEXT) | instid1(VALU_DEP_4)
	v_add_f64 v[8:9], v[8:9], v[16:17]
	v_add_f64 v[6:7], v[18:19], v[6:7]
	s_delay_alu instid0(VALU_DEP_2) | instskip(NEXT) | instid1(VALU_DEP_2)
	v_add_f64 v[8:9], v[8:9], v[20:21]
	v_add_f64 v[6:7], v[6:7], v[22:23]
	s_cbranch_vccnz .LBB1353_2
.LBB1353_3:
	s_mov_b32 s0, exec_lo
	v_cmpx_le_i32_e64 v10, v0
	s_cbranch_execz .LBB1353_5
; %bb.4:
	v_mul_lo_u32 v4, v10, s9
	v_mul_lo_u32 v5, v11, s8
	v_mad_u64_u32 v[2:3], null, v10, s8, 0
	s_mul_i32 s1, s15, s11
	s_mul_hi_u32 s8, s15, s10
	s_mul_i32 s0, s15, s10
	s_add_i32 s1, s8, s1
	v_mul_f64 v[13:14], s[18:19], v[6:7]
	s_lshl_b64 s[0:1], s[0:1], 4
	s_delay_alu instid0(VALU_DEP_2) | instskip(SKIP_3) | instid1(VALU_DEP_2)
	v_add3_u32 v3, v3, v4, v5
	s_add_u32 s0, s6, s0
	v_lshlrev_b64 v[4:5], 4, v[0:1]
	s_addc_u32 s1, s7, s1
	v_lshlrev_b64 v[2:3], 4, v[2:3]
	s_delay_alu instid0(VALU_DEP_1) | instskip(NEXT) | instid1(VALU_DEP_2)
	v_add_co_u32 v1, vcc_lo, s0, v2
	v_add_co_ci_u32_e32 v2, vcc_lo, s1, v3, vcc_lo
	s_delay_alu instid0(VALU_DEP_2) | instskip(NEXT) | instid1(VALU_DEP_2)
	v_add_co_u32 v11, vcc_lo, v1, v4
	v_add_co_ci_u32_e32 v12, vcc_lo, v2, v5, vcc_lo
	v_mul_f64 v[5:6], s[20:21], v[6:7]
	v_cmp_ne_u32_e32 vcc_lo, v0, v10
	global_load_b128 v[1:4], v[11:12], off
	v_fma_f64 v[13:14], s[20:21], v[8:9], v[13:14]
	v_fma_f64 v[5:6], s[18:19], v[8:9], -v[5:6]
	s_waitcnt vmcnt(0)
	v_mul_f64 v[15:16], s[2:3], v[3:4]
	v_mul_f64 v[3:4], s[4:5], v[3:4]
	s_delay_alu instid0(VALU_DEP_2) | instskip(NEXT) | instid1(VALU_DEP_2)
	v_fma_f64 v[15:16], s[4:5], v[1:2], v[15:16]
	v_fma_f64 v[1:2], s[2:3], v[1:2], -v[3:4]
	s_delay_alu instid0(VALU_DEP_2) | instskip(NEXT) | instid1(VALU_DEP_2)
	v_add_f64 v[3:4], v[13:14], v[15:16]
	v_add_f64 v[1:2], v[5:6], v[1:2]
	s_delay_alu instid0(VALU_DEP_2)
	v_dual_cndmask_b32 v4, 0, v4 :: v_dual_cndmask_b32 v3, 0, v3
	global_store_b128 v[11:12], v[1:4], off
.LBB1353_5:
	s_nop 0
	s_sendmsg sendmsg(MSG_DEALLOC_VGPRS)
	s_endpgm
	.section	.rodata,"a",@progbits
	.p2align	6, 0x0
	.amdhsa_kernel _ZL41rocblas_syrkx_herkx_small_restrict_kernelIl19rocblas_complex_numIdELi16ELb0ELb1ELc84ELc76EKS1_S1_EviT_T0_PT6_S3_lS6_S3_lS4_PT7_S3_li
		.amdhsa_group_segment_fixed_size 8192
		.amdhsa_private_segment_fixed_size 0
		.amdhsa_kernarg_size 124
		.amdhsa_user_sgpr_count 13
		.amdhsa_user_sgpr_dispatch_ptr 0
		.amdhsa_user_sgpr_queue_ptr 0
		.amdhsa_user_sgpr_kernarg_segment_ptr 1
		.amdhsa_user_sgpr_dispatch_id 0
		.amdhsa_user_sgpr_private_segment_size 0
		.amdhsa_wavefront_size32 1
		.amdhsa_uses_dynamic_stack 0
		.amdhsa_enable_private_segment 0
		.amdhsa_system_sgpr_workgroup_id_x 1
		.amdhsa_system_sgpr_workgroup_id_y 1
		.amdhsa_system_sgpr_workgroup_id_z 1
		.amdhsa_system_sgpr_workgroup_info 0
		.amdhsa_system_vgpr_workitem_id 1
		.amdhsa_next_free_vgpr 48
		.amdhsa_next_free_sgpr 32
		.amdhsa_reserve_vcc 1
		.amdhsa_float_round_mode_32 0
		.amdhsa_float_round_mode_16_64 0
		.amdhsa_float_denorm_mode_32 3
		.amdhsa_float_denorm_mode_16_64 3
		.amdhsa_dx10_clamp 1
		.amdhsa_ieee_mode 1
		.amdhsa_fp16_overflow 0
		.amdhsa_workgroup_processor_mode 1
		.amdhsa_memory_ordered 1
		.amdhsa_forward_progress 0
		.amdhsa_shared_vgpr_count 0
		.amdhsa_exception_fp_ieee_invalid_op 0
		.amdhsa_exception_fp_denorm_src 0
		.amdhsa_exception_fp_ieee_div_zero 0
		.amdhsa_exception_fp_ieee_overflow 0
		.amdhsa_exception_fp_ieee_underflow 0
		.amdhsa_exception_fp_ieee_inexact 0
		.amdhsa_exception_int_div_zero 0
	.end_amdhsa_kernel
	.section	.text._ZL41rocblas_syrkx_herkx_small_restrict_kernelIl19rocblas_complex_numIdELi16ELb0ELb1ELc84ELc76EKS1_S1_EviT_T0_PT6_S3_lS6_S3_lS4_PT7_S3_li,"axG",@progbits,_ZL41rocblas_syrkx_herkx_small_restrict_kernelIl19rocblas_complex_numIdELi16ELb0ELb1ELc84ELc76EKS1_S1_EviT_T0_PT6_S3_lS6_S3_lS4_PT7_S3_li,comdat
.Lfunc_end1353:
	.size	_ZL41rocblas_syrkx_herkx_small_restrict_kernelIl19rocblas_complex_numIdELi16ELb0ELb1ELc84ELc76EKS1_S1_EviT_T0_PT6_S3_lS6_S3_lS4_PT7_S3_li, .Lfunc_end1353-_ZL41rocblas_syrkx_herkx_small_restrict_kernelIl19rocblas_complex_numIdELi16ELb0ELb1ELc84ELc76EKS1_S1_EviT_T0_PT6_S3_lS6_S3_lS4_PT7_S3_li
                                        ; -- End function
	.section	.AMDGPU.csdata,"",@progbits
; Kernel info:
; codeLenInByte = 1852
; NumSgprs: 34
; NumVgprs: 48
; ScratchSize: 0
; MemoryBound: 0
; FloatMode: 240
; IeeeMode: 1
; LDSByteSize: 8192 bytes/workgroup (compile time only)
; SGPRBlocks: 4
; VGPRBlocks: 5
; NumSGPRsForWavesPerEU: 34
; NumVGPRsForWavesPerEU: 48
; Occupancy: 16
; WaveLimiterHint : 0
; COMPUTE_PGM_RSRC2:SCRATCH_EN: 0
; COMPUTE_PGM_RSRC2:USER_SGPR: 13
; COMPUTE_PGM_RSRC2:TRAP_HANDLER: 0
; COMPUTE_PGM_RSRC2:TGID_X_EN: 1
; COMPUTE_PGM_RSRC2:TGID_Y_EN: 1
; COMPUTE_PGM_RSRC2:TGID_Z_EN: 1
; COMPUTE_PGM_RSRC2:TIDIG_COMP_CNT: 1
	.section	.text._ZL41rocblas_syrkx_herkx_small_restrict_kernelIl19rocblas_complex_numIdELi16ELb0ELb1ELc67ELc76EKS1_S1_EviT_T0_PT6_S3_lS6_S3_lS4_PT7_S3_li,"axG",@progbits,_ZL41rocblas_syrkx_herkx_small_restrict_kernelIl19rocblas_complex_numIdELi16ELb0ELb1ELc67ELc76EKS1_S1_EviT_T0_PT6_S3_lS6_S3_lS4_PT7_S3_li,comdat
	.globl	_ZL41rocblas_syrkx_herkx_small_restrict_kernelIl19rocblas_complex_numIdELi16ELb0ELb1ELc67ELc76EKS1_S1_EviT_T0_PT6_S3_lS6_S3_lS4_PT7_S3_li ; -- Begin function _ZL41rocblas_syrkx_herkx_small_restrict_kernelIl19rocblas_complex_numIdELi16ELb0ELb1ELc67ELc76EKS1_S1_EviT_T0_PT6_S3_lS6_S3_lS4_PT7_S3_li
	.p2align	8
	.type	_ZL41rocblas_syrkx_herkx_small_restrict_kernelIl19rocblas_complex_numIdELi16ELb0ELb1ELc67ELc76EKS1_S1_EviT_T0_PT6_S3_lS6_S3_lS4_PT7_S3_li,@function
_ZL41rocblas_syrkx_herkx_small_restrict_kernelIl19rocblas_complex_numIdELi16ELb0ELb1ELc67ELc76EKS1_S1_EviT_T0_PT6_S3_lS6_S3_lS4_PT7_S3_li: ; @_ZL41rocblas_syrkx_herkx_small_restrict_kernelIl19rocblas_complex_numIdELi16ELb0ELb1ELc67ELc76EKS1_S1_EviT_T0_PT6_S3_lS6_S3_lS4_PT7_S3_li
; %bb.0:
	s_clause 0x2
	s_load_b512 s[16:31], s[0:1], 0x8
	s_load_b128 s[8:11], s[0:1], 0x68
	s_load_b256 s[0:7], s[0:1], 0x48
	v_dual_mov_b32 v6, 0 :: v_dual_and_b32 v3, 0x3ff, v0
	v_bfe_u32 v2, v0, 10, 10
	v_mov_b32_e32 v7, 0
	s_delay_alu instid0(VALU_DEP_3) | instskip(NEXT) | instid1(VALU_DEP_3)
	v_lshl_add_u32 v0, s13, 4, v3
	v_lshl_add_u32 v10, s14, 4, v2
	s_delay_alu instid0(VALU_DEP_3) | instskip(NEXT) | instid1(VALU_DEP_3)
	v_dual_mov_b32 v9, v7 :: v_dual_mov_b32 v8, v6
	v_ashrrev_i32_e32 v1, 31, v0
	s_delay_alu instid0(VALU_DEP_3) | instskip(SKIP_2) | instid1(VALU_DEP_1)
	v_ashrrev_i32_e32 v11, 31, v10
	s_waitcnt lgkmcnt(0)
	v_cmp_lt_i64_e64 s12, s[16:17], 1
	s_and_b32 vcc_lo, exec_lo, s12
	s_cbranch_vccnz .LBB1354_3
; %bb.1:
	v_mul_lo_u32 v6, s31, v10
	v_mul_lo_u32 v7, s30, v11
	v_mad_u64_u32 v[4:5], null, s30, v10, 0
	v_mul_lo_u32 v9, s25, v0
	v_mul_lo_u32 v16, s24, v1
	s_mul_i32 s1, s1, s15
	s_mul_hi_u32 s12, s0, s15
	v_lshlrev_b32_e32 v12, 4, v3
	s_add_i32 s1, s12, s1
	s_delay_alu instid0(VALU_DEP_4) | instskip(SKIP_3) | instid1(VALU_DEP_2)
	v_add3_u32 v5, v5, v7, v6
	v_mad_u64_u32 v[6:7], null, s24, v0, 0
	s_mul_i32 s12, s27, s15
	s_mul_hi_u32 s13, s26, s15
	v_lshlrev_b64 v[3:4], 4, v[4:5]
	s_add_i32 s13, s13, s12
	s_mul_i32 s12, s26, s15
	s_mul_i32 s0, s0, s15
	s_delay_alu instid0(VALU_DEP_2)
	v_add3_u32 v7, v7, v16, v9
	s_lshl_b64 s[12:13], s[12:13], 4
	v_lshlrev_b32_e32 v8, 8, v2
	s_lshl_b64 s[0:1], s[0:1], 4
	v_lshlrev_b32_e32 v2, 4, v2
	v_lshlrev_b64 v[5:6], 4, v[6:7]
	s_delay_alu instid0(VALU_DEP_1) | instskip(NEXT) | instid1(VALU_DEP_2)
	v_add_co_u32 v5, vcc_lo, v5, s12
	v_add_co_ci_u32_e32 v6, vcc_lo, s13, v6, vcc_lo
	v_add_co_u32 v3, vcc_lo, v3, s0
	v_add_co_ci_u32_e32 v4, vcc_lo, s1, v4, vcc_lo
	s_delay_alu instid0(VALU_DEP_4) | instskip(NEXT) | instid1(VALU_DEP_4)
	v_add_co_u32 v2, vcc_lo, v5, v2
	v_add_co_ci_u32_e32 v5, vcc_lo, 0, v6, vcc_lo
	s_delay_alu instid0(VALU_DEP_4) | instskip(NEXT) | instid1(VALU_DEP_4)
	v_add_co_u32 v3, vcc_lo, v3, v12
	v_add_co_ci_u32_e32 v4, vcc_lo, 0, v4, vcc_lo
	v_mov_b32_e32 v6, 0
	v_mov_b32_e32 v7, 0
	v_add_nc_u32_e32 v13, 0x1000, v8
	v_add_nc_u32_e32 v14, v12, v8
	v_add_co_u32 v8, vcc_lo, v2, s22
	v_add_co_ci_u32_e32 v5, vcc_lo, s23, v5, vcc_lo
	v_add_co_u32 v2, vcc_lo, s28, v3
	v_add_co_ci_u32_e32 v3, vcc_lo, s29, v4, vcc_lo
	s_delay_alu instid0(VALU_DEP_4)
	v_add_co_u32 v4, vcc_lo, v8, 8
	v_dual_mov_b32 v9, v7 :: v_dual_mov_b32 v8, v6
	v_add_nc_u32_e32 v15, v13, v12
	v_add_co_ci_u32_e32 v5, vcc_lo, 0, v5, vcc_lo
	s_mov_b64 s[0:1], 0
.LBB1354_2:                             ; =>This Inner Loop Header: Depth=1
	global_load_b128 v[16:19], v[4:5], off offset:-8
	global_load_b128 v[20:23], v[2:3], off
	s_add_u32 s0, s0, 16
	v_add_co_u32 v2, vcc_lo, 0x100, v2
	s_addc_u32 s1, s1, 0
	v_add_co_ci_u32_e32 v3, vcc_lo, 0, v3, vcc_lo
	v_cmp_lt_i64_e64 s12, s[0:1], s[16:17]
	v_add_co_u32 v4, vcc_lo, 0x100, v4
	v_add_co_ci_u32_e32 v5, vcc_lo, 0, v5, vcc_lo
	s_delay_alu instid0(VALU_DEP_3)
	s_and_b32 vcc_lo, exec_lo, s12
	s_waitcnt vmcnt(1)
	v_xor_b32_e32 v19, 0x80000000, v19
	ds_store_b128 v14, v[16:19]
	s_waitcnt vmcnt(0)
	ds_store_2addr_b64 v15, v[20:21], v[22:23] offset1:1
	s_waitcnt lgkmcnt(0)
	s_barrier
	buffer_gl0_inv
	ds_load_b128 v[16:19], v12
	ds_load_b128 v[20:23], v13
	ds_load_b128 v[24:27], v13 offset:16
	ds_load_b128 v[28:31], v12 offset:256
	s_waitcnt lgkmcnt(2)
	v_mul_f64 v[32:33], v[22:23], v[18:19]
	v_mul_f64 v[18:19], v[20:21], v[18:19]
	s_waitcnt lgkmcnt(0)
	v_mul_f64 v[38:39], v[26:27], v[30:31]
	v_mul_f64 v[40:41], v[24:25], v[30:31]
	s_delay_alu instid0(VALU_DEP_4) | instskip(NEXT) | instid1(VALU_DEP_4)
	v_fma_f64 v[42:43], v[20:21], v[16:17], -v[32:33]
	v_fma_f64 v[44:45], v[22:23], v[16:17], v[18:19]
	ds_load_b128 v[16:19], v12 offset:512
	ds_load_b128 v[20:23], v13 offset:32
	;; [unrolled: 1-line block ×4, first 2 shown]
	v_fma_f64 v[24:25], v[24:25], v[28:29], -v[38:39]
	v_fma_f64 v[26:27], v[26:27], v[28:29], v[40:41]
	s_waitcnt lgkmcnt(2)
	v_mul_f64 v[46:47], v[22:23], v[18:19]
	v_mul_f64 v[18:19], v[20:21], v[18:19]
	s_waitcnt lgkmcnt(0)
	v_mul_f64 v[28:29], v[32:33], v[36:37]
	v_mul_f64 v[36:37], v[30:31], v[36:37]
	v_add_f64 v[8:9], v[8:9], v[42:43]
	v_add_f64 v[6:7], v[6:7], v[44:45]
	v_fma_f64 v[38:39], v[20:21], v[16:17], -v[46:47]
	v_fma_f64 v[40:41], v[22:23], v[16:17], v[18:19]
	v_fma_f64 v[28:29], v[30:31], v[34:35], -v[28:29]
	v_fma_f64 v[30:31], v[32:33], v[34:35], v[36:37]
	v_add_f64 v[42:43], v[8:9], v[24:25]
	v_add_f64 v[44:45], v[6:7], v[26:27]
	ds_load_b128 v[6:9], v12 offset:1024
	ds_load_b128 v[16:19], v13 offset:64
	;; [unrolled: 1-line block ×4, first 2 shown]
	s_waitcnt lgkmcnt(2)
	v_mul_f64 v[46:47], v[18:19], v[8:9]
	v_mul_f64 v[8:9], v[16:17], v[8:9]
	s_waitcnt lgkmcnt(0)
	v_mul_f64 v[36:37], v[22:23], v[26:27]
	v_add_f64 v[32:33], v[42:43], v[38:39]
	v_add_f64 v[34:35], v[44:45], v[40:41]
	v_mul_f64 v[38:39], v[20:21], v[26:27]
	v_fma_f64 v[40:41], v[16:17], v[6:7], -v[46:47]
	v_fma_f64 v[42:43], v[18:19], v[6:7], v[8:9]
	v_fma_f64 v[20:21], v[20:21], v[24:25], -v[36:37]
	v_add_f64 v[44:45], v[32:33], v[28:29]
	v_add_f64 v[34:35], v[34:35], v[30:31]
	ds_load_b128 v[6:9], v12 offset:1536
	ds_load_b128 v[16:19], v13 offset:96
	;; [unrolled: 1-line block ×4, first 2 shown]
	v_fma_f64 v[22:23], v[22:23], v[24:25], v[38:39]
	s_waitcnt lgkmcnt(2)
	v_mul_f64 v[46:47], v[18:19], v[8:9]
	v_mul_f64 v[8:9], v[16:17], v[8:9]
	s_waitcnt lgkmcnt(0)
	v_mul_f64 v[36:37], v[28:29], v[32:33]
	v_mul_f64 v[38:39], v[26:27], v[32:33]
	v_add_f64 v[24:25], v[44:45], v[40:41]
	v_add_f64 v[34:35], v[34:35], v[42:43]
	v_fma_f64 v[40:41], v[16:17], v[6:7], -v[46:47]
	v_fma_f64 v[42:43], v[18:19], v[6:7], v[8:9]
	v_fma_f64 v[26:27], v[26:27], v[30:31], -v[36:37]
	v_fma_f64 v[28:29], v[28:29], v[30:31], v[38:39]
	v_add_f64 v[24:25], v[24:25], v[20:21]
	v_add_f64 v[44:45], v[34:35], v[22:23]
	ds_load_b128 v[6:9], v12 offset:2048
	ds_load_b128 v[16:19], v13 offset:128
	;; [unrolled: 1-line block ×4, first 2 shown]
	s_waitcnt lgkmcnt(2)
	v_mul_f64 v[46:47], v[18:19], v[8:9]
	v_mul_f64 v[8:9], v[16:17], v[8:9]
	s_waitcnt lgkmcnt(0)
	v_mul_f64 v[36:37], v[22:23], v[34:35]
	v_mul_f64 v[34:35], v[20:21], v[34:35]
	v_add_f64 v[24:25], v[24:25], v[40:41]
	v_add_f64 v[30:31], v[44:45], v[42:43]
	v_fma_f64 v[38:39], v[16:17], v[6:7], -v[46:47]
	v_fma_f64 v[40:41], v[18:19], v[6:7], v[8:9]
	v_fma_f64 v[20:21], v[20:21], v[32:33], -v[36:37]
	v_fma_f64 v[22:23], v[22:23], v[32:33], v[34:35]
	v_add_f64 v[42:43], v[24:25], v[26:27]
	v_add_f64 v[44:45], v[30:31], v[28:29]
	ds_load_b128 v[6:9], v12 offset:2560
	ds_load_b128 v[16:19], v13 offset:160
	;; [unrolled: 1-line block ×4, first 2 shown]
	s_waitcnt lgkmcnt(2)
	v_mul_f64 v[46:47], v[18:19], v[8:9]
	v_mul_f64 v[8:9], v[16:17], v[8:9]
	s_waitcnt lgkmcnt(0)
	v_mul_f64 v[36:37], v[26:27], v[30:31]
	v_add_f64 v[32:33], v[42:43], v[38:39]
	v_add_f64 v[34:35], v[44:45], v[40:41]
	v_mul_f64 v[38:39], v[24:25], v[30:31]
	v_fma_f64 v[40:41], v[16:17], v[6:7], -v[46:47]
	v_fma_f64 v[42:43], v[18:19], v[6:7], v[8:9]
	v_fma_f64 v[24:25], v[24:25], v[28:29], -v[36:37]
	v_add_f64 v[44:45], v[32:33], v[20:21]
	v_add_f64 v[34:35], v[34:35], v[22:23]
	ds_load_b128 v[6:9], v12 offset:3072
	ds_load_b128 v[16:19], v13 offset:192
	;; [unrolled: 1-line block ×4, first 2 shown]
	v_fma_f64 v[26:27], v[26:27], v[28:29], v[38:39]
	s_waitcnt lgkmcnt(2)
	v_mul_f64 v[46:47], v[18:19], v[8:9]
	v_mul_f64 v[8:9], v[16:17], v[8:9]
	s_waitcnt lgkmcnt(0)
	v_mul_f64 v[36:37], v[22:23], v[32:33]
	v_mul_f64 v[38:39], v[20:21], v[32:33]
	v_add_f64 v[28:29], v[44:45], v[40:41]
	v_add_f64 v[34:35], v[34:35], v[42:43]
	v_fma_f64 v[40:41], v[16:17], v[6:7], -v[46:47]
	v_fma_f64 v[42:43], v[18:19], v[6:7], v[8:9]
	v_fma_f64 v[20:21], v[20:21], v[30:31], -v[36:37]
	v_fma_f64 v[22:23], v[22:23], v[30:31], v[38:39]
	v_add_f64 v[28:29], v[28:29], v[24:25]
	v_add_f64 v[44:45], v[34:35], v[26:27]
	ds_load_b128 v[6:9], v12 offset:3584
	ds_load_b128 v[16:19], v13 offset:224
	ds_load_b128 v[24:27], v13 offset:240
	ds_load_b128 v[32:35], v12 offset:3840
	s_waitcnt lgkmcnt(0)
	s_barrier
	buffer_gl0_inv
	v_mul_f64 v[46:47], v[18:19], v[8:9]
	v_mul_f64 v[8:9], v[16:17], v[8:9]
	;; [unrolled: 1-line block ×4, first 2 shown]
	v_add_f64 v[28:29], v[28:29], v[40:41]
	v_add_f64 v[30:31], v[44:45], v[42:43]
	v_fma_f64 v[16:17], v[16:17], v[6:7], -v[46:47]
	v_fma_f64 v[6:7], v[18:19], v[6:7], v[8:9]
	s_delay_alu instid0(VALU_DEP_4) | instskip(NEXT) | instid1(VALU_DEP_4)
	v_add_f64 v[8:9], v[28:29], v[20:21]
	v_add_f64 v[18:19], v[30:31], v[22:23]
	v_fma_f64 v[20:21], v[24:25], v[32:33], -v[36:37]
	v_fma_f64 v[22:23], v[26:27], v[32:33], v[34:35]
	s_delay_alu instid0(VALU_DEP_4) | instskip(NEXT) | instid1(VALU_DEP_4)
	v_add_f64 v[8:9], v[8:9], v[16:17]
	v_add_f64 v[6:7], v[18:19], v[6:7]
	s_delay_alu instid0(VALU_DEP_2) | instskip(NEXT) | instid1(VALU_DEP_2)
	v_add_f64 v[8:9], v[8:9], v[20:21]
	v_add_f64 v[6:7], v[6:7], v[22:23]
	s_cbranch_vccnz .LBB1354_2
.LBB1354_3:
	s_mov_b32 s0, exec_lo
	v_cmpx_le_i32_e64 v10, v0
	s_cbranch_execz .LBB1354_5
; %bb.4:
	v_mul_lo_u32 v4, v10, s9
	v_mul_lo_u32 v5, v11, s8
	v_mad_u64_u32 v[2:3], null, v10, s8, 0
	s_mul_i32 s1, s15, s11
	s_mul_hi_u32 s8, s15, s10
	s_mul_i32 s0, s15, s10
	s_add_i32 s1, s8, s1
	v_mul_f64 v[13:14], s[18:19], v[6:7]
	s_lshl_b64 s[0:1], s[0:1], 4
	s_delay_alu instid0(VALU_DEP_2) | instskip(SKIP_3) | instid1(VALU_DEP_2)
	v_add3_u32 v3, v3, v4, v5
	s_add_u32 s0, s6, s0
	v_lshlrev_b64 v[4:5], 4, v[0:1]
	s_addc_u32 s1, s7, s1
	v_lshlrev_b64 v[2:3], 4, v[2:3]
	s_delay_alu instid0(VALU_DEP_1) | instskip(NEXT) | instid1(VALU_DEP_2)
	v_add_co_u32 v1, vcc_lo, s0, v2
	v_add_co_ci_u32_e32 v2, vcc_lo, s1, v3, vcc_lo
	s_delay_alu instid0(VALU_DEP_2) | instskip(NEXT) | instid1(VALU_DEP_2)
	v_add_co_u32 v11, vcc_lo, v1, v4
	v_add_co_ci_u32_e32 v12, vcc_lo, v2, v5, vcc_lo
	v_mul_f64 v[5:6], s[20:21], v[6:7]
	v_cmp_ne_u32_e32 vcc_lo, v0, v10
	global_load_b128 v[1:4], v[11:12], off
	v_fma_f64 v[13:14], s[20:21], v[8:9], v[13:14]
	v_fma_f64 v[5:6], s[18:19], v[8:9], -v[5:6]
	s_waitcnt vmcnt(0)
	v_mul_f64 v[15:16], s[2:3], v[3:4]
	v_mul_f64 v[3:4], s[4:5], v[3:4]
	s_delay_alu instid0(VALU_DEP_2) | instskip(NEXT) | instid1(VALU_DEP_2)
	v_fma_f64 v[15:16], s[4:5], v[1:2], v[15:16]
	v_fma_f64 v[1:2], s[2:3], v[1:2], -v[3:4]
	s_delay_alu instid0(VALU_DEP_2) | instskip(NEXT) | instid1(VALU_DEP_2)
	v_add_f64 v[3:4], v[13:14], v[15:16]
	v_add_f64 v[1:2], v[5:6], v[1:2]
	s_delay_alu instid0(VALU_DEP_2)
	v_dual_cndmask_b32 v4, 0, v4 :: v_dual_cndmask_b32 v3, 0, v3
	global_store_b128 v[11:12], v[1:4], off
.LBB1354_5:
	s_nop 0
	s_sendmsg sendmsg(MSG_DEALLOC_VGPRS)
	s_endpgm
	.section	.rodata,"a",@progbits
	.p2align	6, 0x0
	.amdhsa_kernel _ZL41rocblas_syrkx_herkx_small_restrict_kernelIl19rocblas_complex_numIdELi16ELb0ELb1ELc67ELc76EKS1_S1_EviT_T0_PT6_S3_lS6_S3_lS4_PT7_S3_li
		.amdhsa_group_segment_fixed_size 8192
		.amdhsa_private_segment_fixed_size 0
		.amdhsa_kernarg_size 124
		.amdhsa_user_sgpr_count 13
		.amdhsa_user_sgpr_dispatch_ptr 0
		.amdhsa_user_sgpr_queue_ptr 0
		.amdhsa_user_sgpr_kernarg_segment_ptr 1
		.amdhsa_user_sgpr_dispatch_id 0
		.amdhsa_user_sgpr_private_segment_size 0
		.amdhsa_wavefront_size32 1
		.amdhsa_uses_dynamic_stack 0
		.amdhsa_enable_private_segment 0
		.amdhsa_system_sgpr_workgroup_id_x 1
		.amdhsa_system_sgpr_workgroup_id_y 1
		.amdhsa_system_sgpr_workgroup_id_z 1
		.amdhsa_system_sgpr_workgroup_info 0
		.amdhsa_system_vgpr_workitem_id 1
		.amdhsa_next_free_vgpr 48
		.amdhsa_next_free_sgpr 32
		.amdhsa_reserve_vcc 1
		.amdhsa_float_round_mode_32 0
		.amdhsa_float_round_mode_16_64 0
		.amdhsa_float_denorm_mode_32 3
		.amdhsa_float_denorm_mode_16_64 3
		.amdhsa_dx10_clamp 1
		.amdhsa_ieee_mode 1
		.amdhsa_fp16_overflow 0
		.amdhsa_workgroup_processor_mode 1
		.amdhsa_memory_ordered 1
		.amdhsa_forward_progress 0
		.amdhsa_shared_vgpr_count 0
		.amdhsa_exception_fp_ieee_invalid_op 0
		.amdhsa_exception_fp_denorm_src 0
		.amdhsa_exception_fp_ieee_div_zero 0
		.amdhsa_exception_fp_ieee_overflow 0
		.amdhsa_exception_fp_ieee_underflow 0
		.amdhsa_exception_fp_ieee_inexact 0
		.amdhsa_exception_int_div_zero 0
	.end_amdhsa_kernel
	.section	.text._ZL41rocblas_syrkx_herkx_small_restrict_kernelIl19rocblas_complex_numIdELi16ELb0ELb1ELc67ELc76EKS1_S1_EviT_T0_PT6_S3_lS6_S3_lS4_PT7_S3_li,"axG",@progbits,_ZL41rocblas_syrkx_herkx_small_restrict_kernelIl19rocblas_complex_numIdELi16ELb0ELb1ELc67ELc76EKS1_S1_EviT_T0_PT6_S3_lS6_S3_lS4_PT7_S3_li,comdat
.Lfunc_end1354:
	.size	_ZL41rocblas_syrkx_herkx_small_restrict_kernelIl19rocblas_complex_numIdELi16ELb0ELb1ELc67ELc76EKS1_S1_EviT_T0_PT6_S3_lS6_S3_lS4_PT7_S3_li, .Lfunc_end1354-_ZL41rocblas_syrkx_herkx_small_restrict_kernelIl19rocblas_complex_numIdELi16ELb0ELb1ELc67ELc76EKS1_S1_EviT_T0_PT6_S3_lS6_S3_lS4_PT7_S3_li
                                        ; -- End function
	.section	.AMDGPU.csdata,"",@progbits
; Kernel info:
; codeLenInByte = 1892
; NumSgprs: 34
; NumVgprs: 48
; ScratchSize: 0
; MemoryBound: 0
; FloatMode: 240
; IeeeMode: 1
; LDSByteSize: 8192 bytes/workgroup (compile time only)
; SGPRBlocks: 4
; VGPRBlocks: 5
; NumSGPRsForWavesPerEU: 34
; NumVGPRsForWavesPerEU: 48
; Occupancy: 16
; WaveLimiterHint : 0
; COMPUTE_PGM_RSRC2:SCRATCH_EN: 0
; COMPUTE_PGM_RSRC2:USER_SGPR: 13
; COMPUTE_PGM_RSRC2:TRAP_HANDLER: 0
; COMPUTE_PGM_RSRC2:TGID_X_EN: 1
; COMPUTE_PGM_RSRC2:TGID_Y_EN: 1
; COMPUTE_PGM_RSRC2:TGID_Z_EN: 1
; COMPUTE_PGM_RSRC2:TIDIG_COMP_CNT: 1
	.section	.text._ZL41rocblas_syrkx_herkx_small_restrict_kernelIl19rocblas_complex_numIdELi16ELb0ELb1ELc78ELc76EKS1_S1_EviT_T0_PT6_S3_lS6_S3_lS4_PT7_S3_li,"axG",@progbits,_ZL41rocblas_syrkx_herkx_small_restrict_kernelIl19rocblas_complex_numIdELi16ELb0ELb1ELc78ELc76EKS1_S1_EviT_T0_PT6_S3_lS6_S3_lS4_PT7_S3_li,comdat
	.globl	_ZL41rocblas_syrkx_herkx_small_restrict_kernelIl19rocblas_complex_numIdELi16ELb0ELb1ELc78ELc76EKS1_S1_EviT_T0_PT6_S3_lS6_S3_lS4_PT7_S3_li ; -- Begin function _ZL41rocblas_syrkx_herkx_small_restrict_kernelIl19rocblas_complex_numIdELi16ELb0ELb1ELc78ELc76EKS1_S1_EviT_T0_PT6_S3_lS6_S3_lS4_PT7_S3_li
	.p2align	8
	.type	_ZL41rocblas_syrkx_herkx_small_restrict_kernelIl19rocblas_complex_numIdELi16ELb0ELb1ELc78ELc76EKS1_S1_EviT_T0_PT6_S3_lS6_S3_lS4_PT7_S3_li,@function
_ZL41rocblas_syrkx_herkx_small_restrict_kernelIl19rocblas_complex_numIdELi16ELb0ELb1ELc78ELc76EKS1_S1_EviT_T0_PT6_S3_lS6_S3_lS4_PT7_S3_li: ; @_ZL41rocblas_syrkx_herkx_small_restrict_kernelIl19rocblas_complex_numIdELi16ELb0ELb1ELc78ELc76EKS1_S1_EviT_T0_PT6_S3_lS6_S3_lS4_PT7_S3_li
; %bb.0:
	s_clause 0x2
	s_load_b512 s[16:31], s[0:1], 0x8
	s_load_b128 s[8:11], s[0:1], 0x68
	s_load_b256 s[0:7], s[0:1], 0x48
	v_dual_mov_b32 v8, 0 :: v_dual_and_b32 v5, 0x3ff, v0
	v_bfe_u32 v4, v0, 10, 10
	v_mov_b32_e32 v9, 0
	s_delay_alu instid0(VALU_DEP_3) | instskip(NEXT) | instid1(VALU_DEP_3)
	v_lshl_add_u32 v0, s13, 4, v5
	v_lshl_add_u32 v2, s14, 4, v4
	s_delay_alu instid0(VALU_DEP_3) | instskip(NEXT) | instid1(VALU_DEP_3)
	v_dual_mov_b32 v11, v9 :: v_dual_mov_b32 v10, v8
	v_ashrrev_i32_e32 v1, 31, v0
	s_delay_alu instid0(VALU_DEP_3) | instskip(SKIP_2) | instid1(VALU_DEP_1)
	v_ashrrev_i32_e32 v3, 31, v2
	s_waitcnt lgkmcnt(0)
	v_cmp_lt_i64_e64 s12, s[16:17], 1
	s_and_b32 vcc_lo, exec_lo, s12
	s_cbranch_vccnz .LBB1355_3
; %bb.1:
	v_mad_u64_u32 v[6:7], null, s30, v5, 0
	v_mad_u64_u32 v[8:9], null, s24, v4, 0
	v_lshlrev_b32_e32 v14, 8, v4
	s_mul_i32 s1, s1, s15
	s_mul_hi_u32 s13, s0, s15
	s_mul_i32 s0, s0, s15
	s_add_i32 s1, s13, s1
	v_lshlrev_b64 v[16:17], 4, v[2:3]
	s_delay_alu instid0(VALU_DEP_3)
	v_mad_u64_u32 v[10:11], null, s31, v5, v[7:8]
	v_dual_mov_b32 v5, v9 :: v_dual_lshlrev_b32 v12, 4, v5
	s_lshl_b64 s[0:1], s[0:1], 4
	s_mul_i32 s14, s27, s15
	s_mul_hi_u32 s27, s26, s15
	s_mul_i32 s12, s26, s15
	s_delay_alu instid0(VALU_DEP_2) | instskip(SKIP_3) | instid1(VALU_DEP_3)
	v_mov_b32_e32 v7, v10
	v_mad_u64_u32 v[9:10], null, s25, v4, v[5:6]
	s_add_i32 s13, s27, s14
	v_add_nc_u32_e32 v13, 0x1000, v14
	v_lshlrev_b64 v[4:5], 4, v[6:7]
	s_lshl_b64 s[12:13], s[12:13], 4
	v_add_nc_u32_e32 v14, v12, v14
	s_delay_alu instid0(VALU_DEP_2) | instskip(NEXT) | instid1(VALU_DEP_3)
	v_add_co_u32 v6, vcc_lo, s0, v4
	v_add_co_ci_u32_e32 v7, vcc_lo, s1, v5, vcc_lo
	v_lshlrev_b64 v[4:5], 4, v[8:9]
	s_delay_alu instid0(VALU_DEP_3) | instskip(NEXT) | instid1(VALU_DEP_3)
	v_add_co_u32 v6, vcc_lo, v6, v16
	v_add_co_ci_u32_e32 v7, vcc_lo, v7, v17, vcc_lo
	s_lshl_b64 s[0:1], s[30:31], 8
	s_delay_alu instid0(VALU_DEP_3) | instskip(NEXT) | instid1(VALU_DEP_4)
	v_add_co_u32 v8, vcc_lo, s12, v4
	v_add_co_ci_u32_e32 v9, vcc_lo, s13, v5, vcc_lo
	v_lshlrev_b64 v[4:5], 4, v[0:1]
	v_add_co_u32 v6, vcc_lo, v6, s28
	v_add_co_ci_u32_e32 v7, vcc_lo, s29, v7, vcc_lo
	s_lshl_b64 s[12:13], s[24:25], 8
	s_delay_alu instid0(VALU_DEP_3) | instskip(NEXT) | instid1(VALU_DEP_4)
	v_add_co_u32 v10, vcc_lo, v8, v4
	v_add_co_ci_u32_e32 v11, vcc_lo, v9, v5, vcc_lo
	v_mov_b32_e32 v8, 0
	v_mov_b32_e32 v9, 0
	v_add_co_u32 v4, vcc_lo, v6, 8
	v_add_co_ci_u32_e32 v5, vcc_lo, 0, v7, vcc_lo
	v_add_co_u32 v6, vcc_lo, s22, v10
	v_add_co_ci_u32_e32 v7, vcc_lo, s23, v11, vcc_lo
	v_mov_b32_e32 v11, v9
	v_dual_mov_b32 v10, v8 :: v_dual_add_nc_u32 v15, v13, v12
	s_mov_b64 s[22:23], 0
.LBB1355_2:                             ; =>This Inner Loop Header: Depth=1
	global_load_b128 v[16:19], v[4:5], off offset:-8
	global_load_b128 v[20:23], v[6:7], off
	s_add_u32 s22, s22, 16
	v_add_co_u32 v4, vcc_lo, v4, s0
	s_addc_u32 s23, s23, 0
	v_add_co_ci_u32_e32 v5, vcc_lo, s1, v5, vcc_lo
	v_cmp_lt_i64_e64 s14, s[22:23], s[16:17]
	v_add_co_u32 v6, vcc_lo, v6, s12
	v_add_co_ci_u32_e32 v7, vcc_lo, s13, v7, vcc_lo
	s_delay_alu instid0(VALU_DEP_3)
	s_and_b32 vcc_lo, exec_lo, s14
	s_waitcnt vmcnt(1)
	v_xor_b32_e32 v19, 0x80000000, v19
	s_waitcnt vmcnt(0)
	ds_store_2addr_b64 v14, v[20:21], v[22:23] offset1:1
	ds_store_b128 v15, v[16:19]
	s_waitcnt lgkmcnt(0)
	s_barrier
	buffer_gl0_inv
	ds_load_b128 v[16:19], v12
	ds_load_b128 v[20:23], v13
	ds_load_b128 v[24:27], v13 offset:16
	ds_load_b128 v[28:31], v12 offset:256
	s_waitcnt lgkmcnt(2)
	v_mul_f64 v[32:33], v[22:23], v[18:19]
	v_mul_f64 v[18:19], v[20:21], v[18:19]
	s_waitcnt lgkmcnt(0)
	v_mul_f64 v[38:39], v[26:27], v[30:31]
	v_mul_f64 v[40:41], v[24:25], v[30:31]
	s_delay_alu instid0(VALU_DEP_4) | instskip(NEXT) | instid1(VALU_DEP_4)
	v_fma_f64 v[42:43], v[20:21], v[16:17], -v[32:33]
	v_fma_f64 v[44:45], v[22:23], v[16:17], v[18:19]
	ds_load_b128 v[16:19], v12 offset:512
	ds_load_b128 v[20:23], v13 offset:32
	;; [unrolled: 1-line block ×4, first 2 shown]
	v_fma_f64 v[24:25], v[24:25], v[28:29], -v[38:39]
	v_fma_f64 v[26:27], v[26:27], v[28:29], v[40:41]
	s_waitcnt lgkmcnt(2)
	v_mul_f64 v[46:47], v[22:23], v[18:19]
	v_mul_f64 v[18:19], v[20:21], v[18:19]
	s_waitcnt lgkmcnt(0)
	v_mul_f64 v[28:29], v[32:33], v[36:37]
	v_mul_f64 v[36:37], v[30:31], v[36:37]
	v_add_f64 v[10:11], v[10:11], v[42:43]
	v_add_f64 v[8:9], v[8:9], v[44:45]
	v_fma_f64 v[38:39], v[20:21], v[16:17], -v[46:47]
	v_fma_f64 v[40:41], v[22:23], v[16:17], v[18:19]
	v_fma_f64 v[28:29], v[30:31], v[34:35], -v[28:29]
	v_fma_f64 v[30:31], v[32:33], v[34:35], v[36:37]
	v_add_f64 v[42:43], v[10:11], v[24:25]
	v_add_f64 v[44:45], v[8:9], v[26:27]
	ds_load_b128 v[8:11], v12 offset:1024
	ds_load_b128 v[16:19], v13 offset:64
	;; [unrolled: 1-line block ×4, first 2 shown]
	s_waitcnt lgkmcnt(2)
	v_mul_f64 v[46:47], v[18:19], v[10:11]
	v_mul_f64 v[10:11], v[16:17], v[10:11]
	s_waitcnt lgkmcnt(0)
	v_mul_f64 v[36:37], v[22:23], v[26:27]
	v_add_f64 v[32:33], v[42:43], v[38:39]
	v_add_f64 v[34:35], v[44:45], v[40:41]
	v_mul_f64 v[38:39], v[20:21], v[26:27]
	v_fma_f64 v[40:41], v[16:17], v[8:9], -v[46:47]
	v_fma_f64 v[42:43], v[18:19], v[8:9], v[10:11]
	v_fma_f64 v[20:21], v[20:21], v[24:25], -v[36:37]
	v_add_f64 v[44:45], v[32:33], v[28:29]
	v_add_f64 v[34:35], v[34:35], v[30:31]
	ds_load_b128 v[8:11], v12 offset:1536
	ds_load_b128 v[16:19], v13 offset:96
	ds_load_b128 v[26:29], v13 offset:112
	ds_load_b128 v[30:33], v12 offset:1792
	v_fma_f64 v[22:23], v[22:23], v[24:25], v[38:39]
	s_waitcnt lgkmcnt(2)
	v_mul_f64 v[46:47], v[18:19], v[10:11]
	v_mul_f64 v[10:11], v[16:17], v[10:11]
	s_waitcnt lgkmcnt(0)
	v_mul_f64 v[36:37], v[28:29], v[32:33]
	v_mul_f64 v[38:39], v[26:27], v[32:33]
	v_add_f64 v[24:25], v[44:45], v[40:41]
	v_add_f64 v[34:35], v[34:35], v[42:43]
	v_fma_f64 v[40:41], v[16:17], v[8:9], -v[46:47]
	v_fma_f64 v[42:43], v[18:19], v[8:9], v[10:11]
	v_fma_f64 v[26:27], v[26:27], v[30:31], -v[36:37]
	v_fma_f64 v[28:29], v[28:29], v[30:31], v[38:39]
	v_add_f64 v[24:25], v[24:25], v[20:21]
	v_add_f64 v[44:45], v[34:35], v[22:23]
	ds_load_b128 v[8:11], v12 offset:2048
	ds_load_b128 v[16:19], v13 offset:128
	;; [unrolled: 1-line block ×4, first 2 shown]
	s_waitcnt lgkmcnt(2)
	v_mul_f64 v[46:47], v[18:19], v[10:11]
	v_mul_f64 v[10:11], v[16:17], v[10:11]
	s_waitcnt lgkmcnt(0)
	v_mul_f64 v[36:37], v[22:23], v[34:35]
	v_mul_f64 v[34:35], v[20:21], v[34:35]
	v_add_f64 v[24:25], v[24:25], v[40:41]
	v_add_f64 v[30:31], v[44:45], v[42:43]
	v_fma_f64 v[38:39], v[16:17], v[8:9], -v[46:47]
	v_fma_f64 v[40:41], v[18:19], v[8:9], v[10:11]
	v_fma_f64 v[20:21], v[20:21], v[32:33], -v[36:37]
	v_fma_f64 v[22:23], v[22:23], v[32:33], v[34:35]
	v_add_f64 v[42:43], v[24:25], v[26:27]
	v_add_f64 v[44:45], v[30:31], v[28:29]
	ds_load_b128 v[8:11], v12 offset:2560
	ds_load_b128 v[16:19], v13 offset:160
	;; [unrolled: 1-line block ×4, first 2 shown]
	s_waitcnt lgkmcnt(2)
	v_mul_f64 v[46:47], v[18:19], v[10:11]
	v_mul_f64 v[10:11], v[16:17], v[10:11]
	s_waitcnt lgkmcnt(0)
	v_mul_f64 v[36:37], v[26:27], v[30:31]
	v_add_f64 v[32:33], v[42:43], v[38:39]
	v_add_f64 v[34:35], v[44:45], v[40:41]
	v_mul_f64 v[38:39], v[24:25], v[30:31]
	v_fma_f64 v[40:41], v[16:17], v[8:9], -v[46:47]
	v_fma_f64 v[42:43], v[18:19], v[8:9], v[10:11]
	v_fma_f64 v[24:25], v[24:25], v[28:29], -v[36:37]
	v_add_f64 v[44:45], v[32:33], v[20:21]
	v_add_f64 v[34:35], v[34:35], v[22:23]
	ds_load_b128 v[8:11], v12 offset:3072
	ds_load_b128 v[16:19], v13 offset:192
	;; [unrolled: 1-line block ×4, first 2 shown]
	v_fma_f64 v[26:27], v[26:27], v[28:29], v[38:39]
	s_waitcnt lgkmcnt(2)
	v_mul_f64 v[46:47], v[18:19], v[10:11]
	v_mul_f64 v[10:11], v[16:17], v[10:11]
	s_waitcnt lgkmcnt(0)
	v_mul_f64 v[36:37], v[22:23], v[32:33]
	v_mul_f64 v[38:39], v[20:21], v[32:33]
	v_add_f64 v[28:29], v[44:45], v[40:41]
	v_add_f64 v[34:35], v[34:35], v[42:43]
	v_fma_f64 v[40:41], v[16:17], v[8:9], -v[46:47]
	v_fma_f64 v[42:43], v[18:19], v[8:9], v[10:11]
	v_fma_f64 v[20:21], v[20:21], v[30:31], -v[36:37]
	v_fma_f64 v[22:23], v[22:23], v[30:31], v[38:39]
	v_add_f64 v[28:29], v[28:29], v[24:25]
	v_add_f64 v[44:45], v[34:35], v[26:27]
	ds_load_b128 v[8:11], v12 offset:3584
	ds_load_b128 v[16:19], v13 offset:224
	;; [unrolled: 1-line block ×4, first 2 shown]
	s_waitcnt lgkmcnt(0)
	s_barrier
	buffer_gl0_inv
	v_mul_f64 v[46:47], v[18:19], v[10:11]
	v_mul_f64 v[10:11], v[16:17], v[10:11]
	;; [unrolled: 1-line block ×4, first 2 shown]
	v_add_f64 v[28:29], v[28:29], v[40:41]
	v_add_f64 v[30:31], v[44:45], v[42:43]
	v_fma_f64 v[16:17], v[16:17], v[8:9], -v[46:47]
	v_fma_f64 v[8:9], v[18:19], v[8:9], v[10:11]
	s_delay_alu instid0(VALU_DEP_4) | instskip(NEXT) | instid1(VALU_DEP_4)
	v_add_f64 v[10:11], v[28:29], v[20:21]
	v_add_f64 v[18:19], v[30:31], v[22:23]
	v_fma_f64 v[20:21], v[24:25], v[32:33], -v[36:37]
	v_fma_f64 v[22:23], v[26:27], v[32:33], v[34:35]
	s_delay_alu instid0(VALU_DEP_4) | instskip(NEXT) | instid1(VALU_DEP_4)
	v_add_f64 v[10:11], v[10:11], v[16:17]
	v_add_f64 v[8:9], v[18:19], v[8:9]
	s_delay_alu instid0(VALU_DEP_2) | instskip(NEXT) | instid1(VALU_DEP_2)
	v_add_f64 v[10:11], v[10:11], v[20:21]
	v_add_f64 v[8:9], v[8:9], v[22:23]
	s_cbranch_vccnz .LBB1355_2
.LBB1355_3:
	s_mov_b32 s0, exec_lo
	v_cmpx_le_i32_e64 v2, v0
	s_cbranch_execz .LBB1355_5
; %bb.4:
	v_mul_lo_u32 v5, v2, s9
	v_mul_lo_u32 v6, v3, s8
	v_mad_u64_u32 v[3:4], null, v2, s8, 0
	s_mul_i32 s1, s15, s11
	s_mul_hi_u32 s8, s15, s10
	s_mul_i32 s0, s15, s10
	s_add_i32 s1, s8, s1
	v_mul_f64 v[14:15], s[18:19], v[8:9]
	s_lshl_b64 s[0:1], s[0:1], 4
	s_delay_alu instid0(VALU_DEP_2)
	v_add3_u32 v4, v4, v5, v6
	s_add_u32 s0, s6, s0
	v_lshlrev_b64 v[5:6], 4, v[0:1]
	s_addc_u32 s1, s7, s1
	v_mul_f64 v[7:8], s[20:21], v[8:9]
	v_lshlrev_b64 v[3:4], 4, v[3:4]
	s_delay_alu instid0(VALU_DEP_1) | instskip(NEXT) | instid1(VALU_DEP_2)
	v_add_co_u32 v1, vcc_lo, s0, v3
	v_add_co_ci_u32_e32 v3, vcc_lo, s1, v4, vcc_lo
	s_delay_alu instid0(VALU_DEP_2) | instskip(NEXT) | instid1(VALU_DEP_2)
	v_add_co_u32 v12, vcc_lo, v1, v5
	v_add_co_ci_u32_e32 v13, vcc_lo, v3, v6, vcc_lo
	v_cmp_ne_u32_e32 vcc_lo, v0, v2
	global_load_b128 v[3:6], v[12:13], off
	v_fma_f64 v[14:15], s[20:21], v[10:11], v[14:15]
	v_fma_f64 v[7:8], s[18:19], v[10:11], -v[7:8]
	s_waitcnt vmcnt(0)
	v_mul_f64 v[16:17], s[2:3], v[5:6]
	v_mul_f64 v[5:6], s[4:5], v[5:6]
	s_delay_alu instid0(VALU_DEP_2) | instskip(NEXT) | instid1(VALU_DEP_2)
	v_fma_f64 v[16:17], s[4:5], v[3:4], v[16:17]
	v_fma_f64 v[3:4], s[2:3], v[3:4], -v[5:6]
	s_delay_alu instid0(VALU_DEP_2) | instskip(NEXT) | instid1(VALU_DEP_2)
	v_add_f64 v[5:6], v[14:15], v[16:17]
	v_add_f64 v[3:4], v[7:8], v[3:4]
	s_delay_alu instid0(VALU_DEP_2)
	v_dual_cndmask_b32 v6, 0, v6 :: v_dual_cndmask_b32 v5, 0, v5
	global_store_b128 v[12:13], v[3:6], off
.LBB1355_5:
	s_nop 0
	s_sendmsg sendmsg(MSG_DEALLOC_VGPRS)
	s_endpgm
	.section	.rodata,"a",@progbits
	.p2align	6, 0x0
	.amdhsa_kernel _ZL41rocblas_syrkx_herkx_small_restrict_kernelIl19rocblas_complex_numIdELi16ELb0ELb1ELc78ELc76EKS1_S1_EviT_T0_PT6_S3_lS6_S3_lS4_PT7_S3_li
		.amdhsa_group_segment_fixed_size 8192
		.amdhsa_private_segment_fixed_size 0
		.amdhsa_kernarg_size 124
		.amdhsa_user_sgpr_count 13
		.amdhsa_user_sgpr_dispatch_ptr 0
		.amdhsa_user_sgpr_queue_ptr 0
		.amdhsa_user_sgpr_kernarg_segment_ptr 1
		.amdhsa_user_sgpr_dispatch_id 0
		.amdhsa_user_sgpr_private_segment_size 0
		.amdhsa_wavefront_size32 1
		.amdhsa_uses_dynamic_stack 0
		.amdhsa_enable_private_segment 0
		.amdhsa_system_sgpr_workgroup_id_x 1
		.amdhsa_system_sgpr_workgroup_id_y 1
		.amdhsa_system_sgpr_workgroup_id_z 1
		.amdhsa_system_sgpr_workgroup_info 0
		.amdhsa_system_vgpr_workitem_id 1
		.amdhsa_next_free_vgpr 48
		.amdhsa_next_free_sgpr 32
		.amdhsa_reserve_vcc 1
		.amdhsa_float_round_mode_32 0
		.amdhsa_float_round_mode_16_64 0
		.amdhsa_float_denorm_mode_32 3
		.amdhsa_float_denorm_mode_16_64 3
		.amdhsa_dx10_clamp 1
		.amdhsa_ieee_mode 1
		.amdhsa_fp16_overflow 0
		.amdhsa_workgroup_processor_mode 1
		.amdhsa_memory_ordered 1
		.amdhsa_forward_progress 0
		.amdhsa_shared_vgpr_count 0
		.amdhsa_exception_fp_ieee_invalid_op 0
		.amdhsa_exception_fp_denorm_src 0
		.amdhsa_exception_fp_ieee_div_zero 0
		.amdhsa_exception_fp_ieee_overflow 0
		.amdhsa_exception_fp_ieee_underflow 0
		.amdhsa_exception_fp_ieee_inexact 0
		.amdhsa_exception_int_div_zero 0
	.end_amdhsa_kernel
	.section	.text._ZL41rocblas_syrkx_herkx_small_restrict_kernelIl19rocblas_complex_numIdELi16ELb0ELb1ELc78ELc76EKS1_S1_EviT_T0_PT6_S3_lS6_S3_lS4_PT7_S3_li,"axG",@progbits,_ZL41rocblas_syrkx_herkx_small_restrict_kernelIl19rocblas_complex_numIdELi16ELb0ELb1ELc78ELc76EKS1_S1_EviT_T0_PT6_S3_lS6_S3_lS4_PT7_S3_li,comdat
.Lfunc_end1355:
	.size	_ZL41rocblas_syrkx_herkx_small_restrict_kernelIl19rocblas_complex_numIdELi16ELb0ELb1ELc78ELc76EKS1_S1_EviT_T0_PT6_S3_lS6_S3_lS4_PT7_S3_li, .Lfunc_end1355-_ZL41rocblas_syrkx_herkx_small_restrict_kernelIl19rocblas_complex_numIdELi16ELb0ELb1ELc78ELc76EKS1_S1_EviT_T0_PT6_S3_lS6_S3_lS4_PT7_S3_li
                                        ; -- End function
	.section	.AMDGPU.csdata,"",@progbits
; Kernel info:
; codeLenInByte = 1880
; NumSgprs: 34
; NumVgprs: 48
; ScratchSize: 0
; MemoryBound: 0
; FloatMode: 240
; IeeeMode: 1
; LDSByteSize: 8192 bytes/workgroup (compile time only)
; SGPRBlocks: 4
; VGPRBlocks: 5
; NumSGPRsForWavesPerEU: 34
; NumVGPRsForWavesPerEU: 48
; Occupancy: 16
; WaveLimiterHint : 0
; COMPUTE_PGM_RSRC2:SCRATCH_EN: 0
; COMPUTE_PGM_RSRC2:USER_SGPR: 13
; COMPUTE_PGM_RSRC2:TRAP_HANDLER: 0
; COMPUTE_PGM_RSRC2:TGID_X_EN: 1
; COMPUTE_PGM_RSRC2:TGID_Y_EN: 1
; COMPUTE_PGM_RSRC2:TGID_Z_EN: 1
; COMPUTE_PGM_RSRC2:TIDIG_COMP_CNT: 1
	.section	.text._ZL41rocblas_syrkx_herkx_small_restrict_kernelIl19rocblas_complex_numIdELi16ELb0ELb1ELc84ELc85EKS1_S1_EviT_T0_PT6_S3_lS6_S3_lS4_PT7_S3_li,"axG",@progbits,_ZL41rocblas_syrkx_herkx_small_restrict_kernelIl19rocblas_complex_numIdELi16ELb0ELb1ELc84ELc85EKS1_S1_EviT_T0_PT6_S3_lS6_S3_lS4_PT7_S3_li,comdat
	.globl	_ZL41rocblas_syrkx_herkx_small_restrict_kernelIl19rocblas_complex_numIdELi16ELb0ELb1ELc84ELc85EKS1_S1_EviT_T0_PT6_S3_lS6_S3_lS4_PT7_S3_li ; -- Begin function _ZL41rocblas_syrkx_herkx_small_restrict_kernelIl19rocblas_complex_numIdELi16ELb0ELb1ELc84ELc85EKS1_S1_EviT_T0_PT6_S3_lS6_S3_lS4_PT7_S3_li
	.p2align	8
	.type	_ZL41rocblas_syrkx_herkx_small_restrict_kernelIl19rocblas_complex_numIdELi16ELb0ELb1ELc84ELc85EKS1_S1_EviT_T0_PT6_S3_lS6_S3_lS4_PT7_S3_li,@function
_ZL41rocblas_syrkx_herkx_small_restrict_kernelIl19rocblas_complex_numIdELi16ELb0ELb1ELc84ELc85EKS1_S1_EviT_T0_PT6_S3_lS6_S3_lS4_PT7_S3_li: ; @_ZL41rocblas_syrkx_herkx_small_restrict_kernelIl19rocblas_complex_numIdELi16ELb0ELb1ELc84ELc85EKS1_S1_EviT_T0_PT6_S3_lS6_S3_lS4_PT7_S3_li
; %bb.0:
	s_clause 0x2
	s_load_b512 s[16:31], s[0:1], 0x8
	s_load_b128 s[8:11], s[0:1], 0x68
	s_load_b256 s[0:7], s[0:1], 0x48
	v_dual_mov_b32 v6, 0 :: v_dual_and_b32 v3, 0x3ff, v0
	v_bfe_u32 v2, v0, 10, 10
	v_mov_b32_e32 v7, 0
	s_delay_alu instid0(VALU_DEP_3) | instskip(NEXT) | instid1(VALU_DEP_3)
	v_lshl_add_u32 v0, s13, 4, v3
	v_lshl_add_u32 v10, s14, 4, v2
	s_delay_alu instid0(VALU_DEP_3) | instskip(NEXT) | instid1(VALU_DEP_3)
	v_dual_mov_b32 v9, v7 :: v_dual_mov_b32 v8, v6
	v_ashrrev_i32_e32 v1, 31, v0
	s_delay_alu instid0(VALU_DEP_3) | instskip(SKIP_2) | instid1(VALU_DEP_1)
	v_ashrrev_i32_e32 v11, 31, v10
	s_waitcnt lgkmcnt(0)
	v_cmp_lt_i64_e64 s12, s[16:17], 1
	s_and_b32 vcc_lo, exec_lo, s12
	s_cbranch_vccnz .LBB1356_3
; %bb.1:
	v_mul_lo_u32 v9, s31, v10
	v_mul_lo_u32 v15, s30, v11
	v_mad_u64_u32 v[4:5], null, s30, v10, 0
	v_lshlrev_b32_e32 v12, 4, v3
	v_mul_lo_u32 v3, s25, v0
	v_mul_lo_u32 v16, s24, v1
	v_mad_u64_u32 v[6:7], null, s24, v0, 0
	s_mul_i32 s1, s1, s15
	v_add3_u32 v5, v5, v15, v9
	s_mul_hi_u32 s12, s0, s15
	s_mul_i32 s0, s0, s15
	s_add_i32 s1, s12, s1
	s_mul_i32 s12, s27, s15
	s_delay_alu instid0(VALU_DEP_2)
	v_add3_u32 v7, v7, v16, v3
	v_lshlrev_b64 v[3:4], 4, v[4:5]
	s_lshl_b64 s[0:1], s[0:1], 4
	s_mul_hi_u32 s13, s26, s15
	v_lshlrev_b32_e32 v8, 8, v2
	v_lshlrev_b64 v[5:6], 4, v[6:7]
	s_add_i32 s13, s13, s12
	s_mul_i32 s12, s26, s15
	v_add_co_u32 v3, vcc_lo, v3, s0
	v_add_co_ci_u32_e32 v4, vcc_lo, s1, v4, vcc_lo
	s_lshl_b64 s[0:1], s[12:13], 4
	v_lshlrev_b32_e32 v2, 4, v2
	v_add_co_u32 v5, vcc_lo, v5, s0
	v_add_co_ci_u32_e32 v6, vcc_lo, s1, v6, vcc_lo
	v_add_co_u32 v3, vcc_lo, v3, v12
	v_add_co_ci_u32_e32 v4, vcc_lo, 0, v4, vcc_lo
	s_delay_alu instid0(VALU_DEP_4)
	v_add_co_u32 v5, vcc_lo, v5, v2
	v_add_nc_u32_e32 v13, 0x1000, v8
	v_add_nc_u32_e32 v14, v12, v8
	v_add_co_ci_u32_e32 v8, vcc_lo, 0, v6, vcc_lo
	v_mov_b32_e32 v6, 0
	v_mov_b32_e32 v7, 0
	v_add_co_u32 v2, vcc_lo, s28, v3
	v_add_co_ci_u32_e32 v3, vcc_lo, s29, v4, vcc_lo
	v_add_co_u32 v4, vcc_lo, s22, v5
	v_add_co_ci_u32_e32 v5, vcc_lo, s23, v8, vcc_lo
	v_mov_b32_e32 v9, v7
	v_dual_mov_b32 v8, v6 :: v_dual_add_nc_u32 v15, v13, v12
	s_mov_b64 s[0:1], 0
.LBB1356_2:                             ; =>This Inner Loop Header: Depth=1
	global_load_b128 v[16:19], v[4:5], off
	global_load_b128 v[20:23], v[2:3], off
	s_add_u32 s0, s0, 16
	v_add_co_u32 v2, vcc_lo, 0x100, v2
	s_addc_u32 s1, s1, 0
	v_add_co_ci_u32_e32 v3, vcc_lo, 0, v3, vcc_lo
	v_cmp_lt_i64_e64 s12, s[0:1], s[16:17]
	v_add_co_u32 v4, vcc_lo, 0x100, v4
	v_add_co_ci_u32_e32 v5, vcc_lo, 0, v5, vcc_lo
	s_waitcnt vmcnt(1)
	ds_store_2addr_b64 v14, v[16:17], v[18:19] offset1:1
	s_waitcnt vmcnt(0)
	ds_store_2addr_b64 v15, v[20:21], v[22:23] offset1:1
	s_waitcnt lgkmcnt(0)
	s_barrier
	buffer_gl0_inv
	ds_load_b128 v[16:19], v12
	ds_load_b128 v[20:23], v13
	ds_load_b128 v[24:27], v13 offset:16
	ds_load_b128 v[28:31], v12 offset:256
	s_and_b32 vcc_lo, exec_lo, s12
	s_waitcnt lgkmcnt(2)
	v_mul_f64 v[32:33], v[22:23], v[18:19]
	v_mul_f64 v[18:19], v[20:21], v[18:19]
	s_waitcnt lgkmcnt(0)
	v_mul_f64 v[38:39], v[26:27], v[30:31]
	v_mul_f64 v[40:41], v[24:25], v[30:31]
	s_delay_alu instid0(VALU_DEP_4) | instskip(NEXT) | instid1(VALU_DEP_4)
	v_fma_f64 v[42:43], v[20:21], v[16:17], -v[32:33]
	v_fma_f64 v[44:45], v[22:23], v[16:17], v[18:19]
	ds_load_b128 v[16:19], v12 offset:512
	ds_load_b128 v[20:23], v13 offset:32
	;; [unrolled: 1-line block ×4, first 2 shown]
	v_fma_f64 v[24:25], v[24:25], v[28:29], -v[38:39]
	v_fma_f64 v[26:27], v[26:27], v[28:29], v[40:41]
	s_waitcnt lgkmcnt(2)
	v_mul_f64 v[46:47], v[22:23], v[18:19]
	v_mul_f64 v[18:19], v[20:21], v[18:19]
	s_waitcnt lgkmcnt(0)
	v_mul_f64 v[28:29], v[32:33], v[36:37]
	v_mul_f64 v[36:37], v[30:31], v[36:37]
	v_add_f64 v[8:9], v[8:9], v[42:43]
	v_add_f64 v[6:7], v[6:7], v[44:45]
	v_fma_f64 v[38:39], v[20:21], v[16:17], -v[46:47]
	v_fma_f64 v[40:41], v[22:23], v[16:17], v[18:19]
	v_fma_f64 v[28:29], v[30:31], v[34:35], -v[28:29]
	v_fma_f64 v[30:31], v[32:33], v[34:35], v[36:37]
	v_add_f64 v[42:43], v[8:9], v[24:25]
	v_add_f64 v[44:45], v[6:7], v[26:27]
	ds_load_b128 v[6:9], v12 offset:1024
	ds_load_b128 v[16:19], v13 offset:64
	;; [unrolled: 1-line block ×4, first 2 shown]
	s_waitcnt lgkmcnt(2)
	v_mul_f64 v[46:47], v[18:19], v[8:9]
	v_mul_f64 v[8:9], v[16:17], v[8:9]
	s_waitcnt lgkmcnt(0)
	v_mul_f64 v[36:37], v[22:23], v[26:27]
	v_add_f64 v[32:33], v[42:43], v[38:39]
	v_add_f64 v[34:35], v[44:45], v[40:41]
	v_mul_f64 v[38:39], v[20:21], v[26:27]
	v_fma_f64 v[40:41], v[16:17], v[6:7], -v[46:47]
	v_fma_f64 v[42:43], v[18:19], v[6:7], v[8:9]
	v_fma_f64 v[20:21], v[20:21], v[24:25], -v[36:37]
	v_add_f64 v[44:45], v[32:33], v[28:29]
	v_add_f64 v[34:35], v[34:35], v[30:31]
	ds_load_b128 v[6:9], v12 offset:1536
	ds_load_b128 v[16:19], v13 offset:96
	;; [unrolled: 1-line block ×4, first 2 shown]
	v_fma_f64 v[22:23], v[22:23], v[24:25], v[38:39]
	s_waitcnt lgkmcnt(2)
	v_mul_f64 v[46:47], v[18:19], v[8:9]
	v_mul_f64 v[8:9], v[16:17], v[8:9]
	s_waitcnt lgkmcnt(0)
	v_mul_f64 v[36:37], v[28:29], v[32:33]
	v_mul_f64 v[38:39], v[26:27], v[32:33]
	v_add_f64 v[24:25], v[44:45], v[40:41]
	v_add_f64 v[34:35], v[34:35], v[42:43]
	v_fma_f64 v[40:41], v[16:17], v[6:7], -v[46:47]
	v_fma_f64 v[42:43], v[18:19], v[6:7], v[8:9]
	v_fma_f64 v[26:27], v[26:27], v[30:31], -v[36:37]
	v_fma_f64 v[28:29], v[28:29], v[30:31], v[38:39]
	v_add_f64 v[24:25], v[24:25], v[20:21]
	v_add_f64 v[44:45], v[34:35], v[22:23]
	ds_load_b128 v[6:9], v12 offset:2048
	ds_load_b128 v[16:19], v13 offset:128
	ds_load_b128 v[20:23], v13 offset:144
	ds_load_b128 v[32:35], v12 offset:2304
	s_waitcnt lgkmcnt(2)
	v_mul_f64 v[46:47], v[18:19], v[8:9]
	v_mul_f64 v[8:9], v[16:17], v[8:9]
	s_waitcnt lgkmcnt(0)
	v_mul_f64 v[36:37], v[22:23], v[34:35]
	v_mul_f64 v[34:35], v[20:21], v[34:35]
	v_add_f64 v[24:25], v[24:25], v[40:41]
	v_add_f64 v[30:31], v[44:45], v[42:43]
	v_fma_f64 v[38:39], v[16:17], v[6:7], -v[46:47]
	v_fma_f64 v[40:41], v[18:19], v[6:7], v[8:9]
	v_fma_f64 v[20:21], v[20:21], v[32:33], -v[36:37]
	v_fma_f64 v[22:23], v[22:23], v[32:33], v[34:35]
	v_add_f64 v[42:43], v[24:25], v[26:27]
	v_add_f64 v[44:45], v[30:31], v[28:29]
	ds_load_b128 v[6:9], v12 offset:2560
	ds_load_b128 v[16:19], v13 offset:160
	;; [unrolled: 1-line block ×4, first 2 shown]
	s_waitcnt lgkmcnt(2)
	v_mul_f64 v[46:47], v[18:19], v[8:9]
	v_mul_f64 v[8:9], v[16:17], v[8:9]
	s_waitcnt lgkmcnt(0)
	v_mul_f64 v[36:37], v[26:27], v[30:31]
	v_add_f64 v[32:33], v[42:43], v[38:39]
	v_add_f64 v[34:35], v[44:45], v[40:41]
	v_mul_f64 v[38:39], v[24:25], v[30:31]
	v_fma_f64 v[40:41], v[16:17], v[6:7], -v[46:47]
	v_fma_f64 v[42:43], v[18:19], v[6:7], v[8:9]
	v_fma_f64 v[24:25], v[24:25], v[28:29], -v[36:37]
	v_add_f64 v[44:45], v[32:33], v[20:21]
	v_add_f64 v[34:35], v[34:35], v[22:23]
	ds_load_b128 v[6:9], v12 offset:3072
	ds_load_b128 v[16:19], v13 offset:192
	;; [unrolled: 1-line block ×4, first 2 shown]
	v_fma_f64 v[26:27], v[26:27], v[28:29], v[38:39]
	s_waitcnt lgkmcnt(2)
	v_mul_f64 v[46:47], v[18:19], v[8:9]
	v_mul_f64 v[8:9], v[16:17], v[8:9]
	s_waitcnt lgkmcnt(0)
	v_mul_f64 v[36:37], v[22:23], v[32:33]
	v_mul_f64 v[38:39], v[20:21], v[32:33]
	v_add_f64 v[28:29], v[44:45], v[40:41]
	v_add_f64 v[34:35], v[34:35], v[42:43]
	v_fma_f64 v[40:41], v[16:17], v[6:7], -v[46:47]
	v_fma_f64 v[42:43], v[18:19], v[6:7], v[8:9]
	v_fma_f64 v[20:21], v[20:21], v[30:31], -v[36:37]
	v_fma_f64 v[22:23], v[22:23], v[30:31], v[38:39]
	v_add_f64 v[28:29], v[28:29], v[24:25]
	v_add_f64 v[44:45], v[34:35], v[26:27]
	ds_load_b128 v[6:9], v12 offset:3584
	ds_load_b128 v[16:19], v13 offset:224
	;; [unrolled: 1-line block ×4, first 2 shown]
	s_waitcnt lgkmcnt(0)
	s_barrier
	buffer_gl0_inv
	v_mul_f64 v[46:47], v[18:19], v[8:9]
	v_mul_f64 v[8:9], v[16:17], v[8:9]
	;; [unrolled: 1-line block ×4, first 2 shown]
	v_add_f64 v[28:29], v[28:29], v[40:41]
	v_add_f64 v[30:31], v[44:45], v[42:43]
	v_fma_f64 v[16:17], v[16:17], v[6:7], -v[46:47]
	v_fma_f64 v[6:7], v[18:19], v[6:7], v[8:9]
	s_delay_alu instid0(VALU_DEP_4) | instskip(NEXT) | instid1(VALU_DEP_4)
	v_add_f64 v[8:9], v[28:29], v[20:21]
	v_add_f64 v[18:19], v[30:31], v[22:23]
	v_fma_f64 v[20:21], v[24:25], v[32:33], -v[36:37]
	v_fma_f64 v[22:23], v[26:27], v[32:33], v[34:35]
	s_delay_alu instid0(VALU_DEP_4) | instskip(NEXT) | instid1(VALU_DEP_4)
	v_add_f64 v[8:9], v[8:9], v[16:17]
	v_add_f64 v[6:7], v[18:19], v[6:7]
	s_delay_alu instid0(VALU_DEP_2) | instskip(NEXT) | instid1(VALU_DEP_2)
	v_add_f64 v[8:9], v[8:9], v[20:21]
	v_add_f64 v[6:7], v[6:7], v[22:23]
	s_cbranch_vccnz .LBB1356_2
.LBB1356_3:
	s_mov_b32 s0, exec_lo
	v_cmpx_le_i32_e64 v0, v10
	s_cbranch_execz .LBB1356_5
; %bb.4:
	v_mul_lo_u32 v4, v10, s9
	v_mul_lo_u32 v5, v11, s8
	v_mad_u64_u32 v[2:3], null, v10, s8, 0
	s_mul_i32 s1, s15, s11
	s_mul_hi_u32 s8, s15, s10
	s_mul_i32 s0, s15, s10
	s_add_i32 s1, s8, s1
	v_mul_f64 v[13:14], s[18:19], v[6:7]
	s_lshl_b64 s[0:1], s[0:1], 4
	s_delay_alu instid0(VALU_DEP_2) | instskip(SKIP_3) | instid1(VALU_DEP_2)
	v_add3_u32 v3, v3, v4, v5
	s_add_u32 s0, s6, s0
	v_lshlrev_b64 v[4:5], 4, v[0:1]
	s_addc_u32 s1, s7, s1
	v_lshlrev_b64 v[2:3], 4, v[2:3]
	s_delay_alu instid0(VALU_DEP_1) | instskip(NEXT) | instid1(VALU_DEP_2)
	v_add_co_u32 v1, vcc_lo, s0, v2
	v_add_co_ci_u32_e32 v2, vcc_lo, s1, v3, vcc_lo
	s_delay_alu instid0(VALU_DEP_2) | instskip(NEXT) | instid1(VALU_DEP_2)
	v_add_co_u32 v11, vcc_lo, v1, v4
	v_add_co_ci_u32_e32 v12, vcc_lo, v2, v5, vcc_lo
	v_mul_f64 v[5:6], s[20:21], v[6:7]
	v_cmp_ne_u32_e32 vcc_lo, v0, v10
	global_load_b128 v[1:4], v[11:12], off
	v_fma_f64 v[13:14], s[20:21], v[8:9], v[13:14]
	v_fma_f64 v[5:6], s[18:19], v[8:9], -v[5:6]
	s_waitcnt vmcnt(0)
	v_mul_f64 v[15:16], s[2:3], v[3:4]
	v_mul_f64 v[3:4], s[4:5], v[3:4]
	s_delay_alu instid0(VALU_DEP_2) | instskip(NEXT) | instid1(VALU_DEP_2)
	v_fma_f64 v[15:16], s[4:5], v[1:2], v[15:16]
	v_fma_f64 v[1:2], s[2:3], v[1:2], -v[3:4]
	s_delay_alu instid0(VALU_DEP_2) | instskip(NEXT) | instid1(VALU_DEP_2)
	v_add_f64 v[3:4], v[13:14], v[15:16]
	v_add_f64 v[1:2], v[5:6], v[1:2]
	s_delay_alu instid0(VALU_DEP_2)
	v_dual_cndmask_b32 v4, 0, v4 :: v_dual_cndmask_b32 v3, 0, v3
	global_store_b128 v[11:12], v[1:4], off
.LBB1356_5:
	s_nop 0
	s_sendmsg sendmsg(MSG_DEALLOC_VGPRS)
	s_endpgm
	.section	.rodata,"a",@progbits
	.p2align	6, 0x0
	.amdhsa_kernel _ZL41rocblas_syrkx_herkx_small_restrict_kernelIl19rocblas_complex_numIdELi16ELb0ELb1ELc84ELc85EKS1_S1_EviT_T0_PT6_S3_lS6_S3_lS4_PT7_S3_li
		.amdhsa_group_segment_fixed_size 8192
		.amdhsa_private_segment_fixed_size 0
		.amdhsa_kernarg_size 124
		.amdhsa_user_sgpr_count 13
		.amdhsa_user_sgpr_dispatch_ptr 0
		.amdhsa_user_sgpr_queue_ptr 0
		.amdhsa_user_sgpr_kernarg_segment_ptr 1
		.amdhsa_user_sgpr_dispatch_id 0
		.amdhsa_user_sgpr_private_segment_size 0
		.amdhsa_wavefront_size32 1
		.amdhsa_uses_dynamic_stack 0
		.amdhsa_enable_private_segment 0
		.amdhsa_system_sgpr_workgroup_id_x 1
		.amdhsa_system_sgpr_workgroup_id_y 1
		.amdhsa_system_sgpr_workgroup_id_z 1
		.amdhsa_system_sgpr_workgroup_info 0
		.amdhsa_system_vgpr_workitem_id 1
		.amdhsa_next_free_vgpr 48
		.amdhsa_next_free_sgpr 32
		.amdhsa_reserve_vcc 1
		.amdhsa_float_round_mode_32 0
		.amdhsa_float_round_mode_16_64 0
		.amdhsa_float_denorm_mode_32 3
		.amdhsa_float_denorm_mode_16_64 3
		.amdhsa_dx10_clamp 1
		.amdhsa_ieee_mode 1
		.amdhsa_fp16_overflow 0
		.amdhsa_workgroup_processor_mode 1
		.amdhsa_memory_ordered 1
		.amdhsa_forward_progress 0
		.amdhsa_shared_vgpr_count 0
		.amdhsa_exception_fp_ieee_invalid_op 0
		.amdhsa_exception_fp_denorm_src 0
		.amdhsa_exception_fp_ieee_div_zero 0
		.amdhsa_exception_fp_ieee_overflow 0
		.amdhsa_exception_fp_ieee_underflow 0
		.amdhsa_exception_fp_ieee_inexact 0
		.amdhsa_exception_int_div_zero 0
	.end_amdhsa_kernel
	.section	.text._ZL41rocblas_syrkx_herkx_small_restrict_kernelIl19rocblas_complex_numIdELi16ELb0ELb1ELc84ELc85EKS1_S1_EviT_T0_PT6_S3_lS6_S3_lS4_PT7_S3_li,"axG",@progbits,_ZL41rocblas_syrkx_herkx_small_restrict_kernelIl19rocblas_complex_numIdELi16ELb0ELb1ELc84ELc85EKS1_S1_EviT_T0_PT6_S3_lS6_S3_lS4_PT7_S3_li,comdat
.Lfunc_end1356:
	.size	_ZL41rocblas_syrkx_herkx_small_restrict_kernelIl19rocblas_complex_numIdELi16ELb0ELb1ELc84ELc85EKS1_S1_EviT_T0_PT6_S3_lS6_S3_lS4_PT7_S3_li, .Lfunc_end1356-_ZL41rocblas_syrkx_herkx_small_restrict_kernelIl19rocblas_complex_numIdELi16ELb0ELb1ELc84ELc85EKS1_S1_EviT_T0_PT6_S3_lS6_S3_lS4_PT7_S3_li
                                        ; -- End function
	.section	.AMDGPU.csdata,"",@progbits
; Kernel info:
; codeLenInByte = 1852
; NumSgprs: 34
; NumVgprs: 48
; ScratchSize: 0
; MemoryBound: 0
; FloatMode: 240
; IeeeMode: 1
; LDSByteSize: 8192 bytes/workgroup (compile time only)
; SGPRBlocks: 4
; VGPRBlocks: 5
; NumSGPRsForWavesPerEU: 34
; NumVGPRsForWavesPerEU: 48
; Occupancy: 16
; WaveLimiterHint : 0
; COMPUTE_PGM_RSRC2:SCRATCH_EN: 0
; COMPUTE_PGM_RSRC2:USER_SGPR: 13
; COMPUTE_PGM_RSRC2:TRAP_HANDLER: 0
; COMPUTE_PGM_RSRC2:TGID_X_EN: 1
; COMPUTE_PGM_RSRC2:TGID_Y_EN: 1
; COMPUTE_PGM_RSRC2:TGID_Z_EN: 1
; COMPUTE_PGM_RSRC2:TIDIG_COMP_CNT: 1
	.section	.text._ZL41rocblas_syrkx_herkx_small_restrict_kernelIl19rocblas_complex_numIdELi16ELb0ELb1ELc67ELc85EKS1_S1_EviT_T0_PT6_S3_lS6_S3_lS4_PT7_S3_li,"axG",@progbits,_ZL41rocblas_syrkx_herkx_small_restrict_kernelIl19rocblas_complex_numIdELi16ELb0ELb1ELc67ELc85EKS1_S1_EviT_T0_PT6_S3_lS6_S3_lS4_PT7_S3_li,comdat
	.globl	_ZL41rocblas_syrkx_herkx_small_restrict_kernelIl19rocblas_complex_numIdELi16ELb0ELb1ELc67ELc85EKS1_S1_EviT_T0_PT6_S3_lS6_S3_lS4_PT7_S3_li ; -- Begin function _ZL41rocblas_syrkx_herkx_small_restrict_kernelIl19rocblas_complex_numIdELi16ELb0ELb1ELc67ELc85EKS1_S1_EviT_T0_PT6_S3_lS6_S3_lS4_PT7_S3_li
	.p2align	8
	.type	_ZL41rocblas_syrkx_herkx_small_restrict_kernelIl19rocblas_complex_numIdELi16ELb0ELb1ELc67ELc85EKS1_S1_EviT_T0_PT6_S3_lS6_S3_lS4_PT7_S3_li,@function
_ZL41rocblas_syrkx_herkx_small_restrict_kernelIl19rocblas_complex_numIdELi16ELb0ELb1ELc67ELc85EKS1_S1_EviT_T0_PT6_S3_lS6_S3_lS4_PT7_S3_li: ; @_ZL41rocblas_syrkx_herkx_small_restrict_kernelIl19rocblas_complex_numIdELi16ELb0ELb1ELc67ELc85EKS1_S1_EviT_T0_PT6_S3_lS6_S3_lS4_PT7_S3_li
; %bb.0:
	s_clause 0x2
	s_load_b512 s[16:31], s[0:1], 0x8
	s_load_b128 s[8:11], s[0:1], 0x68
	s_load_b256 s[0:7], s[0:1], 0x48
	v_dual_mov_b32 v6, 0 :: v_dual_and_b32 v3, 0x3ff, v0
	v_bfe_u32 v2, v0, 10, 10
	v_mov_b32_e32 v7, 0
	s_delay_alu instid0(VALU_DEP_3) | instskip(NEXT) | instid1(VALU_DEP_3)
	v_lshl_add_u32 v0, s13, 4, v3
	v_lshl_add_u32 v10, s14, 4, v2
	s_delay_alu instid0(VALU_DEP_3) | instskip(NEXT) | instid1(VALU_DEP_3)
	v_dual_mov_b32 v9, v7 :: v_dual_mov_b32 v8, v6
	v_ashrrev_i32_e32 v1, 31, v0
	s_delay_alu instid0(VALU_DEP_3) | instskip(SKIP_2) | instid1(VALU_DEP_1)
	v_ashrrev_i32_e32 v11, 31, v10
	s_waitcnt lgkmcnt(0)
	v_cmp_lt_i64_e64 s12, s[16:17], 1
	s_and_b32 vcc_lo, exec_lo, s12
	s_cbranch_vccnz .LBB1357_3
; %bb.1:
	v_mul_lo_u32 v6, s31, v10
	v_mul_lo_u32 v7, s30, v11
	v_mad_u64_u32 v[4:5], null, s30, v10, 0
	v_mul_lo_u32 v9, s25, v0
	v_mul_lo_u32 v16, s24, v1
	s_mul_i32 s1, s1, s15
	s_mul_hi_u32 s12, s0, s15
	v_lshlrev_b32_e32 v12, 4, v3
	s_add_i32 s1, s12, s1
	s_delay_alu instid0(VALU_DEP_4) | instskip(SKIP_3) | instid1(VALU_DEP_2)
	v_add3_u32 v5, v5, v7, v6
	v_mad_u64_u32 v[6:7], null, s24, v0, 0
	s_mul_i32 s12, s27, s15
	s_mul_hi_u32 s13, s26, s15
	v_lshlrev_b64 v[3:4], 4, v[4:5]
	s_add_i32 s13, s13, s12
	s_mul_i32 s12, s26, s15
	s_mul_i32 s0, s0, s15
	s_delay_alu instid0(VALU_DEP_2)
	v_add3_u32 v7, v7, v16, v9
	s_lshl_b64 s[12:13], s[12:13], 4
	v_lshlrev_b32_e32 v8, 8, v2
	s_lshl_b64 s[0:1], s[0:1], 4
	v_lshlrev_b32_e32 v2, 4, v2
	v_lshlrev_b64 v[5:6], 4, v[6:7]
	s_delay_alu instid0(VALU_DEP_1) | instskip(NEXT) | instid1(VALU_DEP_2)
	v_add_co_u32 v5, vcc_lo, v5, s12
	v_add_co_ci_u32_e32 v6, vcc_lo, s13, v6, vcc_lo
	v_add_co_u32 v3, vcc_lo, v3, s0
	v_add_co_ci_u32_e32 v4, vcc_lo, s1, v4, vcc_lo
	s_delay_alu instid0(VALU_DEP_4) | instskip(NEXT) | instid1(VALU_DEP_4)
	v_add_co_u32 v2, vcc_lo, v5, v2
	v_add_co_ci_u32_e32 v5, vcc_lo, 0, v6, vcc_lo
	s_delay_alu instid0(VALU_DEP_4) | instskip(NEXT) | instid1(VALU_DEP_4)
	v_add_co_u32 v3, vcc_lo, v3, v12
	v_add_co_ci_u32_e32 v4, vcc_lo, 0, v4, vcc_lo
	v_mov_b32_e32 v6, 0
	v_mov_b32_e32 v7, 0
	v_add_nc_u32_e32 v13, 0x1000, v8
	v_add_nc_u32_e32 v14, v12, v8
	v_add_co_u32 v8, vcc_lo, v2, s22
	v_add_co_ci_u32_e32 v5, vcc_lo, s23, v5, vcc_lo
	v_add_co_u32 v2, vcc_lo, s28, v3
	v_add_co_ci_u32_e32 v3, vcc_lo, s29, v4, vcc_lo
	s_delay_alu instid0(VALU_DEP_4)
	v_add_co_u32 v4, vcc_lo, v8, 8
	v_dual_mov_b32 v9, v7 :: v_dual_mov_b32 v8, v6
	v_add_nc_u32_e32 v15, v13, v12
	v_add_co_ci_u32_e32 v5, vcc_lo, 0, v5, vcc_lo
	s_mov_b64 s[0:1], 0
.LBB1357_2:                             ; =>This Inner Loop Header: Depth=1
	global_load_b128 v[16:19], v[4:5], off offset:-8
	global_load_b128 v[20:23], v[2:3], off
	s_add_u32 s0, s0, 16
	v_add_co_u32 v2, vcc_lo, 0x100, v2
	s_addc_u32 s1, s1, 0
	v_add_co_ci_u32_e32 v3, vcc_lo, 0, v3, vcc_lo
	v_cmp_lt_i64_e64 s12, s[0:1], s[16:17]
	v_add_co_u32 v4, vcc_lo, 0x100, v4
	v_add_co_ci_u32_e32 v5, vcc_lo, 0, v5, vcc_lo
	s_delay_alu instid0(VALU_DEP_3)
	s_and_b32 vcc_lo, exec_lo, s12
	s_waitcnt vmcnt(1)
	v_xor_b32_e32 v19, 0x80000000, v19
	ds_store_b128 v14, v[16:19]
	s_waitcnt vmcnt(0)
	ds_store_2addr_b64 v15, v[20:21], v[22:23] offset1:1
	s_waitcnt lgkmcnt(0)
	s_barrier
	buffer_gl0_inv
	ds_load_b128 v[16:19], v12
	ds_load_b128 v[20:23], v13
	ds_load_b128 v[24:27], v13 offset:16
	ds_load_b128 v[28:31], v12 offset:256
	s_waitcnt lgkmcnt(2)
	v_mul_f64 v[32:33], v[22:23], v[18:19]
	v_mul_f64 v[18:19], v[20:21], v[18:19]
	s_waitcnt lgkmcnt(0)
	v_mul_f64 v[38:39], v[26:27], v[30:31]
	v_mul_f64 v[40:41], v[24:25], v[30:31]
	s_delay_alu instid0(VALU_DEP_4) | instskip(NEXT) | instid1(VALU_DEP_4)
	v_fma_f64 v[42:43], v[20:21], v[16:17], -v[32:33]
	v_fma_f64 v[44:45], v[22:23], v[16:17], v[18:19]
	ds_load_b128 v[16:19], v12 offset:512
	ds_load_b128 v[20:23], v13 offset:32
	;; [unrolled: 1-line block ×4, first 2 shown]
	v_fma_f64 v[24:25], v[24:25], v[28:29], -v[38:39]
	v_fma_f64 v[26:27], v[26:27], v[28:29], v[40:41]
	s_waitcnt lgkmcnt(2)
	v_mul_f64 v[46:47], v[22:23], v[18:19]
	v_mul_f64 v[18:19], v[20:21], v[18:19]
	s_waitcnt lgkmcnt(0)
	v_mul_f64 v[28:29], v[32:33], v[36:37]
	v_mul_f64 v[36:37], v[30:31], v[36:37]
	v_add_f64 v[8:9], v[8:9], v[42:43]
	v_add_f64 v[6:7], v[6:7], v[44:45]
	v_fma_f64 v[38:39], v[20:21], v[16:17], -v[46:47]
	v_fma_f64 v[40:41], v[22:23], v[16:17], v[18:19]
	v_fma_f64 v[28:29], v[30:31], v[34:35], -v[28:29]
	v_fma_f64 v[30:31], v[32:33], v[34:35], v[36:37]
	v_add_f64 v[42:43], v[8:9], v[24:25]
	v_add_f64 v[44:45], v[6:7], v[26:27]
	ds_load_b128 v[6:9], v12 offset:1024
	ds_load_b128 v[16:19], v13 offset:64
	;; [unrolled: 1-line block ×4, first 2 shown]
	s_waitcnt lgkmcnt(2)
	v_mul_f64 v[46:47], v[18:19], v[8:9]
	v_mul_f64 v[8:9], v[16:17], v[8:9]
	s_waitcnt lgkmcnt(0)
	v_mul_f64 v[36:37], v[22:23], v[26:27]
	v_add_f64 v[32:33], v[42:43], v[38:39]
	v_add_f64 v[34:35], v[44:45], v[40:41]
	v_mul_f64 v[38:39], v[20:21], v[26:27]
	v_fma_f64 v[40:41], v[16:17], v[6:7], -v[46:47]
	v_fma_f64 v[42:43], v[18:19], v[6:7], v[8:9]
	v_fma_f64 v[20:21], v[20:21], v[24:25], -v[36:37]
	v_add_f64 v[44:45], v[32:33], v[28:29]
	v_add_f64 v[34:35], v[34:35], v[30:31]
	ds_load_b128 v[6:9], v12 offset:1536
	ds_load_b128 v[16:19], v13 offset:96
	;; [unrolled: 1-line block ×4, first 2 shown]
	v_fma_f64 v[22:23], v[22:23], v[24:25], v[38:39]
	s_waitcnt lgkmcnt(2)
	v_mul_f64 v[46:47], v[18:19], v[8:9]
	v_mul_f64 v[8:9], v[16:17], v[8:9]
	s_waitcnt lgkmcnt(0)
	v_mul_f64 v[36:37], v[28:29], v[32:33]
	v_mul_f64 v[38:39], v[26:27], v[32:33]
	v_add_f64 v[24:25], v[44:45], v[40:41]
	v_add_f64 v[34:35], v[34:35], v[42:43]
	v_fma_f64 v[40:41], v[16:17], v[6:7], -v[46:47]
	v_fma_f64 v[42:43], v[18:19], v[6:7], v[8:9]
	v_fma_f64 v[26:27], v[26:27], v[30:31], -v[36:37]
	v_fma_f64 v[28:29], v[28:29], v[30:31], v[38:39]
	v_add_f64 v[24:25], v[24:25], v[20:21]
	v_add_f64 v[44:45], v[34:35], v[22:23]
	ds_load_b128 v[6:9], v12 offset:2048
	ds_load_b128 v[16:19], v13 offset:128
	;; [unrolled: 1-line block ×4, first 2 shown]
	s_waitcnt lgkmcnt(2)
	v_mul_f64 v[46:47], v[18:19], v[8:9]
	v_mul_f64 v[8:9], v[16:17], v[8:9]
	s_waitcnt lgkmcnt(0)
	v_mul_f64 v[36:37], v[22:23], v[34:35]
	v_mul_f64 v[34:35], v[20:21], v[34:35]
	v_add_f64 v[24:25], v[24:25], v[40:41]
	v_add_f64 v[30:31], v[44:45], v[42:43]
	v_fma_f64 v[38:39], v[16:17], v[6:7], -v[46:47]
	v_fma_f64 v[40:41], v[18:19], v[6:7], v[8:9]
	v_fma_f64 v[20:21], v[20:21], v[32:33], -v[36:37]
	v_fma_f64 v[22:23], v[22:23], v[32:33], v[34:35]
	v_add_f64 v[42:43], v[24:25], v[26:27]
	v_add_f64 v[44:45], v[30:31], v[28:29]
	ds_load_b128 v[6:9], v12 offset:2560
	ds_load_b128 v[16:19], v13 offset:160
	;; [unrolled: 1-line block ×4, first 2 shown]
	s_waitcnt lgkmcnt(2)
	v_mul_f64 v[46:47], v[18:19], v[8:9]
	v_mul_f64 v[8:9], v[16:17], v[8:9]
	s_waitcnt lgkmcnt(0)
	v_mul_f64 v[36:37], v[26:27], v[30:31]
	v_add_f64 v[32:33], v[42:43], v[38:39]
	v_add_f64 v[34:35], v[44:45], v[40:41]
	v_mul_f64 v[38:39], v[24:25], v[30:31]
	v_fma_f64 v[40:41], v[16:17], v[6:7], -v[46:47]
	v_fma_f64 v[42:43], v[18:19], v[6:7], v[8:9]
	v_fma_f64 v[24:25], v[24:25], v[28:29], -v[36:37]
	v_add_f64 v[44:45], v[32:33], v[20:21]
	v_add_f64 v[34:35], v[34:35], v[22:23]
	ds_load_b128 v[6:9], v12 offset:3072
	ds_load_b128 v[16:19], v13 offset:192
	;; [unrolled: 1-line block ×4, first 2 shown]
	v_fma_f64 v[26:27], v[26:27], v[28:29], v[38:39]
	s_waitcnt lgkmcnt(2)
	v_mul_f64 v[46:47], v[18:19], v[8:9]
	v_mul_f64 v[8:9], v[16:17], v[8:9]
	s_waitcnt lgkmcnt(0)
	v_mul_f64 v[36:37], v[22:23], v[32:33]
	v_mul_f64 v[38:39], v[20:21], v[32:33]
	v_add_f64 v[28:29], v[44:45], v[40:41]
	v_add_f64 v[34:35], v[34:35], v[42:43]
	v_fma_f64 v[40:41], v[16:17], v[6:7], -v[46:47]
	v_fma_f64 v[42:43], v[18:19], v[6:7], v[8:9]
	v_fma_f64 v[20:21], v[20:21], v[30:31], -v[36:37]
	v_fma_f64 v[22:23], v[22:23], v[30:31], v[38:39]
	v_add_f64 v[28:29], v[28:29], v[24:25]
	v_add_f64 v[44:45], v[34:35], v[26:27]
	ds_load_b128 v[6:9], v12 offset:3584
	ds_load_b128 v[16:19], v13 offset:224
	;; [unrolled: 1-line block ×4, first 2 shown]
	s_waitcnt lgkmcnt(0)
	s_barrier
	buffer_gl0_inv
	v_mul_f64 v[46:47], v[18:19], v[8:9]
	v_mul_f64 v[8:9], v[16:17], v[8:9]
	;; [unrolled: 1-line block ×4, first 2 shown]
	v_add_f64 v[28:29], v[28:29], v[40:41]
	v_add_f64 v[30:31], v[44:45], v[42:43]
	v_fma_f64 v[16:17], v[16:17], v[6:7], -v[46:47]
	v_fma_f64 v[6:7], v[18:19], v[6:7], v[8:9]
	s_delay_alu instid0(VALU_DEP_4) | instskip(NEXT) | instid1(VALU_DEP_4)
	v_add_f64 v[8:9], v[28:29], v[20:21]
	v_add_f64 v[18:19], v[30:31], v[22:23]
	v_fma_f64 v[20:21], v[24:25], v[32:33], -v[36:37]
	v_fma_f64 v[22:23], v[26:27], v[32:33], v[34:35]
	s_delay_alu instid0(VALU_DEP_4) | instskip(NEXT) | instid1(VALU_DEP_4)
	v_add_f64 v[8:9], v[8:9], v[16:17]
	v_add_f64 v[6:7], v[18:19], v[6:7]
	s_delay_alu instid0(VALU_DEP_2) | instskip(NEXT) | instid1(VALU_DEP_2)
	v_add_f64 v[8:9], v[8:9], v[20:21]
	v_add_f64 v[6:7], v[6:7], v[22:23]
	s_cbranch_vccnz .LBB1357_2
.LBB1357_3:
	s_mov_b32 s0, exec_lo
	v_cmpx_le_i32_e64 v0, v10
	s_cbranch_execz .LBB1357_5
; %bb.4:
	v_mul_lo_u32 v4, v10, s9
	v_mul_lo_u32 v5, v11, s8
	v_mad_u64_u32 v[2:3], null, v10, s8, 0
	s_mul_i32 s1, s15, s11
	s_mul_hi_u32 s8, s15, s10
	s_mul_i32 s0, s15, s10
	s_add_i32 s1, s8, s1
	v_mul_f64 v[13:14], s[18:19], v[6:7]
	s_lshl_b64 s[0:1], s[0:1], 4
	s_delay_alu instid0(VALU_DEP_2) | instskip(SKIP_3) | instid1(VALU_DEP_2)
	v_add3_u32 v3, v3, v4, v5
	s_add_u32 s0, s6, s0
	v_lshlrev_b64 v[4:5], 4, v[0:1]
	s_addc_u32 s1, s7, s1
	v_lshlrev_b64 v[2:3], 4, v[2:3]
	s_delay_alu instid0(VALU_DEP_1) | instskip(NEXT) | instid1(VALU_DEP_2)
	v_add_co_u32 v1, vcc_lo, s0, v2
	v_add_co_ci_u32_e32 v2, vcc_lo, s1, v3, vcc_lo
	s_delay_alu instid0(VALU_DEP_2) | instskip(NEXT) | instid1(VALU_DEP_2)
	v_add_co_u32 v11, vcc_lo, v1, v4
	v_add_co_ci_u32_e32 v12, vcc_lo, v2, v5, vcc_lo
	v_mul_f64 v[5:6], s[20:21], v[6:7]
	v_cmp_ne_u32_e32 vcc_lo, v0, v10
	global_load_b128 v[1:4], v[11:12], off
	v_fma_f64 v[13:14], s[20:21], v[8:9], v[13:14]
	v_fma_f64 v[5:6], s[18:19], v[8:9], -v[5:6]
	s_waitcnt vmcnt(0)
	v_mul_f64 v[15:16], s[2:3], v[3:4]
	v_mul_f64 v[3:4], s[4:5], v[3:4]
	s_delay_alu instid0(VALU_DEP_2) | instskip(NEXT) | instid1(VALU_DEP_2)
	v_fma_f64 v[15:16], s[4:5], v[1:2], v[15:16]
	v_fma_f64 v[1:2], s[2:3], v[1:2], -v[3:4]
	s_delay_alu instid0(VALU_DEP_2) | instskip(NEXT) | instid1(VALU_DEP_2)
	v_add_f64 v[3:4], v[13:14], v[15:16]
	v_add_f64 v[1:2], v[5:6], v[1:2]
	s_delay_alu instid0(VALU_DEP_2)
	v_dual_cndmask_b32 v4, 0, v4 :: v_dual_cndmask_b32 v3, 0, v3
	global_store_b128 v[11:12], v[1:4], off
.LBB1357_5:
	s_nop 0
	s_sendmsg sendmsg(MSG_DEALLOC_VGPRS)
	s_endpgm
	.section	.rodata,"a",@progbits
	.p2align	6, 0x0
	.amdhsa_kernel _ZL41rocblas_syrkx_herkx_small_restrict_kernelIl19rocblas_complex_numIdELi16ELb0ELb1ELc67ELc85EKS1_S1_EviT_T0_PT6_S3_lS6_S3_lS4_PT7_S3_li
		.amdhsa_group_segment_fixed_size 8192
		.amdhsa_private_segment_fixed_size 0
		.amdhsa_kernarg_size 124
		.amdhsa_user_sgpr_count 13
		.amdhsa_user_sgpr_dispatch_ptr 0
		.amdhsa_user_sgpr_queue_ptr 0
		.amdhsa_user_sgpr_kernarg_segment_ptr 1
		.amdhsa_user_sgpr_dispatch_id 0
		.amdhsa_user_sgpr_private_segment_size 0
		.amdhsa_wavefront_size32 1
		.amdhsa_uses_dynamic_stack 0
		.amdhsa_enable_private_segment 0
		.amdhsa_system_sgpr_workgroup_id_x 1
		.amdhsa_system_sgpr_workgroup_id_y 1
		.amdhsa_system_sgpr_workgroup_id_z 1
		.amdhsa_system_sgpr_workgroup_info 0
		.amdhsa_system_vgpr_workitem_id 1
		.amdhsa_next_free_vgpr 48
		.amdhsa_next_free_sgpr 32
		.amdhsa_reserve_vcc 1
		.amdhsa_float_round_mode_32 0
		.amdhsa_float_round_mode_16_64 0
		.amdhsa_float_denorm_mode_32 3
		.amdhsa_float_denorm_mode_16_64 3
		.amdhsa_dx10_clamp 1
		.amdhsa_ieee_mode 1
		.amdhsa_fp16_overflow 0
		.amdhsa_workgroup_processor_mode 1
		.amdhsa_memory_ordered 1
		.amdhsa_forward_progress 0
		.amdhsa_shared_vgpr_count 0
		.amdhsa_exception_fp_ieee_invalid_op 0
		.amdhsa_exception_fp_denorm_src 0
		.amdhsa_exception_fp_ieee_div_zero 0
		.amdhsa_exception_fp_ieee_overflow 0
		.amdhsa_exception_fp_ieee_underflow 0
		.amdhsa_exception_fp_ieee_inexact 0
		.amdhsa_exception_int_div_zero 0
	.end_amdhsa_kernel
	.section	.text._ZL41rocblas_syrkx_herkx_small_restrict_kernelIl19rocblas_complex_numIdELi16ELb0ELb1ELc67ELc85EKS1_S1_EviT_T0_PT6_S3_lS6_S3_lS4_PT7_S3_li,"axG",@progbits,_ZL41rocblas_syrkx_herkx_small_restrict_kernelIl19rocblas_complex_numIdELi16ELb0ELb1ELc67ELc85EKS1_S1_EviT_T0_PT6_S3_lS6_S3_lS4_PT7_S3_li,comdat
.Lfunc_end1357:
	.size	_ZL41rocblas_syrkx_herkx_small_restrict_kernelIl19rocblas_complex_numIdELi16ELb0ELb1ELc67ELc85EKS1_S1_EviT_T0_PT6_S3_lS6_S3_lS4_PT7_S3_li, .Lfunc_end1357-_ZL41rocblas_syrkx_herkx_small_restrict_kernelIl19rocblas_complex_numIdELi16ELb0ELb1ELc67ELc85EKS1_S1_EviT_T0_PT6_S3_lS6_S3_lS4_PT7_S3_li
                                        ; -- End function
	.section	.AMDGPU.csdata,"",@progbits
; Kernel info:
; codeLenInByte = 1892
; NumSgprs: 34
; NumVgprs: 48
; ScratchSize: 0
; MemoryBound: 0
; FloatMode: 240
; IeeeMode: 1
; LDSByteSize: 8192 bytes/workgroup (compile time only)
; SGPRBlocks: 4
; VGPRBlocks: 5
; NumSGPRsForWavesPerEU: 34
; NumVGPRsForWavesPerEU: 48
; Occupancy: 16
; WaveLimiterHint : 0
; COMPUTE_PGM_RSRC2:SCRATCH_EN: 0
; COMPUTE_PGM_RSRC2:USER_SGPR: 13
; COMPUTE_PGM_RSRC2:TRAP_HANDLER: 0
; COMPUTE_PGM_RSRC2:TGID_X_EN: 1
; COMPUTE_PGM_RSRC2:TGID_Y_EN: 1
; COMPUTE_PGM_RSRC2:TGID_Z_EN: 1
; COMPUTE_PGM_RSRC2:TIDIG_COMP_CNT: 1
	.section	.text._ZL41rocblas_syrkx_herkx_small_restrict_kernelIl19rocblas_complex_numIdELi16ELb0ELb1ELc78ELc85EKS1_S1_EviT_T0_PT6_S3_lS6_S3_lS4_PT7_S3_li,"axG",@progbits,_ZL41rocblas_syrkx_herkx_small_restrict_kernelIl19rocblas_complex_numIdELi16ELb0ELb1ELc78ELc85EKS1_S1_EviT_T0_PT6_S3_lS6_S3_lS4_PT7_S3_li,comdat
	.globl	_ZL41rocblas_syrkx_herkx_small_restrict_kernelIl19rocblas_complex_numIdELi16ELb0ELb1ELc78ELc85EKS1_S1_EviT_T0_PT6_S3_lS6_S3_lS4_PT7_S3_li ; -- Begin function _ZL41rocblas_syrkx_herkx_small_restrict_kernelIl19rocblas_complex_numIdELi16ELb0ELb1ELc78ELc85EKS1_S1_EviT_T0_PT6_S3_lS6_S3_lS4_PT7_S3_li
	.p2align	8
	.type	_ZL41rocblas_syrkx_herkx_small_restrict_kernelIl19rocblas_complex_numIdELi16ELb0ELb1ELc78ELc85EKS1_S1_EviT_T0_PT6_S3_lS6_S3_lS4_PT7_S3_li,@function
_ZL41rocblas_syrkx_herkx_small_restrict_kernelIl19rocblas_complex_numIdELi16ELb0ELb1ELc78ELc85EKS1_S1_EviT_T0_PT6_S3_lS6_S3_lS4_PT7_S3_li: ; @_ZL41rocblas_syrkx_herkx_small_restrict_kernelIl19rocblas_complex_numIdELi16ELb0ELb1ELc78ELc85EKS1_S1_EviT_T0_PT6_S3_lS6_S3_lS4_PT7_S3_li
; %bb.0:
	s_clause 0x2
	s_load_b512 s[16:31], s[0:1], 0x8
	s_load_b128 s[8:11], s[0:1], 0x68
	s_load_b256 s[0:7], s[0:1], 0x48
	v_dual_mov_b32 v8, 0 :: v_dual_and_b32 v5, 0x3ff, v0
	v_bfe_u32 v4, v0, 10, 10
	v_mov_b32_e32 v9, 0
	s_delay_alu instid0(VALU_DEP_3) | instskip(NEXT) | instid1(VALU_DEP_3)
	v_lshl_add_u32 v0, s13, 4, v5
	v_lshl_add_u32 v2, s14, 4, v4
	s_delay_alu instid0(VALU_DEP_3) | instskip(NEXT) | instid1(VALU_DEP_3)
	v_dual_mov_b32 v11, v9 :: v_dual_mov_b32 v10, v8
	v_ashrrev_i32_e32 v1, 31, v0
	s_delay_alu instid0(VALU_DEP_3) | instskip(SKIP_2) | instid1(VALU_DEP_1)
	v_ashrrev_i32_e32 v3, 31, v2
	s_waitcnt lgkmcnt(0)
	v_cmp_lt_i64_e64 s12, s[16:17], 1
	s_and_b32 vcc_lo, exec_lo, s12
	s_cbranch_vccnz .LBB1358_3
; %bb.1:
	v_mad_u64_u32 v[6:7], null, s30, v5, 0
	v_mad_u64_u32 v[8:9], null, s24, v4, 0
	v_lshlrev_b32_e32 v14, 8, v4
	s_mul_i32 s1, s1, s15
	s_mul_hi_u32 s13, s0, s15
	s_mul_i32 s0, s0, s15
	s_add_i32 s1, s13, s1
	v_lshlrev_b64 v[16:17], 4, v[2:3]
	s_delay_alu instid0(VALU_DEP_3)
	v_mad_u64_u32 v[10:11], null, s31, v5, v[7:8]
	v_dual_mov_b32 v5, v9 :: v_dual_lshlrev_b32 v12, 4, v5
	s_lshl_b64 s[0:1], s[0:1], 4
	s_mul_i32 s14, s27, s15
	s_mul_hi_u32 s27, s26, s15
	s_mul_i32 s12, s26, s15
	s_delay_alu instid0(VALU_DEP_2) | instskip(SKIP_3) | instid1(VALU_DEP_3)
	v_mov_b32_e32 v7, v10
	v_mad_u64_u32 v[9:10], null, s25, v4, v[5:6]
	s_add_i32 s13, s27, s14
	v_add_nc_u32_e32 v13, 0x1000, v14
	v_lshlrev_b64 v[4:5], 4, v[6:7]
	s_lshl_b64 s[12:13], s[12:13], 4
	v_add_nc_u32_e32 v14, v12, v14
	s_delay_alu instid0(VALU_DEP_2) | instskip(NEXT) | instid1(VALU_DEP_3)
	v_add_co_u32 v6, vcc_lo, s0, v4
	v_add_co_ci_u32_e32 v7, vcc_lo, s1, v5, vcc_lo
	v_lshlrev_b64 v[4:5], 4, v[8:9]
	s_delay_alu instid0(VALU_DEP_3) | instskip(NEXT) | instid1(VALU_DEP_3)
	v_add_co_u32 v6, vcc_lo, v6, v16
	v_add_co_ci_u32_e32 v7, vcc_lo, v7, v17, vcc_lo
	s_lshl_b64 s[0:1], s[30:31], 8
	s_delay_alu instid0(VALU_DEP_3) | instskip(NEXT) | instid1(VALU_DEP_4)
	v_add_co_u32 v8, vcc_lo, s12, v4
	v_add_co_ci_u32_e32 v9, vcc_lo, s13, v5, vcc_lo
	v_lshlrev_b64 v[4:5], 4, v[0:1]
	v_add_co_u32 v6, vcc_lo, v6, s28
	v_add_co_ci_u32_e32 v7, vcc_lo, s29, v7, vcc_lo
	s_lshl_b64 s[12:13], s[24:25], 8
	s_delay_alu instid0(VALU_DEP_3) | instskip(NEXT) | instid1(VALU_DEP_4)
	v_add_co_u32 v10, vcc_lo, v8, v4
	v_add_co_ci_u32_e32 v11, vcc_lo, v9, v5, vcc_lo
	v_mov_b32_e32 v8, 0
	v_mov_b32_e32 v9, 0
	v_add_co_u32 v4, vcc_lo, v6, 8
	v_add_co_ci_u32_e32 v5, vcc_lo, 0, v7, vcc_lo
	v_add_co_u32 v6, vcc_lo, s22, v10
	v_add_co_ci_u32_e32 v7, vcc_lo, s23, v11, vcc_lo
	v_mov_b32_e32 v11, v9
	v_dual_mov_b32 v10, v8 :: v_dual_add_nc_u32 v15, v13, v12
	s_mov_b64 s[22:23], 0
.LBB1358_2:                             ; =>This Inner Loop Header: Depth=1
	global_load_b128 v[16:19], v[4:5], off offset:-8
	global_load_b128 v[20:23], v[6:7], off
	s_add_u32 s22, s22, 16
	v_add_co_u32 v4, vcc_lo, v4, s0
	s_addc_u32 s23, s23, 0
	v_add_co_ci_u32_e32 v5, vcc_lo, s1, v5, vcc_lo
	v_cmp_lt_i64_e64 s14, s[22:23], s[16:17]
	v_add_co_u32 v6, vcc_lo, v6, s12
	v_add_co_ci_u32_e32 v7, vcc_lo, s13, v7, vcc_lo
	s_delay_alu instid0(VALU_DEP_3)
	s_and_b32 vcc_lo, exec_lo, s14
	s_waitcnt vmcnt(1)
	v_xor_b32_e32 v19, 0x80000000, v19
	s_waitcnt vmcnt(0)
	ds_store_2addr_b64 v14, v[20:21], v[22:23] offset1:1
	ds_store_b128 v15, v[16:19]
	s_waitcnt lgkmcnt(0)
	s_barrier
	buffer_gl0_inv
	ds_load_b128 v[16:19], v12
	ds_load_b128 v[20:23], v13
	ds_load_b128 v[24:27], v13 offset:16
	ds_load_b128 v[28:31], v12 offset:256
	s_waitcnt lgkmcnt(2)
	v_mul_f64 v[32:33], v[22:23], v[18:19]
	v_mul_f64 v[18:19], v[20:21], v[18:19]
	s_waitcnt lgkmcnt(0)
	v_mul_f64 v[38:39], v[26:27], v[30:31]
	v_mul_f64 v[40:41], v[24:25], v[30:31]
	s_delay_alu instid0(VALU_DEP_4) | instskip(NEXT) | instid1(VALU_DEP_4)
	v_fma_f64 v[42:43], v[20:21], v[16:17], -v[32:33]
	v_fma_f64 v[44:45], v[22:23], v[16:17], v[18:19]
	ds_load_b128 v[16:19], v12 offset:512
	ds_load_b128 v[20:23], v13 offset:32
	;; [unrolled: 1-line block ×4, first 2 shown]
	v_fma_f64 v[24:25], v[24:25], v[28:29], -v[38:39]
	v_fma_f64 v[26:27], v[26:27], v[28:29], v[40:41]
	s_waitcnt lgkmcnt(2)
	v_mul_f64 v[46:47], v[22:23], v[18:19]
	v_mul_f64 v[18:19], v[20:21], v[18:19]
	s_waitcnt lgkmcnt(0)
	v_mul_f64 v[28:29], v[32:33], v[36:37]
	v_mul_f64 v[36:37], v[30:31], v[36:37]
	v_add_f64 v[10:11], v[10:11], v[42:43]
	v_add_f64 v[8:9], v[8:9], v[44:45]
	v_fma_f64 v[38:39], v[20:21], v[16:17], -v[46:47]
	v_fma_f64 v[40:41], v[22:23], v[16:17], v[18:19]
	v_fma_f64 v[28:29], v[30:31], v[34:35], -v[28:29]
	v_fma_f64 v[30:31], v[32:33], v[34:35], v[36:37]
	v_add_f64 v[42:43], v[10:11], v[24:25]
	v_add_f64 v[44:45], v[8:9], v[26:27]
	ds_load_b128 v[8:11], v12 offset:1024
	ds_load_b128 v[16:19], v13 offset:64
	;; [unrolled: 1-line block ×4, first 2 shown]
	s_waitcnt lgkmcnt(2)
	v_mul_f64 v[46:47], v[18:19], v[10:11]
	v_mul_f64 v[10:11], v[16:17], v[10:11]
	s_waitcnt lgkmcnt(0)
	v_mul_f64 v[36:37], v[22:23], v[26:27]
	v_add_f64 v[32:33], v[42:43], v[38:39]
	v_add_f64 v[34:35], v[44:45], v[40:41]
	v_mul_f64 v[38:39], v[20:21], v[26:27]
	v_fma_f64 v[40:41], v[16:17], v[8:9], -v[46:47]
	v_fma_f64 v[42:43], v[18:19], v[8:9], v[10:11]
	v_fma_f64 v[20:21], v[20:21], v[24:25], -v[36:37]
	v_add_f64 v[44:45], v[32:33], v[28:29]
	v_add_f64 v[34:35], v[34:35], v[30:31]
	ds_load_b128 v[8:11], v12 offset:1536
	ds_load_b128 v[16:19], v13 offset:96
	;; [unrolled: 1-line block ×4, first 2 shown]
	v_fma_f64 v[22:23], v[22:23], v[24:25], v[38:39]
	s_waitcnt lgkmcnt(2)
	v_mul_f64 v[46:47], v[18:19], v[10:11]
	v_mul_f64 v[10:11], v[16:17], v[10:11]
	s_waitcnt lgkmcnt(0)
	v_mul_f64 v[36:37], v[28:29], v[32:33]
	v_mul_f64 v[38:39], v[26:27], v[32:33]
	v_add_f64 v[24:25], v[44:45], v[40:41]
	v_add_f64 v[34:35], v[34:35], v[42:43]
	v_fma_f64 v[40:41], v[16:17], v[8:9], -v[46:47]
	v_fma_f64 v[42:43], v[18:19], v[8:9], v[10:11]
	v_fma_f64 v[26:27], v[26:27], v[30:31], -v[36:37]
	v_fma_f64 v[28:29], v[28:29], v[30:31], v[38:39]
	v_add_f64 v[24:25], v[24:25], v[20:21]
	v_add_f64 v[44:45], v[34:35], v[22:23]
	ds_load_b128 v[8:11], v12 offset:2048
	ds_load_b128 v[16:19], v13 offset:128
	;; [unrolled: 1-line block ×4, first 2 shown]
	s_waitcnt lgkmcnt(2)
	v_mul_f64 v[46:47], v[18:19], v[10:11]
	v_mul_f64 v[10:11], v[16:17], v[10:11]
	s_waitcnt lgkmcnt(0)
	v_mul_f64 v[36:37], v[22:23], v[34:35]
	v_mul_f64 v[34:35], v[20:21], v[34:35]
	v_add_f64 v[24:25], v[24:25], v[40:41]
	v_add_f64 v[30:31], v[44:45], v[42:43]
	v_fma_f64 v[38:39], v[16:17], v[8:9], -v[46:47]
	v_fma_f64 v[40:41], v[18:19], v[8:9], v[10:11]
	v_fma_f64 v[20:21], v[20:21], v[32:33], -v[36:37]
	v_fma_f64 v[22:23], v[22:23], v[32:33], v[34:35]
	v_add_f64 v[42:43], v[24:25], v[26:27]
	v_add_f64 v[44:45], v[30:31], v[28:29]
	ds_load_b128 v[8:11], v12 offset:2560
	ds_load_b128 v[16:19], v13 offset:160
	;; [unrolled: 1-line block ×4, first 2 shown]
	s_waitcnt lgkmcnt(2)
	v_mul_f64 v[46:47], v[18:19], v[10:11]
	v_mul_f64 v[10:11], v[16:17], v[10:11]
	s_waitcnt lgkmcnt(0)
	v_mul_f64 v[36:37], v[26:27], v[30:31]
	v_add_f64 v[32:33], v[42:43], v[38:39]
	v_add_f64 v[34:35], v[44:45], v[40:41]
	v_mul_f64 v[38:39], v[24:25], v[30:31]
	v_fma_f64 v[40:41], v[16:17], v[8:9], -v[46:47]
	v_fma_f64 v[42:43], v[18:19], v[8:9], v[10:11]
	v_fma_f64 v[24:25], v[24:25], v[28:29], -v[36:37]
	v_add_f64 v[44:45], v[32:33], v[20:21]
	v_add_f64 v[34:35], v[34:35], v[22:23]
	ds_load_b128 v[8:11], v12 offset:3072
	ds_load_b128 v[16:19], v13 offset:192
	;; [unrolled: 1-line block ×4, first 2 shown]
	v_fma_f64 v[26:27], v[26:27], v[28:29], v[38:39]
	s_waitcnt lgkmcnt(2)
	v_mul_f64 v[46:47], v[18:19], v[10:11]
	v_mul_f64 v[10:11], v[16:17], v[10:11]
	s_waitcnt lgkmcnt(0)
	v_mul_f64 v[36:37], v[22:23], v[32:33]
	v_mul_f64 v[38:39], v[20:21], v[32:33]
	v_add_f64 v[28:29], v[44:45], v[40:41]
	v_add_f64 v[34:35], v[34:35], v[42:43]
	v_fma_f64 v[40:41], v[16:17], v[8:9], -v[46:47]
	v_fma_f64 v[42:43], v[18:19], v[8:9], v[10:11]
	v_fma_f64 v[20:21], v[20:21], v[30:31], -v[36:37]
	v_fma_f64 v[22:23], v[22:23], v[30:31], v[38:39]
	v_add_f64 v[28:29], v[28:29], v[24:25]
	v_add_f64 v[44:45], v[34:35], v[26:27]
	ds_load_b128 v[8:11], v12 offset:3584
	ds_load_b128 v[16:19], v13 offset:224
	;; [unrolled: 1-line block ×4, first 2 shown]
	s_waitcnt lgkmcnt(0)
	s_barrier
	buffer_gl0_inv
	v_mul_f64 v[46:47], v[18:19], v[10:11]
	v_mul_f64 v[10:11], v[16:17], v[10:11]
	;; [unrolled: 1-line block ×4, first 2 shown]
	v_add_f64 v[28:29], v[28:29], v[40:41]
	v_add_f64 v[30:31], v[44:45], v[42:43]
	v_fma_f64 v[16:17], v[16:17], v[8:9], -v[46:47]
	v_fma_f64 v[8:9], v[18:19], v[8:9], v[10:11]
	s_delay_alu instid0(VALU_DEP_4) | instskip(NEXT) | instid1(VALU_DEP_4)
	v_add_f64 v[10:11], v[28:29], v[20:21]
	v_add_f64 v[18:19], v[30:31], v[22:23]
	v_fma_f64 v[20:21], v[24:25], v[32:33], -v[36:37]
	v_fma_f64 v[22:23], v[26:27], v[32:33], v[34:35]
	s_delay_alu instid0(VALU_DEP_4) | instskip(NEXT) | instid1(VALU_DEP_4)
	v_add_f64 v[10:11], v[10:11], v[16:17]
	v_add_f64 v[8:9], v[18:19], v[8:9]
	s_delay_alu instid0(VALU_DEP_2) | instskip(NEXT) | instid1(VALU_DEP_2)
	v_add_f64 v[10:11], v[10:11], v[20:21]
	v_add_f64 v[8:9], v[8:9], v[22:23]
	s_cbranch_vccnz .LBB1358_2
.LBB1358_3:
	s_mov_b32 s0, exec_lo
	v_cmpx_le_i32_e64 v0, v2
	s_cbranch_execz .LBB1358_5
; %bb.4:
	v_mul_lo_u32 v5, v2, s9
	v_mul_lo_u32 v6, v3, s8
	v_mad_u64_u32 v[3:4], null, v2, s8, 0
	s_mul_i32 s1, s15, s11
	s_mul_hi_u32 s8, s15, s10
	s_mul_i32 s0, s15, s10
	s_add_i32 s1, s8, s1
	v_mul_f64 v[14:15], s[18:19], v[8:9]
	s_lshl_b64 s[0:1], s[0:1], 4
	s_delay_alu instid0(VALU_DEP_2)
	v_add3_u32 v4, v4, v5, v6
	s_add_u32 s0, s6, s0
	v_lshlrev_b64 v[5:6], 4, v[0:1]
	s_addc_u32 s1, s7, s1
	v_mul_f64 v[7:8], s[20:21], v[8:9]
	v_lshlrev_b64 v[3:4], 4, v[3:4]
	s_delay_alu instid0(VALU_DEP_1) | instskip(NEXT) | instid1(VALU_DEP_2)
	v_add_co_u32 v1, vcc_lo, s0, v3
	v_add_co_ci_u32_e32 v3, vcc_lo, s1, v4, vcc_lo
	s_delay_alu instid0(VALU_DEP_2) | instskip(NEXT) | instid1(VALU_DEP_2)
	v_add_co_u32 v12, vcc_lo, v1, v5
	v_add_co_ci_u32_e32 v13, vcc_lo, v3, v6, vcc_lo
	v_cmp_ne_u32_e32 vcc_lo, v0, v2
	global_load_b128 v[3:6], v[12:13], off
	v_fma_f64 v[14:15], s[20:21], v[10:11], v[14:15]
	v_fma_f64 v[7:8], s[18:19], v[10:11], -v[7:8]
	s_waitcnt vmcnt(0)
	v_mul_f64 v[16:17], s[2:3], v[5:6]
	v_mul_f64 v[5:6], s[4:5], v[5:6]
	s_delay_alu instid0(VALU_DEP_2) | instskip(NEXT) | instid1(VALU_DEP_2)
	v_fma_f64 v[16:17], s[4:5], v[3:4], v[16:17]
	v_fma_f64 v[3:4], s[2:3], v[3:4], -v[5:6]
	s_delay_alu instid0(VALU_DEP_2) | instskip(NEXT) | instid1(VALU_DEP_2)
	v_add_f64 v[5:6], v[14:15], v[16:17]
	v_add_f64 v[3:4], v[7:8], v[3:4]
	s_delay_alu instid0(VALU_DEP_2)
	v_dual_cndmask_b32 v6, 0, v6 :: v_dual_cndmask_b32 v5, 0, v5
	global_store_b128 v[12:13], v[3:6], off
.LBB1358_5:
	s_nop 0
	s_sendmsg sendmsg(MSG_DEALLOC_VGPRS)
	s_endpgm
	.section	.rodata,"a",@progbits
	.p2align	6, 0x0
	.amdhsa_kernel _ZL41rocblas_syrkx_herkx_small_restrict_kernelIl19rocblas_complex_numIdELi16ELb0ELb1ELc78ELc85EKS1_S1_EviT_T0_PT6_S3_lS6_S3_lS4_PT7_S3_li
		.amdhsa_group_segment_fixed_size 8192
		.amdhsa_private_segment_fixed_size 0
		.amdhsa_kernarg_size 124
		.amdhsa_user_sgpr_count 13
		.amdhsa_user_sgpr_dispatch_ptr 0
		.amdhsa_user_sgpr_queue_ptr 0
		.amdhsa_user_sgpr_kernarg_segment_ptr 1
		.amdhsa_user_sgpr_dispatch_id 0
		.amdhsa_user_sgpr_private_segment_size 0
		.amdhsa_wavefront_size32 1
		.amdhsa_uses_dynamic_stack 0
		.amdhsa_enable_private_segment 0
		.amdhsa_system_sgpr_workgroup_id_x 1
		.amdhsa_system_sgpr_workgroup_id_y 1
		.amdhsa_system_sgpr_workgroup_id_z 1
		.amdhsa_system_sgpr_workgroup_info 0
		.amdhsa_system_vgpr_workitem_id 1
		.amdhsa_next_free_vgpr 48
		.amdhsa_next_free_sgpr 32
		.amdhsa_reserve_vcc 1
		.amdhsa_float_round_mode_32 0
		.amdhsa_float_round_mode_16_64 0
		.amdhsa_float_denorm_mode_32 3
		.amdhsa_float_denorm_mode_16_64 3
		.amdhsa_dx10_clamp 1
		.amdhsa_ieee_mode 1
		.amdhsa_fp16_overflow 0
		.amdhsa_workgroup_processor_mode 1
		.amdhsa_memory_ordered 1
		.amdhsa_forward_progress 0
		.amdhsa_shared_vgpr_count 0
		.amdhsa_exception_fp_ieee_invalid_op 0
		.amdhsa_exception_fp_denorm_src 0
		.amdhsa_exception_fp_ieee_div_zero 0
		.amdhsa_exception_fp_ieee_overflow 0
		.amdhsa_exception_fp_ieee_underflow 0
		.amdhsa_exception_fp_ieee_inexact 0
		.amdhsa_exception_int_div_zero 0
	.end_amdhsa_kernel
	.section	.text._ZL41rocblas_syrkx_herkx_small_restrict_kernelIl19rocblas_complex_numIdELi16ELb0ELb1ELc78ELc85EKS1_S1_EviT_T0_PT6_S3_lS6_S3_lS4_PT7_S3_li,"axG",@progbits,_ZL41rocblas_syrkx_herkx_small_restrict_kernelIl19rocblas_complex_numIdELi16ELb0ELb1ELc78ELc85EKS1_S1_EviT_T0_PT6_S3_lS6_S3_lS4_PT7_S3_li,comdat
.Lfunc_end1358:
	.size	_ZL41rocblas_syrkx_herkx_small_restrict_kernelIl19rocblas_complex_numIdELi16ELb0ELb1ELc78ELc85EKS1_S1_EviT_T0_PT6_S3_lS6_S3_lS4_PT7_S3_li, .Lfunc_end1358-_ZL41rocblas_syrkx_herkx_small_restrict_kernelIl19rocblas_complex_numIdELi16ELb0ELb1ELc78ELc85EKS1_S1_EviT_T0_PT6_S3_lS6_S3_lS4_PT7_S3_li
                                        ; -- End function
	.section	.AMDGPU.csdata,"",@progbits
; Kernel info:
; codeLenInByte = 1880
; NumSgprs: 34
; NumVgprs: 48
; ScratchSize: 0
; MemoryBound: 0
; FloatMode: 240
; IeeeMode: 1
; LDSByteSize: 8192 bytes/workgroup (compile time only)
; SGPRBlocks: 4
; VGPRBlocks: 5
; NumSGPRsForWavesPerEU: 34
; NumVGPRsForWavesPerEU: 48
; Occupancy: 16
; WaveLimiterHint : 0
; COMPUTE_PGM_RSRC2:SCRATCH_EN: 0
; COMPUTE_PGM_RSRC2:USER_SGPR: 13
; COMPUTE_PGM_RSRC2:TRAP_HANDLER: 0
; COMPUTE_PGM_RSRC2:TGID_X_EN: 1
; COMPUTE_PGM_RSRC2:TGID_Y_EN: 1
; COMPUTE_PGM_RSRC2:TGID_Z_EN: 1
; COMPUTE_PGM_RSRC2:TIDIG_COMP_CNT: 1
	.section	.text._ZL32rocblas_syrkx_herkx_small_kernelIl19rocblas_complex_numIdELi16ELb1ELb1ELc84ELc76EKS1_S1_EviT_T0_PT6_S3_lS6_S3_lS4_PT7_S3_li,"axG",@progbits,_ZL32rocblas_syrkx_herkx_small_kernelIl19rocblas_complex_numIdELi16ELb1ELb1ELc84ELc76EKS1_S1_EviT_T0_PT6_S3_lS6_S3_lS4_PT7_S3_li,comdat
	.globl	_ZL32rocblas_syrkx_herkx_small_kernelIl19rocblas_complex_numIdELi16ELb1ELb1ELc84ELc76EKS1_S1_EviT_T0_PT6_S3_lS6_S3_lS4_PT7_S3_li ; -- Begin function _ZL32rocblas_syrkx_herkx_small_kernelIl19rocblas_complex_numIdELi16ELb1ELb1ELc84ELc76EKS1_S1_EviT_T0_PT6_S3_lS6_S3_lS4_PT7_S3_li
	.p2align	8
	.type	_ZL32rocblas_syrkx_herkx_small_kernelIl19rocblas_complex_numIdELi16ELb1ELb1ELc84ELc76EKS1_S1_EviT_T0_PT6_S3_lS6_S3_lS4_PT7_S3_li,@function
_ZL32rocblas_syrkx_herkx_small_kernelIl19rocblas_complex_numIdELi16ELb1ELb1ELc84ELc76EKS1_S1_EviT_T0_PT6_S3_lS6_S3_lS4_PT7_S3_li: ; @_ZL32rocblas_syrkx_herkx_small_kernelIl19rocblas_complex_numIdELi16ELb1ELb1ELc84ELc76EKS1_S1_EviT_T0_PT6_S3_lS6_S3_lS4_PT7_S3_li
; %bb.0:
	s_clause 0x1
	s_load_b512 s[16:31], s[0:1], 0x8
	s_load_b32 s6, s[0:1], 0x0
	v_and_b32_e32 v16, 0x3ff, v0
	v_bfe_u32 v17, v0, 10, 10
	v_mov_b32_e32 v10, 0
	v_mov_b32_e32 v11, 0
	s_delay_alu instid0(VALU_DEP_4) | instskip(NEXT) | instid1(VALU_DEP_4)
	v_lshl_add_u32 v4, s13, 4, v16
	v_lshl_add_u32 v14, s14, 4, v17
	s_delay_alu instid0(VALU_DEP_3) | instskip(NEXT) | instid1(VALU_DEP_3)
	v_dual_mov_b32 v13, v11 :: v_dual_mov_b32 v12, v10
	v_ashrrev_i32_e32 v5, 31, v4
	s_delay_alu instid0(VALU_DEP_3) | instskip(SKIP_3) | instid1(VALU_DEP_2)
	v_ashrrev_i32_e32 v15, 31, v14
	s_waitcnt lgkmcnt(0)
	v_cmp_lt_i64_e64 s3, s[16:17], 1
	v_cmp_gt_i32_e64 s2, s6, v4
	s_and_b32 vcc_lo, exec_lo, s3
	s_cbranch_vccnz .LBB1359_11
; %bb.1:
	s_load_b64 s[4:5], s[0:1], 0x48
	v_mul_lo_u32 v8, s31, v14
	v_mul_lo_u32 v9, s30, v15
	v_mad_u64_u32 v[1:2], null, s30, v14, 0
	v_mul_lo_u32 v10, s25, v4
	v_mul_lo_u32 v11, s24, v5
	v_mad_u64_u32 v[6:7], null, s24, v4, 0
	v_dual_mov_b32 v0, 0 :: v_dual_lshlrev_b32 v3, 8, v17
	v_add3_u32 v2, v2, v9, v8
	s_mul_i32 s3, s27, s15
	v_lshlrev_b32_e32 v18, 4, v16
	s_mul_i32 s8, s26, s15
	s_delay_alu instid0(VALU_DEP_4)
	v_add3_u32 v7, v7, v11, v10
	v_lshlrev_b64 v[1:2], 4, v[1:2]
	v_dual_mov_b32 v10, 0 :: v_dual_add_nc_u32 v19, 0x1000, v3
	v_mov_b32_e32 v11, 0
	s_waitcnt lgkmcnt(0)
	s_mul_i32 s5, s5, s15
	s_mul_hi_u32 s7, s4, s15
	s_mul_i32 s4, s4, s15
	s_add_i32 s5, s7, s5
	s_mul_hi_u32 s7, s26, s15
	s_lshl_b64 s[4:5], s[4:5], 4
	v_lshlrev_b64 v[6:7], 4, v[6:7]
	s_add_i32 s9, s7, s3
	v_add_co_u32 v1, s3, v1, s4
	s_delay_alu instid0(VALU_DEP_1) | instskip(SKIP_3) | instid1(VALU_DEP_1)
	v_add_co_ci_u32_e64 v2, s3, s5, v2, s3
	s_lshl_b64 s[4:5], s[8:9], 4
	v_dual_mov_b32 v13, v11 :: v_dual_add_nc_u32 v20, v18, v3
	v_add_co_u32 v3, s3, v6, s4
	v_add_co_ci_u32_e64 v6, s3, s5, v7, s3
	v_lshlrev_b32_e32 v7, 4, v17
	v_add_co_u32 v1, s3, v1, v18
	s_delay_alu instid0(VALU_DEP_1) | instskip(NEXT) | instid1(VALU_DEP_3)
	v_add_co_ci_u32_e64 v2, s3, 0, v2, s3
	v_add_co_u32 v3, s3, v3, v7
	s_delay_alu instid0(VALU_DEP_1) | instskip(NEXT) | instid1(VALU_DEP_4)
	v_add_co_ci_u32_e64 v9, s3, 0, v6, s3
	v_add_co_u32 v6, s3, s28, v1
	s_delay_alu instid0(VALU_DEP_1)
	v_add_co_ci_u32_e64 v7, s3, s29, v2, s3
	v_cmp_gt_i32_e32 vcc_lo, s6, v14
	v_add_co_u32 v8, s3, s22, v3
	v_dual_mov_b32 v12, v10 :: v_dual_add_nc_u32 v21, v19, v18
	v_add_co_ci_u32_e64 v9, s3, s23, v9, s3
	s_mov_b64 s[4:5], 0
	s_xor_b32 s2, s2, -1
	s_xor_b32 s3, vcc_lo, -1
	s_branch .LBB1359_3
.LBB1359_2:                             ;   in Loop: Header=BB1359_3 Depth=1
	s_or_b32 exec_lo, exec_lo, s7
	s_waitcnt lgkmcnt(0)
	s_barrier
	buffer_gl0_inv
	ds_load_b128 v[22:25], v18
	ds_load_b128 v[26:29], v19
	ds_load_b128 v[30:33], v19 offset:16
	ds_load_b128 v[34:37], v18 offset:256
	s_add_u32 s4, s4, 16
	s_addc_u32 s5, s5, 0
	v_add_co_u32 v6, vcc_lo, 0x100, v6
	v_cmp_ge_i64_e64 s7, s[4:5], s[16:17]
	v_add_co_ci_u32_e32 v7, vcc_lo, 0, v7, vcc_lo
	v_add_co_u32 v8, vcc_lo, 0x100, v8
	v_add_co_ci_u32_e32 v9, vcc_lo, 0, v9, vcc_lo
	s_delay_alu instid0(VALU_DEP_4)
	s_and_b32 vcc_lo, exec_lo, s7
	s_waitcnt lgkmcnt(2)
	v_mul_f64 v[1:2], v[28:29], v[24:25]
	v_mul_f64 v[24:25], v[26:27], v[24:25]
	s_waitcnt lgkmcnt(0)
	v_mul_f64 v[44:45], v[32:33], v[36:37]
	v_mul_f64 v[46:47], v[30:31], v[36:37]
	s_delay_alu instid0(VALU_DEP_4) | instskip(NEXT) | instid1(VALU_DEP_4)
	v_fma_f64 v[1:2], v[26:27], v[22:23], -v[1:2]
	v_fma_f64 v[48:49], v[28:29], v[22:23], v[24:25]
	ds_load_b128 v[22:25], v18 offset:512
	ds_load_b128 v[26:29], v19 offset:32
	;; [unrolled: 1-line block ×4, first 2 shown]
	v_fma_f64 v[30:31], v[30:31], v[34:35], -v[44:45]
	v_fma_f64 v[32:33], v[32:33], v[34:35], v[46:47]
	s_waitcnt lgkmcnt(2)
	v_mul_f64 v[50:51], v[28:29], v[24:25]
	v_mul_f64 v[24:25], v[26:27], v[24:25]
	s_waitcnt lgkmcnt(0)
	v_mul_f64 v[34:35], v[38:39], v[42:43]
	v_mul_f64 v[42:43], v[36:37], v[42:43]
	v_add_f64 v[1:2], v[12:13], v[1:2]
	v_add_f64 v[10:11], v[10:11], v[48:49]
	v_fma_f64 v[44:45], v[26:27], v[22:23], -v[50:51]
	v_fma_f64 v[46:47], v[28:29], v[22:23], v[24:25]
	v_fma_f64 v[34:35], v[36:37], v[40:41], -v[34:35]
	v_fma_f64 v[36:37], v[38:39], v[40:41], v[42:43]
	v_add_f64 v[1:2], v[1:2], v[30:31]
	v_add_f64 v[48:49], v[10:11], v[32:33]
	ds_load_b128 v[10:13], v18 offset:1024
	ds_load_b128 v[22:25], v19 offset:64
	;; [unrolled: 1-line block ×4, first 2 shown]
	s_waitcnt lgkmcnt(2)
	v_mul_f64 v[50:51], v[24:25], v[12:13]
	v_mul_f64 v[12:13], v[22:23], v[12:13]
	s_waitcnt lgkmcnt(0)
	v_mul_f64 v[40:41], v[28:29], v[32:33]
	v_mul_f64 v[42:43], v[26:27], v[32:33]
	v_add_f64 v[1:2], v[1:2], v[44:45]
	v_add_f64 v[38:39], v[48:49], v[46:47]
	v_fma_f64 v[44:45], v[22:23], v[10:11], -v[50:51]
	v_fma_f64 v[46:47], v[24:25], v[10:11], v[12:13]
	v_fma_f64 v[26:27], v[26:27], v[30:31], -v[40:41]
	v_fma_f64 v[28:29], v[28:29], v[30:31], v[42:43]
	v_add_f64 v[1:2], v[1:2], v[34:35]
	v_add_f64 v[48:49], v[38:39], v[36:37]
	ds_load_b128 v[10:13], v18 offset:1536
	ds_load_b128 v[22:25], v19 offset:96
	ds_load_b128 v[32:35], v19 offset:112
	ds_load_b128 v[36:39], v18 offset:1792
	s_waitcnt lgkmcnt(2)
	v_mul_f64 v[50:51], v[24:25], v[12:13]
	v_mul_f64 v[12:13], v[22:23], v[12:13]
	s_waitcnt lgkmcnt(0)
	v_mul_f64 v[42:43], v[34:35], v[38:39]
	v_add_f64 v[1:2], v[1:2], v[44:45]
	v_add_f64 v[30:31], v[48:49], v[46:47]
	v_mul_f64 v[44:45], v[32:33], v[38:39]
	v_fma_f64 v[46:47], v[22:23], v[10:11], -v[50:51]
	v_fma_f64 v[48:49], v[24:25], v[10:11], v[12:13]
	v_fma_f64 v[32:33], v[32:33], v[36:37], -v[42:43]
	v_add_f64 v[1:2], v[1:2], v[26:27]
	v_add_f64 v[30:31], v[30:31], v[28:29]
	ds_load_b128 v[10:13], v18 offset:2048
	ds_load_b128 v[22:25], v19 offset:128
	;; [unrolled: 1-line block ×4, first 2 shown]
	v_fma_f64 v[34:35], v[34:35], v[36:37], v[44:45]
	s_waitcnt lgkmcnt(2)
	v_mul_f64 v[50:51], v[24:25], v[12:13]
	v_mul_f64 v[12:13], v[22:23], v[12:13]
	s_waitcnt lgkmcnt(0)
	v_mul_f64 v[42:43], v[28:29], v[40:41]
	v_mul_f64 v[40:41], v[26:27], v[40:41]
	v_add_f64 v[1:2], v[1:2], v[46:47]
	v_add_f64 v[30:31], v[30:31], v[48:49]
	v_fma_f64 v[44:45], v[22:23], v[10:11], -v[50:51]
	v_fma_f64 v[46:47], v[24:25], v[10:11], v[12:13]
	v_fma_f64 v[26:27], v[26:27], v[38:39], -v[42:43]
	v_fma_f64 v[28:29], v[28:29], v[38:39], v[40:41]
	v_add_f64 v[1:2], v[1:2], v[32:33]
	v_add_f64 v[48:49], v[30:31], v[34:35]
	ds_load_b128 v[10:13], v18 offset:2560
	ds_load_b128 v[22:25], v19 offset:160
	;; [unrolled: 1-line block ×4, first 2 shown]
	s_waitcnt lgkmcnt(2)
	v_mul_f64 v[50:51], v[24:25], v[12:13]
	v_mul_f64 v[12:13], v[22:23], v[12:13]
	s_waitcnt lgkmcnt(0)
	v_mul_f64 v[40:41], v[32:33], v[36:37]
	v_mul_f64 v[42:43], v[30:31], v[36:37]
	v_add_f64 v[1:2], v[1:2], v[44:45]
	v_add_f64 v[38:39], v[48:49], v[46:47]
	v_fma_f64 v[44:45], v[22:23], v[10:11], -v[50:51]
	v_fma_f64 v[46:47], v[24:25], v[10:11], v[12:13]
	v_fma_f64 v[30:31], v[30:31], v[34:35], -v[40:41]
	v_fma_f64 v[32:33], v[32:33], v[34:35], v[42:43]
	v_add_f64 v[1:2], v[1:2], v[26:27]
	v_add_f64 v[48:49], v[38:39], v[28:29]
	ds_load_b128 v[10:13], v18 offset:3072
	ds_load_b128 v[22:25], v19 offset:192
	;; [unrolled: 1-line block ×4, first 2 shown]
	s_waitcnt lgkmcnt(2)
	v_mul_f64 v[50:51], v[24:25], v[12:13]
	v_mul_f64 v[12:13], v[22:23], v[12:13]
	s_waitcnt lgkmcnt(0)
	v_mul_f64 v[42:43], v[28:29], v[38:39]
	v_add_f64 v[1:2], v[1:2], v[44:45]
	v_add_f64 v[34:35], v[48:49], v[46:47]
	v_mul_f64 v[44:45], v[26:27], v[38:39]
	v_fma_f64 v[46:47], v[22:23], v[10:11], -v[50:51]
	v_fma_f64 v[48:49], v[24:25], v[10:11], v[12:13]
	v_fma_f64 v[26:27], v[26:27], v[36:37], -v[42:43]
	v_add_f64 v[1:2], v[1:2], v[30:31]
	v_add_f64 v[34:35], v[34:35], v[32:33]
	ds_load_b128 v[10:13], v18 offset:3584
	ds_load_b128 v[22:25], v19 offset:224
	;; [unrolled: 1-line block ×4, first 2 shown]
	v_fma_f64 v[28:29], v[28:29], v[36:37], v[44:45]
	s_waitcnt lgkmcnt(0)
	s_barrier
	buffer_gl0_inv
	v_mul_f64 v[50:51], v[24:25], v[12:13]
	v_mul_f64 v[12:13], v[22:23], v[12:13]
	;; [unrolled: 1-line block ×4, first 2 shown]
	v_add_f64 v[1:2], v[1:2], v[46:47]
	v_add_f64 v[34:35], v[34:35], v[48:49]
	v_fma_f64 v[22:23], v[22:23], v[10:11], -v[50:51]
	v_fma_f64 v[10:11], v[24:25], v[10:11], v[12:13]
	v_fma_f64 v[24:25], v[30:31], v[38:39], -v[36:37]
	v_add_f64 v[1:2], v[1:2], v[26:27]
	v_add_f64 v[12:13], v[34:35], v[28:29]
	v_fma_f64 v[26:27], v[32:33], v[38:39], v[40:41]
	s_delay_alu instid0(VALU_DEP_3) | instskip(NEXT) | instid1(VALU_DEP_3)
	v_add_f64 v[1:2], v[1:2], v[22:23]
	v_add_f64 v[10:11], v[12:13], v[10:11]
	s_delay_alu instid0(VALU_DEP_2) | instskip(NEXT) | instid1(VALU_DEP_2)
	v_add_f64 v[12:13], v[1:2], v[24:25]
	v_add_f64 v[10:11], v[10:11], v[26:27]
	s_cbranch_vccnz .LBB1359_11
.LBB1359_3:                             ; =>This Inner Loop Header: Depth=1
	v_add_co_u32 v1, s7, v17, s4
	s_delay_alu instid0(VALU_DEP_1) | instskip(NEXT) | instid1(VALU_DEP_1)
	v_add_co_ci_u32_e64 v2, null, 0, s5, s7
	v_cmp_le_i64_e32 vcc_lo, s[16:17], v[1:2]
	s_or_b32 s7, s2, vcc_lo
	s_delay_alu instid0(SALU_CYCLE_1) | instskip(NEXT) | instid1(SALU_CYCLE_1)
	s_and_saveexec_b32 s8, s7
	s_xor_b32 s7, exec_lo, s8
	s_cbranch_execz .LBB1359_5
; %bb.4:                                ;   in Loop: Header=BB1359_3 Depth=1
	v_mov_b32_e32 v1, v0
	v_mov_b32_e32 v2, v0
	;; [unrolled: 1-line block ×3, first 2 shown]
	ds_store_b128 v20, v[0:3]
.LBB1359_5:                             ;   in Loop: Header=BB1359_3 Depth=1
	s_and_not1_saveexec_b32 s7, s7
	s_cbranch_execz .LBB1359_7
; %bb.6:                                ;   in Loop: Header=BB1359_3 Depth=1
	global_load_b128 v[22:25], v[8:9], off
	s_waitcnt vmcnt(0)
	ds_store_2addr_b64 v20, v[22:23], v[24:25] offset1:1
.LBB1359_7:                             ;   in Loop: Header=BB1359_3 Depth=1
	s_or_b32 exec_lo, exec_lo, s7
	v_add_co_u32 v1, s7, v16, s4
	s_delay_alu instid0(VALU_DEP_1) | instskip(NEXT) | instid1(VALU_DEP_1)
	v_add_co_ci_u32_e64 v2, null, 0, s5, s7
	v_cmp_le_i64_e32 vcc_lo, s[16:17], v[1:2]
	s_or_b32 s7, s3, vcc_lo
	s_delay_alu instid0(SALU_CYCLE_1) | instskip(NEXT) | instid1(SALU_CYCLE_1)
	s_and_saveexec_b32 s8, s7
	s_xor_b32 s7, exec_lo, s8
	s_cbranch_execz .LBB1359_9
; %bb.8:                                ;   in Loop: Header=BB1359_3 Depth=1
	v_mov_b32_e32 v1, v0
	v_mov_b32_e32 v2, v0
	;; [unrolled: 1-line block ×3, first 2 shown]
	ds_store_b128 v21, v[0:3]
.LBB1359_9:                             ;   in Loop: Header=BB1359_3 Depth=1
	s_and_not1_saveexec_b32 s7, s7
	s_cbranch_execz .LBB1359_2
; %bb.10:                               ;   in Loop: Header=BB1359_3 Depth=1
	global_load_b128 v[22:25], v[6:7], off
	s_waitcnt vmcnt(0)
	ds_store_2addr_b64 v21, v[22:23], v[24:25] offset1:1
	s_branch .LBB1359_2
.LBB1359_11:
	v_cmp_le_i32_e32 vcc_lo, v14, v4
	v_cmp_gt_i32_e64 s2, s6, v4
	s_delay_alu instid0(VALU_DEP_1) | instskip(NEXT) | instid1(SALU_CYCLE_1)
	s_and_b32 s2, vcc_lo, s2
	s_and_saveexec_b32 s3, s2
	s_cbranch_execz .LBB1359_13
; %bb.12:
	s_delay_alu instid0(VALU_DEP_3)
	v_mul_f64 v[0:1], s[18:19], v[10:11]
	v_mul_f64 v[2:3], s[20:21], v[10:11]
	s_clause 0x1
	s_load_b128 s[4:7], s[0:1], 0x60
	s_load_b64 s[0:1], s[0:1], 0x70
	s_waitcnt lgkmcnt(0)
	v_mul_lo_u32 v8, v14, s7
	v_mul_lo_u32 v9, v15, s6
	s_mul_i32 s1, s15, s1
	s_mul_hi_u32 s2, s15, s0
	s_mul_i32 s0, s15, s0
	s_add_i32 s1, s2, s1
	s_delay_alu instid0(SALU_CYCLE_1) | instskip(NEXT) | instid1(SALU_CYCLE_1)
	s_lshl_b64 s[0:1], s[0:1], 4
	s_add_u32 s0, s4, s0
	s_addc_u32 s1, s5, s1
	s_delay_alu instid0(VALU_DEP_4) | instskip(NEXT) | instid1(VALU_DEP_4)
	v_fma_f64 v[6:7], s[20:21], v[12:13], v[0:1]
	v_fma_f64 v[0:1], s[18:19], v[12:13], -v[2:3]
	v_mad_u64_u32 v[2:3], null, v14, s6, 0
	s_delay_alu instid0(VALU_DEP_1) | instskip(SKIP_1) | instid1(VALU_DEP_2)
	v_add3_u32 v3, v3, v8, v9
	v_lshlrev_b64 v[8:9], 4, v[4:5]
	v_lshlrev_b64 v[2:3], 4, v[2:3]
	s_delay_alu instid0(VALU_DEP_1) | instskip(NEXT) | instid1(VALU_DEP_2)
	v_add_co_u32 v2, vcc_lo, s0, v2
	v_add_co_ci_u32_e32 v3, vcc_lo, s1, v3, vcc_lo
	v_cmp_ne_u32_e32 vcc_lo, v4, v14
	s_delay_alu instid0(VALU_DEP_3) | instskip(NEXT) | instid1(VALU_DEP_1)
	v_add_co_u32 v4, s0, v2, v8
	v_add_co_ci_u32_e64 v5, s0, v3, v9, s0
	v_dual_cndmask_b32 v3, 0, v7 :: v_dual_cndmask_b32 v2, 0, v6
	global_store_b128 v[4:5], v[0:3], off
.LBB1359_13:
	s_nop 0
	s_sendmsg sendmsg(MSG_DEALLOC_VGPRS)
	s_endpgm
	.section	.rodata,"a",@progbits
	.p2align	6, 0x0
	.amdhsa_kernel _ZL32rocblas_syrkx_herkx_small_kernelIl19rocblas_complex_numIdELi16ELb1ELb1ELc84ELc76EKS1_S1_EviT_T0_PT6_S3_lS6_S3_lS4_PT7_S3_li
		.amdhsa_group_segment_fixed_size 8192
		.amdhsa_private_segment_fixed_size 0
		.amdhsa_kernarg_size 124
		.amdhsa_user_sgpr_count 13
		.amdhsa_user_sgpr_dispatch_ptr 0
		.amdhsa_user_sgpr_queue_ptr 0
		.amdhsa_user_sgpr_kernarg_segment_ptr 1
		.amdhsa_user_sgpr_dispatch_id 0
		.amdhsa_user_sgpr_private_segment_size 0
		.amdhsa_wavefront_size32 1
		.amdhsa_uses_dynamic_stack 0
		.amdhsa_enable_private_segment 0
		.amdhsa_system_sgpr_workgroup_id_x 1
		.amdhsa_system_sgpr_workgroup_id_y 1
		.amdhsa_system_sgpr_workgroup_id_z 1
		.amdhsa_system_sgpr_workgroup_info 0
		.amdhsa_system_vgpr_workitem_id 1
		.amdhsa_next_free_vgpr 52
		.amdhsa_next_free_sgpr 32
		.amdhsa_reserve_vcc 1
		.amdhsa_float_round_mode_32 0
		.amdhsa_float_round_mode_16_64 0
		.amdhsa_float_denorm_mode_32 3
		.amdhsa_float_denorm_mode_16_64 3
		.amdhsa_dx10_clamp 1
		.amdhsa_ieee_mode 1
		.amdhsa_fp16_overflow 0
		.amdhsa_workgroup_processor_mode 1
		.amdhsa_memory_ordered 1
		.amdhsa_forward_progress 0
		.amdhsa_shared_vgpr_count 0
		.amdhsa_exception_fp_ieee_invalid_op 0
		.amdhsa_exception_fp_denorm_src 0
		.amdhsa_exception_fp_ieee_div_zero 0
		.amdhsa_exception_fp_ieee_overflow 0
		.amdhsa_exception_fp_ieee_underflow 0
		.amdhsa_exception_fp_ieee_inexact 0
		.amdhsa_exception_int_div_zero 0
	.end_amdhsa_kernel
	.section	.text._ZL32rocblas_syrkx_herkx_small_kernelIl19rocblas_complex_numIdELi16ELb1ELb1ELc84ELc76EKS1_S1_EviT_T0_PT6_S3_lS6_S3_lS4_PT7_S3_li,"axG",@progbits,_ZL32rocblas_syrkx_herkx_small_kernelIl19rocblas_complex_numIdELi16ELb1ELb1ELc84ELc76EKS1_S1_EviT_T0_PT6_S3_lS6_S3_lS4_PT7_S3_li,comdat
.Lfunc_end1359:
	.size	_ZL32rocblas_syrkx_herkx_small_kernelIl19rocblas_complex_numIdELi16ELb1ELb1ELc84ELc76EKS1_S1_EviT_T0_PT6_S3_lS6_S3_lS4_PT7_S3_li, .Lfunc_end1359-_ZL32rocblas_syrkx_herkx_small_kernelIl19rocblas_complex_numIdELi16ELb1ELb1ELc84ELc76EKS1_S1_EviT_T0_PT6_S3_lS6_S3_lS4_PT7_S3_li
                                        ; -- End function
	.section	.AMDGPU.csdata,"",@progbits
; Kernel info:
; codeLenInByte = 2056
; NumSgprs: 34
; NumVgprs: 52
; ScratchSize: 0
; MemoryBound: 0
; FloatMode: 240
; IeeeMode: 1
; LDSByteSize: 8192 bytes/workgroup (compile time only)
; SGPRBlocks: 4
; VGPRBlocks: 6
; NumSGPRsForWavesPerEU: 34
; NumVGPRsForWavesPerEU: 52
; Occupancy: 16
; WaveLimiterHint : 0
; COMPUTE_PGM_RSRC2:SCRATCH_EN: 0
; COMPUTE_PGM_RSRC2:USER_SGPR: 13
; COMPUTE_PGM_RSRC2:TRAP_HANDLER: 0
; COMPUTE_PGM_RSRC2:TGID_X_EN: 1
; COMPUTE_PGM_RSRC2:TGID_Y_EN: 1
; COMPUTE_PGM_RSRC2:TGID_Z_EN: 1
; COMPUTE_PGM_RSRC2:TIDIG_COMP_CNT: 1
	.section	.text._ZL32rocblas_syrkx_herkx_small_kernelIl19rocblas_complex_numIdELi16ELb1ELb1ELc67ELc76EKS1_S1_EviT_T0_PT6_S3_lS6_S3_lS4_PT7_S3_li,"axG",@progbits,_ZL32rocblas_syrkx_herkx_small_kernelIl19rocblas_complex_numIdELi16ELb1ELb1ELc67ELc76EKS1_S1_EviT_T0_PT6_S3_lS6_S3_lS4_PT7_S3_li,comdat
	.globl	_ZL32rocblas_syrkx_herkx_small_kernelIl19rocblas_complex_numIdELi16ELb1ELb1ELc67ELc76EKS1_S1_EviT_T0_PT6_S3_lS6_S3_lS4_PT7_S3_li ; -- Begin function _ZL32rocblas_syrkx_herkx_small_kernelIl19rocblas_complex_numIdELi16ELb1ELb1ELc67ELc76EKS1_S1_EviT_T0_PT6_S3_lS6_S3_lS4_PT7_S3_li
	.p2align	8
	.type	_ZL32rocblas_syrkx_herkx_small_kernelIl19rocblas_complex_numIdELi16ELb1ELb1ELc67ELc76EKS1_S1_EviT_T0_PT6_S3_lS6_S3_lS4_PT7_S3_li,@function
_ZL32rocblas_syrkx_herkx_small_kernelIl19rocblas_complex_numIdELi16ELb1ELb1ELc67ELc76EKS1_S1_EviT_T0_PT6_S3_lS6_S3_lS4_PT7_S3_li: ; @_ZL32rocblas_syrkx_herkx_small_kernelIl19rocblas_complex_numIdELi16ELb1ELb1ELc67ELc76EKS1_S1_EviT_T0_PT6_S3_lS6_S3_lS4_PT7_S3_li
; %bb.0:
	s_clause 0x1
	s_load_b512 s[16:31], s[0:1], 0x8
	s_load_b32 s6, s[0:1], 0x0
	v_and_b32_e32 v19, 0x3ff, v0
	v_bfe_u32 v20, v0, 10, 10
	v_mov_b32_e32 v13, 0
	v_mov_b32_e32 v14, 0
	s_delay_alu instid0(VALU_DEP_4) | instskip(NEXT) | instid1(VALU_DEP_4)
	v_lshl_add_u32 v5, s13, 4, v19
	v_lshl_add_u32 v17, s14, 4, v20
	s_delay_alu instid0(VALU_DEP_3) | instskip(NEXT) | instid1(VALU_DEP_3)
	v_dual_mov_b32 v16, v14 :: v_dual_mov_b32 v15, v13
	v_ashrrev_i32_e32 v6, 31, v5
	s_delay_alu instid0(VALU_DEP_3) | instskip(SKIP_3) | instid1(VALU_DEP_2)
	v_ashrrev_i32_e32 v18, 31, v17
	s_waitcnt lgkmcnt(0)
	v_cmp_lt_i64_e64 s3, s[16:17], 1
	v_cmp_gt_i32_e64 s2, s6, v5
	s_and_b32 vcc_lo, exec_lo, s3
	s_cbranch_vccnz .LBB1360_9
; %bb.1:
	s_load_b64 s[4:5], s[0:1], 0x48
	v_mul_lo_u32 v10, s25, v5
	v_mul_lo_u32 v11, s24, v6
	v_mad_u64_u32 v[3:4], null, s24, v5, 0
	v_mul_lo_u32 v8, s31, v17
	v_mul_lo_u32 v9, s30, v18
	v_mad_u64_u32 v[1:2], null, s30, v17, 0
	s_mul_hi_u32 s7, s26, s15
	v_dual_mov_b32 v0, 0 :: v_dual_lshlrev_b32 v7, 8, v20
	v_add3_u32 v4, v4, v11, v10
	v_lshlrev_b32_e32 v21, 4, v19
	s_mul_i32 s8, s26, s15
	s_delay_alu instid0(VALU_DEP_4)
	v_add3_u32 v2, v2, v9, v8
	v_add_nc_u32_e32 v22, 0x1000, v7
	v_lshlrev_b64 v[3:4], 4, v[3:4]
	v_add_nc_u32_e32 v23, v21, v7
	v_lshlrev_b32_e32 v7, 4, v20
	s_waitcnt lgkmcnt(0)
	s_mul_i32 s3, s5, s15
	s_mul_hi_u32 s5, s4, s15
	v_lshlrev_b64 v[1:2], 4, v[1:2]
	s_add_i32 s5, s5, s3
	s_mul_i32 s3, s27, s15
	s_mul_i32 s4, s4, s15
	s_add_i32 s9, s7, s3
	s_lshl_b64 s[4:5], s[4:5], 4
	s_lshl_b64 s[8:9], s[8:9], 4
	v_cmp_gt_i32_e32 vcc_lo, s6, v17
	v_add_co_u32 v3, s3, v3, s8
	s_delay_alu instid0(VALU_DEP_1) | instskip(SKIP_1) | instid1(VALU_DEP_1)
	v_add_co_ci_u32_e64 v4, s3, s9, v4, s3
	v_add_co_u32 v1, s3, v1, s4
	v_add_co_ci_u32_e64 v2, s3, s5, v2, s3
	s_delay_alu instid0(VALU_DEP_4) | instskip(NEXT) | instid1(VALU_DEP_1)
	v_add_co_u32 v3, s3, v3, v7
	v_add_co_ci_u32_e64 v4, s3, 0, v4, s3
	v_mov_b32_e32 v7, 0
	v_mov_b32_e32 v8, 0
	v_add_co_u32 v1, s3, v1, v21
	s_delay_alu instid0(VALU_DEP_1) | instskip(NEXT) | instid1(VALU_DEP_3)
	v_add_co_ci_u32_e64 v2, s3, 0, v2, s3
	v_mov_b32_e32 v14, v8
	v_add_co_u32 v3, s3, v3, s22
	s_delay_alu instid0(VALU_DEP_1) | instskip(SKIP_1) | instid1(VALU_DEP_1)
	v_add_co_ci_u32_e64 v4, s3, s23, v4, s3
	v_add_co_u32 v9, s3, s28, v1
	v_add_co_ci_u32_e64 v10, s3, s29, v2, s3
	s_delay_alu instid0(VALU_DEP_4)
	v_add_co_u32 v11, s3, v3, 8
	v_dual_mov_b32 v13, v7 :: v_dual_add_nc_u32 v24, v22, v21
	v_add_co_ci_u32_e64 v12, s3, 0, v4, s3
	v_dual_mov_b32 v16, v8 :: v_dual_mov_b32 v15, v7
	s_mov_b64 s[4:5], 0
	s_xor_b32 s3, vcc_lo, -1
	s_branch .LBB1360_3
.LBB1360_2:                             ;   in Loop: Header=BB1360_3 Depth=1
	s_or_b32 exec_lo, exec_lo, s7
	s_waitcnt lgkmcnt(0)
	s_barrier
	buffer_gl0_inv
	ds_load_b128 v[1:4], v21
	ds_load_b128 v[25:28], v22
	ds_load_b128 v[29:32], v22 offset:16
	ds_load_b128 v[33:36], v21 offset:256
	s_add_u32 s4, s4, 16
	s_addc_u32 s5, s5, 0
	v_add_co_u32 v9, vcc_lo, 0x100, v9
	v_cmp_ge_i64_e64 s7, s[4:5], s[16:17]
	v_add_co_ci_u32_e32 v10, vcc_lo, 0, v10, vcc_lo
	v_add_co_u32 v11, vcc_lo, 0x100, v11
	v_add_co_ci_u32_e32 v12, vcc_lo, 0, v12, vcc_lo
	s_delay_alu instid0(VALU_DEP_4)
	s_and_b32 vcc_lo, exec_lo, s7
	s_waitcnt lgkmcnt(2)
	v_mul_f64 v[37:38], v[27:28], v[3:4]
	v_mul_f64 v[3:4], v[25:26], v[3:4]
	s_waitcnt lgkmcnt(0)
	v_mul_f64 v[43:44], v[31:32], v[35:36]
	v_mul_f64 v[45:46], v[29:30], v[35:36]
	s_delay_alu instid0(VALU_DEP_4) | instskip(NEXT) | instid1(VALU_DEP_4)
	v_fma_f64 v[47:48], v[25:26], v[1:2], -v[37:38]
	v_fma_f64 v[49:50], v[27:28], v[1:2], v[3:4]
	ds_load_b128 v[1:4], v21 offset:512
	ds_load_b128 v[25:28], v22 offset:32
	;; [unrolled: 1-line block ×4, first 2 shown]
	v_fma_f64 v[29:30], v[29:30], v[33:34], -v[43:44]
	v_fma_f64 v[31:32], v[31:32], v[33:34], v[45:46]
	s_waitcnt lgkmcnt(2)
	v_mul_f64 v[51:52], v[27:28], v[3:4]
	v_mul_f64 v[3:4], v[25:26], v[3:4]
	s_waitcnt lgkmcnt(0)
	v_mul_f64 v[33:34], v[37:38], v[41:42]
	v_mul_f64 v[41:42], v[35:36], v[41:42]
	v_add_f64 v[15:16], v[15:16], v[47:48]
	v_add_f64 v[13:14], v[13:14], v[49:50]
	v_fma_f64 v[43:44], v[25:26], v[1:2], -v[51:52]
	v_fma_f64 v[45:46], v[27:28], v[1:2], v[3:4]
	v_fma_f64 v[33:34], v[35:36], v[39:40], -v[33:34]
	v_fma_f64 v[35:36], v[37:38], v[39:40], v[41:42]
	v_add_f64 v[47:48], v[15:16], v[29:30]
	v_add_f64 v[49:50], v[13:14], v[31:32]
	ds_load_b128 v[1:4], v21 offset:1024
	ds_load_b128 v[13:16], v22 offset:64
	;; [unrolled: 1-line block ×4, first 2 shown]
	s_waitcnt lgkmcnt(2)
	v_mul_f64 v[51:52], v[15:16], v[3:4]
	v_mul_f64 v[3:4], v[13:14], v[3:4]
	s_waitcnt lgkmcnt(0)
	v_mul_f64 v[41:42], v[27:28], v[31:32]
	v_add_f64 v[37:38], v[47:48], v[43:44]
	v_add_f64 v[39:40], v[49:50], v[45:46]
	v_mul_f64 v[43:44], v[25:26], v[31:32]
	v_fma_f64 v[45:46], v[13:14], v[1:2], -v[51:52]
	v_fma_f64 v[47:48], v[15:16], v[1:2], v[3:4]
	v_fma_f64 v[25:26], v[25:26], v[29:30], -v[41:42]
	v_add_f64 v[49:50], v[37:38], v[33:34]
	v_add_f64 v[39:40], v[39:40], v[35:36]
	ds_load_b128 v[1:4], v21 offset:1536
	ds_load_b128 v[13:16], v22 offset:96
	;; [unrolled: 1-line block ×4, first 2 shown]
	v_fma_f64 v[27:28], v[27:28], v[29:30], v[43:44]
	s_waitcnt lgkmcnt(2)
	v_mul_f64 v[51:52], v[15:16], v[3:4]
	v_mul_f64 v[3:4], v[13:14], v[3:4]
	s_waitcnt lgkmcnt(0)
	v_mul_f64 v[41:42], v[33:34], v[37:38]
	v_mul_f64 v[43:44], v[31:32], v[37:38]
	v_add_f64 v[29:30], v[49:50], v[45:46]
	v_add_f64 v[39:40], v[39:40], v[47:48]
	v_fma_f64 v[45:46], v[13:14], v[1:2], -v[51:52]
	v_fma_f64 v[47:48], v[15:16], v[1:2], v[3:4]
	v_fma_f64 v[31:32], v[31:32], v[35:36], -v[41:42]
	v_fma_f64 v[33:34], v[33:34], v[35:36], v[43:44]
	v_add_f64 v[29:30], v[29:30], v[25:26]
	v_add_f64 v[49:50], v[39:40], v[27:28]
	ds_load_b128 v[1:4], v21 offset:2048
	ds_load_b128 v[13:16], v22 offset:128
	;; [unrolled: 1-line block ×4, first 2 shown]
	s_waitcnt lgkmcnt(2)
	v_mul_f64 v[51:52], v[15:16], v[3:4]
	v_mul_f64 v[3:4], v[13:14], v[3:4]
	s_waitcnt lgkmcnt(0)
	v_mul_f64 v[41:42], v[27:28], v[39:40]
	v_mul_f64 v[39:40], v[25:26], v[39:40]
	v_add_f64 v[29:30], v[29:30], v[45:46]
	v_add_f64 v[35:36], v[49:50], v[47:48]
	v_fma_f64 v[43:44], v[13:14], v[1:2], -v[51:52]
	v_fma_f64 v[45:46], v[15:16], v[1:2], v[3:4]
	v_fma_f64 v[25:26], v[25:26], v[37:38], -v[41:42]
	v_fma_f64 v[27:28], v[27:28], v[37:38], v[39:40]
	v_add_f64 v[47:48], v[29:30], v[31:32]
	v_add_f64 v[49:50], v[35:36], v[33:34]
	ds_load_b128 v[1:4], v21 offset:2560
	ds_load_b128 v[13:16], v22 offset:160
	ds_load_b128 v[29:32], v22 offset:176
	ds_load_b128 v[33:36], v21 offset:2816
	s_waitcnt lgkmcnt(2)
	v_mul_f64 v[51:52], v[15:16], v[3:4]
	v_mul_f64 v[3:4], v[13:14], v[3:4]
	s_waitcnt lgkmcnt(0)
	v_mul_f64 v[41:42], v[31:32], v[35:36]
	v_add_f64 v[37:38], v[47:48], v[43:44]
	v_add_f64 v[39:40], v[49:50], v[45:46]
	v_mul_f64 v[43:44], v[29:30], v[35:36]
	v_fma_f64 v[45:46], v[13:14], v[1:2], -v[51:52]
	v_fma_f64 v[47:48], v[15:16], v[1:2], v[3:4]
	v_fma_f64 v[29:30], v[29:30], v[33:34], -v[41:42]
	v_add_f64 v[49:50], v[37:38], v[25:26]
	v_add_f64 v[39:40], v[39:40], v[27:28]
	ds_load_b128 v[1:4], v21 offset:3072
	ds_load_b128 v[13:16], v22 offset:192
	;; [unrolled: 1-line block ×4, first 2 shown]
	v_fma_f64 v[31:32], v[31:32], v[33:34], v[43:44]
	s_waitcnt lgkmcnt(2)
	v_mul_f64 v[51:52], v[15:16], v[3:4]
	v_mul_f64 v[3:4], v[13:14], v[3:4]
	s_waitcnt lgkmcnt(0)
	v_mul_f64 v[41:42], v[27:28], v[37:38]
	v_mul_f64 v[43:44], v[25:26], v[37:38]
	v_add_f64 v[33:34], v[49:50], v[45:46]
	v_add_f64 v[39:40], v[39:40], v[47:48]
	v_fma_f64 v[45:46], v[13:14], v[1:2], -v[51:52]
	v_fma_f64 v[47:48], v[15:16], v[1:2], v[3:4]
	v_fma_f64 v[25:26], v[25:26], v[35:36], -v[41:42]
	v_fma_f64 v[27:28], v[27:28], v[35:36], v[43:44]
	v_add_f64 v[33:34], v[33:34], v[29:30]
	v_add_f64 v[49:50], v[39:40], v[31:32]
	ds_load_b128 v[1:4], v21 offset:3584
	ds_load_b128 v[13:16], v22 offset:224
	ds_load_b128 v[29:32], v22 offset:240
	ds_load_b128 v[37:40], v21 offset:3840
	s_waitcnt lgkmcnt(0)
	s_barrier
	buffer_gl0_inv
	v_mul_f64 v[51:52], v[15:16], v[3:4]
	v_mul_f64 v[3:4], v[13:14], v[3:4]
	;; [unrolled: 1-line block ×4, first 2 shown]
	v_add_f64 v[33:34], v[33:34], v[45:46]
	v_add_f64 v[35:36], v[49:50], v[47:48]
	v_fma_f64 v[13:14], v[13:14], v[1:2], -v[51:52]
	v_fma_f64 v[1:2], v[15:16], v[1:2], v[3:4]
	s_delay_alu instid0(VALU_DEP_4) | instskip(NEXT) | instid1(VALU_DEP_4)
	v_add_f64 v[3:4], v[33:34], v[25:26]
	v_add_f64 v[15:16], v[35:36], v[27:28]
	v_fma_f64 v[25:26], v[29:30], v[37:38], -v[41:42]
	v_fma_f64 v[27:28], v[31:32], v[37:38], v[39:40]
	s_delay_alu instid0(VALU_DEP_4) | instskip(NEXT) | instid1(VALU_DEP_4)
	v_add_f64 v[3:4], v[3:4], v[13:14]
	v_add_f64 v[1:2], v[15:16], v[1:2]
	s_delay_alu instid0(VALU_DEP_2) | instskip(NEXT) | instid1(VALU_DEP_2)
	v_add_f64 v[15:16], v[3:4], v[25:26]
	v_add_f64 v[13:14], v[1:2], v[27:28]
	s_cbranch_vccnz .LBB1360_9
.LBB1360_3:                             ; =>This Inner Loop Header: Depth=1
	v_add_co_u32 v1, s7, v20, s4
	s_delay_alu instid0(VALU_DEP_1) | instskip(SKIP_1) | instid1(VALU_DEP_2)
	v_add_co_ci_u32_e64 v2, null, 0, s5, s7
	v_dual_mov_b32 v3, v7 :: v_dual_mov_b32 v4, v8
	v_cmp_gt_i64_e32 vcc_lo, s[16:17], v[1:2]
	v_dual_mov_b32 v1, v7 :: v_dual_mov_b32 v2, v8
	s_and_b32 s8, s2, vcc_lo
	s_delay_alu instid0(SALU_CYCLE_1)
	s_and_saveexec_b32 s7, s8
	s_cbranch_execz .LBB1360_5
; %bb.4:                                ;   in Loop: Header=BB1360_3 Depth=1
	global_load_b128 v[1:4], v[11:12], off offset:-8
	s_waitcnt vmcnt(0)
	v_xor_b32_e32 v4, 0x80000000, v4
.LBB1360_5:                             ;   in Loop: Header=BB1360_3 Depth=1
	s_or_b32 exec_lo, exec_lo, s7
	v_add_co_u32 v25, s7, v19, s4
	s_delay_alu instid0(VALU_DEP_1) | instskip(SKIP_3) | instid1(SALU_CYCLE_1)
	v_add_co_ci_u32_e64 v26, null, 0, s5, s7
	ds_store_b128 v23, v[1:4]
	v_cmp_le_i64_e32 vcc_lo, s[16:17], v[25:26]
	s_or_b32 s7, s3, vcc_lo
	s_and_saveexec_b32 s8, s7
	s_delay_alu instid0(SALU_CYCLE_1)
	s_xor_b32 s7, exec_lo, s8
	s_cbranch_execz .LBB1360_7
; %bb.6:                                ;   in Loop: Header=BB1360_3 Depth=1
	v_mov_b32_e32 v1, v0
	v_mov_b32_e32 v2, v0
	;; [unrolled: 1-line block ×3, first 2 shown]
	ds_store_b128 v24, v[0:3]
.LBB1360_7:                             ;   in Loop: Header=BB1360_3 Depth=1
	s_and_not1_saveexec_b32 s7, s7
	s_cbranch_execz .LBB1360_2
; %bb.8:                                ;   in Loop: Header=BB1360_3 Depth=1
	global_load_b128 v[1:4], v[9:10], off
	s_waitcnt vmcnt(0)
	ds_store_2addr_b64 v24, v[1:2], v[3:4] offset1:1
	s_branch .LBB1360_2
.LBB1360_9:
	v_cmp_le_i32_e32 vcc_lo, v17, v5
	v_cmp_gt_i32_e64 s2, s6, v5
	s_delay_alu instid0(VALU_DEP_1) | instskip(NEXT) | instid1(SALU_CYCLE_1)
	s_and_b32 s2, vcc_lo, s2
	s_and_saveexec_b32 s3, s2
	s_cbranch_execz .LBB1360_11
; %bb.10:
	s_delay_alu instid0(VALU_DEP_3)
	v_mul_f64 v[0:1], s[18:19], v[13:14]
	v_mul_f64 v[2:3], s[20:21], v[13:14]
	s_clause 0x1
	s_load_b128 s[4:7], s[0:1], 0x60
	s_load_b64 s[0:1], s[0:1], 0x70
	s_waitcnt lgkmcnt(0)
	v_mul_lo_u32 v4, v17, s7
	v_mul_lo_u32 v9, v18, s6
	s_mul_i32 s1, s15, s1
	s_mul_hi_u32 s2, s15, s0
	s_mul_i32 s0, s15, s0
	s_add_i32 s1, s2, s1
	s_delay_alu instid0(SALU_CYCLE_1) | instskip(NEXT) | instid1(SALU_CYCLE_1)
	s_lshl_b64 s[0:1], s[0:1], 4
	s_add_u32 s0, s4, s0
	s_addc_u32 s1, s5, s1
	s_delay_alu instid0(VALU_DEP_4) | instskip(NEXT) | instid1(VALU_DEP_4)
	v_fma_f64 v[7:8], s[20:21], v[15:16], v[0:1]
	v_fma_f64 v[0:1], s[18:19], v[15:16], -v[2:3]
	v_mad_u64_u32 v[2:3], null, v17, s6, 0
	s_delay_alu instid0(VALU_DEP_1) | instskip(SKIP_1) | instid1(VALU_DEP_2)
	v_add3_u32 v3, v3, v4, v9
	v_lshlrev_b64 v[9:10], 4, v[5:6]
	v_lshlrev_b64 v[2:3], 4, v[2:3]
	s_delay_alu instid0(VALU_DEP_1) | instskip(NEXT) | instid1(VALU_DEP_2)
	v_add_co_u32 v2, vcc_lo, s0, v2
	v_add_co_ci_u32_e32 v3, vcc_lo, s1, v3, vcc_lo
	v_cmp_ne_u32_e32 vcc_lo, v5, v17
	s_delay_alu instid0(VALU_DEP_3) | instskip(NEXT) | instid1(VALU_DEP_1)
	v_add_co_u32 v4, s0, v2, v9
	v_add_co_ci_u32_e64 v5, s0, v3, v10, s0
	v_dual_cndmask_b32 v3, 0, v8 :: v_dual_cndmask_b32 v2, 0, v7
	global_store_b128 v[4:5], v[0:3], off
.LBB1360_11:
	s_nop 0
	s_sendmsg sendmsg(MSG_DEALLOC_VGPRS)
	s_endpgm
	.section	.rodata,"a",@progbits
	.p2align	6, 0x0
	.amdhsa_kernel _ZL32rocblas_syrkx_herkx_small_kernelIl19rocblas_complex_numIdELi16ELb1ELb1ELc67ELc76EKS1_S1_EviT_T0_PT6_S3_lS6_S3_lS4_PT7_S3_li
		.amdhsa_group_segment_fixed_size 8192
		.amdhsa_private_segment_fixed_size 0
		.amdhsa_kernarg_size 124
		.amdhsa_user_sgpr_count 13
		.amdhsa_user_sgpr_dispatch_ptr 0
		.amdhsa_user_sgpr_queue_ptr 0
		.amdhsa_user_sgpr_kernarg_segment_ptr 1
		.amdhsa_user_sgpr_dispatch_id 0
		.amdhsa_user_sgpr_private_segment_size 0
		.amdhsa_wavefront_size32 1
		.amdhsa_uses_dynamic_stack 0
		.amdhsa_enable_private_segment 0
		.amdhsa_system_sgpr_workgroup_id_x 1
		.amdhsa_system_sgpr_workgroup_id_y 1
		.amdhsa_system_sgpr_workgroup_id_z 1
		.amdhsa_system_sgpr_workgroup_info 0
		.amdhsa_system_vgpr_workitem_id 1
		.amdhsa_next_free_vgpr 53
		.amdhsa_next_free_sgpr 32
		.amdhsa_reserve_vcc 1
		.amdhsa_float_round_mode_32 0
		.amdhsa_float_round_mode_16_64 0
		.amdhsa_float_denorm_mode_32 3
		.amdhsa_float_denorm_mode_16_64 3
		.amdhsa_dx10_clamp 1
		.amdhsa_ieee_mode 1
		.amdhsa_fp16_overflow 0
		.amdhsa_workgroup_processor_mode 1
		.amdhsa_memory_ordered 1
		.amdhsa_forward_progress 0
		.amdhsa_shared_vgpr_count 0
		.amdhsa_exception_fp_ieee_invalid_op 0
		.amdhsa_exception_fp_denorm_src 0
		.amdhsa_exception_fp_ieee_div_zero 0
		.amdhsa_exception_fp_ieee_overflow 0
		.amdhsa_exception_fp_ieee_underflow 0
		.amdhsa_exception_fp_ieee_inexact 0
		.amdhsa_exception_int_div_zero 0
	.end_amdhsa_kernel
	.section	.text._ZL32rocblas_syrkx_herkx_small_kernelIl19rocblas_complex_numIdELi16ELb1ELb1ELc67ELc76EKS1_S1_EviT_T0_PT6_S3_lS6_S3_lS4_PT7_S3_li,"axG",@progbits,_ZL32rocblas_syrkx_herkx_small_kernelIl19rocblas_complex_numIdELi16ELb1ELb1ELc67ELc76EKS1_S1_EviT_T0_PT6_S3_lS6_S3_lS4_PT7_S3_li,comdat
.Lfunc_end1360:
	.size	_ZL32rocblas_syrkx_herkx_small_kernelIl19rocblas_complex_numIdELi16ELb1ELb1ELc67ELc76EKS1_S1_EviT_T0_PT6_S3_lS6_S3_lS4_PT7_S3_li, .Lfunc_end1360-_ZL32rocblas_syrkx_herkx_small_kernelIl19rocblas_complex_numIdELi16ELb1ELb1ELc67ELc76EKS1_S1_EviT_T0_PT6_S3_lS6_S3_lS4_PT7_S3_li
                                        ; -- End function
	.section	.AMDGPU.csdata,"",@progbits
; Kernel info:
; codeLenInByte = 2076
; NumSgprs: 34
; NumVgprs: 53
; ScratchSize: 0
; MemoryBound: 1
; FloatMode: 240
; IeeeMode: 1
; LDSByteSize: 8192 bytes/workgroup (compile time only)
; SGPRBlocks: 4
; VGPRBlocks: 6
; NumSGPRsForWavesPerEU: 34
; NumVGPRsForWavesPerEU: 53
; Occupancy: 16
; WaveLimiterHint : 0
; COMPUTE_PGM_RSRC2:SCRATCH_EN: 0
; COMPUTE_PGM_RSRC2:USER_SGPR: 13
; COMPUTE_PGM_RSRC2:TRAP_HANDLER: 0
; COMPUTE_PGM_RSRC2:TGID_X_EN: 1
; COMPUTE_PGM_RSRC2:TGID_Y_EN: 1
; COMPUTE_PGM_RSRC2:TGID_Z_EN: 1
; COMPUTE_PGM_RSRC2:TIDIG_COMP_CNT: 1
	.section	.text._ZL32rocblas_syrkx_herkx_small_kernelIl19rocblas_complex_numIdELi16ELb1ELb1ELc78ELc76EKS1_S1_EviT_T0_PT6_S3_lS6_S3_lS4_PT7_S3_li,"axG",@progbits,_ZL32rocblas_syrkx_herkx_small_kernelIl19rocblas_complex_numIdELi16ELb1ELb1ELc78ELc76EKS1_S1_EviT_T0_PT6_S3_lS6_S3_lS4_PT7_S3_li,comdat
	.globl	_ZL32rocblas_syrkx_herkx_small_kernelIl19rocblas_complex_numIdELi16ELb1ELb1ELc78ELc76EKS1_S1_EviT_T0_PT6_S3_lS6_S3_lS4_PT7_S3_li ; -- Begin function _ZL32rocblas_syrkx_herkx_small_kernelIl19rocblas_complex_numIdELi16ELb1ELb1ELc78ELc76EKS1_S1_EviT_T0_PT6_S3_lS6_S3_lS4_PT7_S3_li
	.p2align	8
	.type	_ZL32rocblas_syrkx_herkx_small_kernelIl19rocblas_complex_numIdELi16ELb1ELb1ELc78ELc76EKS1_S1_EviT_T0_PT6_S3_lS6_S3_lS4_PT7_S3_li,@function
_ZL32rocblas_syrkx_herkx_small_kernelIl19rocblas_complex_numIdELi16ELb1ELb1ELc78ELc76EKS1_S1_EviT_T0_PT6_S3_lS6_S3_lS4_PT7_S3_li: ; @_ZL32rocblas_syrkx_herkx_small_kernelIl19rocblas_complex_numIdELi16ELb1ELb1ELc78ELc76EKS1_S1_EviT_T0_PT6_S3_lS6_S3_lS4_PT7_S3_li
; %bb.0:
	s_clause 0x1
	s_load_b512 s[16:31], s[0:1], 0x8
	s_load_b32 s10, s[0:1], 0x0
	v_and_b32_e32 v17, 0x3ff, v0
	v_bfe_u32 v18, v0, 10, 10
	v_mov_b32_e32 v13, 0
	v_mov_b32_e32 v14, 0
	s_delay_alu instid0(VALU_DEP_4) | instskip(NEXT) | instid1(VALU_DEP_4)
	v_lshl_add_u32 v5, s13, 4, v17
	v_lshl_add_u32 v7, s14, 4, v18
	s_delay_alu instid0(VALU_DEP_3) | instskip(NEXT) | instid1(VALU_DEP_3)
	v_dual_mov_b32 v16, v14 :: v_dual_mov_b32 v15, v13
	v_ashrrev_i32_e32 v6, 31, v5
	s_delay_alu instid0(VALU_DEP_3) | instskip(SKIP_3) | instid1(VALU_DEP_2)
	v_ashrrev_i32_e32 v8, 31, v7
	s_waitcnt lgkmcnt(0)
	v_cmp_lt_i64_e64 s2, s[16:17], 1
	v_cmp_gt_i32_e64 s3, s10, v5
	s_and_b32 vcc_lo, exec_lo, s2
	s_cbranch_vccnz .LBB1361_9
; %bb.1:
	v_mad_u64_u32 v[1:2], null, s30, v17, 0
	v_mad_u64_u32 v[3:4], null, s24, v18, 0
	s_load_b64 s[4:5], s[0:1], 0x48
	s_mul_i32 s7, s27, s15
	s_mul_hi_u32 s8, s26, s15
	v_dual_mov_b32 v0, 0 :: v_dual_lshlrev_b32 v13, 8, v18
	s_add_i32 s7, s8, s7
	s_delay_alu instid0(VALU_DEP_2)
	v_mad_u64_u32 v[11:12], null, s31, v17, v[2:3]
	v_lshlrev_b32_e32 v19, 4, v17
	v_lshlrev_b64 v[9:10], 4, v[7:8]
	s_mul_i32 s6, s26, s15
	v_cmp_gt_i32_e64 s2, s10, v7
	s_xor_b32 s3, s3, -1
	s_delay_alu instid0(VALU_DEP_4)
	v_mov_b32_e32 v2, v11
	v_mad_u64_u32 v[11:12], null, s25, v18, v[4:5]
	v_add_nc_u32_e32 v21, 0x1000, v13
	v_dual_mov_b32 v13, 0 :: v_dual_add_nc_u32 v20, v19, v13
	s_waitcnt lgkmcnt(0)
	s_mul_i32 s5, s5, s15
	s_mul_hi_u32 s8, s4, s15
	v_lshlrev_b64 v[1:2], 4, v[1:2]
	s_mul_i32 s4, s4, s15
	s_add_i32 s5, s8, s5
	v_mov_b32_e32 v4, v11
	s_lshl_b64 s[4:5], s[4:5], 4
	v_mov_b32_e32 v14, 0
	v_add_co_u32 v1, vcc_lo, s4, v1
	v_add_co_ci_u32_e32 v2, vcc_lo, s5, v2, vcc_lo
	s_lshl_b64 s[4:5], s[6:7], 4
	s_delay_alu instid0(VALU_DEP_2) | instskip(NEXT) | instid1(VALU_DEP_2)
	v_add_co_u32 v9, vcc_lo, v1, v9
	v_add_co_ci_u32_e32 v10, vcc_lo, v2, v10, vcc_lo
	v_lshlrev_b64 v[1:2], 4, v[3:4]
	s_delay_alu instid0(VALU_DEP_3) | instskip(NEXT) | instid1(VALU_DEP_3)
	v_add_co_u32 v3, vcc_lo, v9, s28
	v_add_co_ci_u32_e32 v4, vcc_lo, s29, v10, vcc_lo
	v_add_nc_u32_e32 v22, v21, v19
	s_delay_alu instid0(VALU_DEP_4)
	v_add_co_u32 v11, vcc_lo, s4, v1
	v_add_co_ci_u32_e32 v12, vcc_lo, s5, v2, vcc_lo
	v_lshlrev_b64 v[1:2], 4, v[5:6]
	v_add_co_u32 v9, vcc_lo, v3, 8
	v_add_co_ci_u32_e32 v10, vcc_lo, 0, v4, vcc_lo
	v_dual_mov_b32 v16, v14 :: v_dual_mov_b32 v15, v13
	s_delay_alu instid0(VALU_DEP_4) | instskip(SKIP_2) | instid1(VALU_DEP_2)
	v_add_co_u32 v1, vcc_lo, v11, v1
	v_add_co_ci_u32_e32 v2, vcc_lo, v12, v2, vcc_lo
	s_lshl_b64 s[4:5], s[30:31], 8
	v_add_co_u32 v11, vcc_lo, s22, v1
	s_delay_alu instid0(VALU_DEP_2)
	v_add_co_ci_u32_e32 v12, vcc_lo, s23, v2, vcc_lo
	s_lshl_b64 s[6:7], s[24:25], 8
	s_mov_b64 s[8:9], 0
	s_branch .LBB1361_3
.LBB1361_2:                             ;   in Loop: Header=BB1361_3 Depth=1
	s_or_b32 exec_lo, exec_lo, s11
	ds_store_b128 v22, v[1:4]
	s_waitcnt lgkmcnt(0)
	s_barrier
	buffer_gl0_inv
	ds_load_b128 v[1:4], v19
	ds_load_b128 v[23:26], v21
	ds_load_b128 v[27:30], v21 offset:16
	ds_load_b128 v[31:34], v19 offset:256
	s_add_u32 s8, s8, 16
	s_addc_u32 s9, s9, 0
	v_add_co_u32 v9, vcc_lo, v9, s4
	v_cmp_ge_i64_e64 s11, s[8:9], s[16:17]
	v_add_co_ci_u32_e32 v10, vcc_lo, s5, v10, vcc_lo
	v_add_co_u32 v11, vcc_lo, v11, s6
	v_add_co_ci_u32_e32 v12, vcc_lo, s7, v12, vcc_lo
	s_delay_alu instid0(VALU_DEP_4)
	s_and_b32 vcc_lo, exec_lo, s11
	s_waitcnt lgkmcnt(2)
	v_mul_f64 v[35:36], v[25:26], v[3:4]
	v_mul_f64 v[3:4], v[23:24], v[3:4]
	s_waitcnt lgkmcnt(0)
	v_mul_f64 v[41:42], v[29:30], v[33:34]
	v_mul_f64 v[43:44], v[27:28], v[33:34]
	s_delay_alu instid0(VALU_DEP_4) | instskip(NEXT) | instid1(VALU_DEP_4)
	v_fma_f64 v[45:46], v[23:24], v[1:2], -v[35:36]
	v_fma_f64 v[47:48], v[25:26], v[1:2], v[3:4]
	ds_load_b128 v[1:4], v19 offset:512
	ds_load_b128 v[23:26], v21 offset:32
	;; [unrolled: 1-line block ×4, first 2 shown]
	v_fma_f64 v[27:28], v[27:28], v[31:32], -v[41:42]
	v_fma_f64 v[29:30], v[29:30], v[31:32], v[43:44]
	s_waitcnt lgkmcnt(2)
	v_mul_f64 v[49:50], v[25:26], v[3:4]
	v_mul_f64 v[3:4], v[23:24], v[3:4]
	s_waitcnt lgkmcnt(0)
	v_mul_f64 v[31:32], v[35:36], v[39:40]
	v_mul_f64 v[39:40], v[33:34], v[39:40]
	v_add_f64 v[15:16], v[15:16], v[45:46]
	v_add_f64 v[13:14], v[13:14], v[47:48]
	v_fma_f64 v[41:42], v[23:24], v[1:2], -v[49:50]
	v_fma_f64 v[43:44], v[25:26], v[1:2], v[3:4]
	v_fma_f64 v[31:32], v[33:34], v[37:38], -v[31:32]
	v_fma_f64 v[33:34], v[35:36], v[37:38], v[39:40]
	v_add_f64 v[45:46], v[15:16], v[27:28]
	v_add_f64 v[47:48], v[13:14], v[29:30]
	ds_load_b128 v[1:4], v19 offset:1024
	ds_load_b128 v[13:16], v21 offset:64
	;; [unrolled: 1-line block ×4, first 2 shown]
	s_waitcnt lgkmcnt(2)
	v_mul_f64 v[49:50], v[15:16], v[3:4]
	v_mul_f64 v[3:4], v[13:14], v[3:4]
	s_waitcnt lgkmcnt(0)
	v_mul_f64 v[39:40], v[25:26], v[29:30]
	v_add_f64 v[35:36], v[45:46], v[41:42]
	v_add_f64 v[37:38], v[47:48], v[43:44]
	v_mul_f64 v[41:42], v[23:24], v[29:30]
	v_fma_f64 v[43:44], v[13:14], v[1:2], -v[49:50]
	v_fma_f64 v[45:46], v[15:16], v[1:2], v[3:4]
	v_fma_f64 v[23:24], v[23:24], v[27:28], -v[39:40]
	v_add_f64 v[47:48], v[35:36], v[31:32]
	v_add_f64 v[37:38], v[37:38], v[33:34]
	ds_load_b128 v[1:4], v19 offset:1536
	ds_load_b128 v[13:16], v21 offset:96
	;; [unrolled: 1-line block ×4, first 2 shown]
	v_fma_f64 v[25:26], v[25:26], v[27:28], v[41:42]
	s_waitcnt lgkmcnt(2)
	v_mul_f64 v[49:50], v[15:16], v[3:4]
	v_mul_f64 v[3:4], v[13:14], v[3:4]
	s_waitcnt lgkmcnt(0)
	v_mul_f64 v[39:40], v[31:32], v[35:36]
	v_mul_f64 v[41:42], v[29:30], v[35:36]
	v_add_f64 v[27:28], v[47:48], v[43:44]
	v_add_f64 v[37:38], v[37:38], v[45:46]
	v_fma_f64 v[43:44], v[13:14], v[1:2], -v[49:50]
	v_fma_f64 v[45:46], v[15:16], v[1:2], v[3:4]
	v_fma_f64 v[29:30], v[29:30], v[33:34], -v[39:40]
	v_fma_f64 v[31:32], v[31:32], v[33:34], v[41:42]
	v_add_f64 v[27:28], v[27:28], v[23:24]
	v_add_f64 v[47:48], v[37:38], v[25:26]
	ds_load_b128 v[1:4], v19 offset:2048
	ds_load_b128 v[13:16], v21 offset:128
	;; [unrolled: 1-line block ×4, first 2 shown]
	s_waitcnt lgkmcnt(2)
	v_mul_f64 v[49:50], v[15:16], v[3:4]
	v_mul_f64 v[3:4], v[13:14], v[3:4]
	s_waitcnt lgkmcnt(0)
	v_mul_f64 v[39:40], v[25:26], v[37:38]
	v_mul_f64 v[37:38], v[23:24], v[37:38]
	v_add_f64 v[27:28], v[27:28], v[43:44]
	v_add_f64 v[33:34], v[47:48], v[45:46]
	v_fma_f64 v[41:42], v[13:14], v[1:2], -v[49:50]
	v_fma_f64 v[43:44], v[15:16], v[1:2], v[3:4]
	v_fma_f64 v[23:24], v[23:24], v[35:36], -v[39:40]
	v_fma_f64 v[25:26], v[25:26], v[35:36], v[37:38]
	v_add_f64 v[45:46], v[27:28], v[29:30]
	v_add_f64 v[47:48], v[33:34], v[31:32]
	ds_load_b128 v[1:4], v19 offset:2560
	ds_load_b128 v[13:16], v21 offset:160
	;; [unrolled: 1-line block ×4, first 2 shown]
	s_waitcnt lgkmcnt(2)
	v_mul_f64 v[49:50], v[15:16], v[3:4]
	v_mul_f64 v[3:4], v[13:14], v[3:4]
	s_waitcnt lgkmcnt(0)
	v_mul_f64 v[39:40], v[29:30], v[33:34]
	v_add_f64 v[35:36], v[45:46], v[41:42]
	v_add_f64 v[37:38], v[47:48], v[43:44]
	v_mul_f64 v[41:42], v[27:28], v[33:34]
	v_fma_f64 v[43:44], v[13:14], v[1:2], -v[49:50]
	v_fma_f64 v[45:46], v[15:16], v[1:2], v[3:4]
	v_fma_f64 v[27:28], v[27:28], v[31:32], -v[39:40]
	v_add_f64 v[47:48], v[35:36], v[23:24]
	v_add_f64 v[37:38], v[37:38], v[25:26]
	ds_load_b128 v[1:4], v19 offset:3072
	ds_load_b128 v[13:16], v21 offset:192
	;; [unrolled: 1-line block ×4, first 2 shown]
	v_fma_f64 v[29:30], v[29:30], v[31:32], v[41:42]
	s_waitcnt lgkmcnt(2)
	v_mul_f64 v[49:50], v[15:16], v[3:4]
	v_mul_f64 v[3:4], v[13:14], v[3:4]
	s_waitcnt lgkmcnt(0)
	v_mul_f64 v[39:40], v[25:26], v[35:36]
	v_mul_f64 v[41:42], v[23:24], v[35:36]
	v_add_f64 v[31:32], v[47:48], v[43:44]
	v_add_f64 v[37:38], v[37:38], v[45:46]
	v_fma_f64 v[43:44], v[13:14], v[1:2], -v[49:50]
	v_fma_f64 v[45:46], v[15:16], v[1:2], v[3:4]
	v_fma_f64 v[23:24], v[23:24], v[33:34], -v[39:40]
	v_fma_f64 v[25:26], v[25:26], v[33:34], v[41:42]
	v_add_f64 v[31:32], v[31:32], v[27:28]
	v_add_f64 v[47:48], v[37:38], v[29:30]
	ds_load_b128 v[1:4], v19 offset:3584
	ds_load_b128 v[13:16], v21 offset:224
	;; [unrolled: 1-line block ×4, first 2 shown]
	s_waitcnt lgkmcnt(0)
	s_barrier
	buffer_gl0_inv
	v_mul_f64 v[49:50], v[15:16], v[3:4]
	v_mul_f64 v[3:4], v[13:14], v[3:4]
	;; [unrolled: 1-line block ×4, first 2 shown]
	v_add_f64 v[31:32], v[31:32], v[43:44]
	v_add_f64 v[33:34], v[47:48], v[45:46]
	v_fma_f64 v[13:14], v[13:14], v[1:2], -v[49:50]
	v_fma_f64 v[1:2], v[15:16], v[1:2], v[3:4]
	s_delay_alu instid0(VALU_DEP_4) | instskip(NEXT) | instid1(VALU_DEP_4)
	v_add_f64 v[3:4], v[31:32], v[23:24]
	v_add_f64 v[15:16], v[33:34], v[25:26]
	v_fma_f64 v[23:24], v[27:28], v[35:36], -v[39:40]
	v_fma_f64 v[25:26], v[29:30], v[35:36], v[37:38]
	s_delay_alu instid0(VALU_DEP_4) | instskip(NEXT) | instid1(VALU_DEP_4)
	v_add_f64 v[3:4], v[3:4], v[13:14]
	v_add_f64 v[1:2], v[15:16], v[1:2]
	s_delay_alu instid0(VALU_DEP_2) | instskip(NEXT) | instid1(VALU_DEP_2)
	v_add_f64 v[15:16], v[3:4], v[23:24]
	v_add_f64 v[13:14], v[1:2], v[25:26]
	s_cbranch_vccnz .LBB1361_9
.LBB1361_3:                             ; =>This Inner Loop Header: Depth=1
	v_add_co_u32 v1, s11, v18, s8
	s_delay_alu instid0(VALU_DEP_1) | instskip(NEXT) | instid1(VALU_DEP_1)
	v_add_co_ci_u32_e64 v2, null, 0, s9, s11
	v_cmp_le_i64_e32 vcc_lo, s[16:17], v[1:2]
	s_or_b32 s11, s3, vcc_lo
	s_delay_alu instid0(SALU_CYCLE_1) | instskip(NEXT) | instid1(SALU_CYCLE_1)
	s_and_saveexec_b32 s12, s11
	s_xor_b32 s11, exec_lo, s12
	s_cbranch_execz .LBB1361_5
; %bb.4:                                ;   in Loop: Header=BB1361_3 Depth=1
	v_mov_b32_e32 v1, v0
	v_mov_b32_e32 v2, v0
	;; [unrolled: 1-line block ×3, first 2 shown]
	ds_store_b128 v20, v[0:3]
.LBB1361_5:                             ;   in Loop: Header=BB1361_3 Depth=1
	s_and_not1_saveexec_b32 s11, s11
	s_cbranch_execz .LBB1361_7
; %bb.6:                                ;   in Loop: Header=BB1361_3 Depth=1
	global_load_b128 v[1:4], v[11:12], off
	s_waitcnt vmcnt(0)
	ds_store_2addr_b64 v20, v[1:2], v[3:4] offset1:1
.LBB1361_7:                             ;   in Loop: Header=BB1361_3 Depth=1
	s_or_b32 exec_lo, exec_lo, s11
	v_add_co_u32 v3, s11, v17, s8
	s_delay_alu instid0(VALU_DEP_1) | instskip(SKIP_2) | instid1(VALU_DEP_3)
	v_add_co_ci_u32_e64 v4, null, 0, s9, s11
	v_mov_b32_e32 v1, 0
	v_mov_b32_e32 v2, 0
	v_cmp_gt_i64_e32 vcc_lo, s[16:17], v[3:4]
	s_delay_alu instid0(VALU_DEP_2) | instskip(SKIP_1) | instid1(SALU_CYCLE_1)
	v_dual_mov_b32 v4, v2 :: v_dual_mov_b32 v3, v1
	s_and_b32 s12, s2, vcc_lo
	s_and_saveexec_b32 s11, s12
	s_cbranch_execz .LBB1361_2
; %bb.8:                                ;   in Loop: Header=BB1361_3 Depth=1
	global_load_b128 v[1:4], v[9:10], off offset:-8
	s_waitcnt vmcnt(0)
	v_xor_b32_e32 v4, 0x80000000, v4
	s_branch .LBB1361_2
.LBB1361_9:
	v_cmp_le_i32_e32 vcc_lo, v7, v5
	v_cmp_gt_i32_e64 s2, s10, v5
	s_delay_alu instid0(VALU_DEP_1) | instskip(NEXT) | instid1(SALU_CYCLE_1)
	s_and_b32 s2, vcc_lo, s2
	s_and_saveexec_b32 s3, s2
	s_cbranch_execz .LBB1361_11
; %bb.10:
	s_delay_alu instid0(VALU_DEP_3)
	v_mul_f64 v[0:1], s[18:19], v[13:14]
	v_mul_f64 v[2:3], s[20:21], v[13:14]
	s_clause 0x1
	s_load_b128 s[4:7], s[0:1], 0x60
	s_load_b64 s[0:1], s[0:1], 0x70
	v_lshlrev_b64 v[11:12], 4, v[5:6]
	s_waitcnt lgkmcnt(0)
	v_mul_lo_u32 v4, v7, s7
	v_mul_lo_u32 v8, v8, s6
	s_mul_i32 s1, s15, s1
	s_mul_hi_u32 s2, s15, s0
	s_mul_i32 s0, s15, s0
	s_add_i32 s1, s2, s1
	s_delay_alu instid0(SALU_CYCLE_1) | instskip(NEXT) | instid1(SALU_CYCLE_1)
	s_lshl_b64 s[0:1], s[0:1], 4
	s_add_u32 s0, s4, s0
	s_addc_u32 s1, s5, s1
	v_fma_f64 v[9:10], s[20:21], v[15:16], v[0:1]
	v_fma_f64 v[0:1], s[18:19], v[15:16], -v[2:3]
	v_mad_u64_u32 v[2:3], null, v7, s6, 0
	s_delay_alu instid0(VALU_DEP_1) | instskip(NEXT) | instid1(VALU_DEP_1)
	v_add3_u32 v3, v3, v4, v8
	v_lshlrev_b64 v[2:3], 4, v[2:3]
	s_delay_alu instid0(VALU_DEP_1) | instskip(NEXT) | instid1(VALU_DEP_2)
	v_add_co_u32 v2, vcc_lo, s0, v2
	v_add_co_ci_u32_e32 v3, vcc_lo, s1, v3, vcc_lo
	v_cmp_ne_u32_e32 vcc_lo, v5, v7
	s_delay_alu instid0(VALU_DEP_3) | instskip(NEXT) | instid1(VALU_DEP_1)
	v_add_co_u32 v4, s0, v2, v11
	v_add_co_ci_u32_e64 v5, s0, v3, v12, s0
	v_dual_cndmask_b32 v3, 0, v10 :: v_dual_cndmask_b32 v2, 0, v9
	global_store_b128 v[4:5], v[0:3], off
.LBB1361_11:
	s_nop 0
	s_sendmsg sendmsg(MSG_DEALLOC_VGPRS)
	s_endpgm
	.section	.rodata,"a",@progbits
	.p2align	6, 0x0
	.amdhsa_kernel _ZL32rocblas_syrkx_herkx_small_kernelIl19rocblas_complex_numIdELi16ELb1ELb1ELc78ELc76EKS1_S1_EviT_T0_PT6_S3_lS6_S3_lS4_PT7_S3_li
		.amdhsa_group_segment_fixed_size 8192
		.amdhsa_private_segment_fixed_size 0
		.amdhsa_kernarg_size 124
		.amdhsa_user_sgpr_count 13
		.amdhsa_user_sgpr_dispatch_ptr 0
		.amdhsa_user_sgpr_queue_ptr 0
		.amdhsa_user_sgpr_kernarg_segment_ptr 1
		.amdhsa_user_sgpr_dispatch_id 0
		.amdhsa_user_sgpr_private_segment_size 0
		.amdhsa_wavefront_size32 1
		.amdhsa_uses_dynamic_stack 0
		.amdhsa_enable_private_segment 0
		.amdhsa_system_sgpr_workgroup_id_x 1
		.amdhsa_system_sgpr_workgroup_id_y 1
		.amdhsa_system_sgpr_workgroup_id_z 1
		.amdhsa_system_sgpr_workgroup_info 0
		.amdhsa_system_vgpr_workitem_id 1
		.amdhsa_next_free_vgpr 51
		.amdhsa_next_free_sgpr 32
		.amdhsa_reserve_vcc 1
		.amdhsa_float_round_mode_32 0
		.amdhsa_float_round_mode_16_64 0
		.amdhsa_float_denorm_mode_32 3
		.amdhsa_float_denorm_mode_16_64 3
		.amdhsa_dx10_clamp 1
		.amdhsa_ieee_mode 1
		.amdhsa_fp16_overflow 0
		.amdhsa_workgroup_processor_mode 1
		.amdhsa_memory_ordered 1
		.amdhsa_forward_progress 0
		.amdhsa_shared_vgpr_count 0
		.amdhsa_exception_fp_ieee_invalid_op 0
		.amdhsa_exception_fp_denorm_src 0
		.amdhsa_exception_fp_ieee_div_zero 0
		.amdhsa_exception_fp_ieee_overflow 0
		.amdhsa_exception_fp_ieee_underflow 0
		.amdhsa_exception_fp_ieee_inexact 0
		.amdhsa_exception_int_div_zero 0
	.end_amdhsa_kernel
	.section	.text._ZL32rocblas_syrkx_herkx_small_kernelIl19rocblas_complex_numIdELi16ELb1ELb1ELc78ELc76EKS1_S1_EviT_T0_PT6_S3_lS6_S3_lS4_PT7_S3_li,"axG",@progbits,_ZL32rocblas_syrkx_herkx_small_kernelIl19rocblas_complex_numIdELi16ELb1ELb1ELc78ELc76EKS1_S1_EviT_T0_PT6_S3_lS6_S3_lS4_PT7_S3_li,comdat
.Lfunc_end1361:
	.size	_ZL32rocblas_syrkx_herkx_small_kernelIl19rocblas_complex_numIdELi16ELb1ELb1ELc78ELc76EKS1_S1_EviT_T0_PT6_S3_lS6_S3_lS4_PT7_S3_li, .Lfunc_end1361-_ZL32rocblas_syrkx_herkx_small_kernelIl19rocblas_complex_numIdELi16ELb1ELb1ELc78ELc76EKS1_S1_EviT_T0_PT6_S3_lS6_S3_lS4_PT7_S3_li
                                        ; -- End function
	.section	.AMDGPU.csdata,"",@progbits
; Kernel info:
; codeLenInByte = 2032
; NumSgprs: 34
; NumVgprs: 51
; ScratchSize: 0
; MemoryBound: 1
; FloatMode: 240
; IeeeMode: 1
; LDSByteSize: 8192 bytes/workgroup (compile time only)
; SGPRBlocks: 4
; VGPRBlocks: 6
; NumSGPRsForWavesPerEU: 34
; NumVGPRsForWavesPerEU: 51
; Occupancy: 16
; WaveLimiterHint : 0
; COMPUTE_PGM_RSRC2:SCRATCH_EN: 0
; COMPUTE_PGM_RSRC2:USER_SGPR: 13
; COMPUTE_PGM_RSRC2:TRAP_HANDLER: 0
; COMPUTE_PGM_RSRC2:TGID_X_EN: 1
; COMPUTE_PGM_RSRC2:TGID_Y_EN: 1
; COMPUTE_PGM_RSRC2:TGID_Z_EN: 1
; COMPUTE_PGM_RSRC2:TIDIG_COMP_CNT: 1
	.section	.text._ZL32rocblas_syrkx_herkx_small_kernelIl19rocblas_complex_numIdELi16ELb1ELb1ELc84ELc85EKS1_S1_EviT_T0_PT6_S3_lS6_S3_lS4_PT7_S3_li,"axG",@progbits,_ZL32rocblas_syrkx_herkx_small_kernelIl19rocblas_complex_numIdELi16ELb1ELb1ELc84ELc85EKS1_S1_EviT_T0_PT6_S3_lS6_S3_lS4_PT7_S3_li,comdat
	.globl	_ZL32rocblas_syrkx_herkx_small_kernelIl19rocblas_complex_numIdELi16ELb1ELb1ELc84ELc85EKS1_S1_EviT_T0_PT6_S3_lS6_S3_lS4_PT7_S3_li ; -- Begin function _ZL32rocblas_syrkx_herkx_small_kernelIl19rocblas_complex_numIdELi16ELb1ELb1ELc84ELc85EKS1_S1_EviT_T0_PT6_S3_lS6_S3_lS4_PT7_S3_li
	.p2align	8
	.type	_ZL32rocblas_syrkx_herkx_small_kernelIl19rocblas_complex_numIdELi16ELb1ELb1ELc84ELc85EKS1_S1_EviT_T0_PT6_S3_lS6_S3_lS4_PT7_S3_li,@function
_ZL32rocblas_syrkx_herkx_small_kernelIl19rocblas_complex_numIdELi16ELb1ELb1ELc84ELc85EKS1_S1_EviT_T0_PT6_S3_lS6_S3_lS4_PT7_S3_li: ; @_ZL32rocblas_syrkx_herkx_small_kernelIl19rocblas_complex_numIdELi16ELb1ELb1ELc84ELc85EKS1_S1_EviT_T0_PT6_S3_lS6_S3_lS4_PT7_S3_li
; %bb.0:
	s_clause 0x1
	s_load_b512 s[16:31], s[0:1], 0x8
	s_load_b32 s6, s[0:1], 0x0
	v_and_b32_e32 v16, 0x3ff, v0
	v_bfe_u32 v17, v0, 10, 10
	v_mov_b32_e32 v10, 0
	v_mov_b32_e32 v11, 0
	s_delay_alu instid0(VALU_DEP_4) | instskip(NEXT) | instid1(VALU_DEP_4)
	v_lshl_add_u32 v4, s13, 4, v16
	v_lshl_add_u32 v14, s14, 4, v17
	s_delay_alu instid0(VALU_DEP_3) | instskip(NEXT) | instid1(VALU_DEP_3)
	v_dual_mov_b32 v13, v11 :: v_dual_mov_b32 v12, v10
	v_ashrrev_i32_e32 v5, 31, v4
	s_delay_alu instid0(VALU_DEP_3) | instskip(SKIP_3) | instid1(VALU_DEP_2)
	v_ashrrev_i32_e32 v15, 31, v14
	s_waitcnt lgkmcnt(0)
	v_cmp_lt_i64_e64 s3, s[16:17], 1
	v_cmp_gt_i32_e64 s2, s6, v14
	s_and_b32 vcc_lo, exec_lo, s3
	s_cbranch_vccnz .LBB1362_11
; %bb.1:
	s_load_b64 s[4:5], s[0:1], 0x48
	v_mul_lo_u32 v8, s31, v14
	v_mul_lo_u32 v9, s30, v15
	v_mad_u64_u32 v[1:2], null, s30, v14, 0
	v_mul_lo_u32 v10, s25, v4
	v_mul_lo_u32 v11, s24, v5
	v_mad_u64_u32 v[6:7], null, s24, v4, 0
	v_dual_mov_b32 v0, 0 :: v_dual_lshlrev_b32 v3, 8, v17
	v_add3_u32 v2, v2, v9, v8
	s_mul_i32 s3, s27, s15
	v_lshlrev_b32_e32 v18, 4, v16
	s_mul_i32 s8, s26, s15
	s_delay_alu instid0(VALU_DEP_4)
	v_add3_u32 v7, v7, v11, v10
	v_lshlrev_b64 v[1:2], 4, v[1:2]
	v_dual_mov_b32 v10, 0 :: v_dual_add_nc_u32 v19, 0x1000, v3
	v_mov_b32_e32 v11, 0
	s_waitcnt lgkmcnt(0)
	s_mul_i32 s5, s5, s15
	s_mul_hi_u32 s7, s4, s15
	s_mul_i32 s4, s4, s15
	s_add_i32 s5, s7, s5
	s_mul_hi_u32 s7, s26, s15
	s_lshl_b64 s[4:5], s[4:5], 4
	v_lshlrev_b64 v[6:7], 4, v[6:7]
	s_add_i32 s9, s7, s3
	v_add_co_u32 v1, s3, v1, s4
	s_delay_alu instid0(VALU_DEP_1) | instskip(SKIP_3) | instid1(VALU_DEP_1)
	v_add_co_ci_u32_e64 v2, s3, s5, v2, s3
	s_lshl_b64 s[4:5], s[8:9], 4
	v_dual_mov_b32 v13, v11 :: v_dual_add_nc_u32 v20, v18, v3
	v_add_co_u32 v3, s3, v6, s4
	v_add_co_ci_u32_e64 v6, s3, s5, v7, s3
	v_lshlrev_b32_e32 v7, 4, v17
	v_add_co_u32 v1, s3, v1, v18
	s_delay_alu instid0(VALU_DEP_1) | instskip(NEXT) | instid1(VALU_DEP_3)
	v_add_co_ci_u32_e64 v2, s3, 0, v2, s3
	v_add_co_u32 v3, s3, v3, v7
	s_delay_alu instid0(VALU_DEP_1) | instskip(NEXT) | instid1(VALU_DEP_4)
	v_add_co_ci_u32_e64 v9, s3, 0, v6, s3
	v_add_co_u32 v6, s3, s28, v1
	s_delay_alu instid0(VALU_DEP_1)
	v_add_co_ci_u32_e64 v7, s3, s29, v2, s3
	v_cmp_gt_i32_e32 vcc_lo, s6, v4
	v_add_co_u32 v8, s3, s22, v3
	v_dual_mov_b32 v12, v10 :: v_dual_add_nc_u32 v21, v19, v18
	v_add_co_ci_u32_e64 v9, s3, s23, v9, s3
	s_mov_b64 s[4:5], 0
	s_xor_b32 s3, vcc_lo, -1
	s_xor_b32 s2, s2, -1
	s_branch .LBB1362_3
.LBB1362_2:                             ;   in Loop: Header=BB1362_3 Depth=1
	s_or_b32 exec_lo, exec_lo, s7
	s_waitcnt lgkmcnt(0)
	s_barrier
	buffer_gl0_inv
	ds_load_b128 v[22:25], v18
	ds_load_b128 v[26:29], v19
	ds_load_b128 v[30:33], v19 offset:16
	ds_load_b128 v[34:37], v18 offset:256
	s_add_u32 s4, s4, 16
	s_addc_u32 s5, s5, 0
	v_add_co_u32 v6, vcc_lo, 0x100, v6
	v_cmp_ge_i64_e64 s7, s[4:5], s[16:17]
	v_add_co_ci_u32_e32 v7, vcc_lo, 0, v7, vcc_lo
	v_add_co_u32 v8, vcc_lo, 0x100, v8
	v_add_co_ci_u32_e32 v9, vcc_lo, 0, v9, vcc_lo
	s_delay_alu instid0(VALU_DEP_4)
	s_and_b32 vcc_lo, exec_lo, s7
	s_waitcnt lgkmcnt(2)
	v_mul_f64 v[1:2], v[28:29], v[24:25]
	v_mul_f64 v[24:25], v[26:27], v[24:25]
	s_waitcnt lgkmcnt(0)
	v_mul_f64 v[44:45], v[32:33], v[36:37]
	v_mul_f64 v[46:47], v[30:31], v[36:37]
	s_delay_alu instid0(VALU_DEP_4) | instskip(NEXT) | instid1(VALU_DEP_4)
	v_fma_f64 v[1:2], v[26:27], v[22:23], -v[1:2]
	v_fma_f64 v[48:49], v[28:29], v[22:23], v[24:25]
	ds_load_b128 v[22:25], v18 offset:512
	ds_load_b128 v[26:29], v19 offset:32
	;; [unrolled: 1-line block ×4, first 2 shown]
	v_fma_f64 v[30:31], v[30:31], v[34:35], -v[44:45]
	v_fma_f64 v[32:33], v[32:33], v[34:35], v[46:47]
	s_waitcnt lgkmcnt(2)
	v_mul_f64 v[50:51], v[28:29], v[24:25]
	v_mul_f64 v[24:25], v[26:27], v[24:25]
	s_waitcnt lgkmcnt(0)
	v_mul_f64 v[34:35], v[38:39], v[42:43]
	v_mul_f64 v[42:43], v[36:37], v[42:43]
	v_add_f64 v[1:2], v[12:13], v[1:2]
	v_add_f64 v[10:11], v[10:11], v[48:49]
	v_fma_f64 v[44:45], v[26:27], v[22:23], -v[50:51]
	v_fma_f64 v[46:47], v[28:29], v[22:23], v[24:25]
	v_fma_f64 v[34:35], v[36:37], v[40:41], -v[34:35]
	v_fma_f64 v[36:37], v[38:39], v[40:41], v[42:43]
	v_add_f64 v[1:2], v[1:2], v[30:31]
	v_add_f64 v[48:49], v[10:11], v[32:33]
	ds_load_b128 v[10:13], v18 offset:1024
	ds_load_b128 v[22:25], v19 offset:64
	;; [unrolled: 1-line block ×4, first 2 shown]
	s_waitcnt lgkmcnt(2)
	v_mul_f64 v[50:51], v[24:25], v[12:13]
	v_mul_f64 v[12:13], v[22:23], v[12:13]
	s_waitcnt lgkmcnt(0)
	v_mul_f64 v[40:41], v[28:29], v[32:33]
	v_mul_f64 v[42:43], v[26:27], v[32:33]
	v_add_f64 v[1:2], v[1:2], v[44:45]
	v_add_f64 v[38:39], v[48:49], v[46:47]
	v_fma_f64 v[44:45], v[22:23], v[10:11], -v[50:51]
	v_fma_f64 v[46:47], v[24:25], v[10:11], v[12:13]
	v_fma_f64 v[26:27], v[26:27], v[30:31], -v[40:41]
	v_fma_f64 v[28:29], v[28:29], v[30:31], v[42:43]
	v_add_f64 v[1:2], v[1:2], v[34:35]
	v_add_f64 v[48:49], v[38:39], v[36:37]
	ds_load_b128 v[10:13], v18 offset:1536
	ds_load_b128 v[22:25], v19 offset:96
	;; [unrolled: 1-line block ×4, first 2 shown]
	s_waitcnt lgkmcnt(2)
	v_mul_f64 v[50:51], v[24:25], v[12:13]
	v_mul_f64 v[12:13], v[22:23], v[12:13]
	s_waitcnt lgkmcnt(0)
	v_mul_f64 v[42:43], v[34:35], v[38:39]
	v_add_f64 v[1:2], v[1:2], v[44:45]
	v_add_f64 v[30:31], v[48:49], v[46:47]
	v_mul_f64 v[44:45], v[32:33], v[38:39]
	v_fma_f64 v[46:47], v[22:23], v[10:11], -v[50:51]
	v_fma_f64 v[48:49], v[24:25], v[10:11], v[12:13]
	v_fma_f64 v[32:33], v[32:33], v[36:37], -v[42:43]
	v_add_f64 v[1:2], v[1:2], v[26:27]
	v_add_f64 v[30:31], v[30:31], v[28:29]
	ds_load_b128 v[10:13], v18 offset:2048
	ds_load_b128 v[22:25], v19 offset:128
	;; [unrolled: 1-line block ×4, first 2 shown]
	v_fma_f64 v[34:35], v[34:35], v[36:37], v[44:45]
	s_waitcnt lgkmcnt(2)
	v_mul_f64 v[50:51], v[24:25], v[12:13]
	v_mul_f64 v[12:13], v[22:23], v[12:13]
	s_waitcnt lgkmcnt(0)
	v_mul_f64 v[42:43], v[28:29], v[40:41]
	v_mul_f64 v[40:41], v[26:27], v[40:41]
	v_add_f64 v[1:2], v[1:2], v[46:47]
	v_add_f64 v[30:31], v[30:31], v[48:49]
	v_fma_f64 v[44:45], v[22:23], v[10:11], -v[50:51]
	v_fma_f64 v[46:47], v[24:25], v[10:11], v[12:13]
	v_fma_f64 v[26:27], v[26:27], v[38:39], -v[42:43]
	v_fma_f64 v[28:29], v[28:29], v[38:39], v[40:41]
	v_add_f64 v[1:2], v[1:2], v[32:33]
	v_add_f64 v[48:49], v[30:31], v[34:35]
	ds_load_b128 v[10:13], v18 offset:2560
	ds_load_b128 v[22:25], v19 offset:160
	;; [unrolled: 1-line block ×4, first 2 shown]
	s_waitcnt lgkmcnt(2)
	v_mul_f64 v[50:51], v[24:25], v[12:13]
	v_mul_f64 v[12:13], v[22:23], v[12:13]
	s_waitcnt lgkmcnt(0)
	v_mul_f64 v[40:41], v[32:33], v[36:37]
	v_mul_f64 v[42:43], v[30:31], v[36:37]
	v_add_f64 v[1:2], v[1:2], v[44:45]
	v_add_f64 v[38:39], v[48:49], v[46:47]
	v_fma_f64 v[44:45], v[22:23], v[10:11], -v[50:51]
	v_fma_f64 v[46:47], v[24:25], v[10:11], v[12:13]
	v_fma_f64 v[30:31], v[30:31], v[34:35], -v[40:41]
	v_fma_f64 v[32:33], v[32:33], v[34:35], v[42:43]
	v_add_f64 v[1:2], v[1:2], v[26:27]
	v_add_f64 v[48:49], v[38:39], v[28:29]
	ds_load_b128 v[10:13], v18 offset:3072
	ds_load_b128 v[22:25], v19 offset:192
	;; [unrolled: 1-line block ×4, first 2 shown]
	s_waitcnt lgkmcnt(2)
	v_mul_f64 v[50:51], v[24:25], v[12:13]
	v_mul_f64 v[12:13], v[22:23], v[12:13]
	s_waitcnt lgkmcnt(0)
	v_mul_f64 v[42:43], v[28:29], v[38:39]
	v_add_f64 v[1:2], v[1:2], v[44:45]
	v_add_f64 v[34:35], v[48:49], v[46:47]
	v_mul_f64 v[44:45], v[26:27], v[38:39]
	v_fma_f64 v[46:47], v[22:23], v[10:11], -v[50:51]
	v_fma_f64 v[48:49], v[24:25], v[10:11], v[12:13]
	v_fma_f64 v[26:27], v[26:27], v[36:37], -v[42:43]
	v_add_f64 v[1:2], v[1:2], v[30:31]
	v_add_f64 v[34:35], v[34:35], v[32:33]
	ds_load_b128 v[10:13], v18 offset:3584
	ds_load_b128 v[22:25], v19 offset:224
	;; [unrolled: 1-line block ×4, first 2 shown]
	v_fma_f64 v[28:29], v[28:29], v[36:37], v[44:45]
	s_waitcnt lgkmcnt(0)
	s_barrier
	buffer_gl0_inv
	v_mul_f64 v[50:51], v[24:25], v[12:13]
	v_mul_f64 v[12:13], v[22:23], v[12:13]
	v_mul_f64 v[36:37], v[32:33], v[40:41]
	v_mul_f64 v[40:41], v[30:31], v[40:41]
	v_add_f64 v[1:2], v[1:2], v[46:47]
	v_add_f64 v[34:35], v[34:35], v[48:49]
	v_fma_f64 v[22:23], v[22:23], v[10:11], -v[50:51]
	v_fma_f64 v[10:11], v[24:25], v[10:11], v[12:13]
	v_fma_f64 v[24:25], v[30:31], v[38:39], -v[36:37]
	v_add_f64 v[1:2], v[1:2], v[26:27]
	v_add_f64 v[12:13], v[34:35], v[28:29]
	v_fma_f64 v[26:27], v[32:33], v[38:39], v[40:41]
	s_delay_alu instid0(VALU_DEP_3) | instskip(NEXT) | instid1(VALU_DEP_3)
	v_add_f64 v[1:2], v[1:2], v[22:23]
	v_add_f64 v[10:11], v[12:13], v[10:11]
	s_delay_alu instid0(VALU_DEP_2) | instskip(NEXT) | instid1(VALU_DEP_2)
	v_add_f64 v[12:13], v[1:2], v[24:25]
	v_add_f64 v[10:11], v[10:11], v[26:27]
	s_cbranch_vccnz .LBB1362_11
.LBB1362_3:                             ; =>This Inner Loop Header: Depth=1
	v_add_co_u32 v1, s7, v17, s4
	s_delay_alu instid0(VALU_DEP_1) | instskip(NEXT) | instid1(VALU_DEP_1)
	v_add_co_ci_u32_e64 v2, null, 0, s5, s7
	v_cmp_le_i64_e32 vcc_lo, s[16:17], v[1:2]
	s_or_b32 s7, s3, vcc_lo
	s_delay_alu instid0(SALU_CYCLE_1) | instskip(NEXT) | instid1(SALU_CYCLE_1)
	s_and_saveexec_b32 s8, s7
	s_xor_b32 s7, exec_lo, s8
	s_cbranch_execz .LBB1362_5
; %bb.4:                                ;   in Loop: Header=BB1362_3 Depth=1
	v_mov_b32_e32 v1, v0
	v_mov_b32_e32 v2, v0
	;; [unrolled: 1-line block ×3, first 2 shown]
	ds_store_b128 v20, v[0:3]
.LBB1362_5:                             ;   in Loop: Header=BB1362_3 Depth=1
	s_and_not1_saveexec_b32 s7, s7
	s_cbranch_execz .LBB1362_7
; %bb.6:                                ;   in Loop: Header=BB1362_3 Depth=1
	global_load_b128 v[22:25], v[8:9], off
	s_waitcnt vmcnt(0)
	ds_store_2addr_b64 v20, v[22:23], v[24:25] offset1:1
.LBB1362_7:                             ;   in Loop: Header=BB1362_3 Depth=1
	s_or_b32 exec_lo, exec_lo, s7
	v_add_co_u32 v1, s7, v16, s4
	s_delay_alu instid0(VALU_DEP_1) | instskip(NEXT) | instid1(VALU_DEP_1)
	v_add_co_ci_u32_e64 v2, null, 0, s5, s7
	v_cmp_le_i64_e32 vcc_lo, s[16:17], v[1:2]
	s_or_b32 s7, s2, vcc_lo
	s_delay_alu instid0(SALU_CYCLE_1) | instskip(NEXT) | instid1(SALU_CYCLE_1)
	s_and_saveexec_b32 s8, s7
	s_xor_b32 s7, exec_lo, s8
	s_cbranch_execz .LBB1362_9
; %bb.8:                                ;   in Loop: Header=BB1362_3 Depth=1
	v_mov_b32_e32 v1, v0
	v_mov_b32_e32 v2, v0
	v_mov_b32_e32 v3, v0
	ds_store_b128 v21, v[0:3]
.LBB1362_9:                             ;   in Loop: Header=BB1362_3 Depth=1
	s_and_not1_saveexec_b32 s7, s7
	s_cbranch_execz .LBB1362_2
; %bb.10:                               ;   in Loop: Header=BB1362_3 Depth=1
	global_load_b128 v[22:25], v[6:7], off
	s_waitcnt vmcnt(0)
	ds_store_2addr_b64 v21, v[22:23], v[24:25] offset1:1
	s_branch .LBB1362_2
.LBB1362_11:
	v_cmp_le_i32_e32 vcc_lo, v4, v14
	v_cmp_gt_i32_e64 s2, s6, v14
	s_delay_alu instid0(VALU_DEP_1) | instskip(NEXT) | instid1(SALU_CYCLE_1)
	s_and_b32 s2, vcc_lo, s2
	s_and_saveexec_b32 s3, s2
	s_cbranch_execz .LBB1362_13
; %bb.12:
	s_delay_alu instid0(VALU_DEP_3)
	v_mul_f64 v[0:1], s[18:19], v[10:11]
	v_mul_f64 v[2:3], s[20:21], v[10:11]
	s_clause 0x1
	s_load_b128 s[4:7], s[0:1], 0x60
	s_load_b64 s[0:1], s[0:1], 0x70
	s_waitcnt lgkmcnt(0)
	v_mul_lo_u32 v8, v14, s7
	v_mul_lo_u32 v9, v15, s6
	s_mul_i32 s1, s15, s1
	s_mul_hi_u32 s2, s15, s0
	s_mul_i32 s0, s15, s0
	s_add_i32 s1, s2, s1
	s_delay_alu instid0(SALU_CYCLE_1) | instskip(NEXT) | instid1(SALU_CYCLE_1)
	s_lshl_b64 s[0:1], s[0:1], 4
	s_add_u32 s0, s4, s0
	s_addc_u32 s1, s5, s1
	s_delay_alu instid0(VALU_DEP_4) | instskip(NEXT) | instid1(VALU_DEP_4)
	v_fma_f64 v[6:7], s[20:21], v[12:13], v[0:1]
	v_fma_f64 v[0:1], s[18:19], v[12:13], -v[2:3]
	v_mad_u64_u32 v[2:3], null, v14, s6, 0
	s_delay_alu instid0(VALU_DEP_1) | instskip(SKIP_1) | instid1(VALU_DEP_2)
	v_add3_u32 v3, v3, v8, v9
	v_lshlrev_b64 v[8:9], 4, v[4:5]
	v_lshlrev_b64 v[2:3], 4, v[2:3]
	s_delay_alu instid0(VALU_DEP_1) | instskip(NEXT) | instid1(VALU_DEP_2)
	v_add_co_u32 v2, vcc_lo, s0, v2
	v_add_co_ci_u32_e32 v3, vcc_lo, s1, v3, vcc_lo
	v_cmp_ne_u32_e32 vcc_lo, v4, v14
	s_delay_alu instid0(VALU_DEP_3) | instskip(NEXT) | instid1(VALU_DEP_1)
	v_add_co_u32 v4, s0, v2, v8
	v_add_co_ci_u32_e64 v5, s0, v3, v9, s0
	v_dual_cndmask_b32 v3, 0, v7 :: v_dual_cndmask_b32 v2, 0, v6
	global_store_b128 v[4:5], v[0:3], off
.LBB1362_13:
	s_nop 0
	s_sendmsg sendmsg(MSG_DEALLOC_VGPRS)
	s_endpgm
	.section	.rodata,"a",@progbits
	.p2align	6, 0x0
	.amdhsa_kernel _ZL32rocblas_syrkx_herkx_small_kernelIl19rocblas_complex_numIdELi16ELb1ELb1ELc84ELc85EKS1_S1_EviT_T0_PT6_S3_lS6_S3_lS4_PT7_S3_li
		.amdhsa_group_segment_fixed_size 8192
		.amdhsa_private_segment_fixed_size 0
		.amdhsa_kernarg_size 124
		.amdhsa_user_sgpr_count 13
		.amdhsa_user_sgpr_dispatch_ptr 0
		.amdhsa_user_sgpr_queue_ptr 0
		.amdhsa_user_sgpr_kernarg_segment_ptr 1
		.amdhsa_user_sgpr_dispatch_id 0
		.amdhsa_user_sgpr_private_segment_size 0
		.amdhsa_wavefront_size32 1
		.amdhsa_uses_dynamic_stack 0
		.amdhsa_enable_private_segment 0
		.amdhsa_system_sgpr_workgroup_id_x 1
		.amdhsa_system_sgpr_workgroup_id_y 1
		.amdhsa_system_sgpr_workgroup_id_z 1
		.amdhsa_system_sgpr_workgroup_info 0
		.amdhsa_system_vgpr_workitem_id 1
		.amdhsa_next_free_vgpr 52
		.amdhsa_next_free_sgpr 32
		.amdhsa_reserve_vcc 1
		.amdhsa_float_round_mode_32 0
		.amdhsa_float_round_mode_16_64 0
		.amdhsa_float_denorm_mode_32 3
		.amdhsa_float_denorm_mode_16_64 3
		.amdhsa_dx10_clamp 1
		.amdhsa_ieee_mode 1
		.amdhsa_fp16_overflow 0
		.amdhsa_workgroup_processor_mode 1
		.amdhsa_memory_ordered 1
		.amdhsa_forward_progress 0
		.amdhsa_shared_vgpr_count 0
		.amdhsa_exception_fp_ieee_invalid_op 0
		.amdhsa_exception_fp_denorm_src 0
		.amdhsa_exception_fp_ieee_div_zero 0
		.amdhsa_exception_fp_ieee_overflow 0
		.amdhsa_exception_fp_ieee_underflow 0
		.amdhsa_exception_fp_ieee_inexact 0
		.amdhsa_exception_int_div_zero 0
	.end_amdhsa_kernel
	.section	.text._ZL32rocblas_syrkx_herkx_small_kernelIl19rocblas_complex_numIdELi16ELb1ELb1ELc84ELc85EKS1_S1_EviT_T0_PT6_S3_lS6_S3_lS4_PT7_S3_li,"axG",@progbits,_ZL32rocblas_syrkx_herkx_small_kernelIl19rocblas_complex_numIdELi16ELb1ELb1ELc84ELc85EKS1_S1_EviT_T0_PT6_S3_lS6_S3_lS4_PT7_S3_li,comdat
.Lfunc_end1362:
	.size	_ZL32rocblas_syrkx_herkx_small_kernelIl19rocblas_complex_numIdELi16ELb1ELb1ELc84ELc85EKS1_S1_EviT_T0_PT6_S3_lS6_S3_lS4_PT7_S3_li, .Lfunc_end1362-_ZL32rocblas_syrkx_herkx_small_kernelIl19rocblas_complex_numIdELi16ELb1ELb1ELc84ELc85EKS1_S1_EviT_T0_PT6_S3_lS6_S3_lS4_PT7_S3_li
                                        ; -- End function
	.section	.AMDGPU.csdata,"",@progbits
; Kernel info:
; codeLenInByte = 2056
; NumSgprs: 34
; NumVgprs: 52
; ScratchSize: 0
; MemoryBound: 0
; FloatMode: 240
; IeeeMode: 1
; LDSByteSize: 8192 bytes/workgroup (compile time only)
; SGPRBlocks: 4
; VGPRBlocks: 6
; NumSGPRsForWavesPerEU: 34
; NumVGPRsForWavesPerEU: 52
; Occupancy: 16
; WaveLimiterHint : 0
; COMPUTE_PGM_RSRC2:SCRATCH_EN: 0
; COMPUTE_PGM_RSRC2:USER_SGPR: 13
; COMPUTE_PGM_RSRC2:TRAP_HANDLER: 0
; COMPUTE_PGM_RSRC2:TGID_X_EN: 1
; COMPUTE_PGM_RSRC2:TGID_Y_EN: 1
; COMPUTE_PGM_RSRC2:TGID_Z_EN: 1
; COMPUTE_PGM_RSRC2:TIDIG_COMP_CNT: 1
	.section	.text._ZL32rocblas_syrkx_herkx_small_kernelIl19rocblas_complex_numIdELi16ELb1ELb1ELc67ELc85EKS1_S1_EviT_T0_PT6_S3_lS6_S3_lS4_PT7_S3_li,"axG",@progbits,_ZL32rocblas_syrkx_herkx_small_kernelIl19rocblas_complex_numIdELi16ELb1ELb1ELc67ELc85EKS1_S1_EviT_T0_PT6_S3_lS6_S3_lS4_PT7_S3_li,comdat
	.globl	_ZL32rocblas_syrkx_herkx_small_kernelIl19rocblas_complex_numIdELi16ELb1ELb1ELc67ELc85EKS1_S1_EviT_T0_PT6_S3_lS6_S3_lS4_PT7_S3_li ; -- Begin function _ZL32rocblas_syrkx_herkx_small_kernelIl19rocblas_complex_numIdELi16ELb1ELb1ELc67ELc85EKS1_S1_EviT_T0_PT6_S3_lS6_S3_lS4_PT7_S3_li
	.p2align	8
	.type	_ZL32rocblas_syrkx_herkx_small_kernelIl19rocblas_complex_numIdELi16ELb1ELb1ELc67ELc85EKS1_S1_EviT_T0_PT6_S3_lS6_S3_lS4_PT7_S3_li,@function
_ZL32rocblas_syrkx_herkx_small_kernelIl19rocblas_complex_numIdELi16ELb1ELb1ELc67ELc85EKS1_S1_EviT_T0_PT6_S3_lS6_S3_lS4_PT7_S3_li: ; @_ZL32rocblas_syrkx_herkx_small_kernelIl19rocblas_complex_numIdELi16ELb1ELb1ELc67ELc85EKS1_S1_EviT_T0_PT6_S3_lS6_S3_lS4_PT7_S3_li
; %bb.0:
	s_clause 0x1
	s_load_b512 s[16:31], s[0:1], 0x8
	s_load_b32 s6, s[0:1], 0x0
	v_and_b32_e32 v19, 0x3ff, v0
	v_bfe_u32 v20, v0, 10, 10
	v_mov_b32_e32 v13, 0
	v_mov_b32_e32 v14, 0
	s_delay_alu instid0(VALU_DEP_4) | instskip(NEXT) | instid1(VALU_DEP_4)
	v_lshl_add_u32 v5, s13, 4, v19
	v_lshl_add_u32 v17, s14, 4, v20
	s_delay_alu instid0(VALU_DEP_3) | instskip(NEXT) | instid1(VALU_DEP_3)
	v_dual_mov_b32 v16, v14 :: v_dual_mov_b32 v15, v13
	v_ashrrev_i32_e32 v6, 31, v5
	s_delay_alu instid0(VALU_DEP_3) | instskip(SKIP_3) | instid1(VALU_DEP_2)
	v_ashrrev_i32_e32 v18, 31, v17
	s_waitcnt lgkmcnt(0)
	v_cmp_lt_i64_e64 s2, s[16:17], 1
	v_cmp_gt_i32_e64 s3, s6, v17
	s_and_b32 vcc_lo, exec_lo, s2
	s_cbranch_vccnz .LBB1363_9
; %bb.1:
	s_load_b64 s[4:5], s[0:1], 0x48
	v_mul_lo_u32 v10, s25, v5
	v_mul_lo_u32 v11, s24, v6
	v_mad_u64_u32 v[3:4], null, s24, v5, 0
	v_mul_lo_u32 v8, s31, v17
	v_mul_lo_u32 v9, s30, v18
	v_mad_u64_u32 v[1:2], null, s30, v17, 0
	s_mul_hi_u32 s8, s26, s15
	v_dual_mov_b32 v0, 0 :: v_dual_lshlrev_b32 v7, 8, v20
	v_add3_u32 v4, v4, v11, v10
	v_lshlrev_b32_e32 v21, 4, v19
	v_cmp_gt_i32_e64 s2, s6, v5
	v_add3_u32 v2, v2, v9, v8
	v_add_nc_u32_e32 v22, 0x1000, v7
	v_lshlrev_b64 v[3:4], 4, v[3:4]
	v_add_nc_u32_e32 v23, v21, v7
	v_lshlrev_b32_e32 v7, 4, v20
	s_waitcnt lgkmcnt(0)
	s_mul_i32 s5, s5, s15
	s_mul_hi_u32 s7, s4, s15
	v_lshlrev_b64 v[1:2], 4, v[1:2]
	s_add_i32 s5, s7, s5
	s_mul_i32 s7, s27, s15
	s_mul_i32 s4, s4, s15
	s_add_i32 s9, s8, s7
	s_mul_i32 s8, s26, s15
	s_lshl_b64 s[4:5], s[4:5], 4
	s_lshl_b64 s[8:9], s[8:9], 4
	s_xor_b32 s3, s3, -1
	v_add_co_u32 v3, vcc_lo, v3, s8
	v_add_co_ci_u32_e32 v4, vcc_lo, s9, v4, vcc_lo
	v_add_co_u32 v1, vcc_lo, v1, s4
	v_add_co_ci_u32_e32 v2, vcc_lo, s5, v2, vcc_lo
	s_delay_alu instid0(VALU_DEP_4) | instskip(NEXT) | instid1(VALU_DEP_4)
	v_add_co_u32 v3, vcc_lo, v3, v7
	v_add_co_ci_u32_e32 v4, vcc_lo, 0, v4, vcc_lo
	v_mov_b32_e32 v7, 0
	v_mov_b32_e32 v8, 0
	v_add_co_u32 v1, vcc_lo, v1, v21
	v_add_co_ci_u32_e32 v2, vcc_lo, 0, v2, vcc_lo
	s_delay_alu instid0(VALU_DEP_3) | instskip(SKIP_4) | instid1(VALU_DEP_4)
	v_mov_b32_e32 v14, v8
	v_add_co_u32 v3, vcc_lo, v3, s22
	v_add_co_ci_u32_e32 v4, vcc_lo, s23, v4, vcc_lo
	v_add_co_u32 v9, vcc_lo, s28, v1
	v_add_co_ci_u32_e32 v10, vcc_lo, s29, v2, vcc_lo
	v_add_co_u32 v11, vcc_lo, v3, 8
	v_dual_mov_b32 v13, v7 :: v_dual_add_nc_u32 v24, v22, v21
	v_add_co_ci_u32_e32 v12, vcc_lo, 0, v4, vcc_lo
	v_dual_mov_b32 v16, v8 :: v_dual_mov_b32 v15, v7
	s_mov_b64 s[4:5], 0
	s_branch .LBB1363_3
.LBB1363_2:                             ;   in Loop: Header=BB1363_3 Depth=1
	s_or_b32 exec_lo, exec_lo, s7
	s_waitcnt lgkmcnt(0)
	s_barrier
	buffer_gl0_inv
	ds_load_b128 v[1:4], v21
	ds_load_b128 v[25:28], v22
	ds_load_b128 v[29:32], v22 offset:16
	ds_load_b128 v[33:36], v21 offset:256
	s_add_u32 s4, s4, 16
	s_addc_u32 s5, s5, 0
	v_add_co_u32 v9, vcc_lo, 0x100, v9
	v_cmp_ge_i64_e64 s7, s[4:5], s[16:17]
	v_add_co_ci_u32_e32 v10, vcc_lo, 0, v10, vcc_lo
	v_add_co_u32 v11, vcc_lo, 0x100, v11
	v_add_co_ci_u32_e32 v12, vcc_lo, 0, v12, vcc_lo
	s_delay_alu instid0(VALU_DEP_4)
	s_and_b32 vcc_lo, exec_lo, s7
	s_waitcnt lgkmcnt(2)
	v_mul_f64 v[37:38], v[27:28], v[3:4]
	v_mul_f64 v[3:4], v[25:26], v[3:4]
	s_waitcnt lgkmcnt(0)
	v_mul_f64 v[43:44], v[31:32], v[35:36]
	v_mul_f64 v[45:46], v[29:30], v[35:36]
	s_delay_alu instid0(VALU_DEP_4) | instskip(NEXT) | instid1(VALU_DEP_4)
	v_fma_f64 v[47:48], v[25:26], v[1:2], -v[37:38]
	v_fma_f64 v[49:50], v[27:28], v[1:2], v[3:4]
	ds_load_b128 v[1:4], v21 offset:512
	ds_load_b128 v[25:28], v22 offset:32
	;; [unrolled: 1-line block ×4, first 2 shown]
	v_fma_f64 v[29:30], v[29:30], v[33:34], -v[43:44]
	v_fma_f64 v[31:32], v[31:32], v[33:34], v[45:46]
	s_waitcnt lgkmcnt(2)
	v_mul_f64 v[51:52], v[27:28], v[3:4]
	v_mul_f64 v[3:4], v[25:26], v[3:4]
	s_waitcnt lgkmcnt(0)
	v_mul_f64 v[33:34], v[37:38], v[41:42]
	v_mul_f64 v[41:42], v[35:36], v[41:42]
	v_add_f64 v[15:16], v[15:16], v[47:48]
	v_add_f64 v[13:14], v[13:14], v[49:50]
	v_fma_f64 v[43:44], v[25:26], v[1:2], -v[51:52]
	v_fma_f64 v[45:46], v[27:28], v[1:2], v[3:4]
	v_fma_f64 v[33:34], v[35:36], v[39:40], -v[33:34]
	v_fma_f64 v[35:36], v[37:38], v[39:40], v[41:42]
	v_add_f64 v[47:48], v[15:16], v[29:30]
	v_add_f64 v[49:50], v[13:14], v[31:32]
	ds_load_b128 v[1:4], v21 offset:1024
	ds_load_b128 v[13:16], v22 offset:64
	;; [unrolled: 1-line block ×4, first 2 shown]
	s_waitcnt lgkmcnt(2)
	v_mul_f64 v[51:52], v[15:16], v[3:4]
	v_mul_f64 v[3:4], v[13:14], v[3:4]
	s_waitcnt lgkmcnt(0)
	v_mul_f64 v[41:42], v[27:28], v[31:32]
	v_add_f64 v[37:38], v[47:48], v[43:44]
	v_add_f64 v[39:40], v[49:50], v[45:46]
	v_mul_f64 v[43:44], v[25:26], v[31:32]
	v_fma_f64 v[45:46], v[13:14], v[1:2], -v[51:52]
	v_fma_f64 v[47:48], v[15:16], v[1:2], v[3:4]
	v_fma_f64 v[25:26], v[25:26], v[29:30], -v[41:42]
	v_add_f64 v[49:50], v[37:38], v[33:34]
	v_add_f64 v[39:40], v[39:40], v[35:36]
	ds_load_b128 v[1:4], v21 offset:1536
	ds_load_b128 v[13:16], v22 offset:96
	;; [unrolled: 1-line block ×4, first 2 shown]
	v_fma_f64 v[27:28], v[27:28], v[29:30], v[43:44]
	s_waitcnt lgkmcnt(2)
	v_mul_f64 v[51:52], v[15:16], v[3:4]
	v_mul_f64 v[3:4], v[13:14], v[3:4]
	s_waitcnt lgkmcnt(0)
	v_mul_f64 v[41:42], v[33:34], v[37:38]
	v_mul_f64 v[43:44], v[31:32], v[37:38]
	v_add_f64 v[29:30], v[49:50], v[45:46]
	v_add_f64 v[39:40], v[39:40], v[47:48]
	v_fma_f64 v[45:46], v[13:14], v[1:2], -v[51:52]
	v_fma_f64 v[47:48], v[15:16], v[1:2], v[3:4]
	v_fma_f64 v[31:32], v[31:32], v[35:36], -v[41:42]
	v_fma_f64 v[33:34], v[33:34], v[35:36], v[43:44]
	v_add_f64 v[29:30], v[29:30], v[25:26]
	v_add_f64 v[49:50], v[39:40], v[27:28]
	ds_load_b128 v[1:4], v21 offset:2048
	ds_load_b128 v[13:16], v22 offset:128
	;; [unrolled: 1-line block ×4, first 2 shown]
	s_waitcnt lgkmcnt(2)
	v_mul_f64 v[51:52], v[15:16], v[3:4]
	v_mul_f64 v[3:4], v[13:14], v[3:4]
	s_waitcnt lgkmcnt(0)
	v_mul_f64 v[41:42], v[27:28], v[39:40]
	v_mul_f64 v[39:40], v[25:26], v[39:40]
	v_add_f64 v[29:30], v[29:30], v[45:46]
	v_add_f64 v[35:36], v[49:50], v[47:48]
	v_fma_f64 v[43:44], v[13:14], v[1:2], -v[51:52]
	v_fma_f64 v[45:46], v[15:16], v[1:2], v[3:4]
	v_fma_f64 v[25:26], v[25:26], v[37:38], -v[41:42]
	v_fma_f64 v[27:28], v[27:28], v[37:38], v[39:40]
	v_add_f64 v[47:48], v[29:30], v[31:32]
	v_add_f64 v[49:50], v[35:36], v[33:34]
	ds_load_b128 v[1:4], v21 offset:2560
	ds_load_b128 v[13:16], v22 offset:160
	;; [unrolled: 1-line block ×4, first 2 shown]
	s_waitcnt lgkmcnt(2)
	v_mul_f64 v[51:52], v[15:16], v[3:4]
	v_mul_f64 v[3:4], v[13:14], v[3:4]
	s_waitcnt lgkmcnt(0)
	v_mul_f64 v[41:42], v[31:32], v[35:36]
	v_add_f64 v[37:38], v[47:48], v[43:44]
	v_add_f64 v[39:40], v[49:50], v[45:46]
	v_mul_f64 v[43:44], v[29:30], v[35:36]
	v_fma_f64 v[45:46], v[13:14], v[1:2], -v[51:52]
	v_fma_f64 v[47:48], v[15:16], v[1:2], v[3:4]
	v_fma_f64 v[29:30], v[29:30], v[33:34], -v[41:42]
	v_add_f64 v[49:50], v[37:38], v[25:26]
	v_add_f64 v[39:40], v[39:40], v[27:28]
	ds_load_b128 v[1:4], v21 offset:3072
	ds_load_b128 v[13:16], v22 offset:192
	;; [unrolled: 1-line block ×4, first 2 shown]
	v_fma_f64 v[31:32], v[31:32], v[33:34], v[43:44]
	s_waitcnt lgkmcnt(2)
	v_mul_f64 v[51:52], v[15:16], v[3:4]
	v_mul_f64 v[3:4], v[13:14], v[3:4]
	s_waitcnt lgkmcnt(0)
	v_mul_f64 v[41:42], v[27:28], v[37:38]
	v_mul_f64 v[43:44], v[25:26], v[37:38]
	v_add_f64 v[33:34], v[49:50], v[45:46]
	v_add_f64 v[39:40], v[39:40], v[47:48]
	v_fma_f64 v[45:46], v[13:14], v[1:2], -v[51:52]
	v_fma_f64 v[47:48], v[15:16], v[1:2], v[3:4]
	v_fma_f64 v[25:26], v[25:26], v[35:36], -v[41:42]
	v_fma_f64 v[27:28], v[27:28], v[35:36], v[43:44]
	v_add_f64 v[33:34], v[33:34], v[29:30]
	v_add_f64 v[49:50], v[39:40], v[31:32]
	ds_load_b128 v[1:4], v21 offset:3584
	ds_load_b128 v[13:16], v22 offset:224
	ds_load_b128 v[29:32], v22 offset:240
	ds_load_b128 v[37:40], v21 offset:3840
	s_waitcnt lgkmcnt(0)
	s_barrier
	buffer_gl0_inv
	v_mul_f64 v[51:52], v[15:16], v[3:4]
	v_mul_f64 v[3:4], v[13:14], v[3:4]
	;; [unrolled: 1-line block ×4, first 2 shown]
	v_add_f64 v[33:34], v[33:34], v[45:46]
	v_add_f64 v[35:36], v[49:50], v[47:48]
	v_fma_f64 v[13:14], v[13:14], v[1:2], -v[51:52]
	v_fma_f64 v[1:2], v[15:16], v[1:2], v[3:4]
	s_delay_alu instid0(VALU_DEP_4) | instskip(NEXT) | instid1(VALU_DEP_4)
	v_add_f64 v[3:4], v[33:34], v[25:26]
	v_add_f64 v[15:16], v[35:36], v[27:28]
	v_fma_f64 v[25:26], v[29:30], v[37:38], -v[41:42]
	v_fma_f64 v[27:28], v[31:32], v[37:38], v[39:40]
	s_delay_alu instid0(VALU_DEP_4) | instskip(NEXT) | instid1(VALU_DEP_4)
	v_add_f64 v[3:4], v[3:4], v[13:14]
	v_add_f64 v[1:2], v[15:16], v[1:2]
	s_delay_alu instid0(VALU_DEP_2) | instskip(NEXT) | instid1(VALU_DEP_2)
	v_add_f64 v[15:16], v[3:4], v[25:26]
	v_add_f64 v[13:14], v[1:2], v[27:28]
	s_cbranch_vccnz .LBB1363_9
.LBB1363_3:                             ; =>This Inner Loop Header: Depth=1
	v_add_co_u32 v1, s7, v20, s4
	s_delay_alu instid0(VALU_DEP_1) | instskip(SKIP_1) | instid1(VALU_DEP_2)
	v_add_co_ci_u32_e64 v2, null, 0, s5, s7
	v_dual_mov_b32 v3, v7 :: v_dual_mov_b32 v4, v8
	v_cmp_gt_i64_e32 vcc_lo, s[16:17], v[1:2]
	v_dual_mov_b32 v1, v7 :: v_dual_mov_b32 v2, v8
	s_and_b32 s8, s2, vcc_lo
	s_delay_alu instid0(SALU_CYCLE_1)
	s_and_saveexec_b32 s7, s8
	s_cbranch_execz .LBB1363_5
; %bb.4:                                ;   in Loop: Header=BB1363_3 Depth=1
	global_load_b128 v[1:4], v[11:12], off offset:-8
	s_waitcnt vmcnt(0)
	v_xor_b32_e32 v4, 0x80000000, v4
.LBB1363_5:                             ;   in Loop: Header=BB1363_3 Depth=1
	s_or_b32 exec_lo, exec_lo, s7
	v_add_co_u32 v25, s7, v19, s4
	s_delay_alu instid0(VALU_DEP_1) | instskip(SKIP_3) | instid1(SALU_CYCLE_1)
	v_add_co_ci_u32_e64 v26, null, 0, s5, s7
	ds_store_b128 v23, v[1:4]
	v_cmp_le_i64_e32 vcc_lo, s[16:17], v[25:26]
	s_or_b32 s7, s3, vcc_lo
	s_and_saveexec_b32 s8, s7
	s_delay_alu instid0(SALU_CYCLE_1)
	s_xor_b32 s7, exec_lo, s8
	s_cbranch_execz .LBB1363_7
; %bb.6:                                ;   in Loop: Header=BB1363_3 Depth=1
	v_mov_b32_e32 v1, v0
	v_mov_b32_e32 v2, v0
	;; [unrolled: 1-line block ×3, first 2 shown]
	ds_store_b128 v24, v[0:3]
.LBB1363_7:                             ;   in Loop: Header=BB1363_3 Depth=1
	s_and_not1_saveexec_b32 s7, s7
	s_cbranch_execz .LBB1363_2
; %bb.8:                                ;   in Loop: Header=BB1363_3 Depth=1
	global_load_b128 v[1:4], v[9:10], off
	s_waitcnt vmcnt(0)
	ds_store_2addr_b64 v24, v[1:2], v[3:4] offset1:1
	s_branch .LBB1363_2
.LBB1363_9:
	v_cmp_le_i32_e32 vcc_lo, v5, v17
	v_cmp_gt_i32_e64 s2, s6, v17
	s_delay_alu instid0(VALU_DEP_1) | instskip(NEXT) | instid1(SALU_CYCLE_1)
	s_and_b32 s2, vcc_lo, s2
	s_and_saveexec_b32 s3, s2
	s_cbranch_execz .LBB1363_11
; %bb.10:
	s_delay_alu instid0(VALU_DEP_3)
	v_mul_f64 v[0:1], s[18:19], v[13:14]
	v_mul_f64 v[2:3], s[20:21], v[13:14]
	s_clause 0x1
	s_load_b128 s[4:7], s[0:1], 0x60
	s_load_b64 s[0:1], s[0:1], 0x70
	s_waitcnt lgkmcnt(0)
	v_mul_lo_u32 v4, v17, s7
	v_mul_lo_u32 v9, v18, s6
	s_mul_i32 s1, s15, s1
	s_mul_hi_u32 s2, s15, s0
	s_mul_i32 s0, s15, s0
	s_add_i32 s1, s2, s1
	s_delay_alu instid0(SALU_CYCLE_1) | instskip(NEXT) | instid1(SALU_CYCLE_1)
	s_lshl_b64 s[0:1], s[0:1], 4
	s_add_u32 s0, s4, s0
	s_addc_u32 s1, s5, s1
	s_delay_alu instid0(VALU_DEP_4) | instskip(NEXT) | instid1(VALU_DEP_4)
	v_fma_f64 v[7:8], s[20:21], v[15:16], v[0:1]
	v_fma_f64 v[0:1], s[18:19], v[15:16], -v[2:3]
	v_mad_u64_u32 v[2:3], null, v17, s6, 0
	s_delay_alu instid0(VALU_DEP_1) | instskip(SKIP_1) | instid1(VALU_DEP_2)
	v_add3_u32 v3, v3, v4, v9
	v_lshlrev_b64 v[9:10], 4, v[5:6]
	v_lshlrev_b64 v[2:3], 4, v[2:3]
	s_delay_alu instid0(VALU_DEP_1) | instskip(NEXT) | instid1(VALU_DEP_2)
	v_add_co_u32 v2, vcc_lo, s0, v2
	v_add_co_ci_u32_e32 v3, vcc_lo, s1, v3, vcc_lo
	v_cmp_ne_u32_e32 vcc_lo, v5, v17
	s_delay_alu instid0(VALU_DEP_3) | instskip(NEXT) | instid1(VALU_DEP_1)
	v_add_co_u32 v4, s0, v2, v9
	v_add_co_ci_u32_e64 v5, s0, v3, v10, s0
	v_dual_cndmask_b32 v3, 0, v8 :: v_dual_cndmask_b32 v2, 0, v7
	global_store_b128 v[4:5], v[0:3], off
.LBB1363_11:
	s_nop 0
	s_sendmsg sendmsg(MSG_DEALLOC_VGPRS)
	s_endpgm
	.section	.rodata,"a",@progbits
	.p2align	6, 0x0
	.amdhsa_kernel _ZL32rocblas_syrkx_herkx_small_kernelIl19rocblas_complex_numIdELi16ELb1ELb1ELc67ELc85EKS1_S1_EviT_T0_PT6_S3_lS6_S3_lS4_PT7_S3_li
		.amdhsa_group_segment_fixed_size 8192
		.amdhsa_private_segment_fixed_size 0
		.amdhsa_kernarg_size 124
		.amdhsa_user_sgpr_count 13
		.amdhsa_user_sgpr_dispatch_ptr 0
		.amdhsa_user_sgpr_queue_ptr 0
		.amdhsa_user_sgpr_kernarg_segment_ptr 1
		.amdhsa_user_sgpr_dispatch_id 0
		.amdhsa_user_sgpr_private_segment_size 0
		.amdhsa_wavefront_size32 1
		.amdhsa_uses_dynamic_stack 0
		.amdhsa_enable_private_segment 0
		.amdhsa_system_sgpr_workgroup_id_x 1
		.amdhsa_system_sgpr_workgroup_id_y 1
		.amdhsa_system_sgpr_workgroup_id_z 1
		.amdhsa_system_sgpr_workgroup_info 0
		.amdhsa_system_vgpr_workitem_id 1
		.amdhsa_next_free_vgpr 53
		.amdhsa_next_free_sgpr 32
		.amdhsa_reserve_vcc 1
		.amdhsa_float_round_mode_32 0
		.amdhsa_float_round_mode_16_64 0
		.amdhsa_float_denorm_mode_32 3
		.amdhsa_float_denorm_mode_16_64 3
		.amdhsa_dx10_clamp 1
		.amdhsa_ieee_mode 1
		.amdhsa_fp16_overflow 0
		.amdhsa_workgroup_processor_mode 1
		.amdhsa_memory_ordered 1
		.amdhsa_forward_progress 0
		.amdhsa_shared_vgpr_count 0
		.amdhsa_exception_fp_ieee_invalid_op 0
		.amdhsa_exception_fp_denorm_src 0
		.amdhsa_exception_fp_ieee_div_zero 0
		.amdhsa_exception_fp_ieee_overflow 0
		.amdhsa_exception_fp_ieee_underflow 0
		.amdhsa_exception_fp_ieee_inexact 0
		.amdhsa_exception_int_div_zero 0
	.end_amdhsa_kernel
	.section	.text._ZL32rocblas_syrkx_herkx_small_kernelIl19rocblas_complex_numIdELi16ELb1ELb1ELc67ELc85EKS1_S1_EviT_T0_PT6_S3_lS6_S3_lS4_PT7_S3_li,"axG",@progbits,_ZL32rocblas_syrkx_herkx_small_kernelIl19rocblas_complex_numIdELi16ELb1ELb1ELc67ELc85EKS1_S1_EviT_T0_PT6_S3_lS6_S3_lS4_PT7_S3_li,comdat
.Lfunc_end1363:
	.size	_ZL32rocblas_syrkx_herkx_small_kernelIl19rocblas_complex_numIdELi16ELb1ELb1ELc67ELc85EKS1_S1_EviT_T0_PT6_S3_lS6_S3_lS4_PT7_S3_li, .Lfunc_end1363-_ZL32rocblas_syrkx_herkx_small_kernelIl19rocblas_complex_numIdELi16ELb1ELb1ELc67ELc85EKS1_S1_EviT_T0_PT6_S3_lS6_S3_lS4_PT7_S3_li
                                        ; -- End function
	.section	.AMDGPU.csdata,"",@progbits
; Kernel info:
; codeLenInByte = 2036
; NumSgprs: 34
; NumVgprs: 53
; ScratchSize: 0
; MemoryBound: 1
; FloatMode: 240
; IeeeMode: 1
; LDSByteSize: 8192 bytes/workgroup (compile time only)
; SGPRBlocks: 4
; VGPRBlocks: 6
; NumSGPRsForWavesPerEU: 34
; NumVGPRsForWavesPerEU: 53
; Occupancy: 16
; WaveLimiterHint : 0
; COMPUTE_PGM_RSRC2:SCRATCH_EN: 0
; COMPUTE_PGM_RSRC2:USER_SGPR: 13
; COMPUTE_PGM_RSRC2:TRAP_HANDLER: 0
; COMPUTE_PGM_RSRC2:TGID_X_EN: 1
; COMPUTE_PGM_RSRC2:TGID_Y_EN: 1
; COMPUTE_PGM_RSRC2:TGID_Z_EN: 1
; COMPUTE_PGM_RSRC2:TIDIG_COMP_CNT: 1
	.section	.text._ZL32rocblas_syrkx_herkx_small_kernelIl19rocblas_complex_numIdELi16ELb1ELb1ELc78ELc85EKS1_S1_EviT_T0_PT6_S3_lS6_S3_lS4_PT7_S3_li,"axG",@progbits,_ZL32rocblas_syrkx_herkx_small_kernelIl19rocblas_complex_numIdELi16ELb1ELb1ELc78ELc85EKS1_S1_EviT_T0_PT6_S3_lS6_S3_lS4_PT7_S3_li,comdat
	.globl	_ZL32rocblas_syrkx_herkx_small_kernelIl19rocblas_complex_numIdELi16ELb1ELb1ELc78ELc85EKS1_S1_EviT_T0_PT6_S3_lS6_S3_lS4_PT7_S3_li ; -- Begin function _ZL32rocblas_syrkx_herkx_small_kernelIl19rocblas_complex_numIdELi16ELb1ELb1ELc78ELc85EKS1_S1_EviT_T0_PT6_S3_lS6_S3_lS4_PT7_S3_li
	.p2align	8
	.type	_ZL32rocblas_syrkx_herkx_small_kernelIl19rocblas_complex_numIdELi16ELb1ELb1ELc78ELc85EKS1_S1_EviT_T0_PT6_S3_lS6_S3_lS4_PT7_S3_li,@function
_ZL32rocblas_syrkx_herkx_small_kernelIl19rocblas_complex_numIdELi16ELb1ELb1ELc78ELc85EKS1_S1_EviT_T0_PT6_S3_lS6_S3_lS4_PT7_S3_li: ; @_ZL32rocblas_syrkx_herkx_small_kernelIl19rocblas_complex_numIdELi16ELb1ELb1ELc78ELc85EKS1_S1_EviT_T0_PT6_S3_lS6_S3_lS4_PT7_S3_li
; %bb.0:
	s_clause 0x1
	s_load_b512 s[16:31], s[0:1], 0x8
	s_load_b32 s10, s[0:1], 0x0
	v_and_b32_e32 v17, 0x3ff, v0
	v_bfe_u32 v18, v0, 10, 10
	v_mov_b32_e32 v13, 0
	v_mov_b32_e32 v14, 0
	s_delay_alu instid0(VALU_DEP_4) | instskip(NEXT) | instid1(VALU_DEP_4)
	v_lshl_add_u32 v5, s13, 4, v17
	v_lshl_add_u32 v7, s14, 4, v18
	s_delay_alu instid0(VALU_DEP_3) | instskip(NEXT) | instid1(VALU_DEP_3)
	v_dual_mov_b32 v16, v14 :: v_dual_mov_b32 v15, v13
	v_ashrrev_i32_e32 v6, 31, v5
	s_delay_alu instid0(VALU_DEP_3) | instskip(SKIP_3) | instid1(VALU_DEP_2)
	v_ashrrev_i32_e32 v8, 31, v7
	s_waitcnt lgkmcnt(0)
	v_cmp_lt_i64_e64 s3, s[16:17], 1
	v_cmp_gt_i32_e64 s2, s10, v7
	s_and_b32 vcc_lo, exec_lo, s3
	s_cbranch_vccnz .LBB1364_9
; %bb.1:
	v_mad_u64_u32 v[1:2], null, s30, v17, 0
	v_mad_u64_u32 v[3:4], null, s24, v18, 0
	s_load_b64 s[4:5], s[0:1], 0x48
	s_mul_i32 s3, s27, s15
	s_mul_hi_u32 s7, s26, s15
	v_dual_mov_b32 v0, 0 :: v_dual_lshlrev_b32 v13, 8, v18
	s_add_i32 s7, s7, s3
	s_delay_alu instid0(VALU_DEP_2)
	v_mad_u64_u32 v[11:12], null, s31, v17, v[2:3]
	v_lshlrev_b32_e32 v19, 4, v17
	v_lshlrev_b64 v[9:10], 4, v[7:8]
	s_mul_i32 s6, s26, s15
	v_cmp_gt_i32_e32 vcc_lo, s10, v5
	s_mov_b64 s[8:9], 0
	s_delay_alu instid0(VALU_DEP_4)
	v_mov_b32_e32 v2, v11
	v_mad_u64_u32 v[11:12], null, s25, v18, v[4:5]
	v_add_nc_u32_e32 v21, 0x1000, v13
	v_dual_mov_b32 v13, 0 :: v_dual_add_nc_u32 v20, v19, v13
	s_waitcnt lgkmcnt(0)
	s_mul_i32 s3, s5, s15
	s_mul_hi_u32 s5, s4, s15
	v_lshlrev_b64 v[1:2], 4, v[1:2]
	s_mul_i32 s4, s4, s15
	s_add_i32 s5, s5, s3
	v_mov_b32_e32 v4, v11
	s_lshl_b64 s[4:5], s[4:5], 4
	v_mov_b32_e32 v14, 0
	v_add_co_u32 v1, s3, s4, v1
	s_delay_alu instid0(VALU_DEP_1) | instskip(SKIP_1) | instid1(VALU_DEP_2)
	v_add_co_ci_u32_e64 v2, s3, s5, v2, s3
	s_lshl_b64 s[4:5], s[6:7], 4
	v_add_co_u32 v9, s3, v1, v9
	s_delay_alu instid0(VALU_DEP_1) | instskip(SKIP_1) | instid1(VALU_DEP_3)
	v_add_co_ci_u32_e64 v10, s3, v2, v10, s3
	v_lshlrev_b64 v[1:2], 4, v[3:4]
	v_add_co_u32 v3, s3, v9, s28
	s_delay_alu instid0(VALU_DEP_1) | instskip(SKIP_1) | instid1(VALU_DEP_4)
	v_add_co_ci_u32_e64 v4, s3, s29, v10, s3
	v_add_nc_u32_e32 v22, v21, v19
	v_add_co_u32 v11, s3, s4, v1
	s_delay_alu instid0(VALU_DEP_1) | instskip(SKIP_2) | instid1(VALU_DEP_1)
	v_add_co_ci_u32_e64 v12, s3, s5, v2, s3
	v_lshlrev_b64 v[1:2], 4, v[5:6]
	v_add_co_u32 v9, s3, v3, 8
	v_add_co_ci_u32_e64 v10, s3, 0, v4, s3
	v_dual_mov_b32 v16, v14 :: v_dual_mov_b32 v15, v13
	s_delay_alu instid0(VALU_DEP_4) | instskip(NEXT) | instid1(VALU_DEP_1)
	v_add_co_u32 v1, s3, v11, v1
	v_add_co_ci_u32_e64 v2, s3, v12, v2, s3
	s_lshl_b64 s[4:5], s[30:31], 8
	s_delay_alu instid0(VALU_DEP_2) | instskip(NEXT) | instid1(VALU_DEP_1)
	v_add_co_u32 v11, s3, s22, v1
	v_add_co_ci_u32_e64 v12, s3, s23, v2, s3
	s_lshl_b64 s[6:7], s[24:25], 8
	s_xor_b32 s3, vcc_lo, -1
	s_branch .LBB1364_3
.LBB1364_2:                             ;   in Loop: Header=BB1364_3 Depth=1
	s_or_b32 exec_lo, exec_lo, s11
	ds_store_b128 v22, v[1:4]
	s_waitcnt lgkmcnt(0)
	s_barrier
	buffer_gl0_inv
	ds_load_b128 v[1:4], v19
	ds_load_b128 v[23:26], v21
	ds_load_b128 v[27:30], v21 offset:16
	ds_load_b128 v[31:34], v19 offset:256
	s_add_u32 s8, s8, 16
	s_addc_u32 s9, s9, 0
	v_add_co_u32 v9, vcc_lo, v9, s4
	v_cmp_ge_i64_e64 s11, s[8:9], s[16:17]
	v_add_co_ci_u32_e32 v10, vcc_lo, s5, v10, vcc_lo
	v_add_co_u32 v11, vcc_lo, v11, s6
	v_add_co_ci_u32_e32 v12, vcc_lo, s7, v12, vcc_lo
	s_delay_alu instid0(VALU_DEP_4)
	s_and_b32 vcc_lo, exec_lo, s11
	s_waitcnt lgkmcnt(2)
	v_mul_f64 v[35:36], v[25:26], v[3:4]
	v_mul_f64 v[3:4], v[23:24], v[3:4]
	s_waitcnt lgkmcnt(0)
	v_mul_f64 v[41:42], v[29:30], v[33:34]
	v_mul_f64 v[43:44], v[27:28], v[33:34]
	s_delay_alu instid0(VALU_DEP_4) | instskip(NEXT) | instid1(VALU_DEP_4)
	v_fma_f64 v[45:46], v[23:24], v[1:2], -v[35:36]
	v_fma_f64 v[47:48], v[25:26], v[1:2], v[3:4]
	ds_load_b128 v[1:4], v19 offset:512
	ds_load_b128 v[23:26], v21 offset:32
	;; [unrolled: 1-line block ×4, first 2 shown]
	v_fma_f64 v[27:28], v[27:28], v[31:32], -v[41:42]
	v_fma_f64 v[29:30], v[29:30], v[31:32], v[43:44]
	s_waitcnt lgkmcnt(2)
	v_mul_f64 v[49:50], v[25:26], v[3:4]
	v_mul_f64 v[3:4], v[23:24], v[3:4]
	s_waitcnt lgkmcnt(0)
	v_mul_f64 v[31:32], v[35:36], v[39:40]
	v_mul_f64 v[39:40], v[33:34], v[39:40]
	v_add_f64 v[15:16], v[15:16], v[45:46]
	v_add_f64 v[13:14], v[13:14], v[47:48]
	v_fma_f64 v[41:42], v[23:24], v[1:2], -v[49:50]
	v_fma_f64 v[43:44], v[25:26], v[1:2], v[3:4]
	v_fma_f64 v[31:32], v[33:34], v[37:38], -v[31:32]
	v_fma_f64 v[33:34], v[35:36], v[37:38], v[39:40]
	v_add_f64 v[45:46], v[15:16], v[27:28]
	v_add_f64 v[47:48], v[13:14], v[29:30]
	ds_load_b128 v[1:4], v19 offset:1024
	ds_load_b128 v[13:16], v21 offset:64
	;; [unrolled: 1-line block ×4, first 2 shown]
	s_waitcnt lgkmcnt(2)
	v_mul_f64 v[49:50], v[15:16], v[3:4]
	v_mul_f64 v[3:4], v[13:14], v[3:4]
	s_waitcnt lgkmcnt(0)
	v_mul_f64 v[39:40], v[25:26], v[29:30]
	v_add_f64 v[35:36], v[45:46], v[41:42]
	v_add_f64 v[37:38], v[47:48], v[43:44]
	v_mul_f64 v[41:42], v[23:24], v[29:30]
	v_fma_f64 v[43:44], v[13:14], v[1:2], -v[49:50]
	v_fma_f64 v[45:46], v[15:16], v[1:2], v[3:4]
	v_fma_f64 v[23:24], v[23:24], v[27:28], -v[39:40]
	v_add_f64 v[47:48], v[35:36], v[31:32]
	v_add_f64 v[37:38], v[37:38], v[33:34]
	ds_load_b128 v[1:4], v19 offset:1536
	ds_load_b128 v[13:16], v21 offset:96
	ds_load_b128 v[29:32], v21 offset:112
	ds_load_b128 v[33:36], v19 offset:1792
	v_fma_f64 v[25:26], v[25:26], v[27:28], v[41:42]
	s_waitcnt lgkmcnt(2)
	v_mul_f64 v[49:50], v[15:16], v[3:4]
	v_mul_f64 v[3:4], v[13:14], v[3:4]
	s_waitcnt lgkmcnt(0)
	v_mul_f64 v[39:40], v[31:32], v[35:36]
	v_mul_f64 v[41:42], v[29:30], v[35:36]
	v_add_f64 v[27:28], v[47:48], v[43:44]
	v_add_f64 v[37:38], v[37:38], v[45:46]
	v_fma_f64 v[43:44], v[13:14], v[1:2], -v[49:50]
	v_fma_f64 v[45:46], v[15:16], v[1:2], v[3:4]
	v_fma_f64 v[29:30], v[29:30], v[33:34], -v[39:40]
	v_fma_f64 v[31:32], v[31:32], v[33:34], v[41:42]
	v_add_f64 v[27:28], v[27:28], v[23:24]
	v_add_f64 v[47:48], v[37:38], v[25:26]
	ds_load_b128 v[1:4], v19 offset:2048
	ds_load_b128 v[13:16], v21 offset:128
	;; [unrolled: 1-line block ×4, first 2 shown]
	s_waitcnt lgkmcnt(2)
	v_mul_f64 v[49:50], v[15:16], v[3:4]
	v_mul_f64 v[3:4], v[13:14], v[3:4]
	s_waitcnt lgkmcnt(0)
	v_mul_f64 v[39:40], v[25:26], v[37:38]
	v_mul_f64 v[37:38], v[23:24], v[37:38]
	v_add_f64 v[27:28], v[27:28], v[43:44]
	v_add_f64 v[33:34], v[47:48], v[45:46]
	v_fma_f64 v[41:42], v[13:14], v[1:2], -v[49:50]
	v_fma_f64 v[43:44], v[15:16], v[1:2], v[3:4]
	v_fma_f64 v[23:24], v[23:24], v[35:36], -v[39:40]
	v_fma_f64 v[25:26], v[25:26], v[35:36], v[37:38]
	v_add_f64 v[45:46], v[27:28], v[29:30]
	v_add_f64 v[47:48], v[33:34], v[31:32]
	ds_load_b128 v[1:4], v19 offset:2560
	ds_load_b128 v[13:16], v21 offset:160
	;; [unrolled: 1-line block ×4, first 2 shown]
	s_waitcnt lgkmcnt(2)
	v_mul_f64 v[49:50], v[15:16], v[3:4]
	v_mul_f64 v[3:4], v[13:14], v[3:4]
	s_waitcnt lgkmcnt(0)
	v_mul_f64 v[39:40], v[29:30], v[33:34]
	v_add_f64 v[35:36], v[45:46], v[41:42]
	v_add_f64 v[37:38], v[47:48], v[43:44]
	v_mul_f64 v[41:42], v[27:28], v[33:34]
	v_fma_f64 v[43:44], v[13:14], v[1:2], -v[49:50]
	v_fma_f64 v[45:46], v[15:16], v[1:2], v[3:4]
	v_fma_f64 v[27:28], v[27:28], v[31:32], -v[39:40]
	v_add_f64 v[47:48], v[35:36], v[23:24]
	v_add_f64 v[37:38], v[37:38], v[25:26]
	ds_load_b128 v[1:4], v19 offset:3072
	ds_load_b128 v[13:16], v21 offset:192
	;; [unrolled: 1-line block ×4, first 2 shown]
	v_fma_f64 v[29:30], v[29:30], v[31:32], v[41:42]
	s_waitcnt lgkmcnt(2)
	v_mul_f64 v[49:50], v[15:16], v[3:4]
	v_mul_f64 v[3:4], v[13:14], v[3:4]
	s_waitcnt lgkmcnt(0)
	v_mul_f64 v[39:40], v[25:26], v[35:36]
	v_mul_f64 v[41:42], v[23:24], v[35:36]
	v_add_f64 v[31:32], v[47:48], v[43:44]
	v_add_f64 v[37:38], v[37:38], v[45:46]
	v_fma_f64 v[43:44], v[13:14], v[1:2], -v[49:50]
	v_fma_f64 v[45:46], v[15:16], v[1:2], v[3:4]
	v_fma_f64 v[23:24], v[23:24], v[33:34], -v[39:40]
	v_fma_f64 v[25:26], v[25:26], v[33:34], v[41:42]
	v_add_f64 v[31:32], v[31:32], v[27:28]
	v_add_f64 v[47:48], v[37:38], v[29:30]
	ds_load_b128 v[1:4], v19 offset:3584
	ds_load_b128 v[13:16], v21 offset:224
	;; [unrolled: 1-line block ×4, first 2 shown]
	s_waitcnt lgkmcnt(0)
	s_barrier
	buffer_gl0_inv
	v_mul_f64 v[49:50], v[15:16], v[3:4]
	v_mul_f64 v[3:4], v[13:14], v[3:4]
	;; [unrolled: 1-line block ×4, first 2 shown]
	v_add_f64 v[31:32], v[31:32], v[43:44]
	v_add_f64 v[33:34], v[47:48], v[45:46]
	v_fma_f64 v[13:14], v[13:14], v[1:2], -v[49:50]
	v_fma_f64 v[1:2], v[15:16], v[1:2], v[3:4]
	s_delay_alu instid0(VALU_DEP_4) | instskip(NEXT) | instid1(VALU_DEP_4)
	v_add_f64 v[3:4], v[31:32], v[23:24]
	v_add_f64 v[15:16], v[33:34], v[25:26]
	v_fma_f64 v[23:24], v[27:28], v[35:36], -v[39:40]
	v_fma_f64 v[25:26], v[29:30], v[35:36], v[37:38]
	s_delay_alu instid0(VALU_DEP_4) | instskip(NEXT) | instid1(VALU_DEP_4)
	v_add_f64 v[3:4], v[3:4], v[13:14]
	v_add_f64 v[1:2], v[15:16], v[1:2]
	s_delay_alu instid0(VALU_DEP_2) | instskip(NEXT) | instid1(VALU_DEP_2)
	v_add_f64 v[15:16], v[3:4], v[23:24]
	v_add_f64 v[13:14], v[1:2], v[25:26]
	s_cbranch_vccnz .LBB1364_9
.LBB1364_3:                             ; =>This Inner Loop Header: Depth=1
	v_add_co_u32 v1, s11, v18, s8
	s_delay_alu instid0(VALU_DEP_1) | instskip(NEXT) | instid1(VALU_DEP_1)
	v_add_co_ci_u32_e64 v2, null, 0, s9, s11
	v_cmp_le_i64_e32 vcc_lo, s[16:17], v[1:2]
	s_or_b32 s11, s3, vcc_lo
	s_delay_alu instid0(SALU_CYCLE_1) | instskip(NEXT) | instid1(SALU_CYCLE_1)
	s_and_saveexec_b32 s12, s11
	s_xor_b32 s11, exec_lo, s12
	s_cbranch_execz .LBB1364_5
; %bb.4:                                ;   in Loop: Header=BB1364_3 Depth=1
	v_mov_b32_e32 v1, v0
	v_mov_b32_e32 v2, v0
	;; [unrolled: 1-line block ×3, first 2 shown]
	ds_store_b128 v20, v[0:3]
.LBB1364_5:                             ;   in Loop: Header=BB1364_3 Depth=1
	s_and_not1_saveexec_b32 s11, s11
	s_cbranch_execz .LBB1364_7
; %bb.6:                                ;   in Loop: Header=BB1364_3 Depth=1
	global_load_b128 v[1:4], v[11:12], off
	s_waitcnt vmcnt(0)
	ds_store_2addr_b64 v20, v[1:2], v[3:4] offset1:1
.LBB1364_7:                             ;   in Loop: Header=BB1364_3 Depth=1
	s_or_b32 exec_lo, exec_lo, s11
	v_add_co_u32 v3, s11, v17, s8
	s_delay_alu instid0(VALU_DEP_1) | instskip(SKIP_2) | instid1(VALU_DEP_3)
	v_add_co_ci_u32_e64 v4, null, 0, s9, s11
	v_mov_b32_e32 v1, 0
	v_mov_b32_e32 v2, 0
	v_cmp_gt_i64_e32 vcc_lo, s[16:17], v[3:4]
	s_delay_alu instid0(VALU_DEP_2) | instskip(SKIP_1) | instid1(SALU_CYCLE_1)
	v_dual_mov_b32 v4, v2 :: v_dual_mov_b32 v3, v1
	s_and_b32 s12, s2, vcc_lo
	s_and_saveexec_b32 s11, s12
	s_cbranch_execz .LBB1364_2
; %bb.8:                                ;   in Loop: Header=BB1364_3 Depth=1
	global_load_b128 v[1:4], v[9:10], off offset:-8
	s_waitcnt vmcnt(0)
	v_xor_b32_e32 v4, 0x80000000, v4
	s_branch .LBB1364_2
.LBB1364_9:
	v_cmp_le_i32_e32 vcc_lo, v5, v7
	v_cmp_gt_i32_e64 s2, s10, v7
	s_delay_alu instid0(VALU_DEP_1) | instskip(NEXT) | instid1(SALU_CYCLE_1)
	s_and_b32 s2, vcc_lo, s2
	s_and_saveexec_b32 s3, s2
	s_cbranch_execz .LBB1364_11
; %bb.10:
	s_delay_alu instid0(VALU_DEP_3)
	v_mul_f64 v[0:1], s[18:19], v[13:14]
	v_mul_f64 v[2:3], s[20:21], v[13:14]
	s_clause 0x1
	s_load_b128 s[4:7], s[0:1], 0x60
	s_load_b64 s[0:1], s[0:1], 0x70
	v_lshlrev_b64 v[11:12], 4, v[5:6]
	s_waitcnt lgkmcnt(0)
	v_mul_lo_u32 v4, v7, s7
	v_mul_lo_u32 v8, v8, s6
	s_mul_i32 s1, s15, s1
	s_mul_hi_u32 s2, s15, s0
	s_mul_i32 s0, s15, s0
	s_add_i32 s1, s2, s1
	s_delay_alu instid0(SALU_CYCLE_1) | instskip(NEXT) | instid1(SALU_CYCLE_1)
	s_lshl_b64 s[0:1], s[0:1], 4
	s_add_u32 s0, s4, s0
	s_addc_u32 s1, s5, s1
	v_fma_f64 v[9:10], s[20:21], v[15:16], v[0:1]
	v_fma_f64 v[0:1], s[18:19], v[15:16], -v[2:3]
	v_mad_u64_u32 v[2:3], null, v7, s6, 0
	s_delay_alu instid0(VALU_DEP_1) | instskip(NEXT) | instid1(VALU_DEP_1)
	v_add3_u32 v3, v3, v4, v8
	v_lshlrev_b64 v[2:3], 4, v[2:3]
	s_delay_alu instid0(VALU_DEP_1) | instskip(NEXT) | instid1(VALU_DEP_2)
	v_add_co_u32 v2, vcc_lo, s0, v2
	v_add_co_ci_u32_e32 v3, vcc_lo, s1, v3, vcc_lo
	v_cmp_ne_u32_e32 vcc_lo, v5, v7
	s_delay_alu instid0(VALU_DEP_3) | instskip(NEXT) | instid1(VALU_DEP_1)
	v_add_co_u32 v4, s0, v2, v11
	v_add_co_ci_u32_e64 v5, s0, v3, v12, s0
	v_dual_cndmask_b32 v3, 0, v10 :: v_dual_cndmask_b32 v2, 0, v9
	global_store_b128 v[4:5], v[0:3], off
.LBB1364_11:
	s_nop 0
	s_sendmsg sendmsg(MSG_DEALLOC_VGPRS)
	s_endpgm
	.section	.rodata,"a",@progbits
	.p2align	6, 0x0
	.amdhsa_kernel _ZL32rocblas_syrkx_herkx_small_kernelIl19rocblas_complex_numIdELi16ELb1ELb1ELc78ELc85EKS1_S1_EviT_T0_PT6_S3_lS6_S3_lS4_PT7_S3_li
		.amdhsa_group_segment_fixed_size 8192
		.amdhsa_private_segment_fixed_size 0
		.amdhsa_kernarg_size 124
		.amdhsa_user_sgpr_count 13
		.amdhsa_user_sgpr_dispatch_ptr 0
		.amdhsa_user_sgpr_queue_ptr 0
		.amdhsa_user_sgpr_kernarg_segment_ptr 1
		.amdhsa_user_sgpr_dispatch_id 0
		.amdhsa_user_sgpr_private_segment_size 0
		.amdhsa_wavefront_size32 1
		.amdhsa_uses_dynamic_stack 0
		.amdhsa_enable_private_segment 0
		.amdhsa_system_sgpr_workgroup_id_x 1
		.amdhsa_system_sgpr_workgroup_id_y 1
		.amdhsa_system_sgpr_workgroup_id_z 1
		.amdhsa_system_sgpr_workgroup_info 0
		.amdhsa_system_vgpr_workitem_id 1
		.amdhsa_next_free_vgpr 51
		.amdhsa_next_free_sgpr 32
		.amdhsa_reserve_vcc 1
		.amdhsa_float_round_mode_32 0
		.amdhsa_float_round_mode_16_64 0
		.amdhsa_float_denorm_mode_32 3
		.amdhsa_float_denorm_mode_16_64 3
		.amdhsa_dx10_clamp 1
		.amdhsa_ieee_mode 1
		.amdhsa_fp16_overflow 0
		.amdhsa_workgroup_processor_mode 1
		.amdhsa_memory_ordered 1
		.amdhsa_forward_progress 0
		.amdhsa_shared_vgpr_count 0
		.amdhsa_exception_fp_ieee_invalid_op 0
		.amdhsa_exception_fp_denorm_src 0
		.amdhsa_exception_fp_ieee_div_zero 0
		.amdhsa_exception_fp_ieee_overflow 0
		.amdhsa_exception_fp_ieee_underflow 0
		.amdhsa_exception_fp_ieee_inexact 0
		.amdhsa_exception_int_div_zero 0
	.end_amdhsa_kernel
	.section	.text._ZL32rocblas_syrkx_herkx_small_kernelIl19rocblas_complex_numIdELi16ELb1ELb1ELc78ELc85EKS1_S1_EviT_T0_PT6_S3_lS6_S3_lS4_PT7_S3_li,"axG",@progbits,_ZL32rocblas_syrkx_herkx_small_kernelIl19rocblas_complex_numIdELi16ELb1ELb1ELc78ELc85EKS1_S1_EviT_T0_PT6_S3_lS6_S3_lS4_PT7_S3_li,comdat
.Lfunc_end1364:
	.size	_ZL32rocblas_syrkx_herkx_small_kernelIl19rocblas_complex_numIdELi16ELb1ELb1ELc78ELc85EKS1_S1_EviT_T0_PT6_S3_lS6_S3_lS4_PT7_S3_li, .Lfunc_end1364-_ZL32rocblas_syrkx_herkx_small_kernelIl19rocblas_complex_numIdELi16ELb1ELb1ELc78ELc85EKS1_S1_EviT_T0_PT6_S3_lS6_S3_lS4_PT7_S3_li
                                        ; -- End function
	.section	.AMDGPU.csdata,"",@progbits
; Kernel info:
; codeLenInByte = 2060
; NumSgprs: 34
; NumVgprs: 51
; ScratchSize: 0
; MemoryBound: 1
; FloatMode: 240
; IeeeMode: 1
; LDSByteSize: 8192 bytes/workgroup (compile time only)
; SGPRBlocks: 4
; VGPRBlocks: 6
; NumSGPRsForWavesPerEU: 34
; NumVGPRsForWavesPerEU: 51
; Occupancy: 16
; WaveLimiterHint : 0
; COMPUTE_PGM_RSRC2:SCRATCH_EN: 0
; COMPUTE_PGM_RSRC2:USER_SGPR: 13
; COMPUTE_PGM_RSRC2:TRAP_HANDLER: 0
; COMPUTE_PGM_RSRC2:TGID_X_EN: 1
; COMPUTE_PGM_RSRC2:TGID_Y_EN: 1
; COMPUTE_PGM_RSRC2:TGID_Z_EN: 1
; COMPUTE_PGM_RSRC2:TIDIG_COMP_CNT: 1
	.section	.text._ZL32rocblas_syrkx_herkx_small_kernelIl19rocblas_complex_numIdELi16ELb0ELb1ELc84ELc76EKS1_S1_EviT_T0_PT6_S3_lS6_S3_lS4_PT7_S3_li,"axG",@progbits,_ZL32rocblas_syrkx_herkx_small_kernelIl19rocblas_complex_numIdELi16ELb0ELb1ELc84ELc76EKS1_S1_EviT_T0_PT6_S3_lS6_S3_lS4_PT7_S3_li,comdat
	.globl	_ZL32rocblas_syrkx_herkx_small_kernelIl19rocblas_complex_numIdELi16ELb0ELb1ELc84ELc76EKS1_S1_EviT_T0_PT6_S3_lS6_S3_lS4_PT7_S3_li ; -- Begin function _ZL32rocblas_syrkx_herkx_small_kernelIl19rocblas_complex_numIdELi16ELb0ELb1ELc84ELc76EKS1_S1_EviT_T0_PT6_S3_lS6_S3_lS4_PT7_S3_li
	.p2align	8
	.type	_ZL32rocblas_syrkx_herkx_small_kernelIl19rocblas_complex_numIdELi16ELb0ELb1ELc84ELc76EKS1_S1_EviT_T0_PT6_S3_lS6_S3_lS4_PT7_S3_li,@function
_ZL32rocblas_syrkx_herkx_small_kernelIl19rocblas_complex_numIdELi16ELb0ELb1ELc84ELc76EKS1_S1_EviT_T0_PT6_S3_lS6_S3_lS4_PT7_S3_li: ; @_ZL32rocblas_syrkx_herkx_small_kernelIl19rocblas_complex_numIdELi16ELb0ELb1ELc84ELc76EKS1_S1_EviT_T0_PT6_S3_lS6_S3_lS4_PT7_S3_li
; %bb.0:
	s_clause 0x3
	s_load_b512 s[16:31], s[0:1], 0x8
	s_load_b32 s12, s[0:1], 0x0
	s_load_b128 s[36:39], s[0:1], 0x68
	s_load_b256 s[4:11], s[0:1], 0x48
	v_and_b32_e32 v16, 0x3ff, v0
	v_bfe_u32 v17, v0, 10, 10
	v_mov_b32_e32 v10, 0
	v_mov_b32_e32 v11, 0
	s_delay_alu instid0(VALU_DEP_4) | instskip(NEXT) | instid1(VALU_DEP_4)
	v_lshl_add_u32 v4, s13, 4, v16
	v_lshl_add_u32 v14, s14, 4, v17
	s_delay_alu instid0(VALU_DEP_3) | instskip(NEXT) | instid1(VALU_DEP_3)
	v_dual_mov_b32 v13, v11 :: v_dual_mov_b32 v12, v10
	v_ashrrev_i32_e32 v5, 31, v4
	s_delay_alu instid0(VALU_DEP_3) | instskip(SKIP_3) | instid1(VALU_DEP_2)
	v_ashrrev_i32_e32 v15, 31, v14
	s_waitcnt lgkmcnt(0)
	v_cmp_lt_i64_e64 s1, s[16:17], 1
	v_cmp_gt_i32_e64 s0, s12, v4
	s_and_b32 vcc_lo, exec_lo, s1
	s_cbranch_vccnz .LBB1365_11
; %bb.1:
	v_dual_mov_b32 v0, 0 :: v_dual_lshlrev_b32 v3, 8, v17
	v_lshlrev_b32_e32 v18, 4, v16
	v_mul_lo_u32 v8, s31, v14
	v_mul_lo_u32 v9, s30, v15
	v_mad_u64_u32 v[1:2], null, s30, v14, 0
	s_delay_alu instid0(VALU_DEP_4)
	v_add_nc_u32_e32 v19, v18, v3
	v_add_nc_u32_e32 v20, 0x1000, v3
	v_mul_lo_u32 v3, s25, v4
	v_mul_lo_u32 v10, s24, v5
	v_mad_u64_u32 v[6:7], null, s24, v4, 0
	v_add3_u32 v2, v2, v9, v8
	s_mul_i32 s1, s5, s15
	s_mul_hi_u32 s2, s4, s15
	v_cmp_gt_i32_e32 vcc_lo, s12, v14
	s_add_i32 s3, s2, s1
	v_lshlrev_b64 v[1:2], 4, v[1:2]
	s_delay_alu instid0(VALU_DEP_4)
	v_add3_u32 v7, v7, v10, v3
	s_mul_i32 s2, s4, s15
	s_mul_i32 s1, s27, s15
	s_lshl_b64 s[2:3], s[2:3], 4
	s_mul_hi_u32 s4, s26, s15
	v_lshlrev_b64 v[6:7], 4, v[6:7]
	s_add_i32 s5, s4, s1
	s_mul_i32 s4, s26, s15
	v_add_co_u32 v1, s1, v1, s2
	s_delay_alu instid0(VALU_DEP_1) | instskip(SKIP_3) | instid1(VALU_DEP_1)
	v_add_co_ci_u32_e64 v2, s1, s3, v2, s1
	s_lshl_b64 s[2:3], s[4:5], 4
	v_mov_b32_e32 v10, 0
	v_add_co_u32 v3, s1, v6, s2
	v_add_co_ci_u32_e64 v6, s1, s3, v7, s1
	v_lshlrev_b32_e32 v7, 4, v17
	v_mov_b32_e32 v11, 0
	v_add_co_u32 v1, s1, v1, v18
	s_delay_alu instid0(VALU_DEP_1) | instskip(NEXT) | instid1(VALU_DEP_3)
	v_add_co_ci_u32_e64 v2, s1, 0, v2, s1
	v_mov_b32_e32 v13, v11
	v_add_co_u32 v3, s1, v3, v7
	s_delay_alu instid0(VALU_DEP_1) | instskip(SKIP_1) | instid1(VALU_DEP_1)
	v_add_co_ci_u32_e64 v9, s1, 0, v6, s1
	v_add_co_u32 v6, s1, s28, v1
	v_add_co_ci_u32_e64 v7, s1, s29, v2, s1
	s_delay_alu instid0(VALU_DEP_4)
	v_add_co_u32 v8, s1, s22, v3
	v_dual_mov_b32 v12, v10 :: v_dual_add_nc_u32 v21, v20, v18
	v_add_co_ci_u32_e64 v9, s1, s23, v9, s1
	s_mov_b64 s[2:3], 0
	s_xor_b32 s0, s0, -1
	s_xor_b32 s1, vcc_lo, -1
	s_branch .LBB1365_3
.LBB1365_2:                             ;   in Loop: Header=BB1365_3 Depth=1
	s_or_b32 exec_lo, exec_lo, s4
	s_waitcnt lgkmcnt(0)
	s_barrier
	buffer_gl0_inv
	ds_load_b128 v[22:25], v18
	ds_load_b128 v[26:29], v20
	ds_load_b128 v[30:33], v20 offset:16
	ds_load_b128 v[34:37], v18 offset:256
	s_add_u32 s2, s2, 16
	s_addc_u32 s3, s3, 0
	v_add_co_u32 v6, vcc_lo, 0x100, v6
	v_cmp_ge_i64_e64 s4, s[2:3], s[16:17]
	v_add_co_ci_u32_e32 v7, vcc_lo, 0, v7, vcc_lo
	v_add_co_u32 v8, vcc_lo, 0x100, v8
	v_add_co_ci_u32_e32 v9, vcc_lo, 0, v9, vcc_lo
	s_delay_alu instid0(VALU_DEP_4)
	s_and_b32 vcc_lo, exec_lo, s4
	s_waitcnt lgkmcnt(2)
	v_mul_f64 v[1:2], v[28:29], v[24:25]
	v_mul_f64 v[24:25], v[26:27], v[24:25]
	s_waitcnt lgkmcnt(0)
	v_mul_f64 v[44:45], v[32:33], v[36:37]
	v_mul_f64 v[46:47], v[30:31], v[36:37]
	s_delay_alu instid0(VALU_DEP_4) | instskip(NEXT) | instid1(VALU_DEP_4)
	v_fma_f64 v[1:2], v[26:27], v[22:23], -v[1:2]
	v_fma_f64 v[48:49], v[28:29], v[22:23], v[24:25]
	ds_load_b128 v[22:25], v18 offset:512
	ds_load_b128 v[26:29], v20 offset:32
	;; [unrolled: 1-line block ×4, first 2 shown]
	v_fma_f64 v[30:31], v[30:31], v[34:35], -v[44:45]
	v_fma_f64 v[32:33], v[32:33], v[34:35], v[46:47]
	s_waitcnt lgkmcnt(2)
	v_mul_f64 v[50:51], v[28:29], v[24:25]
	v_mul_f64 v[24:25], v[26:27], v[24:25]
	s_waitcnt lgkmcnt(0)
	v_mul_f64 v[34:35], v[38:39], v[42:43]
	v_mul_f64 v[42:43], v[36:37], v[42:43]
	v_add_f64 v[1:2], v[12:13], v[1:2]
	v_add_f64 v[10:11], v[10:11], v[48:49]
	v_fma_f64 v[44:45], v[26:27], v[22:23], -v[50:51]
	v_fma_f64 v[46:47], v[28:29], v[22:23], v[24:25]
	v_fma_f64 v[34:35], v[36:37], v[40:41], -v[34:35]
	v_fma_f64 v[36:37], v[38:39], v[40:41], v[42:43]
	v_add_f64 v[1:2], v[1:2], v[30:31]
	v_add_f64 v[48:49], v[10:11], v[32:33]
	ds_load_b128 v[10:13], v18 offset:1024
	ds_load_b128 v[22:25], v20 offset:64
	ds_load_b128 v[26:29], v20 offset:80
	ds_load_b128 v[30:33], v18 offset:1280
	s_waitcnt lgkmcnt(2)
	v_mul_f64 v[50:51], v[24:25], v[12:13]
	v_mul_f64 v[12:13], v[22:23], v[12:13]
	s_waitcnt lgkmcnt(0)
	v_mul_f64 v[40:41], v[28:29], v[32:33]
	v_mul_f64 v[42:43], v[26:27], v[32:33]
	v_add_f64 v[1:2], v[1:2], v[44:45]
	v_add_f64 v[38:39], v[48:49], v[46:47]
	v_fma_f64 v[44:45], v[22:23], v[10:11], -v[50:51]
	v_fma_f64 v[46:47], v[24:25], v[10:11], v[12:13]
	v_fma_f64 v[26:27], v[26:27], v[30:31], -v[40:41]
	v_fma_f64 v[28:29], v[28:29], v[30:31], v[42:43]
	v_add_f64 v[1:2], v[1:2], v[34:35]
	v_add_f64 v[48:49], v[38:39], v[36:37]
	ds_load_b128 v[10:13], v18 offset:1536
	ds_load_b128 v[22:25], v20 offset:96
	;; [unrolled: 1-line block ×4, first 2 shown]
	s_waitcnt lgkmcnt(2)
	v_mul_f64 v[50:51], v[24:25], v[12:13]
	v_mul_f64 v[12:13], v[22:23], v[12:13]
	s_waitcnt lgkmcnt(0)
	v_mul_f64 v[42:43], v[34:35], v[38:39]
	v_add_f64 v[1:2], v[1:2], v[44:45]
	v_add_f64 v[30:31], v[48:49], v[46:47]
	v_mul_f64 v[44:45], v[32:33], v[38:39]
	v_fma_f64 v[46:47], v[22:23], v[10:11], -v[50:51]
	v_fma_f64 v[48:49], v[24:25], v[10:11], v[12:13]
	v_fma_f64 v[32:33], v[32:33], v[36:37], -v[42:43]
	v_add_f64 v[1:2], v[1:2], v[26:27]
	v_add_f64 v[30:31], v[30:31], v[28:29]
	ds_load_b128 v[10:13], v18 offset:2048
	ds_load_b128 v[22:25], v20 offset:128
	;; [unrolled: 1-line block ×4, first 2 shown]
	v_fma_f64 v[34:35], v[34:35], v[36:37], v[44:45]
	s_waitcnt lgkmcnt(2)
	v_mul_f64 v[50:51], v[24:25], v[12:13]
	v_mul_f64 v[12:13], v[22:23], v[12:13]
	s_waitcnt lgkmcnt(0)
	v_mul_f64 v[42:43], v[28:29], v[40:41]
	v_mul_f64 v[40:41], v[26:27], v[40:41]
	v_add_f64 v[1:2], v[1:2], v[46:47]
	v_add_f64 v[30:31], v[30:31], v[48:49]
	v_fma_f64 v[44:45], v[22:23], v[10:11], -v[50:51]
	v_fma_f64 v[46:47], v[24:25], v[10:11], v[12:13]
	v_fma_f64 v[26:27], v[26:27], v[38:39], -v[42:43]
	v_fma_f64 v[28:29], v[28:29], v[38:39], v[40:41]
	v_add_f64 v[1:2], v[1:2], v[32:33]
	v_add_f64 v[48:49], v[30:31], v[34:35]
	ds_load_b128 v[10:13], v18 offset:2560
	ds_load_b128 v[22:25], v20 offset:160
	ds_load_b128 v[30:33], v20 offset:176
	ds_load_b128 v[34:37], v18 offset:2816
	s_waitcnt lgkmcnt(2)
	v_mul_f64 v[50:51], v[24:25], v[12:13]
	v_mul_f64 v[12:13], v[22:23], v[12:13]
	s_waitcnt lgkmcnt(0)
	v_mul_f64 v[40:41], v[32:33], v[36:37]
	v_mul_f64 v[42:43], v[30:31], v[36:37]
	v_add_f64 v[1:2], v[1:2], v[44:45]
	v_add_f64 v[38:39], v[48:49], v[46:47]
	v_fma_f64 v[44:45], v[22:23], v[10:11], -v[50:51]
	v_fma_f64 v[46:47], v[24:25], v[10:11], v[12:13]
	v_fma_f64 v[30:31], v[30:31], v[34:35], -v[40:41]
	v_fma_f64 v[32:33], v[32:33], v[34:35], v[42:43]
	v_add_f64 v[1:2], v[1:2], v[26:27]
	v_add_f64 v[48:49], v[38:39], v[28:29]
	ds_load_b128 v[10:13], v18 offset:3072
	ds_load_b128 v[22:25], v20 offset:192
	;; [unrolled: 1-line block ×4, first 2 shown]
	s_waitcnt lgkmcnt(2)
	v_mul_f64 v[50:51], v[24:25], v[12:13]
	v_mul_f64 v[12:13], v[22:23], v[12:13]
	s_waitcnt lgkmcnt(0)
	v_mul_f64 v[42:43], v[28:29], v[38:39]
	v_add_f64 v[1:2], v[1:2], v[44:45]
	v_add_f64 v[34:35], v[48:49], v[46:47]
	v_mul_f64 v[44:45], v[26:27], v[38:39]
	v_fma_f64 v[46:47], v[22:23], v[10:11], -v[50:51]
	v_fma_f64 v[48:49], v[24:25], v[10:11], v[12:13]
	v_fma_f64 v[26:27], v[26:27], v[36:37], -v[42:43]
	v_add_f64 v[1:2], v[1:2], v[30:31]
	v_add_f64 v[34:35], v[34:35], v[32:33]
	ds_load_b128 v[10:13], v18 offset:3584
	ds_load_b128 v[22:25], v20 offset:224
	;; [unrolled: 1-line block ×4, first 2 shown]
	v_fma_f64 v[28:29], v[28:29], v[36:37], v[44:45]
	s_waitcnt lgkmcnt(0)
	s_barrier
	buffer_gl0_inv
	v_mul_f64 v[50:51], v[24:25], v[12:13]
	v_mul_f64 v[12:13], v[22:23], v[12:13]
	;; [unrolled: 1-line block ×4, first 2 shown]
	v_add_f64 v[1:2], v[1:2], v[46:47]
	v_add_f64 v[34:35], v[34:35], v[48:49]
	v_fma_f64 v[22:23], v[22:23], v[10:11], -v[50:51]
	v_fma_f64 v[10:11], v[24:25], v[10:11], v[12:13]
	v_fma_f64 v[24:25], v[30:31], v[38:39], -v[36:37]
	v_add_f64 v[1:2], v[1:2], v[26:27]
	v_add_f64 v[12:13], v[34:35], v[28:29]
	v_fma_f64 v[26:27], v[32:33], v[38:39], v[40:41]
	s_delay_alu instid0(VALU_DEP_3) | instskip(NEXT) | instid1(VALU_DEP_3)
	v_add_f64 v[1:2], v[1:2], v[22:23]
	v_add_f64 v[10:11], v[12:13], v[10:11]
	s_delay_alu instid0(VALU_DEP_2) | instskip(NEXT) | instid1(VALU_DEP_2)
	v_add_f64 v[12:13], v[1:2], v[24:25]
	v_add_f64 v[10:11], v[10:11], v[26:27]
	s_cbranch_vccnz .LBB1365_11
.LBB1365_3:                             ; =>This Inner Loop Header: Depth=1
	v_add_co_u32 v1, s4, v17, s2
	s_delay_alu instid0(VALU_DEP_1) | instskip(NEXT) | instid1(VALU_DEP_1)
	v_add_co_ci_u32_e64 v2, null, 0, s3, s4
	v_cmp_le_i64_e32 vcc_lo, s[16:17], v[1:2]
	s_or_b32 s4, s0, vcc_lo
	s_delay_alu instid0(SALU_CYCLE_1) | instskip(NEXT) | instid1(SALU_CYCLE_1)
	s_and_saveexec_b32 s5, s4
	s_xor_b32 s4, exec_lo, s5
	s_cbranch_execz .LBB1365_5
; %bb.4:                                ;   in Loop: Header=BB1365_3 Depth=1
	v_mov_b32_e32 v1, v0
	v_mov_b32_e32 v2, v0
	;; [unrolled: 1-line block ×3, first 2 shown]
	ds_store_b128 v19, v[0:3]
.LBB1365_5:                             ;   in Loop: Header=BB1365_3 Depth=1
	s_and_not1_saveexec_b32 s4, s4
	s_cbranch_execz .LBB1365_7
; %bb.6:                                ;   in Loop: Header=BB1365_3 Depth=1
	global_load_b128 v[22:25], v[8:9], off
	s_waitcnt vmcnt(0)
	ds_store_2addr_b64 v19, v[22:23], v[24:25] offset1:1
.LBB1365_7:                             ;   in Loop: Header=BB1365_3 Depth=1
	s_or_b32 exec_lo, exec_lo, s4
	v_add_co_u32 v1, s4, v16, s2
	s_delay_alu instid0(VALU_DEP_1) | instskip(NEXT) | instid1(VALU_DEP_1)
	v_add_co_ci_u32_e64 v2, null, 0, s3, s4
	v_cmp_le_i64_e32 vcc_lo, s[16:17], v[1:2]
	s_or_b32 s4, s1, vcc_lo
	s_delay_alu instid0(SALU_CYCLE_1) | instskip(NEXT) | instid1(SALU_CYCLE_1)
	s_and_saveexec_b32 s5, s4
	s_xor_b32 s4, exec_lo, s5
	s_cbranch_execz .LBB1365_9
; %bb.8:                                ;   in Loop: Header=BB1365_3 Depth=1
	v_mov_b32_e32 v1, v0
	v_mov_b32_e32 v2, v0
	;; [unrolled: 1-line block ×3, first 2 shown]
	ds_store_b128 v21, v[0:3]
.LBB1365_9:                             ;   in Loop: Header=BB1365_3 Depth=1
	s_and_not1_saveexec_b32 s4, s4
	s_cbranch_execz .LBB1365_2
; %bb.10:                               ;   in Loop: Header=BB1365_3 Depth=1
	global_load_b128 v[22:25], v[6:7], off
	s_waitcnt vmcnt(0)
	ds_store_2addr_b64 v21, v[22:23], v[24:25] offset1:1
	s_branch .LBB1365_2
.LBB1365_11:
	v_cmp_le_i32_e32 vcc_lo, v14, v4
	v_cmp_gt_i32_e64 s0, s12, v4
	s_delay_alu instid0(VALU_DEP_1) | instskip(NEXT) | instid1(SALU_CYCLE_1)
	s_and_b32 s0, vcc_lo, s0
	s_and_saveexec_b32 s1, s0
	s_cbranch_execz .LBB1365_13
; %bb.12:
	v_mul_lo_u32 v2, v14, s37
	v_mul_lo_u32 v3, v15, s36
	v_mad_u64_u32 v[0:1], null, v14, s36, 0
	s_mul_i32 s1, s15, s39
	s_mul_hi_u32 s2, s15, s38
	s_mul_i32 s0, s15, s38
	s_add_i32 s1, s2, s1
	v_mul_f64 v[7:8], s[18:19], v[10:11]
	s_lshl_b64 s[0:1], s[0:1], 4
	s_delay_alu instid0(VALU_DEP_2)
	v_add3_u32 v1, v1, v2, v3
	s_add_u32 s0, s10, s0
	v_lshlrev_b64 v[2:3], 4, v[4:5]
	s_addc_u32 s1, s11, s1
	v_mul_f64 v[9:10], s[20:21], v[10:11]
	v_lshlrev_b64 v[0:1], 4, v[0:1]
	s_delay_alu instid0(VALU_DEP_1) | instskip(NEXT) | instid1(VALU_DEP_2)
	v_add_co_u32 v0, vcc_lo, s0, v0
	v_add_co_ci_u32_e32 v1, vcc_lo, s1, v1, vcc_lo
	s_delay_alu instid0(VALU_DEP_2) | instskip(NEXT) | instid1(VALU_DEP_2)
	v_add_co_u32 v5, vcc_lo, v0, v2
	v_add_co_ci_u32_e32 v6, vcc_lo, v1, v3, vcc_lo
	v_cmp_ne_u32_e32 vcc_lo, v4, v14
	global_load_b128 v[0:3], v[5:6], off
	v_fma_f64 v[7:8], s[20:21], v[12:13], v[7:8]
	v_fma_f64 v[9:10], s[18:19], v[12:13], -v[9:10]
	s_waitcnt vmcnt(0)
	v_mul_f64 v[15:16], s[6:7], v[2:3]
	v_mul_f64 v[2:3], s[8:9], v[2:3]
	s_delay_alu instid0(VALU_DEP_2) | instskip(NEXT) | instid1(VALU_DEP_2)
	v_fma_f64 v[15:16], s[8:9], v[0:1], v[15:16]
	v_fma_f64 v[0:1], s[6:7], v[0:1], -v[2:3]
	s_delay_alu instid0(VALU_DEP_2) | instskip(NEXT) | instid1(VALU_DEP_2)
	v_add_f64 v[2:3], v[7:8], v[15:16]
	v_add_f64 v[0:1], v[9:10], v[0:1]
	s_delay_alu instid0(VALU_DEP_2)
	v_dual_cndmask_b32 v3, 0, v3 :: v_dual_cndmask_b32 v2, 0, v2
	global_store_b128 v[5:6], v[0:3], off
.LBB1365_13:
	s_nop 0
	s_sendmsg sendmsg(MSG_DEALLOC_VGPRS)
	s_endpgm
	.section	.rodata,"a",@progbits
	.p2align	6, 0x0
	.amdhsa_kernel _ZL32rocblas_syrkx_herkx_small_kernelIl19rocblas_complex_numIdELi16ELb0ELb1ELc84ELc76EKS1_S1_EviT_T0_PT6_S3_lS6_S3_lS4_PT7_S3_li
		.amdhsa_group_segment_fixed_size 8192
		.amdhsa_private_segment_fixed_size 0
		.amdhsa_kernarg_size 124
		.amdhsa_user_sgpr_count 13
		.amdhsa_user_sgpr_dispatch_ptr 0
		.amdhsa_user_sgpr_queue_ptr 0
		.amdhsa_user_sgpr_kernarg_segment_ptr 1
		.amdhsa_user_sgpr_dispatch_id 0
		.amdhsa_user_sgpr_private_segment_size 0
		.amdhsa_wavefront_size32 1
		.amdhsa_uses_dynamic_stack 0
		.amdhsa_enable_private_segment 0
		.amdhsa_system_sgpr_workgroup_id_x 1
		.amdhsa_system_sgpr_workgroup_id_y 1
		.amdhsa_system_sgpr_workgroup_id_z 1
		.amdhsa_system_sgpr_workgroup_info 0
		.amdhsa_system_vgpr_workitem_id 1
		.amdhsa_next_free_vgpr 52
		.amdhsa_next_free_sgpr 40
		.amdhsa_reserve_vcc 1
		.amdhsa_float_round_mode_32 0
		.amdhsa_float_round_mode_16_64 0
		.amdhsa_float_denorm_mode_32 3
		.amdhsa_float_denorm_mode_16_64 3
		.amdhsa_dx10_clamp 1
		.amdhsa_ieee_mode 1
		.amdhsa_fp16_overflow 0
		.amdhsa_workgroup_processor_mode 1
		.amdhsa_memory_ordered 1
		.amdhsa_forward_progress 0
		.amdhsa_shared_vgpr_count 0
		.amdhsa_exception_fp_ieee_invalid_op 0
		.amdhsa_exception_fp_denorm_src 0
		.amdhsa_exception_fp_ieee_div_zero 0
		.amdhsa_exception_fp_ieee_overflow 0
		.amdhsa_exception_fp_ieee_underflow 0
		.amdhsa_exception_fp_ieee_inexact 0
		.amdhsa_exception_int_div_zero 0
	.end_amdhsa_kernel
	.section	.text._ZL32rocblas_syrkx_herkx_small_kernelIl19rocblas_complex_numIdELi16ELb0ELb1ELc84ELc76EKS1_S1_EviT_T0_PT6_S3_lS6_S3_lS4_PT7_S3_li,"axG",@progbits,_ZL32rocblas_syrkx_herkx_small_kernelIl19rocblas_complex_numIdELi16ELb0ELb1ELc84ELc76EKS1_S1_EviT_T0_PT6_S3_lS6_S3_lS4_PT7_S3_li,comdat
.Lfunc_end1365:
	.size	_ZL32rocblas_syrkx_herkx_small_kernelIl19rocblas_complex_numIdELi16ELb0ELb1ELc84ELc76EKS1_S1_EviT_T0_PT6_S3_lS6_S3_lS4_PT7_S3_li, .Lfunc_end1365-_ZL32rocblas_syrkx_herkx_small_kernelIl19rocblas_complex_numIdELi16ELb0ELb1ELc84ELc76EKS1_S1_EviT_T0_PT6_S3_lS6_S3_lS4_PT7_S3_li
                                        ; -- End function
	.section	.AMDGPU.csdata,"",@progbits
; Kernel info:
; codeLenInByte = 2096
; NumSgprs: 42
; NumVgprs: 52
; ScratchSize: 0
; MemoryBound: 0
; FloatMode: 240
; IeeeMode: 1
; LDSByteSize: 8192 bytes/workgroup (compile time only)
; SGPRBlocks: 5
; VGPRBlocks: 6
; NumSGPRsForWavesPerEU: 42
; NumVGPRsForWavesPerEU: 52
; Occupancy: 16
; WaveLimiterHint : 0
; COMPUTE_PGM_RSRC2:SCRATCH_EN: 0
; COMPUTE_PGM_RSRC2:USER_SGPR: 13
; COMPUTE_PGM_RSRC2:TRAP_HANDLER: 0
; COMPUTE_PGM_RSRC2:TGID_X_EN: 1
; COMPUTE_PGM_RSRC2:TGID_Y_EN: 1
; COMPUTE_PGM_RSRC2:TGID_Z_EN: 1
; COMPUTE_PGM_RSRC2:TIDIG_COMP_CNT: 1
	.section	.text._ZL32rocblas_syrkx_herkx_small_kernelIl19rocblas_complex_numIdELi16ELb0ELb1ELc67ELc76EKS1_S1_EviT_T0_PT6_S3_lS6_S3_lS4_PT7_S3_li,"axG",@progbits,_ZL32rocblas_syrkx_herkx_small_kernelIl19rocblas_complex_numIdELi16ELb0ELb1ELc67ELc76EKS1_S1_EviT_T0_PT6_S3_lS6_S3_lS4_PT7_S3_li,comdat
	.globl	_ZL32rocblas_syrkx_herkx_small_kernelIl19rocblas_complex_numIdELi16ELb0ELb1ELc67ELc76EKS1_S1_EviT_T0_PT6_S3_lS6_S3_lS4_PT7_S3_li ; -- Begin function _ZL32rocblas_syrkx_herkx_small_kernelIl19rocblas_complex_numIdELi16ELb0ELb1ELc67ELc76EKS1_S1_EviT_T0_PT6_S3_lS6_S3_lS4_PT7_S3_li
	.p2align	8
	.type	_ZL32rocblas_syrkx_herkx_small_kernelIl19rocblas_complex_numIdELi16ELb0ELb1ELc67ELc76EKS1_S1_EviT_T0_PT6_S3_lS6_S3_lS4_PT7_S3_li,@function
_ZL32rocblas_syrkx_herkx_small_kernelIl19rocblas_complex_numIdELi16ELb0ELb1ELc67ELc76EKS1_S1_EviT_T0_PT6_S3_lS6_S3_lS4_PT7_S3_li: ; @_ZL32rocblas_syrkx_herkx_small_kernelIl19rocblas_complex_numIdELi16ELb0ELb1ELc67ELc76EKS1_S1_EviT_T0_PT6_S3_lS6_S3_lS4_PT7_S3_li
; %bb.0:
	s_clause 0x3
	s_load_b512 s[16:31], s[0:1], 0x8
	s_load_b32 s12, s[0:1], 0x0
	s_load_b128 s[36:39], s[0:1], 0x68
	s_load_b256 s[4:11], s[0:1], 0x48
	v_and_b32_e32 v19, 0x3ff, v0
	v_bfe_u32 v20, v0, 10, 10
	v_mov_b32_e32 v13, 0
	v_mov_b32_e32 v14, 0
	s_delay_alu instid0(VALU_DEP_4) | instskip(NEXT) | instid1(VALU_DEP_4)
	v_lshl_add_u32 v5, s13, 4, v19
	v_lshl_add_u32 v17, s14, 4, v20
	s_delay_alu instid0(VALU_DEP_3) | instskip(NEXT) | instid1(VALU_DEP_3)
	v_dual_mov_b32 v16, v14 :: v_dual_mov_b32 v15, v13
	v_ashrrev_i32_e32 v6, 31, v5
	s_delay_alu instid0(VALU_DEP_3) | instskip(SKIP_3) | instid1(VALU_DEP_2)
	v_ashrrev_i32_e32 v18, 31, v17
	s_waitcnt lgkmcnt(0)
	v_cmp_lt_i64_e64 s1, s[16:17], 1
	v_cmp_gt_i32_e64 s0, s12, v5
	s_and_b32 vcc_lo, exec_lo, s1
	s_cbranch_vccnz .LBB1366_9
; %bb.1:
	v_mul_lo_u32 v0, s31, v17
	v_mul_lo_u32 v3, s30, v18
	v_mad_u64_u32 v[1:2], null, s30, v17, 0
	v_mul_lo_u32 v8, s25, v5
	v_mul_lo_u32 v9, s24, v6
	s_mul_i32 s1, s5, s15
	s_mul_hi_u32 s2, s4, s15
	v_lshlrev_b32_e32 v7, 8, v20
	s_add_i32 s3, s2, s1
	s_delay_alu instid0(VALU_DEP_4)
	v_add3_u32 v2, v2, v3, v0
	v_mov_b32_e32 v0, 0
	v_mad_u64_u32 v[3:4], null, s24, v5, 0
	s_mul_i32 s2, s4, s15
	s_mul_i32 s1, s27, s15
	s_mul_hi_u32 s4, s26, s15
	v_lshlrev_b32_e32 v21, 4, v19
	s_add_i32 s5, s4, s1
	s_mul_i32 s4, s26, s15
	s_delay_alu instid0(VALU_DEP_2)
	v_add3_u32 v4, v4, v9, v8
	v_lshlrev_b64 v[1:2], 4, v[1:2]
	s_lshl_b64 s[4:5], s[4:5], 4
	v_add_nc_u32_e32 v22, 0x1000, v7
	v_add_nc_u32_e32 v23, v21, v7
	v_lshlrev_b64 v[3:4], 4, v[3:4]
	s_lshl_b64 s[2:3], s[2:3], 4
	v_lshlrev_b32_e32 v7, 4, v20
	v_cmp_gt_i32_e32 vcc_lo, s12, v17
	s_delay_alu instid0(VALU_DEP_3) | instskip(NEXT) | instid1(VALU_DEP_1)
	v_add_co_u32 v3, s1, v3, s4
	v_add_co_ci_u32_e64 v4, s1, s5, v4, s1
	v_add_co_u32 v1, s1, v1, s2
	s_delay_alu instid0(VALU_DEP_1) | instskip(NEXT) | instid1(VALU_DEP_4)
	v_add_co_ci_u32_e64 v2, s1, s3, v2, s1
	v_add_co_u32 v3, s1, v3, v7
	s_delay_alu instid0(VALU_DEP_1) | instskip(SKIP_3) | instid1(VALU_DEP_1)
	v_add_co_ci_u32_e64 v4, s1, 0, v4, s1
	v_mov_b32_e32 v7, 0
	v_mov_b32_e32 v8, 0
	v_add_co_u32 v1, s1, v1, v21
	v_add_co_ci_u32_e64 v2, s1, 0, v2, s1
	s_delay_alu instid0(VALU_DEP_3) | instskip(SKIP_1) | instid1(VALU_DEP_1)
	v_mov_b32_e32 v14, v8
	v_add_co_u32 v3, s1, v3, s22
	v_add_co_ci_u32_e64 v4, s1, s23, v4, s1
	v_add_co_u32 v9, s1, s28, v1
	s_delay_alu instid0(VALU_DEP_1) | instskip(NEXT) | instid1(VALU_DEP_4)
	v_add_co_ci_u32_e64 v10, s1, s29, v2, s1
	v_add_co_u32 v11, s1, v3, 8
	v_dual_mov_b32 v13, v7 :: v_dual_add_nc_u32 v24, v22, v21
	v_add_co_ci_u32_e64 v12, s1, 0, v4, s1
	v_dual_mov_b32 v16, v8 :: v_dual_mov_b32 v15, v7
	s_mov_b64 s[2:3], 0
	s_xor_b32 s1, vcc_lo, -1
	s_branch .LBB1366_3
.LBB1366_2:                             ;   in Loop: Header=BB1366_3 Depth=1
	s_or_b32 exec_lo, exec_lo, s4
	s_waitcnt lgkmcnt(0)
	s_barrier
	buffer_gl0_inv
	ds_load_b128 v[1:4], v21
	ds_load_b128 v[25:28], v22
	ds_load_b128 v[29:32], v22 offset:16
	ds_load_b128 v[33:36], v21 offset:256
	s_add_u32 s2, s2, 16
	s_addc_u32 s3, s3, 0
	v_add_co_u32 v9, vcc_lo, 0x100, v9
	v_cmp_ge_i64_e64 s4, s[2:3], s[16:17]
	v_add_co_ci_u32_e32 v10, vcc_lo, 0, v10, vcc_lo
	v_add_co_u32 v11, vcc_lo, 0x100, v11
	v_add_co_ci_u32_e32 v12, vcc_lo, 0, v12, vcc_lo
	s_delay_alu instid0(VALU_DEP_4)
	s_and_b32 vcc_lo, exec_lo, s4
	s_waitcnt lgkmcnt(2)
	v_mul_f64 v[37:38], v[27:28], v[3:4]
	v_mul_f64 v[3:4], v[25:26], v[3:4]
	s_waitcnt lgkmcnt(0)
	v_mul_f64 v[43:44], v[31:32], v[35:36]
	v_mul_f64 v[45:46], v[29:30], v[35:36]
	s_delay_alu instid0(VALU_DEP_4) | instskip(NEXT) | instid1(VALU_DEP_4)
	v_fma_f64 v[47:48], v[25:26], v[1:2], -v[37:38]
	v_fma_f64 v[49:50], v[27:28], v[1:2], v[3:4]
	ds_load_b128 v[1:4], v21 offset:512
	ds_load_b128 v[25:28], v22 offset:32
	;; [unrolled: 1-line block ×4, first 2 shown]
	v_fma_f64 v[29:30], v[29:30], v[33:34], -v[43:44]
	v_fma_f64 v[31:32], v[31:32], v[33:34], v[45:46]
	s_waitcnt lgkmcnt(2)
	v_mul_f64 v[51:52], v[27:28], v[3:4]
	v_mul_f64 v[3:4], v[25:26], v[3:4]
	s_waitcnt lgkmcnt(0)
	v_mul_f64 v[33:34], v[37:38], v[41:42]
	v_mul_f64 v[41:42], v[35:36], v[41:42]
	v_add_f64 v[15:16], v[15:16], v[47:48]
	v_add_f64 v[13:14], v[13:14], v[49:50]
	v_fma_f64 v[43:44], v[25:26], v[1:2], -v[51:52]
	v_fma_f64 v[45:46], v[27:28], v[1:2], v[3:4]
	v_fma_f64 v[33:34], v[35:36], v[39:40], -v[33:34]
	v_fma_f64 v[35:36], v[37:38], v[39:40], v[41:42]
	v_add_f64 v[47:48], v[15:16], v[29:30]
	v_add_f64 v[49:50], v[13:14], v[31:32]
	ds_load_b128 v[1:4], v21 offset:1024
	ds_load_b128 v[13:16], v22 offset:64
	;; [unrolled: 1-line block ×4, first 2 shown]
	s_waitcnt lgkmcnt(2)
	v_mul_f64 v[51:52], v[15:16], v[3:4]
	v_mul_f64 v[3:4], v[13:14], v[3:4]
	s_waitcnt lgkmcnt(0)
	v_mul_f64 v[41:42], v[27:28], v[31:32]
	v_add_f64 v[37:38], v[47:48], v[43:44]
	v_add_f64 v[39:40], v[49:50], v[45:46]
	v_mul_f64 v[43:44], v[25:26], v[31:32]
	v_fma_f64 v[45:46], v[13:14], v[1:2], -v[51:52]
	v_fma_f64 v[47:48], v[15:16], v[1:2], v[3:4]
	v_fma_f64 v[25:26], v[25:26], v[29:30], -v[41:42]
	v_add_f64 v[49:50], v[37:38], v[33:34]
	v_add_f64 v[39:40], v[39:40], v[35:36]
	ds_load_b128 v[1:4], v21 offset:1536
	ds_load_b128 v[13:16], v22 offset:96
	;; [unrolled: 1-line block ×4, first 2 shown]
	v_fma_f64 v[27:28], v[27:28], v[29:30], v[43:44]
	s_waitcnt lgkmcnt(2)
	v_mul_f64 v[51:52], v[15:16], v[3:4]
	v_mul_f64 v[3:4], v[13:14], v[3:4]
	s_waitcnt lgkmcnt(0)
	v_mul_f64 v[41:42], v[33:34], v[37:38]
	v_mul_f64 v[43:44], v[31:32], v[37:38]
	v_add_f64 v[29:30], v[49:50], v[45:46]
	v_add_f64 v[39:40], v[39:40], v[47:48]
	v_fma_f64 v[45:46], v[13:14], v[1:2], -v[51:52]
	v_fma_f64 v[47:48], v[15:16], v[1:2], v[3:4]
	v_fma_f64 v[31:32], v[31:32], v[35:36], -v[41:42]
	v_fma_f64 v[33:34], v[33:34], v[35:36], v[43:44]
	v_add_f64 v[29:30], v[29:30], v[25:26]
	v_add_f64 v[49:50], v[39:40], v[27:28]
	ds_load_b128 v[1:4], v21 offset:2048
	ds_load_b128 v[13:16], v22 offset:128
	;; [unrolled: 1-line block ×4, first 2 shown]
	s_waitcnt lgkmcnt(2)
	v_mul_f64 v[51:52], v[15:16], v[3:4]
	v_mul_f64 v[3:4], v[13:14], v[3:4]
	s_waitcnt lgkmcnt(0)
	v_mul_f64 v[41:42], v[27:28], v[39:40]
	v_mul_f64 v[39:40], v[25:26], v[39:40]
	v_add_f64 v[29:30], v[29:30], v[45:46]
	v_add_f64 v[35:36], v[49:50], v[47:48]
	v_fma_f64 v[43:44], v[13:14], v[1:2], -v[51:52]
	v_fma_f64 v[45:46], v[15:16], v[1:2], v[3:4]
	v_fma_f64 v[25:26], v[25:26], v[37:38], -v[41:42]
	v_fma_f64 v[27:28], v[27:28], v[37:38], v[39:40]
	v_add_f64 v[47:48], v[29:30], v[31:32]
	v_add_f64 v[49:50], v[35:36], v[33:34]
	ds_load_b128 v[1:4], v21 offset:2560
	ds_load_b128 v[13:16], v22 offset:160
	;; [unrolled: 1-line block ×4, first 2 shown]
	s_waitcnt lgkmcnt(2)
	v_mul_f64 v[51:52], v[15:16], v[3:4]
	v_mul_f64 v[3:4], v[13:14], v[3:4]
	s_waitcnt lgkmcnt(0)
	v_mul_f64 v[41:42], v[31:32], v[35:36]
	v_add_f64 v[37:38], v[47:48], v[43:44]
	v_add_f64 v[39:40], v[49:50], v[45:46]
	v_mul_f64 v[43:44], v[29:30], v[35:36]
	v_fma_f64 v[45:46], v[13:14], v[1:2], -v[51:52]
	v_fma_f64 v[47:48], v[15:16], v[1:2], v[3:4]
	v_fma_f64 v[29:30], v[29:30], v[33:34], -v[41:42]
	v_add_f64 v[49:50], v[37:38], v[25:26]
	v_add_f64 v[39:40], v[39:40], v[27:28]
	ds_load_b128 v[1:4], v21 offset:3072
	ds_load_b128 v[13:16], v22 offset:192
	ds_load_b128 v[25:28], v22 offset:208
	ds_load_b128 v[35:38], v21 offset:3328
	v_fma_f64 v[31:32], v[31:32], v[33:34], v[43:44]
	s_waitcnt lgkmcnt(2)
	v_mul_f64 v[51:52], v[15:16], v[3:4]
	v_mul_f64 v[3:4], v[13:14], v[3:4]
	s_waitcnt lgkmcnt(0)
	v_mul_f64 v[41:42], v[27:28], v[37:38]
	v_mul_f64 v[43:44], v[25:26], v[37:38]
	v_add_f64 v[33:34], v[49:50], v[45:46]
	v_add_f64 v[39:40], v[39:40], v[47:48]
	v_fma_f64 v[45:46], v[13:14], v[1:2], -v[51:52]
	v_fma_f64 v[47:48], v[15:16], v[1:2], v[3:4]
	v_fma_f64 v[25:26], v[25:26], v[35:36], -v[41:42]
	v_fma_f64 v[27:28], v[27:28], v[35:36], v[43:44]
	v_add_f64 v[33:34], v[33:34], v[29:30]
	v_add_f64 v[49:50], v[39:40], v[31:32]
	ds_load_b128 v[1:4], v21 offset:3584
	ds_load_b128 v[13:16], v22 offset:224
	;; [unrolled: 1-line block ×4, first 2 shown]
	s_waitcnt lgkmcnt(0)
	s_barrier
	buffer_gl0_inv
	v_mul_f64 v[51:52], v[15:16], v[3:4]
	v_mul_f64 v[3:4], v[13:14], v[3:4]
	;; [unrolled: 1-line block ×4, first 2 shown]
	v_add_f64 v[33:34], v[33:34], v[45:46]
	v_add_f64 v[35:36], v[49:50], v[47:48]
	v_fma_f64 v[13:14], v[13:14], v[1:2], -v[51:52]
	v_fma_f64 v[1:2], v[15:16], v[1:2], v[3:4]
	s_delay_alu instid0(VALU_DEP_4) | instskip(NEXT) | instid1(VALU_DEP_4)
	v_add_f64 v[3:4], v[33:34], v[25:26]
	v_add_f64 v[15:16], v[35:36], v[27:28]
	v_fma_f64 v[25:26], v[29:30], v[37:38], -v[41:42]
	v_fma_f64 v[27:28], v[31:32], v[37:38], v[39:40]
	s_delay_alu instid0(VALU_DEP_4) | instskip(NEXT) | instid1(VALU_DEP_4)
	v_add_f64 v[3:4], v[3:4], v[13:14]
	v_add_f64 v[1:2], v[15:16], v[1:2]
	s_delay_alu instid0(VALU_DEP_2) | instskip(NEXT) | instid1(VALU_DEP_2)
	v_add_f64 v[15:16], v[3:4], v[25:26]
	v_add_f64 v[13:14], v[1:2], v[27:28]
	s_cbranch_vccnz .LBB1366_9
.LBB1366_3:                             ; =>This Inner Loop Header: Depth=1
	v_add_co_u32 v1, s4, v20, s2
	s_delay_alu instid0(VALU_DEP_1) | instskip(SKIP_1) | instid1(VALU_DEP_2)
	v_add_co_ci_u32_e64 v2, null, 0, s3, s4
	v_dual_mov_b32 v3, v7 :: v_dual_mov_b32 v4, v8
	v_cmp_gt_i64_e32 vcc_lo, s[16:17], v[1:2]
	v_dual_mov_b32 v1, v7 :: v_dual_mov_b32 v2, v8
	s_and_b32 s5, s0, vcc_lo
	s_delay_alu instid0(SALU_CYCLE_1)
	s_and_saveexec_b32 s4, s5
	s_cbranch_execz .LBB1366_5
; %bb.4:                                ;   in Loop: Header=BB1366_3 Depth=1
	global_load_b128 v[1:4], v[11:12], off offset:-8
	s_waitcnt vmcnt(0)
	v_xor_b32_e32 v4, 0x80000000, v4
.LBB1366_5:                             ;   in Loop: Header=BB1366_3 Depth=1
	s_or_b32 exec_lo, exec_lo, s4
	v_add_co_u32 v25, s4, v19, s2
	s_delay_alu instid0(VALU_DEP_1) | instskip(SKIP_3) | instid1(SALU_CYCLE_1)
	v_add_co_ci_u32_e64 v26, null, 0, s3, s4
	ds_store_b128 v23, v[1:4]
	v_cmp_le_i64_e32 vcc_lo, s[16:17], v[25:26]
	s_or_b32 s4, s1, vcc_lo
	s_and_saveexec_b32 s5, s4
	s_delay_alu instid0(SALU_CYCLE_1)
	s_xor_b32 s4, exec_lo, s5
	s_cbranch_execz .LBB1366_7
; %bb.6:                                ;   in Loop: Header=BB1366_3 Depth=1
	v_mov_b32_e32 v1, v0
	v_mov_b32_e32 v2, v0
	;; [unrolled: 1-line block ×3, first 2 shown]
	ds_store_b128 v24, v[0:3]
.LBB1366_7:                             ;   in Loop: Header=BB1366_3 Depth=1
	s_and_not1_saveexec_b32 s4, s4
	s_cbranch_execz .LBB1366_2
; %bb.8:                                ;   in Loop: Header=BB1366_3 Depth=1
	global_load_b128 v[1:4], v[9:10], off
	s_waitcnt vmcnt(0)
	ds_store_2addr_b64 v24, v[1:2], v[3:4] offset1:1
	s_branch .LBB1366_2
.LBB1366_9:
	v_cmp_le_i32_e32 vcc_lo, v17, v5
	v_cmp_gt_i32_e64 s0, s12, v5
	s_delay_alu instid0(VALU_DEP_1) | instskip(NEXT) | instid1(SALU_CYCLE_1)
	s_and_b32 s0, vcc_lo, s0
	s_and_saveexec_b32 s1, s0
	s_cbranch_execz .LBB1366_11
; %bb.10:
	v_mul_lo_u32 v2, v17, s37
	v_mul_lo_u32 v3, v18, s36
	v_mad_u64_u32 v[0:1], null, v17, s36, 0
	s_mul_i32 s1, s15, s39
	s_mul_hi_u32 s2, s15, s38
	s_mul_i32 s0, s15, s38
	s_add_i32 s1, s2, s1
	v_mul_f64 v[8:9], s[18:19], v[13:14]
	s_lshl_b64 s[0:1], s[0:1], 4
	s_delay_alu instid0(VALU_DEP_2)
	v_add3_u32 v1, v1, v2, v3
	s_add_u32 s0, s10, s0
	v_lshlrev_b64 v[2:3], 4, v[5:6]
	s_addc_u32 s1, s11, s1
	v_mul_f64 v[12:13], s[20:21], v[13:14]
	v_lshlrev_b64 v[0:1], 4, v[0:1]
	s_delay_alu instid0(VALU_DEP_1) | instskip(NEXT) | instid1(VALU_DEP_2)
	v_add_co_u32 v0, vcc_lo, s0, v0
	v_add_co_ci_u32_e32 v1, vcc_lo, s1, v1, vcc_lo
	s_delay_alu instid0(VALU_DEP_2) | instskip(NEXT) | instid1(VALU_DEP_2)
	v_add_co_u32 v6, vcc_lo, v0, v2
	v_add_co_ci_u32_e32 v7, vcc_lo, v1, v3, vcc_lo
	v_cmp_ne_u32_e32 vcc_lo, v5, v17
	global_load_b128 v[0:3], v[6:7], off
	v_fma_f64 v[8:9], s[20:21], v[15:16], v[8:9]
	v_fma_f64 v[12:13], s[18:19], v[15:16], -v[12:13]
	s_waitcnt vmcnt(0)
	v_mul_f64 v[10:11], s[6:7], v[2:3]
	v_mul_f64 v[2:3], s[8:9], v[2:3]
	s_delay_alu instid0(VALU_DEP_2) | instskip(NEXT) | instid1(VALU_DEP_2)
	v_fma_f64 v[10:11], s[8:9], v[0:1], v[10:11]
	v_fma_f64 v[0:1], s[6:7], v[0:1], -v[2:3]
	s_delay_alu instid0(VALU_DEP_2) | instskip(NEXT) | instid1(VALU_DEP_2)
	v_add_f64 v[2:3], v[8:9], v[10:11]
	v_add_f64 v[0:1], v[12:13], v[0:1]
	s_delay_alu instid0(VALU_DEP_2)
	v_dual_cndmask_b32 v3, 0, v3 :: v_dual_cndmask_b32 v2, 0, v2
	global_store_b128 v[6:7], v[0:3], off
.LBB1366_11:
	s_nop 0
	s_sendmsg sendmsg(MSG_DEALLOC_VGPRS)
	s_endpgm
	.section	.rodata,"a",@progbits
	.p2align	6, 0x0
	.amdhsa_kernel _ZL32rocblas_syrkx_herkx_small_kernelIl19rocblas_complex_numIdELi16ELb0ELb1ELc67ELc76EKS1_S1_EviT_T0_PT6_S3_lS6_S3_lS4_PT7_S3_li
		.amdhsa_group_segment_fixed_size 8192
		.amdhsa_private_segment_fixed_size 0
		.amdhsa_kernarg_size 124
		.amdhsa_user_sgpr_count 13
		.amdhsa_user_sgpr_dispatch_ptr 0
		.amdhsa_user_sgpr_queue_ptr 0
		.amdhsa_user_sgpr_kernarg_segment_ptr 1
		.amdhsa_user_sgpr_dispatch_id 0
		.amdhsa_user_sgpr_private_segment_size 0
		.amdhsa_wavefront_size32 1
		.amdhsa_uses_dynamic_stack 0
		.amdhsa_enable_private_segment 0
		.amdhsa_system_sgpr_workgroup_id_x 1
		.amdhsa_system_sgpr_workgroup_id_y 1
		.amdhsa_system_sgpr_workgroup_id_z 1
		.amdhsa_system_sgpr_workgroup_info 0
		.amdhsa_system_vgpr_workitem_id 1
		.amdhsa_next_free_vgpr 53
		.amdhsa_next_free_sgpr 40
		.amdhsa_reserve_vcc 1
		.amdhsa_float_round_mode_32 0
		.amdhsa_float_round_mode_16_64 0
		.amdhsa_float_denorm_mode_32 3
		.amdhsa_float_denorm_mode_16_64 3
		.amdhsa_dx10_clamp 1
		.amdhsa_ieee_mode 1
		.amdhsa_fp16_overflow 0
		.amdhsa_workgroup_processor_mode 1
		.amdhsa_memory_ordered 1
		.amdhsa_forward_progress 0
		.amdhsa_shared_vgpr_count 0
		.amdhsa_exception_fp_ieee_invalid_op 0
		.amdhsa_exception_fp_denorm_src 0
		.amdhsa_exception_fp_ieee_div_zero 0
		.amdhsa_exception_fp_ieee_overflow 0
		.amdhsa_exception_fp_ieee_underflow 0
		.amdhsa_exception_fp_ieee_inexact 0
		.amdhsa_exception_int_div_zero 0
	.end_amdhsa_kernel
	.section	.text._ZL32rocblas_syrkx_herkx_small_kernelIl19rocblas_complex_numIdELi16ELb0ELb1ELc67ELc76EKS1_S1_EviT_T0_PT6_S3_lS6_S3_lS4_PT7_S3_li,"axG",@progbits,_ZL32rocblas_syrkx_herkx_small_kernelIl19rocblas_complex_numIdELi16ELb0ELb1ELc67ELc76EKS1_S1_EviT_T0_PT6_S3_lS6_S3_lS4_PT7_S3_li,comdat
.Lfunc_end1366:
	.size	_ZL32rocblas_syrkx_herkx_small_kernelIl19rocblas_complex_numIdELi16ELb0ELb1ELc67ELc76EKS1_S1_EviT_T0_PT6_S3_lS6_S3_lS4_PT7_S3_li, .Lfunc_end1366-_ZL32rocblas_syrkx_herkx_small_kernelIl19rocblas_complex_numIdELi16ELb0ELb1ELc67ELc76EKS1_S1_EviT_T0_PT6_S3_lS6_S3_lS4_PT7_S3_li
                                        ; -- End function
	.section	.AMDGPU.csdata,"",@progbits
; Kernel info:
; codeLenInByte = 2116
; NumSgprs: 42
; NumVgprs: 53
; ScratchSize: 0
; MemoryBound: 1
; FloatMode: 240
; IeeeMode: 1
; LDSByteSize: 8192 bytes/workgroup (compile time only)
; SGPRBlocks: 5
; VGPRBlocks: 6
; NumSGPRsForWavesPerEU: 42
; NumVGPRsForWavesPerEU: 53
; Occupancy: 16
; WaveLimiterHint : 0
; COMPUTE_PGM_RSRC2:SCRATCH_EN: 0
; COMPUTE_PGM_RSRC2:USER_SGPR: 13
; COMPUTE_PGM_RSRC2:TRAP_HANDLER: 0
; COMPUTE_PGM_RSRC2:TGID_X_EN: 1
; COMPUTE_PGM_RSRC2:TGID_Y_EN: 1
; COMPUTE_PGM_RSRC2:TGID_Z_EN: 1
; COMPUTE_PGM_RSRC2:TIDIG_COMP_CNT: 1
	.section	.text._ZL32rocblas_syrkx_herkx_small_kernelIl19rocblas_complex_numIdELi16ELb0ELb1ELc78ELc76EKS1_S1_EviT_T0_PT6_S3_lS6_S3_lS4_PT7_S3_li,"axG",@progbits,_ZL32rocblas_syrkx_herkx_small_kernelIl19rocblas_complex_numIdELi16ELb0ELb1ELc78ELc76EKS1_S1_EviT_T0_PT6_S3_lS6_S3_lS4_PT7_S3_li,comdat
	.globl	_ZL32rocblas_syrkx_herkx_small_kernelIl19rocblas_complex_numIdELi16ELb0ELb1ELc78ELc76EKS1_S1_EviT_T0_PT6_S3_lS6_S3_lS4_PT7_S3_li ; -- Begin function _ZL32rocblas_syrkx_herkx_small_kernelIl19rocblas_complex_numIdELi16ELb0ELb1ELc78ELc76EKS1_S1_EviT_T0_PT6_S3_lS6_S3_lS4_PT7_S3_li
	.p2align	8
	.type	_ZL32rocblas_syrkx_herkx_small_kernelIl19rocblas_complex_numIdELi16ELb0ELb1ELc78ELc76EKS1_S1_EviT_T0_PT6_S3_lS6_S3_lS4_PT7_S3_li,@function
_ZL32rocblas_syrkx_herkx_small_kernelIl19rocblas_complex_numIdELi16ELb0ELb1ELc78ELc76EKS1_S1_EviT_T0_PT6_S3_lS6_S3_lS4_PT7_S3_li: ; @_ZL32rocblas_syrkx_herkx_small_kernelIl19rocblas_complex_numIdELi16ELb0ELb1ELc78ELc76EKS1_S1_EviT_T0_PT6_S3_lS6_S3_lS4_PT7_S3_li
; %bb.0:
	s_clause 0x3
	s_load_b512 s[16:31], s[0:1], 0x8
	s_load_b32 s33, s[0:1], 0x0
	s_load_b128 s[36:39], s[0:1], 0x68
	s_load_b256 s[4:11], s[0:1], 0x48
	v_and_b32_e32 v17, 0x3ff, v0
	v_bfe_u32 v18, v0, 10, 10
	v_mov_b32_e32 v13, 0
	v_mov_b32_e32 v14, 0
	s_delay_alu instid0(VALU_DEP_4) | instskip(NEXT) | instid1(VALU_DEP_4)
	v_lshl_add_u32 v5, s13, 4, v17
	v_lshl_add_u32 v7, s14, 4, v18
	s_delay_alu instid0(VALU_DEP_3) | instskip(NEXT) | instid1(VALU_DEP_3)
	v_dual_mov_b32 v16, v14 :: v_dual_mov_b32 v15, v13
	v_ashrrev_i32_e32 v6, 31, v5
	s_delay_alu instid0(VALU_DEP_3) | instskip(SKIP_3) | instid1(VALU_DEP_2)
	v_ashrrev_i32_e32 v8, 31, v7
	s_waitcnt lgkmcnt(0)
	v_cmp_lt_i64_e64 s0, s[16:17], 1
	v_cmp_gt_i32_e64 s1, s33, v5
	s_and_b32 vcc_lo, exec_lo, s0
	s_cbranch_vccnz .LBB1367_9
; %bb.1:
	v_mad_u64_u32 v[1:2], null, s30, v17, 0
	v_mad_u64_u32 v[9:10], null, s24, v18, 0
	v_dual_mov_b32 v0, 0 :: v_dual_lshlrev_b32 v15, 8, v18
	s_mul_i32 s3, s5, s15
	s_mul_hi_u32 s5, s4, s15
	s_delay_alu instid0(VALU_DEP_3)
	v_mad_u64_u32 v[3:4], null, s31, v17, v[2:3]
	v_lshlrev_b32_e32 v19, 4, v17
	s_mul_i32 s2, s4, s15
	s_add_i32 s3, s5, s3
	v_lshlrev_b64 v[11:12], 4, v[7:8]
	s_lshl_b64 s[2:3], s[2:3], 4
	s_mul_i32 s12, s27, s15
	s_delay_alu instid0(VALU_DEP_3) | instskip(SKIP_3) | instid1(VALU_DEP_2)
	v_dual_mov_b32 v2, v3 :: v_dual_mov_b32 v3, v10
	v_add_nc_u32_e32 v20, 0x1000, v15
	s_mul_hi_u32 s13, s26, s15
	s_mul_i32 s4, s26, s15
	v_lshlrev_b64 v[1:2], 4, v[1:2]
	v_mad_u64_u32 v[13:14], null, s25, v18, v[3:4]
	v_add_nc_u32_e32 v21, v19, v15
	s_add_i32 s5, s13, s12
	v_add_nc_u32_e32 v22, v20, v19
	s_delay_alu instid0(VALU_DEP_4) | instskip(SKIP_2) | instid1(VALU_DEP_3)
	v_add_co_u32 v1, vcc_lo, s2, v1
	v_add_co_ci_u32_e32 v2, vcc_lo, s3, v2, vcc_lo
	v_dual_mov_b32 v10, v13 :: v_dual_mov_b32 v13, 0
	v_add_co_u32 v3, vcc_lo, v1, v11
	s_delay_alu instid0(VALU_DEP_3) | instskip(NEXT) | instid1(VALU_DEP_3)
	v_add_co_ci_u32_e32 v4, vcc_lo, v2, v12, vcc_lo
	v_lshlrev_b64 v[1:2], 4, v[9:10]
	s_delay_alu instid0(VALU_DEP_3) | instskip(SKIP_1) | instid1(VALU_DEP_3)
	v_add_co_u32 v3, vcc_lo, v3, s28
	s_lshl_b64 s[2:3], s[4:5], 4
	v_add_co_ci_u32_e32 v4, vcc_lo, s29, v4, vcc_lo
	s_delay_alu instid0(VALU_DEP_3) | instskip(NEXT) | instid1(VALU_DEP_4)
	v_add_co_u32 v11, vcc_lo, s2, v1
	v_add_co_ci_u32_e32 v12, vcc_lo, s3, v2, vcc_lo
	v_lshlrev_b64 v[1:2], 4, v[5:6]
	v_add_co_u32 v9, vcc_lo, v3, 8
	v_add_co_ci_u32_e32 v10, vcc_lo, 0, v4, vcc_lo
	v_mov_b32_e32 v14, 0
	s_delay_alu instid0(VALU_DEP_4) | instskip(SKIP_2) | instid1(VALU_DEP_3)
	v_add_co_u32 v1, vcc_lo, v11, v1
	v_add_co_ci_u32_e32 v2, vcc_lo, v12, v2, vcc_lo
	v_cmp_gt_i32_e64 s0, s33, v7
	v_add_co_u32 v11, vcc_lo, s22, v1
	s_delay_alu instid0(VALU_DEP_3)
	v_add_co_ci_u32_e32 v12, vcc_lo, s23, v2, vcc_lo
	v_dual_mov_b32 v16, v14 :: v_dual_mov_b32 v15, v13
	s_lshl_b64 s[2:3], s[30:31], 8
	s_lshl_b64 s[4:5], s[24:25], 8
	s_mov_b64 s[12:13], 0
	s_xor_b32 s1, s1, -1
	s_branch .LBB1367_3
.LBB1367_2:                             ;   in Loop: Header=BB1367_3 Depth=1
	s_or_b32 exec_lo, exec_lo, s14
	ds_store_b128 v22, v[1:4]
	s_waitcnt lgkmcnt(0)
	s_barrier
	buffer_gl0_inv
	ds_load_b128 v[1:4], v19
	ds_load_b128 v[23:26], v20
	ds_load_b128 v[27:30], v20 offset:16
	ds_load_b128 v[31:34], v19 offset:256
	s_add_u32 s12, s12, 16
	s_addc_u32 s13, s13, 0
	v_add_co_u32 v9, vcc_lo, v9, s2
	v_cmp_ge_i64_e64 s14, s[12:13], s[16:17]
	v_add_co_ci_u32_e32 v10, vcc_lo, s3, v10, vcc_lo
	v_add_co_u32 v11, vcc_lo, v11, s4
	v_add_co_ci_u32_e32 v12, vcc_lo, s5, v12, vcc_lo
	s_delay_alu instid0(VALU_DEP_4)
	s_and_b32 vcc_lo, exec_lo, s14
	s_waitcnt lgkmcnt(2)
	v_mul_f64 v[35:36], v[25:26], v[3:4]
	v_mul_f64 v[3:4], v[23:24], v[3:4]
	s_waitcnt lgkmcnt(0)
	v_mul_f64 v[41:42], v[29:30], v[33:34]
	v_mul_f64 v[43:44], v[27:28], v[33:34]
	s_delay_alu instid0(VALU_DEP_4) | instskip(NEXT) | instid1(VALU_DEP_4)
	v_fma_f64 v[45:46], v[23:24], v[1:2], -v[35:36]
	v_fma_f64 v[47:48], v[25:26], v[1:2], v[3:4]
	ds_load_b128 v[1:4], v19 offset:512
	ds_load_b128 v[23:26], v20 offset:32
	;; [unrolled: 1-line block ×4, first 2 shown]
	v_fma_f64 v[27:28], v[27:28], v[31:32], -v[41:42]
	v_fma_f64 v[29:30], v[29:30], v[31:32], v[43:44]
	s_waitcnt lgkmcnt(2)
	v_mul_f64 v[49:50], v[25:26], v[3:4]
	v_mul_f64 v[3:4], v[23:24], v[3:4]
	s_waitcnt lgkmcnt(0)
	v_mul_f64 v[31:32], v[35:36], v[39:40]
	v_mul_f64 v[39:40], v[33:34], v[39:40]
	v_add_f64 v[15:16], v[15:16], v[45:46]
	v_add_f64 v[13:14], v[13:14], v[47:48]
	v_fma_f64 v[41:42], v[23:24], v[1:2], -v[49:50]
	v_fma_f64 v[43:44], v[25:26], v[1:2], v[3:4]
	v_fma_f64 v[31:32], v[33:34], v[37:38], -v[31:32]
	v_fma_f64 v[33:34], v[35:36], v[37:38], v[39:40]
	v_add_f64 v[45:46], v[15:16], v[27:28]
	v_add_f64 v[47:48], v[13:14], v[29:30]
	ds_load_b128 v[1:4], v19 offset:1024
	ds_load_b128 v[13:16], v20 offset:64
	;; [unrolled: 1-line block ×4, first 2 shown]
	s_waitcnt lgkmcnt(2)
	v_mul_f64 v[49:50], v[15:16], v[3:4]
	v_mul_f64 v[3:4], v[13:14], v[3:4]
	s_waitcnt lgkmcnt(0)
	v_mul_f64 v[39:40], v[25:26], v[29:30]
	v_add_f64 v[35:36], v[45:46], v[41:42]
	v_add_f64 v[37:38], v[47:48], v[43:44]
	v_mul_f64 v[41:42], v[23:24], v[29:30]
	v_fma_f64 v[43:44], v[13:14], v[1:2], -v[49:50]
	v_fma_f64 v[45:46], v[15:16], v[1:2], v[3:4]
	v_fma_f64 v[23:24], v[23:24], v[27:28], -v[39:40]
	v_add_f64 v[47:48], v[35:36], v[31:32]
	v_add_f64 v[37:38], v[37:38], v[33:34]
	ds_load_b128 v[1:4], v19 offset:1536
	ds_load_b128 v[13:16], v20 offset:96
	;; [unrolled: 1-line block ×4, first 2 shown]
	v_fma_f64 v[25:26], v[25:26], v[27:28], v[41:42]
	s_waitcnt lgkmcnt(2)
	v_mul_f64 v[49:50], v[15:16], v[3:4]
	v_mul_f64 v[3:4], v[13:14], v[3:4]
	s_waitcnt lgkmcnt(0)
	v_mul_f64 v[39:40], v[31:32], v[35:36]
	v_mul_f64 v[41:42], v[29:30], v[35:36]
	v_add_f64 v[27:28], v[47:48], v[43:44]
	v_add_f64 v[37:38], v[37:38], v[45:46]
	v_fma_f64 v[43:44], v[13:14], v[1:2], -v[49:50]
	v_fma_f64 v[45:46], v[15:16], v[1:2], v[3:4]
	v_fma_f64 v[29:30], v[29:30], v[33:34], -v[39:40]
	v_fma_f64 v[31:32], v[31:32], v[33:34], v[41:42]
	v_add_f64 v[27:28], v[27:28], v[23:24]
	v_add_f64 v[47:48], v[37:38], v[25:26]
	ds_load_b128 v[1:4], v19 offset:2048
	ds_load_b128 v[13:16], v20 offset:128
	;; [unrolled: 1-line block ×4, first 2 shown]
	s_waitcnt lgkmcnt(2)
	v_mul_f64 v[49:50], v[15:16], v[3:4]
	v_mul_f64 v[3:4], v[13:14], v[3:4]
	s_waitcnt lgkmcnt(0)
	v_mul_f64 v[39:40], v[25:26], v[37:38]
	v_mul_f64 v[37:38], v[23:24], v[37:38]
	v_add_f64 v[27:28], v[27:28], v[43:44]
	v_add_f64 v[33:34], v[47:48], v[45:46]
	v_fma_f64 v[41:42], v[13:14], v[1:2], -v[49:50]
	v_fma_f64 v[43:44], v[15:16], v[1:2], v[3:4]
	v_fma_f64 v[23:24], v[23:24], v[35:36], -v[39:40]
	v_fma_f64 v[25:26], v[25:26], v[35:36], v[37:38]
	v_add_f64 v[45:46], v[27:28], v[29:30]
	v_add_f64 v[47:48], v[33:34], v[31:32]
	ds_load_b128 v[1:4], v19 offset:2560
	ds_load_b128 v[13:16], v20 offset:160
	;; [unrolled: 1-line block ×4, first 2 shown]
	s_waitcnt lgkmcnt(2)
	v_mul_f64 v[49:50], v[15:16], v[3:4]
	v_mul_f64 v[3:4], v[13:14], v[3:4]
	s_waitcnt lgkmcnt(0)
	v_mul_f64 v[39:40], v[29:30], v[33:34]
	v_add_f64 v[35:36], v[45:46], v[41:42]
	v_add_f64 v[37:38], v[47:48], v[43:44]
	v_mul_f64 v[41:42], v[27:28], v[33:34]
	v_fma_f64 v[43:44], v[13:14], v[1:2], -v[49:50]
	v_fma_f64 v[45:46], v[15:16], v[1:2], v[3:4]
	v_fma_f64 v[27:28], v[27:28], v[31:32], -v[39:40]
	v_add_f64 v[47:48], v[35:36], v[23:24]
	v_add_f64 v[37:38], v[37:38], v[25:26]
	ds_load_b128 v[1:4], v19 offset:3072
	ds_load_b128 v[13:16], v20 offset:192
	;; [unrolled: 1-line block ×4, first 2 shown]
	v_fma_f64 v[29:30], v[29:30], v[31:32], v[41:42]
	s_waitcnt lgkmcnt(2)
	v_mul_f64 v[49:50], v[15:16], v[3:4]
	v_mul_f64 v[3:4], v[13:14], v[3:4]
	s_waitcnt lgkmcnt(0)
	v_mul_f64 v[39:40], v[25:26], v[35:36]
	v_mul_f64 v[41:42], v[23:24], v[35:36]
	v_add_f64 v[31:32], v[47:48], v[43:44]
	v_add_f64 v[37:38], v[37:38], v[45:46]
	v_fma_f64 v[43:44], v[13:14], v[1:2], -v[49:50]
	v_fma_f64 v[45:46], v[15:16], v[1:2], v[3:4]
	v_fma_f64 v[23:24], v[23:24], v[33:34], -v[39:40]
	v_fma_f64 v[25:26], v[25:26], v[33:34], v[41:42]
	v_add_f64 v[31:32], v[31:32], v[27:28]
	v_add_f64 v[47:48], v[37:38], v[29:30]
	ds_load_b128 v[1:4], v19 offset:3584
	ds_load_b128 v[13:16], v20 offset:224
	;; [unrolled: 1-line block ×4, first 2 shown]
	s_waitcnt lgkmcnt(0)
	s_barrier
	buffer_gl0_inv
	v_mul_f64 v[49:50], v[15:16], v[3:4]
	v_mul_f64 v[3:4], v[13:14], v[3:4]
	;; [unrolled: 1-line block ×4, first 2 shown]
	v_add_f64 v[31:32], v[31:32], v[43:44]
	v_add_f64 v[33:34], v[47:48], v[45:46]
	v_fma_f64 v[13:14], v[13:14], v[1:2], -v[49:50]
	v_fma_f64 v[1:2], v[15:16], v[1:2], v[3:4]
	s_delay_alu instid0(VALU_DEP_4) | instskip(NEXT) | instid1(VALU_DEP_4)
	v_add_f64 v[3:4], v[31:32], v[23:24]
	v_add_f64 v[15:16], v[33:34], v[25:26]
	v_fma_f64 v[23:24], v[27:28], v[35:36], -v[39:40]
	v_fma_f64 v[25:26], v[29:30], v[35:36], v[37:38]
	s_delay_alu instid0(VALU_DEP_4) | instskip(NEXT) | instid1(VALU_DEP_4)
	v_add_f64 v[3:4], v[3:4], v[13:14]
	v_add_f64 v[1:2], v[15:16], v[1:2]
	s_delay_alu instid0(VALU_DEP_2) | instskip(NEXT) | instid1(VALU_DEP_2)
	v_add_f64 v[15:16], v[3:4], v[23:24]
	v_add_f64 v[13:14], v[1:2], v[25:26]
	s_cbranch_vccnz .LBB1367_9
.LBB1367_3:                             ; =>This Inner Loop Header: Depth=1
	v_add_co_u32 v1, s14, v18, s12
	s_delay_alu instid0(VALU_DEP_1) | instskip(NEXT) | instid1(VALU_DEP_1)
	v_add_co_ci_u32_e64 v2, null, 0, s13, s14
	v_cmp_le_i64_e32 vcc_lo, s[16:17], v[1:2]
	s_or_b32 s14, s1, vcc_lo
	s_delay_alu instid0(SALU_CYCLE_1) | instskip(NEXT) | instid1(SALU_CYCLE_1)
	s_and_saveexec_b32 s22, s14
	s_xor_b32 s14, exec_lo, s22
	s_cbranch_execz .LBB1367_5
; %bb.4:                                ;   in Loop: Header=BB1367_3 Depth=1
	v_mov_b32_e32 v1, v0
	v_mov_b32_e32 v2, v0
	;; [unrolled: 1-line block ×3, first 2 shown]
	ds_store_b128 v21, v[0:3]
.LBB1367_5:                             ;   in Loop: Header=BB1367_3 Depth=1
	s_and_not1_saveexec_b32 s14, s14
	s_cbranch_execz .LBB1367_7
; %bb.6:                                ;   in Loop: Header=BB1367_3 Depth=1
	global_load_b128 v[1:4], v[11:12], off
	s_waitcnt vmcnt(0)
	ds_store_2addr_b64 v21, v[1:2], v[3:4] offset1:1
.LBB1367_7:                             ;   in Loop: Header=BB1367_3 Depth=1
	s_or_b32 exec_lo, exec_lo, s14
	v_add_co_u32 v3, s14, v17, s12
	s_delay_alu instid0(VALU_DEP_1) | instskip(SKIP_2) | instid1(VALU_DEP_3)
	v_add_co_ci_u32_e64 v4, null, 0, s13, s14
	v_mov_b32_e32 v1, 0
	v_mov_b32_e32 v2, 0
	v_cmp_gt_i64_e32 vcc_lo, s[16:17], v[3:4]
	s_delay_alu instid0(VALU_DEP_2) | instskip(SKIP_1) | instid1(SALU_CYCLE_1)
	v_dual_mov_b32 v4, v2 :: v_dual_mov_b32 v3, v1
	s_and_b32 s22, s0, vcc_lo
	s_and_saveexec_b32 s14, s22
	s_cbranch_execz .LBB1367_2
; %bb.8:                                ;   in Loop: Header=BB1367_3 Depth=1
	global_load_b128 v[1:4], v[9:10], off offset:-8
	s_waitcnt vmcnt(0)
	v_xor_b32_e32 v4, 0x80000000, v4
	s_branch .LBB1367_2
.LBB1367_9:
	v_cmp_le_i32_e32 vcc_lo, v7, v5
	v_cmp_gt_i32_e64 s0, s33, v5
	s_delay_alu instid0(VALU_DEP_1) | instskip(NEXT) | instid1(SALU_CYCLE_1)
	s_and_b32 s0, vcc_lo, s0
	s_and_saveexec_b32 s1, s0
	s_cbranch_execz .LBB1367_11
; %bb.10:
	v_mul_lo_u32 v2, v7, s37
	v_mul_lo_u32 v3, v8, s36
	v_mad_u64_u32 v[0:1], null, v7, s36, 0
	s_mul_i32 s1, s15, s39
	s_mul_hi_u32 s2, s15, s38
	s_mul_i32 s0, s15, s38
	s_add_i32 s1, s2, s1
	v_mul_f64 v[10:11], s[18:19], v[13:14]
	s_lshl_b64 s[0:1], s[0:1], 4
	s_delay_alu instid0(VALU_DEP_2)
	v_add3_u32 v1, v1, v2, v3
	s_add_u32 s0, s10, s0
	v_lshlrev_b64 v[2:3], 4, v[5:6]
	s_addc_u32 s1, s11, s1
	v_mul_f64 v[12:13], s[20:21], v[13:14]
	v_lshlrev_b64 v[0:1], 4, v[0:1]
	s_delay_alu instid0(VALU_DEP_1) | instskip(NEXT) | instid1(VALU_DEP_2)
	v_add_co_u32 v0, vcc_lo, s0, v0
	v_add_co_ci_u32_e32 v1, vcc_lo, s1, v1, vcc_lo
	s_delay_alu instid0(VALU_DEP_2) | instskip(NEXT) | instid1(VALU_DEP_2)
	v_add_co_u32 v8, vcc_lo, v0, v2
	v_add_co_ci_u32_e32 v9, vcc_lo, v1, v3, vcc_lo
	v_cmp_ne_u32_e32 vcc_lo, v5, v7
	global_load_b128 v[0:3], v[8:9], off
	v_fma_f64 v[10:11], s[20:21], v[15:16], v[10:11]
	v_fma_f64 v[12:13], s[18:19], v[15:16], -v[12:13]
	s_waitcnt vmcnt(0)
	v_mul_f64 v[17:18], s[6:7], v[2:3]
	v_mul_f64 v[2:3], s[8:9], v[2:3]
	s_delay_alu instid0(VALU_DEP_2) | instskip(NEXT) | instid1(VALU_DEP_2)
	v_fma_f64 v[17:18], s[8:9], v[0:1], v[17:18]
	v_fma_f64 v[0:1], s[6:7], v[0:1], -v[2:3]
	s_delay_alu instid0(VALU_DEP_2) | instskip(NEXT) | instid1(VALU_DEP_2)
	v_add_f64 v[2:3], v[10:11], v[17:18]
	v_add_f64 v[0:1], v[12:13], v[0:1]
	s_delay_alu instid0(VALU_DEP_2)
	v_dual_cndmask_b32 v3, 0, v3 :: v_dual_cndmask_b32 v2, 0, v2
	global_store_b128 v[8:9], v[0:3], off
.LBB1367_11:
	s_nop 0
	s_sendmsg sendmsg(MSG_DEALLOC_VGPRS)
	s_endpgm
	.section	.rodata,"a",@progbits
	.p2align	6, 0x0
	.amdhsa_kernel _ZL32rocblas_syrkx_herkx_small_kernelIl19rocblas_complex_numIdELi16ELb0ELb1ELc78ELc76EKS1_S1_EviT_T0_PT6_S3_lS6_S3_lS4_PT7_S3_li
		.amdhsa_group_segment_fixed_size 8192
		.amdhsa_private_segment_fixed_size 0
		.amdhsa_kernarg_size 124
		.amdhsa_user_sgpr_count 13
		.amdhsa_user_sgpr_dispatch_ptr 0
		.amdhsa_user_sgpr_queue_ptr 0
		.amdhsa_user_sgpr_kernarg_segment_ptr 1
		.amdhsa_user_sgpr_dispatch_id 0
		.amdhsa_user_sgpr_private_segment_size 0
		.amdhsa_wavefront_size32 1
		.amdhsa_uses_dynamic_stack 0
		.amdhsa_enable_private_segment 0
		.amdhsa_system_sgpr_workgroup_id_x 1
		.amdhsa_system_sgpr_workgroup_id_y 1
		.amdhsa_system_sgpr_workgroup_id_z 1
		.amdhsa_system_sgpr_workgroup_info 0
		.amdhsa_system_vgpr_workitem_id 1
		.amdhsa_next_free_vgpr 51
		.amdhsa_next_free_sgpr 40
		.amdhsa_reserve_vcc 1
		.amdhsa_float_round_mode_32 0
		.amdhsa_float_round_mode_16_64 0
		.amdhsa_float_denorm_mode_32 3
		.amdhsa_float_denorm_mode_16_64 3
		.amdhsa_dx10_clamp 1
		.amdhsa_ieee_mode 1
		.amdhsa_fp16_overflow 0
		.amdhsa_workgroup_processor_mode 1
		.amdhsa_memory_ordered 1
		.amdhsa_forward_progress 0
		.amdhsa_shared_vgpr_count 0
		.amdhsa_exception_fp_ieee_invalid_op 0
		.amdhsa_exception_fp_denorm_src 0
		.amdhsa_exception_fp_ieee_div_zero 0
		.amdhsa_exception_fp_ieee_overflow 0
		.amdhsa_exception_fp_ieee_underflow 0
		.amdhsa_exception_fp_ieee_inexact 0
		.amdhsa_exception_int_div_zero 0
	.end_amdhsa_kernel
	.section	.text._ZL32rocblas_syrkx_herkx_small_kernelIl19rocblas_complex_numIdELi16ELb0ELb1ELc78ELc76EKS1_S1_EviT_T0_PT6_S3_lS6_S3_lS4_PT7_S3_li,"axG",@progbits,_ZL32rocblas_syrkx_herkx_small_kernelIl19rocblas_complex_numIdELi16ELb0ELb1ELc78ELc76EKS1_S1_EviT_T0_PT6_S3_lS6_S3_lS4_PT7_S3_li,comdat
.Lfunc_end1367:
	.size	_ZL32rocblas_syrkx_herkx_small_kernelIl19rocblas_complex_numIdELi16ELb0ELb1ELc78ELc76EKS1_S1_EviT_T0_PT6_S3_lS6_S3_lS4_PT7_S3_li, .Lfunc_end1367-_ZL32rocblas_syrkx_herkx_small_kernelIl19rocblas_complex_numIdELi16ELb0ELb1ELc78ELc76EKS1_S1_EviT_T0_PT6_S3_lS6_S3_lS4_PT7_S3_li
                                        ; -- End function
	.section	.AMDGPU.csdata,"",@progbits
; Kernel info:
; codeLenInByte = 2080
; NumSgprs: 42
; NumVgprs: 51
; ScratchSize: 0
; MemoryBound: 1
; FloatMode: 240
; IeeeMode: 1
; LDSByteSize: 8192 bytes/workgroup (compile time only)
; SGPRBlocks: 5
; VGPRBlocks: 6
; NumSGPRsForWavesPerEU: 42
; NumVGPRsForWavesPerEU: 51
; Occupancy: 16
; WaveLimiterHint : 0
; COMPUTE_PGM_RSRC2:SCRATCH_EN: 0
; COMPUTE_PGM_RSRC2:USER_SGPR: 13
; COMPUTE_PGM_RSRC2:TRAP_HANDLER: 0
; COMPUTE_PGM_RSRC2:TGID_X_EN: 1
; COMPUTE_PGM_RSRC2:TGID_Y_EN: 1
; COMPUTE_PGM_RSRC2:TGID_Z_EN: 1
; COMPUTE_PGM_RSRC2:TIDIG_COMP_CNT: 1
	.section	.text._ZL32rocblas_syrkx_herkx_small_kernelIl19rocblas_complex_numIdELi16ELb0ELb1ELc84ELc85EKS1_S1_EviT_T0_PT6_S3_lS6_S3_lS4_PT7_S3_li,"axG",@progbits,_ZL32rocblas_syrkx_herkx_small_kernelIl19rocblas_complex_numIdELi16ELb0ELb1ELc84ELc85EKS1_S1_EviT_T0_PT6_S3_lS6_S3_lS4_PT7_S3_li,comdat
	.globl	_ZL32rocblas_syrkx_herkx_small_kernelIl19rocblas_complex_numIdELi16ELb0ELb1ELc84ELc85EKS1_S1_EviT_T0_PT6_S3_lS6_S3_lS4_PT7_S3_li ; -- Begin function _ZL32rocblas_syrkx_herkx_small_kernelIl19rocblas_complex_numIdELi16ELb0ELb1ELc84ELc85EKS1_S1_EviT_T0_PT6_S3_lS6_S3_lS4_PT7_S3_li
	.p2align	8
	.type	_ZL32rocblas_syrkx_herkx_small_kernelIl19rocblas_complex_numIdELi16ELb0ELb1ELc84ELc85EKS1_S1_EviT_T0_PT6_S3_lS6_S3_lS4_PT7_S3_li,@function
_ZL32rocblas_syrkx_herkx_small_kernelIl19rocblas_complex_numIdELi16ELb0ELb1ELc84ELc85EKS1_S1_EviT_T0_PT6_S3_lS6_S3_lS4_PT7_S3_li: ; @_ZL32rocblas_syrkx_herkx_small_kernelIl19rocblas_complex_numIdELi16ELb0ELb1ELc84ELc85EKS1_S1_EviT_T0_PT6_S3_lS6_S3_lS4_PT7_S3_li
; %bb.0:
	s_clause 0x3
	s_load_b512 s[16:31], s[0:1], 0x8
	s_load_b32 s12, s[0:1], 0x0
	s_load_b128 s[36:39], s[0:1], 0x68
	s_load_b256 s[4:11], s[0:1], 0x48
	v_and_b32_e32 v16, 0x3ff, v0
	v_bfe_u32 v17, v0, 10, 10
	v_mov_b32_e32 v10, 0
	v_mov_b32_e32 v11, 0
	s_delay_alu instid0(VALU_DEP_4) | instskip(NEXT) | instid1(VALU_DEP_4)
	v_lshl_add_u32 v4, s13, 4, v16
	v_lshl_add_u32 v14, s14, 4, v17
	s_delay_alu instid0(VALU_DEP_3) | instskip(NEXT) | instid1(VALU_DEP_3)
	v_dual_mov_b32 v13, v11 :: v_dual_mov_b32 v12, v10
	v_ashrrev_i32_e32 v5, 31, v4
	s_delay_alu instid0(VALU_DEP_3) | instskip(SKIP_3) | instid1(VALU_DEP_2)
	v_ashrrev_i32_e32 v15, 31, v14
	s_waitcnt lgkmcnt(0)
	v_cmp_lt_i64_e64 s1, s[16:17], 1
	v_cmp_gt_i32_e64 s0, s12, v14
	s_and_b32 vcc_lo, exec_lo, s1
	s_cbranch_vccnz .LBB1368_11
; %bb.1:
	v_mul_lo_u32 v8, s31, v14
	v_mul_lo_u32 v9, s30, v15
	v_mad_u64_u32 v[1:2], null, s30, v14, 0
	v_mul_lo_u32 v10, s25, v4
	v_mul_lo_u32 v11, s24, v5
	v_mad_u64_u32 v[6:7], null, s24, v4, 0
	s_mul_i32 s1, s5, s15
	s_mul_hi_u32 s2, s4, s15
	s_delay_alu instid0(VALU_DEP_4) | instskip(SKIP_3) | instid1(VALU_DEP_3)
	v_add3_u32 v2, v2, v9, v8
	s_add_i32 s3, s2, s1
	s_mul_i32 s2, s4, s15
	v_dual_mov_b32 v0, 0 :: v_dual_lshlrev_b32 v3, 8, v17
	v_add3_u32 v7, v7, v11, v10
	v_lshlrev_b64 v[1:2], 4, v[1:2]
	s_lshl_b64 s[2:3], s[2:3], 4
	s_mul_i32 s1, s27, s15
	s_mul_hi_u32 s4, s26, s15
	v_lshlrev_b64 v[6:7], 4, v[6:7]
	v_lshlrev_b32_e32 v18, 4, v16
	s_add_i32 s5, s4, s1
	s_mul_i32 s4, s26, s15
	v_add_co_u32 v1, s1, v1, s2
	s_delay_alu instid0(VALU_DEP_1) | instskip(SKIP_4) | instid1(VALU_DEP_1)
	v_add_co_ci_u32_e64 v2, s1, s3, v2, s1
	s_lshl_b64 s[2:3], s[4:5], 4
	v_dual_mov_b32 v10, 0 :: v_dual_add_nc_u32 v19, 0x1000, v3
	v_dual_mov_b32 v11, 0 :: v_dual_add_nc_u32 v20, v18, v3
	v_add_co_u32 v3, s1, v6, s2
	v_add_co_ci_u32_e64 v6, s1, s3, v7, s1
	s_delay_alu instid0(VALU_DEP_3) | instskip(SKIP_2) | instid1(VALU_DEP_1)
	v_mov_b32_e32 v13, v11
	v_lshlrev_b32_e32 v7, 4, v17
	v_add_co_u32 v1, s1, v1, v18
	v_add_co_ci_u32_e64 v2, s1, 0, v2, s1
	s_delay_alu instid0(VALU_DEP_3) | instskip(NEXT) | instid1(VALU_DEP_1)
	v_add_co_u32 v3, s1, v3, v7
	v_add_co_ci_u32_e64 v9, s1, 0, v6, s1
	s_delay_alu instid0(VALU_DEP_4) | instskip(NEXT) | instid1(VALU_DEP_1)
	v_add_co_u32 v6, s1, s28, v1
	v_add_co_ci_u32_e64 v7, s1, s29, v2, s1
	v_cmp_gt_i32_e32 vcc_lo, s12, v4
	v_add_co_u32 v8, s1, s22, v3
	v_dual_mov_b32 v12, v10 :: v_dual_add_nc_u32 v21, v19, v18
	v_add_co_ci_u32_e64 v9, s1, s23, v9, s1
	s_mov_b64 s[2:3], 0
	s_xor_b32 s1, vcc_lo, -1
	s_xor_b32 s0, s0, -1
	s_branch .LBB1368_3
.LBB1368_2:                             ;   in Loop: Header=BB1368_3 Depth=1
	s_or_b32 exec_lo, exec_lo, s4
	s_waitcnt lgkmcnt(0)
	s_barrier
	buffer_gl0_inv
	ds_load_b128 v[22:25], v18
	ds_load_b128 v[26:29], v19
	ds_load_b128 v[30:33], v19 offset:16
	ds_load_b128 v[34:37], v18 offset:256
	s_add_u32 s2, s2, 16
	s_addc_u32 s3, s3, 0
	v_add_co_u32 v6, vcc_lo, 0x100, v6
	v_cmp_ge_i64_e64 s4, s[2:3], s[16:17]
	v_add_co_ci_u32_e32 v7, vcc_lo, 0, v7, vcc_lo
	v_add_co_u32 v8, vcc_lo, 0x100, v8
	v_add_co_ci_u32_e32 v9, vcc_lo, 0, v9, vcc_lo
	s_delay_alu instid0(VALU_DEP_4)
	s_and_b32 vcc_lo, exec_lo, s4
	s_waitcnt lgkmcnt(2)
	v_mul_f64 v[1:2], v[28:29], v[24:25]
	v_mul_f64 v[24:25], v[26:27], v[24:25]
	s_waitcnt lgkmcnt(0)
	v_mul_f64 v[44:45], v[32:33], v[36:37]
	v_mul_f64 v[46:47], v[30:31], v[36:37]
	s_delay_alu instid0(VALU_DEP_4) | instskip(NEXT) | instid1(VALU_DEP_4)
	v_fma_f64 v[1:2], v[26:27], v[22:23], -v[1:2]
	v_fma_f64 v[48:49], v[28:29], v[22:23], v[24:25]
	ds_load_b128 v[22:25], v18 offset:512
	ds_load_b128 v[26:29], v19 offset:32
	;; [unrolled: 1-line block ×4, first 2 shown]
	v_fma_f64 v[30:31], v[30:31], v[34:35], -v[44:45]
	v_fma_f64 v[32:33], v[32:33], v[34:35], v[46:47]
	s_waitcnt lgkmcnt(2)
	v_mul_f64 v[50:51], v[28:29], v[24:25]
	v_mul_f64 v[24:25], v[26:27], v[24:25]
	s_waitcnt lgkmcnt(0)
	v_mul_f64 v[34:35], v[38:39], v[42:43]
	v_mul_f64 v[42:43], v[36:37], v[42:43]
	v_add_f64 v[1:2], v[12:13], v[1:2]
	v_add_f64 v[10:11], v[10:11], v[48:49]
	v_fma_f64 v[44:45], v[26:27], v[22:23], -v[50:51]
	v_fma_f64 v[46:47], v[28:29], v[22:23], v[24:25]
	v_fma_f64 v[34:35], v[36:37], v[40:41], -v[34:35]
	v_fma_f64 v[36:37], v[38:39], v[40:41], v[42:43]
	v_add_f64 v[1:2], v[1:2], v[30:31]
	v_add_f64 v[48:49], v[10:11], v[32:33]
	ds_load_b128 v[10:13], v18 offset:1024
	ds_load_b128 v[22:25], v19 offset:64
	;; [unrolled: 1-line block ×4, first 2 shown]
	s_waitcnt lgkmcnt(2)
	v_mul_f64 v[50:51], v[24:25], v[12:13]
	v_mul_f64 v[12:13], v[22:23], v[12:13]
	s_waitcnt lgkmcnt(0)
	v_mul_f64 v[40:41], v[28:29], v[32:33]
	v_mul_f64 v[42:43], v[26:27], v[32:33]
	v_add_f64 v[1:2], v[1:2], v[44:45]
	v_add_f64 v[38:39], v[48:49], v[46:47]
	v_fma_f64 v[44:45], v[22:23], v[10:11], -v[50:51]
	v_fma_f64 v[46:47], v[24:25], v[10:11], v[12:13]
	v_fma_f64 v[26:27], v[26:27], v[30:31], -v[40:41]
	v_fma_f64 v[28:29], v[28:29], v[30:31], v[42:43]
	v_add_f64 v[1:2], v[1:2], v[34:35]
	v_add_f64 v[48:49], v[38:39], v[36:37]
	ds_load_b128 v[10:13], v18 offset:1536
	ds_load_b128 v[22:25], v19 offset:96
	ds_load_b128 v[32:35], v19 offset:112
	ds_load_b128 v[36:39], v18 offset:1792
	s_waitcnt lgkmcnt(2)
	v_mul_f64 v[50:51], v[24:25], v[12:13]
	v_mul_f64 v[12:13], v[22:23], v[12:13]
	s_waitcnt lgkmcnt(0)
	v_mul_f64 v[42:43], v[34:35], v[38:39]
	v_add_f64 v[1:2], v[1:2], v[44:45]
	v_add_f64 v[30:31], v[48:49], v[46:47]
	v_mul_f64 v[44:45], v[32:33], v[38:39]
	v_fma_f64 v[46:47], v[22:23], v[10:11], -v[50:51]
	v_fma_f64 v[48:49], v[24:25], v[10:11], v[12:13]
	v_fma_f64 v[32:33], v[32:33], v[36:37], -v[42:43]
	v_add_f64 v[1:2], v[1:2], v[26:27]
	v_add_f64 v[30:31], v[30:31], v[28:29]
	ds_load_b128 v[10:13], v18 offset:2048
	ds_load_b128 v[22:25], v19 offset:128
	;; [unrolled: 1-line block ×4, first 2 shown]
	v_fma_f64 v[34:35], v[34:35], v[36:37], v[44:45]
	s_waitcnt lgkmcnt(2)
	v_mul_f64 v[50:51], v[24:25], v[12:13]
	v_mul_f64 v[12:13], v[22:23], v[12:13]
	s_waitcnt lgkmcnt(0)
	v_mul_f64 v[42:43], v[28:29], v[40:41]
	v_mul_f64 v[40:41], v[26:27], v[40:41]
	v_add_f64 v[1:2], v[1:2], v[46:47]
	v_add_f64 v[30:31], v[30:31], v[48:49]
	v_fma_f64 v[44:45], v[22:23], v[10:11], -v[50:51]
	v_fma_f64 v[46:47], v[24:25], v[10:11], v[12:13]
	v_fma_f64 v[26:27], v[26:27], v[38:39], -v[42:43]
	v_fma_f64 v[28:29], v[28:29], v[38:39], v[40:41]
	v_add_f64 v[1:2], v[1:2], v[32:33]
	v_add_f64 v[48:49], v[30:31], v[34:35]
	ds_load_b128 v[10:13], v18 offset:2560
	ds_load_b128 v[22:25], v19 offset:160
	;; [unrolled: 1-line block ×4, first 2 shown]
	s_waitcnt lgkmcnt(2)
	v_mul_f64 v[50:51], v[24:25], v[12:13]
	v_mul_f64 v[12:13], v[22:23], v[12:13]
	s_waitcnt lgkmcnt(0)
	v_mul_f64 v[40:41], v[32:33], v[36:37]
	v_mul_f64 v[42:43], v[30:31], v[36:37]
	v_add_f64 v[1:2], v[1:2], v[44:45]
	v_add_f64 v[38:39], v[48:49], v[46:47]
	v_fma_f64 v[44:45], v[22:23], v[10:11], -v[50:51]
	v_fma_f64 v[46:47], v[24:25], v[10:11], v[12:13]
	v_fma_f64 v[30:31], v[30:31], v[34:35], -v[40:41]
	v_fma_f64 v[32:33], v[32:33], v[34:35], v[42:43]
	v_add_f64 v[1:2], v[1:2], v[26:27]
	v_add_f64 v[48:49], v[38:39], v[28:29]
	ds_load_b128 v[10:13], v18 offset:3072
	ds_load_b128 v[22:25], v19 offset:192
	;; [unrolled: 1-line block ×4, first 2 shown]
	s_waitcnt lgkmcnt(2)
	v_mul_f64 v[50:51], v[24:25], v[12:13]
	v_mul_f64 v[12:13], v[22:23], v[12:13]
	s_waitcnt lgkmcnt(0)
	v_mul_f64 v[42:43], v[28:29], v[38:39]
	v_add_f64 v[1:2], v[1:2], v[44:45]
	v_add_f64 v[34:35], v[48:49], v[46:47]
	v_mul_f64 v[44:45], v[26:27], v[38:39]
	v_fma_f64 v[46:47], v[22:23], v[10:11], -v[50:51]
	v_fma_f64 v[48:49], v[24:25], v[10:11], v[12:13]
	v_fma_f64 v[26:27], v[26:27], v[36:37], -v[42:43]
	v_add_f64 v[1:2], v[1:2], v[30:31]
	v_add_f64 v[34:35], v[34:35], v[32:33]
	ds_load_b128 v[10:13], v18 offset:3584
	ds_load_b128 v[22:25], v19 offset:224
	;; [unrolled: 1-line block ×4, first 2 shown]
	v_fma_f64 v[28:29], v[28:29], v[36:37], v[44:45]
	s_waitcnt lgkmcnt(0)
	s_barrier
	buffer_gl0_inv
	v_mul_f64 v[50:51], v[24:25], v[12:13]
	v_mul_f64 v[12:13], v[22:23], v[12:13]
	;; [unrolled: 1-line block ×4, first 2 shown]
	v_add_f64 v[1:2], v[1:2], v[46:47]
	v_add_f64 v[34:35], v[34:35], v[48:49]
	v_fma_f64 v[22:23], v[22:23], v[10:11], -v[50:51]
	v_fma_f64 v[10:11], v[24:25], v[10:11], v[12:13]
	v_fma_f64 v[24:25], v[30:31], v[38:39], -v[36:37]
	v_add_f64 v[1:2], v[1:2], v[26:27]
	v_add_f64 v[12:13], v[34:35], v[28:29]
	v_fma_f64 v[26:27], v[32:33], v[38:39], v[40:41]
	s_delay_alu instid0(VALU_DEP_3) | instskip(NEXT) | instid1(VALU_DEP_3)
	v_add_f64 v[1:2], v[1:2], v[22:23]
	v_add_f64 v[10:11], v[12:13], v[10:11]
	s_delay_alu instid0(VALU_DEP_2) | instskip(NEXT) | instid1(VALU_DEP_2)
	v_add_f64 v[12:13], v[1:2], v[24:25]
	v_add_f64 v[10:11], v[10:11], v[26:27]
	s_cbranch_vccnz .LBB1368_11
.LBB1368_3:                             ; =>This Inner Loop Header: Depth=1
	v_add_co_u32 v1, s4, v17, s2
	s_delay_alu instid0(VALU_DEP_1) | instskip(NEXT) | instid1(VALU_DEP_1)
	v_add_co_ci_u32_e64 v2, null, 0, s3, s4
	v_cmp_le_i64_e32 vcc_lo, s[16:17], v[1:2]
	s_or_b32 s4, s1, vcc_lo
	s_delay_alu instid0(SALU_CYCLE_1) | instskip(NEXT) | instid1(SALU_CYCLE_1)
	s_and_saveexec_b32 s5, s4
	s_xor_b32 s4, exec_lo, s5
	s_cbranch_execz .LBB1368_5
; %bb.4:                                ;   in Loop: Header=BB1368_3 Depth=1
	v_mov_b32_e32 v1, v0
	v_mov_b32_e32 v2, v0
	;; [unrolled: 1-line block ×3, first 2 shown]
	ds_store_b128 v20, v[0:3]
.LBB1368_5:                             ;   in Loop: Header=BB1368_3 Depth=1
	s_and_not1_saveexec_b32 s4, s4
	s_cbranch_execz .LBB1368_7
; %bb.6:                                ;   in Loop: Header=BB1368_3 Depth=1
	global_load_b128 v[22:25], v[8:9], off
	s_waitcnt vmcnt(0)
	ds_store_2addr_b64 v20, v[22:23], v[24:25] offset1:1
.LBB1368_7:                             ;   in Loop: Header=BB1368_3 Depth=1
	s_or_b32 exec_lo, exec_lo, s4
	v_add_co_u32 v1, s4, v16, s2
	s_delay_alu instid0(VALU_DEP_1) | instskip(NEXT) | instid1(VALU_DEP_1)
	v_add_co_ci_u32_e64 v2, null, 0, s3, s4
	v_cmp_le_i64_e32 vcc_lo, s[16:17], v[1:2]
	s_or_b32 s4, s0, vcc_lo
	s_delay_alu instid0(SALU_CYCLE_1) | instskip(NEXT) | instid1(SALU_CYCLE_1)
	s_and_saveexec_b32 s5, s4
	s_xor_b32 s4, exec_lo, s5
	s_cbranch_execz .LBB1368_9
; %bb.8:                                ;   in Loop: Header=BB1368_3 Depth=1
	v_mov_b32_e32 v1, v0
	v_mov_b32_e32 v2, v0
	v_mov_b32_e32 v3, v0
	ds_store_b128 v21, v[0:3]
.LBB1368_9:                             ;   in Loop: Header=BB1368_3 Depth=1
	s_and_not1_saveexec_b32 s4, s4
	s_cbranch_execz .LBB1368_2
; %bb.10:                               ;   in Loop: Header=BB1368_3 Depth=1
	global_load_b128 v[22:25], v[6:7], off
	s_waitcnt vmcnt(0)
	ds_store_2addr_b64 v21, v[22:23], v[24:25] offset1:1
	s_branch .LBB1368_2
.LBB1368_11:
	v_cmp_le_i32_e32 vcc_lo, v4, v14
	v_cmp_gt_i32_e64 s0, s12, v14
	s_delay_alu instid0(VALU_DEP_1) | instskip(NEXT) | instid1(SALU_CYCLE_1)
	s_and_b32 s0, vcc_lo, s0
	s_and_saveexec_b32 s1, s0
	s_cbranch_execz .LBB1368_13
; %bb.12:
	v_mul_lo_u32 v2, v14, s37
	v_mul_lo_u32 v3, v15, s36
	v_mad_u64_u32 v[0:1], null, v14, s36, 0
	s_mul_i32 s1, s15, s39
	s_mul_hi_u32 s2, s15, s38
	s_mul_i32 s0, s15, s38
	s_add_i32 s1, s2, s1
	v_mul_f64 v[7:8], s[18:19], v[10:11]
	s_lshl_b64 s[0:1], s[0:1], 4
	s_delay_alu instid0(VALU_DEP_2)
	v_add3_u32 v1, v1, v2, v3
	s_add_u32 s0, s10, s0
	v_lshlrev_b64 v[2:3], 4, v[4:5]
	s_addc_u32 s1, s11, s1
	v_mul_f64 v[9:10], s[20:21], v[10:11]
	v_lshlrev_b64 v[0:1], 4, v[0:1]
	s_delay_alu instid0(VALU_DEP_1) | instskip(NEXT) | instid1(VALU_DEP_2)
	v_add_co_u32 v0, vcc_lo, s0, v0
	v_add_co_ci_u32_e32 v1, vcc_lo, s1, v1, vcc_lo
	s_delay_alu instid0(VALU_DEP_2) | instskip(NEXT) | instid1(VALU_DEP_2)
	v_add_co_u32 v5, vcc_lo, v0, v2
	v_add_co_ci_u32_e32 v6, vcc_lo, v1, v3, vcc_lo
	v_cmp_ne_u32_e32 vcc_lo, v4, v14
	global_load_b128 v[0:3], v[5:6], off
	v_fma_f64 v[7:8], s[20:21], v[12:13], v[7:8]
	v_fma_f64 v[9:10], s[18:19], v[12:13], -v[9:10]
	s_waitcnt vmcnt(0)
	v_mul_f64 v[15:16], s[6:7], v[2:3]
	v_mul_f64 v[2:3], s[8:9], v[2:3]
	s_delay_alu instid0(VALU_DEP_2) | instskip(NEXT) | instid1(VALU_DEP_2)
	v_fma_f64 v[15:16], s[8:9], v[0:1], v[15:16]
	v_fma_f64 v[0:1], s[6:7], v[0:1], -v[2:3]
	s_delay_alu instid0(VALU_DEP_2) | instskip(NEXT) | instid1(VALU_DEP_2)
	v_add_f64 v[2:3], v[7:8], v[15:16]
	v_add_f64 v[0:1], v[9:10], v[0:1]
	s_delay_alu instid0(VALU_DEP_2)
	v_dual_cndmask_b32 v3, 0, v3 :: v_dual_cndmask_b32 v2, 0, v2
	global_store_b128 v[5:6], v[0:3], off
.LBB1368_13:
	s_nop 0
	s_sendmsg sendmsg(MSG_DEALLOC_VGPRS)
	s_endpgm
	.section	.rodata,"a",@progbits
	.p2align	6, 0x0
	.amdhsa_kernel _ZL32rocblas_syrkx_herkx_small_kernelIl19rocblas_complex_numIdELi16ELb0ELb1ELc84ELc85EKS1_S1_EviT_T0_PT6_S3_lS6_S3_lS4_PT7_S3_li
		.amdhsa_group_segment_fixed_size 8192
		.amdhsa_private_segment_fixed_size 0
		.amdhsa_kernarg_size 124
		.amdhsa_user_sgpr_count 13
		.amdhsa_user_sgpr_dispatch_ptr 0
		.amdhsa_user_sgpr_queue_ptr 0
		.amdhsa_user_sgpr_kernarg_segment_ptr 1
		.amdhsa_user_sgpr_dispatch_id 0
		.amdhsa_user_sgpr_private_segment_size 0
		.amdhsa_wavefront_size32 1
		.amdhsa_uses_dynamic_stack 0
		.amdhsa_enable_private_segment 0
		.amdhsa_system_sgpr_workgroup_id_x 1
		.amdhsa_system_sgpr_workgroup_id_y 1
		.amdhsa_system_sgpr_workgroup_id_z 1
		.amdhsa_system_sgpr_workgroup_info 0
		.amdhsa_system_vgpr_workitem_id 1
		.amdhsa_next_free_vgpr 52
		.amdhsa_next_free_sgpr 40
		.amdhsa_reserve_vcc 1
		.amdhsa_float_round_mode_32 0
		.amdhsa_float_round_mode_16_64 0
		.amdhsa_float_denorm_mode_32 3
		.amdhsa_float_denorm_mode_16_64 3
		.amdhsa_dx10_clamp 1
		.amdhsa_ieee_mode 1
		.amdhsa_fp16_overflow 0
		.amdhsa_workgroup_processor_mode 1
		.amdhsa_memory_ordered 1
		.amdhsa_forward_progress 0
		.amdhsa_shared_vgpr_count 0
		.amdhsa_exception_fp_ieee_invalid_op 0
		.amdhsa_exception_fp_denorm_src 0
		.amdhsa_exception_fp_ieee_div_zero 0
		.amdhsa_exception_fp_ieee_overflow 0
		.amdhsa_exception_fp_ieee_underflow 0
		.amdhsa_exception_fp_ieee_inexact 0
		.amdhsa_exception_int_div_zero 0
	.end_amdhsa_kernel
	.section	.text._ZL32rocblas_syrkx_herkx_small_kernelIl19rocblas_complex_numIdELi16ELb0ELb1ELc84ELc85EKS1_S1_EviT_T0_PT6_S3_lS6_S3_lS4_PT7_S3_li,"axG",@progbits,_ZL32rocblas_syrkx_herkx_small_kernelIl19rocblas_complex_numIdELi16ELb0ELb1ELc84ELc85EKS1_S1_EviT_T0_PT6_S3_lS6_S3_lS4_PT7_S3_li,comdat
.Lfunc_end1368:
	.size	_ZL32rocblas_syrkx_herkx_small_kernelIl19rocblas_complex_numIdELi16ELb0ELb1ELc84ELc85EKS1_S1_EviT_T0_PT6_S3_lS6_S3_lS4_PT7_S3_li, .Lfunc_end1368-_ZL32rocblas_syrkx_herkx_small_kernelIl19rocblas_complex_numIdELi16ELb0ELb1ELc84ELc85EKS1_S1_EviT_T0_PT6_S3_lS6_S3_lS4_PT7_S3_li
                                        ; -- End function
	.section	.AMDGPU.csdata,"",@progbits
; Kernel info:
; codeLenInByte = 2092
; NumSgprs: 42
; NumVgprs: 52
; ScratchSize: 0
; MemoryBound: 0
; FloatMode: 240
; IeeeMode: 1
; LDSByteSize: 8192 bytes/workgroup (compile time only)
; SGPRBlocks: 5
; VGPRBlocks: 6
; NumSGPRsForWavesPerEU: 42
; NumVGPRsForWavesPerEU: 52
; Occupancy: 16
; WaveLimiterHint : 0
; COMPUTE_PGM_RSRC2:SCRATCH_EN: 0
; COMPUTE_PGM_RSRC2:USER_SGPR: 13
; COMPUTE_PGM_RSRC2:TRAP_HANDLER: 0
; COMPUTE_PGM_RSRC2:TGID_X_EN: 1
; COMPUTE_PGM_RSRC2:TGID_Y_EN: 1
; COMPUTE_PGM_RSRC2:TGID_Z_EN: 1
; COMPUTE_PGM_RSRC2:TIDIG_COMP_CNT: 1
	.section	.text._ZL32rocblas_syrkx_herkx_small_kernelIl19rocblas_complex_numIdELi16ELb0ELb1ELc67ELc85EKS1_S1_EviT_T0_PT6_S3_lS6_S3_lS4_PT7_S3_li,"axG",@progbits,_ZL32rocblas_syrkx_herkx_small_kernelIl19rocblas_complex_numIdELi16ELb0ELb1ELc67ELc85EKS1_S1_EviT_T0_PT6_S3_lS6_S3_lS4_PT7_S3_li,comdat
	.globl	_ZL32rocblas_syrkx_herkx_small_kernelIl19rocblas_complex_numIdELi16ELb0ELb1ELc67ELc85EKS1_S1_EviT_T0_PT6_S3_lS6_S3_lS4_PT7_S3_li ; -- Begin function _ZL32rocblas_syrkx_herkx_small_kernelIl19rocblas_complex_numIdELi16ELb0ELb1ELc67ELc85EKS1_S1_EviT_T0_PT6_S3_lS6_S3_lS4_PT7_S3_li
	.p2align	8
	.type	_ZL32rocblas_syrkx_herkx_small_kernelIl19rocblas_complex_numIdELi16ELb0ELb1ELc67ELc85EKS1_S1_EviT_T0_PT6_S3_lS6_S3_lS4_PT7_S3_li,@function
_ZL32rocblas_syrkx_herkx_small_kernelIl19rocblas_complex_numIdELi16ELb0ELb1ELc67ELc85EKS1_S1_EviT_T0_PT6_S3_lS6_S3_lS4_PT7_S3_li: ; @_ZL32rocblas_syrkx_herkx_small_kernelIl19rocblas_complex_numIdELi16ELb0ELb1ELc67ELc85EKS1_S1_EviT_T0_PT6_S3_lS6_S3_lS4_PT7_S3_li
; %bb.0:
	s_clause 0x3
	s_load_b512 s[16:31], s[0:1], 0x8
	s_load_b32 s12, s[0:1], 0x0
	s_load_b128 s[36:39], s[0:1], 0x68
	s_load_b256 s[4:11], s[0:1], 0x48
	v_and_b32_e32 v19, 0x3ff, v0
	v_bfe_u32 v20, v0, 10, 10
	v_mov_b32_e32 v13, 0
	v_mov_b32_e32 v14, 0
	s_delay_alu instid0(VALU_DEP_4) | instskip(NEXT) | instid1(VALU_DEP_4)
	v_lshl_add_u32 v5, s13, 4, v19
	v_lshl_add_u32 v17, s14, 4, v20
	s_delay_alu instid0(VALU_DEP_3) | instskip(NEXT) | instid1(VALU_DEP_3)
	v_dual_mov_b32 v16, v14 :: v_dual_mov_b32 v15, v13
	v_ashrrev_i32_e32 v6, 31, v5
	s_delay_alu instid0(VALU_DEP_3) | instskip(SKIP_3) | instid1(VALU_DEP_2)
	v_ashrrev_i32_e32 v18, 31, v17
	s_waitcnt lgkmcnt(0)
	v_cmp_lt_i64_e64 s0, s[16:17], 1
	v_cmp_gt_i32_e64 s1, s12, v17
	s_and_b32 vcc_lo, exec_lo, s0
	s_cbranch_vccnz .LBB1369_9
; %bb.1:
	v_mul_lo_u32 v0, s31, v17
	v_mul_lo_u32 v3, s30, v18
	v_mad_u64_u32 v[1:2], null, s30, v17, 0
	v_mul_lo_u32 v8, s25, v5
	v_mul_lo_u32 v9, s24, v6
	s_mul_i32 s2, s5, s15
	s_mul_hi_u32 s3, s4, s15
	s_mul_hi_u32 s5, s26, s15
	s_add_i32 s3, s3, s2
	s_delay_alu instid0(VALU_DEP_3)
	v_add3_u32 v2, v2, v3, v0
	v_mad_u64_u32 v[3:4], null, s24, v5, 0
	s_mul_i32 s2, s4, s15
	s_mul_i32 s4, s27, s15
	v_dual_mov_b32 v0, 0 :: v_dual_lshlrev_b32 v7, 8, v20
	v_lshlrev_b32_e32 v21, 4, v19
	s_add_i32 s5, s5, s4
	s_delay_alu instid0(VALU_DEP_3)
	v_add3_u32 v4, v4, v9, v8
	s_mul_i32 s4, s26, s15
	v_lshlrev_b64 v[1:2], 4, v[1:2]
	s_lshl_b64 s[4:5], s[4:5], 4
	v_add_nc_u32_e32 v22, 0x1000, v7
	v_lshlrev_b64 v[3:4], 4, v[3:4]
	v_add_nc_u32_e32 v23, v21, v7
	s_lshl_b64 s[2:3], s[2:3], 4
	v_lshlrev_b32_e32 v7, 4, v20
	v_cmp_gt_i32_e64 s0, s12, v5
	s_xor_b32 s1, s1, -1
	v_add_co_u32 v3, vcc_lo, v3, s4
	v_add_co_ci_u32_e32 v4, vcc_lo, s5, v4, vcc_lo
	v_add_co_u32 v1, vcc_lo, v1, s2
	v_add_co_ci_u32_e32 v2, vcc_lo, s3, v2, vcc_lo
	s_delay_alu instid0(VALU_DEP_4) | instskip(NEXT) | instid1(VALU_DEP_4)
	v_add_co_u32 v3, vcc_lo, v3, v7
	v_add_co_ci_u32_e32 v4, vcc_lo, 0, v4, vcc_lo
	v_mov_b32_e32 v7, 0
	v_mov_b32_e32 v8, 0
	v_add_co_u32 v1, vcc_lo, v1, v21
	v_add_co_ci_u32_e32 v2, vcc_lo, 0, v2, vcc_lo
	s_delay_alu instid0(VALU_DEP_3) | instskip(SKIP_4) | instid1(VALU_DEP_4)
	v_mov_b32_e32 v14, v8
	v_add_co_u32 v3, vcc_lo, v3, s22
	v_add_co_ci_u32_e32 v4, vcc_lo, s23, v4, vcc_lo
	v_add_co_u32 v9, vcc_lo, s28, v1
	v_add_co_ci_u32_e32 v10, vcc_lo, s29, v2, vcc_lo
	v_add_co_u32 v11, vcc_lo, v3, 8
	v_dual_mov_b32 v13, v7 :: v_dual_add_nc_u32 v24, v22, v21
	v_add_co_ci_u32_e32 v12, vcc_lo, 0, v4, vcc_lo
	v_dual_mov_b32 v16, v8 :: v_dual_mov_b32 v15, v7
	s_mov_b64 s[2:3], 0
	s_branch .LBB1369_3
.LBB1369_2:                             ;   in Loop: Header=BB1369_3 Depth=1
	s_or_b32 exec_lo, exec_lo, s4
	s_waitcnt lgkmcnt(0)
	s_barrier
	buffer_gl0_inv
	ds_load_b128 v[1:4], v21
	ds_load_b128 v[25:28], v22
	ds_load_b128 v[29:32], v22 offset:16
	ds_load_b128 v[33:36], v21 offset:256
	s_add_u32 s2, s2, 16
	s_addc_u32 s3, s3, 0
	v_add_co_u32 v9, vcc_lo, 0x100, v9
	v_cmp_ge_i64_e64 s4, s[2:3], s[16:17]
	v_add_co_ci_u32_e32 v10, vcc_lo, 0, v10, vcc_lo
	v_add_co_u32 v11, vcc_lo, 0x100, v11
	v_add_co_ci_u32_e32 v12, vcc_lo, 0, v12, vcc_lo
	s_delay_alu instid0(VALU_DEP_4)
	s_and_b32 vcc_lo, exec_lo, s4
	s_waitcnt lgkmcnt(2)
	v_mul_f64 v[37:38], v[27:28], v[3:4]
	v_mul_f64 v[3:4], v[25:26], v[3:4]
	s_waitcnt lgkmcnt(0)
	v_mul_f64 v[43:44], v[31:32], v[35:36]
	v_mul_f64 v[45:46], v[29:30], v[35:36]
	s_delay_alu instid0(VALU_DEP_4) | instskip(NEXT) | instid1(VALU_DEP_4)
	v_fma_f64 v[47:48], v[25:26], v[1:2], -v[37:38]
	v_fma_f64 v[49:50], v[27:28], v[1:2], v[3:4]
	ds_load_b128 v[1:4], v21 offset:512
	ds_load_b128 v[25:28], v22 offset:32
	;; [unrolled: 1-line block ×4, first 2 shown]
	v_fma_f64 v[29:30], v[29:30], v[33:34], -v[43:44]
	v_fma_f64 v[31:32], v[31:32], v[33:34], v[45:46]
	s_waitcnt lgkmcnt(2)
	v_mul_f64 v[51:52], v[27:28], v[3:4]
	v_mul_f64 v[3:4], v[25:26], v[3:4]
	s_waitcnt lgkmcnt(0)
	v_mul_f64 v[33:34], v[37:38], v[41:42]
	v_mul_f64 v[41:42], v[35:36], v[41:42]
	v_add_f64 v[15:16], v[15:16], v[47:48]
	v_add_f64 v[13:14], v[13:14], v[49:50]
	v_fma_f64 v[43:44], v[25:26], v[1:2], -v[51:52]
	v_fma_f64 v[45:46], v[27:28], v[1:2], v[3:4]
	v_fma_f64 v[33:34], v[35:36], v[39:40], -v[33:34]
	v_fma_f64 v[35:36], v[37:38], v[39:40], v[41:42]
	v_add_f64 v[47:48], v[15:16], v[29:30]
	v_add_f64 v[49:50], v[13:14], v[31:32]
	ds_load_b128 v[1:4], v21 offset:1024
	ds_load_b128 v[13:16], v22 offset:64
	;; [unrolled: 1-line block ×4, first 2 shown]
	s_waitcnt lgkmcnt(2)
	v_mul_f64 v[51:52], v[15:16], v[3:4]
	v_mul_f64 v[3:4], v[13:14], v[3:4]
	s_waitcnt lgkmcnt(0)
	v_mul_f64 v[41:42], v[27:28], v[31:32]
	v_add_f64 v[37:38], v[47:48], v[43:44]
	v_add_f64 v[39:40], v[49:50], v[45:46]
	v_mul_f64 v[43:44], v[25:26], v[31:32]
	v_fma_f64 v[45:46], v[13:14], v[1:2], -v[51:52]
	v_fma_f64 v[47:48], v[15:16], v[1:2], v[3:4]
	v_fma_f64 v[25:26], v[25:26], v[29:30], -v[41:42]
	v_add_f64 v[49:50], v[37:38], v[33:34]
	v_add_f64 v[39:40], v[39:40], v[35:36]
	ds_load_b128 v[1:4], v21 offset:1536
	ds_load_b128 v[13:16], v22 offset:96
	;; [unrolled: 1-line block ×4, first 2 shown]
	v_fma_f64 v[27:28], v[27:28], v[29:30], v[43:44]
	s_waitcnt lgkmcnt(2)
	v_mul_f64 v[51:52], v[15:16], v[3:4]
	v_mul_f64 v[3:4], v[13:14], v[3:4]
	s_waitcnt lgkmcnt(0)
	v_mul_f64 v[41:42], v[33:34], v[37:38]
	v_mul_f64 v[43:44], v[31:32], v[37:38]
	v_add_f64 v[29:30], v[49:50], v[45:46]
	v_add_f64 v[39:40], v[39:40], v[47:48]
	v_fma_f64 v[45:46], v[13:14], v[1:2], -v[51:52]
	v_fma_f64 v[47:48], v[15:16], v[1:2], v[3:4]
	v_fma_f64 v[31:32], v[31:32], v[35:36], -v[41:42]
	v_fma_f64 v[33:34], v[33:34], v[35:36], v[43:44]
	v_add_f64 v[29:30], v[29:30], v[25:26]
	v_add_f64 v[49:50], v[39:40], v[27:28]
	ds_load_b128 v[1:4], v21 offset:2048
	ds_load_b128 v[13:16], v22 offset:128
	ds_load_b128 v[25:28], v22 offset:144
	ds_load_b128 v[37:40], v21 offset:2304
	s_waitcnt lgkmcnt(2)
	v_mul_f64 v[51:52], v[15:16], v[3:4]
	v_mul_f64 v[3:4], v[13:14], v[3:4]
	s_waitcnt lgkmcnt(0)
	v_mul_f64 v[41:42], v[27:28], v[39:40]
	v_mul_f64 v[39:40], v[25:26], v[39:40]
	v_add_f64 v[29:30], v[29:30], v[45:46]
	v_add_f64 v[35:36], v[49:50], v[47:48]
	v_fma_f64 v[43:44], v[13:14], v[1:2], -v[51:52]
	v_fma_f64 v[45:46], v[15:16], v[1:2], v[3:4]
	v_fma_f64 v[25:26], v[25:26], v[37:38], -v[41:42]
	v_fma_f64 v[27:28], v[27:28], v[37:38], v[39:40]
	v_add_f64 v[47:48], v[29:30], v[31:32]
	v_add_f64 v[49:50], v[35:36], v[33:34]
	ds_load_b128 v[1:4], v21 offset:2560
	ds_load_b128 v[13:16], v22 offset:160
	;; [unrolled: 1-line block ×4, first 2 shown]
	s_waitcnt lgkmcnt(2)
	v_mul_f64 v[51:52], v[15:16], v[3:4]
	v_mul_f64 v[3:4], v[13:14], v[3:4]
	s_waitcnt lgkmcnt(0)
	v_mul_f64 v[41:42], v[31:32], v[35:36]
	v_add_f64 v[37:38], v[47:48], v[43:44]
	v_add_f64 v[39:40], v[49:50], v[45:46]
	v_mul_f64 v[43:44], v[29:30], v[35:36]
	v_fma_f64 v[45:46], v[13:14], v[1:2], -v[51:52]
	v_fma_f64 v[47:48], v[15:16], v[1:2], v[3:4]
	v_fma_f64 v[29:30], v[29:30], v[33:34], -v[41:42]
	v_add_f64 v[49:50], v[37:38], v[25:26]
	v_add_f64 v[39:40], v[39:40], v[27:28]
	ds_load_b128 v[1:4], v21 offset:3072
	ds_load_b128 v[13:16], v22 offset:192
	;; [unrolled: 1-line block ×4, first 2 shown]
	v_fma_f64 v[31:32], v[31:32], v[33:34], v[43:44]
	s_waitcnt lgkmcnt(2)
	v_mul_f64 v[51:52], v[15:16], v[3:4]
	v_mul_f64 v[3:4], v[13:14], v[3:4]
	s_waitcnt lgkmcnt(0)
	v_mul_f64 v[41:42], v[27:28], v[37:38]
	v_mul_f64 v[43:44], v[25:26], v[37:38]
	v_add_f64 v[33:34], v[49:50], v[45:46]
	v_add_f64 v[39:40], v[39:40], v[47:48]
	v_fma_f64 v[45:46], v[13:14], v[1:2], -v[51:52]
	v_fma_f64 v[47:48], v[15:16], v[1:2], v[3:4]
	v_fma_f64 v[25:26], v[25:26], v[35:36], -v[41:42]
	v_fma_f64 v[27:28], v[27:28], v[35:36], v[43:44]
	v_add_f64 v[33:34], v[33:34], v[29:30]
	v_add_f64 v[49:50], v[39:40], v[31:32]
	ds_load_b128 v[1:4], v21 offset:3584
	ds_load_b128 v[13:16], v22 offset:224
	;; [unrolled: 1-line block ×4, first 2 shown]
	s_waitcnt lgkmcnt(0)
	s_barrier
	buffer_gl0_inv
	v_mul_f64 v[51:52], v[15:16], v[3:4]
	v_mul_f64 v[3:4], v[13:14], v[3:4]
	v_mul_f64 v[41:42], v[31:32], v[39:40]
	v_mul_f64 v[39:40], v[29:30], v[39:40]
	v_add_f64 v[33:34], v[33:34], v[45:46]
	v_add_f64 v[35:36], v[49:50], v[47:48]
	v_fma_f64 v[13:14], v[13:14], v[1:2], -v[51:52]
	v_fma_f64 v[1:2], v[15:16], v[1:2], v[3:4]
	s_delay_alu instid0(VALU_DEP_4) | instskip(NEXT) | instid1(VALU_DEP_4)
	v_add_f64 v[3:4], v[33:34], v[25:26]
	v_add_f64 v[15:16], v[35:36], v[27:28]
	v_fma_f64 v[25:26], v[29:30], v[37:38], -v[41:42]
	v_fma_f64 v[27:28], v[31:32], v[37:38], v[39:40]
	s_delay_alu instid0(VALU_DEP_4) | instskip(NEXT) | instid1(VALU_DEP_4)
	v_add_f64 v[3:4], v[3:4], v[13:14]
	v_add_f64 v[1:2], v[15:16], v[1:2]
	s_delay_alu instid0(VALU_DEP_2) | instskip(NEXT) | instid1(VALU_DEP_2)
	v_add_f64 v[15:16], v[3:4], v[25:26]
	v_add_f64 v[13:14], v[1:2], v[27:28]
	s_cbranch_vccnz .LBB1369_9
.LBB1369_3:                             ; =>This Inner Loop Header: Depth=1
	v_add_co_u32 v1, s4, v20, s2
	s_delay_alu instid0(VALU_DEP_1) | instskip(SKIP_1) | instid1(VALU_DEP_2)
	v_add_co_ci_u32_e64 v2, null, 0, s3, s4
	v_dual_mov_b32 v3, v7 :: v_dual_mov_b32 v4, v8
	v_cmp_gt_i64_e32 vcc_lo, s[16:17], v[1:2]
	v_dual_mov_b32 v1, v7 :: v_dual_mov_b32 v2, v8
	s_and_b32 s5, s0, vcc_lo
	s_delay_alu instid0(SALU_CYCLE_1)
	s_and_saveexec_b32 s4, s5
	s_cbranch_execz .LBB1369_5
; %bb.4:                                ;   in Loop: Header=BB1369_3 Depth=1
	global_load_b128 v[1:4], v[11:12], off offset:-8
	s_waitcnt vmcnt(0)
	v_xor_b32_e32 v4, 0x80000000, v4
.LBB1369_5:                             ;   in Loop: Header=BB1369_3 Depth=1
	s_or_b32 exec_lo, exec_lo, s4
	v_add_co_u32 v25, s4, v19, s2
	s_delay_alu instid0(VALU_DEP_1) | instskip(SKIP_3) | instid1(SALU_CYCLE_1)
	v_add_co_ci_u32_e64 v26, null, 0, s3, s4
	ds_store_b128 v23, v[1:4]
	v_cmp_le_i64_e32 vcc_lo, s[16:17], v[25:26]
	s_or_b32 s4, s1, vcc_lo
	s_and_saveexec_b32 s5, s4
	s_delay_alu instid0(SALU_CYCLE_1)
	s_xor_b32 s4, exec_lo, s5
	s_cbranch_execz .LBB1369_7
; %bb.6:                                ;   in Loop: Header=BB1369_3 Depth=1
	v_mov_b32_e32 v1, v0
	v_mov_b32_e32 v2, v0
	;; [unrolled: 1-line block ×3, first 2 shown]
	ds_store_b128 v24, v[0:3]
.LBB1369_7:                             ;   in Loop: Header=BB1369_3 Depth=1
	s_and_not1_saveexec_b32 s4, s4
	s_cbranch_execz .LBB1369_2
; %bb.8:                                ;   in Loop: Header=BB1369_3 Depth=1
	global_load_b128 v[1:4], v[9:10], off
	s_waitcnt vmcnt(0)
	ds_store_2addr_b64 v24, v[1:2], v[3:4] offset1:1
	s_branch .LBB1369_2
.LBB1369_9:
	v_cmp_le_i32_e32 vcc_lo, v5, v17
	v_cmp_gt_i32_e64 s0, s12, v17
	s_delay_alu instid0(VALU_DEP_1) | instskip(NEXT) | instid1(SALU_CYCLE_1)
	s_and_b32 s0, vcc_lo, s0
	s_and_saveexec_b32 s1, s0
	s_cbranch_execz .LBB1369_11
; %bb.10:
	v_mul_lo_u32 v2, v17, s37
	v_mul_lo_u32 v3, v18, s36
	v_mad_u64_u32 v[0:1], null, v17, s36, 0
	s_mul_i32 s1, s15, s39
	s_mul_hi_u32 s2, s15, s38
	s_mul_i32 s0, s15, s38
	s_add_i32 s1, s2, s1
	v_mul_f64 v[8:9], s[18:19], v[13:14]
	s_lshl_b64 s[0:1], s[0:1], 4
	s_delay_alu instid0(VALU_DEP_2)
	v_add3_u32 v1, v1, v2, v3
	s_add_u32 s0, s10, s0
	v_lshlrev_b64 v[2:3], 4, v[5:6]
	s_addc_u32 s1, s11, s1
	v_mul_f64 v[12:13], s[20:21], v[13:14]
	v_lshlrev_b64 v[0:1], 4, v[0:1]
	s_delay_alu instid0(VALU_DEP_1) | instskip(NEXT) | instid1(VALU_DEP_2)
	v_add_co_u32 v0, vcc_lo, s0, v0
	v_add_co_ci_u32_e32 v1, vcc_lo, s1, v1, vcc_lo
	s_delay_alu instid0(VALU_DEP_2) | instskip(NEXT) | instid1(VALU_DEP_2)
	v_add_co_u32 v6, vcc_lo, v0, v2
	v_add_co_ci_u32_e32 v7, vcc_lo, v1, v3, vcc_lo
	v_cmp_ne_u32_e32 vcc_lo, v5, v17
	global_load_b128 v[0:3], v[6:7], off
	v_fma_f64 v[8:9], s[20:21], v[15:16], v[8:9]
	v_fma_f64 v[12:13], s[18:19], v[15:16], -v[12:13]
	s_waitcnt vmcnt(0)
	v_mul_f64 v[10:11], s[6:7], v[2:3]
	v_mul_f64 v[2:3], s[8:9], v[2:3]
	s_delay_alu instid0(VALU_DEP_2) | instskip(NEXT) | instid1(VALU_DEP_2)
	v_fma_f64 v[10:11], s[8:9], v[0:1], v[10:11]
	v_fma_f64 v[0:1], s[6:7], v[0:1], -v[2:3]
	s_delay_alu instid0(VALU_DEP_2) | instskip(NEXT) | instid1(VALU_DEP_2)
	v_add_f64 v[2:3], v[8:9], v[10:11]
	v_add_f64 v[0:1], v[12:13], v[0:1]
	s_delay_alu instid0(VALU_DEP_2)
	v_dual_cndmask_b32 v3, 0, v3 :: v_dual_cndmask_b32 v2, 0, v2
	global_store_b128 v[6:7], v[0:3], off
.LBB1369_11:
	s_nop 0
	s_sendmsg sendmsg(MSG_DEALLOC_VGPRS)
	s_endpgm
	.section	.rodata,"a",@progbits
	.p2align	6, 0x0
	.amdhsa_kernel _ZL32rocblas_syrkx_herkx_small_kernelIl19rocblas_complex_numIdELi16ELb0ELb1ELc67ELc85EKS1_S1_EviT_T0_PT6_S3_lS6_S3_lS4_PT7_S3_li
		.amdhsa_group_segment_fixed_size 8192
		.amdhsa_private_segment_fixed_size 0
		.amdhsa_kernarg_size 124
		.amdhsa_user_sgpr_count 13
		.amdhsa_user_sgpr_dispatch_ptr 0
		.amdhsa_user_sgpr_queue_ptr 0
		.amdhsa_user_sgpr_kernarg_segment_ptr 1
		.amdhsa_user_sgpr_dispatch_id 0
		.amdhsa_user_sgpr_private_segment_size 0
		.amdhsa_wavefront_size32 1
		.amdhsa_uses_dynamic_stack 0
		.amdhsa_enable_private_segment 0
		.amdhsa_system_sgpr_workgroup_id_x 1
		.amdhsa_system_sgpr_workgroup_id_y 1
		.amdhsa_system_sgpr_workgroup_id_z 1
		.amdhsa_system_sgpr_workgroup_info 0
		.amdhsa_system_vgpr_workitem_id 1
		.amdhsa_next_free_vgpr 53
		.amdhsa_next_free_sgpr 40
		.amdhsa_reserve_vcc 1
		.amdhsa_float_round_mode_32 0
		.amdhsa_float_round_mode_16_64 0
		.amdhsa_float_denorm_mode_32 3
		.amdhsa_float_denorm_mode_16_64 3
		.amdhsa_dx10_clamp 1
		.amdhsa_ieee_mode 1
		.amdhsa_fp16_overflow 0
		.amdhsa_workgroup_processor_mode 1
		.amdhsa_memory_ordered 1
		.amdhsa_forward_progress 0
		.amdhsa_shared_vgpr_count 0
		.amdhsa_exception_fp_ieee_invalid_op 0
		.amdhsa_exception_fp_denorm_src 0
		.amdhsa_exception_fp_ieee_div_zero 0
		.amdhsa_exception_fp_ieee_overflow 0
		.amdhsa_exception_fp_ieee_underflow 0
		.amdhsa_exception_fp_ieee_inexact 0
		.amdhsa_exception_int_div_zero 0
	.end_amdhsa_kernel
	.section	.text._ZL32rocblas_syrkx_herkx_small_kernelIl19rocblas_complex_numIdELi16ELb0ELb1ELc67ELc85EKS1_S1_EviT_T0_PT6_S3_lS6_S3_lS4_PT7_S3_li,"axG",@progbits,_ZL32rocblas_syrkx_herkx_small_kernelIl19rocblas_complex_numIdELi16ELb0ELb1ELc67ELc85EKS1_S1_EviT_T0_PT6_S3_lS6_S3_lS4_PT7_S3_li,comdat
.Lfunc_end1369:
	.size	_ZL32rocblas_syrkx_herkx_small_kernelIl19rocblas_complex_numIdELi16ELb0ELb1ELc67ELc85EKS1_S1_EviT_T0_PT6_S3_lS6_S3_lS4_PT7_S3_li, .Lfunc_end1369-_ZL32rocblas_syrkx_herkx_small_kernelIl19rocblas_complex_numIdELi16ELb0ELb1ELc67ELc85EKS1_S1_EviT_T0_PT6_S3_lS6_S3_lS4_PT7_S3_li
                                        ; -- End function
	.section	.AMDGPU.csdata,"",@progbits
; Kernel info:
; codeLenInByte = 2080
; NumSgprs: 42
; NumVgprs: 53
; ScratchSize: 0
; MemoryBound: 1
; FloatMode: 240
; IeeeMode: 1
; LDSByteSize: 8192 bytes/workgroup (compile time only)
; SGPRBlocks: 5
; VGPRBlocks: 6
; NumSGPRsForWavesPerEU: 42
; NumVGPRsForWavesPerEU: 53
; Occupancy: 16
; WaveLimiterHint : 0
; COMPUTE_PGM_RSRC2:SCRATCH_EN: 0
; COMPUTE_PGM_RSRC2:USER_SGPR: 13
; COMPUTE_PGM_RSRC2:TRAP_HANDLER: 0
; COMPUTE_PGM_RSRC2:TGID_X_EN: 1
; COMPUTE_PGM_RSRC2:TGID_Y_EN: 1
; COMPUTE_PGM_RSRC2:TGID_Z_EN: 1
; COMPUTE_PGM_RSRC2:TIDIG_COMP_CNT: 1
	.section	.text._ZL32rocblas_syrkx_herkx_small_kernelIl19rocblas_complex_numIdELi16ELb0ELb1ELc78ELc85EKS1_S1_EviT_T0_PT6_S3_lS6_S3_lS4_PT7_S3_li,"axG",@progbits,_ZL32rocblas_syrkx_herkx_small_kernelIl19rocblas_complex_numIdELi16ELb0ELb1ELc78ELc85EKS1_S1_EviT_T0_PT6_S3_lS6_S3_lS4_PT7_S3_li,comdat
	.globl	_ZL32rocblas_syrkx_herkx_small_kernelIl19rocblas_complex_numIdELi16ELb0ELb1ELc78ELc85EKS1_S1_EviT_T0_PT6_S3_lS6_S3_lS4_PT7_S3_li ; -- Begin function _ZL32rocblas_syrkx_herkx_small_kernelIl19rocblas_complex_numIdELi16ELb0ELb1ELc78ELc85EKS1_S1_EviT_T0_PT6_S3_lS6_S3_lS4_PT7_S3_li
	.p2align	8
	.type	_ZL32rocblas_syrkx_herkx_small_kernelIl19rocblas_complex_numIdELi16ELb0ELb1ELc78ELc85EKS1_S1_EviT_T0_PT6_S3_lS6_S3_lS4_PT7_S3_li,@function
_ZL32rocblas_syrkx_herkx_small_kernelIl19rocblas_complex_numIdELi16ELb0ELb1ELc78ELc85EKS1_S1_EviT_T0_PT6_S3_lS6_S3_lS4_PT7_S3_li: ; @_ZL32rocblas_syrkx_herkx_small_kernelIl19rocblas_complex_numIdELi16ELb0ELb1ELc78ELc85EKS1_S1_EviT_T0_PT6_S3_lS6_S3_lS4_PT7_S3_li
; %bb.0:
	s_clause 0x3
	s_load_b512 s[16:31], s[0:1], 0x8
	s_load_b32 s33, s[0:1], 0x0
	s_load_b128 s[36:39], s[0:1], 0x68
	s_load_b256 s[4:11], s[0:1], 0x48
	v_and_b32_e32 v17, 0x3ff, v0
	v_bfe_u32 v18, v0, 10, 10
	v_mov_b32_e32 v13, 0
	v_mov_b32_e32 v14, 0
	s_delay_alu instid0(VALU_DEP_4) | instskip(NEXT) | instid1(VALU_DEP_4)
	v_lshl_add_u32 v5, s13, 4, v17
	v_lshl_add_u32 v7, s14, 4, v18
	s_delay_alu instid0(VALU_DEP_3) | instskip(NEXT) | instid1(VALU_DEP_3)
	v_dual_mov_b32 v16, v14 :: v_dual_mov_b32 v15, v13
	v_ashrrev_i32_e32 v6, 31, v5
	s_delay_alu instid0(VALU_DEP_3) | instskip(SKIP_3) | instid1(VALU_DEP_2)
	v_ashrrev_i32_e32 v8, 31, v7
	s_waitcnt lgkmcnt(0)
	v_cmp_lt_i64_e64 s1, s[16:17], 1
	v_cmp_gt_i32_e64 s0, s33, v7
	s_and_b32 vcc_lo, exec_lo, s1
	s_cbranch_vccnz .LBB1370_9
; %bb.1:
	v_mad_u64_u32 v[1:2], null, s30, v17, 0
	v_mad_u64_u32 v[9:10], null, s24, v18, 0
	v_dual_mov_b32 v0, 0 :: v_dual_lshlrev_b32 v15, 8, v18
	s_mul_i32 s1, s5, s15
	s_mul_hi_u32 s3, s4, s15
	s_delay_alu instid0(VALU_DEP_3)
	v_mad_u64_u32 v[3:4], null, s31, v17, v[2:3]
	v_lshlrev_b32_e32 v19, 4, v17
	s_mul_i32 s2, s4, s15
	s_add_i32 s3, s3, s1
	v_lshlrev_b64 v[11:12], 4, v[7:8]
	s_lshl_b64 s[2:3], s[2:3], 4
	s_mul_i32 s5, s27, s15
	s_delay_alu instid0(VALU_DEP_3) | instskip(SKIP_3) | instid1(VALU_DEP_2)
	v_dual_mov_b32 v2, v3 :: v_dual_mov_b32 v3, v10
	v_add_nc_u32_e32 v20, 0x1000, v15
	s_mul_hi_u32 s12, s26, s15
	s_mul_i32 s4, s26, s15
	v_lshlrev_b64 v[1:2], 4, v[1:2]
	v_mad_u64_u32 v[13:14], null, s25, v18, v[3:4]
	v_add_nc_u32_e32 v21, v19, v15
	s_add_i32 s5, s12, s5
	v_add_nc_u32_e32 v22, v20, v19
	s_delay_alu instid0(VALU_DEP_4) | instskip(NEXT) | instid1(VALU_DEP_1)
	v_add_co_u32 v1, s1, s2, v1
	v_add_co_ci_u32_e64 v2, s1, s3, v2, s1
	v_dual_mov_b32 v10, v13 :: v_dual_mov_b32 v13, 0
	s_delay_alu instid0(VALU_DEP_3) | instskip(NEXT) | instid1(VALU_DEP_1)
	v_add_co_u32 v3, s1, v1, v11
	v_add_co_ci_u32_e64 v4, s1, v2, v12, s1
	s_delay_alu instid0(VALU_DEP_3) | instskip(NEXT) | instid1(VALU_DEP_3)
	v_lshlrev_b64 v[1:2], 4, v[9:10]
	v_add_co_u32 v3, s1, v3, s28
	s_lshl_b64 s[2:3], s[4:5], 4
	s_delay_alu instid0(VALU_DEP_3) | instskip(NEXT) | instid1(VALU_DEP_3)
	v_add_co_ci_u32_e64 v4, s1, s29, v4, s1
	v_add_co_u32 v11, s1, s2, v1
	s_delay_alu instid0(VALU_DEP_1) | instskip(SKIP_2) | instid1(VALU_DEP_1)
	v_add_co_ci_u32_e64 v12, s1, s3, v2, s1
	v_lshlrev_b64 v[1:2], 4, v[5:6]
	v_add_co_u32 v9, s1, v3, 8
	v_add_co_ci_u32_e64 v10, s1, 0, v4, s1
	v_mov_b32_e32 v14, 0
	s_delay_alu instid0(VALU_DEP_4) | instskip(NEXT) | instid1(VALU_DEP_1)
	v_add_co_u32 v1, s1, v11, v1
	v_add_co_ci_u32_e64 v2, s1, v12, v2, s1
	v_cmp_gt_i32_e32 vcc_lo, s33, v5
	s_delay_alu instid0(VALU_DEP_3) | instskip(NEXT) | instid1(VALU_DEP_1)
	v_add_co_u32 v11, s1, s22, v1
	v_add_co_ci_u32_e64 v12, s1, s23, v2, s1
	v_dual_mov_b32 v16, v14 :: v_dual_mov_b32 v15, v13
	s_lshl_b64 s[2:3], s[30:31], 8
	s_lshl_b64 s[4:5], s[24:25], 8
	s_mov_b64 s[12:13], 0
	s_xor_b32 s1, vcc_lo, -1
	s_branch .LBB1370_3
.LBB1370_2:                             ;   in Loop: Header=BB1370_3 Depth=1
	s_or_b32 exec_lo, exec_lo, s14
	ds_store_b128 v22, v[1:4]
	s_waitcnt lgkmcnt(0)
	s_barrier
	buffer_gl0_inv
	ds_load_b128 v[1:4], v19
	ds_load_b128 v[23:26], v20
	ds_load_b128 v[27:30], v20 offset:16
	ds_load_b128 v[31:34], v19 offset:256
	s_add_u32 s12, s12, 16
	s_addc_u32 s13, s13, 0
	v_add_co_u32 v9, vcc_lo, v9, s2
	v_cmp_ge_i64_e64 s14, s[12:13], s[16:17]
	v_add_co_ci_u32_e32 v10, vcc_lo, s3, v10, vcc_lo
	v_add_co_u32 v11, vcc_lo, v11, s4
	v_add_co_ci_u32_e32 v12, vcc_lo, s5, v12, vcc_lo
	s_delay_alu instid0(VALU_DEP_4)
	s_and_b32 vcc_lo, exec_lo, s14
	s_waitcnt lgkmcnt(2)
	v_mul_f64 v[35:36], v[25:26], v[3:4]
	v_mul_f64 v[3:4], v[23:24], v[3:4]
	s_waitcnt lgkmcnt(0)
	v_mul_f64 v[41:42], v[29:30], v[33:34]
	v_mul_f64 v[43:44], v[27:28], v[33:34]
	s_delay_alu instid0(VALU_DEP_4) | instskip(NEXT) | instid1(VALU_DEP_4)
	v_fma_f64 v[45:46], v[23:24], v[1:2], -v[35:36]
	v_fma_f64 v[47:48], v[25:26], v[1:2], v[3:4]
	ds_load_b128 v[1:4], v19 offset:512
	ds_load_b128 v[23:26], v20 offset:32
	ds_load_b128 v[33:36], v20 offset:48
	ds_load_b128 v[37:40], v19 offset:768
	v_fma_f64 v[27:28], v[27:28], v[31:32], -v[41:42]
	v_fma_f64 v[29:30], v[29:30], v[31:32], v[43:44]
	s_waitcnt lgkmcnt(2)
	v_mul_f64 v[49:50], v[25:26], v[3:4]
	v_mul_f64 v[3:4], v[23:24], v[3:4]
	s_waitcnt lgkmcnt(0)
	v_mul_f64 v[31:32], v[35:36], v[39:40]
	v_mul_f64 v[39:40], v[33:34], v[39:40]
	v_add_f64 v[15:16], v[15:16], v[45:46]
	v_add_f64 v[13:14], v[13:14], v[47:48]
	v_fma_f64 v[41:42], v[23:24], v[1:2], -v[49:50]
	v_fma_f64 v[43:44], v[25:26], v[1:2], v[3:4]
	v_fma_f64 v[31:32], v[33:34], v[37:38], -v[31:32]
	v_fma_f64 v[33:34], v[35:36], v[37:38], v[39:40]
	v_add_f64 v[45:46], v[15:16], v[27:28]
	v_add_f64 v[47:48], v[13:14], v[29:30]
	ds_load_b128 v[1:4], v19 offset:1024
	ds_load_b128 v[13:16], v20 offset:64
	;; [unrolled: 1-line block ×4, first 2 shown]
	s_waitcnt lgkmcnt(2)
	v_mul_f64 v[49:50], v[15:16], v[3:4]
	v_mul_f64 v[3:4], v[13:14], v[3:4]
	s_waitcnt lgkmcnt(0)
	v_mul_f64 v[39:40], v[25:26], v[29:30]
	v_add_f64 v[35:36], v[45:46], v[41:42]
	v_add_f64 v[37:38], v[47:48], v[43:44]
	v_mul_f64 v[41:42], v[23:24], v[29:30]
	v_fma_f64 v[43:44], v[13:14], v[1:2], -v[49:50]
	v_fma_f64 v[45:46], v[15:16], v[1:2], v[3:4]
	v_fma_f64 v[23:24], v[23:24], v[27:28], -v[39:40]
	v_add_f64 v[47:48], v[35:36], v[31:32]
	v_add_f64 v[37:38], v[37:38], v[33:34]
	ds_load_b128 v[1:4], v19 offset:1536
	ds_load_b128 v[13:16], v20 offset:96
	;; [unrolled: 1-line block ×4, first 2 shown]
	v_fma_f64 v[25:26], v[25:26], v[27:28], v[41:42]
	s_waitcnt lgkmcnt(2)
	v_mul_f64 v[49:50], v[15:16], v[3:4]
	v_mul_f64 v[3:4], v[13:14], v[3:4]
	s_waitcnt lgkmcnt(0)
	v_mul_f64 v[39:40], v[31:32], v[35:36]
	v_mul_f64 v[41:42], v[29:30], v[35:36]
	v_add_f64 v[27:28], v[47:48], v[43:44]
	v_add_f64 v[37:38], v[37:38], v[45:46]
	v_fma_f64 v[43:44], v[13:14], v[1:2], -v[49:50]
	v_fma_f64 v[45:46], v[15:16], v[1:2], v[3:4]
	v_fma_f64 v[29:30], v[29:30], v[33:34], -v[39:40]
	v_fma_f64 v[31:32], v[31:32], v[33:34], v[41:42]
	v_add_f64 v[27:28], v[27:28], v[23:24]
	v_add_f64 v[47:48], v[37:38], v[25:26]
	ds_load_b128 v[1:4], v19 offset:2048
	ds_load_b128 v[13:16], v20 offset:128
	;; [unrolled: 1-line block ×4, first 2 shown]
	s_waitcnt lgkmcnt(2)
	v_mul_f64 v[49:50], v[15:16], v[3:4]
	v_mul_f64 v[3:4], v[13:14], v[3:4]
	s_waitcnt lgkmcnt(0)
	v_mul_f64 v[39:40], v[25:26], v[37:38]
	v_mul_f64 v[37:38], v[23:24], v[37:38]
	v_add_f64 v[27:28], v[27:28], v[43:44]
	v_add_f64 v[33:34], v[47:48], v[45:46]
	v_fma_f64 v[41:42], v[13:14], v[1:2], -v[49:50]
	v_fma_f64 v[43:44], v[15:16], v[1:2], v[3:4]
	v_fma_f64 v[23:24], v[23:24], v[35:36], -v[39:40]
	v_fma_f64 v[25:26], v[25:26], v[35:36], v[37:38]
	v_add_f64 v[45:46], v[27:28], v[29:30]
	v_add_f64 v[47:48], v[33:34], v[31:32]
	ds_load_b128 v[1:4], v19 offset:2560
	ds_load_b128 v[13:16], v20 offset:160
	;; [unrolled: 1-line block ×4, first 2 shown]
	s_waitcnt lgkmcnt(2)
	v_mul_f64 v[49:50], v[15:16], v[3:4]
	v_mul_f64 v[3:4], v[13:14], v[3:4]
	s_waitcnt lgkmcnt(0)
	v_mul_f64 v[39:40], v[29:30], v[33:34]
	v_add_f64 v[35:36], v[45:46], v[41:42]
	v_add_f64 v[37:38], v[47:48], v[43:44]
	v_mul_f64 v[41:42], v[27:28], v[33:34]
	v_fma_f64 v[43:44], v[13:14], v[1:2], -v[49:50]
	v_fma_f64 v[45:46], v[15:16], v[1:2], v[3:4]
	v_fma_f64 v[27:28], v[27:28], v[31:32], -v[39:40]
	v_add_f64 v[47:48], v[35:36], v[23:24]
	v_add_f64 v[37:38], v[37:38], v[25:26]
	ds_load_b128 v[1:4], v19 offset:3072
	ds_load_b128 v[13:16], v20 offset:192
	;; [unrolled: 1-line block ×4, first 2 shown]
	v_fma_f64 v[29:30], v[29:30], v[31:32], v[41:42]
	s_waitcnt lgkmcnt(2)
	v_mul_f64 v[49:50], v[15:16], v[3:4]
	v_mul_f64 v[3:4], v[13:14], v[3:4]
	s_waitcnt lgkmcnt(0)
	v_mul_f64 v[39:40], v[25:26], v[35:36]
	v_mul_f64 v[41:42], v[23:24], v[35:36]
	v_add_f64 v[31:32], v[47:48], v[43:44]
	v_add_f64 v[37:38], v[37:38], v[45:46]
	v_fma_f64 v[43:44], v[13:14], v[1:2], -v[49:50]
	v_fma_f64 v[45:46], v[15:16], v[1:2], v[3:4]
	v_fma_f64 v[23:24], v[23:24], v[33:34], -v[39:40]
	v_fma_f64 v[25:26], v[25:26], v[33:34], v[41:42]
	v_add_f64 v[31:32], v[31:32], v[27:28]
	v_add_f64 v[47:48], v[37:38], v[29:30]
	ds_load_b128 v[1:4], v19 offset:3584
	ds_load_b128 v[13:16], v20 offset:224
	;; [unrolled: 1-line block ×4, first 2 shown]
	s_waitcnt lgkmcnt(0)
	s_barrier
	buffer_gl0_inv
	v_mul_f64 v[49:50], v[15:16], v[3:4]
	v_mul_f64 v[3:4], v[13:14], v[3:4]
	;; [unrolled: 1-line block ×4, first 2 shown]
	v_add_f64 v[31:32], v[31:32], v[43:44]
	v_add_f64 v[33:34], v[47:48], v[45:46]
	v_fma_f64 v[13:14], v[13:14], v[1:2], -v[49:50]
	v_fma_f64 v[1:2], v[15:16], v[1:2], v[3:4]
	s_delay_alu instid0(VALU_DEP_4) | instskip(NEXT) | instid1(VALU_DEP_4)
	v_add_f64 v[3:4], v[31:32], v[23:24]
	v_add_f64 v[15:16], v[33:34], v[25:26]
	v_fma_f64 v[23:24], v[27:28], v[35:36], -v[39:40]
	v_fma_f64 v[25:26], v[29:30], v[35:36], v[37:38]
	s_delay_alu instid0(VALU_DEP_4) | instskip(NEXT) | instid1(VALU_DEP_4)
	v_add_f64 v[3:4], v[3:4], v[13:14]
	v_add_f64 v[1:2], v[15:16], v[1:2]
	s_delay_alu instid0(VALU_DEP_2) | instskip(NEXT) | instid1(VALU_DEP_2)
	v_add_f64 v[15:16], v[3:4], v[23:24]
	v_add_f64 v[13:14], v[1:2], v[25:26]
	s_cbranch_vccnz .LBB1370_9
.LBB1370_3:                             ; =>This Inner Loop Header: Depth=1
	v_add_co_u32 v1, s14, v18, s12
	s_delay_alu instid0(VALU_DEP_1) | instskip(NEXT) | instid1(VALU_DEP_1)
	v_add_co_ci_u32_e64 v2, null, 0, s13, s14
	v_cmp_le_i64_e32 vcc_lo, s[16:17], v[1:2]
	s_or_b32 s14, s1, vcc_lo
	s_delay_alu instid0(SALU_CYCLE_1) | instskip(NEXT) | instid1(SALU_CYCLE_1)
	s_and_saveexec_b32 s22, s14
	s_xor_b32 s14, exec_lo, s22
	s_cbranch_execz .LBB1370_5
; %bb.4:                                ;   in Loop: Header=BB1370_3 Depth=1
	v_mov_b32_e32 v1, v0
	v_mov_b32_e32 v2, v0
	v_mov_b32_e32 v3, v0
	ds_store_b128 v21, v[0:3]
.LBB1370_5:                             ;   in Loop: Header=BB1370_3 Depth=1
	s_and_not1_saveexec_b32 s14, s14
	s_cbranch_execz .LBB1370_7
; %bb.6:                                ;   in Loop: Header=BB1370_3 Depth=1
	global_load_b128 v[1:4], v[11:12], off
	s_waitcnt vmcnt(0)
	ds_store_2addr_b64 v21, v[1:2], v[3:4] offset1:1
.LBB1370_7:                             ;   in Loop: Header=BB1370_3 Depth=1
	s_or_b32 exec_lo, exec_lo, s14
	v_add_co_u32 v3, s14, v17, s12
	s_delay_alu instid0(VALU_DEP_1) | instskip(SKIP_2) | instid1(VALU_DEP_3)
	v_add_co_ci_u32_e64 v4, null, 0, s13, s14
	v_mov_b32_e32 v1, 0
	v_mov_b32_e32 v2, 0
	v_cmp_gt_i64_e32 vcc_lo, s[16:17], v[3:4]
	s_delay_alu instid0(VALU_DEP_2) | instskip(SKIP_1) | instid1(SALU_CYCLE_1)
	v_dual_mov_b32 v4, v2 :: v_dual_mov_b32 v3, v1
	s_and_b32 s22, s0, vcc_lo
	s_and_saveexec_b32 s14, s22
	s_cbranch_execz .LBB1370_2
; %bb.8:                                ;   in Loop: Header=BB1370_3 Depth=1
	global_load_b128 v[1:4], v[9:10], off offset:-8
	s_waitcnt vmcnt(0)
	v_xor_b32_e32 v4, 0x80000000, v4
	s_branch .LBB1370_2
.LBB1370_9:
	v_cmp_le_i32_e32 vcc_lo, v5, v7
	v_cmp_gt_i32_e64 s0, s33, v7
	s_delay_alu instid0(VALU_DEP_1) | instskip(NEXT) | instid1(SALU_CYCLE_1)
	s_and_b32 s0, vcc_lo, s0
	s_and_saveexec_b32 s1, s0
	s_cbranch_execz .LBB1370_11
; %bb.10:
	v_mul_lo_u32 v2, v7, s37
	v_mul_lo_u32 v3, v8, s36
	v_mad_u64_u32 v[0:1], null, v7, s36, 0
	s_mul_i32 s1, s15, s39
	s_mul_hi_u32 s2, s15, s38
	s_mul_i32 s0, s15, s38
	s_add_i32 s1, s2, s1
	v_mul_f64 v[10:11], s[18:19], v[13:14]
	s_lshl_b64 s[0:1], s[0:1], 4
	s_delay_alu instid0(VALU_DEP_2)
	v_add3_u32 v1, v1, v2, v3
	s_add_u32 s0, s10, s0
	v_lshlrev_b64 v[2:3], 4, v[5:6]
	s_addc_u32 s1, s11, s1
	v_mul_f64 v[12:13], s[20:21], v[13:14]
	v_lshlrev_b64 v[0:1], 4, v[0:1]
	s_delay_alu instid0(VALU_DEP_1) | instskip(NEXT) | instid1(VALU_DEP_2)
	v_add_co_u32 v0, vcc_lo, s0, v0
	v_add_co_ci_u32_e32 v1, vcc_lo, s1, v1, vcc_lo
	s_delay_alu instid0(VALU_DEP_2) | instskip(NEXT) | instid1(VALU_DEP_2)
	v_add_co_u32 v8, vcc_lo, v0, v2
	v_add_co_ci_u32_e32 v9, vcc_lo, v1, v3, vcc_lo
	v_cmp_ne_u32_e32 vcc_lo, v5, v7
	global_load_b128 v[0:3], v[8:9], off
	v_fma_f64 v[10:11], s[20:21], v[15:16], v[10:11]
	v_fma_f64 v[12:13], s[18:19], v[15:16], -v[12:13]
	s_waitcnt vmcnt(0)
	v_mul_f64 v[17:18], s[6:7], v[2:3]
	v_mul_f64 v[2:3], s[8:9], v[2:3]
	s_delay_alu instid0(VALU_DEP_2) | instskip(NEXT) | instid1(VALU_DEP_2)
	v_fma_f64 v[17:18], s[8:9], v[0:1], v[17:18]
	v_fma_f64 v[0:1], s[6:7], v[0:1], -v[2:3]
	s_delay_alu instid0(VALU_DEP_2) | instskip(NEXT) | instid1(VALU_DEP_2)
	v_add_f64 v[2:3], v[10:11], v[17:18]
	v_add_f64 v[0:1], v[12:13], v[0:1]
	s_delay_alu instid0(VALU_DEP_2)
	v_dual_cndmask_b32 v3, 0, v3 :: v_dual_cndmask_b32 v2, 0, v2
	global_store_b128 v[8:9], v[0:3], off
.LBB1370_11:
	s_nop 0
	s_sendmsg sendmsg(MSG_DEALLOC_VGPRS)
	s_endpgm
	.section	.rodata,"a",@progbits
	.p2align	6, 0x0
	.amdhsa_kernel _ZL32rocblas_syrkx_herkx_small_kernelIl19rocblas_complex_numIdELi16ELb0ELb1ELc78ELc85EKS1_S1_EviT_T0_PT6_S3_lS6_S3_lS4_PT7_S3_li
		.amdhsa_group_segment_fixed_size 8192
		.amdhsa_private_segment_fixed_size 0
		.amdhsa_kernarg_size 124
		.amdhsa_user_sgpr_count 13
		.amdhsa_user_sgpr_dispatch_ptr 0
		.amdhsa_user_sgpr_queue_ptr 0
		.amdhsa_user_sgpr_kernarg_segment_ptr 1
		.amdhsa_user_sgpr_dispatch_id 0
		.amdhsa_user_sgpr_private_segment_size 0
		.amdhsa_wavefront_size32 1
		.amdhsa_uses_dynamic_stack 0
		.amdhsa_enable_private_segment 0
		.amdhsa_system_sgpr_workgroup_id_x 1
		.amdhsa_system_sgpr_workgroup_id_y 1
		.amdhsa_system_sgpr_workgroup_id_z 1
		.amdhsa_system_sgpr_workgroup_info 0
		.amdhsa_system_vgpr_workitem_id 1
		.amdhsa_next_free_vgpr 51
		.amdhsa_next_free_sgpr 40
		.amdhsa_reserve_vcc 1
		.amdhsa_float_round_mode_32 0
		.amdhsa_float_round_mode_16_64 0
		.amdhsa_float_denorm_mode_32 3
		.amdhsa_float_denorm_mode_16_64 3
		.amdhsa_dx10_clamp 1
		.amdhsa_ieee_mode 1
		.amdhsa_fp16_overflow 0
		.amdhsa_workgroup_processor_mode 1
		.amdhsa_memory_ordered 1
		.amdhsa_forward_progress 0
		.amdhsa_shared_vgpr_count 0
		.amdhsa_exception_fp_ieee_invalid_op 0
		.amdhsa_exception_fp_denorm_src 0
		.amdhsa_exception_fp_ieee_div_zero 0
		.amdhsa_exception_fp_ieee_overflow 0
		.amdhsa_exception_fp_ieee_underflow 0
		.amdhsa_exception_fp_ieee_inexact 0
		.amdhsa_exception_int_div_zero 0
	.end_amdhsa_kernel
	.section	.text._ZL32rocblas_syrkx_herkx_small_kernelIl19rocblas_complex_numIdELi16ELb0ELb1ELc78ELc85EKS1_S1_EviT_T0_PT6_S3_lS6_S3_lS4_PT7_S3_li,"axG",@progbits,_ZL32rocblas_syrkx_herkx_small_kernelIl19rocblas_complex_numIdELi16ELb0ELb1ELc78ELc85EKS1_S1_EviT_T0_PT6_S3_lS6_S3_lS4_PT7_S3_li,comdat
.Lfunc_end1370:
	.size	_ZL32rocblas_syrkx_herkx_small_kernelIl19rocblas_complex_numIdELi16ELb0ELb1ELc78ELc85EKS1_S1_EviT_T0_PT6_S3_lS6_S3_lS4_PT7_S3_li, .Lfunc_end1370-_ZL32rocblas_syrkx_herkx_small_kernelIl19rocblas_complex_numIdELi16ELb0ELb1ELc78ELc85EKS1_S1_EviT_T0_PT6_S3_lS6_S3_lS4_PT7_S3_li
                                        ; -- End function
	.section	.AMDGPU.csdata,"",@progbits
; Kernel info:
; codeLenInByte = 2108
; NumSgprs: 42
; NumVgprs: 51
; ScratchSize: 0
; MemoryBound: 1
; FloatMode: 240
; IeeeMode: 1
; LDSByteSize: 8192 bytes/workgroup (compile time only)
; SGPRBlocks: 5
; VGPRBlocks: 6
; NumSGPRsForWavesPerEU: 42
; NumVGPRsForWavesPerEU: 51
; Occupancy: 16
; WaveLimiterHint : 0
; COMPUTE_PGM_RSRC2:SCRATCH_EN: 0
; COMPUTE_PGM_RSRC2:USER_SGPR: 13
; COMPUTE_PGM_RSRC2:TRAP_HANDLER: 0
; COMPUTE_PGM_RSRC2:TGID_X_EN: 1
; COMPUTE_PGM_RSRC2:TGID_Y_EN: 1
; COMPUTE_PGM_RSRC2:TGID_Z_EN: 1
; COMPUTE_PGM_RSRC2:TIDIG_COMP_CNT: 1
	.section	.text._ZL34rocblas_syrkx_herkx_general_kernelIl19rocblas_complex_numIdELi16ELi32ELi8ELb1ELb1ELc84ELc76EKS1_S1_EviT_T0_PT8_S3_lS6_S3_lS4_PT9_S3_li,"axG",@progbits,_ZL34rocblas_syrkx_herkx_general_kernelIl19rocblas_complex_numIdELi16ELi32ELi8ELb1ELb1ELc84ELc76EKS1_S1_EviT_T0_PT8_S3_lS6_S3_lS4_PT9_S3_li,comdat
	.globl	_ZL34rocblas_syrkx_herkx_general_kernelIl19rocblas_complex_numIdELi16ELi32ELi8ELb1ELb1ELc84ELc76EKS1_S1_EviT_T0_PT8_S3_lS6_S3_lS4_PT9_S3_li ; -- Begin function _ZL34rocblas_syrkx_herkx_general_kernelIl19rocblas_complex_numIdELi16ELi32ELi8ELb1ELb1ELc84ELc76EKS1_S1_EviT_T0_PT8_S3_lS6_S3_lS4_PT9_S3_li
	.p2align	8
	.type	_ZL34rocblas_syrkx_herkx_general_kernelIl19rocblas_complex_numIdELi16ELi32ELi8ELb1ELb1ELc84ELc76EKS1_S1_EviT_T0_PT8_S3_lS6_S3_lS4_PT9_S3_li,@function
_ZL34rocblas_syrkx_herkx_general_kernelIl19rocblas_complex_numIdELi16ELi32ELi8ELb1ELb1ELc84ELc76EKS1_S1_EviT_T0_PT8_S3_lS6_S3_lS4_PT9_S3_li: ; @_ZL34rocblas_syrkx_herkx_general_kernelIl19rocblas_complex_numIdELi16ELi32ELi8ELb1ELb1ELc84ELc76EKS1_S1_EviT_T0_PT8_S3_lS6_S3_lS4_PT9_S3_li
; %bb.0:
	s_clause 0x1
	s_load_b512 s[16:31], s[0:1], 0x8
	s_load_b32 s8, s[0:1], 0x0
	v_mov_b32_e32 v20, 0
	v_dual_mov_b32 v21, 0 :: v_dual_and_b32 v24, 0x3ff, v0
	v_bfe_u32 v25, v0, 10, 10
	s_delay_alu instid0(VALU_DEP_3) | instskip(NEXT) | instid1(VALU_DEP_3)
	v_mov_b32_e32 v8, v20
	v_dual_mov_b32 v10, v20 :: v_dual_mov_b32 v11, v21
	v_dual_mov_b32 v23, v21 :: v_dual_mov_b32 v22, v20
	v_dual_mov_b32 v9, v21 :: v_dual_mov_b32 v16, v20
	v_dual_mov_b32 v17, v21 :: v_dual_mov_b32 v18, v20
	v_dual_mov_b32 v19, v21 :: v_dual_mov_b32 v14, v20
	v_dual_mov_b32 v15, v21 :: v_dual_mov_b32 v12, v20
	v_mov_b32_e32 v13, v21
	s_waitcnt lgkmcnt(0)
	v_cmp_lt_i64_e64 s2, s[16:17], 1
	s_lshl_b32 s9, s13, 5
	s_lshl_b32 s10, s14, 5
	s_mov_b64 s[4:5], 0
	s_delay_alu instid0(VALU_DEP_1)
	s_and_b32 vcc_lo, exec_lo, s2
	s_cbranch_vccnz .LBB1371_11
; %bb.1:
	v_lshl_add_u32 v1, v25, 4, v24
	v_mov_b32_e32 v0, 0
	s_load_b64 s[6:7], s[0:1], 0x48
	v_and_b32_e32 v26, 7, v24
	v_lshlrev_b32_e32 v27, 4, v24
	v_and_b32_e32 v3, 31, v1
	v_lshrrev_b32_e32 v5, 3, v1
	v_lshrrev_b32_e32 v29, 5, v1
	s_mul_i32 s3, s27, s15
	s_mul_hi_u32 s11, s26, s15
	v_add_nc_u32_e32 v4, s9, v3
	v_add_nc_u32_e32 v7, s10, v5
	v_or_b32_e32 v10, s9, v3
	v_lshlrev_b32_e32 v11, 4, v3
	s_mul_i32 s2, s26, s15
	v_ashrrev_i32_e32 v6, 31, v4
	v_mul_lo_u32 v8, s25, v4
	v_mad_u64_u32 v[1:2], null, s24, v4, 0
	v_ashrrev_i32_e32 v12, 31, v7
	s_delay_alu instid0(VALU_DEP_4)
	v_mul_lo_u32 v6, s24, v6
	v_mul_lo_u32 v13, s31, v7
	v_mad_u64_u32 v[3:4], null, s30, v7, 0
	s_add_i32 s3, s11, s3
	v_cmp_gt_i32_e32 vcc_lo, s8, v10
	s_lshl_b64 s[12:13], s[2:3], 4
	v_lshl_add_u32 v28, v25, 7, 0x1000
	v_add3_u32 v2, v2, v6, v8
	v_mul_lo_u32 v6, s30, v12
	s_delay_alu instid0(VALU_DEP_2) | instskip(NEXT) | instid1(VALU_DEP_2)
	v_lshlrev_b64 v[1:2], 4, v[1:2]
	v_add3_u32 v4, v4, v6, v13
	v_mov_b32_e32 v12, 0
	v_mov_b32_e32 v13, 0
	v_lshlrev_b32_e32 v9, 4, v26
	s_delay_alu instid0(VALU_DEP_2) | instskip(NEXT) | instid1(VALU_DEP_2)
	v_dual_mov_b32 v19, v13 :: v_dual_mov_b32 v18, v12
	v_lshl_or_b32 v5, v5, 7, v9
	v_dual_mov_b32 v15, v13 :: v_dual_mov_b32 v14, v12
	v_cmp_gt_i32_e64 s2, s8, v7
	v_mov_b32_e32 v17, v13
	s_delay_alu instid0(VALU_DEP_4) | instskip(SKIP_1) | instid1(VALU_DEP_1)
	v_add_nc_u32_e32 v31, 0x1000, v5
	v_add_co_u32 v5, s3, v1, s12
	v_add_co_ci_u32_e64 v6, s3, s13, v2, s3
	s_waitcnt lgkmcnt(0)
	s_mul_i32 s3, s7, s15
	s_mul_hi_u32 s7, s6, s15
	v_lshlrev_b64 v[1:2], 4, v[3:4]
	s_add_i32 s7, s7, s3
	s_mul_i32 s6, s6, s15
	v_lshlrev_b32_e32 v3, 4, v29
	s_lshl_b64 s[6:7], s[6:7], 4
	v_mov_b32_e32 v16, v12
	v_add_co_u32 v1, s3, v1, s6
	s_delay_alu instid0(VALU_DEP_1) | instskip(SKIP_1) | instid1(VALU_DEP_1)
	v_add_co_ci_u32_e64 v2, s3, s7, v2, s3
	v_add_co_u32 v3, s3, v5, v3
	v_add_co_ci_u32_e64 v5, s3, 0, v6, s3
	s_delay_alu instid0(VALU_DEP_4) | instskip(SKIP_3) | instid1(VALU_DEP_1)
	v_add_co_u32 v1, s3, v1, v9
	v_mov_b32_e32 v8, v12
	v_add_co_ci_u32_e64 v2, s3, 0, v2, s3
	v_add_co_u32 v4, s3, s22, v3
	v_add_co_ci_u32_e64 v5, s3, s23, v5, s3
	v_add_co_u32 v6, s3, s28, v1
	v_lshl_or_b32 v30, v29, 9, v11
	v_dual_mov_b32 v10, v12 :: v_dual_mov_b32 v23, v13
	v_mov_b32_e32 v21, v13
	v_add_co_ci_u32_e64 v7, s3, s29, v2, s3
	v_mov_b32_e32 v11, v13
	v_dual_mov_b32 v9, v13 :: v_dual_mov_b32 v22, v12
	v_mov_b32_e32 v20, v12
	s_xor_b32 s3, vcc_lo, -1
	s_xor_b32 s2, s2, -1
	s_branch .LBB1371_3
.LBB1371_2:                             ;   in Loop: Header=BB1371_3 Depth=1
	s_or_b32 exec_lo, exec_lo, s6
	s_waitcnt lgkmcnt(0)
	s_barrier
	buffer_gl0_inv
	ds_load_b128 v[32:35], v28
	ds_load_b128 v[36:39], v28 offset:16
	ds_load_b128 v[40:43], v28 offset:32
	;; [unrolled: 1-line block ×3, first 2 shown]
	ds_load_b128 v[48:51], v27
	s_add_u32 s4, s4, 8
	s_addc_u32 s5, s5, 0
	v_add_co_u32 v4, vcc_lo, 0x80, v4
	v_add_co_ci_u32_e32 v5, vcc_lo, 0, v5, vcc_lo
	v_cmp_ge_i64_e64 s6, s[4:5], s[16:17]
	v_add_co_u32 v6, vcc_lo, 0x80, v6
	v_add_co_ci_u32_e32 v7, vcc_lo, 0, v7, vcc_lo
	s_delay_alu instid0(VALU_DEP_3) | instskip(SKIP_3) | instid1(VALU_DEP_2)
	s_and_b32 vcc_lo, exec_lo, s6
	s_waitcnt lgkmcnt(0)
	v_mul_f64 v[1:2], v[34:35], v[50:51]
	v_mul_f64 v[52:53], v[32:33], v[50:51]
	v_fma_f64 v[1:2], v[32:33], v[48:49], -v[1:2]
	s_delay_alu instid0(VALU_DEP_2) | instskip(NEXT) | instid1(VALU_DEP_2)
	v_fma_f64 v[52:53], v[34:35], v[48:49], v[52:53]
	v_add_f64 v[1:2], v[20:21], v[1:2]
	s_delay_alu instid0(VALU_DEP_2) | instskip(SKIP_3) | instid1(VALU_DEP_1)
	v_add_f64 v[52:53], v[22:23], v[52:53]
	ds_load_b128 v[20:23], v27 offset:256
	s_waitcnt lgkmcnt(0)
	v_mul_f64 v[54:55], v[34:35], v[22:23]
	v_fma_f64 v[54:55], v[32:33], v[20:21], -v[54:55]
	v_mul_f64 v[32:33], v[32:33], v[22:23]
	s_delay_alu instid0(VALU_DEP_1) | instskip(NEXT) | instid1(VALU_DEP_3)
	v_fma_f64 v[32:33], v[34:35], v[20:21], v[32:33]
	v_add_f64 v[34:35], v[8:9], v[54:55]
	s_delay_alu instid0(VALU_DEP_2) | instskip(SKIP_4) | instid1(VALU_DEP_2)
	v_add_f64 v[32:33], v[10:11], v[32:33]
	ds_load_b128 v[8:11], v28 offset:2048
	s_waitcnt lgkmcnt(0)
	v_mul_f64 v[54:55], v[10:11], v[50:51]
	v_mul_f64 v[50:51], v[8:9], v[50:51]
	v_fma_f64 v[54:55], v[8:9], v[48:49], -v[54:55]
	s_delay_alu instid0(VALU_DEP_2) | instskip(NEXT) | instid1(VALU_DEP_2)
	v_fma_f64 v[48:49], v[10:11], v[48:49], v[50:51]
	v_add_f64 v[50:51], v[16:17], v[54:55]
	v_mul_f64 v[16:17], v[10:11], v[22:23]
	s_delay_alu instid0(VALU_DEP_3) | instskip(NEXT) | instid1(VALU_DEP_2)
	v_add_f64 v[48:49], v[18:19], v[48:49]
	v_fma_f64 v[16:17], v[8:9], v[20:21], -v[16:17]
	v_mul_f64 v[8:9], v[8:9], v[22:23]
	s_delay_alu instid0(VALU_DEP_1) | instskip(NEXT) | instid1(VALU_DEP_3)
	v_fma_f64 v[8:9], v[10:11], v[20:21], v[8:9]
	v_add_f64 v[20:21], v[14:15], v[16:17]
	s_delay_alu instid0(VALU_DEP_2) | instskip(SKIP_4) | instid1(VALU_DEP_2)
	v_add_f64 v[22:23], v[12:13], v[8:9]
	ds_load_b128 v[8:11], v27 offset:512
	s_waitcnt lgkmcnt(0)
	v_mul_f64 v[12:13], v[38:39], v[10:11]
	v_mul_f64 v[14:15], v[36:37], v[10:11]
	v_fma_f64 v[12:13], v[36:37], v[8:9], -v[12:13]
	s_delay_alu instid0(VALU_DEP_2) | instskip(NEXT) | instid1(VALU_DEP_2)
	v_fma_f64 v[14:15], v[38:39], v[8:9], v[14:15]
	v_add_f64 v[1:2], v[1:2], v[12:13]
	s_delay_alu instid0(VALU_DEP_2) | instskip(SKIP_4) | instid1(VALU_DEP_2)
	v_add_f64 v[52:53], v[52:53], v[14:15]
	ds_load_b128 v[12:15], v27 offset:768
	s_waitcnt lgkmcnt(0)
	v_mul_f64 v[16:17], v[38:39], v[14:15]
	v_mul_f64 v[18:19], v[36:37], v[14:15]
	v_fma_f64 v[16:17], v[36:37], v[12:13], -v[16:17]
	s_delay_alu instid0(VALU_DEP_2) | instskip(NEXT) | instid1(VALU_DEP_2)
	v_fma_f64 v[18:19], v[38:39], v[12:13], v[18:19]
	v_add_f64 v[34:35], v[34:35], v[16:17]
	s_delay_alu instid0(VALU_DEP_2) | instskip(SKIP_4) | instid1(VALU_DEP_2)
	v_add_f64 v[32:33], v[32:33], v[18:19]
	ds_load_b128 v[16:19], v28 offset:2064
	s_waitcnt lgkmcnt(0)
	v_mul_f64 v[36:37], v[18:19], v[10:11]
	v_mul_f64 v[10:11], v[16:17], v[10:11]
	v_fma_f64 v[36:37], v[16:17], v[8:9], -v[36:37]
	s_delay_alu instid0(VALU_DEP_2) | instskip(SKIP_1) | instid1(VALU_DEP_3)
	v_fma_f64 v[8:9], v[18:19], v[8:9], v[10:11]
	v_mul_f64 v[10:11], v[16:17], v[14:15]
	v_add_f64 v[36:37], v[50:51], v[36:37]
	s_delay_alu instid0(VALU_DEP_3) | instskip(SKIP_1) | instid1(VALU_DEP_4)
	v_add_f64 v[38:39], v[48:49], v[8:9]
	v_mul_f64 v[8:9], v[18:19], v[14:15]
	v_fma_f64 v[10:11], v[18:19], v[12:13], v[10:11]
	s_delay_alu instid0(VALU_DEP_2) | instskip(NEXT) | instid1(VALU_DEP_2)
	v_fma_f64 v[8:9], v[16:17], v[12:13], -v[8:9]
	v_add_f64 v[22:23], v[22:23], v[10:11]
	s_delay_alu instid0(VALU_DEP_2) | instskip(SKIP_4) | instid1(VALU_DEP_2)
	v_add_f64 v[20:21], v[20:21], v[8:9]
	ds_load_b128 v[8:11], v27 offset:1024
	s_waitcnt lgkmcnt(0)
	v_mul_f64 v[12:13], v[42:43], v[10:11]
	v_mul_f64 v[14:15], v[40:41], v[10:11]
	v_fma_f64 v[12:13], v[40:41], v[8:9], -v[12:13]
	s_delay_alu instid0(VALU_DEP_2) | instskip(NEXT) | instid1(VALU_DEP_2)
	v_fma_f64 v[14:15], v[42:43], v[8:9], v[14:15]
	v_add_f64 v[1:2], v[1:2], v[12:13]
	s_delay_alu instid0(VALU_DEP_2) | instskip(SKIP_4) | instid1(VALU_DEP_2)
	v_add_f64 v[48:49], v[52:53], v[14:15]
	ds_load_b128 v[12:15], v27 offset:1280
	s_waitcnt lgkmcnt(0)
	v_mul_f64 v[16:17], v[42:43], v[14:15]
	v_mul_f64 v[18:19], v[40:41], v[14:15]
	v_fma_f64 v[16:17], v[40:41], v[12:13], -v[16:17]
	s_delay_alu instid0(VALU_DEP_2) | instskip(NEXT) | instid1(VALU_DEP_2)
	v_fma_f64 v[18:19], v[42:43], v[12:13], v[18:19]
	v_add_f64 v[34:35], v[34:35], v[16:17]
	s_delay_alu instid0(VALU_DEP_2) | instskip(SKIP_4) | instid1(VALU_DEP_2)
	v_add_f64 v[32:33], v[32:33], v[18:19]
	ds_load_b128 v[16:19], v28 offset:2080
	s_waitcnt lgkmcnt(0)
	v_mul_f64 v[40:41], v[18:19], v[10:11]
	v_mul_f64 v[10:11], v[16:17], v[10:11]
	v_fma_f64 v[40:41], v[16:17], v[8:9], -v[40:41]
	s_delay_alu instid0(VALU_DEP_2) | instskip(SKIP_1) | instid1(VALU_DEP_3)
	v_fma_f64 v[8:9], v[18:19], v[8:9], v[10:11]
	v_mul_f64 v[10:11], v[16:17], v[14:15]
	v_add_f64 v[36:37], v[36:37], v[40:41]
	s_delay_alu instid0(VALU_DEP_3) | instskip(SKIP_1) | instid1(VALU_DEP_4)
	v_add_f64 v[38:39], v[38:39], v[8:9]
	v_mul_f64 v[8:9], v[18:19], v[14:15]
	v_fma_f64 v[10:11], v[18:19], v[12:13], v[10:11]
	s_delay_alu instid0(VALU_DEP_2) | instskip(NEXT) | instid1(VALU_DEP_2)
	v_fma_f64 v[8:9], v[16:17], v[12:13], -v[8:9]
	;; [unrolled: 38-line block ×3, first 2 shown]
	v_add_f64 v[22:23], v[22:23], v[10:11]
	s_delay_alu instid0(VALU_DEP_2)
	v_add_f64 v[20:21], v[20:21], v[8:9]
	ds_load_b128 v[8:11], v28 offset:64
	ds_load_b128 v[12:15], v27 offset:2048
	s_waitcnt lgkmcnt(0)
	v_mul_f64 v[16:17], v[10:11], v[14:15]
	v_mul_f64 v[18:19], v[8:9], v[14:15]
	s_delay_alu instid0(VALU_DEP_2) | instskip(NEXT) | instid1(VALU_DEP_2)
	v_fma_f64 v[16:17], v[8:9], v[12:13], -v[16:17]
	v_fma_f64 v[18:19], v[10:11], v[12:13], v[18:19]
	s_delay_alu instid0(VALU_DEP_2) | instskip(NEXT) | instid1(VALU_DEP_2)
	v_add_f64 v[1:2], v[1:2], v[16:17]
	v_add_f64 v[40:41], v[40:41], v[18:19]
	ds_load_b128 v[16:19], v27 offset:2304
	s_waitcnt lgkmcnt(0)
	v_mul_f64 v[42:43], v[10:11], v[18:19]
	s_delay_alu instid0(VALU_DEP_1) | instskip(SKIP_1) | instid1(VALU_DEP_2)
	v_fma_f64 v[42:43], v[8:9], v[16:17], -v[42:43]
	v_mul_f64 v[8:9], v[8:9], v[18:19]
	v_add_f64 v[34:35], v[34:35], v[42:43]
	s_delay_alu instid0(VALU_DEP_2) | instskip(NEXT) | instid1(VALU_DEP_1)
	v_fma_f64 v[8:9], v[10:11], v[16:17], v[8:9]
	v_add_f64 v[32:33], v[32:33], v[8:9]
	ds_load_b128 v[8:11], v28 offset:2112
	s_waitcnt lgkmcnt(0)
	v_mul_f64 v[42:43], v[10:11], v[14:15]
	v_mul_f64 v[14:15], v[8:9], v[14:15]
	s_delay_alu instid0(VALU_DEP_2) | instskip(NEXT) | instid1(VALU_DEP_2)
	v_fma_f64 v[42:43], v[8:9], v[12:13], -v[42:43]
	v_fma_f64 v[12:13], v[10:11], v[12:13], v[14:15]
	s_delay_alu instid0(VALU_DEP_2) | instskip(NEXT) | instid1(VALU_DEP_2)
	v_add_f64 v[36:37], v[36:37], v[42:43]
	v_add_f64 v[38:39], v[38:39], v[12:13]
	v_mul_f64 v[12:13], v[10:11], v[18:19]
	s_delay_alu instid0(VALU_DEP_1) | instskip(SKIP_1) | instid1(VALU_DEP_2)
	v_fma_f64 v[12:13], v[8:9], v[16:17], -v[12:13]
	v_mul_f64 v[8:9], v[8:9], v[18:19]
	v_add_f64 v[20:21], v[20:21], v[12:13]
	s_delay_alu instid0(VALU_DEP_2) | instskip(NEXT) | instid1(VALU_DEP_1)
	v_fma_f64 v[8:9], v[10:11], v[16:17], v[8:9]
	v_add_f64 v[22:23], v[22:23], v[8:9]
	ds_load_b128 v[8:11], v28 offset:80
	ds_load_b128 v[12:15], v27 offset:2560
	s_waitcnt lgkmcnt(0)
	v_mul_f64 v[16:17], v[10:11], v[14:15]
	v_mul_f64 v[18:19], v[8:9], v[14:15]
	s_delay_alu instid0(VALU_DEP_2) | instskip(NEXT) | instid1(VALU_DEP_2)
	v_fma_f64 v[16:17], v[8:9], v[12:13], -v[16:17]
	v_fma_f64 v[18:19], v[10:11], v[12:13], v[18:19]
	s_delay_alu instid0(VALU_DEP_2) | instskip(NEXT) | instid1(VALU_DEP_2)
	v_add_f64 v[1:2], v[1:2], v[16:17]
	v_add_f64 v[40:41], v[40:41], v[18:19]
	ds_load_b128 v[16:19], v27 offset:2816
	s_waitcnt lgkmcnt(0)
	v_mul_f64 v[42:43], v[10:11], v[18:19]
	s_delay_alu instid0(VALU_DEP_1) | instskip(SKIP_1) | instid1(VALU_DEP_2)
	v_fma_f64 v[42:43], v[8:9], v[16:17], -v[42:43]
	v_mul_f64 v[8:9], v[8:9], v[18:19]
	v_add_f64 v[34:35], v[34:35], v[42:43]
	s_delay_alu instid0(VALU_DEP_2) | instskip(NEXT) | instid1(VALU_DEP_1)
	v_fma_f64 v[8:9], v[10:11], v[16:17], v[8:9]
	v_add_f64 v[32:33], v[32:33], v[8:9]
	ds_load_b128 v[8:11], v28 offset:2128
	s_waitcnt lgkmcnt(0)
	v_mul_f64 v[42:43], v[10:11], v[14:15]
	v_mul_f64 v[14:15], v[8:9], v[14:15]
	s_delay_alu instid0(VALU_DEP_2) | instskip(NEXT) | instid1(VALU_DEP_2)
	v_fma_f64 v[42:43], v[8:9], v[12:13], -v[42:43]
	v_fma_f64 v[12:13], v[10:11], v[12:13], v[14:15]
	s_delay_alu instid0(VALU_DEP_2) | instskip(NEXT) | instid1(VALU_DEP_2)
	v_add_f64 v[36:37], v[36:37], v[42:43]
	v_add_f64 v[38:39], v[38:39], v[12:13]
	v_mul_f64 v[12:13], v[10:11], v[18:19]
	s_delay_alu instid0(VALU_DEP_1) | instskip(SKIP_1) | instid1(VALU_DEP_2)
	v_fma_f64 v[12:13], v[8:9], v[16:17], -v[12:13]
	v_mul_f64 v[8:9], v[8:9], v[18:19]
	v_add_f64 v[20:21], v[20:21], v[12:13]
	s_delay_alu instid0(VALU_DEP_2) | instskip(NEXT) | instid1(VALU_DEP_1)
	v_fma_f64 v[8:9], v[10:11], v[16:17], v[8:9]
	;; [unrolled: 39-line block ×3, first 2 shown]
	v_add_f64 v[52:53], v[22:23], v[8:9]
	ds_load_b128 v[8:11], v28 offset:112
	ds_load_b128 v[12:15], v27 offset:3584
	;; [unrolled: 1-line block ×4, first 2 shown]
	s_waitcnt lgkmcnt(0)
	s_barrier
	buffer_gl0_inv
	v_mul_f64 v[16:17], v[10:11], v[14:15]
	v_mul_f64 v[18:19], v[8:9], v[14:15]
	s_delay_alu instid0(VALU_DEP_2) | instskip(NEXT) | instid1(VALU_DEP_2)
	v_fma_f64 v[16:17], v[8:9], v[12:13], -v[16:17]
	v_fma_f64 v[18:19], v[10:11], v[12:13], v[18:19]
	s_delay_alu instid0(VALU_DEP_2) | instskip(SKIP_1) | instid1(VALU_DEP_3)
	v_add_f64 v[20:21], v[1:2], v[16:17]
	v_mul_f64 v[1:2], v[10:11], v[34:35]
	v_add_f64 v[22:23], v[40:41], v[18:19]
	s_delay_alu instid0(VALU_DEP_2) | instskip(SKIP_1) | instid1(VALU_DEP_1)
	v_fma_f64 v[1:2], v[8:9], v[32:33], -v[1:2]
	v_mul_f64 v[8:9], v[8:9], v[34:35]
	v_fma_f64 v[10:11], v[10:11], v[32:33], v[8:9]
	s_delay_alu instid0(VALU_DEP_3) | instskip(SKIP_2) | instid1(VALU_DEP_4)
	v_add_f64 v[8:9], v[42:43], v[1:2]
	v_mul_f64 v[1:2], v[38:39], v[14:15]
	v_mul_f64 v[14:15], v[36:37], v[14:15]
	v_add_f64 v[10:11], v[44:45], v[10:11]
	s_delay_alu instid0(VALU_DEP_3) | instskip(NEXT) | instid1(VALU_DEP_3)
	v_fma_f64 v[1:2], v[36:37], v[12:13], -v[1:2]
	v_fma_f64 v[12:13], v[38:39], v[12:13], v[14:15]
	s_delay_alu instid0(VALU_DEP_2) | instskip(NEXT) | instid1(VALU_DEP_2)
	v_add_f64 v[16:17], v[46:47], v[1:2]
	v_add_f64 v[18:19], v[48:49], v[12:13]
	v_mul_f64 v[1:2], v[38:39], v[34:35]
	v_mul_f64 v[12:13], v[36:37], v[34:35]
	s_delay_alu instid0(VALU_DEP_2) | instskip(NEXT) | instid1(VALU_DEP_2)
	v_fma_f64 v[1:2], v[36:37], v[32:33], -v[1:2]
	v_fma_f64 v[12:13], v[38:39], v[32:33], v[12:13]
	s_delay_alu instid0(VALU_DEP_2) | instskip(NEXT) | instid1(VALU_DEP_2)
	v_add_f64 v[14:15], v[50:51], v[1:2]
	v_add_f64 v[12:13], v[52:53], v[12:13]
	s_cbranch_vccnz .LBB1371_11
.LBB1371_3:                             ; =>This Inner Loop Header: Depth=1
	v_add_co_u32 v1, s6, v29, s4
	s_delay_alu instid0(VALU_DEP_1) | instskip(NEXT) | instid1(VALU_DEP_1)
	v_add_co_ci_u32_e64 v2, null, 0, s5, s6
	v_cmp_le_i64_e32 vcc_lo, s[16:17], v[1:2]
	s_or_b32 s6, s3, vcc_lo
	s_delay_alu instid0(SALU_CYCLE_1) | instskip(NEXT) | instid1(SALU_CYCLE_1)
	s_and_saveexec_b32 s7, s6
	s_xor_b32 s6, exec_lo, s7
	s_cbranch_execz .LBB1371_5
; %bb.4:                                ;   in Loop: Header=BB1371_3 Depth=1
	v_mov_b32_e32 v1, v0
	v_mov_b32_e32 v2, v0
	;; [unrolled: 1-line block ×3, first 2 shown]
	ds_store_b128 v30, v[0:3]
.LBB1371_5:                             ;   in Loop: Header=BB1371_3 Depth=1
	s_and_not1_saveexec_b32 s6, s6
	s_cbranch_execz .LBB1371_7
; %bb.6:                                ;   in Loop: Header=BB1371_3 Depth=1
	global_load_b128 v[32:35], v[4:5], off
	s_waitcnt vmcnt(0)
	ds_store_2addr_b64 v30, v[32:33], v[34:35] offset1:1
.LBB1371_7:                             ;   in Loop: Header=BB1371_3 Depth=1
	s_or_b32 exec_lo, exec_lo, s6
	v_add_co_u32 v1, s6, v26, s4
	s_delay_alu instid0(VALU_DEP_1) | instskip(NEXT) | instid1(VALU_DEP_1)
	v_add_co_ci_u32_e64 v2, null, 0, s5, s6
	v_cmp_le_i64_e32 vcc_lo, s[16:17], v[1:2]
	s_or_b32 s6, vcc_lo, s2
	s_delay_alu instid0(SALU_CYCLE_1) | instskip(NEXT) | instid1(SALU_CYCLE_1)
	s_and_saveexec_b32 s7, s6
	s_xor_b32 s6, exec_lo, s7
	s_cbranch_execz .LBB1371_9
; %bb.8:                                ;   in Loop: Header=BB1371_3 Depth=1
	v_mov_b32_e32 v1, v0
	v_mov_b32_e32 v2, v0
	;; [unrolled: 1-line block ×3, first 2 shown]
	ds_store_b128 v31, v[0:3]
.LBB1371_9:                             ;   in Loop: Header=BB1371_3 Depth=1
	s_and_not1_saveexec_b32 s6, s6
	s_cbranch_execz .LBB1371_2
; %bb.10:                               ;   in Loop: Header=BB1371_3 Depth=1
	global_load_b128 v[32:35], v[6:7], off
	s_waitcnt vmcnt(0)
	ds_store_2addr_b64 v31, v[32:33], v[34:35] offset1:1
	s_branch .LBB1371_2
.LBB1371_11:
	s_clause 0x1
	s_load_b128 s[4:7], s[0:1], 0x60
	s_load_b64 s[2:3], s[0:1], 0x70
	v_add_nc_u32_e32 v4, s10, v25
	s_delay_alu instid0(VALU_DEP_1) | instskip(SKIP_1) | instid1(VALU_DEP_1)
	v_ashrrev_i32_e32 v0, 31, v4
	s_waitcnt lgkmcnt(0)
	v_mul_lo_u32 v3, v0, s6
	v_mul_lo_u32 v5, v4, s7
	v_mad_u64_u32 v[1:2], null, v4, s6, 0
	s_mul_i32 s1, s15, s3
	s_mul_hi_u32 s3, s15, s2
	s_mul_i32 s2, s15, s2
	s_add_i32 s3, s3, s1
	v_add_nc_u32_e32 v0, s9, v24
	s_lshl_b64 s[10:11], s[2:3], 4
	s_delay_alu instid0(VALU_DEP_2)
	v_add3_u32 v2, v2, v5, v3
	s_add_u32 s3, s4, s10
	s_addc_u32 s4, s5, s11
	v_cmp_le_i32_e64 s0, v4, v0
	v_cmp_gt_i32_e32 vcc_lo, s8, v0
	v_lshlrev_b64 v[1:2], 4, v[1:2]
	s_delay_alu instid0(VALU_DEP_3) | instskip(NEXT) | instid1(VALU_DEP_1)
	s_and_b32 s0, s0, vcc_lo
	v_add_co_u32 v5, s1, s3, v1
	s_delay_alu instid0(VALU_DEP_1)
	v_add_co_ci_u32_e64 v6, s1, s4, v2, s1
	s_and_saveexec_b32 s2, s0
	s_cbranch_execz .LBB1371_13
; %bb.12:
	v_mul_f64 v[1:2], s[18:19], v[22:23]
	v_mul_f64 v[22:23], s[20:21], v[22:23]
	v_cmp_ne_u32_e64 s0, v4, v0
	s_delay_alu instid0(VALU_DEP_3) | instskip(NEXT) | instid1(VALU_DEP_3)
	v_fma_f64 v[2:3], s[20:21], v[20:21], v[1:2]
	v_fma_f64 v[20:21], s[18:19], v[20:21], -v[22:23]
	v_ashrrev_i32_e32 v1, 31, v0
	s_delay_alu instid0(VALU_DEP_1) | instskip(NEXT) | instid1(VALU_DEP_1)
	v_lshlrev_b64 v[22:23], 4, v[0:1]
	v_add_co_u32 v24, s1, v5, v22
	s_delay_alu instid0(VALU_DEP_1)
	v_add_co_ci_u32_e64 v25, s1, v6, v23, s1
	v_cndmask_b32_e64 v23, 0, v3, s0
	v_cndmask_b32_e64 v22, 0, v2, s0
	global_store_b128 v[24:25], v[20:23], off
.LBB1371_13:
	s_or_b32 exec_lo, exec_lo, s2
	v_add_nc_u32_e32 v2, 16, v0
	s_delay_alu instid0(VALU_DEP_1) | instskip(SKIP_1) | instid1(VALU_DEP_1)
	v_cmp_le_i32_e64 s1, v4, v2
	v_cmp_gt_i32_e64 s0, s8, v2
	s_and_b32 s1, s1, s0
	s_delay_alu instid0(SALU_CYCLE_1)
	s_and_saveexec_b32 s5, s1
	s_cbranch_execz .LBB1371_15
; %bb.14:
	v_mul_f64 v[20:21], s[18:19], v[10:11]
	v_mul_f64 v[10:11], s[20:21], v[10:11]
	v_ashrrev_i32_e32 v3, 31, v2
	v_cmp_ne_u32_e64 s1, v4, v2
	s_delay_alu instid0(VALU_DEP_4) | instskip(NEXT) | instid1(VALU_DEP_4)
	v_fma_f64 v[20:21], s[20:21], v[8:9], v[20:21]
	v_fma_f64 v[7:8], s[18:19], v[8:9], -v[10:11]
	s_delay_alu instid0(VALU_DEP_4) | instskip(NEXT) | instid1(VALU_DEP_1)
	v_lshlrev_b64 v[9:10], 4, v[2:3]
	v_add_co_u32 v5, s2, v5, v9
	s_delay_alu instid0(VALU_DEP_1)
	v_add_co_ci_u32_e64 v6, s2, v6, v10, s2
	v_cndmask_b32_e64 v10, 0, v21, s1
	v_cndmask_b32_e64 v9, 0, v20, s1
	global_store_b128 v[5:6], v[7:10], off
.LBB1371_15:
	s_or_b32 exec_lo, exec_lo, s5
	v_add_nc_u32_e32 v3, 16, v4
	s_delay_alu instid0(VALU_DEP_1) | instskip(SKIP_3) | instid1(VALU_DEP_4)
	v_ashrrev_i32_e32 v1, 31, v3
	v_mul_lo_u32 v7, v3, s7
	v_mad_u64_u32 v[5:6], null, v3, s6, 0
	v_cmp_le_i32_e64 s1, v3, v0
	v_mul_lo_u32 v1, v1, s6
	s_delay_alu instid0(VALU_DEP_2) | instskip(NEXT) | instid1(VALU_DEP_1)
	s_and_b32 s1, s1, vcc_lo
	v_add3_u32 v6, v6, v7, v1
	s_delay_alu instid0(VALU_DEP_1) | instskip(NEXT) | instid1(VALU_DEP_1)
	v_lshlrev_b64 v[5:6], 4, v[5:6]
	v_add_co_u32 v5, s2, s3, v5
	s_delay_alu instid0(VALU_DEP_1)
	v_add_co_ci_u32_e64 v6, s2, s4, v6, s2
	s_and_saveexec_b32 s2, s1
	s_cbranch_execz .LBB1371_17
; %bb.16:
	v_mul_f64 v[7:8], s[18:19], v[18:19]
	v_mul_f64 v[9:10], s[20:21], v[18:19]
	v_ashrrev_i32_e32 v1, 31, v0
	v_cmp_ne_u32_e32 vcc_lo, v3, v0
	s_delay_alu instid0(VALU_DEP_4) | instskip(NEXT) | instid1(VALU_DEP_4)
	v_fma_f64 v[18:19], s[20:21], v[16:17], v[7:8]
	v_fma_f64 v[7:8], s[18:19], v[16:17], -v[9:10]
	s_delay_alu instid0(VALU_DEP_4) | instskip(NEXT) | instid1(VALU_DEP_1)
	v_lshlrev_b64 v[9:10], 4, v[0:1]
	v_add_co_u32 v16, s1, v5, v9
	s_delay_alu instid0(VALU_DEP_1)
	v_add_co_ci_u32_e64 v17, s1, v6, v10, s1
	v_dual_cndmask_b32 v10, 0, v19 :: v_dual_cndmask_b32 v9, 0, v18
	global_store_b128 v[16:17], v[7:10], off
.LBB1371_17:
	s_or_b32 exec_lo, exec_lo, s2
	v_cmp_le_i32_e32 vcc_lo, v3, v2
	s_and_b32 s0, vcc_lo, s0
	s_delay_alu instid0(SALU_CYCLE_1)
	s_and_saveexec_b32 s1, s0
	s_cbranch_execz .LBB1371_19
; %bb.18:
	v_mul_f64 v[7:8], s[18:19], v[12:13]
	v_mul_f64 v[9:10], s[20:21], v[12:13]
	v_ashrrev_i32_e32 v3, 31, v2
	v_cmp_ne_u32_e32 vcc_lo, v4, v0
	s_delay_alu instid0(VALU_DEP_2) | instskip(NEXT) | instid1(VALU_DEP_1)
	v_lshlrev_b64 v[1:2], 4, v[2:3]
	v_add_co_u32 v0, s0, v5, v1
	s_delay_alu instid0(VALU_DEP_1) | instskip(SKIP_2) | instid1(VALU_DEP_2)
	v_add_co_ci_u32_e64 v1, s0, v6, v2, s0
	v_fma_f64 v[11:12], s[20:21], v[14:15], v[7:8]
	v_fma_f64 v[7:8], s[18:19], v[14:15], -v[9:10]
	v_dual_cndmask_b32 v10, 0, v12 :: v_dual_cndmask_b32 v9, 0, v11
	global_store_b128 v[0:1], v[7:10], off
.LBB1371_19:
	s_nop 0
	s_sendmsg sendmsg(MSG_DEALLOC_VGPRS)
	s_endpgm
	.section	.rodata,"a",@progbits
	.p2align	6, 0x0
	.amdhsa_kernel _ZL34rocblas_syrkx_herkx_general_kernelIl19rocblas_complex_numIdELi16ELi32ELi8ELb1ELb1ELc84ELc76EKS1_S1_EviT_T0_PT8_S3_lS6_S3_lS4_PT9_S3_li
		.amdhsa_group_segment_fixed_size 8192
		.amdhsa_private_segment_fixed_size 0
		.amdhsa_kernarg_size 124
		.amdhsa_user_sgpr_count 13
		.amdhsa_user_sgpr_dispatch_ptr 0
		.amdhsa_user_sgpr_queue_ptr 0
		.amdhsa_user_sgpr_kernarg_segment_ptr 1
		.amdhsa_user_sgpr_dispatch_id 0
		.amdhsa_user_sgpr_private_segment_size 0
		.amdhsa_wavefront_size32 1
		.amdhsa_uses_dynamic_stack 0
		.amdhsa_enable_private_segment 0
		.amdhsa_system_sgpr_workgroup_id_x 1
		.amdhsa_system_sgpr_workgroup_id_y 1
		.amdhsa_system_sgpr_workgroup_id_z 1
		.amdhsa_system_sgpr_workgroup_info 0
		.amdhsa_system_vgpr_workitem_id 1
		.amdhsa_next_free_vgpr 56
		.amdhsa_next_free_sgpr 32
		.amdhsa_reserve_vcc 1
		.amdhsa_float_round_mode_32 0
		.amdhsa_float_round_mode_16_64 0
		.amdhsa_float_denorm_mode_32 3
		.amdhsa_float_denorm_mode_16_64 3
		.amdhsa_dx10_clamp 1
		.amdhsa_ieee_mode 1
		.amdhsa_fp16_overflow 0
		.amdhsa_workgroup_processor_mode 1
		.amdhsa_memory_ordered 1
		.amdhsa_forward_progress 0
		.amdhsa_shared_vgpr_count 0
		.amdhsa_exception_fp_ieee_invalid_op 0
		.amdhsa_exception_fp_denorm_src 0
		.amdhsa_exception_fp_ieee_div_zero 0
		.amdhsa_exception_fp_ieee_overflow 0
		.amdhsa_exception_fp_ieee_underflow 0
		.amdhsa_exception_fp_ieee_inexact 0
		.amdhsa_exception_int_div_zero 0
	.end_amdhsa_kernel
	.section	.text._ZL34rocblas_syrkx_herkx_general_kernelIl19rocblas_complex_numIdELi16ELi32ELi8ELb1ELb1ELc84ELc76EKS1_S1_EviT_T0_PT8_S3_lS6_S3_lS4_PT9_S3_li,"axG",@progbits,_ZL34rocblas_syrkx_herkx_general_kernelIl19rocblas_complex_numIdELi16ELi32ELi8ELb1ELb1ELc84ELc76EKS1_S1_EviT_T0_PT8_S3_lS6_S3_lS4_PT9_S3_li,comdat
.Lfunc_end1371:
	.size	_ZL34rocblas_syrkx_herkx_general_kernelIl19rocblas_complex_numIdELi16ELi32ELi8ELb1ELb1ELc84ELc76EKS1_S1_EviT_T0_PT8_S3_lS6_S3_lS4_PT9_S3_li, .Lfunc_end1371-_ZL34rocblas_syrkx_herkx_general_kernelIl19rocblas_complex_numIdELi16ELi32ELi8ELb1ELb1ELc84ELc76EKS1_S1_EviT_T0_PT8_S3_lS6_S3_lS4_PT9_S3_li
                                        ; -- End function
	.section	.AMDGPU.csdata,"",@progbits
; Kernel info:
; codeLenInByte = 3732
; NumSgprs: 34
; NumVgprs: 56
; ScratchSize: 0
; MemoryBound: 0
; FloatMode: 240
; IeeeMode: 1
; LDSByteSize: 8192 bytes/workgroup (compile time only)
; SGPRBlocks: 4
; VGPRBlocks: 6
; NumSGPRsForWavesPerEU: 34
; NumVGPRsForWavesPerEU: 56
; Occupancy: 16
; WaveLimiterHint : 0
; COMPUTE_PGM_RSRC2:SCRATCH_EN: 0
; COMPUTE_PGM_RSRC2:USER_SGPR: 13
; COMPUTE_PGM_RSRC2:TRAP_HANDLER: 0
; COMPUTE_PGM_RSRC2:TGID_X_EN: 1
; COMPUTE_PGM_RSRC2:TGID_Y_EN: 1
; COMPUTE_PGM_RSRC2:TGID_Z_EN: 1
; COMPUTE_PGM_RSRC2:TIDIG_COMP_CNT: 1
	.section	.text._ZL34rocblas_syrkx_herkx_general_kernelIl19rocblas_complex_numIdELi16ELi32ELi8ELb1ELb1ELc67ELc76EKS1_S1_EviT_T0_PT8_S3_lS6_S3_lS4_PT9_S3_li,"axG",@progbits,_ZL34rocblas_syrkx_herkx_general_kernelIl19rocblas_complex_numIdELi16ELi32ELi8ELb1ELb1ELc67ELc76EKS1_S1_EviT_T0_PT8_S3_lS6_S3_lS4_PT9_S3_li,comdat
	.globl	_ZL34rocblas_syrkx_herkx_general_kernelIl19rocblas_complex_numIdELi16ELi32ELi8ELb1ELb1ELc67ELc76EKS1_S1_EviT_T0_PT8_S3_lS6_S3_lS4_PT9_S3_li ; -- Begin function _ZL34rocblas_syrkx_herkx_general_kernelIl19rocblas_complex_numIdELi16ELi32ELi8ELb1ELb1ELc67ELc76EKS1_S1_EviT_T0_PT8_S3_lS6_S3_lS4_PT9_S3_li
	.p2align	8
	.type	_ZL34rocblas_syrkx_herkx_general_kernelIl19rocblas_complex_numIdELi16ELi32ELi8ELb1ELb1ELc67ELc76EKS1_S1_EviT_T0_PT8_S3_lS6_S3_lS4_PT9_S3_li,@function
_ZL34rocblas_syrkx_herkx_general_kernelIl19rocblas_complex_numIdELi16ELi32ELi8ELb1ELb1ELc67ELc76EKS1_S1_EviT_T0_PT8_S3_lS6_S3_lS4_PT9_S3_li: ; @_ZL34rocblas_syrkx_herkx_general_kernelIl19rocblas_complex_numIdELi16ELi32ELi8ELb1ELb1ELc67ELc76EKS1_S1_EviT_T0_PT8_S3_lS6_S3_lS4_PT9_S3_li
; %bb.0:
	s_clause 0x1
	s_load_b512 s[16:31], s[0:1], 0x8
	s_load_b32 s8, s[0:1], 0x0
	v_mov_b32_e32 v23, 0
	v_dual_mov_b32 v24, 0 :: v_dual_and_b32 v27, 0x3ff, v0
	v_bfe_u32 v28, v0, 10, 10
	s_delay_alu instid0(VALU_DEP_3) | instskip(NEXT) | instid1(VALU_DEP_3)
	v_mov_b32_e32 v19, v23
	v_dual_mov_b32 v21, v23 :: v_dual_mov_b32 v22, v24
	v_dual_mov_b32 v26, v24 :: v_dual_mov_b32 v25, v23
	;; [unrolled: 1-line block ×6, first 2 shown]
	v_mov_b32_e32 v14, v24
	s_waitcnt lgkmcnt(0)
	v_cmp_lt_i64_e64 s2, s[16:17], 1
	s_lshl_b32 s9, s13, 5
	s_lshl_b32 s10, s14, 5
	s_mov_b64 s[4:5], 0
	s_delay_alu instid0(VALU_DEP_1)
	s_and_b32 vcc_lo, exec_lo, s2
	s_cbranch_vccnz .LBB1372_9
; %bb.1:
	v_lshl_add_u32 v1, v28, 4, v27
	s_load_b64 s[6:7], s[0:1], 0x48
	v_dual_mov_b32 v0, 0 :: v_dual_and_b32 v29, 7, v27
	s_mul_i32 s3, s27, s15
	s_delay_alu instid0(VALU_DEP_2)
	v_and_b32_e32 v3, 31, v1
	v_lshrrev_b32_e32 v5, 3, v1
	v_lshrrev_b32_e32 v32, 5, v1
	v_lshlrev_b32_e32 v9, 4, v29
	s_mul_hi_u32 s11, s26, s15
	v_add_nc_u32_e32 v4, s9, v3
	v_add_nc_u32_e32 v7, s10, v5
	v_or_b32_e32 v10, s9, v3
	v_lshlrev_b32_e32 v11, 4, v3
	v_lshl_or_b32 v5, v5, 7, v9
	v_ashrrev_i32_e32 v6, 31, v4
	v_mul_lo_u32 v8, s25, v4
	v_mad_u64_u32 v[1:2], null, s24, v4, 0
	v_ashrrev_i32_e32 v12, 31, v7
	s_delay_alu instid0(VALU_DEP_4)
	v_mul_lo_u32 v6, s24, v6
	v_mul_lo_u32 v13, s31, v7
	v_mad_u64_u32 v[3:4], null, s30, v7, 0
	s_mul_i32 s2, s26, s15
	s_add_i32 s3, s11, s3
	v_add_nc_u32_e32 v34, 0x1000, v5
	s_lshl_b64 s[12:13], s[2:3], 4
	s_delay_alu instid0(VALU_DEP_4)
	v_add3_u32 v2, v2, v6, v8
	v_mul_lo_u32 v6, s30, v12
	v_cmp_gt_i32_e32 vcc_lo, s8, v7
	v_lshlrev_b32_e32 v7, 4, v32
	v_lshlrev_b32_e32 v30, 4, v27
	v_lshlrev_b64 v[1:2], 4, v[1:2]
	v_lshl_add_u32 v31, v28, 7, 0x1000
	v_cmp_gt_i32_e64 s2, s8, v10
	v_add3_u32 v4, v4, v6, v13
	s_delay_alu instid0(VALU_DEP_4) | instskip(NEXT) | instid1(VALU_DEP_1)
	v_add_co_u32 v5, s3, v1, s12
	v_add_co_ci_u32_e64 v6, s3, s13, v2, s3
	s_waitcnt lgkmcnt(0)
	s_mul_i32 s3, s7, s15
	s_mul_hi_u32 s7, s6, s15
	v_lshlrev_b64 v[1:2], 4, v[3:4]
	s_add_i32 s7, s7, s3
	s_mul_i32 s6, s6, s15
	v_add_co_u32 v3, s3, v5, v7
	s_lshl_b64 s[6:7], s[6:7], 4
	v_add_co_ci_u32_e64 v4, s3, 0, v6, s3
	v_mov_b32_e32 v5, 0
	v_add_co_u32 v1, s3, v1, s6
	v_mov_b32_e32 v6, 0
	v_add_co_ci_u32_e64 v2, s3, s7, v2, s3
	v_add_co_u32 v3, s3, v3, s22
	s_delay_alu instid0(VALU_DEP_1) | instskip(NEXT) | instid1(VALU_DEP_4)
	v_add_co_ci_u32_e64 v4, s3, s23, v4, s3
	v_mov_b32_e32 v18, v6
	v_lshl_or_b32 v33, v32, 9, v11
	v_mov_b32_e32 v12, v6
	v_add_co_u32 v1, s3, v1, v9
	s_delay_alu instid0(VALU_DEP_1) | instskip(SKIP_1) | instid1(VALU_DEP_1)
	v_add_co_ci_u32_e64 v2, s3, 0, v2, s3
	v_add_co_u32 v7, s3, v3, 8
	v_add_co_ci_u32_e64 v8, s3, 0, v4, s3
	v_mov_b32_e32 v16, v6
	v_add_co_u32 v9, s3, s28, v1
	v_dual_mov_b32 v17, v5 :: v_dual_mov_b32 v22, v6
	v_dual_mov_b32 v15, v5 :: v_dual_mov_b32 v20, v6
	;; [unrolled: 1-line block ×4, first 2 shown]
	v_mov_b32_e32 v24, v6
	v_add_co_ci_u32_e64 v10, s3, s29, v2, s3
	v_mov_b32_e32 v13, v5
	v_mov_b32_e32 v11, v5
	;; [unrolled: 1-line block ×4, first 2 shown]
	s_xor_b32 s3, vcc_lo, -1
	s_branch .LBB1372_3
.LBB1372_2:                             ;   in Loop: Header=BB1372_3 Depth=1
	s_or_b32 exec_lo, exec_lo, s6
	s_waitcnt lgkmcnt(0)
	s_barrier
	buffer_gl0_inv
	ds_load_b128 v[1:4], v31
	ds_load_b128 v[35:38], v30
	ds_load_b128 v[39:42], v30 offset:256
	ds_load_b128 v[43:46], v31 offset:2048
	;; [unrolled: 1-line block ×9, first 2 shown]
	s_add_u32 s4, s4, 8
	s_addc_u32 s5, s5, 0
	v_add_co_u32 v7, vcc_lo, 0x80, v7
	v_cmp_ge_i64_e64 s6, s[4:5], s[16:17]
	v_add_co_ci_u32_e32 v8, vcc_lo, 0, v8, vcc_lo
	v_add_co_u32 v9, vcc_lo, 0x80, v9
	v_add_co_ci_u32_e32 v10, vcc_lo, 0, v10, vcc_lo
	s_delay_alu instid0(VALU_DEP_4)
	s_and_b32 vcc_lo, exec_lo, s6
	s_waitcnt lgkmcnt(9)
	v_mul_f64 v[75:76], v[3:4], v[37:38]
	v_mul_f64 v[77:78], v[1:2], v[37:38]
	s_waitcnt lgkmcnt(8)
	v_mul_f64 v[79:80], v[3:4], v[41:42]
	v_mul_f64 v[81:82], v[1:2], v[41:42]
	;; [unrolled: 3-line block ×3, first 2 shown]
	v_mul_f64 v[85:86], v[45:46], v[41:42]
	v_mul_f64 v[41:42], v[43:44], v[41:42]
	s_waitcnt lgkmcnt(4)
	v_mul_f64 v[87:88], v[49:50], v[57:58]
	v_mul_f64 v[89:90], v[47:48], v[57:58]
	s_waitcnt lgkmcnt(3)
	v_mul_f64 v[91:92], v[49:50], v[61:62]
	v_mul_f64 v[93:94], v[47:48], v[61:62]
	v_mul_f64 v[95:96], v[53:54], v[57:58]
	v_mul_f64 v[57:58], v[51:52], v[57:58]
	v_mul_f64 v[97:98], v[53:54], v[61:62]
	v_mul_f64 v[61:62], v[51:52], v[61:62]
	s_waitcnt lgkmcnt(0)
	v_mul_f64 v[115:116], v[73:74], v[65:66]
	v_mul_f64 v[117:118], v[73:74], v[69:70]
	v_fma_f64 v[99:100], v[1:2], v[35:36], -v[75:76]
	v_fma_f64 v[101:102], v[3:4], v[35:36], v[77:78]
	v_fma_f64 v[79:80], v[1:2], v[39:40], -v[79:80]
	v_fma_f64 v[81:82], v[3:4], v[39:40], v[81:82]
	;; [unrolled: 2-line block ×4, first 2 shown]
	ds_load_b128 v[75:78], v31 offset:32
	v_fma_f64 v[87:88], v[47:48], v[55:56], -v[87:88]
	v_fma_f64 v[89:90], v[49:50], v[55:56], v[89:90]
	v_fma_f64 v[47:48], v[47:48], v[59:60], -v[91:92]
	v_fma_f64 v[49:50], v[49:50], v[59:60], v[93:94]
	;; [unrolled: 2-line block ×4, first 2 shown]
	ds_load_b128 v[1:4], v31 offset:48
	ds_load_b128 v[35:38], v31 offset:2096
	;; [unrolled: 1-line block ×4, first 2 shown]
	s_waitcnt lgkmcnt(4)
	v_mul_f64 v[107:108], v[77:78], v[65:66]
	v_mul_f64 v[109:110], v[75:76], v[65:66]
	;; [unrolled: 1-line block ×6, first 2 shown]
	s_waitcnt lgkmcnt(1)
	v_mul_f64 v[93:94], v[1:2], v[41:42]
	s_waitcnt lgkmcnt(0)
	v_mul_f64 v[95:96], v[3:4], v[45:46]
	v_add_f64 v[23:24], v[23:24], v[99:100]
	v_add_f64 v[25:26], v[25:26], v[101:102]
	;; [unrolled: 1-line block ×8, first 2 shown]
	v_mul_f64 v[85:86], v[3:4], v[41:42]
	v_mul_f64 v[97:98], v[1:2], v[45:46]
	v_mul_f64 v[99:100], v[37:38], v[41:42]
	v_mul_f64 v[41:42], v[35:36], v[41:42]
	v_mul_f64 v[101:102], v[37:38], v[45:46]
	v_mul_f64 v[103:104], v[35:36], v[45:46]
	ds_load_b128 v[11:14], v30 offset:2048
	ds_load_b128 v[15:18], v30 offset:2304
	;; [unrolled: 1-line block ×3, first 2 shown]
	v_fma_f64 v[105:106], v[75:76], v[63:64], -v[107:108]
	v_fma_f64 v[107:108], v[77:78], v[63:64], v[109:110]
	v_fma_f64 v[75:76], v[75:76], v[67:68], -v[111:112]
	v_fma_f64 v[77:78], v[77:78], v[67:68], v[113:114]
	;; [unrolled: 2-line block ×4, first 2 shown]
	s_waitcnt lgkmcnt(0)
	v_mul_f64 v[115:116], v[21:22], v[13:14]
	v_mul_f64 v[117:118], v[21:22], v[17:18]
	v_add_f64 v[69:70], v[23:24], v[87:88]
	v_add_f64 v[71:72], v[25:26], v[89:90]
	;; [unrolled: 1-line block ×8, first 2 shown]
	ds_load_b128 v[23:26], v31 offset:64
	v_fma_f64 v[85:86], v[1:2], v[39:40], -v[85:86]
	v_fma_f64 v[93:94], v[3:4], v[39:40], v[93:94]
	v_fma_f64 v[95:96], v[1:2], v[43:44], -v[95:96]
	v_fma_f64 v[97:98], v[3:4], v[43:44], v[97:98]
	v_fma_f64 v[99:100], v[35:36], v[39:40], -v[99:100]
	v_fma_f64 v[119:120], v[37:38], v[39:40], v[41:42]
	v_fma_f64 v[101:102], v[35:36], v[43:44], -v[101:102]
	v_fma_f64 v[43:44], v[37:38], v[43:44], v[103:104]
	ds_load_b128 v[45:48], v31 offset:80
	ds_load_b128 v[49:52], v31 offset:2128
	;; [unrolled: 1-line block ×7, first 2 shown]
	s_waitcnt lgkmcnt(7)
	v_mul_f64 v[89:90], v[25:26], v[13:14]
	v_mul_f64 v[91:92], v[23:24], v[13:14]
	;; [unrolled: 1-line block ×6, first 2 shown]
	s_waitcnt lgkmcnt(3)
	v_mul_f64 v[103:104], v[51:52], v[59:60]
	v_add_f64 v[69:70], v[69:70], v[105:106]
	v_add_f64 v[71:72], v[71:72], v[107:108]
	;; [unrolled: 1-line block ×8, first 2 shown]
	v_mul_f64 v[77:78], v[47:48], v[55:56]
	v_mul_f64 v[79:80], v[45:46], v[55:56]
	;; [unrolled: 1-line block ×7, first 2 shown]
	v_fma_f64 v[89:90], v[23:24], v[11:12], -v[89:90]
	v_fma_f64 v[91:92], v[25:26], v[11:12], v[91:92]
	v_fma_f64 v[107:108], v[23:24], v[15:16], -v[111:112]
	v_fma_f64 v[109:110], v[25:26], v[15:16], v[113:114]
	;; [unrolled: 2-line block ×4, first 2 shown]
	ds_load_b128 v[11:14], v31 offset:96
	v_add_f64 v[69:70], v[69:70], v[85:86]
	v_add_f64 v[71:72], v[71:72], v[93:94]
	;; [unrolled: 1-line block ×8, first 2 shown]
	s_waitcnt lgkmcnt(1)
	v_mul_f64 v[99:100], v[41:42], v[3:4]
	v_mul_f64 v[101:102], v[41:42], v[37:38]
	v_fma_f64 v[77:78], v[45:46], v[53:54], -v[77:78]
	v_fma_f64 v[79:80], v[47:48], v[53:54], v[79:80]
	v_fma_f64 v[45:46], v[45:46], v[57:58], -v[81:82]
	v_fma_f64 v[47:48], v[47:48], v[57:58], v[83:84]
	;; [unrolled: 2-line block ×4, first 2 shown]
	s_waitcnt lgkmcnt(0)
	v_mul_f64 v[67:68], v[13:14], v[3:4]
	v_mul_f64 v[93:94], v[11:12], v[3:4]
	;; [unrolled: 1-line block ×6, first 2 shown]
	ds_load_b128 v[15:18], v31 offset:112
	ds_load_b128 v[19:22], v31 offset:2160
	;; [unrolled: 1-line block ×4, first 2 shown]
	s_waitcnt lgkmcnt(0)
	s_barrier
	buffer_gl0_inv
	v_add_f64 v[55:56], v[69:70], v[89:90]
	v_add_f64 v[57:58], v[71:72], v[91:92]
	;; [unrolled: 1-line block ×8, first 2 shown]
	v_mul_f64 v[75:76], v[17:18], v[25:26]
	v_mul_f64 v[83:84], v[15:16], v[25:26]
	;; [unrolled: 1-line block ×8, first 2 shown]
	v_fma_f64 v[67:68], v[11:12], v[1:2], -v[67:68]
	v_fma_f64 v[93:94], v[13:14], v[1:2], v[93:94]
	v_fma_f64 v[11:12], v[11:12], v[35:36], -v[95:96]
	v_fma_f64 v[13:14], v[13:14], v[35:36], v[97:98]
	;; [unrolled: 2-line block ×4, first 2 shown]
	v_add_f64 v[37:38], v[55:56], v[77:78]
	v_add_f64 v[39:40], v[57:58], v[79:80]
	;; [unrolled: 1-line block ×8, first 2 shown]
	v_fma_f64 v[51:52], v[15:16], v[23:24], -v[75:76]
	v_fma_f64 v[55:56], v[17:18], v[23:24], v[83:84]
	v_fma_f64 v[15:16], v[15:16], v[59:60], -v[85:86]
	v_fma_f64 v[17:18], v[17:18], v[59:60], v[87:88]
	;; [unrolled: 2-line block ×4, first 2 shown]
	v_add_f64 v[19:20], v[37:38], v[67:68]
	v_add_f64 v[21:22], v[39:40], v[93:94]
	;; [unrolled: 1-line block ×16, first 2 shown]
	s_cbranch_vccnz .LBB1372_9
.LBB1372_3:                             ; =>This Inner Loop Header: Depth=1
	v_add_co_u32 v1, s6, v32, s4
	s_delay_alu instid0(VALU_DEP_1) | instskip(SKIP_1) | instid1(VALU_DEP_2)
	v_add_co_ci_u32_e64 v2, null, 0, s5, s6
	v_dual_mov_b32 v3, v5 :: v_dual_mov_b32 v4, v6
	v_cmp_gt_i64_e32 vcc_lo, s[16:17], v[1:2]
	v_dual_mov_b32 v1, v5 :: v_dual_mov_b32 v2, v6
	s_and_b32 s7, s2, vcc_lo
	s_delay_alu instid0(SALU_CYCLE_1)
	s_and_saveexec_b32 s6, s7
	s_cbranch_execz .LBB1372_5
; %bb.4:                                ;   in Loop: Header=BB1372_3 Depth=1
	global_load_b128 v[1:4], v[7:8], off offset:-8
	s_waitcnt vmcnt(0)
	v_xor_b32_e32 v4, 0x80000000, v4
.LBB1372_5:                             ;   in Loop: Header=BB1372_3 Depth=1
	s_or_b32 exec_lo, exec_lo, s6
	v_add_co_u32 v35, s6, v29, s4
	s_delay_alu instid0(VALU_DEP_1) | instskip(SKIP_3) | instid1(SALU_CYCLE_1)
	v_add_co_ci_u32_e64 v36, null, 0, s5, s6
	ds_store_b128 v33, v[1:4]
	v_cmp_le_i64_e32 vcc_lo, s[16:17], v[35:36]
	s_or_b32 s6, vcc_lo, s3
	s_and_saveexec_b32 s7, s6
	s_delay_alu instid0(SALU_CYCLE_1)
	s_xor_b32 s6, exec_lo, s7
	s_cbranch_execz .LBB1372_7
; %bb.6:                                ;   in Loop: Header=BB1372_3 Depth=1
	v_mov_b32_e32 v1, v0
	v_mov_b32_e32 v2, v0
	;; [unrolled: 1-line block ×3, first 2 shown]
	ds_store_b128 v34, v[0:3]
.LBB1372_7:                             ;   in Loop: Header=BB1372_3 Depth=1
	s_and_not1_saveexec_b32 s6, s6
	s_cbranch_execz .LBB1372_2
; %bb.8:                                ;   in Loop: Header=BB1372_3 Depth=1
	global_load_b128 v[1:4], v[9:10], off
	s_waitcnt vmcnt(0)
	ds_store_2addr_b64 v34, v[1:2], v[3:4] offset1:1
	s_branch .LBB1372_2
.LBB1372_9:
	s_clause 0x1
	s_load_b128 s[4:7], s[0:1], 0x60
	s_load_b64 s[2:3], s[0:1], 0x70
	v_add_nc_u32_e32 v4, s10, v28
	s_delay_alu instid0(VALU_DEP_1) | instskip(SKIP_1) | instid1(VALU_DEP_1)
	v_ashrrev_i32_e32 v0, 31, v4
	s_waitcnt lgkmcnt(0)
	v_mul_lo_u32 v3, v0, s6
	v_mul_lo_u32 v5, v4, s7
	v_mad_u64_u32 v[1:2], null, v4, s6, 0
	s_mul_i32 s1, s15, s3
	s_mul_hi_u32 s3, s15, s2
	s_mul_i32 s2, s15, s2
	s_add_i32 s3, s3, s1
	v_add_nc_u32_e32 v0, s9, v27
	s_lshl_b64 s[10:11], s[2:3], 4
	s_delay_alu instid0(VALU_DEP_2)
	v_add3_u32 v2, v2, v5, v3
	s_add_u32 s3, s4, s10
	s_addc_u32 s4, s5, s11
	v_cmp_le_i32_e64 s0, v4, v0
	v_cmp_gt_i32_e32 vcc_lo, s8, v0
	v_lshlrev_b64 v[1:2], 4, v[1:2]
	s_delay_alu instid0(VALU_DEP_3) | instskip(NEXT) | instid1(VALU_DEP_1)
	s_and_b32 s0, s0, vcc_lo
	v_add_co_u32 v5, s1, s3, v1
	s_delay_alu instid0(VALU_DEP_1)
	v_add_co_ci_u32_e64 v6, s1, s4, v2, s1
	s_and_saveexec_b32 s2, s0
	s_cbranch_execz .LBB1372_11
; %bb.10:
	v_mul_f64 v[1:2], s[18:19], v[25:26]
	v_mul_f64 v[7:8], s[20:21], v[25:26]
	v_cmp_ne_u32_e64 s0, v4, v0
	s_delay_alu instid0(VALU_DEP_3) | instskip(NEXT) | instid1(VALU_DEP_3)
	v_fma_f64 v[2:3], s[20:21], v[23:24], v[1:2]
	v_fma_f64 v[7:8], s[18:19], v[23:24], -v[7:8]
	v_ashrrev_i32_e32 v1, 31, v0
	s_delay_alu instid0(VALU_DEP_1) | instskip(NEXT) | instid1(VALU_DEP_1)
	v_lshlrev_b64 v[9:10], 4, v[0:1]
	v_add_co_u32 v23, s1, v5, v9
	s_delay_alu instid0(VALU_DEP_1)
	v_add_co_ci_u32_e64 v24, s1, v6, v10, s1
	v_cndmask_b32_e64 v10, 0, v3, s0
	v_cndmask_b32_e64 v9, 0, v2, s0
	global_store_b128 v[23:24], v[7:10], off
.LBB1372_11:
	s_or_b32 exec_lo, exec_lo, s2
	v_add_nc_u32_e32 v2, 16, v0
	s_delay_alu instid0(VALU_DEP_1) | instskip(SKIP_1) | instid1(VALU_DEP_1)
	v_cmp_le_i32_e64 s1, v4, v2
	v_cmp_gt_i32_e64 s0, s8, v2
	s_and_b32 s1, s1, s0
	s_delay_alu instid0(SALU_CYCLE_1)
	s_and_saveexec_b32 s5, s1
	s_cbranch_execz .LBB1372_13
; %bb.12:
	v_mul_f64 v[7:8], s[18:19], v[21:22]
	v_mul_f64 v[9:10], s[20:21], v[21:22]
	v_ashrrev_i32_e32 v3, 31, v2
	v_cmp_ne_u32_e64 s1, v4, v2
	s_delay_alu instid0(VALU_DEP_4) | instskip(NEXT) | instid1(VALU_DEP_4)
	v_fma_f64 v[21:22], s[20:21], v[19:20], v[7:8]
	v_fma_f64 v[7:8], s[18:19], v[19:20], -v[9:10]
	s_delay_alu instid0(VALU_DEP_4) | instskip(NEXT) | instid1(VALU_DEP_1)
	v_lshlrev_b64 v[9:10], 4, v[2:3]
	v_add_co_u32 v5, s2, v5, v9
	s_delay_alu instid0(VALU_DEP_1)
	v_add_co_ci_u32_e64 v6, s2, v6, v10, s2
	v_cndmask_b32_e64 v10, 0, v22, s1
	v_cndmask_b32_e64 v9, 0, v21, s1
	global_store_b128 v[5:6], v[7:10], off
.LBB1372_13:
	s_or_b32 exec_lo, exec_lo, s5
	v_add_nc_u32_e32 v3, 16, v4
	s_delay_alu instid0(VALU_DEP_1) | instskip(SKIP_3) | instid1(VALU_DEP_4)
	v_ashrrev_i32_e32 v1, 31, v3
	v_mul_lo_u32 v7, v3, s7
	v_mad_u64_u32 v[5:6], null, v3, s6, 0
	v_cmp_le_i32_e64 s1, v3, v0
	v_mul_lo_u32 v1, v1, s6
	s_delay_alu instid0(VALU_DEP_2) | instskip(NEXT) | instid1(VALU_DEP_1)
	s_and_b32 s1, s1, vcc_lo
	v_add3_u32 v6, v6, v7, v1
	s_delay_alu instid0(VALU_DEP_1) | instskip(NEXT) | instid1(VALU_DEP_1)
	v_lshlrev_b64 v[5:6], 4, v[5:6]
	v_add_co_u32 v5, s2, s3, v5
	s_delay_alu instid0(VALU_DEP_1)
	v_add_co_ci_u32_e64 v6, s2, s4, v6, s2
	s_and_saveexec_b32 s2, s1
	s_cbranch_execz .LBB1372_15
; %bb.14:
	v_mul_f64 v[7:8], s[18:19], v[17:18]
	v_mul_f64 v[9:10], s[20:21], v[17:18]
	v_ashrrev_i32_e32 v1, 31, v0
	v_cmp_ne_u32_e32 vcc_lo, v3, v0
	s_delay_alu instid0(VALU_DEP_4) | instskip(NEXT) | instid1(VALU_DEP_4)
	v_fma_f64 v[17:18], s[20:21], v[15:16], v[7:8]
	v_fma_f64 v[7:8], s[18:19], v[15:16], -v[9:10]
	s_delay_alu instid0(VALU_DEP_4) | instskip(NEXT) | instid1(VALU_DEP_1)
	v_lshlrev_b64 v[9:10], 4, v[0:1]
	v_add_co_u32 v15, s1, v5, v9
	s_delay_alu instid0(VALU_DEP_1)
	v_add_co_ci_u32_e64 v16, s1, v6, v10, s1
	v_dual_cndmask_b32 v10, 0, v18 :: v_dual_cndmask_b32 v9, 0, v17
	global_store_b128 v[15:16], v[7:10], off
.LBB1372_15:
	s_or_b32 exec_lo, exec_lo, s2
	v_cmp_le_i32_e32 vcc_lo, v3, v2
	s_and_b32 s0, vcc_lo, s0
	s_delay_alu instid0(SALU_CYCLE_1)
	s_and_saveexec_b32 s1, s0
	s_cbranch_execz .LBB1372_17
; %bb.16:
	v_mul_f64 v[7:8], s[18:19], v[13:14]
	v_mul_f64 v[9:10], s[20:21], v[13:14]
	v_ashrrev_i32_e32 v3, 31, v2
	v_cmp_ne_u32_e32 vcc_lo, v4, v0
	s_delay_alu instid0(VALU_DEP_2) | instskip(NEXT) | instid1(VALU_DEP_1)
	v_lshlrev_b64 v[1:2], 4, v[2:3]
	v_add_co_u32 v0, s0, v5, v1
	s_delay_alu instid0(VALU_DEP_1) | instskip(SKIP_2) | instid1(VALU_DEP_2)
	v_add_co_ci_u32_e64 v1, s0, v6, v2, s0
	v_fma_f64 v[13:14], s[20:21], v[11:12], v[7:8]
	v_fma_f64 v[7:8], s[18:19], v[11:12], -v[9:10]
	v_dual_cndmask_b32 v10, 0, v14 :: v_dual_cndmask_b32 v9, 0, v13
	global_store_b128 v[0:1], v[7:10], off
.LBB1372_17:
	s_nop 0
	s_sendmsg sendmsg(MSG_DEALLOC_VGPRS)
	s_endpgm
	.section	.rodata,"a",@progbits
	.p2align	6, 0x0
	.amdhsa_kernel _ZL34rocblas_syrkx_herkx_general_kernelIl19rocblas_complex_numIdELi16ELi32ELi8ELb1ELb1ELc67ELc76EKS1_S1_EviT_T0_PT8_S3_lS6_S3_lS4_PT9_S3_li
		.amdhsa_group_segment_fixed_size 8192
		.amdhsa_private_segment_fixed_size 0
		.amdhsa_kernarg_size 124
		.amdhsa_user_sgpr_count 13
		.amdhsa_user_sgpr_dispatch_ptr 0
		.amdhsa_user_sgpr_queue_ptr 0
		.amdhsa_user_sgpr_kernarg_segment_ptr 1
		.amdhsa_user_sgpr_dispatch_id 0
		.amdhsa_user_sgpr_private_segment_size 0
		.amdhsa_wavefront_size32 1
		.amdhsa_uses_dynamic_stack 0
		.amdhsa_enable_private_segment 0
		.amdhsa_system_sgpr_workgroup_id_x 1
		.amdhsa_system_sgpr_workgroup_id_y 1
		.amdhsa_system_sgpr_workgroup_id_z 1
		.amdhsa_system_sgpr_workgroup_info 0
		.amdhsa_system_vgpr_workitem_id 1
		.amdhsa_next_free_vgpr 121
		.amdhsa_next_free_sgpr 32
		.amdhsa_reserve_vcc 1
		.amdhsa_float_round_mode_32 0
		.amdhsa_float_round_mode_16_64 0
		.amdhsa_float_denorm_mode_32 3
		.amdhsa_float_denorm_mode_16_64 3
		.amdhsa_dx10_clamp 1
		.amdhsa_ieee_mode 1
		.amdhsa_fp16_overflow 0
		.amdhsa_workgroup_processor_mode 1
		.amdhsa_memory_ordered 1
		.amdhsa_forward_progress 0
		.amdhsa_shared_vgpr_count 0
		.amdhsa_exception_fp_ieee_invalid_op 0
		.amdhsa_exception_fp_denorm_src 0
		.amdhsa_exception_fp_ieee_div_zero 0
		.amdhsa_exception_fp_ieee_overflow 0
		.amdhsa_exception_fp_ieee_underflow 0
		.amdhsa_exception_fp_ieee_inexact 0
		.amdhsa_exception_int_div_zero 0
	.end_amdhsa_kernel
	.section	.text._ZL34rocblas_syrkx_herkx_general_kernelIl19rocblas_complex_numIdELi16ELi32ELi8ELb1ELb1ELc67ELc76EKS1_S1_EviT_T0_PT8_S3_lS6_S3_lS4_PT9_S3_li,"axG",@progbits,_ZL34rocblas_syrkx_herkx_general_kernelIl19rocblas_complex_numIdELi16ELi32ELi8ELb1ELb1ELc67ELc76EKS1_S1_EviT_T0_PT8_S3_lS6_S3_lS4_PT9_S3_li,comdat
.Lfunc_end1372:
	.size	_ZL34rocblas_syrkx_herkx_general_kernelIl19rocblas_complex_numIdELi16ELi32ELi8ELb1ELb1ELc67ELc76EKS1_S1_EviT_T0_PT8_S3_lS6_S3_lS4_PT9_S3_li, .Lfunc_end1372-_ZL34rocblas_syrkx_herkx_general_kernelIl19rocblas_complex_numIdELi16ELi32ELi8ELb1ELb1ELc67ELc76EKS1_S1_EviT_T0_PT8_S3_lS6_S3_lS4_PT9_S3_li
                                        ; -- End function
	.section	.AMDGPU.csdata,"",@progbits
; Kernel info:
; codeLenInByte = 3460
; NumSgprs: 34
; NumVgprs: 121
; ScratchSize: 0
; MemoryBound: 1
; FloatMode: 240
; IeeeMode: 1
; LDSByteSize: 8192 bytes/workgroup (compile time only)
; SGPRBlocks: 4
; VGPRBlocks: 15
; NumSGPRsForWavesPerEU: 34
; NumVGPRsForWavesPerEU: 121
; Occupancy: 10
; WaveLimiterHint : 0
; COMPUTE_PGM_RSRC2:SCRATCH_EN: 0
; COMPUTE_PGM_RSRC2:USER_SGPR: 13
; COMPUTE_PGM_RSRC2:TRAP_HANDLER: 0
; COMPUTE_PGM_RSRC2:TGID_X_EN: 1
; COMPUTE_PGM_RSRC2:TGID_Y_EN: 1
; COMPUTE_PGM_RSRC2:TGID_Z_EN: 1
; COMPUTE_PGM_RSRC2:TIDIG_COMP_CNT: 1
	.section	.text._ZL34rocblas_syrkx_herkx_general_kernelIl19rocblas_complex_numIdELi16ELi32ELi8ELb1ELb1ELc78ELc76EKS1_S1_EviT_T0_PT8_S3_lS6_S3_lS4_PT9_S3_li,"axG",@progbits,_ZL34rocblas_syrkx_herkx_general_kernelIl19rocblas_complex_numIdELi16ELi32ELi8ELb1ELb1ELc78ELc76EKS1_S1_EviT_T0_PT8_S3_lS6_S3_lS4_PT9_S3_li,comdat
	.globl	_ZL34rocblas_syrkx_herkx_general_kernelIl19rocblas_complex_numIdELi16ELi32ELi8ELb1ELb1ELc78ELc76EKS1_S1_EviT_T0_PT8_S3_lS6_S3_lS4_PT9_S3_li ; -- Begin function _ZL34rocblas_syrkx_herkx_general_kernelIl19rocblas_complex_numIdELi16ELi32ELi8ELb1ELb1ELc78ELc76EKS1_S1_EviT_T0_PT8_S3_lS6_S3_lS4_PT9_S3_li
	.p2align	8
	.type	_ZL34rocblas_syrkx_herkx_general_kernelIl19rocblas_complex_numIdELi16ELi32ELi8ELb1ELb1ELc78ELc76EKS1_S1_EviT_T0_PT8_S3_lS6_S3_lS4_PT9_S3_li,@function
_ZL34rocblas_syrkx_herkx_general_kernelIl19rocblas_complex_numIdELi16ELi32ELi8ELb1ELb1ELc78ELc76EKS1_S1_EviT_T0_PT8_S3_lS6_S3_lS4_PT9_S3_li: ; @_ZL34rocblas_syrkx_herkx_general_kernelIl19rocblas_complex_numIdELi16ELi32ELi8ELb1ELb1ELc78ELc76EKS1_S1_EviT_T0_PT8_S3_lS6_S3_lS4_PT9_S3_li
; %bb.0:
	s_clause 0x1
	s_load_b512 s[16:31], s[0:1], 0x8
	s_load_b32 s10, s[0:1], 0x0
	v_mov_b32_e32 v21, 0
	v_dual_mov_b32 v22, 0 :: v_dual_and_b32 v25, 0x3ff, v0
	v_bfe_u32 v26, v0, 10, 10
	s_delay_alu instid0(VALU_DEP_3) | instskip(NEXT) | instid1(VALU_DEP_3)
	v_mov_b32_e32 v17, v21
	v_dual_mov_b32 v19, v21 :: v_dual_mov_b32 v20, v22
	v_dual_mov_b32 v24, v22 :: v_dual_mov_b32 v23, v21
	;; [unrolled: 1-line block ×6, first 2 shown]
	v_mov_b32_e32 v10, v22
	s_waitcnt lgkmcnt(0)
	v_cmp_lt_i64_e64 s2, s[16:17], 1
	s_lshl_b32 s11, s13, 5
	s_lshl_b32 s12, s14, 5
	s_mov_b64 s[4:5], 0
	s_delay_alu instid0(VALU_DEP_1)
	s_and_b32 vcc_lo, exec_lo, s2
	s_cbranch_vccnz .LBB1373_9
; %bb.1:
	v_lshl_add_u32 v3, v26, 4, v25
	v_dual_mov_b32 v0, 0 :: v_dual_and_b32 v27, 7, v25
	s_load_b64 s[6:7], s[0:1], 0x48
	s_mul_i32 s3, s27, s15
	s_delay_alu instid0(VALU_DEP_2) | instskip(SKIP_3) | instid1(VALU_DEP_4)
	v_lshrrev_b32_e32 v28, 5, v3
	v_lshrrev_b32_e32 v7, 3, v3
	v_and_b32_e32 v8, 31, v3
	v_mad_u64_u32 v[3:4], null, s30, v27, 0
	v_mad_u64_u32 v[1:2], null, s24, v28, 0
	v_lshlrev_b32_e32 v9, 4, v27
	s_mul_hi_u32 s8, s26, s15
	s_mul_i32 s2, s26, s15
	s_add_i32 s3, s8, s3
	v_lshl_add_u32 v30, v26, 7, 0x1000
	s_lshl_b64 s[8:9], s[2:3], 4
	s_delay_alu instid0(VALU_DEP_3)
	v_mad_u64_u32 v[5:6], null, s25, v28, v[2:3]
	v_or_b32_e32 v2, s11, v8
	v_lshlrev_b32_e32 v29, 4, v25
	v_add_nc_u32_e32 v6, s12, v7
	v_lshl_or_b32 v7, v7, 7, v9
	s_waitcnt lgkmcnt(0)
	s_mul_i32 s7, s7, s15
	v_cmp_gt_i32_e32 vcc_lo, s10, v2
	v_mov_b32_e32 v2, v5
	v_mad_u64_u32 v[9:10], null, s31, v27, v[4:5]
	v_lshlrev_b32_e32 v11, 4, v8
	v_add_nc_u32_e32 v8, s11, v8
	s_delay_alu instid0(VALU_DEP_4)
	v_lshlrev_b64 v[1:2], 4, v[1:2]
	v_add_nc_u32_e32 v32, 0x1000, v7
	v_ashrrev_i32_e32 v7, 31, v6
	s_mul_hi_u32 s13, s6, s15
	v_mov_b32_e32 v4, v9
	s_add_i32 s7, s13, s7
	v_add_co_u32 v5, s3, v1, s8
	s_delay_alu instid0(VALU_DEP_1) | instskip(NEXT) | instid1(VALU_DEP_3)
	v_add_co_ci_u32_e64 v10, s3, s9, v2, s3
	v_lshlrev_b64 v[1:2], 4, v[3:4]
	s_mul_i32 s6, s6, s15
	v_ashrrev_i32_e32 v9, 31, v8
	s_lshl_b64 s[6:7], s[6:7], 4
	v_lshlrev_b64 v[3:4], 4, v[6:7]
	v_cmp_gt_i32_e64 s2, s10, v6
	v_add_co_u32 v6, s3, s6, v1
	s_delay_alu instid0(VALU_DEP_1) | instskip(SKIP_1) | instid1(VALU_DEP_3)
	v_add_co_ci_u32_e64 v7, s3, s7, v2, s3
	v_lshlrev_b64 v[1:2], 4, v[8:9]
	v_add_co_u32 v3, s3, v6, v3
	s_delay_alu instid0(VALU_DEP_1) | instskip(SKIP_1) | instid1(VALU_DEP_4)
	v_add_co_ci_u32_e64 v4, s3, v7, v4, s3
	v_lshl_or_b32 v31, v28, 9, v11
	v_add_co_u32 v1, s3, v5, v1
	s_delay_alu instid0(VALU_DEP_1)
	v_add_co_ci_u32_e64 v2, s3, v10, v2, s3
	v_add_co_u32 v3, s3, v3, s28
	v_mov_b32_e32 v9, 0
	v_add_co_ci_u32_e64 v4, s3, s29, v4, s3
	v_mov_b32_e32 v10, 0
	v_add_co_u32 v5, s3, s22, v1
	s_delay_alu instid0(VALU_DEP_1) | instskip(SKIP_1) | instid1(VALU_DEP_4)
	v_add_co_ci_u32_e64 v6, s3, s23, v2, s3
	v_add_co_u32 v7, s3, v3, 8
	v_mov_b32_e32 v12, v10
	v_mov_b32_e32 v16, v10
	;; [unrolled: 1-line block ×6, first 2 shown]
	v_dual_mov_b32 v22, v10 :: v_dual_mov_b32 v21, v9
	v_add_co_ci_u32_e64 v8, s3, 0, v4, s3
	v_mov_b32_e32 v11, v9
	v_mov_b32_e32 v15, v9
	;; [unrolled: 1-line block ×6, first 2 shown]
	s_lshl_b64 s[6:7], s[24:25], 7
	s_lshl_b64 s[8:9], s[30:31], 7
	s_xor_b32 s3, vcc_lo, -1
	s_branch .LBB1373_3
.LBB1373_2:                             ;   in Loop: Header=BB1373_3 Depth=1
	s_or_b32 exec_lo, exec_lo, s13
	ds_store_b128 v32, v[1:4]
	s_waitcnt lgkmcnt(0)
	s_barrier
	buffer_gl0_inv
	ds_load_b128 v[1:4], v30
	ds_load_b128 v[33:36], v29
	ds_load_b128 v[37:40], v29 offset:256
	ds_load_b128 v[41:44], v30 offset:2048
	ds_load_b128 v[45:48], v30 offset:16
	ds_load_b128 v[49:52], v30 offset:2064
	ds_load_b128 v[53:56], v29 offset:512
	ds_load_b128 v[57:60], v29 offset:768
	ds_load_b128 v[61:64], v29 offset:1024
	ds_load_b128 v[65:68], v29 offset:1280
	ds_load_b128 v[69:72], v30 offset:2080
	s_add_u32 s4, s4, 8
	s_addc_u32 s5, s5, 0
	v_add_co_u32 v5, vcc_lo, v5, s6
	v_cmp_ge_i64_e64 s13, s[4:5], s[16:17]
	v_add_co_ci_u32_e32 v6, vcc_lo, s7, v6, vcc_lo
	v_add_co_u32 v7, vcc_lo, v7, s8
	v_add_co_ci_u32_e32 v8, vcc_lo, s9, v8, vcc_lo
	s_delay_alu instid0(VALU_DEP_4)
	s_and_b32 vcc_lo, exec_lo, s13
	s_waitcnt lgkmcnt(9)
	v_mul_f64 v[73:74], v[3:4], v[35:36]
	v_mul_f64 v[75:76], v[1:2], v[35:36]
	s_waitcnt lgkmcnt(8)
	v_mul_f64 v[77:78], v[3:4], v[39:40]
	v_mul_f64 v[79:80], v[1:2], v[39:40]
	;; [unrolled: 3-line block ×3, first 2 shown]
	v_mul_f64 v[83:84], v[43:44], v[39:40]
	v_mul_f64 v[39:40], v[41:42], v[39:40]
	s_waitcnt lgkmcnt(4)
	v_mul_f64 v[85:86], v[47:48], v[55:56]
	v_mul_f64 v[87:88], v[45:46], v[55:56]
	s_waitcnt lgkmcnt(3)
	v_mul_f64 v[89:90], v[47:48], v[59:60]
	v_mul_f64 v[91:92], v[45:46], v[59:60]
	;; [unrolled: 1-line block ×6, first 2 shown]
	v_fma_f64 v[97:98], v[1:2], v[33:34], -v[73:74]
	v_fma_f64 v[99:100], v[3:4], v[33:34], v[75:76]
	ds_load_b128 v[73:76], v30 offset:32
	v_fma_f64 v[77:78], v[1:2], v[37:38], -v[77:78]
	v_fma_f64 v[79:80], v[3:4], v[37:38], v[79:80]
	v_fma_f64 v[81:82], v[41:42], v[33:34], -v[81:82]
	v_fma_f64 v[101:102], v[43:44], v[33:34], v[35:36]
	;; [unrolled: 2-line block ×3, first 2 shown]
	s_waitcnt lgkmcnt(1)
	v_mul_f64 v[113:114], v[71:72], v[63:64]
	v_fma_f64 v[85:86], v[45:46], v[53:54], -v[85:86]
	v_fma_f64 v[87:88], v[47:48], v[53:54], v[87:88]
	v_fma_f64 v[45:46], v[45:46], v[57:58], -v[89:90]
	v_fma_f64 v[47:48], v[47:48], v[57:58], v[91:92]
	v_mul_f64 v[89:90], v[71:72], v[67:68]
	v_fma_f64 v[91:92], v[49:50], v[53:54], -v[93:94]
	v_fma_f64 v[53:54], v[51:52], v[53:54], v[55:56]
	v_fma_f64 v[49:50], v[49:50], v[57:58], -v[95:96]
	v_fma_f64 v[51:52], v[51:52], v[57:58], v[59:60]
	ds_load_b128 v[1:4], v30 offset:48
	ds_load_b128 v[33:36], v30 offset:2096
	;; [unrolled: 1-line block ×4, first 2 shown]
	s_waitcnt lgkmcnt(4)
	v_mul_f64 v[105:106], v[75:76], v[63:64]
	v_mul_f64 v[107:108], v[73:74], v[63:64]
	;; [unrolled: 1-line block ×6, first 2 shown]
	s_waitcnt lgkmcnt(1)
	v_mul_f64 v[93:94], v[1:2], v[39:40]
	v_add_f64 v[21:22], v[21:22], v[97:98]
	v_add_f64 v[23:24], v[23:24], v[99:100]
	;; [unrolled: 1-line block ×8, first 2 shown]
	v_mul_f64 v[83:84], v[3:4], v[39:40]
	s_waitcnt lgkmcnt(0)
	v_mul_f64 v[95:96], v[3:4], v[43:44]
	v_mul_f64 v[97:98], v[1:2], v[43:44]
	;; [unrolled: 1-line block ×6, first 2 shown]
	ds_load_b128 v[9:12], v29 offset:2048
	ds_load_b128 v[13:16], v29 offset:2304
	;; [unrolled: 1-line block ×3, first 2 shown]
	v_fma_f64 v[105:106], v[73:74], v[61:62], -v[105:106]
	v_fma_f64 v[107:108], v[75:76], v[61:62], v[107:108]
	v_fma_f64 v[73:74], v[73:74], v[65:66], -v[109:110]
	v_fma_f64 v[75:76], v[75:76], v[65:66], v[111:112]
	;; [unrolled: 2-line block ×4, first 2 shown]
	s_waitcnt lgkmcnt(0)
	v_mul_f64 v[113:114], v[19:20], v[11:12]
	v_mul_f64 v[115:116], v[19:20], v[15:16]
	v_fma_f64 v[93:94], v[3:4], v[37:38], v[93:94]
	v_add_f64 v[67:68], v[21:22], v[85:86]
	v_add_f64 v[69:70], v[23:24], v[87:88]
	;; [unrolled: 1-line block ×8, first 2 shown]
	ds_load_b128 v[21:24], v30 offset:64
	v_fma_f64 v[83:84], v[1:2], v[37:38], -v[83:84]
	v_fma_f64 v[95:96], v[1:2], v[41:42], -v[95:96]
	v_fma_f64 v[97:98], v[3:4], v[41:42], v[97:98]
	v_fma_f64 v[99:100], v[33:34], v[37:38], -v[99:100]
	v_fma_f64 v[117:118], v[35:36], v[37:38], v[39:40]
	;; [unrolled: 2-line block ×3, first 2 shown]
	ds_load_b128 v[43:46], v30 offset:80
	ds_load_b128 v[47:50], v30 offset:2128
	;; [unrolled: 1-line block ×7, first 2 shown]
	s_waitcnt lgkmcnt(7)
	v_mul_f64 v[87:88], v[23:24], v[11:12]
	v_mul_f64 v[89:90], v[21:22], v[11:12]
	v_mul_f64 v[91:92], v[23:24], v[15:16]
	v_mul_f64 v[111:112], v[21:22], v[15:16]
	v_mul_f64 v[11:12], v[17:18], v[11:12]
	v_mul_f64 v[15:16], v[17:18], v[15:16]
	s_waitcnt lgkmcnt(3)
	v_mul_f64 v[103:104], v[49:50], v[57:58]
	v_add_f64 v[67:68], v[67:68], v[105:106]
	v_add_f64 v[69:70], v[69:70], v[107:108]
	;; [unrolled: 1-line block ×8, first 2 shown]
	v_mul_f64 v[75:76], v[45:46], v[53:54]
	v_mul_f64 v[77:78], v[43:44], v[53:54]
	;; [unrolled: 1-line block ×7, first 2 shown]
	v_fma_f64 v[109:110], v[17:18], v[9:10], -v[113:114]
	v_fma_f64 v[113:114], v[17:18], v[13:14], -v[115:116]
	;; [unrolled: 1-line block ×3, first 2 shown]
	v_fma_f64 v[89:90], v[23:24], v[9:10], v[89:90]
	v_fma_f64 v[91:92], v[21:22], v[13:14], -v[91:92]
	v_fma_f64 v[107:108], v[23:24], v[13:14], v[111:112]
	v_fma_f64 v[111:112], v[19:20], v[9:10], v[11:12]
	;; [unrolled: 1-line block ×3, first 2 shown]
	ds_load_b128 v[9:12], v30 offset:96
	v_add_f64 v[67:68], v[67:68], v[83:84]
	v_add_f64 v[69:70], v[69:70], v[93:94]
	;; [unrolled: 1-line block ×8, first 2 shown]
	s_waitcnt lgkmcnt(1)
	v_mul_f64 v[99:100], v[39:40], v[3:4]
	v_fma_f64 v[75:76], v[43:44], v[51:52], -v[75:76]
	v_fma_f64 v[77:78], v[45:46], v[51:52], v[77:78]
	v_fma_f64 v[43:44], v[43:44], v[55:56], -v[79:80]
	v_fma_f64 v[45:46], v[45:46], v[55:56], v[81:82]
	v_mul_f64 v[79:80], v[39:40], v[35:36]
	v_fma_f64 v[81:82], v[47:48], v[51:52], -v[85:86]
	v_fma_f64 v[51:52], v[49:50], v[51:52], v[53:54]
	s_waitcnt lgkmcnt(0)
	v_mul_f64 v[65:66], v[11:12], v[3:4]
	v_mul_f64 v[93:94], v[9:10], v[3:4]
	;; [unrolled: 1-line block ×6, first 2 shown]
	v_fma_f64 v[47:48], v[47:48], v[55:56], -v[103:104]
	v_fma_f64 v[49:50], v[49:50], v[55:56], v[105:106]
	ds_load_b128 v[13:16], v30 offset:112
	ds_load_b128 v[17:20], v30 offset:2160
	;; [unrolled: 1-line block ×4, first 2 shown]
	s_waitcnt lgkmcnt(0)
	s_barrier
	buffer_gl0_inv
	v_add_f64 v[53:54], v[67:68], v[87:88]
	v_add_f64 v[55:56], v[69:70], v[89:90]
	;; [unrolled: 1-line block ×8, first 2 shown]
	v_mul_f64 v[73:74], v[15:16], v[23:24]
	v_mul_f64 v[83:84], v[13:14], v[23:24]
	;; [unrolled: 1-line block ×8, first 2 shown]
	v_fma_f64 v[65:66], v[9:10], v[1:2], -v[65:66]
	v_fma_f64 v[93:94], v[11:12], v[1:2], v[93:94]
	v_fma_f64 v[9:10], v[9:10], v[33:34], -v[95:96]
	v_fma_f64 v[11:12], v[11:12], v[33:34], v[97:98]
	;; [unrolled: 2-line block ×4, first 2 shown]
	v_add_f64 v[35:36], v[53:54], v[75:76]
	v_add_f64 v[37:38], v[55:56], v[77:78]
	;; [unrolled: 1-line block ×8, first 2 shown]
	v_fma_f64 v[49:50], v[13:14], v[21:22], -v[73:74]
	v_fma_f64 v[53:54], v[15:16], v[21:22], v[83:84]
	v_fma_f64 v[13:14], v[13:14], v[57:58], -v[85:86]
	v_fma_f64 v[15:16], v[15:16], v[57:58], v[87:88]
	;; [unrolled: 2-line block ×4, first 2 shown]
	v_add_f64 v[17:18], v[35:36], v[65:66]
	v_add_f64 v[19:20], v[37:38], v[93:94]
	;; [unrolled: 1-line block ×16, first 2 shown]
	s_cbranch_vccnz .LBB1373_9
.LBB1373_3:                             ; =>This Inner Loop Header: Depth=1
	v_add_co_u32 v1, s13, v28, s4
	s_delay_alu instid0(VALU_DEP_1) | instskip(NEXT) | instid1(VALU_DEP_1)
	v_add_co_ci_u32_e64 v2, null, 0, s5, s13
	v_cmp_le_i64_e32 vcc_lo, s[16:17], v[1:2]
	s_or_b32 s13, s3, vcc_lo
	s_delay_alu instid0(SALU_CYCLE_1) | instskip(NEXT) | instid1(SALU_CYCLE_1)
	s_and_saveexec_b32 s14, s13
	s_xor_b32 s13, exec_lo, s14
	s_cbranch_execz .LBB1373_5
; %bb.4:                                ;   in Loop: Header=BB1373_3 Depth=1
	v_mov_b32_e32 v1, v0
	v_mov_b32_e32 v2, v0
	;; [unrolled: 1-line block ×3, first 2 shown]
	ds_store_b128 v31, v[0:3]
.LBB1373_5:                             ;   in Loop: Header=BB1373_3 Depth=1
	s_and_not1_saveexec_b32 s13, s13
	s_cbranch_execz .LBB1373_7
; %bb.6:                                ;   in Loop: Header=BB1373_3 Depth=1
	global_load_b128 v[1:4], v[5:6], off
	s_waitcnt vmcnt(0)
	ds_store_2addr_b64 v31, v[1:2], v[3:4] offset1:1
.LBB1373_7:                             ;   in Loop: Header=BB1373_3 Depth=1
	s_or_b32 exec_lo, exec_lo, s13
	v_add_co_u32 v3, s13, v27, s4
	s_delay_alu instid0(VALU_DEP_1) | instskip(SKIP_2) | instid1(VALU_DEP_3)
	v_add_co_ci_u32_e64 v4, null, 0, s5, s13
	v_mov_b32_e32 v1, 0
	v_mov_b32_e32 v2, 0
	v_cmp_gt_i64_e32 vcc_lo, s[16:17], v[3:4]
	s_delay_alu instid0(VALU_DEP_2) | instskip(SKIP_1) | instid1(SALU_CYCLE_1)
	v_dual_mov_b32 v4, v2 :: v_dual_mov_b32 v3, v1
	s_and_b32 s14, vcc_lo, s2
	s_and_saveexec_b32 s13, s14
	s_cbranch_execz .LBB1373_2
; %bb.8:                                ;   in Loop: Header=BB1373_3 Depth=1
	global_load_b128 v[1:4], v[7:8], off offset:-8
	s_waitcnt vmcnt(0)
	v_xor_b32_e32 v4, 0x80000000, v4
	s_branch .LBB1373_2
.LBB1373_9:
	s_clause 0x1
	s_load_b128 s[4:7], s[0:1], 0x60
	s_load_b64 s[2:3], s[0:1], 0x70
	v_add_nc_u32_e32 v4, s12, v26
	s_delay_alu instid0(VALU_DEP_1) | instskip(SKIP_1) | instid1(VALU_DEP_1)
	v_ashrrev_i32_e32 v0, 31, v4
	s_waitcnt lgkmcnt(0)
	v_mul_lo_u32 v3, v0, s6
	v_mul_lo_u32 v5, v4, s7
	v_mad_u64_u32 v[1:2], null, v4, s6, 0
	s_mul_i32 s1, s15, s3
	s_mul_hi_u32 s3, s15, s2
	s_mul_i32 s2, s15, s2
	s_add_i32 s3, s3, s1
	v_add_nc_u32_e32 v0, s11, v25
	s_lshl_b64 s[8:9], s[2:3], 4
	s_delay_alu instid0(VALU_DEP_2)
	v_add3_u32 v2, v2, v5, v3
	s_add_u32 s3, s4, s8
	s_addc_u32 s4, s5, s9
	v_cmp_le_i32_e64 s0, v4, v0
	v_cmp_gt_i32_e32 vcc_lo, s10, v0
	v_lshlrev_b64 v[1:2], 4, v[1:2]
	s_delay_alu instid0(VALU_DEP_3) | instskip(NEXT) | instid1(VALU_DEP_1)
	s_and_b32 s0, s0, vcc_lo
	v_add_co_u32 v5, s1, s3, v1
	s_delay_alu instid0(VALU_DEP_1)
	v_add_co_ci_u32_e64 v6, s1, s4, v2, s1
	s_and_saveexec_b32 s2, s0
	s_cbranch_execz .LBB1373_11
; %bb.10:
	v_mul_f64 v[1:2], s[18:19], v[23:24]
	v_mul_f64 v[7:8], s[20:21], v[23:24]
	v_cmp_ne_u32_e64 s0, v4, v0
	s_delay_alu instid0(VALU_DEP_3) | instskip(NEXT) | instid1(VALU_DEP_3)
	v_fma_f64 v[2:3], s[20:21], v[21:22], v[1:2]
	v_fma_f64 v[21:22], s[18:19], v[21:22], -v[7:8]
	v_ashrrev_i32_e32 v1, 31, v0
	s_delay_alu instid0(VALU_DEP_1) | instskip(NEXT) | instid1(VALU_DEP_1)
	v_lshlrev_b64 v[7:8], 4, v[0:1]
	v_add_co_u32 v7, s1, v5, v7
	s_delay_alu instid0(VALU_DEP_1)
	v_add_co_ci_u32_e64 v8, s1, v6, v8, s1
	v_cndmask_b32_e64 v24, 0, v3, s0
	v_cndmask_b32_e64 v23, 0, v2, s0
	global_store_b128 v[7:8], v[21:24], off
.LBB1373_11:
	s_or_b32 exec_lo, exec_lo, s2
	v_add_nc_u32_e32 v2, 16, v0
	s_delay_alu instid0(VALU_DEP_1) | instskip(SKIP_1) | instid1(VALU_DEP_1)
	v_cmp_le_i32_e64 s1, v4, v2
	v_cmp_gt_i32_e64 s0, s10, v2
	s_and_b32 s1, s1, s0
	s_delay_alu instid0(SALU_CYCLE_1)
	s_and_saveexec_b32 s5, s1
	s_cbranch_execz .LBB1373_13
; %bb.12:
	v_mul_f64 v[7:8], s[18:19], v[19:20]
	v_mul_f64 v[19:20], s[20:21], v[19:20]
	v_ashrrev_i32_e32 v3, 31, v2
	v_cmp_ne_u32_e64 s1, v4, v2
	s_delay_alu instid0(VALU_DEP_4) | instskip(NEXT) | instid1(VALU_DEP_4)
	v_fma_f64 v[7:8], s[20:21], v[17:18], v[7:8]
	v_fma_f64 v[17:18], s[18:19], v[17:18], -v[19:20]
	s_delay_alu instid0(VALU_DEP_4) | instskip(NEXT) | instid1(VALU_DEP_1)
	v_lshlrev_b64 v[19:20], 4, v[2:3]
	v_add_co_u32 v5, s2, v5, v19
	s_delay_alu instid0(VALU_DEP_1)
	v_add_co_ci_u32_e64 v6, s2, v6, v20, s2
	v_cndmask_b32_e64 v20, 0, v8, s1
	v_cndmask_b32_e64 v19, 0, v7, s1
	global_store_b128 v[5:6], v[17:20], off
.LBB1373_13:
	s_or_b32 exec_lo, exec_lo, s5
	v_add_nc_u32_e32 v3, 16, v4
	s_delay_alu instid0(VALU_DEP_1) | instskip(SKIP_3) | instid1(VALU_DEP_4)
	v_ashrrev_i32_e32 v1, 31, v3
	v_mul_lo_u32 v7, v3, s7
	v_mad_u64_u32 v[5:6], null, v3, s6, 0
	v_cmp_le_i32_e64 s1, v3, v0
	v_mul_lo_u32 v1, v1, s6
	s_delay_alu instid0(VALU_DEP_2) | instskip(NEXT) | instid1(VALU_DEP_1)
	s_and_b32 s1, s1, vcc_lo
	v_add3_u32 v6, v6, v7, v1
	s_delay_alu instid0(VALU_DEP_1) | instskip(NEXT) | instid1(VALU_DEP_1)
	v_lshlrev_b64 v[5:6], 4, v[5:6]
	v_add_co_u32 v5, s2, s3, v5
	s_delay_alu instid0(VALU_DEP_1)
	v_add_co_ci_u32_e64 v6, s2, s4, v6, s2
	s_and_saveexec_b32 s2, s1
	s_cbranch_execz .LBB1373_15
; %bb.14:
	v_mul_f64 v[7:8], s[18:19], v[15:16]
	v_mul_f64 v[15:16], s[20:21], v[15:16]
	v_ashrrev_i32_e32 v1, 31, v0
	v_cmp_ne_u32_e32 vcc_lo, v3, v0
	s_delay_alu instid0(VALU_DEP_4) | instskip(NEXT) | instid1(VALU_DEP_4)
	v_fma_f64 v[7:8], s[20:21], v[13:14], v[7:8]
	v_fma_f64 v[13:14], s[18:19], v[13:14], -v[15:16]
	s_delay_alu instid0(VALU_DEP_4) | instskip(NEXT) | instid1(VALU_DEP_1)
	v_lshlrev_b64 v[15:16], 4, v[0:1]
	v_add_co_u32 v17, s1, v5, v15
	s_delay_alu instid0(VALU_DEP_1)
	v_add_co_ci_u32_e64 v18, s1, v6, v16, s1
	v_dual_cndmask_b32 v16, 0, v8 :: v_dual_cndmask_b32 v15, 0, v7
	global_store_b128 v[17:18], v[13:16], off
.LBB1373_15:
	s_or_b32 exec_lo, exec_lo, s2
	v_cmp_le_i32_e32 vcc_lo, v3, v2
	s_and_b32 s0, vcc_lo, s0
	s_delay_alu instid0(SALU_CYCLE_1)
	s_and_saveexec_b32 s1, s0
	s_cbranch_execz .LBB1373_17
; %bb.16:
	v_mul_f64 v[7:8], s[18:19], v[9:10]
	v_mul_f64 v[9:10], s[20:21], v[9:10]
	v_ashrrev_i32_e32 v3, 31, v2
	v_cmp_ne_u32_e32 vcc_lo, v4, v0
	s_delay_alu instid0(VALU_DEP_2) | instskip(NEXT) | instid1(VALU_DEP_1)
	v_lshlrev_b64 v[1:2], 4, v[2:3]
	v_add_co_u32 v0, s0, v5, v1
	s_delay_alu instid0(VALU_DEP_1) | instskip(SKIP_2) | instid1(VALU_DEP_2)
	v_add_co_ci_u32_e64 v1, s0, v6, v2, s0
	v_fma_f64 v[13:14], s[20:21], v[11:12], v[7:8]
	v_fma_f64 v[7:8], s[18:19], v[11:12], -v[9:10]
	v_dual_cndmask_b32 v10, 0, v14 :: v_dual_cndmask_b32 v9, 0, v13
	global_store_b128 v[0:1], v[7:10], off
.LBB1373_17:
	s_nop 0
	s_sendmsg sendmsg(MSG_DEALLOC_VGPRS)
	s_endpgm
	.section	.rodata,"a",@progbits
	.p2align	6, 0x0
	.amdhsa_kernel _ZL34rocblas_syrkx_herkx_general_kernelIl19rocblas_complex_numIdELi16ELi32ELi8ELb1ELb1ELc78ELc76EKS1_S1_EviT_T0_PT8_S3_lS6_S3_lS4_PT9_S3_li
		.amdhsa_group_segment_fixed_size 8192
		.amdhsa_private_segment_fixed_size 0
		.amdhsa_kernarg_size 124
		.amdhsa_user_sgpr_count 13
		.amdhsa_user_sgpr_dispatch_ptr 0
		.amdhsa_user_sgpr_queue_ptr 0
		.amdhsa_user_sgpr_kernarg_segment_ptr 1
		.amdhsa_user_sgpr_dispatch_id 0
		.amdhsa_user_sgpr_private_segment_size 0
		.amdhsa_wavefront_size32 1
		.amdhsa_uses_dynamic_stack 0
		.amdhsa_enable_private_segment 0
		.amdhsa_system_sgpr_workgroup_id_x 1
		.amdhsa_system_sgpr_workgroup_id_y 1
		.amdhsa_system_sgpr_workgroup_id_z 1
		.amdhsa_system_sgpr_workgroup_info 0
		.amdhsa_system_vgpr_workitem_id 1
		.amdhsa_next_free_vgpr 119
		.amdhsa_next_free_sgpr 32
		.amdhsa_reserve_vcc 1
		.amdhsa_float_round_mode_32 0
		.amdhsa_float_round_mode_16_64 0
		.amdhsa_float_denorm_mode_32 3
		.amdhsa_float_denorm_mode_16_64 3
		.amdhsa_dx10_clamp 1
		.amdhsa_ieee_mode 1
		.amdhsa_fp16_overflow 0
		.amdhsa_workgroup_processor_mode 1
		.amdhsa_memory_ordered 1
		.amdhsa_forward_progress 0
		.amdhsa_shared_vgpr_count 0
		.amdhsa_exception_fp_ieee_invalid_op 0
		.amdhsa_exception_fp_denorm_src 0
		.amdhsa_exception_fp_ieee_div_zero 0
		.amdhsa_exception_fp_ieee_overflow 0
		.amdhsa_exception_fp_ieee_underflow 0
		.amdhsa_exception_fp_ieee_inexact 0
		.amdhsa_exception_int_div_zero 0
	.end_amdhsa_kernel
	.section	.text._ZL34rocblas_syrkx_herkx_general_kernelIl19rocblas_complex_numIdELi16ELi32ELi8ELb1ELb1ELc78ELc76EKS1_S1_EviT_T0_PT8_S3_lS6_S3_lS4_PT9_S3_li,"axG",@progbits,_ZL34rocblas_syrkx_herkx_general_kernelIl19rocblas_complex_numIdELi16ELi32ELi8ELb1ELb1ELc78ELc76EKS1_S1_EviT_T0_PT8_S3_lS6_S3_lS4_PT9_S3_li,comdat
.Lfunc_end1373:
	.size	_ZL34rocblas_syrkx_herkx_general_kernelIl19rocblas_complex_numIdELi16ELi32ELi8ELb1ELb1ELc78ELc76EKS1_S1_EviT_T0_PT8_S3_lS6_S3_lS4_PT9_S3_li, .Lfunc_end1373-_ZL34rocblas_syrkx_herkx_general_kernelIl19rocblas_complex_numIdELi16ELi32ELi8ELb1ELb1ELc78ELc76EKS1_S1_EviT_T0_PT8_S3_lS6_S3_lS4_PT9_S3_li
                                        ; -- End function
	.section	.AMDGPU.csdata,"",@progbits
; Kernel info:
; codeLenInByte = 3448
; NumSgprs: 34
; NumVgprs: 119
; ScratchSize: 0
; MemoryBound: 1
; FloatMode: 240
; IeeeMode: 1
; LDSByteSize: 8192 bytes/workgroup (compile time only)
; SGPRBlocks: 4
; VGPRBlocks: 14
; NumSGPRsForWavesPerEU: 34
; NumVGPRsForWavesPerEU: 119
; Occupancy: 12
; WaveLimiterHint : 0
; COMPUTE_PGM_RSRC2:SCRATCH_EN: 0
; COMPUTE_PGM_RSRC2:USER_SGPR: 13
; COMPUTE_PGM_RSRC2:TRAP_HANDLER: 0
; COMPUTE_PGM_RSRC2:TGID_X_EN: 1
; COMPUTE_PGM_RSRC2:TGID_Y_EN: 1
; COMPUTE_PGM_RSRC2:TGID_Z_EN: 1
; COMPUTE_PGM_RSRC2:TIDIG_COMP_CNT: 1
	.section	.text._ZL34rocblas_syrkx_herkx_general_kernelIl19rocblas_complex_numIdELi16ELi32ELi8ELb1ELb1ELc84ELc85EKS1_S1_EviT_T0_PT8_S3_lS6_S3_lS4_PT9_S3_li,"axG",@progbits,_ZL34rocblas_syrkx_herkx_general_kernelIl19rocblas_complex_numIdELi16ELi32ELi8ELb1ELb1ELc84ELc85EKS1_S1_EviT_T0_PT8_S3_lS6_S3_lS4_PT9_S3_li,comdat
	.globl	_ZL34rocblas_syrkx_herkx_general_kernelIl19rocblas_complex_numIdELi16ELi32ELi8ELb1ELb1ELc84ELc85EKS1_S1_EviT_T0_PT8_S3_lS6_S3_lS4_PT9_S3_li ; -- Begin function _ZL34rocblas_syrkx_herkx_general_kernelIl19rocblas_complex_numIdELi16ELi32ELi8ELb1ELb1ELc84ELc85EKS1_S1_EviT_T0_PT8_S3_lS6_S3_lS4_PT9_S3_li
	.p2align	8
	.type	_ZL34rocblas_syrkx_herkx_general_kernelIl19rocblas_complex_numIdELi16ELi32ELi8ELb1ELb1ELc84ELc85EKS1_S1_EviT_T0_PT8_S3_lS6_S3_lS4_PT9_S3_li,@function
_ZL34rocblas_syrkx_herkx_general_kernelIl19rocblas_complex_numIdELi16ELi32ELi8ELb1ELb1ELc84ELc85EKS1_S1_EviT_T0_PT8_S3_lS6_S3_lS4_PT9_S3_li: ; @_ZL34rocblas_syrkx_herkx_general_kernelIl19rocblas_complex_numIdELi16ELi32ELi8ELb1ELb1ELc84ELc85EKS1_S1_EviT_T0_PT8_S3_lS6_S3_lS4_PT9_S3_li
; %bb.0:
	s_clause 0x1
	s_load_b512 s[16:31], s[0:1], 0x8
	s_load_b32 s8, s[0:1], 0x0
	v_mov_b32_e32 v20, 0
	v_dual_mov_b32 v21, 0 :: v_dual_and_b32 v24, 0x3ff, v0
	v_bfe_u32 v25, v0, 10, 10
	s_delay_alu instid0(VALU_DEP_3) | instskip(NEXT) | instid1(VALU_DEP_3)
	v_mov_b32_e32 v8, v20
	v_dual_mov_b32 v10, v20 :: v_dual_mov_b32 v11, v21
	v_dual_mov_b32 v23, v21 :: v_dual_mov_b32 v22, v20
	;; [unrolled: 1-line block ×6, first 2 shown]
	v_mov_b32_e32 v13, v21
	s_waitcnt lgkmcnt(0)
	v_cmp_lt_i64_e64 s2, s[16:17], 1
	s_lshl_b32 s9, s13, 5
	s_lshl_b32 s10, s14, 5
	s_mov_b64 s[4:5], 0
	s_delay_alu instid0(VALU_DEP_1)
	s_and_b32 vcc_lo, exec_lo, s2
	s_cbranch_vccnz .LBB1374_11
; %bb.1:
	v_lshl_add_u32 v1, v25, 4, v24
	v_mov_b32_e32 v0, 0
	s_load_b64 s[6:7], s[0:1], 0x48
	v_and_b32_e32 v26, 7, v24
	v_lshlrev_b32_e32 v27, 4, v24
	v_and_b32_e32 v3, 31, v1
	v_lshrrev_b32_e32 v5, 3, v1
	v_lshrrev_b32_e32 v29, 5, v1
	s_mul_i32 s3, s27, s15
	s_mul_hi_u32 s11, s26, s15
	v_add_nc_u32_e32 v4, s9, v3
	v_add_nc_u32_e32 v7, s10, v5
	v_or_b32_e32 v10, s9, v3
	v_lshlrev_b32_e32 v11, 4, v3
	s_mul_i32 s2, s26, s15
	v_ashrrev_i32_e32 v6, 31, v4
	v_mul_lo_u32 v8, s25, v4
	v_mad_u64_u32 v[1:2], null, s24, v4, 0
	v_ashrrev_i32_e32 v12, 31, v7
	s_delay_alu instid0(VALU_DEP_4)
	v_mul_lo_u32 v6, s24, v6
	v_mul_lo_u32 v13, s31, v7
	v_mad_u64_u32 v[3:4], null, s30, v7, 0
	s_add_i32 s3, s11, s3
	v_cmp_gt_i32_e32 vcc_lo, s8, v10
	s_lshl_b64 s[12:13], s[2:3], 4
	v_lshl_add_u32 v28, v25, 7, 0x1000
	v_add3_u32 v2, v2, v6, v8
	v_mul_lo_u32 v6, s30, v12
	s_delay_alu instid0(VALU_DEP_2) | instskip(NEXT) | instid1(VALU_DEP_2)
	v_lshlrev_b64 v[1:2], 4, v[1:2]
	v_add3_u32 v4, v4, v6, v13
	v_mov_b32_e32 v12, 0
	v_mov_b32_e32 v13, 0
	v_lshlrev_b32_e32 v9, 4, v26
	s_delay_alu instid0(VALU_DEP_2) | instskip(NEXT) | instid1(VALU_DEP_2)
	v_dual_mov_b32 v19, v13 :: v_dual_mov_b32 v18, v12
	v_lshl_or_b32 v5, v5, 7, v9
	v_dual_mov_b32 v15, v13 :: v_dual_mov_b32 v14, v12
	v_cmp_gt_i32_e64 s2, s8, v7
	v_mov_b32_e32 v17, v13
	s_delay_alu instid0(VALU_DEP_4) | instskip(SKIP_1) | instid1(VALU_DEP_1)
	v_add_nc_u32_e32 v31, 0x1000, v5
	v_add_co_u32 v5, s3, v1, s12
	v_add_co_ci_u32_e64 v6, s3, s13, v2, s3
	s_waitcnt lgkmcnt(0)
	s_mul_i32 s3, s7, s15
	s_mul_hi_u32 s7, s6, s15
	v_lshlrev_b64 v[1:2], 4, v[3:4]
	s_add_i32 s7, s7, s3
	s_mul_i32 s6, s6, s15
	v_lshlrev_b32_e32 v3, 4, v29
	s_lshl_b64 s[6:7], s[6:7], 4
	v_mov_b32_e32 v16, v12
	v_add_co_u32 v1, s3, v1, s6
	s_delay_alu instid0(VALU_DEP_1) | instskip(SKIP_1) | instid1(VALU_DEP_1)
	v_add_co_ci_u32_e64 v2, s3, s7, v2, s3
	v_add_co_u32 v3, s3, v5, v3
	v_add_co_ci_u32_e64 v5, s3, 0, v6, s3
	s_delay_alu instid0(VALU_DEP_4) | instskip(SKIP_3) | instid1(VALU_DEP_1)
	v_add_co_u32 v1, s3, v1, v9
	v_mov_b32_e32 v8, v12
	v_add_co_ci_u32_e64 v2, s3, 0, v2, s3
	v_add_co_u32 v4, s3, s22, v3
	v_add_co_ci_u32_e64 v5, s3, s23, v5, s3
	v_add_co_u32 v6, s3, s28, v1
	v_lshl_or_b32 v30, v29, 9, v11
	v_dual_mov_b32 v10, v12 :: v_dual_mov_b32 v23, v13
	v_mov_b32_e32 v21, v13
	v_add_co_ci_u32_e64 v7, s3, s29, v2, s3
	v_mov_b32_e32 v11, v13
	v_dual_mov_b32 v9, v13 :: v_dual_mov_b32 v22, v12
	v_mov_b32_e32 v20, v12
	s_xor_b32 s3, vcc_lo, -1
	s_xor_b32 s2, s2, -1
	s_branch .LBB1374_3
.LBB1374_2:                             ;   in Loop: Header=BB1374_3 Depth=1
	s_or_b32 exec_lo, exec_lo, s6
	s_waitcnt lgkmcnt(0)
	s_barrier
	buffer_gl0_inv
	ds_load_b128 v[32:35], v28
	ds_load_b128 v[36:39], v28 offset:16
	ds_load_b128 v[40:43], v28 offset:32
	;; [unrolled: 1-line block ×3, first 2 shown]
	ds_load_b128 v[48:51], v27
	s_add_u32 s4, s4, 8
	s_addc_u32 s5, s5, 0
	v_add_co_u32 v4, vcc_lo, 0x80, v4
	v_add_co_ci_u32_e32 v5, vcc_lo, 0, v5, vcc_lo
	v_cmp_ge_i64_e64 s6, s[4:5], s[16:17]
	v_add_co_u32 v6, vcc_lo, 0x80, v6
	v_add_co_ci_u32_e32 v7, vcc_lo, 0, v7, vcc_lo
	s_delay_alu instid0(VALU_DEP_3) | instskip(SKIP_3) | instid1(VALU_DEP_2)
	s_and_b32 vcc_lo, exec_lo, s6
	s_waitcnt lgkmcnt(0)
	v_mul_f64 v[1:2], v[34:35], v[50:51]
	v_mul_f64 v[52:53], v[32:33], v[50:51]
	v_fma_f64 v[1:2], v[32:33], v[48:49], -v[1:2]
	s_delay_alu instid0(VALU_DEP_2) | instskip(NEXT) | instid1(VALU_DEP_2)
	v_fma_f64 v[52:53], v[34:35], v[48:49], v[52:53]
	v_add_f64 v[1:2], v[20:21], v[1:2]
	s_delay_alu instid0(VALU_DEP_2) | instskip(SKIP_3) | instid1(VALU_DEP_1)
	v_add_f64 v[52:53], v[22:23], v[52:53]
	ds_load_b128 v[20:23], v27 offset:256
	s_waitcnt lgkmcnt(0)
	v_mul_f64 v[54:55], v[34:35], v[22:23]
	v_fma_f64 v[54:55], v[32:33], v[20:21], -v[54:55]
	v_mul_f64 v[32:33], v[32:33], v[22:23]
	s_delay_alu instid0(VALU_DEP_1) | instskip(NEXT) | instid1(VALU_DEP_3)
	v_fma_f64 v[32:33], v[34:35], v[20:21], v[32:33]
	v_add_f64 v[34:35], v[8:9], v[54:55]
	s_delay_alu instid0(VALU_DEP_2) | instskip(SKIP_4) | instid1(VALU_DEP_2)
	v_add_f64 v[32:33], v[10:11], v[32:33]
	ds_load_b128 v[8:11], v28 offset:2048
	s_waitcnt lgkmcnt(0)
	v_mul_f64 v[54:55], v[10:11], v[50:51]
	v_mul_f64 v[50:51], v[8:9], v[50:51]
	v_fma_f64 v[54:55], v[8:9], v[48:49], -v[54:55]
	s_delay_alu instid0(VALU_DEP_2) | instskip(NEXT) | instid1(VALU_DEP_2)
	v_fma_f64 v[48:49], v[10:11], v[48:49], v[50:51]
	v_add_f64 v[50:51], v[16:17], v[54:55]
	v_mul_f64 v[16:17], v[10:11], v[22:23]
	s_delay_alu instid0(VALU_DEP_3) | instskip(NEXT) | instid1(VALU_DEP_2)
	v_add_f64 v[48:49], v[18:19], v[48:49]
	v_fma_f64 v[16:17], v[8:9], v[20:21], -v[16:17]
	v_mul_f64 v[8:9], v[8:9], v[22:23]
	s_delay_alu instid0(VALU_DEP_1) | instskip(NEXT) | instid1(VALU_DEP_3)
	v_fma_f64 v[8:9], v[10:11], v[20:21], v[8:9]
	v_add_f64 v[20:21], v[14:15], v[16:17]
	s_delay_alu instid0(VALU_DEP_2) | instskip(SKIP_4) | instid1(VALU_DEP_2)
	v_add_f64 v[22:23], v[12:13], v[8:9]
	ds_load_b128 v[8:11], v27 offset:512
	s_waitcnt lgkmcnt(0)
	v_mul_f64 v[12:13], v[38:39], v[10:11]
	v_mul_f64 v[14:15], v[36:37], v[10:11]
	v_fma_f64 v[12:13], v[36:37], v[8:9], -v[12:13]
	s_delay_alu instid0(VALU_DEP_2) | instskip(NEXT) | instid1(VALU_DEP_2)
	v_fma_f64 v[14:15], v[38:39], v[8:9], v[14:15]
	v_add_f64 v[1:2], v[1:2], v[12:13]
	s_delay_alu instid0(VALU_DEP_2) | instskip(SKIP_4) | instid1(VALU_DEP_2)
	v_add_f64 v[52:53], v[52:53], v[14:15]
	ds_load_b128 v[12:15], v27 offset:768
	s_waitcnt lgkmcnt(0)
	v_mul_f64 v[16:17], v[38:39], v[14:15]
	v_mul_f64 v[18:19], v[36:37], v[14:15]
	v_fma_f64 v[16:17], v[36:37], v[12:13], -v[16:17]
	s_delay_alu instid0(VALU_DEP_2) | instskip(NEXT) | instid1(VALU_DEP_2)
	v_fma_f64 v[18:19], v[38:39], v[12:13], v[18:19]
	v_add_f64 v[34:35], v[34:35], v[16:17]
	s_delay_alu instid0(VALU_DEP_2) | instskip(SKIP_4) | instid1(VALU_DEP_2)
	v_add_f64 v[32:33], v[32:33], v[18:19]
	ds_load_b128 v[16:19], v28 offset:2064
	s_waitcnt lgkmcnt(0)
	v_mul_f64 v[36:37], v[18:19], v[10:11]
	v_mul_f64 v[10:11], v[16:17], v[10:11]
	v_fma_f64 v[36:37], v[16:17], v[8:9], -v[36:37]
	s_delay_alu instid0(VALU_DEP_2) | instskip(SKIP_1) | instid1(VALU_DEP_3)
	v_fma_f64 v[8:9], v[18:19], v[8:9], v[10:11]
	v_mul_f64 v[10:11], v[16:17], v[14:15]
	v_add_f64 v[36:37], v[50:51], v[36:37]
	s_delay_alu instid0(VALU_DEP_3) | instskip(SKIP_1) | instid1(VALU_DEP_4)
	v_add_f64 v[38:39], v[48:49], v[8:9]
	v_mul_f64 v[8:9], v[18:19], v[14:15]
	v_fma_f64 v[10:11], v[18:19], v[12:13], v[10:11]
	s_delay_alu instid0(VALU_DEP_2) | instskip(NEXT) | instid1(VALU_DEP_2)
	v_fma_f64 v[8:9], v[16:17], v[12:13], -v[8:9]
	v_add_f64 v[22:23], v[22:23], v[10:11]
	s_delay_alu instid0(VALU_DEP_2) | instskip(SKIP_4) | instid1(VALU_DEP_2)
	v_add_f64 v[20:21], v[20:21], v[8:9]
	ds_load_b128 v[8:11], v27 offset:1024
	s_waitcnt lgkmcnt(0)
	v_mul_f64 v[12:13], v[42:43], v[10:11]
	v_mul_f64 v[14:15], v[40:41], v[10:11]
	v_fma_f64 v[12:13], v[40:41], v[8:9], -v[12:13]
	s_delay_alu instid0(VALU_DEP_2) | instskip(NEXT) | instid1(VALU_DEP_2)
	v_fma_f64 v[14:15], v[42:43], v[8:9], v[14:15]
	v_add_f64 v[1:2], v[1:2], v[12:13]
	s_delay_alu instid0(VALU_DEP_2) | instskip(SKIP_4) | instid1(VALU_DEP_2)
	v_add_f64 v[48:49], v[52:53], v[14:15]
	ds_load_b128 v[12:15], v27 offset:1280
	s_waitcnt lgkmcnt(0)
	v_mul_f64 v[16:17], v[42:43], v[14:15]
	v_mul_f64 v[18:19], v[40:41], v[14:15]
	v_fma_f64 v[16:17], v[40:41], v[12:13], -v[16:17]
	s_delay_alu instid0(VALU_DEP_2) | instskip(NEXT) | instid1(VALU_DEP_2)
	v_fma_f64 v[18:19], v[42:43], v[12:13], v[18:19]
	v_add_f64 v[34:35], v[34:35], v[16:17]
	s_delay_alu instid0(VALU_DEP_2) | instskip(SKIP_4) | instid1(VALU_DEP_2)
	v_add_f64 v[32:33], v[32:33], v[18:19]
	ds_load_b128 v[16:19], v28 offset:2080
	s_waitcnt lgkmcnt(0)
	v_mul_f64 v[40:41], v[18:19], v[10:11]
	v_mul_f64 v[10:11], v[16:17], v[10:11]
	v_fma_f64 v[40:41], v[16:17], v[8:9], -v[40:41]
	s_delay_alu instid0(VALU_DEP_2) | instskip(SKIP_1) | instid1(VALU_DEP_3)
	v_fma_f64 v[8:9], v[18:19], v[8:9], v[10:11]
	v_mul_f64 v[10:11], v[16:17], v[14:15]
	v_add_f64 v[36:37], v[36:37], v[40:41]
	s_delay_alu instid0(VALU_DEP_3) | instskip(SKIP_1) | instid1(VALU_DEP_4)
	v_add_f64 v[38:39], v[38:39], v[8:9]
	v_mul_f64 v[8:9], v[18:19], v[14:15]
	v_fma_f64 v[10:11], v[18:19], v[12:13], v[10:11]
	s_delay_alu instid0(VALU_DEP_2) | instskip(NEXT) | instid1(VALU_DEP_2)
	v_fma_f64 v[8:9], v[16:17], v[12:13], -v[8:9]
	;; [unrolled: 38-line block ×3, first 2 shown]
	v_add_f64 v[22:23], v[22:23], v[10:11]
	s_delay_alu instid0(VALU_DEP_2)
	v_add_f64 v[20:21], v[20:21], v[8:9]
	ds_load_b128 v[8:11], v28 offset:64
	ds_load_b128 v[12:15], v27 offset:2048
	s_waitcnt lgkmcnt(0)
	v_mul_f64 v[16:17], v[10:11], v[14:15]
	v_mul_f64 v[18:19], v[8:9], v[14:15]
	s_delay_alu instid0(VALU_DEP_2) | instskip(NEXT) | instid1(VALU_DEP_2)
	v_fma_f64 v[16:17], v[8:9], v[12:13], -v[16:17]
	v_fma_f64 v[18:19], v[10:11], v[12:13], v[18:19]
	s_delay_alu instid0(VALU_DEP_2) | instskip(NEXT) | instid1(VALU_DEP_2)
	v_add_f64 v[1:2], v[1:2], v[16:17]
	v_add_f64 v[40:41], v[40:41], v[18:19]
	ds_load_b128 v[16:19], v27 offset:2304
	s_waitcnt lgkmcnt(0)
	v_mul_f64 v[42:43], v[10:11], v[18:19]
	s_delay_alu instid0(VALU_DEP_1) | instskip(SKIP_1) | instid1(VALU_DEP_2)
	v_fma_f64 v[42:43], v[8:9], v[16:17], -v[42:43]
	v_mul_f64 v[8:9], v[8:9], v[18:19]
	v_add_f64 v[34:35], v[34:35], v[42:43]
	s_delay_alu instid0(VALU_DEP_2) | instskip(NEXT) | instid1(VALU_DEP_1)
	v_fma_f64 v[8:9], v[10:11], v[16:17], v[8:9]
	v_add_f64 v[32:33], v[32:33], v[8:9]
	ds_load_b128 v[8:11], v28 offset:2112
	s_waitcnt lgkmcnt(0)
	v_mul_f64 v[42:43], v[10:11], v[14:15]
	v_mul_f64 v[14:15], v[8:9], v[14:15]
	s_delay_alu instid0(VALU_DEP_2) | instskip(NEXT) | instid1(VALU_DEP_2)
	v_fma_f64 v[42:43], v[8:9], v[12:13], -v[42:43]
	v_fma_f64 v[12:13], v[10:11], v[12:13], v[14:15]
	s_delay_alu instid0(VALU_DEP_2) | instskip(NEXT) | instid1(VALU_DEP_2)
	v_add_f64 v[36:37], v[36:37], v[42:43]
	v_add_f64 v[38:39], v[38:39], v[12:13]
	v_mul_f64 v[12:13], v[10:11], v[18:19]
	s_delay_alu instid0(VALU_DEP_1) | instskip(SKIP_1) | instid1(VALU_DEP_2)
	v_fma_f64 v[12:13], v[8:9], v[16:17], -v[12:13]
	v_mul_f64 v[8:9], v[8:9], v[18:19]
	v_add_f64 v[20:21], v[20:21], v[12:13]
	s_delay_alu instid0(VALU_DEP_2) | instskip(NEXT) | instid1(VALU_DEP_1)
	v_fma_f64 v[8:9], v[10:11], v[16:17], v[8:9]
	v_add_f64 v[22:23], v[22:23], v[8:9]
	ds_load_b128 v[8:11], v28 offset:80
	ds_load_b128 v[12:15], v27 offset:2560
	s_waitcnt lgkmcnt(0)
	v_mul_f64 v[16:17], v[10:11], v[14:15]
	v_mul_f64 v[18:19], v[8:9], v[14:15]
	s_delay_alu instid0(VALU_DEP_2) | instskip(NEXT) | instid1(VALU_DEP_2)
	v_fma_f64 v[16:17], v[8:9], v[12:13], -v[16:17]
	v_fma_f64 v[18:19], v[10:11], v[12:13], v[18:19]
	s_delay_alu instid0(VALU_DEP_2) | instskip(NEXT) | instid1(VALU_DEP_2)
	v_add_f64 v[1:2], v[1:2], v[16:17]
	v_add_f64 v[40:41], v[40:41], v[18:19]
	ds_load_b128 v[16:19], v27 offset:2816
	s_waitcnt lgkmcnt(0)
	v_mul_f64 v[42:43], v[10:11], v[18:19]
	s_delay_alu instid0(VALU_DEP_1) | instskip(SKIP_1) | instid1(VALU_DEP_2)
	v_fma_f64 v[42:43], v[8:9], v[16:17], -v[42:43]
	v_mul_f64 v[8:9], v[8:9], v[18:19]
	v_add_f64 v[34:35], v[34:35], v[42:43]
	s_delay_alu instid0(VALU_DEP_2) | instskip(NEXT) | instid1(VALU_DEP_1)
	v_fma_f64 v[8:9], v[10:11], v[16:17], v[8:9]
	v_add_f64 v[32:33], v[32:33], v[8:9]
	ds_load_b128 v[8:11], v28 offset:2128
	s_waitcnt lgkmcnt(0)
	v_mul_f64 v[42:43], v[10:11], v[14:15]
	v_mul_f64 v[14:15], v[8:9], v[14:15]
	s_delay_alu instid0(VALU_DEP_2) | instskip(NEXT) | instid1(VALU_DEP_2)
	v_fma_f64 v[42:43], v[8:9], v[12:13], -v[42:43]
	v_fma_f64 v[12:13], v[10:11], v[12:13], v[14:15]
	s_delay_alu instid0(VALU_DEP_2) | instskip(NEXT) | instid1(VALU_DEP_2)
	v_add_f64 v[36:37], v[36:37], v[42:43]
	v_add_f64 v[38:39], v[38:39], v[12:13]
	v_mul_f64 v[12:13], v[10:11], v[18:19]
	s_delay_alu instid0(VALU_DEP_1) | instskip(SKIP_1) | instid1(VALU_DEP_2)
	v_fma_f64 v[12:13], v[8:9], v[16:17], -v[12:13]
	v_mul_f64 v[8:9], v[8:9], v[18:19]
	v_add_f64 v[20:21], v[20:21], v[12:13]
	s_delay_alu instid0(VALU_DEP_2) | instskip(NEXT) | instid1(VALU_DEP_1)
	v_fma_f64 v[8:9], v[10:11], v[16:17], v[8:9]
	;; [unrolled: 39-line block ×3, first 2 shown]
	v_add_f64 v[52:53], v[22:23], v[8:9]
	ds_load_b128 v[8:11], v28 offset:112
	ds_load_b128 v[12:15], v27 offset:3584
	;; [unrolled: 1-line block ×4, first 2 shown]
	s_waitcnt lgkmcnt(0)
	s_barrier
	buffer_gl0_inv
	v_mul_f64 v[16:17], v[10:11], v[14:15]
	v_mul_f64 v[18:19], v[8:9], v[14:15]
	s_delay_alu instid0(VALU_DEP_2) | instskip(NEXT) | instid1(VALU_DEP_2)
	v_fma_f64 v[16:17], v[8:9], v[12:13], -v[16:17]
	v_fma_f64 v[18:19], v[10:11], v[12:13], v[18:19]
	s_delay_alu instid0(VALU_DEP_2) | instskip(SKIP_1) | instid1(VALU_DEP_3)
	v_add_f64 v[20:21], v[1:2], v[16:17]
	v_mul_f64 v[1:2], v[10:11], v[34:35]
	v_add_f64 v[22:23], v[40:41], v[18:19]
	s_delay_alu instid0(VALU_DEP_2) | instskip(SKIP_1) | instid1(VALU_DEP_1)
	v_fma_f64 v[1:2], v[8:9], v[32:33], -v[1:2]
	v_mul_f64 v[8:9], v[8:9], v[34:35]
	v_fma_f64 v[10:11], v[10:11], v[32:33], v[8:9]
	s_delay_alu instid0(VALU_DEP_3) | instskip(SKIP_2) | instid1(VALU_DEP_4)
	v_add_f64 v[8:9], v[42:43], v[1:2]
	v_mul_f64 v[1:2], v[38:39], v[14:15]
	v_mul_f64 v[14:15], v[36:37], v[14:15]
	v_add_f64 v[10:11], v[44:45], v[10:11]
	s_delay_alu instid0(VALU_DEP_3) | instskip(NEXT) | instid1(VALU_DEP_3)
	v_fma_f64 v[1:2], v[36:37], v[12:13], -v[1:2]
	v_fma_f64 v[12:13], v[38:39], v[12:13], v[14:15]
	s_delay_alu instid0(VALU_DEP_2) | instskip(NEXT) | instid1(VALU_DEP_2)
	v_add_f64 v[16:17], v[46:47], v[1:2]
	v_add_f64 v[18:19], v[48:49], v[12:13]
	v_mul_f64 v[1:2], v[38:39], v[34:35]
	v_mul_f64 v[12:13], v[36:37], v[34:35]
	s_delay_alu instid0(VALU_DEP_2) | instskip(NEXT) | instid1(VALU_DEP_2)
	v_fma_f64 v[1:2], v[36:37], v[32:33], -v[1:2]
	v_fma_f64 v[12:13], v[38:39], v[32:33], v[12:13]
	s_delay_alu instid0(VALU_DEP_2) | instskip(NEXT) | instid1(VALU_DEP_2)
	v_add_f64 v[14:15], v[50:51], v[1:2]
	v_add_f64 v[12:13], v[52:53], v[12:13]
	s_cbranch_vccnz .LBB1374_11
.LBB1374_3:                             ; =>This Inner Loop Header: Depth=1
	v_add_co_u32 v1, s6, v29, s4
	s_delay_alu instid0(VALU_DEP_1) | instskip(NEXT) | instid1(VALU_DEP_1)
	v_add_co_ci_u32_e64 v2, null, 0, s5, s6
	v_cmp_le_i64_e32 vcc_lo, s[16:17], v[1:2]
	s_or_b32 s6, s3, vcc_lo
	s_delay_alu instid0(SALU_CYCLE_1) | instskip(NEXT) | instid1(SALU_CYCLE_1)
	s_and_saveexec_b32 s7, s6
	s_xor_b32 s6, exec_lo, s7
	s_cbranch_execz .LBB1374_5
; %bb.4:                                ;   in Loop: Header=BB1374_3 Depth=1
	v_mov_b32_e32 v1, v0
	v_mov_b32_e32 v2, v0
	v_mov_b32_e32 v3, v0
	ds_store_b128 v30, v[0:3]
.LBB1374_5:                             ;   in Loop: Header=BB1374_3 Depth=1
	s_and_not1_saveexec_b32 s6, s6
	s_cbranch_execz .LBB1374_7
; %bb.6:                                ;   in Loop: Header=BB1374_3 Depth=1
	global_load_b128 v[32:35], v[4:5], off
	s_waitcnt vmcnt(0)
	ds_store_2addr_b64 v30, v[32:33], v[34:35] offset1:1
.LBB1374_7:                             ;   in Loop: Header=BB1374_3 Depth=1
	s_or_b32 exec_lo, exec_lo, s6
	v_add_co_u32 v1, s6, v26, s4
	s_delay_alu instid0(VALU_DEP_1) | instskip(NEXT) | instid1(VALU_DEP_1)
	v_add_co_ci_u32_e64 v2, null, 0, s5, s6
	v_cmp_le_i64_e32 vcc_lo, s[16:17], v[1:2]
	s_or_b32 s6, vcc_lo, s2
	s_delay_alu instid0(SALU_CYCLE_1) | instskip(NEXT) | instid1(SALU_CYCLE_1)
	s_and_saveexec_b32 s7, s6
	s_xor_b32 s6, exec_lo, s7
	s_cbranch_execz .LBB1374_9
; %bb.8:                                ;   in Loop: Header=BB1374_3 Depth=1
	v_mov_b32_e32 v1, v0
	v_mov_b32_e32 v2, v0
	;; [unrolled: 1-line block ×3, first 2 shown]
	ds_store_b128 v31, v[0:3]
.LBB1374_9:                             ;   in Loop: Header=BB1374_3 Depth=1
	s_and_not1_saveexec_b32 s6, s6
	s_cbranch_execz .LBB1374_2
; %bb.10:                               ;   in Loop: Header=BB1374_3 Depth=1
	global_load_b128 v[32:35], v[6:7], off
	s_waitcnt vmcnt(0)
	ds_store_2addr_b64 v31, v[32:33], v[34:35] offset1:1
	s_branch .LBB1374_2
.LBB1374_11:
	s_load_b128 s[4:7], s[0:1], 0x60
	v_add_nc_u32_e32 v4, s10, v25
	s_load_b64 s[0:1], s[0:1], 0x70
	s_delay_alu instid0(VALU_DEP_1) | instskip(SKIP_2) | instid1(VALU_DEP_2)
	v_ashrrev_i32_e32 v0, 31, v4
	v_cmp_gt_i32_e32 vcc_lo, s8, v4
	s_waitcnt lgkmcnt(0)
	v_mul_lo_u32 v3, v0, s6
	v_mul_lo_u32 v5, v4, s7
	v_mad_u64_u32 v[1:2], null, v4, s6, 0
	s_mul_i32 s1, s15, s1
	s_mul_hi_u32 s2, s15, s0
	s_mul_i32 s0, s15, s0
	s_add_i32 s1, s2, s1
	v_add_nc_u32_e32 v0, s9, v24
	s_lshl_b64 s[2:3], s[0:1], 4
	s_delay_alu instid0(VALU_DEP_2) | instskip(SKIP_3) | instid1(VALU_DEP_2)
	v_add3_u32 v2, v2, v5, v3
	s_add_u32 s2, s4, s2
	s_addc_u32 s3, s5, s3
	v_cmp_le_i32_e64 s0, v0, v4
	v_lshlrev_b64 v[1:2], 4, v[1:2]
	s_delay_alu instid0(VALU_DEP_2) | instskip(NEXT) | instid1(VALU_DEP_1)
	s_and_b32 s0, vcc_lo, s0
	v_add_co_u32 v5, s1, s2, v1
	s_delay_alu instid0(VALU_DEP_1)
	v_add_co_ci_u32_e64 v6, s1, s3, v2, s1
	s_and_saveexec_b32 s4, s0
	s_cbranch_execz .LBB1374_13
; %bb.12:
	v_mul_f64 v[1:2], s[18:19], v[22:23]
	v_mul_f64 v[22:23], s[20:21], v[22:23]
	v_cmp_ne_u32_e64 s0, v4, v0
	s_delay_alu instid0(VALU_DEP_3) | instskip(NEXT) | instid1(VALU_DEP_3)
	v_fma_f64 v[2:3], s[20:21], v[20:21], v[1:2]
	v_fma_f64 v[20:21], s[18:19], v[20:21], -v[22:23]
	v_ashrrev_i32_e32 v1, 31, v0
	s_delay_alu instid0(VALU_DEP_1) | instskip(NEXT) | instid1(VALU_DEP_1)
	v_lshlrev_b64 v[22:23], 4, v[0:1]
	v_add_co_u32 v24, s1, v5, v22
	s_delay_alu instid0(VALU_DEP_1)
	v_add_co_ci_u32_e64 v25, s1, v6, v23, s1
	v_cndmask_b32_e64 v23, 0, v3, s0
	v_cndmask_b32_e64 v22, 0, v2, s0
	global_store_b128 v[24:25], v[20:23], off
.LBB1374_13:
	s_or_b32 exec_lo, exec_lo, s4
	v_add_nc_u32_e32 v2, 16, v0
	s_delay_alu instid0(VALU_DEP_1) | instskip(NEXT) | instid1(VALU_DEP_1)
	v_cmp_le_i32_e64 s0, v2, v4
	s_and_b32 s0, vcc_lo, s0
	s_delay_alu instid0(SALU_CYCLE_1)
	s_and_saveexec_b32 s1, s0
	s_cbranch_execz .LBB1374_15
; %bb.14:
	v_mul_f64 v[20:21], s[18:19], v[10:11]
	v_mul_f64 v[10:11], s[20:21], v[10:11]
	v_ashrrev_i32_e32 v3, 31, v2
	v_cmp_ne_u32_e32 vcc_lo, v4, v2
	s_delay_alu instid0(VALU_DEP_4) | instskip(NEXT) | instid1(VALU_DEP_4)
	v_fma_f64 v[20:21], s[20:21], v[8:9], v[20:21]
	v_fma_f64 v[7:8], s[18:19], v[8:9], -v[10:11]
	s_delay_alu instid0(VALU_DEP_4) | instskip(NEXT) | instid1(VALU_DEP_1)
	v_lshlrev_b64 v[9:10], 4, v[2:3]
	v_add_co_u32 v5, s0, v5, v9
	s_delay_alu instid0(VALU_DEP_1)
	v_add_co_ci_u32_e64 v6, s0, v6, v10, s0
	v_dual_cndmask_b32 v10, 0, v21 :: v_dual_cndmask_b32 v9, 0, v20
	global_store_b128 v[5:6], v[7:10], off
.LBB1374_15:
	s_or_b32 exec_lo, exec_lo, s1
	v_add_nc_u32_e32 v3, 16, v4
	s_delay_alu instid0(VALU_DEP_1) | instskip(SKIP_3) | instid1(VALU_DEP_4)
	v_ashrrev_i32_e32 v1, 31, v3
	v_mul_lo_u32 v7, v3, s7
	v_mad_u64_u32 v[5:6], null, v3, s6, 0
	v_cmp_gt_i32_e32 vcc_lo, s8, v3
	v_mul_lo_u32 v1, v1, s6
	v_cmp_le_i32_e64 s0, v0, v3
	s_delay_alu instid0(VALU_DEP_1) | instskip(NEXT) | instid1(VALU_DEP_2)
	s_and_b32 s0, vcc_lo, s0
	v_add3_u32 v6, v6, v7, v1
	s_delay_alu instid0(VALU_DEP_1) | instskip(NEXT) | instid1(VALU_DEP_1)
	v_lshlrev_b64 v[5:6], 4, v[5:6]
	v_add_co_u32 v5, s1, s2, v5
	s_delay_alu instid0(VALU_DEP_1)
	v_add_co_ci_u32_e64 v6, s1, s3, v6, s1
	s_and_saveexec_b32 s2, s0
	s_cbranch_execz .LBB1374_17
; %bb.16:
	v_mul_f64 v[7:8], s[18:19], v[18:19]
	v_mul_f64 v[9:10], s[20:21], v[18:19]
	v_ashrrev_i32_e32 v1, 31, v0
	v_cmp_ne_u32_e64 s0, v3, v0
	s_delay_alu instid0(VALU_DEP_4) | instskip(NEXT) | instid1(VALU_DEP_4)
	v_fma_f64 v[18:19], s[20:21], v[16:17], v[7:8]
	v_fma_f64 v[7:8], s[18:19], v[16:17], -v[9:10]
	s_delay_alu instid0(VALU_DEP_4) | instskip(NEXT) | instid1(VALU_DEP_1)
	v_lshlrev_b64 v[9:10], 4, v[0:1]
	v_add_co_u32 v16, s1, v5, v9
	s_delay_alu instid0(VALU_DEP_1)
	v_add_co_ci_u32_e64 v17, s1, v6, v10, s1
	v_cndmask_b32_e64 v10, 0, v19, s0
	v_cndmask_b32_e64 v9, 0, v18, s0
	global_store_b128 v[16:17], v[7:10], off
.LBB1374_17:
	s_or_b32 exec_lo, exec_lo, s2
	v_cmp_le_i32_e64 s0, v2, v3
	s_delay_alu instid0(VALU_DEP_1) | instskip(NEXT) | instid1(SALU_CYCLE_1)
	s_and_b32 s0, vcc_lo, s0
	s_and_saveexec_b32 s1, s0
	s_cbranch_execz .LBB1374_19
; %bb.18:
	v_mul_f64 v[7:8], s[18:19], v[12:13]
	v_mul_f64 v[9:10], s[20:21], v[12:13]
	v_ashrrev_i32_e32 v3, 31, v2
	v_cmp_ne_u32_e32 vcc_lo, v4, v0
	s_delay_alu instid0(VALU_DEP_2) | instskip(NEXT) | instid1(VALU_DEP_1)
	v_lshlrev_b64 v[1:2], 4, v[2:3]
	v_add_co_u32 v0, s0, v5, v1
	s_delay_alu instid0(VALU_DEP_1) | instskip(SKIP_2) | instid1(VALU_DEP_2)
	v_add_co_ci_u32_e64 v1, s0, v6, v2, s0
	v_fma_f64 v[11:12], s[20:21], v[14:15], v[7:8]
	v_fma_f64 v[7:8], s[18:19], v[14:15], -v[9:10]
	v_dual_cndmask_b32 v10, 0, v12 :: v_dual_cndmask_b32 v9, 0, v11
	global_store_b128 v[0:1], v[7:10], off
.LBB1374_19:
	s_nop 0
	s_sendmsg sendmsg(MSG_DEALLOC_VGPRS)
	s_endpgm
	.section	.rodata,"a",@progbits
	.p2align	6, 0x0
	.amdhsa_kernel _ZL34rocblas_syrkx_herkx_general_kernelIl19rocblas_complex_numIdELi16ELi32ELi8ELb1ELb1ELc84ELc85EKS1_S1_EviT_T0_PT8_S3_lS6_S3_lS4_PT9_S3_li
		.amdhsa_group_segment_fixed_size 8192
		.amdhsa_private_segment_fixed_size 0
		.amdhsa_kernarg_size 124
		.amdhsa_user_sgpr_count 13
		.amdhsa_user_sgpr_dispatch_ptr 0
		.amdhsa_user_sgpr_queue_ptr 0
		.amdhsa_user_sgpr_kernarg_segment_ptr 1
		.amdhsa_user_sgpr_dispatch_id 0
		.amdhsa_user_sgpr_private_segment_size 0
		.amdhsa_wavefront_size32 1
		.amdhsa_uses_dynamic_stack 0
		.amdhsa_enable_private_segment 0
		.amdhsa_system_sgpr_workgroup_id_x 1
		.amdhsa_system_sgpr_workgroup_id_y 1
		.amdhsa_system_sgpr_workgroup_id_z 1
		.amdhsa_system_sgpr_workgroup_info 0
		.amdhsa_system_vgpr_workitem_id 1
		.amdhsa_next_free_vgpr 56
		.amdhsa_next_free_sgpr 32
		.amdhsa_reserve_vcc 1
		.amdhsa_float_round_mode_32 0
		.amdhsa_float_round_mode_16_64 0
		.amdhsa_float_denorm_mode_32 3
		.amdhsa_float_denorm_mode_16_64 3
		.amdhsa_dx10_clamp 1
		.amdhsa_ieee_mode 1
		.amdhsa_fp16_overflow 0
		.amdhsa_workgroup_processor_mode 1
		.amdhsa_memory_ordered 1
		.amdhsa_forward_progress 0
		.amdhsa_shared_vgpr_count 0
		.amdhsa_exception_fp_ieee_invalid_op 0
		.amdhsa_exception_fp_denorm_src 0
		.amdhsa_exception_fp_ieee_div_zero 0
		.amdhsa_exception_fp_ieee_overflow 0
		.amdhsa_exception_fp_ieee_underflow 0
		.amdhsa_exception_fp_ieee_inexact 0
		.amdhsa_exception_int_div_zero 0
	.end_amdhsa_kernel
	.section	.text._ZL34rocblas_syrkx_herkx_general_kernelIl19rocblas_complex_numIdELi16ELi32ELi8ELb1ELb1ELc84ELc85EKS1_S1_EviT_T0_PT8_S3_lS6_S3_lS4_PT9_S3_li,"axG",@progbits,_ZL34rocblas_syrkx_herkx_general_kernelIl19rocblas_complex_numIdELi16ELi32ELi8ELb1ELb1ELc84ELc85EKS1_S1_EviT_T0_PT8_S3_lS6_S3_lS4_PT9_S3_li,comdat
.Lfunc_end1374:
	.size	_ZL34rocblas_syrkx_herkx_general_kernelIl19rocblas_complex_numIdELi16ELi32ELi8ELb1ELb1ELc84ELc85EKS1_S1_EviT_T0_PT8_S3_lS6_S3_lS4_PT9_S3_li, .Lfunc_end1374-_ZL34rocblas_syrkx_herkx_general_kernelIl19rocblas_complex_numIdELi16ELi32ELi8ELb1ELb1ELc84ELc85EKS1_S1_EviT_T0_PT8_S3_lS6_S3_lS4_PT9_S3_li
                                        ; -- End function
	.section	.AMDGPU.csdata,"",@progbits
; Kernel info:
; codeLenInByte = 3728
; NumSgprs: 34
; NumVgprs: 56
; ScratchSize: 0
; MemoryBound: 0
; FloatMode: 240
; IeeeMode: 1
; LDSByteSize: 8192 bytes/workgroup (compile time only)
; SGPRBlocks: 4
; VGPRBlocks: 6
; NumSGPRsForWavesPerEU: 34
; NumVGPRsForWavesPerEU: 56
; Occupancy: 16
; WaveLimiterHint : 0
; COMPUTE_PGM_RSRC2:SCRATCH_EN: 0
; COMPUTE_PGM_RSRC2:USER_SGPR: 13
; COMPUTE_PGM_RSRC2:TRAP_HANDLER: 0
; COMPUTE_PGM_RSRC2:TGID_X_EN: 1
; COMPUTE_PGM_RSRC2:TGID_Y_EN: 1
; COMPUTE_PGM_RSRC2:TGID_Z_EN: 1
; COMPUTE_PGM_RSRC2:TIDIG_COMP_CNT: 1
	.section	.text._ZL34rocblas_syrkx_herkx_general_kernelIl19rocblas_complex_numIdELi16ELi32ELi8ELb1ELb1ELc67ELc85EKS1_S1_EviT_T0_PT8_S3_lS6_S3_lS4_PT9_S3_li,"axG",@progbits,_ZL34rocblas_syrkx_herkx_general_kernelIl19rocblas_complex_numIdELi16ELi32ELi8ELb1ELb1ELc67ELc85EKS1_S1_EviT_T0_PT8_S3_lS6_S3_lS4_PT9_S3_li,comdat
	.globl	_ZL34rocblas_syrkx_herkx_general_kernelIl19rocblas_complex_numIdELi16ELi32ELi8ELb1ELb1ELc67ELc85EKS1_S1_EviT_T0_PT8_S3_lS6_S3_lS4_PT9_S3_li ; -- Begin function _ZL34rocblas_syrkx_herkx_general_kernelIl19rocblas_complex_numIdELi16ELi32ELi8ELb1ELb1ELc67ELc85EKS1_S1_EviT_T0_PT8_S3_lS6_S3_lS4_PT9_S3_li
	.p2align	8
	.type	_ZL34rocblas_syrkx_herkx_general_kernelIl19rocblas_complex_numIdELi16ELi32ELi8ELb1ELb1ELc67ELc85EKS1_S1_EviT_T0_PT8_S3_lS6_S3_lS4_PT9_S3_li,@function
_ZL34rocblas_syrkx_herkx_general_kernelIl19rocblas_complex_numIdELi16ELi32ELi8ELb1ELb1ELc67ELc85EKS1_S1_EviT_T0_PT8_S3_lS6_S3_lS4_PT9_S3_li: ; @_ZL34rocblas_syrkx_herkx_general_kernelIl19rocblas_complex_numIdELi16ELi32ELi8ELb1ELb1ELc67ELc85EKS1_S1_EviT_T0_PT8_S3_lS6_S3_lS4_PT9_S3_li
; %bb.0:
	s_clause 0x1
	s_load_b512 s[16:31], s[0:1], 0x8
	s_load_b32 s8, s[0:1], 0x0
	v_mov_b32_e32 v23, 0
	v_dual_mov_b32 v24, 0 :: v_dual_and_b32 v27, 0x3ff, v0
	v_bfe_u32 v28, v0, 10, 10
	s_delay_alu instid0(VALU_DEP_3) | instskip(NEXT) | instid1(VALU_DEP_3)
	v_mov_b32_e32 v19, v23
	v_dual_mov_b32 v21, v23 :: v_dual_mov_b32 v22, v24
	v_dual_mov_b32 v26, v24 :: v_dual_mov_b32 v25, v23
	;; [unrolled: 1-line block ×6, first 2 shown]
	v_mov_b32_e32 v14, v24
	s_waitcnt lgkmcnt(0)
	v_cmp_lt_i64_e64 s2, s[16:17], 1
	s_lshl_b32 s9, s13, 5
	s_lshl_b32 s10, s14, 5
	s_mov_b64 s[4:5], 0
	s_delay_alu instid0(VALU_DEP_1)
	s_and_b32 vcc_lo, exec_lo, s2
	s_cbranch_vccnz .LBB1375_9
; %bb.1:
	v_lshl_add_u32 v1, v28, 4, v27
	s_load_b64 s[6:7], s[0:1], 0x48
	v_dual_mov_b32 v0, 0 :: v_dual_and_b32 v29, 7, v27
	s_mul_i32 s3, s27, s15
	s_delay_alu instid0(VALU_DEP_2)
	v_and_b32_e32 v3, 31, v1
	v_lshrrev_b32_e32 v5, 3, v1
	v_lshrrev_b32_e32 v32, 5, v1
	v_lshlrev_b32_e32 v9, 4, v29
	s_mul_hi_u32 s11, s26, s15
	v_add_nc_u32_e32 v4, s9, v3
	v_add_nc_u32_e32 v7, s10, v5
	v_or_b32_e32 v10, s9, v3
	v_lshlrev_b32_e32 v11, 4, v3
	v_lshl_or_b32 v5, v5, 7, v9
	v_ashrrev_i32_e32 v6, 31, v4
	v_mul_lo_u32 v8, s25, v4
	v_mad_u64_u32 v[1:2], null, s24, v4, 0
	v_ashrrev_i32_e32 v12, 31, v7
	s_delay_alu instid0(VALU_DEP_4)
	v_mul_lo_u32 v6, s24, v6
	v_mul_lo_u32 v13, s31, v7
	v_mad_u64_u32 v[3:4], null, s30, v7, 0
	s_mul_i32 s2, s26, s15
	s_add_i32 s3, s11, s3
	v_add_nc_u32_e32 v34, 0x1000, v5
	s_lshl_b64 s[12:13], s[2:3], 4
	s_delay_alu instid0(VALU_DEP_4)
	v_add3_u32 v2, v2, v6, v8
	v_mul_lo_u32 v6, s30, v12
	v_cmp_gt_i32_e32 vcc_lo, s8, v7
	v_lshlrev_b32_e32 v7, 4, v32
	v_lshlrev_b32_e32 v30, 4, v27
	v_lshlrev_b64 v[1:2], 4, v[1:2]
	v_lshl_add_u32 v31, v28, 7, 0x1000
	v_cmp_gt_i32_e64 s2, s8, v10
	v_add3_u32 v4, v4, v6, v13
	s_delay_alu instid0(VALU_DEP_4) | instskip(NEXT) | instid1(VALU_DEP_1)
	v_add_co_u32 v5, s3, v1, s12
	v_add_co_ci_u32_e64 v6, s3, s13, v2, s3
	s_waitcnt lgkmcnt(0)
	s_mul_i32 s3, s7, s15
	s_mul_hi_u32 s7, s6, s15
	v_lshlrev_b64 v[1:2], 4, v[3:4]
	s_add_i32 s7, s7, s3
	s_mul_i32 s6, s6, s15
	v_add_co_u32 v3, s3, v5, v7
	s_lshl_b64 s[6:7], s[6:7], 4
	v_add_co_ci_u32_e64 v4, s3, 0, v6, s3
	v_mov_b32_e32 v5, 0
	v_add_co_u32 v1, s3, v1, s6
	v_mov_b32_e32 v6, 0
	v_add_co_ci_u32_e64 v2, s3, s7, v2, s3
	v_add_co_u32 v3, s3, v3, s22
	s_delay_alu instid0(VALU_DEP_1) | instskip(NEXT) | instid1(VALU_DEP_4)
	v_add_co_ci_u32_e64 v4, s3, s23, v4, s3
	v_mov_b32_e32 v18, v6
	v_lshl_or_b32 v33, v32, 9, v11
	v_mov_b32_e32 v12, v6
	v_add_co_u32 v1, s3, v1, v9
	s_delay_alu instid0(VALU_DEP_1) | instskip(SKIP_1) | instid1(VALU_DEP_1)
	v_add_co_ci_u32_e64 v2, s3, 0, v2, s3
	v_add_co_u32 v7, s3, v3, 8
	v_add_co_ci_u32_e64 v8, s3, 0, v4, s3
	v_mov_b32_e32 v16, v6
	v_add_co_u32 v9, s3, s28, v1
	v_dual_mov_b32 v17, v5 :: v_dual_mov_b32 v22, v6
	v_dual_mov_b32 v15, v5 :: v_dual_mov_b32 v20, v6
	;; [unrolled: 1-line block ×4, first 2 shown]
	v_mov_b32_e32 v24, v6
	v_add_co_ci_u32_e64 v10, s3, s29, v2, s3
	v_mov_b32_e32 v13, v5
	v_mov_b32_e32 v11, v5
	;; [unrolled: 1-line block ×4, first 2 shown]
	s_xor_b32 s3, vcc_lo, -1
	s_branch .LBB1375_3
.LBB1375_2:                             ;   in Loop: Header=BB1375_3 Depth=1
	s_or_b32 exec_lo, exec_lo, s6
	s_waitcnt lgkmcnt(0)
	s_barrier
	buffer_gl0_inv
	ds_load_b128 v[1:4], v31
	ds_load_b128 v[35:38], v30
	ds_load_b128 v[39:42], v30 offset:256
	ds_load_b128 v[43:46], v31 offset:2048
	;; [unrolled: 1-line block ×9, first 2 shown]
	s_add_u32 s4, s4, 8
	s_addc_u32 s5, s5, 0
	v_add_co_u32 v7, vcc_lo, 0x80, v7
	v_cmp_ge_i64_e64 s6, s[4:5], s[16:17]
	v_add_co_ci_u32_e32 v8, vcc_lo, 0, v8, vcc_lo
	v_add_co_u32 v9, vcc_lo, 0x80, v9
	v_add_co_ci_u32_e32 v10, vcc_lo, 0, v10, vcc_lo
	s_delay_alu instid0(VALU_DEP_4)
	s_and_b32 vcc_lo, exec_lo, s6
	s_waitcnt lgkmcnt(9)
	v_mul_f64 v[75:76], v[3:4], v[37:38]
	v_mul_f64 v[77:78], v[1:2], v[37:38]
	s_waitcnt lgkmcnt(8)
	v_mul_f64 v[79:80], v[3:4], v[41:42]
	v_mul_f64 v[81:82], v[1:2], v[41:42]
	;; [unrolled: 3-line block ×3, first 2 shown]
	v_mul_f64 v[85:86], v[45:46], v[41:42]
	v_mul_f64 v[41:42], v[43:44], v[41:42]
	s_waitcnt lgkmcnt(4)
	v_mul_f64 v[87:88], v[49:50], v[57:58]
	v_mul_f64 v[89:90], v[47:48], v[57:58]
	s_waitcnt lgkmcnt(3)
	v_mul_f64 v[91:92], v[49:50], v[61:62]
	v_mul_f64 v[93:94], v[47:48], v[61:62]
	;; [unrolled: 1-line block ×6, first 2 shown]
	s_waitcnt lgkmcnt(0)
	v_mul_f64 v[115:116], v[73:74], v[65:66]
	v_mul_f64 v[117:118], v[73:74], v[69:70]
	v_fma_f64 v[99:100], v[1:2], v[35:36], -v[75:76]
	v_fma_f64 v[101:102], v[3:4], v[35:36], v[77:78]
	v_fma_f64 v[79:80], v[1:2], v[39:40], -v[79:80]
	v_fma_f64 v[81:82], v[3:4], v[39:40], v[81:82]
	v_fma_f64 v[83:84], v[43:44], v[35:36], -v[83:84]
	v_fma_f64 v[103:104], v[45:46], v[35:36], v[37:38]
	v_fma_f64 v[85:86], v[43:44], v[39:40], -v[85:86]
	v_fma_f64 v[105:106], v[45:46], v[39:40], v[41:42]
	ds_load_b128 v[75:78], v31 offset:32
	v_fma_f64 v[87:88], v[47:48], v[55:56], -v[87:88]
	v_fma_f64 v[89:90], v[49:50], v[55:56], v[89:90]
	v_fma_f64 v[47:48], v[47:48], v[59:60], -v[91:92]
	v_fma_f64 v[49:50], v[49:50], v[59:60], v[93:94]
	;; [unrolled: 2-line block ×4, first 2 shown]
	ds_load_b128 v[1:4], v31 offset:48
	ds_load_b128 v[35:38], v31 offset:2096
	;; [unrolled: 1-line block ×4, first 2 shown]
	s_waitcnt lgkmcnt(4)
	v_mul_f64 v[107:108], v[77:78], v[65:66]
	v_mul_f64 v[109:110], v[75:76], v[65:66]
	;; [unrolled: 1-line block ×6, first 2 shown]
	s_waitcnt lgkmcnt(1)
	v_mul_f64 v[93:94], v[1:2], v[41:42]
	s_waitcnt lgkmcnt(0)
	v_mul_f64 v[95:96], v[3:4], v[45:46]
	v_add_f64 v[23:24], v[23:24], v[99:100]
	v_add_f64 v[25:26], v[25:26], v[101:102]
	;; [unrolled: 1-line block ×8, first 2 shown]
	v_mul_f64 v[85:86], v[3:4], v[41:42]
	v_mul_f64 v[97:98], v[1:2], v[45:46]
	;; [unrolled: 1-line block ×6, first 2 shown]
	ds_load_b128 v[11:14], v30 offset:2048
	ds_load_b128 v[15:18], v30 offset:2304
	;; [unrolled: 1-line block ×3, first 2 shown]
	v_fma_f64 v[105:106], v[75:76], v[63:64], -v[107:108]
	v_fma_f64 v[107:108], v[77:78], v[63:64], v[109:110]
	v_fma_f64 v[75:76], v[75:76], v[67:68], -v[111:112]
	v_fma_f64 v[77:78], v[77:78], v[67:68], v[113:114]
	;; [unrolled: 2-line block ×4, first 2 shown]
	s_waitcnt lgkmcnt(0)
	v_mul_f64 v[115:116], v[21:22], v[13:14]
	v_mul_f64 v[117:118], v[21:22], v[17:18]
	v_add_f64 v[69:70], v[23:24], v[87:88]
	v_add_f64 v[71:72], v[25:26], v[89:90]
	;; [unrolled: 1-line block ×8, first 2 shown]
	ds_load_b128 v[23:26], v31 offset:64
	v_fma_f64 v[85:86], v[1:2], v[39:40], -v[85:86]
	v_fma_f64 v[93:94], v[3:4], v[39:40], v[93:94]
	v_fma_f64 v[95:96], v[1:2], v[43:44], -v[95:96]
	v_fma_f64 v[97:98], v[3:4], v[43:44], v[97:98]
	;; [unrolled: 2-line block ×4, first 2 shown]
	ds_load_b128 v[45:48], v31 offset:80
	ds_load_b128 v[49:52], v31 offset:2128
	ds_load_b128 v[53:56], v30 offset:2560
	ds_load_b128 v[57:60], v30 offset:2816
	ds_load_b128 v[1:4], v30 offset:3072
	ds_load_b128 v[35:38], v30 offset:3328
	ds_load_b128 v[39:42], v31 offset:2144
	s_waitcnt lgkmcnt(7)
	v_mul_f64 v[89:90], v[25:26], v[13:14]
	v_mul_f64 v[91:92], v[23:24], v[13:14]
	;; [unrolled: 1-line block ×6, first 2 shown]
	s_waitcnt lgkmcnt(3)
	v_mul_f64 v[103:104], v[51:52], v[59:60]
	v_add_f64 v[69:70], v[69:70], v[105:106]
	v_add_f64 v[71:72], v[71:72], v[107:108]
	;; [unrolled: 1-line block ×8, first 2 shown]
	v_mul_f64 v[77:78], v[47:48], v[55:56]
	v_mul_f64 v[79:80], v[45:46], v[55:56]
	v_mul_f64 v[81:82], v[47:48], v[59:60]
	v_mul_f64 v[83:84], v[45:46], v[59:60]
	v_mul_f64 v[87:88], v[51:52], v[55:56]
	v_mul_f64 v[55:56], v[49:50], v[55:56]
	v_mul_f64 v[105:106], v[49:50], v[59:60]
	v_fma_f64 v[89:90], v[23:24], v[11:12], -v[89:90]
	v_fma_f64 v[91:92], v[25:26], v[11:12], v[91:92]
	v_fma_f64 v[107:108], v[23:24], v[15:16], -v[111:112]
	v_fma_f64 v[109:110], v[25:26], v[15:16], v[113:114]
	;; [unrolled: 2-line block ×4, first 2 shown]
	ds_load_b128 v[11:14], v31 offset:96
	v_add_f64 v[69:70], v[69:70], v[85:86]
	v_add_f64 v[71:72], v[71:72], v[93:94]
	;; [unrolled: 1-line block ×8, first 2 shown]
	s_waitcnt lgkmcnt(1)
	v_mul_f64 v[99:100], v[41:42], v[3:4]
	v_mul_f64 v[101:102], v[41:42], v[37:38]
	v_fma_f64 v[77:78], v[45:46], v[53:54], -v[77:78]
	v_fma_f64 v[79:80], v[47:48], v[53:54], v[79:80]
	v_fma_f64 v[45:46], v[45:46], v[57:58], -v[81:82]
	v_fma_f64 v[47:48], v[47:48], v[57:58], v[83:84]
	;; [unrolled: 2-line block ×4, first 2 shown]
	s_waitcnt lgkmcnt(0)
	v_mul_f64 v[67:68], v[13:14], v[3:4]
	v_mul_f64 v[93:94], v[11:12], v[3:4]
	;; [unrolled: 1-line block ×6, first 2 shown]
	ds_load_b128 v[15:18], v31 offset:112
	ds_load_b128 v[19:22], v31 offset:2160
	;; [unrolled: 1-line block ×4, first 2 shown]
	s_waitcnt lgkmcnt(0)
	s_barrier
	buffer_gl0_inv
	v_add_f64 v[55:56], v[69:70], v[89:90]
	v_add_f64 v[57:58], v[71:72], v[91:92]
	;; [unrolled: 1-line block ×8, first 2 shown]
	v_mul_f64 v[75:76], v[17:18], v[25:26]
	v_mul_f64 v[83:84], v[15:16], v[25:26]
	;; [unrolled: 1-line block ×8, first 2 shown]
	v_fma_f64 v[67:68], v[11:12], v[1:2], -v[67:68]
	v_fma_f64 v[93:94], v[13:14], v[1:2], v[93:94]
	v_fma_f64 v[11:12], v[11:12], v[35:36], -v[95:96]
	v_fma_f64 v[13:14], v[13:14], v[35:36], v[97:98]
	;; [unrolled: 2-line block ×4, first 2 shown]
	v_add_f64 v[37:38], v[55:56], v[77:78]
	v_add_f64 v[39:40], v[57:58], v[79:80]
	v_add_f64 v[41:42], v[69:70], v[45:46]
	v_add_f64 v[45:46], v[71:72], v[47:48]
	v_add_f64 v[47:48], v[73:74], v[81:82]
	v_add_f64 v[53:54], v[63:64], v[53:54]
	v_add_f64 v[49:50], v[65:66], v[49:50]
	v_add_f64 v[43:44], v[43:44], v[51:52]
	v_fma_f64 v[51:52], v[15:16], v[23:24], -v[75:76]
	v_fma_f64 v[55:56], v[17:18], v[23:24], v[83:84]
	v_fma_f64 v[15:16], v[15:16], v[59:60], -v[85:86]
	v_fma_f64 v[17:18], v[17:18], v[59:60], v[87:88]
	;; [unrolled: 2-line block ×4, first 2 shown]
	v_add_f64 v[19:20], v[37:38], v[67:68]
	v_add_f64 v[21:22], v[39:40], v[93:94]
	;; [unrolled: 1-line block ×16, first 2 shown]
	s_cbranch_vccnz .LBB1375_9
.LBB1375_3:                             ; =>This Inner Loop Header: Depth=1
	v_add_co_u32 v1, s6, v32, s4
	s_delay_alu instid0(VALU_DEP_1) | instskip(SKIP_1) | instid1(VALU_DEP_2)
	v_add_co_ci_u32_e64 v2, null, 0, s5, s6
	v_dual_mov_b32 v3, v5 :: v_dual_mov_b32 v4, v6
	v_cmp_gt_i64_e32 vcc_lo, s[16:17], v[1:2]
	v_dual_mov_b32 v1, v5 :: v_dual_mov_b32 v2, v6
	s_and_b32 s7, s2, vcc_lo
	s_delay_alu instid0(SALU_CYCLE_1)
	s_and_saveexec_b32 s6, s7
	s_cbranch_execz .LBB1375_5
; %bb.4:                                ;   in Loop: Header=BB1375_3 Depth=1
	global_load_b128 v[1:4], v[7:8], off offset:-8
	s_waitcnt vmcnt(0)
	v_xor_b32_e32 v4, 0x80000000, v4
.LBB1375_5:                             ;   in Loop: Header=BB1375_3 Depth=1
	s_or_b32 exec_lo, exec_lo, s6
	v_add_co_u32 v35, s6, v29, s4
	s_delay_alu instid0(VALU_DEP_1) | instskip(SKIP_3) | instid1(SALU_CYCLE_1)
	v_add_co_ci_u32_e64 v36, null, 0, s5, s6
	ds_store_b128 v33, v[1:4]
	v_cmp_le_i64_e32 vcc_lo, s[16:17], v[35:36]
	s_or_b32 s6, vcc_lo, s3
	s_and_saveexec_b32 s7, s6
	s_delay_alu instid0(SALU_CYCLE_1)
	s_xor_b32 s6, exec_lo, s7
	s_cbranch_execz .LBB1375_7
; %bb.6:                                ;   in Loop: Header=BB1375_3 Depth=1
	v_mov_b32_e32 v1, v0
	v_mov_b32_e32 v2, v0
	v_mov_b32_e32 v3, v0
	ds_store_b128 v34, v[0:3]
.LBB1375_7:                             ;   in Loop: Header=BB1375_3 Depth=1
	s_and_not1_saveexec_b32 s6, s6
	s_cbranch_execz .LBB1375_2
; %bb.8:                                ;   in Loop: Header=BB1375_3 Depth=1
	global_load_b128 v[1:4], v[9:10], off
	s_waitcnt vmcnt(0)
	ds_store_2addr_b64 v34, v[1:2], v[3:4] offset1:1
	s_branch .LBB1375_2
.LBB1375_9:
	s_load_b128 s[4:7], s[0:1], 0x60
	v_add_nc_u32_e32 v4, s10, v28
	s_load_b64 s[0:1], s[0:1], 0x70
	s_delay_alu instid0(VALU_DEP_1) | instskip(SKIP_2) | instid1(VALU_DEP_2)
	v_ashrrev_i32_e32 v0, 31, v4
	v_cmp_gt_i32_e32 vcc_lo, s8, v4
	s_waitcnt lgkmcnt(0)
	v_mul_lo_u32 v3, v0, s6
	v_mul_lo_u32 v5, v4, s7
	v_mad_u64_u32 v[1:2], null, v4, s6, 0
	s_mul_i32 s1, s15, s1
	s_mul_hi_u32 s2, s15, s0
	s_mul_i32 s0, s15, s0
	s_add_i32 s1, s2, s1
	v_add_nc_u32_e32 v0, s9, v27
	s_lshl_b64 s[2:3], s[0:1], 4
	s_delay_alu instid0(VALU_DEP_2) | instskip(SKIP_3) | instid1(VALU_DEP_2)
	v_add3_u32 v2, v2, v5, v3
	s_add_u32 s2, s4, s2
	s_addc_u32 s3, s5, s3
	v_cmp_le_i32_e64 s0, v0, v4
	v_lshlrev_b64 v[1:2], 4, v[1:2]
	s_delay_alu instid0(VALU_DEP_2) | instskip(NEXT) | instid1(VALU_DEP_1)
	s_and_b32 s0, vcc_lo, s0
	v_add_co_u32 v5, s1, s2, v1
	s_delay_alu instid0(VALU_DEP_1)
	v_add_co_ci_u32_e64 v6, s1, s3, v2, s1
	s_and_saveexec_b32 s4, s0
	s_cbranch_execz .LBB1375_11
; %bb.10:
	v_mul_f64 v[1:2], s[18:19], v[25:26]
	v_mul_f64 v[7:8], s[20:21], v[25:26]
	v_cmp_ne_u32_e64 s0, v4, v0
	s_delay_alu instid0(VALU_DEP_3) | instskip(NEXT) | instid1(VALU_DEP_3)
	v_fma_f64 v[2:3], s[20:21], v[23:24], v[1:2]
	v_fma_f64 v[7:8], s[18:19], v[23:24], -v[7:8]
	v_ashrrev_i32_e32 v1, 31, v0
	s_delay_alu instid0(VALU_DEP_1) | instskip(NEXT) | instid1(VALU_DEP_1)
	v_lshlrev_b64 v[9:10], 4, v[0:1]
	v_add_co_u32 v23, s1, v5, v9
	s_delay_alu instid0(VALU_DEP_1)
	v_add_co_ci_u32_e64 v24, s1, v6, v10, s1
	v_cndmask_b32_e64 v10, 0, v3, s0
	v_cndmask_b32_e64 v9, 0, v2, s0
	global_store_b128 v[23:24], v[7:10], off
.LBB1375_11:
	s_or_b32 exec_lo, exec_lo, s4
	v_add_nc_u32_e32 v2, 16, v0
	s_delay_alu instid0(VALU_DEP_1) | instskip(NEXT) | instid1(VALU_DEP_1)
	v_cmp_le_i32_e64 s0, v2, v4
	s_and_b32 s0, vcc_lo, s0
	s_delay_alu instid0(SALU_CYCLE_1)
	s_and_saveexec_b32 s1, s0
	s_cbranch_execz .LBB1375_13
; %bb.12:
	v_mul_f64 v[7:8], s[18:19], v[21:22]
	v_mul_f64 v[9:10], s[20:21], v[21:22]
	v_ashrrev_i32_e32 v3, 31, v2
	v_cmp_ne_u32_e32 vcc_lo, v4, v2
	s_delay_alu instid0(VALU_DEP_4) | instskip(NEXT) | instid1(VALU_DEP_4)
	v_fma_f64 v[21:22], s[20:21], v[19:20], v[7:8]
	v_fma_f64 v[7:8], s[18:19], v[19:20], -v[9:10]
	s_delay_alu instid0(VALU_DEP_4) | instskip(NEXT) | instid1(VALU_DEP_1)
	v_lshlrev_b64 v[9:10], 4, v[2:3]
	v_add_co_u32 v5, s0, v5, v9
	s_delay_alu instid0(VALU_DEP_1)
	v_add_co_ci_u32_e64 v6, s0, v6, v10, s0
	v_dual_cndmask_b32 v10, 0, v22 :: v_dual_cndmask_b32 v9, 0, v21
	global_store_b128 v[5:6], v[7:10], off
.LBB1375_13:
	s_or_b32 exec_lo, exec_lo, s1
	v_add_nc_u32_e32 v3, 16, v4
	s_delay_alu instid0(VALU_DEP_1) | instskip(SKIP_3) | instid1(VALU_DEP_4)
	v_ashrrev_i32_e32 v1, 31, v3
	v_mul_lo_u32 v7, v3, s7
	v_mad_u64_u32 v[5:6], null, v3, s6, 0
	v_cmp_gt_i32_e32 vcc_lo, s8, v3
	v_mul_lo_u32 v1, v1, s6
	v_cmp_le_i32_e64 s0, v0, v3
	s_delay_alu instid0(VALU_DEP_1) | instskip(NEXT) | instid1(VALU_DEP_2)
	s_and_b32 s0, vcc_lo, s0
	v_add3_u32 v6, v6, v7, v1
	s_delay_alu instid0(VALU_DEP_1) | instskip(NEXT) | instid1(VALU_DEP_1)
	v_lshlrev_b64 v[5:6], 4, v[5:6]
	v_add_co_u32 v5, s1, s2, v5
	s_delay_alu instid0(VALU_DEP_1)
	v_add_co_ci_u32_e64 v6, s1, s3, v6, s1
	s_and_saveexec_b32 s2, s0
	s_cbranch_execz .LBB1375_15
; %bb.14:
	v_mul_f64 v[7:8], s[18:19], v[17:18]
	v_mul_f64 v[9:10], s[20:21], v[17:18]
	v_ashrrev_i32_e32 v1, 31, v0
	v_cmp_ne_u32_e64 s0, v3, v0
	s_delay_alu instid0(VALU_DEP_4) | instskip(NEXT) | instid1(VALU_DEP_4)
	v_fma_f64 v[17:18], s[20:21], v[15:16], v[7:8]
	v_fma_f64 v[7:8], s[18:19], v[15:16], -v[9:10]
	s_delay_alu instid0(VALU_DEP_4) | instskip(NEXT) | instid1(VALU_DEP_1)
	v_lshlrev_b64 v[9:10], 4, v[0:1]
	v_add_co_u32 v15, s1, v5, v9
	s_delay_alu instid0(VALU_DEP_1)
	v_add_co_ci_u32_e64 v16, s1, v6, v10, s1
	v_cndmask_b32_e64 v10, 0, v18, s0
	v_cndmask_b32_e64 v9, 0, v17, s0
	global_store_b128 v[15:16], v[7:10], off
.LBB1375_15:
	s_or_b32 exec_lo, exec_lo, s2
	v_cmp_le_i32_e64 s0, v2, v3
	s_delay_alu instid0(VALU_DEP_1) | instskip(NEXT) | instid1(SALU_CYCLE_1)
	s_and_b32 s0, vcc_lo, s0
	s_and_saveexec_b32 s1, s0
	s_cbranch_execz .LBB1375_17
; %bb.16:
	v_mul_f64 v[7:8], s[18:19], v[13:14]
	v_mul_f64 v[9:10], s[20:21], v[13:14]
	v_ashrrev_i32_e32 v3, 31, v2
	v_cmp_ne_u32_e32 vcc_lo, v4, v0
	s_delay_alu instid0(VALU_DEP_2) | instskip(NEXT) | instid1(VALU_DEP_1)
	v_lshlrev_b64 v[1:2], 4, v[2:3]
	v_add_co_u32 v0, s0, v5, v1
	s_delay_alu instid0(VALU_DEP_1) | instskip(SKIP_2) | instid1(VALU_DEP_2)
	v_add_co_ci_u32_e64 v1, s0, v6, v2, s0
	v_fma_f64 v[13:14], s[20:21], v[11:12], v[7:8]
	v_fma_f64 v[7:8], s[18:19], v[11:12], -v[9:10]
	v_dual_cndmask_b32 v10, 0, v14 :: v_dual_cndmask_b32 v9, 0, v13
	global_store_b128 v[0:1], v[7:10], off
.LBB1375_17:
	s_nop 0
	s_sendmsg sendmsg(MSG_DEALLOC_VGPRS)
	s_endpgm
	.section	.rodata,"a",@progbits
	.p2align	6, 0x0
	.amdhsa_kernel _ZL34rocblas_syrkx_herkx_general_kernelIl19rocblas_complex_numIdELi16ELi32ELi8ELb1ELb1ELc67ELc85EKS1_S1_EviT_T0_PT8_S3_lS6_S3_lS4_PT9_S3_li
		.amdhsa_group_segment_fixed_size 8192
		.amdhsa_private_segment_fixed_size 0
		.amdhsa_kernarg_size 124
		.amdhsa_user_sgpr_count 13
		.amdhsa_user_sgpr_dispatch_ptr 0
		.amdhsa_user_sgpr_queue_ptr 0
		.amdhsa_user_sgpr_kernarg_segment_ptr 1
		.amdhsa_user_sgpr_dispatch_id 0
		.amdhsa_user_sgpr_private_segment_size 0
		.amdhsa_wavefront_size32 1
		.amdhsa_uses_dynamic_stack 0
		.amdhsa_enable_private_segment 0
		.amdhsa_system_sgpr_workgroup_id_x 1
		.amdhsa_system_sgpr_workgroup_id_y 1
		.amdhsa_system_sgpr_workgroup_id_z 1
		.amdhsa_system_sgpr_workgroup_info 0
		.amdhsa_system_vgpr_workitem_id 1
		.amdhsa_next_free_vgpr 121
		.amdhsa_next_free_sgpr 32
		.amdhsa_reserve_vcc 1
		.amdhsa_float_round_mode_32 0
		.amdhsa_float_round_mode_16_64 0
		.amdhsa_float_denorm_mode_32 3
		.amdhsa_float_denorm_mode_16_64 3
		.amdhsa_dx10_clamp 1
		.amdhsa_ieee_mode 1
		.amdhsa_fp16_overflow 0
		.amdhsa_workgroup_processor_mode 1
		.amdhsa_memory_ordered 1
		.amdhsa_forward_progress 0
		.amdhsa_shared_vgpr_count 0
		.amdhsa_exception_fp_ieee_invalid_op 0
		.amdhsa_exception_fp_denorm_src 0
		.amdhsa_exception_fp_ieee_div_zero 0
		.amdhsa_exception_fp_ieee_overflow 0
		.amdhsa_exception_fp_ieee_underflow 0
		.amdhsa_exception_fp_ieee_inexact 0
		.amdhsa_exception_int_div_zero 0
	.end_amdhsa_kernel
	.section	.text._ZL34rocblas_syrkx_herkx_general_kernelIl19rocblas_complex_numIdELi16ELi32ELi8ELb1ELb1ELc67ELc85EKS1_S1_EviT_T0_PT8_S3_lS6_S3_lS4_PT9_S3_li,"axG",@progbits,_ZL34rocblas_syrkx_herkx_general_kernelIl19rocblas_complex_numIdELi16ELi32ELi8ELb1ELb1ELc67ELc85EKS1_S1_EviT_T0_PT8_S3_lS6_S3_lS4_PT9_S3_li,comdat
.Lfunc_end1375:
	.size	_ZL34rocblas_syrkx_herkx_general_kernelIl19rocblas_complex_numIdELi16ELi32ELi8ELb1ELb1ELc67ELc85EKS1_S1_EviT_T0_PT8_S3_lS6_S3_lS4_PT9_S3_li, .Lfunc_end1375-_ZL34rocblas_syrkx_herkx_general_kernelIl19rocblas_complex_numIdELi16ELi32ELi8ELb1ELb1ELc67ELc85EKS1_S1_EviT_T0_PT8_S3_lS6_S3_lS4_PT9_S3_li
                                        ; -- End function
	.section	.AMDGPU.csdata,"",@progbits
; Kernel info:
; codeLenInByte = 3456
; NumSgprs: 34
; NumVgprs: 121
; ScratchSize: 0
; MemoryBound: 1
; FloatMode: 240
; IeeeMode: 1
; LDSByteSize: 8192 bytes/workgroup (compile time only)
; SGPRBlocks: 4
; VGPRBlocks: 15
; NumSGPRsForWavesPerEU: 34
; NumVGPRsForWavesPerEU: 121
; Occupancy: 10
; WaveLimiterHint : 0
; COMPUTE_PGM_RSRC2:SCRATCH_EN: 0
; COMPUTE_PGM_RSRC2:USER_SGPR: 13
; COMPUTE_PGM_RSRC2:TRAP_HANDLER: 0
; COMPUTE_PGM_RSRC2:TGID_X_EN: 1
; COMPUTE_PGM_RSRC2:TGID_Y_EN: 1
; COMPUTE_PGM_RSRC2:TGID_Z_EN: 1
; COMPUTE_PGM_RSRC2:TIDIG_COMP_CNT: 1
	.section	.text._ZL34rocblas_syrkx_herkx_general_kernelIl19rocblas_complex_numIdELi16ELi32ELi8ELb1ELb1ELc78ELc85EKS1_S1_EviT_T0_PT8_S3_lS6_S3_lS4_PT9_S3_li,"axG",@progbits,_ZL34rocblas_syrkx_herkx_general_kernelIl19rocblas_complex_numIdELi16ELi32ELi8ELb1ELb1ELc78ELc85EKS1_S1_EviT_T0_PT8_S3_lS6_S3_lS4_PT9_S3_li,comdat
	.globl	_ZL34rocblas_syrkx_herkx_general_kernelIl19rocblas_complex_numIdELi16ELi32ELi8ELb1ELb1ELc78ELc85EKS1_S1_EviT_T0_PT8_S3_lS6_S3_lS4_PT9_S3_li ; -- Begin function _ZL34rocblas_syrkx_herkx_general_kernelIl19rocblas_complex_numIdELi16ELi32ELi8ELb1ELb1ELc78ELc85EKS1_S1_EviT_T0_PT8_S3_lS6_S3_lS4_PT9_S3_li
	.p2align	8
	.type	_ZL34rocblas_syrkx_herkx_general_kernelIl19rocblas_complex_numIdELi16ELi32ELi8ELb1ELb1ELc78ELc85EKS1_S1_EviT_T0_PT8_S3_lS6_S3_lS4_PT9_S3_li,@function
_ZL34rocblas_syrkx_herkx_general_kernelIl19rocblas_complex_numIdELi16ELi32ELi8ELb1ELb1ELc78ELc85EKS1_S1_EviT_T0_PT8_S3_lS6_S3_lS4_PT9_S3_li: ; @_ZL34rocblas_syrkx_herkx_general_kernelIl19rocblas_complex_numIdELi16ELi32ELi8ELb1ELb1ELc78ELc85EKS1_S1_EviT_T0_PT8_S3_lS6_S3_lS4_PT9_S3_li
; %bb.0:
	s_clause 0x1
	s_load_b512 s[16:31], s[0:1], 0x8
	s_load_b32 s10, s[0:1], 0x0
	v_mov_b32_e32 v21, 0
	v_dual_mov_b32 v22, 0 :: v_dual_and_b32 v25, 0x3ff, v0
	v_bfe_u32 v26, v0, 10, 10
	s_delay_alu instid0(VALU_DEP_3) | instskip(NEXT) | instid1(VALU_DEP_3)
	v_mov_b32_e32 v17, v21
	v_dual_mov_b32 v19, v21 :: v_dual_mov_b32 v20, v22
	v_dual_mov_b32 v24, v22 :: v_dual_mov_b32 v23, v21
	;; [unrolled: 1-line block ×6, first 2 shown]
	v_mov_b32_e32 v10, v22
	s_waitcnt lgkmcnt(0)
	v_cmp_lt_i64_e64 s2, s[16:17], 1
	s_lshl_b32 s11, s13, 5
	s_lshl_b32 s12, s14, 5
	s_mov_b64 s[4:5], 0
	s_delay_alu instid0(VALU_DEP_1)
	s_and_b32 vcc_lo, exec_lo, s2
	s_cbranch_vccnz .LBB1376_9
; %bb.1:
	v_lshl_add_u32 v3, v26, 4, v25
	v_dual_mov_b32 v0, 0 :: v_dual_and_b32 v27, 7, v25
	s_load_b64 s[6:7], s[0:1], 0x48
	s_mul_i32 s3, s27, s15
	s_delay_alu instid0(VALU_DEP_2) | instskip(SKIP_3) | instid1(VALU_DEP_4)
	v_lshrrev_b32_e32 v28, 5, v3
	v_lshrrev_b32_e32 v7, 3, v3
	v_and_b32_e32 v8, 31, v3
	v_mad_u64_u32 v[3:4], null, s30, v27, 0
	v_mad_u64_u32 v[1:2], null, s24, v28, 0
	v_lshlrev_b32_e32 v9, 4, v27
	s_mul_hi_u32 s8, s26, s15
	s_mul_i32 s2, s26, s15
	s_add_i32 s3, s8, s3
	v_lshl_add_u32 v30, v26, 7, 0x1000
	s_lshl_b64 s[8:9], s[2:3], 4
	s_delay_alu instid0(VALU_DEP_3)
	v_mad_u64_u32 v[5:6], null, s25, v28, v[2:3]
	v_or_b32_e32 v2, s11, v8
	v_lshlrev_b32_e32 v29, 4, v25
	v_add_nc_u32_e32 v6, s12, v7
	v_lshl_or_b32 v7, v7, 7, v9
	s_waitcnt lgkmcnt(0)
	s_mul_i32 s7, s7, s15
	v_cmp_gt_i32_e32 vcc_lo, s10, v2
	v_mov_b32_e32 v2, v5
	v_mad_u64_u32 v[9:10], null, s31, v27, v[4:5]
	v_lshlrev_b32_e32 v11, 4, v8
	v_add_nc_u32_e32 v8, s11, v8
	s_delay_alu instid0(VALU_DEP_4)
	v_lshlrev_b64 v[1:2], 4, v[1:2]
	v_add_nc_u32_e32 v32, 0x1000, v7
	v_ashrrev_i32_e32 v7, 31, v6
	s_mul_hi_u32 s13, s6, s15
	v_mov_b32_e32 v4, v9
	s_add_i32 s7, s13, s7
	v_add_co_u32 v5, s3, v1, s8
	s_delay_alu instid0(VALU_DEP_1) | instskip(NEXT) | instid1(VALU_DEP_3)
	v_add_co_ci_u32_e64 v10, s3, s9, v2, s3
	v_lshlrev_b64 v[1:2], 4, v[3:4]
	s_mul_i32 s6, s6, s15
	v_ashrrev_i32_e32 v9, 31, v8
	s_lshl_b64 s[6:7], s[6:7], 4
	v_lshlrev_b64 v[3:4], 4, v[6:7]
	v_cmp_gt_i32_e64 s2, s10, v6
	v_add_co_u32 v6, s3, s6, v1
	s_delay_alu instid0(VALU_DEP_1) | instskip(SKIP_1) | instid1(VALU_DEP_3)
	v_add_co_ci_u32_e64 v7, s3, s7, v2, s3
	v_lshlrev_b64 v[1:2], 4, v[8:9]
	v_add_co_u32 v3, s3, v6, v3
	s_delay_alu instid0(VALU_DEP_1) | instskip(SKIP_1) | instid1(VALU_DEP_4)
	v_add_co_ci_u32_e64 v4, s3, v7, v4, s3
	v_lshl_or_b32 v31, v28, 9, v11
	v_add_co_u32 v1, s3, v5, v1
	s_delay_alu instid0(VALU_DEP_1)
	v_add_co_ci_u32_e64 v2, s3, v10, v2, s3
	v_add_co_u32 v3, s3, v3, s28
	v_mov_b32_e32 v9, 0
	v_add_co_ci_u32_e64 v4, s3, s29, v4, s3
	v_mov_b32_e32 v10, 0
	v_add_co_u32 v5, s3, s22, v1
	s_delay_alu instid0(VALU_DEP_1) | instskip(SKIP_1) | instid1(VALU_DEP_4)
	v_add_co_ci_u32_e64 v6, s3, s23, v2, s3
	v_add_co_u32 v7, s3, v3, 8
	v_mov_b32_e32 v12, v10
	v_mov_b32_e32 v16, v10
	;; [unrolled: 1-line block ×6, first 2 shown]
	v_dual_mov_b32 v22, v10 :: v_dual_mov_b32 v21, v9
	v_add_co_ci_u32_e64 v8, s3, 0, v4, s3
	v_mov_b32_e32 v11, v9
	v_mov_b32_e32 v15, v9
	;; [unrolled: 1-line block ×6, first 2 shown]
	s_lshl_b64 s[6:7], s[24:25], 7
	s_lshl_b64 s[8:9], s[30:31], 7
	s_xor_b32 s3, vcc_lo, -1
	s_branch .LBB1376_3
.LBB1376_2:                             ;   in Loop: Header=BB1376_3 Depth=1
	s_or_b32 exec_lo, exec_lo, s13
	ds_store_b128 v32, v[1:4]
	s_waitcnt lgkmcnt(0)
	s_barrier
	buffer_gl0_inv
	ds_load_b128 v[1:4], v30
	ds_load_b128 v[33:36], v29
	ds_load_b128 v[37:40], v29 offset:256
	ds_load_b128 v[41:44], v30 offset:2048
	;; [unrolled: 1-line block ×9, first 2 shown]
	s_add_u32 s4, s4, 8
	s_addc_u32 s5, s5, 0
	v_add_co_u32 v5, vcc_lo, v5, s6
	v_cmp_ge_i64_e64 s13, s[4:5], s[16:17]
	v_add_co_ci_u32_e32 v6, vcc_lo, s7, v6, vcc_lo
	v_add_co_u32 v7, vcc_lo, v7, s8
	v_add_co_ci_u32_e32 v8, vcc_lo, s9, v8, vcc_lo
	s_delay_alu instid0(VALU_DEP_4)
	s_and_b32 vcc_lo, exec_lo, s13
	s_waitcnt lgkmcnt(9)
	v_mul_f64 v[73:74], v[3:4], v[35:36]
	v_mul_f64 v[75:76], v[1:2], v[35:36]
	s_waitcnt lgkmcnt(8)
	v_mul_f64 v[77:78], v[3:4], v[39:40]
	v_mul_f64 v[79:80], v[1:2], v[39:40]
	;; [unrolled: 3-line block ×3, first 2 shown]
	v_mul_f64 v[83:84], v[43:44], v[39:40]
	v_mul_f64 v[39:40], v[41:42], v[39:40]
	s_waitcnt lgkmcnt(4)
	v_mul_f64 v[85:86], v[47:48], v[55:56]
	v_mul_f64 v[87:88], v[45:46], v[55:56]
	s_waitcnt lgkmcnt(3)
	v_mul_f64 v[89:90], v[47:48], v[59:60]
	v_mul_f64 v[91:92], v[45:46], v[59:60]
	;; [unrolled: 1-line block ×6, first 2 shown]
	v_fma_f64 v[97:98], v[1:2], v[33:34], -v[73:74]
	v_fma_f64 v[99:100], v[3:4], v[33:34], v[75:76]
	ds_load_b128 v[73:76], v30 offset:32
	v_fma_f64 v[77:78], v[1:2], v[37:38], -v[77:78]
	v_fma_f64 v[79:80], v[3:4], v[37:38], v[79:80]
	v_fma_f64 v[81:82], v[41:42], v[33:34], -v[81:82]
	v_fma_f64 v[101:102], v[43:44], v[33:34], v[35:36]
	v_fma_f64 v[83:84], v[41:42], v[37:38], -v[83:84]
	v_fma_f64 v[103:104], v[43:44], v[37:38], v[39:40]
	s_waitcnt lgkmcnt(1)
	v_mul_f64 v[113:114], v[71:72], v[63:64]
	v_fma_f64 v[85:86], v[45:46], v[53:54], -v[85:86]
	v_fma_f64 v[87:88], v[47:48], v[53:54], v[87:88]
	v_fma_f64 v[45:46], v[45:46], v[57:58], -v[89:90]
	v_fma_f64 v[47:48], v[47:48], v[57:58], v[91:92]
	v_mul_f64 v[89:90], v[71:72], v[67:68]
	v_fma_f64 v[91:92], v[49:50], v[53:54], -v[93:94]
	v_fma_f64 v[53:54], v[51:52], v[53:54], v[55:56]
	v_fma_f64 v[49:50], v[49:50], v[57:58], -v[95:96]
	v_fma_f64 v[51:52], v[51:52], v[57:58], v[59:60]
	ds_load_b128 v[1:4], v30 offset:48
	ds_load_b128 v[33:36], v30 offset:2096
	;; [unrolled: 1-line block ×4, first 2 shown]
	s_waitcnt lgkmcnt(4)
	v_mul_f64 v[105:106], v[75:76], v[63:64]
	v_mul_f64 v[107:108], v[73:74], v[63:64]
	v_mul_f64 v[109:110], v[75:76], v[67:68]
	v_mul_f64 v[111:112], v[73:74], v[67:68]
	v_mul_f64 v[63:64], v[69:70], v[63:64]
	v_mul_f64 v[67:68], v[69:70], v[67:68]
	s_waitcnt lgkmcnt(1)
	v_mul_f64 v[93:94], v[1:2], v[39:40]
	v_add_f64 v[21:22], v[21:22], v[97:98]
	v_add_f64 v[23:24], v[23:24], v[99:100]
	;; [unrolled: 1-line block ×8, first 2 shown]
	v_mul_f64 v[83:84], v[3:4], v[39:40]
	s_waitcnt lgkmcnt(0)
	v_mul_f64 v[95:96], v[3:4], v[43:44]
	v_mul_f64 v[97:98], v[1:2], v[43:44]
	;; [unrolled: 1-line block ×6, first 2 shown]
	ds_load_b128 v[9:12], v29 offset:2048
	ds_load_b128 v[13:16], v29 offset:2304
	;; [unrolled: 1-line block ×3, first 2 shown]
	v_fma_f64 v[105:106], v[73:74], v[61:62], -v[105:106]
	v_fma_f64 v[107:108], v[75:76], v[61:62], v[107:108]
	v_fma_f64 v[73:74], v[73:74], v[65:66], -v[109:110]
	v_fma_f64 v[75:76], v[75:76], v[65:66], v[111:112]
	;; [unrolled: 2-line block ×4, first 2 shown]
	s_waitcnt lgkmcnt(0)
	v_mul_f64 v[113:114], v[19:20], v[11:12]
	v_mul_f64 v[115:116], v[19:20], v[15:16]
	v_fma_f64 v[93:94], v[3:4], v[37:38], v[93:94]
	v_add_f64 v[67:68], v[21:22], v[85:86]
	v_add_f64 v[69:70], v[23:24], v[87:88]
	;; [unrolled: 1-line block ×8, first 2 shown]
	ds_load_b128 v[21:24], v30 offset:64
	v_fma_f64 v[83:84], v[1:2], v[37:38], -v[83:84]
	v_fma_f64 v[95:96], v[1:2], v[41:42], -v[95:96]
	v_fma_f64 v[97:98], v[3:4], v[41:42], v[97:98]
	v_fma_f64 v[99:100], v[33:34], v[37:38], -v[99:100]
	v_fma_f64 v[117:118], v[35:36], v[37:38], v[39:40]
	;; [unrolled: 2-line block ×3, first 2 shown]
	ds_load_b128 v[43:46], v30 offset:80
	ds_load_b128 v[47:50], v30 offset:2128
	;; [unrolled: 1-line block ×7, first 2 shown]
	s_waitcnt lgkmcnt(7)
	v_mul_f64 v[87:88], v[23:24], v[11:12]
	v_mul_f64 v[89:90], v[21:22], v[11:12]
	;; [unrolled: 1-line block ×6, first 2 shown]
	s_waitcnt lgkmcnt(3)
	v_mul_f64 v[103:104], v[49:50], v[57:58]
	v_add_f64 v[67:68], v[67:68], v[105:106]
	v_add_f64 v[69:70], v[69:70], v[107:108]
	;; [unrolled: 1-line block ×8, first 2 shown]
	v_mul_f64 v[75:76], v[45:46], v[53:54]
	v_mul_f64 v[77:78], v[43:44], v[53:54]
	;; [unrolled: 1-line block ×7, first 2 shown]
	v_fma_f64 v[109:110], v[17:18], v[9:10], -v[113:114]
	v_fma_f64 v[113:114], v[17:18], v[13:14], -v[115:116]
	;; [unrolled: 1-line block ×3, first 2 shown]
	v_fma_f64 v[89:90], v[23:24], v[9:10], v[89:90]
	v_fma_f64 v[91:92], v[21:22], v[13:14], -v[91:92]
	v_fma_f64 v[107:108], v[23:24], v[13:14], v[111:112]
	v_fma_f64 v[111:112], v[19:20], v[9:10], v[11:12]
	;; [unrolled: 1-line block ×3, first 2 shown]
	ds_load_b128 v[9:12], v30 offset:96
	v_add_f64 v[67:68], v[67:68], v[83:84]
	v_add_f64 v[69:70], v[69:70], v[93:94]
	;; [unrolled: 1-line block ×8, first 2 shown]
	s_waitcnt lgkmcnt(1)
	v_mul_f64 v[99:100], v[39:40], v[3:4]
	v_fma_f64 v[75:76], v[43:44], v[51:52], -v[75:76]
	v_fma_f64 v[77:78], v[45:46], v[51:52], v[77:78]
	v_fma_f64 v[43:44], v[43:44], v[55:56], -v[79:80]
	v_fma_f64 v[45:46], v[45:46], v[55:56], v[81:82]
	v_mul_f64 v[79:80], v[39:40], v[35:36]
	v_fma_f64 v[81:82], v[47:48], v[51:52], -v[85:86]
	v_fma_f64 v[51:52], v[49:50], v[51:52], v[53:54]
	s_waitcnt lgkmcnt(0)
	v_mul_f64 v[65:66], v[11:12], v[3:4]
	v_mul_f64 v[93:94], v[9:10], v[3:4]
	;; [unrolled: 1-line block ×6, first 2 shown]
	v_fma_f64 v[47:48], v[47:48], v[55:56], -v[103:104]
	v_fma_f64 v[49:50], v[49:50], v[55:56], v[105:106]
	ds_load_b128 v[13:16], v30 offset:112
	ds_load_b128 v[17:20], v30 offset:2160
	;; [unrolled: 1-line block ×4, first 2 shown]
	s_waitcnt lgkmcnt(0)
	s_barrier
	buffer_gl0_inv
	v_add_f64 v[53:54], v[67:68], v[87:88]
	v_add_f64 v[55:56], v[69:70], v[89:90]
	;; [unrolled: 1-line block ×8, first 2 shown]
	v_mul_f64 v[73:74], v[15:16], v[23:24]
	v_mul_f64 v[83:84], v[13:14], v[23:24]
	;; [unrolled: 1-line block ×8, first 2 shown]
	v_fma_f64 v[65:66], v[9:10], v[1:2], -v[65:66]
	v_fma_f64 v[93:94], v[11:12], v[1:2], v[93:94]
	v_fma_f64 v[9:10], v[9:10], v[33:34], -v[95:96]
	v_fma_f64 v[11:12], v[11:12], v[33:34], v[97:98]
	;; [unrolled: 2-line block ×4, first 2 shown]
	v_add_f64 v[35:36], v[53:54], v[75:76]
	v_add_f64 v[37:38], v[55:56], v[77:78]
	;; [unrolled: 1-line block ×8, first 2 shown]
	v_fma_f64 v[49:50], v[13:14], v[21:22], -v[73:74]
	v_fma_f64 v[53:54], v[15:16], v[21:22], v[83:84]
	v_fma_f64 v[13:14], v[13:14], v[57:58], -v[85:86]
	v_fma_f64 v[15:16], v[15:16], v[57:58], v[87:88]
	;; [unrolled: 2-line block ×4, first 2 shown]
	v_add_f64 v[17:18], v[35:36], v[65:66]
	v_add_f64 v[19:20], v[37:38], v[93:94]
	;; [unrolled: 1-line block ×16, first 2 shown]
	s_cbranch_vccnz .LBB1376_9
.LBB1376_3:                             ; =>This Inner Loop Header: Depth=1
	v_add_co_u32 v1, s13, v28, s4
	s_delay_alu instid0(VALU_DEP_1) | instskip(NEXT) | instid1(VALU_DEP_1)
	v_add_co_ci_u32_e64 v2, null, 0, s5, s13
	v_cmp_le_i64_e32 vcc_lo, s[16:17], v[1:2]
	s_or_b32 s13, s3, vcc_lo
	s_delay_alu instid0(SALU_CYCLE_1) | instskip(NEXT) | instid1(SALU_CYCLE_1)
	s_and_saveexec_b32 s14, s13
	s_xor_b32 s13, exec_lo, s14
	s_cbranch_execz .LBB1376_5
; %bb.4:                                ;   in Loop: Header=BB1376_3 Depth=1
	v_mov_b32_e32 v1, v0
	v_mov_b32_e32 v2, v0
	;; [unrolled: 1-line block ×3, first 2 shown]
	ds_store_b128 v31, v[0:3]
.LBB1376_5:                             ;   in Loop: Header=BB1376_3 Depth=1
	s_and_not1_saveexec_b32 s13, s13
	s_cbranch_execz .LBB1376_7
; %bb.6:                                ;   in Loop: Header=BB1376_3 Depth=1
	global_load_b128 v[1:4], v[5:6], off
	s_waitcnt vmcnt(0)
	ds_store_2addr_b64 v31, v[1:2], v[3:4] offset1:1
.LBB1376_7:                             ;   in Loop: Header=BB1376_3 Depth=1
	s_or_b32 exec_lo, exec_lo, s13
	v_add_co_u32 v3, s13, v27, s4
	s_delay_alu instid0(VALU_DEP_1) | instskip(SKIP_2) | instid1(VALU_DEP_3)
	v_add_co_ci_u32_e64 v4, null, 0, s5, s13
	v_mov_b32_e32 v1, 0
	v_mov_b32_e32 v2, 0
	v_cmp_gt_i64_e32 vcc_lo, s[16:17], v[3:4]
	s_delay_alu instid0(VALU_DEP_2) | instskip(SKIP_1) | instid1(SALU_CYCLE_1)
	v_dual_mov_b32 v4, v2 :: v_dual_mov_b32 v3, v1
	s_and_b32 s14, vcc_lo, s2
	s_and_saveexec_b32 s13, s14
	s_cbranch_execz .LBB1376_2
; %bb.8:                                ;   in Loop: Header=BB1376_3 Depth=1
	global_load_b128 v[1:4], v[7:8], off offset:-8
	s_waitcnt vmcnt(0)
	v_xor_b32_e32 v4, 0x80000000, v4
	s_branch .LBB1376_2
.LBB1376_9:
	s_load_b128 s[4:7], s[0:1], 0x60
	v_add_nc_u32_e32 v4, s12, v26
	s_load_b64 s[0:1], s[0:1], 0x70
	s_delay_alu instid0(VALU_DEP_1) | instskip(SKIP_2) | instid1(VALU_DEP_2)
	v_ashrrev_i32_e32 v0, 31, v4
	v_cmp_gt_i32_e32 vcc_lo, s10, v4
	s_waitcnt lgkmcnt(0)
	v_mul_lo_u32 v3, v0, s6
	v_mul_lo_u32 v5, v4, s7
	v_mad_u64_u32 v[1:2], null, v4, s6, 0
	s_mul_i32 s1, s15, s1
	s_mul_hi_u32 s2, s15, s0
	s_mul_i32 s0, s15, s0
	s_add_i32 s1, s2, s1
	v_add_nc_u32_e32 v0, s11, v25
	s_lshl_b64 s[2:3], s[0:1], 4
	s_delay_alu instid0(VALU_DEP_2) | instskip(SKIP_3) | instid1(VALU_DEP_2)
	v_add3_u32 v2, v2, v5, v3
	s_add_u32 s2, s4, s2
	s_addc_u32 s3, s5, s3
	v_cmp_le_i32_e64 s0, v0, v4
	v_lshlrev_b64 v[1:2], 4, v[1:2]
	s_delay_alu instid0(VALU_DEP_2) | instskip(NEXT) | instid1(VALU_DEP_1)
	s_and_b32 s0, vcc_lo, s0
	v_add_co_u32 v5, s1, s2, v1
	s_delay_alu instid0(VALU_DEP_1)
	v_add_co_ci_u32_e64 v6, s1, s3, v2, s1
	s_and_saveexec_b32 s4, s0
	s_cbranch_execz .LBB1376_11
; %bb.10:
	v_mul_f64 v[1:2], s[18:19], v[23:24]
	v_mul_f64 v[7:8], s[20:21], v[23:24]
	v_cmp_ne_u32_e64 s0, v4, v0
	s_delay_alu instid0(VALU_DEP_3) | instskip(NEXT) | instid1(VALU_DEP_3)
	v_fma_f64 v[2:3], s[20:21], v[21:22], v[1:2]
	v_fma_f64 v[21:22], s[18:19], v[21:22], -v[7:8]
	v_ashrrev_i32_e32 v1, 31, v0
	s_delay_alu instid0(VALU_DEP_1) | instskip(NEXT) | instid1(VALU_DEP_1)
	v_lshlrev_b64 v[7:8], 4, v[0:1]
	v_add_co_u32 v7, s1, v5, v7
	s_delay_alu instid0(VALU_DEP_1)
	v_add_co_ci_u32_e64 v8, s1, v6, v8, s1
	v_cndmask_b32_e64 v24, 0, v3, s0
	v_cndmask_b32_e64 v23, 0, v2, s0
	global_store_b128 v[7:8], v[21:24], off
.LBB1376_11:
	s_or_b32 exec_lo, exec_lo, s4
	v_add_nc_u32_e32 v2, 16, v0
	s_delay_alu instid0(VALU_DEP_1) | instskip(NEXT) | instid1(VALU_DEP_1)
	v_cmp_le_i32_e64 s0, v2, v4
	s_and_b32 s0, vcc_lo, s0
	s_delay_alu instid0(SALU_CYCLE_1)
	s_and_saveexec_b32 s1, s0
	s_cbranch_execz .LBB1376_13
; %bb.12:
	v_mul_f64 v[7:8], s[18:19], v[19:20]
	v_mul_f64 v[19:20], s[20:21], v[19:20]
	v_ashrrev_i32_e32 v3, 31, v2
	v_cmp_ne_u32_e32 vcc_lo, v4, v2
	s_delay_alu instid0(VALU_DEP_4) | instskip(NEXT) | instid1(VALU_DEP_4)
	v_fma_f64 v[7:8], s[20:21], v[17:18], v[7:8]
	v_fma_f64 v[17:18], s[18:19], v[17:18], -v[19:20]
	s_delay_alu instid0(VALU_DEP_4) | instskip(NEXT) | instid1(VALU_DEP_1)
	v_lshlrev_b64 v[19:20], 4, v[2:3]
	v_add_co_u32 v5, s0, v5, v19
	s_delay_alu instid0(VALU_DEP_1)
	v_add_co_ci_u32_e64 v6, s0, v6, v20, s0
	v_dual_cndmask_b32 v20, 0, v8 :: v_dual_cndmask_b32 v19, 0, v7
	global_store_b128 v[5:6], v[17:20], off
.LBB1376_13:
	s_or_b32 exec_lo, exec_lo, s1
	v_add_nc_u32_e32 v3, 16, v4
	s_delay_alu instid0(VALU_DEP_1) | instskip(SKIP_3) | instid1(VALU_DEP_4)
	v_ashrrev_i32_e32 v1, 31, v3
	v_mul_lo_u32 v7, v3, s7
	v_mad_u64_u32 v[5:6], null, v3, s6, 0
	v_cmp_gt_i32_e32 vcc_lo, s10, v3
	v_mul_lo_u32 v1, v1, s6
	v_cmp_le_i32_e64 s0, v0, v3
	s_delay_alu instid0(VALU_DEP_1) | instskip(NEXT) | instid1(VALU_DEP_2)
	s_and_b32 s0, vcc_lo, s0
	v_add3_u32 v6, v6, v7, v1
	s_delay_alu instid0(VALU_DEP_1) | instskip(NEXT) | instid1(VALU_DEP_1)
	v_lshlrev_b64 v[5:6], 4, v[5:6]
	v_add_co_u32 v5, s1, s2, v5
	s_delay_alu instid0(VALU_DEP_1)
	v_add_co_ci_u32_e64 v6, s1, s3, v6, s1
	s_and_saveexec_b32 s2, s0
	s_cbranch_execz .LBB1376_15
; %bb.14:
	v_mul_f64 v[7:8], s[18:19], v[15:16]
	v_mul_f64 v[15:16], s[20:21], v[15:16]
	v_ashrrev_i32_e32 v1, 31, v0
	v_cmp_ne_u32_e64 s0, v3, v0
	s_delay_alu instid0(VALU_DEP_4) | instskip(NEXT) | instid1(VALU_DEP_4)
	v_fma_f64 v[7:8], s[20:21], v[13:14], v[7:8]
	v_fma_f64 v[13:14], s[18:19], v[13:14], -v[15:16]
	s_delay_alu instid0(VALU_DEP_4) | instskip(NEXT) | instid1(VALU_DEP_1)
	v_lshlrev_b64 v[15:16], 4, v[0:1]
	v_add_co_u32 v17, s1, v5, v15
	s_delay_alu instid0(VALU_DEP_1)
	v_add_co_ci_u32_e64 v18, s1, v6, v16, s1
	v_cndmask_b32_e64 v16, 0, v8, s0
	v_cndmask_b32_e64 v15, 0, v7, s0
	global_store_b128 v[17:18], v[13:16], off
.LBB1376_15:
	s_or_b32 exec_lo, exec_lo, s2
	v_cmp_le_i32_e64 s0, v2, v3
	s_delay_alu instid0(VALU_DEP_1) | instskip(NEXT) | instid1(SALU_CYCLE_1)
	s_and_b32 s0, vcc_lo, s0
	s_and_saveexec_b32 s1, s0
	s_cbranch_execz .LBB1376_17
; %bb.16:
	v_mul_f64 v[7:8], s[18:19], v[9:10]
	v_mul_f64 v[9:10], s[20:21], v[9:10]
	v_ashrrev_i32_e32 v3, 31, v2
	v_cmp_ne_u32_e32 vcc_lo, v4, v0
	s_delay_alu instid0(VALU_DEP_2) | instskip(NEXT) | instid1(VALU_DEP_1)
	v_lshlrev_b64 v[1:2], 4, v[2:3]
	v_add_co_u32 v0, s0, v5, v1
	s_delay_alu instid0(VALU_DEP_1) | instskip(SKIP_2) | instid1(VALU_DEP_2)
	v_add_co_ci_u32_e64 v1, s0, v6, v2, s0
	v_fma_f64 v[13:14], s[20:21], v[11:12], v[7:8]
	v_fma_f64 v[7:8], s[18:19], v[11:12], -v[9:10]
	v_dual_cndmask_b32 v10, 0, v14 :: v_dual_cndmask_b32 v9, 0, v13
	global_store_b128 v[0:1], v[7:10], off
.LBB1376_17:
	s_nop 0
	s_sendmsg sendmsg(MSG_DEALLOC_VGPRS)
	s_endpgm
	.section	.rodata,"a",@progbits
	.p2align	6, 0x0
	.amdhsa_kernel _ZL34rocblas_syrkx_herkx_general_kernelIl19rocblas_complex_numIdELi16ELi32ELi8ELb1ELb1ELc78ELc85EKS1_S1_EviT_T0_PT8_S3_lS6_S3_lS4_PT9_S3_li
		.amdhsa_group_segment_fixed_size 8192
		.amdhsa_private_segment_fixed_size 0
		.amdhsa_kernarg_size 124
		.amdhsa_user_sgpr_count 13
		.amdhsa_user_sgpr_dispatch_ptr 0
		.amdhsa_user_sgpr_queue_ptr 0
		.amdhsa_user_sgpr_kernarg_segment_ptr 1
		.amdhsa_user_sgpr_dispatch_id 0
		.amdhsa_user_sgpr_private_segment_size 0
		.amdhsa_wavefront_size32 1
		.amdhsa_uses_dynamic_stack 0
		.amdhsa_enable_private_segment 0
		.amdhsa_system_sgpr_workgroup_id_x 1
		.amdhsa_system_sgpr_workgroup_id_y 1
		.amdhsa_system_sgpr_workgroup_id_z 1
		.amdhsa_system_sgpr_workgroup_info 0
		.amdhsa_system_vgpr_workitem_id 1
		.amdhsa_next_free_vgpr 119
		.amdhsa_next_free_sgpr 32
		.amdhsa_reserve_vcc 1
		.amdhsa_float_round_mode_32 0
		.amdhsa_float_round_mode_16_64 0
		.amdhsa_float_denorm_mode_32 3
		.amdhsa_float_denorm_mode_16_64 3
		.amdhsa_dx10_clamp 1
		.amdhsa_ieee_mode 1
		.amdhsa_fp16_overflow 0
		.amdhsa_workgroup_processor_mode 1
		.amdhsa_memory_ordered 1
		.amdhsa_forward_progress 0
		.amdhsa_shared_vgpr_count 0
		.amdhsa_exception_fp_ieee_invalid_op 0
		.amdhsa_exception_fp_denorm_src 0
		.amdhsa_exception_fp_ieee_div_zero 0
		.amdhsa_exception_fp_ieee_overflow 0
		.amdhsa_exception_fp_ieee_underflow 0
		.amdhsa_exception_fp_ieee_inexact 0
		.amdhsa_exception_int_div_zero 0
	.end_amdhsa_kernel
	.section	.text._ZL34rocblas_syrkx_herkx_general_kernelIl19rocblas_complex_numIdELi16ELi32ELi8ELb1ELb1ELc78ELc85EKS1_S1_EviT_T0_PT8_S3_lS6_S3_lS4_PT9_S3_li,"axG",@progbits,_ZL34rocblas_syrkx_herkx_general_kernelIl19rocblas_complex_numIdELi16ELi32ELi8ELb1ELb1ELc78ELc85EKS1_S1_EviT_T0_PT8_S3_lS6_S3_lS4_PT9_S3_li,comdat
.Lfunc_end1376:
	.size	_ZL34rocblas_syrkx_herkx_general_kernelIl19rocblas_complex_numIdELi16ELi32ELi8ELb1ELb1ELc78ELc85EKS1_S1_EviT_T0_PT8_S3_lS6_S3_lS4_PT9_S3_li, .Lfunc_end1376-_ZL34rocblas_syrkx_herkx_general_kernelIl19rocblas_complex_numIdELi16ELi32ELi8ELb1ELb1ELc78ELc85EKS1_S1_EviT_T0_PT8_S3_lS6_S3_lS4_PT9_S3_li
                                        ; -- End function
	.section	.AMDGPU.csdata,"",@progbits
; Kernel info:
; codeLenInByte = 3444
; NumSgprs: 34
; NumVgprs: 119
; ScratchSize: 0
; MemoryBound: 1
; FloatMode: 240
; IeeeMode: 1
; LDSByteSize: 8192 bytes/workgroup (compile time only)
; SGPRBlocks: 4
; VGPRBlocks: 14
; NumSGPRsForWavesPerEU: 34
; NumVGPRsForWavesPerEU: 119
; Occupancy: 12
; WaveLimiterHint : 0
; COMPUTE_PGM_RSRC2:SCRATCH_EN: 0
; COMPUTE_PGM_RSRC2:USER_SGPR: 13
; COMPUTE_PGM_RSRC2:TRAP_HANDLER: 0
; COMPUTE_PGM_RSRC2:TGID_X_EN: 1
; COMPUTE_PGM_RSRC2:TGID_Y_EN: 1
; COMPUTE_PGM_RSRC2:TGID_Z_EN: 1
; COMPUTE_PGM_RSRC2:TIDIG_COMP_CNT: 1
	.section	.text._ZL34rocblas_syrkx_herkx_general_kernelIl19rocblas_complex_numIdELi16ELi32ELi8ELb0ELb1ELc84ELc76EKS1_S1_EviT_T0_PT8_S3_lS6_S3_lS4_PT9_S3_li,"axG",@progbits,_ZL34rocblas_syrkx_herkx_general_kernelIl19rocblas_complex_numIdELi16ELi32ELi8ELb0ELb1ELc84ELc76EKS1_S1_EviT_T0_PT8_S3_lS6_S3_lS4_PT9_S3_li,comdat
	.globl	_ZL34rocblas_syrkx_herkx_general_kernelIl19rocblas_complex_numIdELi16ELi32ELi8ELb0ELb1ELc84ELc76EKS1_S1_EviT_T0_PT8_S3_lS6_S3_lS4_PT9_S3_li ; -- Begin function _ZL34rocblas_syrkx_herkx_general_kernelIl19rocblas_complex_numIdELi16ELi32ELi8ELb0ELb1ELc84ELc76EKS1_S1_EviT_T0_PT8_S3_lS6_S3_lS4_PT9_S3_li
	.p2align	8
	.type	_ZL34rocblas_syrkx_herkx_general_kernelIl19rocblas_complex_numIdELi16ELi32ELi8ELb0ELb1ELc84ELc76EKS1_S1_EviT_T0_PT8_S3_lS6_S3_lS4_PT9_S3_li,@function
_ZL34rocblas_syrkx_herkx_general_kernelIl19rocblas_complex_numIdELi16ELi32ELi8ELb0ELb1ELc84ELc76EKS1_S1_EviT_T0_PT8_S3_lS6_S3_lS4_PT9_S3_li: ; @_ZL34rocblas_syrkx_herkx_general_kernelIl19rocblas_complex_numIdELi16ELi32ELi8ELb0ELb1ELc84ELc76EKS1_S1_EviT_T0_PT8_S3_lS6_S3_lS4_PT9_S3_li
; %bb.0:
	s_clause 0x3
	s_load_b512 s[16:31], s[0:1], 0x8
	s_load_b32 s12, s[0:1], 0x0
	s_load_b128 s[36:39], s[0:1], 0x68
	s_load_b256 s[4:11], s[0:1], 0x48
	v_mov_b32_e32 v20, 0
	v_dual_mov_b32 v21, 0 :: v_dual_and_b32 v24, 0x3ff, v0
	v_bfe_u32 v25, v0, 10, 10
	s_delay_alu instid0(VALU_DEP_3) | instskip(NEXT) | instid1(VALU_DEP_3)
	v_mov_b32_e32 v12, v20
	v_dual_mov_b32 v16, v20 :: v_dual_mov_b32 v17, v21
	v_dual_mov_b32 v23, v21 :: v_dual_mov_b32 v22, v20
	;; [unrolled: 1-line block ×5, first 2 shown]
	v_mov_b32_e32 v11, v21
	s_waitcnt lgkmcnt(0)
	v_cmp_lt_i64_e64 s0, s[16:17], 1
	v_dual_mov_b32 v8, v20 :: v_dual_mov_b32 v9, v21
	s_lshl_b32 s13, s13, 5
	s_lshl_b32 s14, s14, 5
	s_mov_b64 s[2:3], 0
	s_delay_alu instid0(VALU_DEP_2)
	s_and_b32 vcc_lo, exec_lo, s0
	s_cbranch_vccnz .LBB1377_11
; %bb.1:
	v_lshl_add_u32 v1, v25, 4, v24
	v_mov_b32_e32 v0, 0
	v_and_b32_e32 v26, 7, v24
	s_mul_i32 s1, s27, s15
	s_mul_hi_u32 s27, s26, s15
	v_and_b32_e32 v3, 31, v1
	v_lshrrev_b32_e32 v5, 3, v1
	v_lshrrev_b32_e32 v29, 5, v1
	v_lshlrev_b32_e32 v9, 4, v26
	s_mul_i32 s0, s26, s15
	v_add_nc_u32_e32 v4, s13, v3
	v_add_nc_u32_e32 v7, s14, v5
	v_or_b32_e32 v10, s13, v3
	v_lshlrev_b32_e32 v11, 4, v3
	v_lshl_or_b32 v5, v5, 7, v9
	v_ashrrev_i32_e32 v6, 31, v4
	v_mul_lo_u32 v8, s25, v4
	v_mad_u64_u32 v[1:2], null, s24, v4, 0
	v_ashrrev_i32_e32 v12, 31, v7
	s_delay_alu instid0(VALU_DEP_4)
	v_mul_lo_u32 v6, s24, v6
	v_mul_lo_u32 v13, s31, v7
	v_mad_u64_u32 v[3:4], null, s30, v7, 0
	s_add_i32 s1, s27, s1
	v_add_nc_u32_e32 v31, 0x1000, v5
	s_lshl_b64 s[24:25], s[0:1], 4
	v_lshlrev_b32_e32 v27, 4, v24
	v_add3_u32 v2, v2, v6, v8
	v_mul_lo_u32 v6, s30, v12
	v_cmp_gt_i32_e32 vcc_lo, s12, v10
	v_lshl_add_u32 v28, v25, 7, 0x1000
	s_delay_alu instid0(VALU_DEP_4) | instskip(NEXT) | instid1(VALU_DEP_4)
	v_lshlrev_b64 v[1:2], 4, v[1:2]
	v_add3_u32 v4, v4, v6, v13
	s_delay_alu instid0(VALU_DEP_2) | instskip(NEXT) | instid1(VALU_DEP_1)
	v_add_co_u32 v5, s1, v1, s24
	v_add_co_ci_u32_e64 v6, s1, s25, v2, s1
	s_mul_i32 s1, s5, s15
	s_mul_hi_u32 s5, s4, s15
	v_lshlrev_b64 v[1:2], 4, v[3:4]
	s_add_i32 s5, s5, s1
	s_mul_i32 s4, s4, s15
	v_lshlrev_b32_e32 v3, 4, v29
	s_lshl_b64 s[4:5], s[4:5], 4
	s_delay_alu instid0(VALU_DEP_2) | instid1(SALU_CYCLE_1)
	v_add_co_u32 v1, s1, v1, s4
	s_delay_alu instid0(VALU_DEP_1) | instskip(NEXT) | instid1(VALU_DEP_3)
	v_add_co_ci_u32_e64 v2, s1, s5, v2, s1
	v_add_co_u32 v3, s1, v5, v3
	s_delay_alu instid0(VALU_DEP_1) | instskip(NEXT) | instid1(VALU_DEP_4)
	v_add_co_ci_u32_e64 v5, s1, 0, v6, s1
	v_add_co_u32 v1, s1, v1, v9
	v_mov_b32_e32 v8, 0
	v_mov_b32_e32 v9, 0
	v_add_co_ci_u32_e64 v2, s1, 0, v2, s1
	v_add_co_u32 v4, s1, s22, v3
	s_delay_alu instid0(VALU_DEP_3)
	v_mov_b32_e32 v19, v9
	v_add_co_ci_u32_e64 v5, s1, s23, v5, s1
	v_mov_b32_e32 v18, v8
	v_lshl_or_b32 v30, v29, 9, v11
	v_mov_b32_e32 v11, v9
	v_add_co_u32 v6, s1, s28, v1
	v_mov_b32_e32 v10, v8
	v_cmp_gt_i32_e64 s0, s12, v7
	v_mov_b32_e32 v15, v9
	v_mov_b32_e32 v17, v9
	;; [unrolled: 1-line block ×4, first 2 shown]
	v_dual_mov_b32 v21, v9 :: v_dual_mov_b32 v20, v8
	v_add_co_ci_u32_e64 v7, s1, s29, v2, s1
	v_mov_b32_e32 v14, v8
	v_mov_b32_e32 v16, v8
	;; [unrolled: 1-line block ×4, first 2 shown]
	s_xor_b32 s1, vcc_lo, -1
	s_xor_b32 s0, s0, -1
	s_branch .LBB1377_3
.LBB1377_2:                             ;   in Loop: Header=BB1377_3 Depth=1
	s_or_b32 exec_lo, exec_lo, s4
	s_waitcnt lgkmcnt(0)
	s_barrier
	buffer_gl0_inv
	ds_load_b128 v[32:35], v28
	ds_load_b128 v[36:39], v28 offset:16
	ds_load_b128 v[40:43], v28 offset:32
	;; [unrolled: 1-line block ×3, first 2 shown]
	ds_load_b128 v[48:51], v27
	s_add_u32 s2, s2, 8
	s_addc_u32 s3, s3, 0
	v_add_co_u32 v4, vcc_lo, 0x80, v4
	v_add_co_ci_u32_e32 v5, vcc_lo, 0, v5, vcc_lo
	v_cmp_ge_i64_e64 s4, s[2:3], s[16:17]
	v_add_co_u32 v6, vcc_lo, 0x80, v6
	v_add_co_ci_u32_e32 v7, vcc_lo, 0, v7, vcc_lo
	s_delay_alu instid0(VALU_DEP_3) | instskip(SKIP_3) | instid1(VALU_DEP_2)
	s_and_b32 vcc_lo, exec_lo, s4
	s_waitcnt lgkmcnt(0)
	v_mul_f64 v[1:2], v[34:35], v[50:51]
	v_mul_f64 v[52:53], v[32:33], v[50:51]
	v_fma_f64 v[1:2], v[32:33], v[48:49], -v[1:2]
	s_delay_alu instid0(VALU_DEP_2) | instskip(NEXT) | instid1(VALU_DEP_2)
	v_fma_f64 v[52:53], v[34:35], v[48:49], v[52:53]
	v_add_f64 v[1:2], v[20:21], v[1:2]
	s_delay_alu instid0(VALU_DEP_2) | instskip(SKIP_3) | instid1(VALU_DEP_1)
	v_add_f64 v[52:53], v[22:23], v[52:53]
	ds_load_b128 v[20:23], v27 offset:256
	s_waitcnt lgkmcnt(0)
	v_mul_f64 v[54:55], v[34:35], v[22:23]
	v_fma_f64 v[54:55], v[32:33], v[20:21], -v[54:55]
	v_mul_f64 v[32:33], v[32:33], v[22:23]
	s_delay_alu instid0(VALU_DEP_2) | instskip(NEXT) | instid1(VALU_DEP_2)
	v_add_f64 v[54:55], v[12:13], v[54:55]
	v_fma_f64 v[32:33], v[34:35], v[20:21], v[32:33]
	s_delay_alu instid0(VALU_DEP_1) | instskip(SKIP_4) | instid1(VALU_DEP_2)
	v_add_f64 v[16:17], v[16:17], v[32:33]
	ds_load_b128 v[32:35], v28 offset:2048
	s_waitcnt lgkmcnt(0)
	v_mul_f64 v[12:13], v[34:35], v[50:51]
	v_mul_f64 v[50:51], v[32:33], v[50:51]
	v_fma_f64 v[12:13], v[32:33], v[48:49], -v[12:13]
	s_delay_alu instid0(VALU_DEP_2) | instskip(NEXT) | instid1(VALU_DEP_2)
	v_fma_f64 v[48:49], v[34:35], v[48:49], v[50:51]
	v_add_f64 v[50:51], v[14:15], v[12:13]
	v_mul_f64 v[12:13], v[34:35], v[22:23]
	v_mul_f64 v[14:15], v[32:33], v[22:23]
	s_delay_alu instid0(VALU_DEP_4) | instskip(NEXT) | instid1(VALU_DEP_3)
	v_add_f64 v[48:49], v[18:19], v[48:49]
	v_fma_f64 v[12:13], v[32:33], v[20:21], -v[12:13]
	s_delay_alu instid0(VALU_DEP_3) | instskip(NEXT) | instid1(VALU_DEP_2)
	v_fma_f64 v[14:15], v[34:35], v[20:21], v[14:15]
	v_add_f64 v[20:21], v[10:11], v[12:13]
	s_delay_alu instid0(VALU_DEP_2) | instskip(SKIP_4) | instid1(VALU_DEP_2)
	v_add_f64 v[22:23], v[8:9], v[14:15]
	ds_load_b128 v[8:11], v27 offset:512
	s_waitcnt lgkmcnt(0)
	v_mul_f64 v[12:13], v[38:39], v[10:11]
	v_mul_f64 v[14:15], v[36:37], v[10:11]
	v_fma_f64 v[12:13], v[36:37], v[8:9], -v[12:13]
	s_delay_alu instid0(VALU_DEP_2) | instskip(NEXT) | instid1(VALU_DEP_2)
	v_fma_f64 v[14:15], v[38:39], v[8:9], v[14:15]
	v_add_f64 v[1:2], v[1:2], v[12:13]
	s_delay_alu instid0(VALU_DEP_2) | instskip(SKIP_4) | instid1(VALU_DEP_2)
	v_add_f64 v[32:33], v[52:53], v[14:15]
	ds_load_b128 v[12:15], v27 offset:768
	s_waitcnt lgkmcnt(0)
	v_mul_f64 v[18:19], v[38:39], v[14:15]
	v_mul_f64 v[34:35], v[36:37], v[14:15]
	v_fma_f64 v[18:19], v[36:37], v[12:13], -v[18:19]
	s_delay_alu instid0(VALU_DEP_2) | instskip(NEXT) | instid1(VALU_DEP_2)
	v_fma_f64 v[34:35], v[38:39], v[12:13], v[34:35]
	v_add_f64 v[36:37], v[54:55], v[18:19]
	s_delay_alu instid0(VALU_DEP_2) | instskip(SKIP_4) | instid1(VALU_DEP_2)
	v_add_f64 v[34:35], v[16:17], v[34:35]
	ds_load_b128 v[16:19], v28 offset:2064
	s_waitcnt lgkmcnt(0)
	v_mul_f64 v[38:39], v[18:19], v[10:11]
	v_mul_f64 v[10:11], v[16:17], v[10:11]
	v_fma_f64 v[38:39], v[16:17], v[8:9], -v[38:39]
	s_delay_alu instid0(VALU_DEP_2) | instskip(SKIP_1) | instid1(VALU_DEP_3)
	v_fma_f64 v[8:9], v[18:19], v[8:9], v[10:11]
	v_mul_f64 v[10:11], v[16:17], v[14:15]
	v_add_f64 v[38:39], v[50:51], v[38:39]
	s_delay_alu instid0(VALU_DEP_3) | instskip(SKIP_1) | instid1(VALU_DEP_4)
	v_add_f64 v[48:49], v[48:49], v[8:9]
	v_mul_f64 v[8:9], v[18:19], v[14:15]
	v_fma_f64 v[10:11], v[18:19], v[12:13], v[10:11]
	s_delay_alu instid0(VALU_DEP_2) | instskip(NEXT) | instid1(VALU_DEP_2)
	v_fma_f64 v[8:9], v[16:17], v[12:13], -v[8:9]
	v_add_f64 v[22:23], v[22:23], v[10:11]
	s_delay_alu instid0(VALU_DEP_2) | instskip(SKIP_4) | instid1(VALU_DEP_2)
	v_add_f64 v[20:21], v[20:21], v[8:9]
	ds_load_b128 v[8:11], v27 offset:1024
	s_waitcnt lgkmcnt(0)
	v_mul_f64 v[12:13], v[42:43], v[10:11]
	v_mul_f64 v[14:15], v[40:41], v[10:11]
	v_fma_f64 v[12:13], v[40:41], v[8:9], -v[12:13]
	s_delay_alu instid0(VALU_DEP_2) | instskip(NEXT) | instid1(VALU_DEP_2)
	v_fma_f64 v[14:15], v[42:43], v[8:9], v[14:15]
	v_add_f64 v[1:2], v[1:2], v[12:13]
	s_delay_alu instid0(VALU_DEP_2) | instskip(SKIP_4) | instid1(VALU_DEP_2)
	v_add_f64 v[32:33], v[32:33], v[14:15]
	ds_load_b128 v[12:15], v27 offset:1280
	s_waitcnt lgkmcnt(0)
	v_mul_f64 v[16:17], v[42:43], v[14:15]
	v_mul_f64 v[18:19], v[40:41], v[14:15]
	v_fma_f64 v[16:17], v[40:41], v[12:13], -v[16:17]
	s_delay_alu instid0(VALU_DEP_2) | instskip(NEXT) | instid1(VALU_DEP_2)
	v_fma_f64 v[18:19], v[42:43], v[12:13], v[18:19]
	v_add_f64 v[36:37], v[36:37], v[16:17]
	s_delay_alu instid0(VALU_DEP_2) | instskip(SKIP_4) | instid1(VALU_DEP_2)
	v_add_f64 v[34:35], v[34:35], v[18:19]
	ds_load_b128 v[16:19], v28 offset:2080
	s_waitcnt lgkmcnt(0)
	v_mul_f64 v[40:41], v[18:19], v[10:11]
	v_mul_f64 v[10:11], v[16:17], v[10:11]
	v_fma_f64 v[40:41], v[16:17], v[8:9], -v[40:41]
	s_delay_alu instid0(VALU_DEP_2) | instskip(SKIP_1) | instid1(VALU_DEP_3)
	v_fma_f64 v[8:9], v[18:19], v[8:9], v[10:11]
	v_mul_f64 v[10:11], v[16:17], v[14:15]
	v_add_f64 v[38:39], v[38:39], v[40:41]
	s_delay_alu instid0(VALU_DEP_3) | instskip(SKIP_1) | instid1(VALU_DEP_4)
	v_add_f64 v[40:41], v[48:49], v[8:9]
	v_mul_f64 v[8:9], v[18:19], v[14:15]
	v_fma_f64 v[10:11], v[18:19], v[12:13], v[10:11]
	s_delay_alu instid0(VALU_DEP_2) | instskip(NEXT) | instid1(VALU_DEP_2)
	v_fma_f64 v[8:9], v[16:17], v[12:13], -v[8:9]
	;; [unrolled: 38-line block ×3, first 2 shown]
	v_add_f64 v[22:23], v[22:23], v[10:11]
	s_delay_alu instid0(VALU_DEP_2)
	v_add_f64 v[20:21], v[20:21], v[8:9]
	ds_load_b128 v[8:11], v28 offset:64
	ds_load_b128 v[12:15], v27 offset:2048
	s_waitcnt lgkmcnt(0)
	v_mul_f64 v[16:17], v[10:11], v[14:15]
	v_mul_f64 v[18:19], v[8:9], v[14:15]
	s_delay_alu instid0(VALU_DEP_2) | instskip(NEXT) | instid1(VALU_DEP_2)
	v_fma_f64 v[16:17], v[8:9], v[12:13], -v[16:17]
	v_fma_f64 v[18:19], v[10:11], v[12:13], v[18:19]
	s_delay_alu instid0(VALU_DEP_2) | instskip(NEXT) | instid1(VALU_DEP_2)
	v_add_f64 v[1:2], v[1:2], v[16:17]
	v_add_f64 v[32:33], v[32:33], v[18:19]
	ds_load_b128 v[16:19], v27 offset:2304
	s_waitcnt lgkmcnt(0)
	v_mul_f64 v[42:43], v[10:11], v[18:19]
	s_delay_alu instid0(VALU_DEP_1) | instskip(SKIP_1) | instid1(VALU_DEP_2)
	v_fma_f64 v[42:43], v[8:9], v[16:17], -v[42:43]
	v_mul_f64 v[8:9], v[8:9], v[18:19]
	v_add_f64 v[36:37], v[36:37], v[42:43]
	s_delay_alu instid0(VALU_DEP_2) | instskip(NEXT) | instid1(VALU_DEP_1)
	v_fma_f64 v[8:9], v[10:11], v[16:17], v[8:9]
	v_add_f64 v[34:35], v[34:35], v[8:9]
	ds_load_b128 v[8:11], v28 offset:2112
	s_waitcnt lgkmcnt(0)
	v_mul_f64 v[42:43], v[10:11], v[14:15]
	v_mul_f64 v[14:15], v[8:9], v[14:15]
	s_delay_alu instid0(VALU_DEP_2) | instskip(NEXT) | instid1(VALU_DEP_2)
	v_fma_f64 v[42:43], v[8:9], v[12:13], -v[42:43]
	v_fma_f64 v[12:13], v[10:11], v[12:13], v[14:15]
	s_delay_alu instid0(VALU_DEP_2) | instskip(NEXT) | instid1(VALU_DEP_2)
	v_add_f64 v[38:39], v[38:39], v[42:43]
	v_add_f64 v[40:41], v[40:41], v[12:13]
	v_mul_f64 v[12:13], v[10:11], v[18:19]
	s_delay_alu instid0(VALU_DEP_1) | instskip(SKIP_1) | instid1(VALU_DEP_2)
	v_fma_f64 v[12:13], v[8:9], v[16:17], -v[12:13]
	v_mul_f64 v[8:9], v[8:9], v[18:19]
	v_add_f64 v[20:21], v[20:21], v[12:13]
	s_delay_alu instid0(VALU_DEP_2) | instskip(NEXT) | instid1(VALU_DEP_1)
	v_fma_f64 v[8:9], v[10:11], v[16:17], v[8:9]
	v_add_f64 v[22:23], v[22:23], v[8:9]
	ds_load_b128 v[8:11], v28 offset:80
	ds_load_b128 v[12:15], v27 offset:2560
	s_waitcnt lgkmcnt(0)
	v_mul_f64 v[16:17], v[10:11], v[14:15]
	v_mul_f64 v[18:19], v[8:9], v[14:15]
	s_delay_alu instid0(VALU_DEP_2) | instskip(NEXT) | instid1(VALU_DEP_2)
	v_fma_f64 v[16:17], v[8:9], v[12:13], -v[16:17]
	v_fma_f64 v[18:19], v[10:11], v[12:13], v[18:19]
	s_delay_alu instid0(VALU_DEP_2) | instskip(NEXT) | instid1(VALU_DEP_2)
	v_add_f64 v[1:2], v[1:2], v[16:17]
	v_add_f64 v[32:33], v[32:33], v[18:19]
	ds_load_b128 v[16:19], v27 offset:2816
	s_waitcnt lgkmcnt(0)
	v_mul_f64 v[42:43], v[10:11], v[18:19]
	s_delay_alu instid0(VALU_DEP_1) | instskip(SKIP_1) | instid1(VALU_DEP_2)
	v_fma_f64 v[42:43], v[8:9], v[16:17], -v[42:43]
	v_mul_f64 v[8:9], v[8:9], v[18:19]
	v_add_f64 v[36:37], v[36:37], v[42:43]
	s_delay_alu instid0(VALU_DEP_2) | instskip(NEXT) | instid1(VALU_DEP_1)
	v_fma_f64 v[8:9], v[10:11], v[16:17], v[8:9]
	v_add_f64 v[34:35], v[34:35], v[8:9]
	ds_load_b128 v[8:11], v28 offset:2128
	s_waitcnt lgkmcnt(0)
	v_mul_f64 v[42:43], v[10:11], v[14:15]
	v_mul_f64 v[14:15], v[8:9], v[14:15]
	s_delay_alu instid0(VALU_DEP_2) | instskip(NEXT) | instid1(VALU_DEP_2)
	v_fma_f64 v[42:43], v[8:9], v[12:13], -v[42:43]
	v_fma_f64 v[12:13], v[10:11], v[12:13], v[14:15]
	s_delay_alu instid0(VALU_DEP_2) | instskip(NEXT) | instid1(VALU_DEP_2)
	v_add_f64 v[38:39], v[38:39], v[42:43]
	v_add_f64 v[40:41], v[40:41], v[12:13]
	v_mul_f64 v[12:13], v[10:11], v[18:19]
	s_delay_alu instid0(VALU_DEP_1) | instskip(SKIP_1) | instid1(VALU_DEP_2)
	v_fma_f64 v[12:13], v[8:9], v[16:17], -v[12:13]
	v_mul_f64 v[8:9], v[8:9], v[18:19]
	v_add_f64 v[20:21], v[20:21], v[12:13]
	s_delay_alu instid0(VALU_DEP_2) | instskip(NEXT) | instid1(VALU_DEP_1)
	v_fma_f64 v[8:9], v[10:11], v[16:17], v[8:9]
	;; [unrolled: 39-line block ×3, first 2 shown]
	v_add_f64 v[50:51], v[22:23], v[8:9]
	ds_load_b128 v[8:11], v28 offset:112
	ds_load_b128 v[32:35], v27 offset:3584
	;; [unrolled: 1-line block ×3, first 2 shown]
	s_waitcnt lgkmcnt(1)
	v_mul_f64 v[12:13], v[10:11], v[34:35]
	v_mul_f64 v[16:17], v[8:9], v[34:35]
	s_delay_alu instid0(VALU_DEP_2) | instskip(NEXT) | instid1(VALU_DEP_2)
	v_fma_f64 v[12:13], v[8:9], v[32:33], -v[12:13]
	v_fma_f64 v[16:17], v[10:11], v[32:33], v[16:17]
	s_delay_alu instid0(VALU_DEP_2) | instskip(SKIP_2) | instid1(VALU_DEP_3)
	v_add_f64 v[20:21], v[1:2], v[12:13]
	s_waitcnt lgkmcnt(0)
	v_mul_f64 v[1:2], v[10:11], v[38:39]
	v_add_f64 v[22:23], v[42:43], v[16:17]
	s_delay_alu instid0(VALU_DEP_2) | instskip(SKIP_1) | instid1(VALU_DEP_2)
	v_fma_f64 v[1:2], v[8:9], v[36:37], -v[1:2]
	v_mul_f64 v[8:9], v[8:9], v[38:39]
	v_add_f64 v[12:13], v[44:45], v[1:2]
	s_delay_alu instid0(VALU_DEP_2) | instskip(NEXT) | instid1(VALU_DEP_1)
	v_fma_f64 v[8:9], v[10:11], v[36:37], v[8:9]
	v_add_f64 v[16:17], v[46:47], v[8:9]
	ds_load_b128 v[8:11], v28 offset:2160
	s_waitcnt lgkmcnt(0)
	s_barrier
	buffer_gl0_inv
	v_mul_f64 v[1:2], v[10:11], v[34:35]
	v_mul_f64 v[18:19], v[8:9], v[34:35]
	s_delay_alu instid0(VALU_DEP_2) | instskip(NEXT) | instid1(VALU_DEP_2)
	v_fma_f64 v[1:2], v[8:9], v[32:33], -v[1:2]
	v_fma_f64 v[18:19], v[10:11], v[32:33], v[18:19]
	s_delay_alu instid0(VALU_DEP_2) | instskip(SKIP_1) | instid1(VALU_DEP_3)
	v_add_f64 v[14:15], v[14:15], v[1:2]
	v_mul_f64 v[1:2], v[10:11], v[38:39]
	v_add_f64 v[18:19], v[40:41], v[18:19]
	s_delay_alu instid0(VALU_DEP_2) | instskip(SKIP_1) | instid1(VALU_DEP_1)
	v_fma_f64 v[1:2], v[8:9], v[36:37], -v[1:2]
	v_mul_f64 v[8:9], v[8:9], v[38:39]
	v_fma_f64 v[8:9], v[10:11], v[36:37], v[8:9]
	s_delay_alu instid0(VALU_DEP_3) | instskip(NEXT) | instid1(VALU_DEP_2)
	v_add_f64 v[10:11], v[48:49], v[1:2]
	v_add_f64 v[8:9], v[50:51], v[8:9]
	s_cbranch_vccnz .LBB1377_11
.LBB1377_3:                             ; =>This Inner Loop Header: Depth=1
	v_add_co_u32 v1, s4, v29, s2
	s_delay_alu instid0(VALU_DEP_1) | instskip(NEXT) | instid1(VALU_DEP_1)
	v_add_co_ci_u32_e64 v2, null, 0, s3, s4
	v_cmp_le_i64_e32 vcc_lo, s[16:17], v[1:2]
	s_or_b32 s4, s1, vcc_lo
	s_delay_alu instid0(SALU_CYCLE_1) | instskip(NEXT) | instid1(SALU_CYCLE_1)
	s_and_saveexec_b32 s5, s4
	s_xor_b32 s4, exec_lo, s5
	s_cbranch_execz .LBB1377_5
; %bb.4:                                ;   in Loop: Header=BB1377_3 Depth=1
	v_mov_b32_e32 v1, v0
	v_mov_b32_e32 v2, v0
	;; [unrolled: 1-line block ×3, first 2 shown]
	ds_store_b128 v30, v[0:3]
.LBB1377_5:                             ;   in Loop: Header=BB1377_3 Depth=1
	s_and_not1_saveexec_b32 s4, s4
	s_cbranch_execz .LBB1377_7
; %bb.6:                                ;   in Loop: Header=BB1377_3 Depth=1
	global_load_b128 v[32:35], v[4:5], off
	s_waitcnt vmcnt(0)
	ds_store_2addr_b64 v30, v[32:33], v[34:35] offset1:1
.LBB1377_7:                             ;   in Loop: Header=BB1377_3 Depth=1
	s_or_b32 exec_lo, exec_lo, s4
	v_add_co_u32 v1, s4, v26, s2
	s_delay_alu instid0(VALU_DEP_1) | instskip(NEXT) | instid1(VALU_DEP_1)
	v_add_co_ci_u32_e64 v2, null, 0, s3, s4
	v_cmp_le_i64_e32 vcc_lo, s[16:17], v[1:2]
	s_or_b32 s4, vcc_lo, s0
	s_delay_alu instid0(SALU_CYCLE_1) | instskip(NEXT) | instid1(SALU_CYCLE_1)
	s_and_saveexec_b32 s5, s4
	s_xor_b32 s4, exec_lo, s5
	s_cbranch_execz .LBB1377_9
; %bb.8:                                ;   in Loop: Header=BB1377_3 Depth=1
	v_mov_b32_e32 v1, v0
	v_mov_b32_e32 v2, v0
	;; [unrolled: 1-line block ×3, first 2 shown]
	ds_store_b128 v31, v[0:3]
.LBB1377_9:                             ;   in Loop: Header=BB1377_3 Depth=1
	s_and_not1_saveexec_b32 s4, s4
	s_cbranch_execz .LBB1377_2
; %bb.10:                               ;   in Loop: Header=BB1377_3 Depth=1
	global_load_b128 v[32:35], v[6:7], off
	s_waitcnt vmcnt(0)
	ds_store_2addr_b64 v31, v[32:33], v[34:35] offset1:1
	s_branch .LBB1377_2
.LBB1377_11:
	v_add_nc_u32_e32 v4, s14, v25
	s_mul_i32 s1, s15, s39
	s_mul_hi_u32 s2, s15, s38
	s_mul_i32 s0, s15, s38
	s_add_i32 s1, s2, s1
	v_ashrrev_i32_e32 v0, 31, v4
	v_mul_lo_u32 v3, v4, s37
	v_mad_u64_u32 v[1:2], null, v4, s36, 0
	s_lshl_b64 s[2:3], s[0:1], 4
	s_delay_alu instid0(VALU_DEP_3) | instskip(SKIP_2) | instid1(VALU_DEP_1)
	v_mul_lo_u32 v0, v0, s36
	s_add_u32 s2, s10, s2
	s_addc_u32 s3, s11, s3
	v_add3_u32 v2, v2, v3, v0
	v_add_nc_u32_e32 v0, s13, v24
	s_delay_alu instid0(VALU_DEP_2) | instskip(NEXT) | instid1(VALU_DEP_2)
	v_lshlrev_b64 v[1:2], 4, v[1:2]
	v_cmp_le_i32_e64 s0, v4, v0
	v_cmp_gt_i32_e32 vcc_lo, s12, v0
	s_delay_alu instid0(VALU_DEP_3) | instskip(NEXT) | instid1(VALU_DEP_1)
	v_add_co_u32 v5, s1, s2, v1
	v_add_co_ci_u32_e64 v6, s1, s3, v2, s1
	s_delay_alu instid0(VALU_DEP_4) | instskip(NEXT) | instid1(SALU_CYCLE_1)
	s_and_b32 s0, s0, vcc_lo
	s_and_saveexec_b32 s1, s0
	s_cbranch_execz .LBB1377_13
; %bb.12:
	v_ashrrev_i32_e32 v1, 31, v0
	v_mul_f64 v[28:29], s[18:19], v[22:23]
	v_mul_f64 v[22:23], s[20:21], v[22:23]
	s_delay_alu instid0(VALU_DEP_3) | instskip(NEXT) | instid1(VALU_DEP_1)
	v_lshlrev_b64 v[1:2], 4, v[0:1]
	v_add_co_u32 v1, s0, v5, v1
	s_delay_alu instid0(VALU_DEP_1)
	v_add_co_ci_u32_e64 v2, s0, v6, v2, s0
	v_cmp_ne_u32_e64 s0, v4, v0
	global_load_b128 v[24:27], v[1:2], off
	v_fma_f64 v[28:29], s[20:21], v[20:21], v[28:29]
	v_fma_f64 v[20:21], s[18:19], v[20:21], -v[22:23]
	s_waitcnt vmcnt(0)
	v_mul_f64 v[30:31], s[6:7], v[26:27]
	v_mul_f64 v[26:27], s[8:9], v[26:27]
	s_delay_alu instid0(VALU_DEP_2) | instskip(NEXT) | instid1(VALU_DEP_2)
	v_fma_f64 v[30:31], s[8:9], v[24:25], v[30:31]
	v_fma_f64 v[22:23], s[6:7], v[24:25], -v[26:27]
	s_delay_alu instid0(VALU_DEP_2) | instskip(NEXT) | instid1(VALU_DEP_2)
	v_add_f64 v[24:25], v[28:29], v[30:31]
	v_add_f64 v[20:21], v[20:21], v[22:23]
	s_delay_alu instid0(VALU_DEP_2) | instskip(NEXT) | instid1(VALU_DEP_3)
	v_cndmask_b32_e64 v23, 0, v25, s0
	v_cndmask_b32_e64 v22, 0, v24, s0
	global_store_b128 v[1:2], v[20:23], off
.LBB1377_13:
	s_or_b32 exec_lo, exec_lo, s1
	v_add_nc_u32_e32 v2, 16, v0
	s_delay_alu instid0(VALU_DEP_1) | instskip(SKIP_1) | instid1(VALU_DEP_1)
	v_cmp_le_i32_e64 s1, v4, v2
	v_cmp_gt_i32_e64 s0, s12, v2
	s_and_b32 s1, s1, s0
	s_delay_alu instid0(SALU_CYCLE_1)
	s_and_saveexec_b32 s4, s1
	s_cbranch_execz .LBB1377_15
; %bb.14:
	v_ashrrev_i32_e32 v3, 31, v2
	v_mul_f64 v[24:25], s[18:19], v[16:17]
	v_mul_f64 v[16:17], s[20:21], v[16:17]
	s_delay_alu instid0(VALU_DEP_3) | instskip(NEXT) | instid1(VALU_DEP_1)
	v_lshlrev_b64 v[20:21], 4, v[2:3]
	v_add_co_u32 v5, s1, v5, v20
	s_delay_alu instid0(VALU_DEP_1)
	v_add_co_ci_u32_e64 v6, s1, v6, v21, s1
	v_cmp_ne_u32_e64 s1, v4, v2
	global_load_b128 v[20:23], v[5:6], off
	v_fma_f64 v[24:25], s[20:21], v[12:13], v[24:25]
	v_fma_f64 v[12:13], s[18:19], v[12:13], -v[16:17]
	s_waitcnt vmcnt(0)
	v_mul_f64 v[26:27], s[6:7], v[22:23]
	v_mul_f64 v[22:23], s[8:9], v[22:23]
	s_delay_alu instid0(VALU_DEP_2) | instskip(NEXT) | instid1(VALU_DEP_2)
	v_fma_f64 v[26:27], s[8:9], v[20:21], v[26:27]
	v_fma_f64 v[16:17], s[6:7], v[20:21], -v[22:23]
	s_delay_alu instid0(VALU_DEP_2) | instskip(NEXT) | instid1(VALU_DEP_2)
	v_add_f64 v[22:23], v[24:25], v[26:27]
	v_add_f64 v[20:21], v[12:13], v[16:17]
	s_delay_alu instid0(VALU_DEP_2) | instskip(NEXT) | instid1(VALU_DEP_3)
	v_cndmask_b32_e64 v23, 0, v23, s1
	v_cndmask_b32_e64 v22, 0, v22, s1
	global_store_b128 v[5:6], v[20:23], off
.LBB1377_15:
	s_or_b32 exec_lo, exec_lo, s4
	v_add_nc_u32_e32 v3, 16, v4
	s_delay_alu instid0(VALU_DEP_1) | instskip(SKIP_3) | instid1(VALU_DEP_4)
	v_ashrrev_i32_e32 v1, 31, v3
	v_mul_lo_u32 v7, v3, s37
	v_mad_u64_u32 v[5:6], null, v3, s36, 0
	v_cmp_le_i32_e64 s1, v3, v0
	v_mul_lo_u32 v1, v1, s36
	s_delay_alu instid0(VALU_DEP_1) | instskip(NEXT) | instid1(VALU_DEP_1)
	v_add3_u32 v6, v6, v7, v1
	v_lshlrev_b64 v[5:6], 4, v[5:6]
	s_delay_alu instid0(VALU_DEP_1) | instskip(NEXT) | instid1(VALU_DEP_1)
	v_add_co_u32 v5, s2, s2, v5
	v_add_co_ci_u32_e64 v6, s2, s3, v6, s2
	s_and_b32 s2, s1, vcc_lo
	s_delay_alu instid0(SALU_CYCLE_1)
	s_and_saveexec_b32 s1, s2
	s_cbranch_execz .LBB1377_17
; %bb.16:
	v_ashrrev_i32_e32 v1, 31, v0
	s_delay_alu instid0(VALU_DEP_1) | instskip(NEXT) | instid1(VALU_DEP_1)
	v_lshlrev_b64 v[12:13], 4, v[0:1]
	v_add_co_u32 v16, vcc_lo, v5, v12
	s_delay_alu instid0(VALU_DEP_2)
	v_add_co_ci_u32_e32 v17, vcc_lo, v6, v13, vcc_lo
	v_mul_f64 v[12:13], s[18:19], v[18:19]
	v_mul_f64 v[18:19], s[20:21], v[18:19]
	v_cmp_ne_u32_e32 vcc_lo, v3, v0
	global_load_b128 v[20:23], v[16:17], off
	v_fma_f64 v[12:13], s[20:21], v[14:15], v[12:13]
	v_fma_f64 v[14:15], s[18:19], v[14:15], -v[18:19]
	s_waitcnt vmcnt(0)
	v_mul_f64 v[24:25], s[6:7], v[22:23]
	v_mul_f64 v[22:23], s[8:9], v[22:23]
	s_delay_alu instid0(VALU_DEP_2) | instskip(NEXT) | instid1(VALU_DEP_2)
	v_fma_f64 v[24:25], s[8:9], v[20:21], v[24:25]
	v_fma_f64 v[18:19], s[6:7], v[20:21], -v[22:23]
	s_delay_alu instid0(VALU_DEP_2) | instskip(NEXT) | instid1(VALU_DEP_2)
	v_add_f64 v[20:21], v[12:13], v[24:25]
	v_add_f64 v[12:13], v[14:15], v[18:19]
	s_delay_alu instid0(VALU_DEP_2)
	v_dual_cndmask_b32 v15, 0, v21 :: v_dual_cndmask_b32 v14, 0, v20
	global_store_b128 v[16:17], v[12:15], off
.LBB1377_17:
	s_or_b32 exec_lo, exec_lo, s1
	v_cmp_le_i32_e32 vcc_lo, v3, v2
	s_and_b32 s0, vcc_lo, s0
	s_delay_alu instid0(SALU_CYCLE_1)
	s_and_saveexec_b32 s1, s0
	s_cbranch_execz .LBB1377_19
; %bb.18:
	v_ashrrev_i32_e32 v3, 31, v2
	s_delay_alu instid0(VALU_DEP_1) | instskip(NEXT) | instid1(VALU_DEP_1)
	v_lshlrev_b64 v[1:2], 4, v[2:3]
	v_add_co_u32 v5, vcc_lo, v5, v1
	s_delay_alu instid0(VALU_DEP_2)
	v_add_co_ci_u32_e32 v6, vcc_lo, v6, v2, vcc_lo
	v_mul_f64 v[1:2], s[18:19], v[8:9]
	v_mul_f64 v[7:8], s[20:21], v[8:9]
	v_cmp_ne_u32_e32 vcc_lo, v4, v0
	global_load_b128 v[12:15], v[5:6], off
	v_fma_f64 v[1:2], s[20:21], v[10:11], v[1:2]
	v_fma_f64 v[7:8], s[18:19], v[10:11], -v[7:8]
	s_waitcnt vmcnt(0)
	v_mul_f64 v[16:17], s[6:7], v[14:15]
	v_mul_f64 v[14:15], s[8:9], v[14:15]
	s_delay_alu instid0(VALU_DEP_2) | instskip(NEXT) | instid1(VALU_DEP_2)
	v_fma_f64 v[16:17], s[8:9], v[12:13], v[16:17]
	v_fma_f64 v[9:10], s[6:7], v[12:13], -v[14:15]
	s_delay_alu instid0(VALU_DEP_2) | instskip(NEXT) | instid1(VALU_DEP_2)
	v_add_f64 v[11:12], v[1:2], v[16:17]
	v_add_f64 v[1:2], v[7:8], v[9:10]
	s_delay_alu instid0(VALU_DEP_2)
	v_dual_cndmask_b32 v4, 0, v12 :: v_dual_cndmask_b32 v3, 0, v11
	global_store_b128 v[5:6], v[1:4], off
.LBB1377_19:
	s_nop 0
	s_sendmsg sendmsg(MSG_DEALLOC_VGPRS)
	s_endpgm
	.section	.rodata,"a",@progbits
	.p2align	6, 0x0
	.amdhsa_kernel _ZL34rocblas_syrkx_herkx_general_kernelIl19rocblas_complex_numIdELi16ELi32ELi8ELb0ELb1ELc84ELc76EKS1_S1_EviT_T0_PT8_S3_lS6_S3_lS4_PT9_S3_li
		.amdhsa_group_segment_fixed_size 8192
		.amdhsa_private_segment_fixed_size 0
		.amdhsa_kernarg_size 124
		.amdhsa_user_sgpr_count 13
		.amdhsa_user_sgpr_dispatch_ptr 0
		.amdhsa_user_sgpr_queue_ptr 0
		.amdhsa_user_sgpr_kernarg_segment_ptr 1
		.amdhsa_user_sgpr_dispatch_id 0
		.amdhsa_user_sgpr_private_segment_size 0
		.amdhsa_wavefront_size32 1
		.amdhsa_uses_dynamic_stack 0
		.amdhsa_enable_private_segment 0
		.amdhsa_system_sgpr_workgroup_id_x 1
		.amdhsa_system_sgpr_workgroup_id_y 1
		.amdhsa_system_sgpr_workgroup_id_z 1
		.amdhsa_system_sgpr_workgroup_info 0
		.amdhsa_system_vgpr_workitem_id 1
		.amdhsa_next_free_vgpr 56
		.amdhsa_next_free_sgpr 40
		.amdhsa_reserve_vcc 1
		.amdhsa_float_round_mode_32 0
		.amdhsa_float_round_mode_16_64 0
		.amdhsa_float_denorm_mode_32 3
		.amdhsa_float_denorm_mode_16_64 3
		.amdhsa_dx10_clamp 1
		.amdhsa_ieee_mode 1
		.amdhsa_fp16_overflow 0
		.amdhsa_workgroup_processor_mode 1
		.amdhsa_memory_ordered 1
		.amdhsa_forward_progress 0
		.amdhsa_shared_vgpr_count 0
		.amdhsa_exception_fp_ieee_invalid_op 0
		.amdhsa_exception_fp_denorm_src 0
		.amdhsa_exception_fp_ieee_div_zero 0
		.amdhsa_exception_fp_ieee_overflow 0
		.amdhsa_exception_fp_ieee_underflow 0
		.amdhsa_exception_fp_ieee_inexact 0
		.amdhsa_exception_int_div_zero 0
	.end_amdhsa_kernel
	.section	.text._ZL34rocblas_syrkx_herkx_general_kernelIl19rocblas_complex_numIdELi16ELi32ELi8ELb0ELb1ELc84ELc76EKS1_S1_EviT_T0_PT8_S3_lS6_S3_lS4_PT9_S3_li,"axG",@progbits,_ZL34rocblas_syrkx_herkx_general_kernelIl19rocblas_complex_numIdELi16ELi32ELi8ELb0ELb1ELc84ELc76EKS1_S1_EviT_T0_PT8_S3_lS6_S3_lS4_PT9_S3_li,comdat
.Lfunc_end1377:
	.size	_ZL34rocblas_syrkx_herkx_general_kernelIl19rocblas_complex_numIdELi16ELi32ELi8ELb0ELb1ELc84ELc76EKS1_S1_EviT_T0_PT8_S3_lS6_S3_lS4_PT9_S3_li, .Lfunc_end1377-_ZL34rocblas_syrkx_herkx_general_kernelIl19rocblas_complex_numIdELi16ELi32ELi8ELb0ELb1ELc84ELc76EKS1_S1_EviT_T0_PT8_S3_lS6_S3_lS4_PT9_S3_li
                                        ; -- End function
	.section	.AMDGPU.csdata,"",@progbits
; Kernel info:
; codeLenInByte = 3992
; NumSgprs: 42
; NumVgprs: 56
; ScratchSize: 0
; MemoryBound: 0
; FloatMode: 240
; IeeeMode: 1
; LDSByteSize: 8192 bytes/workgroup (compile time only)
; SGPRBlocks: 5
; VGPRBlocks: 6
; NumSGPRsForWavesPerEU: 42
; NumVGPRsForWavesPerEU: 56
; Occupancy: 16
; WaveLimiterHint : 0
; COMPUTE_PGM_RSRC2:SCRATCH_EN: 0
; COMPUTE_PGM_RSRC2:USER_SGPR: 13
; COMPUTE_PGM_RSRC2:TRAP_HANDLER: 0
; COMPUTE_PGM_RSRC2:TGID_X_EN: 1
; COMPUTE_PGM_RSRC2:TGID_Y_EN: 1
; COMPUTE_PGM_RSRC2:TGID_Z_EN: 1
; COMPUTE_PGM_RSRC2:TIDIG_COMP_CNT: 1
	.section	.text._ZL34rocblas_syrkx_herkx_general_kernelIl19rocblas_complex_numIdELi16ELi32ELi8ELb0ELb1ELc67ELc76EKS1_S1_EviT_T0_PT8_S3_lS6_S3_lS4_PT9_S3_li,"axG",@progbits,_ZL34rocblas_syrkx_herkx_general_kernelIl19rocblas_complex_numIdELi16ELi32ELi8ELb0ELb1ELc67ELc76EKS1_S1_EviT_T0_PT8_S3_lS6_S3_lS4_PT9_S3_li,comdat
	.globl	_ZL34rocblas_syrkx_herkx_general_kernelIl19rocblas_complex_numIdELi16ELi32ELi8ELb0ELb1ELc67ELc76EKS1_S1_EviT_T0_PT8_S3_lS6_S3_lS4_PT9_S3_li ; -- Begin function _ZL34rocblas_syrkx_herkx_general_kernelIl19rocblas_complex_numIdELi16ELi32ELi8ELb0ELb1ELc67ELc76EKS1_S1_EviT_T0_PT8_S3_lS6_S3_lS4_PT9_S3_li
	.p2align	8
	.type	_ZL34rocblas_syrkx_herkx_general_kernelIl19rocblas_complex_numIdELi16ELi32ELi8ELb0ELb1ELc67ELc76EKS1_S1_EviT_T0_PT8_S3_lS6_S3_lS4_PT9_S3_li,@function
_ZL34rocblas_syrkx_herkx_general_kernelIl19rocblas_complex_numIdELi16ELi32ELi8ELb0ELb1ELc67ELc76EKS1_S1_EviT_T0_PT8_S3_lS6_S3_lS4_PT9_S3_li: ; @_ZL34rocblas_syrkx_herkx_general_kernelIl19rocblas_complex_numIdELi16ELi32ELi8ELb0ELb1ELc67ELc76EKS1_S1_EviT_T0_PT8_S3_lS6_S3_lS4_PT9_S3_li
; %bb.0:
	s_clause 0x3
	s_load_b512 s[16:31], s[0:1], 0x8
	s_load_b32 s12, s[0:1], 0x0
	s_load_b128 s[36:39], s[0:1], 0x68
	s_load_b256 s[4:11], s[0:1], 0x48
	v_mov_b32_e32 v23, 0
	v_dual_mov_b32 v24, 0 :: v_dual_and_b32 v27, 0x3ff, v0
	v_bfe_u32 v28, v0, 10, 10
	s_delay_alu instid0(VALU_DEP_3) | instskip(NEXT) | instid1(VALU_DEP_3)
	v_mov_b32_e32 v19, v23
	v_dual_mov_b32 v21, v23 :: v_dual_mov_b32 v22, v24
	v_dual_mov_b32 v26, v24 :: v_dual_mov_b32 v25, v23
	v_dual_mov_b32 v20, v24 :: v_dual_mov_b32 v15, v23
	v_dual_mov_b32 v16, v24 :: v_dual_mov_b32 v17, v23
	v_dual_mov_b32 v18, v24 :: v_dual_mov_b32 v11, v23
	v_mov_b32_e32 v12, v24
	s_waitcnt lgkmcnt(0)
	v_cmp_lt_i64_e64 s0, s[16:17], 1
	v_dual_mov_b32 v13, v23 :: v_dual_mov_b32 v14, v24
	s_lshl_b32 s13, s13, 5
	s_lshl_b32 s14, s14, 5
	s_mov_b64 s[2:3], 0
	s_delay_alu instid0(VALU_DEP_2)
	s_and_b32 vcc_lo, exec_lo, s0
	s_cbranch_vccnz .LBB1378_9
; %bb.1:
	v_lshl_add_u32 v1, v28, 4, v27
	v_dual_mov_b32 v0, 0 :: v_dual_and_b32 v29, 7, v27
	s_mul_i32 s1, s27, s15
	s_mul_hi_u32 s27, s26, s15
	s_delay_alu instid0(VALU_DEP_2)
	v_and_b32_e32 v3, 31, v1
	v_lshrrev_b32_e32 v5, 3, v1
	v_lshrrev_b32_e32 v32, 5, v1
	v_lshlrev_b32_e32 v9, 4, v29
	s_mul_i32 s0, s26, s15
	v_add_nc_u32_e32 v4, s13, v3
	v_add_nc_u32_e32 v7, s14, v5
	v_or_b32_e32 v10, s13, v3
	v_lshlrev_b32_e32 v11, 4, v3
	v_lshl_or_b32 v5, v5, 7, v9
	v_ashrrev_i32_e32 v6, 31, v4
	v_mul_lo_u32 v8, s25, v4
	v_mad_u64_u32 v[1:2], null, s24, v4, 0
	v_ashrrev_i32_e32 v12, 31, v7
	s_delay_alu instid0(VALU_DEP_4)
	v_mul_lo_u32 v6, s24, v6
	v_mul_lo_u32 v13, s31, v7
	v_mad_u64_u32 v[3:4], null, s30, v7, 0
	s_add_i32 s1, s27, s1
	v_add_nc_u32_e32 v34, 0x1000, v5
	s_lshl_b64 s[24:25], s[0:1], 4
	v_cmp_gt_i32_e32 vcc_lo, s12, v7
	v_add3_u32 v2, v2, v6, v8
	v_mul_lo_u32 v6, s30, v12
	v_lshlrev_b32_e32 v7, 4, v32
	v_lshlrev_b32_e32 v30, 4, v27
	v_lshl_add_u32 v31, v28, 7, 0x1000
	v_lshlrev_b64 v[1:2], 4, v[1:2]
	v_cmp_gt_i32_e64 s0, s12, v10
	v_add3_u32 v4, v4, v6, v13
	s_delay_alu instid0(VALU_DEP_3) | instskip(NEXT) | instid1(VALU_DEP_1)
	v_add_co_u32 v5, s1, v1, s24
	v_add_co_ci_u32_e64 v6, s1, s25, v2, s1
	s_mul_i32 s1, s5, s15
	s_mul_hi_u32 s5, s4, s15
	v_lshlrev_b64 v[1:2], 4, v[3:4]
	s_add_i32 s5, s5, s1
	s_mul_i32 s4, s4, s15
	v_add_co_u32 v3, s1, v5, v7
	s_lshl_b64 s[4:5], s[4:5], 4
	v_add_co_ci_u32_e64 v4, s1, 0, v6, s1
	v_mov_b32_e32 v5, 0
	v_add_co_u32 v1, s1, v1, s4
	v_mov_b32_e32 v6, 0
	v_add_co_ci_u32_e64 v2, s1, s5, v2, s1
	v_add_co_u32 v3, s1, v3, s22
	s_delay_alu instid0(VALU_DEP_1) | instskip(NEXT) | instid1(VALU_DEP_4)
	v_add_co_ci_u32_e64 v4, s1, s23, v4, s1
	v_mov_b32_e32 v18, v6
	v_lshl_or_b32 v33, v32, 9, v11
	v_mov_b32_e32 v12, v6
	v_add_co_u32 v1, s1, v1, v9
	s_delay_alu instid0(VALU_DEP_1) | instskip(SKIP_1) | instid1(VALU_DEP_1)
	v_add_co_ci_u32_e64 v2, s1, 0, v2, s1
	v_add_co_u32 v7, s1, v3, 8
	v_add_co_ci_u32_e64 v8, s1, 0, v4, s1
	v_mov_b32_e32 v16, v6
	v_add_co_u32 v9, s1, s28, v1
	v_dual_mov_b32 v17, v5 :: v_dual_mov_b32 v22, v6
	v_dual_mov_b32 v15, v5 :: v_dual_mov_b32 v20, v6
	;; [unrolled: 1-line block ×4, first 2 shown]
	v_mov_b32_e32 v24, v6
	v_add_co_ci_u32_e64 v10, s1, s29, v2, s1
	v_mov_b32_e32 v13, v5
	v_mov_b32_e32 v11, v5
	;; [unrolled: 1-line block ×4, first 2 shown]
	s_xor_b32 s1, vcc_lo, -1
	s_branch .LBB1378_3
.LBB1378_2:                             ;   in Loop: Header=BB1378_3 Depth=1
	s_or_b32 exec_lo, exec_lo, s4
	s_waitcnt lgkmcnt(0)
	s_barrier
	buffer_gl0_inv
	ds_load_b128 v[1:4], v31
	ds_load_b128 v[35:38], v30
	ds_load_b128 v[39:42], v30 offset:256
	ds_load_b128 v[43:46], v31 offset:2048
	;; [unrolled: 1-line block ×9, first 2 shown]
	s_add_u32 s2, s2, 8
	s_addc_u32 s3, s3, 0
	v_add_co_u32 v7, vcc_lo, 0x80, v7
	v_cmp_ge_i64_e64 s4, s[2:3], s[16:17]
	v_add_co_ci_u32_e32 v8, vcc_lo, 0, v8, vcc_lo
	v_add_co_u32 v9, vcc_lo, 0x80, v9
	v_add_co_ci_u32_e32 v10, vcc_lo, 0, v10, vcc_lo
	s_delay_alu instid0(VALU_DEP_4)
	s_and_b32 vcc_lo, exec_lo, s4
	s_waitcnt lgkmcnt(9)
	v_mul_f64 v[75:76], v[3:4], v[37:38]
	v_mul_f64 v[77:78], v[1:2], v[37:38]
	s_waitcnt lgkmcnt(8)
	v_mul_f64 v[79:80], v[3:4], v[41:42]
	v_mul_f64 v[81:82], v[1:2], v[41:42]
	;; [unrolled: 3-line block ×3, first 2 shown]
	v_mul_f64 v[85:86], v[45:46], v[41:42]
	v_mul_f64 v[41:42], v[43:44], v[41:42]
	s_waitcnt lgkmcnt(4)
	v_mul_f64 v[87:88], v[49:50], v[57:58]
	v_mul_f64 v[89:90], v[47:48], v[57:58]
	s_waitcnt lgkmcnt(3)
	v_mul_f64 v[91:92], v[49:50], v[61:62]
	v_mul_f64 v[93:94], v[47:48], v[61:62]
	;; [unrolled: 1-line block ×6, first 2 shown]
	s_waitcnt lgkmcnt(0)
	v_mul_f64 v[115:116], v[73:74], v[65:66]
	v_mul_f64 v[117:118], v[73:74], v[69:70]
	v_fma_f64 v[99:100], v[1:2], v[35:36], -v[75:76]
	v_fma_f64 v[101:102], v[3:4], v[35:36], v[77:78]
	v_fma_f64 v[79:80], v[1:2], v[39:40], -v[79:80]
	v_fma_f64 v[81:82], v[3:4], v[39:40], v[81:82]
	;; [unrolled: 2-line block ×4, first 2 shown]
	ds_load_b128 v[75:78], v31 offset:32
	v_fma_f64 v[87:88], v[47:48], v[55:56], -v[87:88]
	v_fma_f64 v[89:90], v[49:50], v[55:56], v[89:90]
	v_fma_f64 v[47:48], v[47:48], v[59:60], -v[91:92]
	v_fma_f64 v[49:50], v[49:50], v[59:60], v[93:94]
	v_fma_f64 v[91:92], v[51:52], v[55:56], -v[95:96]
	v_fma_f64 v[55:56], v[53:54], v[55:56], v[57:58]
	v_fma_f64 v[51:52], v[51:52], v[59:60], -v[97:98]
	v_fma_f64 v[53:54], v[53:54], v[59:60], v[61:62]
	ds_load_b128 v[1:4], v31 offset:48
	ds_load_b128 v[35:38], v31 offset:2096
	;; [unrolled: 1-line block ×4, first 2 shown]
	s_waitcnt lgkmcnt(4)
	v_mul_f64 v[107:108], v[77:78], v[65:66]
	v_mul_f64 v[109:110], v[75:76], v[65:66]
	;; [unrolled: 1-line block ×6, first 2 shown]
	s_waitcnt lgkmcnt(1)
	v_mul_f64 v[93:94], v[1:2], v[41:42]
	s_waitcnt lgkmcnt(0)
	v_mul_f64 v[95:96], v[3:4], v[45:46]
	v_add_f64 v[23:24], v[23:24], v[99:100]
	v_add_f64 v[25:26], v[25:26], v[101:102]
	;; [unrolled: 1-line block ×8, first 2 shown]
	v_mul_f64 v[85:86], v[3:4], v[41:42]
	v_mul_f64 v[97:98], v[1:2], v[45:46]
	;; [unrolled: 1-line block ×6, first 2 shown]
	ds_load_b128 v[11:14], v30 offset:2048
	ds_load_b128 v[15:18], v30 offset:2304
	;; [unrolled: 1-line block ×3, first 2 shown]
	v_fma_f64 v[105:106], v[75:76], v[63:64], -v[107:108]
	v_fma_f64 v[107:108], v[77:78], v[63:64], v[109:110]
	v_fma_f64 v[75:76], v[75:76], v[67:68], -v[111:112]
	v_fma_f64 v[77:78], v[77:78], v[67:68], v[113:114]
	;; [unrolled: 2-line block ×4, first 2 shown]
	s_waitcnt lgkmcnt(0)
	v_mul_f64 v[115:116], v[21:22], v[13:14]
	v_mul_f64 v[117:118], v[21:22], v[17:18]
	v_add_f64 v[69:70], v[23:24], v[87:88]
	v_add_f64 v[71:72], v[25:26], v[89:90]
	;; [unrolled: 1-line block ×8, first 2 shown]
	ds_load_b128 v[23:26], v31 offset:64
	v_fma_f64 v[85:86], v[1:2], v[39:40], -v[85:86]
	v_fma_f64 v[93:94], v[3:4], v[39:40], v[93:94]
	v_fma_f64 v[95:96], v[1:2], v[43:44], -v[95:96]
	v_fma_f64 v[97:98], v[3:4], v[43:44], v[97:98]
	;; [unrolled: 2-line block ×4, first 2 shown]
	ds_load_b128 v[45:48], v31 offset:80
	ds_load_b128 v[49:52], v31 offset:2128
	;; [unrolled: 1-line block ×7, first 2 shown]
	s_waitcnt lgkmcnt(7)
	v_mul_f64 v[89:90], v[25:26], v[13:14]
	v_mul_f64 v[91:92], v[23:24], v[13:14]
	;; [unrolled: 1-line block ×6, first 2 shown]
	s_waitcnt lgkmcnt(3)
	v_mul_f64 v[103:104], v[51:52], v[59:60]
	v_add_f64 v[69:70], v[69:70], v[105:106]
	v_add_f64 v[71:72], v[71:72], v[107:108]
	v_add_f64 v[73:74], v[73:74], v[75:76]
	v_add_f64 v[75:76], v[87:88], v[77:78]
	v_add_f64 v[61:62], v[61:62], v[109:110]
	v_add_f64 v[63:64], v[79:80], v[63:64]
	v_add_f64 v[65:66], v[81:82], v[65:66]
	v_add_f64 v[67:68], v[83:84], v[67:68]
	v_mul_f64 v[77:78], v[47:48], v[55:56]
	v_mul_f64 v[79:80], v[45:46], v[55:56]
	;; [unrolled: 1-line block ×7, first 2 shown]
	v_fma_f64 v[89:90], v[23:24], v[11:12], -v[89:90]
	v_fma_f64 v[91:92], v[25:26], v[11:12], v[91:92]
	v_fma_f64 v[107:108], v[23:24], v[15:16], -v[111:112]
	v_fma_f64 v[109:110], v[25:26], v[15:16], v[113:114]
	;; [unrolled: 2-line block ×4, first 2 shown]
	ds_load_b128 v[11:14], v31 offset:96
	v_add_f64 v[69:70], v[69:70], v[85:86]
	v_add_f64 v[71:72], v[71:72], v[93:94]
	;; [unrolled: 1-line block ×8, first 2 shown]
	s_waitcnt lgkmcnt(1)
	v_mul_f64 v[99:100], v[41:42], v[3:4]
	v_mul_f64 v[101:102], v[41:42], v[37:38]
	v_fma_f64 v[77:78], v[45:46], v[53:54], -v[77:78]
	v_fma_f64 v[79:80], v[47:48], v[53:54], v[79:80]
	v_fma_f64 v[45:46], v[45:46], v[57:58], -v[81:82]
	v_fma_f64 v[47:48], v[47:48], v[57:58], v[83:84]
	;; [unrolled: 2-line block ×4, first 2 shown]
	s_waitcnt lgkmcnt(0)
	v_mul_f64 v[67:68], v[13:14], v[3:4]
	v_mul_f64 v[93:94], v[11:12], v[3:4]
	;; [unrolled: 1-line block ×6, first 2 shown]
	ds_load_b128 v[15:18], v31 offset:112
	ds_load_b128 v[19:22], v31 offset:2160
	;; [unrolled: 1-line block ×4, first 2 shown]
	s_waitcnt lgkmcnt(0)
	s_barrier
	buffer_gl0_inv
	v_add_f64 v[55:56], v[69:70], v[89:90]
	v_add_f64 v[57:58], v[71:72], v[91:92]
	;; [unrolled: 1-line block ×8, first 2 shown]
	v_mul_f64 v[75:76], v[17:18], v[25:26]
	v_mul_f64 v[83:84], v[15:16], v[25:26]
	;; [unrolled: 1-line block ×8, first 2 shown]
	v_fma_f64 v[67:68], v[11:12], v[1:2], -v[67:68]
	v_fma_f64 v[93:94], v[13:14], v[1:2], v[93:94]
	v_fma_f64 v[11:12], v[11:12], v[35:36], -v[95:96]
	v_fma_f64 v[13:14], v[13:14], v[35:36], v[97:98]
	;; [unrolled: 2-line block ×4, first 2 shown]
	v_add_f64 v[37:38], v[55:56], v[77:78]
	v_add_f64 v[39:40], v[57:58], v[79:80]
	;; [unrolled: 1-line block ×8, first 2 shown]
	v_fma_f64 v[51:52], v[15:16], v[23:24], -v[75:76]
	v_fma_f64 v[55:56], v[17:18], v[23:24], v[83:84]
	v_fma_f64 v[15:16], v[15:16], v[59:60], -v[85:86]
	v_fma_f64 v[17:18], v[17:18], v[59:60], v[87:88]
	v_fma_f64 v[57:58], v[19:20], v[23:24], -v[89:90]
	v_fma_f64 v[63:64], v[21:22], v[23:24], v[25:26]
	v_fma_f64 v[65:66], v[19:20], v[59:60], -v[91:92]
	v_fma_f64 v[59:60], v[21:22], v[59:60], v[61:62]
	v_add_f64 v[19:20], v[37:38], v[67:68]
	v_add_f64 v[21:22], v[39:40], v[93:94]
	v_add_f64 v[11:12], v[41:42], v[11:12]
	v_add_f64 v[13:14], v[45:46], v[13:14]
	v_add_f64 v[37:38], v[47:48], v[95:96]
	v_add_f64 v[1:2], v[53:54], v[1:2]
	v_add_f64 v[3:4], v[49:50], v[3:4]
	v_add_f64 v[35:36], v[43:44], v[35:36]
	v_add_f64 v[23:24], v[19:20], v[51:52]
	v_add_f64 v[25:26], v[21:22], v[55:56]
	v_add_f64 v[19:20], v[11:12], v[15:16]
	v_add_f64 v[21:22], v[13:14], v[17:18]
	v_add_f64 v[15:16], v[37:38], v[57:58]
	v_add_f64 v[17:18], v[1:2], v[63:64]
	v_add_f64 v[11:12], v[3:4], v[65:66]
	v_add_f64 v[13:14], v[35:36], v[59:60]
	s_cbranch_vccnz .LBB1378_9
.LBB1378_3:                             ; =>This Inner Loop Header: Depth=1
	v_add_co_u32 v1, s4, v32, s2
	s_delay_alu instid0(VALU_DEP_1) | instskip(SKIP_1) | instid1(VALU_DEP_2)
	v_add_co_ci_u32_e64 v2, null, 0, s3, s4
	v_dual_mov_b32 v3, v5 :: v_dual_mov_b32 v4, v6
	v_cmp_gt_i64_e32 vcc_lo, s[16:17], v[1:2]
	v_dual_mov_b32 v1, v5 :: v_dual_mov_b32 v2, v6
	s_and_b32 s5, s0, vcc_lo
	s_delay_alu instid0(SALU_CYCLE_1)
	s_and_saveexec_b32 s4, s5
	s_cbranch_execz .LBB1378_5
; %bb.4:                                ;   in Loop: Header=BB1378_3 Depth=1
	global_load_b128 v[1:4], v[7:8], off offset:-8
	s_waitcnt vmcnt(0)
	v_xor_b32_e32 v4, 0x80000000, v4
.LBB1378_5:                             ;   in Loop: Header=BB1378_3 Depth=1
	s_or_b32 exec_lo, exec_lo, s4
	v_add_co_u32 v35, s4, v29, s2
	s_delay_alu instid0(VALU_DEP_1) | instskip(SKIP_3) | instid1(SALU_CYCLE_1)
	v_add_co_ci_u32_e64 v36, null, 0, s3, s4
	ds_store_b128 v33, v[1:4]
	v_cmp_le_i64_e32 vcc_lo, s[16:17], v[35:36]
	s_or_b32 s4, vcc_lo, s1
	s_and_saveexec_b32 s5, s4
	s_delay_alu instid0(SALU_CYCLE_1)
	s_xor_b32 s4, exec_lo, s5
	s_cbranch_execz .LBB1378_7
; %bb.6:                                ;   in Loop: Header=BB1378_3 Depth=1
	v_mov_b32_e32 v1, v0
	v_mov_b32_e32 v2, v0
	v_mov_b32_e32 v3, v0
	ds_store_b128 v34, v[0:3]
.LBB1378_7:                             ;   in Loop: Header=BB1378_3 Depth=1
	s_and_not1_saveexec_b32 s4, s4
	s_cbranch_execz .LBB1378_2
; %bb.8:                                ;   in Loop: Header=BB1378_3 Depth=1
	global_load_b128 v[1:4], v[9:10], off
	s_waitcnt vmcnt(0)
	ds_store_2addr_b64 v34, v[1:2], v[3:4] offset1:1
	s_branch .LBB1378_2
.LBB1378_9:
	v_add_nc_u32_e32 v4, s14, v28
	s_mul_i32 s1, s15, s39
	s_mul_hi_u32 s2, s15, s38
	s_mul_i32 s0, s15, s38
	s_add_i32 s1, s2, s1
	v_ashrrev_i32_e32 v0, 31, v4
	v_mul_lo_u32 v3, v4, s37
	v_mad_u64_u32 v[1:2], null, v4, s36, 0
	s_lshl_b64 s[2:3], s[0:1], 4
	s_delay_alu instid0(VALU_DEP_3) | instskip(SKIP_2) | instid1(VALU_DEP_1)
	v_mul_lo_u32 v0, v0, s36
	s_add_u32 s2, s10, s2
	s_addc_u32 s3, s11, s3
	v_add3_u32 v2, v2, v3, v0
	v_add_nc_u32_e32 v0, s13, v27
	s_delay_alu instid0(VALU_DEP_2) | instskip(NEXT) | instid1(VALU_DEP_2)
	v_lshlrev_b64 v[1:2], 4, v[1:2]
	v_cmp_le_i32_e64 s0, v4, v0
	v_cmp_gt_i32_e32 vcc_lo, s12, v0
	s_delay_alu instid0(VALU_DEP_3) | instskip(NEXT) | instid1(VALU_DEP_1)
	v_add_co_u32 v5, s1, s2, v1
	v_add_co_ci_u32_e64 v6, s1, s3, v2, s1
	s_delay_alu instid0(VALU_DEP_4) | instskip(NEXT) | instid1(SALU_CYCLE_1)
	s_and_b32 s0, s0, vcc_lo
	s_and_saveexec_b32 s1, s0
	s_cbranch_execz .LBB1378_11
; %bb.10:
	v_ashrrev_i32_e32 v1, 31, v0
	v_mul_f64 v[27:28], s[18:19], v[25:26]
	v_mul_f64 v[25:26], s[20:21], v[25:26]
	s_delay_alu instid0(VALU_DEP_3) | instskip(NEXT) | instid1(VALU_DEP_1)
	v_lshlrev_b64 v[1:2], 4, v[0:1]
	v_add_co_u32 v1, s0, v5, v1
	s_delay_alu instid0(VALU_DEP_1)
	v_add_co_ci_u32_e64 v2, s0, v6, v2, s0
	v_cmp_ne_u32_e64 s0, v4, v0
	global_load_b128 v[7:10], v[1:2], off
	v_fma_f64 v[27:28], s[20:21], v[23:24], v[27:28]
	v_fma_f64 v[23:24], s[18:19], v[23:24], -v[25:26]
	s_waitcnt vmcnt(0)
	v_mul_f64 v[29:30], s[6:7], v[9:10]
	v_mul_f64 v[9:10], s[8:9], v[9:10]
	s_delay_alu instid0(VALU_DEP_2) | instskip(NEXT) | instid1(VALU_DEP_2)
	v_fma_f64 v[29:30], s[8:9], v[7:8], v[29:30]
	v_fma_f64 v[7:8], s[6:7], v[7:8], -v[9:10]
	s_delay_alu instid0(VALU_DEP_2) | instskip(NEXT) | instid1(VALU_DEP_2)
	v_add_f64 v[9:10], v[27:28], v[29:30]
	v_add_f64 v[7:8], v[23:24], v[7:8]
	s_delay_alu instid0(VALU_DEP_2) | instskip(NEXT) | instid1(VALU_DEP_3)
	v_cndmask_b32_e64 v10, 0, v10, s0
	v_cndmask_b32_e64 v9, 0, v9, s0
	global_store_b128 v[1:2], v[7:10], off
.LBB1378_11:
	s_or_b32 exec_lo, exec_lo, s1
	v_add_nc_u32_e32 v2, 16, v0
	s_delay_alu instid0(VALU_DEP_1) | instskip(SKIP_1) | instid1(VALU_DEP_1)
	v_cmp_le_i32_e64 s1, v4, v2
	v_cmp_gt_i32_e64 s0, s12, v2
	s_and_b32 s1, s1, s0
	s_delay_alu instid0(SALU_CYCLE_1)
	s_and_saveexec_b32 s4, s1
	s_cbranch_execz .LBB1378_13
; %bb.12:
	v_ashrrev_i32_e32 v3, 31, v2
	v_mul_f64 v[23:24], s[18:19], v[21:22]
	v_mul_f64 v[21:22], s[20:21], v[21:22]
	s_delay_alu instid0(VALU_DEP_3) | instskip(NEXT) | instid1(VALU_DEP_1)
	v_lshlrev_b64 v[7:8], 4, v[2:3]
	v_add_co_u32 v9, s1, v5, v7
	s_delay_alu instid0(VALU_DEP_1)
	v_add_co_ci_u32_e64 v10, s1, v6, v8, s1
	v_cmp_ne_u32_e64 s1, v4, v2
	global_load_b128 v[5:8], v[9:10], off
	v_fma_f64 v[23:24], s[20:21], v[19:20], v[23:24]
	v_fma_f64 v[19:20], s[18:19], v[19:20], -v[21:22]
	s_waitcnt vmcnt(0)
	v_mul_f64 v[25:26], s[6:7], v[7:8]
	v_mul_f64 v[7:8], s[8:9], v[7:8]
	s_delay_alu instid0(VALU_DEP_2) | instskip(NEXT) | instid1(VALU_DEP_2)
	v_fma_f64 v[25:26], s[8:9], v[5:6], v[25:26]
	v_fma_f64 v[5:6], s[6:7], v[5:6], -v[7:8]
	s_delay_alu instid0(VALU_DEP_2) | instskip(NEXT) | instid1(VALU_DEP_2)
	v_add_f64 v[7:8], v[23:24], v[25:26]
	v_add_f64 v[5:6], v[19:20], v[5:6]
	s_delay_alu instid0(VALU_DEP_2) | instskip(NEXT) | instid1(VALU_DEP_3)
	v_cndmask_b32_e64 v8, 0, v8, s1
	v_cndmask_b32_e64 v7, 0, v7, s1
	global_store_b128 v[9:10], v[5:8], off
.LBB1378_13:
	s_or_b32 exec_lo, exec_lo, s4
	v_add_nc_u32_e32 v3, 16, v4
	s_delay_alu instid0(VALU_DEP_1) | instskip(SKIP_3) | instid1(VALU_DEP_4)
	v_ashrrev_i32_e32 v1, 31, v3
	v_mul_lo_u32 v7, v3, s37
	v_mad_u64_u32 v[5:6], null, v3, s36, 0
	v_cmp_le_i32_e64 s1, v3, v0
	v_mul_lo_u32 v1, v1, s36
	s_delay_alu instid0(VALU_DEP_1) | instskip(NEXT) | instid1(VALU_DEP_1)
	v_add3_u32 v6, v6, v7, v1
	v_lshlrev_b64 v[5:6], 4, v[5:6]
	s_delay_alu instid0(VALU_DEP_1) | instskip(NEXT) | instid1(VALU_DEP_1)
	v_add_co_u32 v5, s2, s2, v5
	v_add_co_ci_u32_e64 v6, s2, s3, v6, s2
	s_and_b32 s2, s1, vcc_lo
	s_delay_alu instid0(SALU_CYCLE_1)
	s_and_saveexec_b32 s1, s2
	s_cbranch_execz .LBB1378_15
; %bb.14:
	v_ashrrev_i32_e32 v1, 31, v0
	v_mul_f64 v[21:22], s[18:19], v[17:18]
	v_mul_f64 v[17:18], s[20:21], v[17:18]
	s_delay_alu instid0(VALU_DEP_3) | instskip(NEXT) | instid1(VALU_DEP_1)
	v_lshlrev_b64 v[7:8], 4, v[0:1]
	v_add_co_u32 v19, vcc_lo, v5, v7
	s_delay_alu instid0(VALU_DEP_2)
	v_add_co_ci_u32_e32 v20, vcc_lo, v6, v8, vcc_lo
	v_cmp_ne_u32_e32 vcc_lo, v3, v0
	global_load_b128 v[7:10], v[19:20], off
	v_fma_f64 v[21:22], s[20:21], v[15:16], v[21:22]
	v_fma_f64 v[15:16], s[18:19], v[15:16], -v[17:18]
	s_waitcnt vmcnt(0)
	v_mul_f64 v[23:24], s[6:7], v[9:10]
	v_mul_f64 v[9:10], s[8:9], v[9:10]
	s_delay_alu instid0(VALU_DEP_2) | instskip(NEXT) | instid1(VALU_DEP_2)
	v_fma_f64 v[23:24], s[8:9], v[7:8], v[23:24]
	v_fma_f64 v[7:8], s[6:7], v[7:8], -v[9:10]
	s_delay_alu instid0(VALU_DEP_2) | instskip(NEXT) | instid1(VALU_DEP_2)
	v_add_f64 v[9:10], v[21:22], v[23:24]
	v_add_f64 v[7:8], v[15:16], v[7:8]
	s_delay_alu instid0(VALU_DEP_2)
	v_dual_cndmask_b32 v10, 0, v10 :: v_dual_cndmask_b32 v9, 0, v9
	global_store_b128 v[19:20], v[7:10], off
.LBB1378_15:
	s_or_b32 exec_lo, exec_lo, s1
	v_cmp_le_i32_e32 vcc_lo, v3, v2
	s_and_b32 s0, vcc_lo, s0
	s_delay_alu instid0(SALU_CYCLE_1)
	s_and_saveexec_b32 s1, s0
	s_cbranch_execz .LBB1378_17
; %bb.16:
	v_ashrrev_i32_e32 v3, 31, v2
	s_delay_alu instid0(VALU_DEP_1) | instskip(NEXT) | instid1(VALU_DEP_1)
	v_lshlrev_b64 v[1:2], 4, v[2:3]
	v_add_co_u32 v9, vcc_lo, v5, v1
	s_delay_alu instid0(VALU_DEP_2)
	v_add_co_ci_u32_e32 v10, vcc_lo, v6, v2, vcc_lo
	v_mul_f64 v[1:2], s[18:19], v[13:14]
	v_mul_f64 v[13:14], s[20:21], v[13:14]
	v_cmp_ne_u32_e32 vcc_lo, v4, v0
	global_load_b128 v[5:8], v[9:10], off
	v_fma_f64 v[1:2], s[20:21], v[11:12], v[1:2]
	v_fma_f64 v[11:12], s[18:19], v[11:12], -v[13:14]
	s_waitcnt vmcnt(0)
	v_mul_f64 v[15:16], s[6:7], v[7:8]
	v_mul_f64 v[7:8], s[8:9], v[7:8]
	s_delay_alu instid0(VALU_DEP_2) | instskip(NEXT) | instid1(VALU_DEP_2)
	v_fma_f64 v[15:16], s[8:9], v[5:6], v[15:16]
	v_fma_f64 v[5:6], s[6:7], v[5:6], -v[7:8]
	s_delay_alu instid0(VALU_DEP_2) | instskip(NEXT) | instid1(VALU_DEP_2)
	v_add_f64 v[7:8], v[1:2], v[15:16]
	v_add_f64 v[1:2], v[11:12], v[5:6]
	s_delay_alu instid0(VALU_DEP_2)
	v_dual_cndmask_b32 v4, 0, v8 :: v_dual_cndmask_b32 v3, 0, v7
	global_store_b128 v[9:10], v[1:4], off
.LBB1378_17:
	s_nop 0
	s_sendmsg sendmsg(MSG_DEALLOC_VGPRS)
	s_endpgm
	.section	.rodata,"a",@progbits
	.p2align	6, 0x0
	.amdhsa_kernel _ZL34rocblas_syrkx_herkx_general_kernelIl19rocblas_complex_numIdELi16ELi32ELi8ELb0ELb1ELc67ELc76EKS1_S1_EviT_T0_PT8_S3_lS6_S3_lS4_PT9_S3_li
		.amdhsa_group_segment_fixed_size 8192
		.amdhsa_private_segment_fixed_size 0
		.amdhsa_kernarg_size 124
		.amdhsa_user_sgpr_count 13
		.amdhsa_user_sgpr_dispatch_ptr 0
		.amdhsa_user_sgpr_queue_ptr 0
		.amdhsa_user_sgpr_kernarg_segment_ptr 1
		.amdhsa_user_sgpr_dispatch_id 0
		.amdhsa_user_sgpr_private_segment_size 0
		.amdhsa_wavefront_size32 1
		.amdhsa_uses_dynamic_stack 0
		.amdhsa_enable_private_segment 0
		.amdhsa_system_sgpr_workgroup_id_x 1
		.amdhsa_system_sgpr_workgroup_id_y 1
		.amdhsa_system_sgpr_workgroup_id_z 1
		.amdhsa_system_sgpr_workgroup_info 0
		.amdhsa_system_vgpr_workitem_id 1
		.amdhsa_next_free_vgpr 121
		.amdhsa_next_free_sgpr 40
		.amdhsa_reserve_vcc 1
		.amdhsa_float_round_mode_32 0
		.amdhsa_float_round_mode_16_64 0
		.amdhsa_float_denorm_mode_32 3
		.amdhsa_float_denorm_mode_16_64 3
		.amdhsa_dx10_clamp 1
		.amdhsa_ieee_mode 1
		.amdhsa_fp16_overflow 0
		.amdhsa_workgroup_processor_mode 1
		.amdhsa_memory_ordered 1
		.amdhsa_forward_progress 0
		.amdhsa_shared_vgpr_count 0
		.amdhsa_exception_fp_ieee_invalid_op 0
		.amdhsa_exception_fp_denorm_src 0
		.amdhsa_exception_fp_ieee_div_zero 0
		.amdhsa_exception_fp_ieee_overflow 0
		.amdhsa_exception_fp_ieee_underflow 0
		.amdhsa_exception_fp_ieee_inexact 0
		.amdhsa_exception_int_div_zero 0
	.end_amdhsa_kernel
	.section	.text._ZL34rocblas_syrkx_herkx_general_kernelIl19rocblas_complex_numIdELi16ELi32ELi8ELb0ELb1ELc67ELc76EKS1_S1_EviT_T0_PT8_S3_lS6_S3_lS4_PT9_S3_li,"axG",@progbits,_ZL34rocblas_syrkx_herkx_general_kernelIl19rocblas_complex_numIdELi16ELi32ELi8ELb0ELb1ELc67ELc76EKS1_S1_EviT_T0_PT8_S3_lS6_S3_lS4_PT9_S3_li,comdat
.Lfunc_end1378:
	.size	_ZL34rocblas_syrkx_herkx_general_kernelIl19rocblas_complex_numIdELi16ELi32ELi8ELb0ELb1ELc67ELc76EKS1_S1_EviT_T0_PT8_S3_lS6_S3_lS4_PT9_S3_li, .Lfunc_end1378-_ZL34rocblas_syrkx_herkx_general_kernelIl19rocblas_complex_numIdELi16ELi32ELi8ELb0ELb1ELc67ELc76EKS1_S1_EviT_T0_PT8_S3_lS6_S3_lS4_PT9_S3_li
                                        ; -- End function
	.section	.AMDGPU.csdata,"",@progbits
; Kernel info:
; codeLenInByte = 3704
; NumSgprs: 42
; NumVgprs: 121
; ScratchSize: 0
; MemoryBound: 1
; FloatMode: 240
; IeeeMode: 1
; LDSByteSize: 8192 bytes/workgroup (compile time only)
; SGPRBlocks: 5
; VGPRBlocks: 15
; NumSGPRsForWavesPerEU: 42
; NumVGPRsForWavesPerEU: 121
; Occupancy: 10
; WaveLimiterHint : 0
; COMPUTE_PGM_RSRC2:SCRATCH_EN: 0
; COMPUTE_PGM_RSRC2:USER_SGPR: 13
; COMPUTE_PGM_RSRC2:TRAP_HANDLER: 0
; COMPUTE_PGM_RSRC2:TGID_X_EN: 1
; COMPUTE_PGM_RSRC2:TGID_Y_EN: 1
; COMPUTE_PGM_RSRC2:TGID_Z_EN: 1
; COMPUTE_PGM_RSRC2:TIDIG_COMP_CNT: 1
	.section	.text._ZL34rocblas_syrkx_herkx_general_kernelIl19rocblas_complex_numIdELi16ELi32ELi8ELb0ELb1ELc78ELc76EKS1_S1_EviT_T0_PT8_S3_lS6_S3_lS4_PT9_S3_li,"axG",@progbits,_ZL34rocblas_syrkx_herkx_general_kernelIl19rocblas_complex_numIdELi16ELi32ELi8ELb0ELb1ELc78ELc76EKS1_S1_EviT_T0_PT8_S3_lS6_S3_lS4_PT9_S3_li,comdat
	.globl	_ZL34rocblas_syrkx_herkx_general_kernelIl19rocblas_complex_numIdELi16ELi32ELi8ELb0ELb1ELc78ELc76EKS1_S1_EviT_T0_PT8_S3_lS6_S3_lS4_PT9_S3_li ; -- Begin function _ZL34rocblas_syrkx_herkx_general_kernelIl19rocblas_complex_numIdELi16ELi32ELi8ELb0ELb1ELc78ELc76EKS1_S1_EviT_T0_PT8_S3_lS6_S3_lS4_PT9_S3_li
	.p2align	8
	.type	_ZL34rocblas_syrkx_herkx_general_kernelIl19rocblas_complex_numIdELi16ELi32ELi8ELb0ELb1ELc78ELc76EKS1_S1_EviT_T0_PT8_S3_lS6_S3_lS4_PT9_S3_li,@function
_ZL34rocblas_syrkx_herkx_general_kernelIl19rocblas_complex_numIdELi16ELi32ELi8ELb0ELb1ELc78ELc76EKS1_S1_EviT_T0_PT8_S3_lS6_S3_lS4_PT9_S3_li: ; @_ZL34rocblas_syrkx_herkx_general_kernelIl19rocblas_complex_numIdELi16ELi32ELi8ELb0ELb1ELc78ELc76EKS1_S1_EviT_T0_PT8_S3_lS6_S3_lS4_PT9_S3_li
; %bb.0:
	s_clause 0x3
	s_load_b512 s[16:31], s[0:1], 0x8
	s_load_b32 s33, s[0:1], 0x0
	s_load_b128 s[36:39], s[0:1], 0x68
	s_load_b256 s[4:11], s[0:1], 0x48
	v_mov_b32_e32 v21, 0
	v_dual_mov_b32 v22, 0 :: v_dual_and_b32 v25, 0x3ff, v0
	v_bfe_u32 v26, v0, 10, 10
	s_delay_alu instid0(VALU_DEP_3) | instskip(NEXT) | instid1(VALU_DEP_3)
	v_mov_b32_e32 v17, v21
	v_dual_mov_b32 v19, v21 :: v_dual_mov_b32 v20, v22
	v_dual_mov_b32 v24, v22 :: v_dual_mov_b32 v23, v21
	;; [unrolled: 1-line block ×5, first 2 shown]
	v_mov_b32_e32 v12, v22
	s_waitcnt lgkmcnt(0)
	v_cmp_lt_i64_e64 s0, s[16:17], 1
	v_dual_mov_b32 v9, v21 :: v_dual_mov_b32 v10, v22
	s_lshl_b32 s34, s13, 5
	s_lshl_b32 s14, s14, 5
	s_mov_b64 s[2:3], 0
	s_delay_alu instid0(VALU_DEP_2)
	s_and_b32 vcc_lo, exec_lo, s0
	s_cbranch_vccnz .LBB1379_9
; %bb.1:
	v_lshl_add_u32 v5, v26, 4, v25
	v_dual_mov_b32 v0, 0 :: v_dual_and_b32 v27, 7, v25
	s_mul_i32 s1, s27, s15
	s_mul_hi_u32 s12, s26, s15
	s_delay_alu instid0(VALU_DEP_2) | instskip(NEXT) | instid1(VALU_DEP_2)
	v_lshrrev_b32_e32 v28, 5, v5
	v_mad_u64_u32 v[3:4], null, s30, v27, 0
	v_lshrrev_b32_e32 v7, 3, v5
	v_and_b32_e32 v10, 31, v5
	s_delay_alu instid0(VALU_DEP_4)
	v_mad_u64_u32 v[1:2], null, s24, v28, 0
	s_mul_i32 s0, s26, s15
	s_add_i32 s1, s12, s1
	s_mul_i32 s5, s5, s15
	s_lshl_b64 s[12:13], s[0:1], 4
	s_mul_hi_u32 s26, s4, s15
	s_mul_i32 s4, s4, s15
	s_delay_alu instid0(VALU_DEP_1)
	v_mad_u64_u32 v[5:6], null, s25, v28, v[2:3]
	v_lshlrev_b32_e32 v2, 4, v27
	v_lshlrev_b32_e32 v29, 4, v25
	v_add_nc_u32_e32 v6, s14, v7
	s_add_i32 s5, s26, s5
	v_or_b32_e32 v11, s34, v10
	v_lshl_or_b32 v7, v7, 7, v2
	v_mov_b32_e32 v2, v5
	v_mad_u64_u32 v[8:9], null, s31, v27, v[4:5]
	v_add_nc_u32_e32 v9, s34, v10
	s_delay_alu instid0(VALU_DEP_4) | instskip(NEXT) | instid1(VALU_DEP_4)
	v_add_nc_u32_e32 v32, 0x1000, v7
	v_lshlrev_b64 v[1:2], 4, v[1:2]
	v_ashrrev_i32_e32 v7, 31, v6
	v_lshlrev_b32_e32 v12, 4, v10
	s_lshl_b64 s[4:5], s[4:5], 4
	v_mov_b32_e32 v4, v8
	v_ashrrev_i32_e32 v10, 31, v9
	v_add_co_u32 v5, s1, v1, s12
	s_delay_alu instid0(VALU_DEP_1) | instskip(NEXT) | instid1(VALU_DEP_4)
	v_add_co_ci_u32_e64 v8, s1, s13, v2, s1
	v_lshlrev_b64 v[1:2], 4, v[3:4]
	v_lshlrev_b64 v[3:4], 4, v[6:7]
	v_cmp_gt_i32_e64 s0, s33, v6
	v_cmp_gt_i32_e32 vcc_lo, s33, v11
	v_lshl_add_u32 v30, v26, 7, 0x1000
	s_lshl_b64 s[12:13], s[30:31], 7
	v_add_co_u32 v6, s1, s4, v1
	s_delay_alu instid0(VALU_DEP_1) | instskip(SKIP_1) | instid1(VALU_DEP_3)
	v_add_co_ci_u32_e64 v7, s1, s5, v2, s1
	v_lshlrev_b64 v[1:2], 4, v[9:10]
	v_add_co_u32 v3, s1, v6, v3
	s_delay_alu instid0(VALU_DEP_1) | instskip(SKIP_1) | instid1(VALU_DEP_4)
	v_add_co_ci_u32_e64 v4, s1, v7, v4, s1
	v_mov_b32_e32 v9, 0
	v_add_co_u32 v1, s1, v5, v1
	s_delay_alu instid0(VALU_DEP_1) | instskip(SKIP_4) | instid1(VALU_DEP_1)
	v_add_co_ci_u32_e64 v2, s1, v8, v2, s1
	v_add_co_u32 v3, s1, v3, s28
	v_mov_b32_e32 v10, 0
	v_add_co_ci_u32_e64 v4, s1, s29, v4, s1
	v_add_co_u32 v5, s1, s22, v1
	v_add_co_ci_u32_e64 v6, s1, s23, v2, s1
	v_add_co_u32 v7, s1, v3, 8
	v_dual_mov_b32 v16, v10 :: v_dual_mov_b32 v15, v9
	v_lshl_or_b32 v31, v28, 9, v12
	v_mov_b32_e32 v12, v10
	v_mov_b32_e32 v14, v10
	;; [unrolled: 1-line block ×5, first 2 shown]
	v_dual_mov_b32 v22, v10 :: v_dual_mov_b32 v21, v9
	v_add_co_ci_u32_e64 v8, s1, 0, v4, s1
	v_mov_b32_e32 v11, v9
	v_mov_b32_e32 v13, v9
	;; [unrolled: 1-line block ×5, first 2 shown]
	s_lshl_b64 s[4:5], s[24:25], 7
	s_xor_b32 s1, vcc_lo, -1
	s_branch .LBB1379_3
.LBB1379_2:                             ;   in Loop: Header=BB1379_3 Depth=1
	s_or_b32 exec_lo, exec_lo, s22
	ds_store_b128 v32, v[1:4]
	s_waitcnt lgkmcnt(0)
	s_barrier
	buffer_gl0_inv
	ds_load_b128 v[1:4], v30
	ds_load_b128 v[33:36], v29
	ds_load_b128 v[37:40], v29 offset:256
	ds_load_b128 v[41:44], v30 offset:2048
	;; [unrolled: 1-line block ×9, first 2 shown]
	s_add_u32 s2, s2, 8
	s_addc_u32 s3, s3, 0
	v_add_co_u32 v5, vcc_lo, v5, s4
	v_cmp_ge_i64_e64 s22, s[2:3], s[16:17]
	v_add_co_ci_u32_e32 v6, vcc_lo, s5, v6, vcc_lo
	v_add_co_u32 v7, vcc_lo, v7, s12
	v_add_co_ci_u32_e32 v8, vcc_lo, s13, v8, vcc_lo
	s_delay_alu instid0(VALU_DEP_4)
	s_and_b32 vcc_lo, exec_lo, s22
	s_waitcnt lgkmcnt(9)
	v_mul_f64 v[73:74], v[3:4], v[35:36]
	v_mul_f64 v[75:76], v[1:2], v[35:36]
	s_waitcnt lgkmcnt(8)
	v_mul_f64 v[77:78], v[3:4], v[39:40]
	v_mul_f64 v[79:80], v[1:2], v[39:40]
	;; [unrolled: 3-line block ×3, first 2 shown]
	v_mul_f64 v[83:84], v[43:44], v[39:40]
	v_mul_f64 v[39:40], v[41:42], v[39:40]
	s_waitcnt lgkmcnt(4)
	v_mul_f64 v[85:86], v[47:48], v[55:56]
	v_mul_f64 v[87:88], v[45:46], v[55:56]
	s_waitcnt lgkmcnt(3)
	v_mul_f64 v[89:90], v[47:48], v[59:60]
	v_mul_f64 v[91:92], v[45:46], v[59:60]
	;; [unrolled: 1-line block ×6, first 2 shown]
	v_fma_f64 v[97:98], v[1:2], v[33:34], -v[73:74]
	v_fma_f64 v[99:100], v[3:4], v[33:34], v[75:76]
	ds_load_b128 v[73:76], v30 offset:32
	v_fma_f64 v[77:78], v[1:2], v[37:38], -v[77:78]
	v_fma_f64 v[79:80], v[3:4], v[37:38], v[79:80]
	v_fma_f64 v[81:82], v[41:42], v[33:34], -v[81:82]
	v_fma_f64 v[101:102], v[43:44], v[33:34], v[35:36]
	;; [unrolled: 2-line block ×3, first 2 shown]
	s_waitcnt lgkmcnt(1)
	v_mul_f64 v[113:114], v[71:72], v[63:64]
	v_fma_f64 v[85:86], v[45:46], v[53:54], -v[85:86]
	v_fma_f64 v[87:88], v[47:48], v[53:54], v[87:88]
	v_fma_f64 v[45:46], v[45:46], v[57:58], -v[89:90]
	v_fma_f64 v[47:48], v[47:48], v[57:58], v[91:92]
	v_mul_f64 v[89:90], v[71:72], v[67:68]
	v_fma_f64 v[91:92], v[49:50], v[53:54], -v[93:94]
	v_fma_f64 v[53:54], v[51:52], v[53:54], v[55:56]
	v_fma_f64 v[49:50], v[49:50], v[57:58], -v[95:96]
	v_fma_f64 v[51:52], v[51:52], v[57:58], v[59:60]
	ds_load_b128 v[1:4], v30 offset:48
	ds_load_b128 v[33:36], v30 offset:2096
	;; [unrolled: 1-line block ×4, first 2 shown]
	s_waitcnt lgkmcnt(4)
	v_mul_f64 v[105:106], v[75:76], v[63:64]
	v_mul_f64 v[107:108], v[73:74], v[63:64]
	;; [unrolled: 1-line block ×6, first 2 shown]
	s_waitcnt lgkmcnt(1)
	v_mul_f64 v[93:94], v[1:2], v[39:40]
	v_add_f64 v[21:22], v[21:22], v[97:98]
	v_add_f64 v[23:24], v[23:24], v[99:100]
	;; [unrolled: 1-line block ×8, first 2 shown]
	v_mul_f64 v[83:84], v[3:4], v[39:40]
	s_waitcnt lgkmcnt(0)
	v_mul_f64 v[95:96], v[3:4], v[43:44]
	v_mul_f64 v[97:98], v[1:2], v[43:44]
	;; [unrolled: 1-line block ×6, first 2 shown]
	ds_load_b128 v[9:12], v29 offset:2048
	ds_load_b128 v[13:16], v29 offset:2304
	;; [unrolled: 1-line block ×3, first 2 shown]
	v_fma_f64 v[105:106], v[73:74], v[61:62], -v[105:106]
	v_fma_f64 v[107:108], v[75:76], v[61:62], v[107:108]
	v_fma_f64 v[73:74], v[73:74], v[65:66], -v[109:110]
	v_fma_f64 v[75:76], v[75:76], v[65:66], v[111:112]
	;; [unrolled: 2-line block ×4, first 2 shown]
	s_waitcnt lgkmcnt(0)
	v_mul_f64 v[113:114], v[19:20], v[11:12]
	v_mul_f64 v[115:116], v[19:20], v[15:16]
	v_fma_f64 v[93:94], v[3:4], v[37:38], v[93:94]
	v_add_f64 v[67:68], v[21:22], v[85:86]
	v_add_f64 v[69:70], v[23:24], v[87:88]
	;; [unrolled: 1-line block ×8, first 2 shown]
	ds_load_b128 v[21:24], v30 offset:64
	v_fma_f64 v[83:84], v[1:2], v[37:38], -v[83:84]
	v_fma_f64 v[95:96], v[1:2], v[41:42], -v[95:96]
	v_fma_f64 v[97:98], v[3:4], v[41:42], v[97:98]
	v_fma_f64 v[99:100], v[33:34], v[37:38], -v[99:100]
	v_fma_f64 v[117:118], v[35:36], v[37:38], v[39:40]
	;; [unrolled: 2-line block ×3, first 2 shown]
	ds_load_b128 v[43:46], v30 offset:80
	ds_load_b128 v[47:50], v30 offset:2128
	;; [unrolled: 1-line block ×7, first 2 shown]
	s_waitcnt lgkmcnt(7)
	v_mul_f64 v[87:88], v[23:24], v[11:12]
	v_mul_f64 v[89:90], v[21:22], v[11:12]
	;; [unrolled: 1-line block ×6, first 2 shown]
	s_waitcnt lgkmcnt(3)
	v_mul_f64 v[103:104], v[49:50], v[57:58]
	v_add_f64 v[67:68], v[67:68], v[105:106]
	v_add_f64 v[69:70], v[69:70], v[107:108]
	;; [unrolled: 1-line block ×8, first 2 shown]
	v_mul_f64 v[75:76], v[45:46], v[53:54]
	v_mul_f64 v[77:78], v[43:44], v[53:54]
	;; [unrolled: 1-line block ×7, first 2 shown]
	v_fma_f64 v[109:110], v[17:18], v[9:10], -v[113:114]
	v_fma_f64 v[113:114], v[17:18], v[13:14], -v[115:116]
	;; [unrolled: 1-line block ×3, first 2 shown]
	v_fma_f64 v[89:90], v[23:24], v[9:10], v[89:90]
	v_fma_f64 v[91:92], v[21:22], v[13:14], -v[91:92]
	v_fma_f64 v[107:108], v[23:24], v[13:14], v[111:112]
	v_fma_f64 v[111:112], v[19:20], v[9:10], v[11:12]
	;; [unrolled: 1-line block ×3, first 2 shown]
	ds_load_b128 v[9:12], v30 offset:96
	v_add_f64 v[67:68], v[67:68], v[83:84]
	v_add_f64 v[69:70], v[69:70], v[93:94]
	;; [unrolled: 1-line block ×8, first 2 shown]
	s_waitcnt lgkmcnt(1)
	v_mul_f64 v[99:100], v[39:40], v[3:4]
	v_fma_f64 v[75:76], v[43:44], v[51:52], -v[75:76]
	v_fma_f64 v[77:78], v[45:46], v[51:52], v[77:78]
	v_fma_f64 v[43:44], v[43:44], v[55:56], -v[79:80]
	v_fma_f64 v[45:46], v[45:46], v[55:56], v[81:82]
	v_mul_f64 v[79:80], v[39:40], v[35:36]
	v_fma_f64 v[81:82], v[47:48], v[51:52], -v[85:86]
	v_fma_f64 v[51:52], v[49:50], v[51:52], v[53:54]
	s_waitcnt lgkmcnt(0)
	v_mul_f64 v[65:66], v[11:12], v[3:4]
	v_mul_f64 v[93:94], v[9:10], v[3:4]
	;; [unrolled: 1-line block ×6, first 2 shown]
	v_fma_f64 v[47:48], v[47:48], v[55:56], -v[103:104]
	v_fma_f64 v[49:50], v[49:50], v[55:56], v[105:106]
	ds_load_b128 v[13:16], v30 offset:112
	ds_load_b128 v[17:20], v30 offset:2160
	;; [unrolled: 1-line block ×4, first 2 shown]
	s_waitcnt lgkmcnt(0)
	s_barrier
	buffer_gl0_inv
	v_add_f64 v[53:54], v[67:68], v[87:88]
	v_add_f64 v[55:56], v[69:70], v[89:90]
	;; [unrolled: 1-line block ×8, first 2 shown]
	v_mul_f64 v[73:74], v[15:16], v[23:24]
	v_mul_f64 v[83:84], v[13:14], v[23:24]
	;; [unrolled: 1-line block ×8, first 2 shown]
	v_fma_f64 v[65:66], v[9:10], v[1:2], -v[65:66]
	v_fma_f64 v[93:94], v[11:12], v[1:2], v[93:94]
	v_fma_f64 v[9:10], v[9:10], v[33:34], -v[95:96]
	v_fma_f64 v[11:12], v[11:12], v[33:34], v[97:98]
	;; [unrolled: 2-line block ×4, first 2 shown]
	v_add_f64 v[35:36], v[53:54], v[75:76]
	v_add_f64 v[37:38], v[55:56], v[77:78]
	;; [unrolled: 1-line block ×8, first 2 shown]
	v_fma_f64 v[49:50], v[13:14], v[21:22], -v[73:74]
	v_fma_f64 v[53:54], v[15:16], v[21:22], v[83:84]
	v_fma_f64 v[13:14], v[13:14], v[57:58], -v[85:86]
	v_fma_f64 v[15:16], v[15:16], v[57:58], v[87:88]
	;; [unrolled: 2-line block ×4, first 2 shown]
	v_add_f64 v[17:18], v[35:36], v[65:66]
	v_add_f64 v[19:20], v[37:38], v[93:94]
	;; [unrolled: 1-line block ×16, first 2 shown]
	s_cbranch_vccnz .LBB1379_9
.LBB1379_3:                             ; =>This Inner Loop Header: Depth=1
	v_add_co_u32 v1, s22, v28, s2
	s_delay_alu instid0(VALU_DEP_1) | instskip(NEXT) | instid1(VALU_DEP_1)
	v_add_co_ci_u32_e64 v2, null, 0, s3, s22
	v_cmp_le_i64_e32 vcc_lo, s[16:17], v[1:2]
	s_or_b32 s22, s1, vcc_lo
	s_delay_alu instid0(SALU_CYCLE_1) | instskip(NEXT) | instid1(SALU_CYCLE_1)
	s_and_saveexec_b32 s23, s22
	s_xor_b32 s22, exec_lo, s23
	s_cbranch_execz .LBB1379_5
; %bb.4:                                ;   in Loop: Header=BB1379_3 Depth=1
	v_mov_b32_e32 v1, v0
	v_mov_b32_e32 v2, v0
	;; [unrolled: 1-line block ×3, first 2 shown]
	ds_store_b128 v31, v[0:3]
.LBB1379_5:                             ;   in Loop: Header=BB1379_3 Depth=1
	s_and_not1_saveexec_b32 s22, s22
	s_cbranch_execz .LBB1379_7
; %bb.6:                                ;   in Loop: Header=BB1379_3 Depth=1
	global_load_b128 v[1:4], v[5:6], off
	s_waitcnt vmcnt(0)
	ds_store_2addr_b64 v31, v[1:2], v[3:4] offset1:1
.LBB1379_7:                             ;   in Loop: Header=BB1379_3 Depth=1
	s_or_b32 exec_lo, exec_lo, s22
	v_add_co_u32 v3, s22, v27, s2
	s_delay_alu instid0(VALU_DEP_1) | instskip(SKIP_2) | instid1(VALU_DEP_3)
	v_add_co_ci_u32_e64 v4, null, 0, s3, s22
	v_mov_b32_e32 v1, 0
	v_mov_b32_e32 v2, 0
	v_cmp_gt_i64_e32 vcc_lo, s[16:17], v[3:4]
	s_delay_alu instid0(VALU_DEP_2) | instskip(SKIP_1) | instid1(SALU_CYCLE_1)
	v_dual_mov_b32 v4, v2 :: v_dual_mov_b32 v3, v1
	s_and_b32 s23, vcc_lo, s0
	s_and_saveexec_b32 s22, s23
	s_cbranch_execz .LBB1379_2
; %bb.8:                                ;   in Loop: Header=BB1379_3 Depth=1
	global_load_b128 v[1:4], v[7:8], off offset:-8
	s_waitcnt vmcnt(0)
	v_xor_b32_e32 v4, 0x80000000, v4
	s_branch .LBB1379_2
.LBB1379_9:
	v_add_nc_u32_e32 v4, s14, v26
	s_mul_i32 s1, s15, s39
	s_mul_hi_u32 s2, s15, s38
	s_mul_i32 s0, s15, s38
	s_add_i32 s1, s2, s1
	v_ashrrev_i32_e32 v0, 31, v4
	v_mul_lo_u32 v3, v4, s37
	v_mad_u64_u32 v[1:2], null, v4, s36, 0
	s_lshl_b64 s[2:3], s[0:1], 4
	s_delay_alu instid0(VALU_DEP_3) | instskip(SKIP_2) | instid1(VALU_DEP_1)
	v_mul_lo_u32 v0, v0, s36
	s_add_u32 s2, s10, s2
	s_addc_u32 s3, s11, s3
	v_add3_u32 v2, v2, v3, v0
	v_add_nc_u32_e32 v0, s34, v25
	s_delay_alu instid0(VALU_DEP_2) | instskip(NEXT) | instid1(VALU_DEP_2)
	v_lshlrev_b64 v[1:2], 4, v[1:2]
	v_cmp_le_i32_e64 s0, v4, v0
	v_cmp_gt_i32_e32 vcc_lo, s33, v0
	s_delay_alu instid0(VALU_DEP_3) | instskip(NEXT) | instid1(VALU_DEP_1)
	v_add_co_u32 v5, s1, s2, v1
	v_add_co_ci_u32_e64 v6, s1, s3, v2, s1
	s_delay_alu instid0(VALU_DEP_4) | instskip(NEXT) | instid1(SALU_CYCLE_1)
	s_and_b32 s0, s0, vcc_lo
	s_and_saveexec_b32 s1, s0
	s_cbranch_execz .LBB1379_11
; %bb.10:
	v_ashrrev_i32_e32 v1, 31, v0
	v_mul_f64 v[7:8], s[18:19], v[23:24]
	v_mul_f64 v[23:24], s[20:21], v[23:24]
	s_delay_alu instid0(VALU_DEP_3) | instskip(NEXT) | instid1(VALU_DEP_1)
	v_lshlrev_b64 v[1:2], 4, v[0:1]
	v_add_co_u32 v1, s0, v5, v1
	s_delay_alu instid0(VALU_DEP_1)
	v_add_co_ci_u32_e64 v2, s0, v6, v2, s0
	v_cmp_ne_u32_e64 s0, v4, v0
	global_load_b128 v[25:28], v[1:2], off
	v_fma_f64 v[7:8], s[20:21], v[21:22], v[7:8]
	v_fma_f64 v[21:22], s[18:19], v[21:22], -v[23:24]
	s_waitcnt vmcnt(0)
	v_mul_f64 v[29:30], s[6:7], v[27:28]
	v_mul_f64 v[27:28], s[8:9], v[27:28]
	s_delay_alu instid0(VALU_DEP_2) | instskip(NEXT) | instid1(VALU_DEP_2)
	v_fma_f64 v[29:30], s[8:9], v[25:26], v[29:30]
	v_fma_f64 v[23:24], s[6:7], v[25:26], -v[27:28]
	s_delay_alu instid0(VALU_DEP_2) | instskip(NEXT) | instid1(VALU_DEP_2)
	v_add_f64 v[7:8], v[7:8], v[29:30]
	v_add_f64 v[21:22], v[21:22], v[23:24]
	s_delay_alu instid0(VALU_DEP_2) | instskip(NEXT) | instid1(VALU_DEP_3)
	v_cndmask_b32_e64 v24, 0, v8, s0
	v_cndmask_b32_e64 v23, 0, v7, s0
	global_store_b128 v[1:2], v[21:24], off
.LBB1379_11:
	s_or_b32 exec_lo, exec_lo, s1
	v_add_nc_u32_e32 v2, 16, v0
	s_delay_alu instid0(VALU_DEP_1) | instskip(SKIP_1) | instid1(VALU_DEP_1)
	v_cmp_le_i32_e64 s1, v4, v2
	v_cmp_gt_i32_e64 s0, s33, v2
	s_and_b32 s1, s1, s0
	s_delay_alu instid0(SALU_CYCLE_1)
	s_and_saveexec_b32 s4, s1
	s_cbranch_execz .LBB1379_13
; %bb.12:
	v_ashrrev_i32_e32 v3, 31, v2
	v_mul_f64 v[23:24], s[18:19], v[19:20]
	v_mul_f64 v[19:20], s[20:21], v[19:20]
	s_delay_alu instid0(VALU_DEP_3) | instskip(NEXT) | instid1(VALU_DEP_1)
	v_lshlrev_b64 v[7:8], 4, v[2:3]
	v_add_co_u32 v21, s1, v5, v7
	s_delay_alu instid0(VALU_DEP_1)
	v_add_co_ci_u32_e64 v22, s1, v6, v8, s1
	v_cmp_ne_u32_e64 s1, v4, v2
	global_load_b128 v[5:8], v[21:22], off
	v_fma_f64 v[23:24], s[20:21], v[17:18], v[23:24]
	v_fma_f64 v[17:18], s[18:19], v[17:18], -v[19:20]
	s_waitcnt vmcnt(0)
	v_mul_f64 v[25:26], s[6:7], v[7:8]
	v_mul_f64 v[7:8], s[8:9], v[7:8]
	s_delay_alu instid0(VALU_DEP_2) | instskip(NEXT) | instid1(VALU_DEP_2)
	v_fma_f64 v[25:26], s[8:9], v[5:6], v[25:26]
	v_fma_f64 v[5:6], s[6:7], v[5:6], -v[7:8]
	s_delay_alu instid0(VALU_DEP_2) | instskip(NEXT) | instid1(VALU_DEP_2)
	v_add_f64 v[7:8], v[23:24], v[25:26]
	v_add_f64 v[5:6], v[17:18], v[5:6]
	s_delay_alu instid0(VALU_DEP_2) | instskip(NEXT) | instid1(VALU_DEP_3)
	v_cndmask_b32_e64 v8, 0, v8, s1
	v_cndmask_b32_e64 v7, 0, v7, s1
	global_store_b128 v[21:22], v[5:8], off
.LBB1379_13:
	s_or_b32 exec_lo, exec_lo, s4
	v_add_nc_u32_e32 v3, 16, v4
	s_delay_alu instid0(VALU_DEP_1) | instskip(SKIP_3) | instid1(VALU_DEP_4)
	v_ashrrev_i32_e32 v1, 31, v3
	v_mul_lo_u32 v7, v3, s37
	v_mad_u64_u32 v[5:6], null, v3, s36, 0
	v_cmp_le_i32_e64 s1, v3, v0
	v_mul_lo_u32 v1, v1, s36
	s_delay_alu instid0(VALU_DEP_1) | instskip(NEXT) | instid1(VALU_DEP_1)
	v_add3_u32 v6, v6, v7, v1
	v_lshlrev_b64 v[5:6], 4, v[5:6]
	s_delay_alu instid0(VALU_DEP_1) | instskip(NEXT) | instid1(VALU_DEP_1)
	v_add_co_u32 v5, s2, s2, v5
	v_add_co_ci_u32_e64 v6, s2, s3, v6, s2
	s_and_b32 s2, s1, vcc_lo
	s_delay_alu instid0(SALU_CYCLE_1)
	s_and_saveexec_b32 s1, s2
	s_cbranch_execz .LBB1379_15
; %bb.14:
	v_ashrrev_i32_e32 v1, 31, v0
	v_mul_f64 v[21:22], s[18:19], v[15:16]
	v_mul_f64 v[15:16], s[20:21], v[15:16]
	s_delay_alu instid0(VALU_DEP_3) | instskip(NEXT) | instid1(VALU_DEP_1)
	v_lshlrev_b64 v[7:8], 4, v[0:1]
	v_add_co_u32 v7, vcc_lo, v5, v7
	s_delay_alu instid0(VALU_DEP_2)
	v_add_co_ci_u32_e32 v8, vcc_lo, v6, v8, vcc_lo
	v_cmp_ne_u32_e32 vcc_lo, v3, v0
	global_load_b128 v[17:20], v[7:8], off
	v_fma_f64 v[21:22], s[20:21], v[13:14], v[21:22]
	v_fma_f64 v[13:14], s[18:19], v[13:14], -v[15:16]
	s_waitcnt vmcnt(0)
	v_mul_f64 v[23:24], s[6:7], v[19:20]
	v_mul_f64 v[19:20], s[8:9], v[19:20]
	s_delay_alu instid0(VALU_DEP_2) | instskip(NEXT) | instid1(VALU_DEP_2)
	v_fma_f64 v[23:24], s[8:9], v[17:18], v[23:24]
	v_fma_f64 v[15:16], s[6:7], v[17:18], -v[19:20]
	s_delay_alu instid0(VALU_DEP_2) | instskip(NEXT) | instid1(VALU_DEP_2)
	v_add_f64 v[17:18], v[21:22], v[23:24]
	v_add_f64 v[13:14], v[13:14], v[15:16]
	s_delay_alu instid0(VALU_DEP_2)
	v_dual_cndmask_b32 v16, 0, v18 :: v_dual_cndmask_b32 v15, 0, v17
	global_store_b128 v[7:8], v[13:16], off
.LBB1379_15:
	s_or_b32 exec_lo, exec_lo, s1
	v_cmp_le_i32_e32 vcc_lo, v3, v2
	s_and_b32 s0, vcc_lo, s0
	s_delay_alu instid0(SALU_CYCLE_1)
	s_and_saveexec_b32 s1, s0
	s_cbranch_execz .LBB1379_17
; %bb.16:
	v_ashrrev_i32_e32 v3, 31, v2
	s_delay_alu instid0(VALU_DEP_1) | instskip(NEXT) | instid1(VALU_DEP_1)
	v_lshlrev_b64 v[1:2], 4, v[2:3]
	v_add_co_u32 v13, vcc_lo, v5, v1
	s_delay_alu instid0(VALU_DEP_2)
	v_add_co_ci_u32_e32 v14, vcc_lo, v6, v2, vcc_lo
	v_mul_f64 v[1:2], s[18:19], v[9:10]
	v_mul_f64 v[9:10], s[20:21], v[9:10]
	v_cmp_ne_u32_e32 vcc_lo, v4, v0
	global_load_b128 v[5:8], v[13:14], off
	v_fma_f64 v[1:2], s[20:21], v[11:12], v[1:2]
	v_fma_f64 v[9:10], s[18:19], v[11:12], -v[9:10]
	s_waitcnt vmcnt(0)
	v_mul_f64 v[15:16], s[6:7], v[7:8]
	v_mul_f64 v[7:8], s[8:9], v[7:8]
	s_delay_alu instid0(VALU_DEP_2) | instskip(NEXT) | instid1(VALU_DEP_2)
	v_fma_f64 v[15:16], s[8:9], v[5:6], v[15:16]
	v_fma_f64 v[5:6], s[6:7], v[5:6], -v[7:8]
	s_delay_alu instid0(VALU_DEP_2) | instskip(NEXT) | instid1(VALU_DEP_2)
	v_add_f64 v[7:8], v[1:2], v[15:16]
	v_add_f64 v[1:2], v[9:10], v[5:6]
	s_delay_alu instid0(VALU_DEP_2)
	v_dual_cndmask_b32 v4, 0, v8 :: v_dual_cndmask_b32 v3, 0, v7
	global_store_b128 v[13:14], v[1:4], off
.LBB1379_17:
	s_nop 0
	s_sendmsg sendmsg(MSG_DEALLOC_VGPRS)
	s_endpgm
	.section	.rodata,"a",@progbits
	.p2align	6, 0x0
	.amdhsa_kernel _ZL34rocblas_syrkx_herkx_general_kernelIl19rocblas_complex_numIdELi16ELi32ELi8ELb0ELb1ELc78ELc76EKS1_S1_EviT_T0_PT8_S3_lS6_S3_lS4_PT9_S3_li
		.amdhsa_group_segment_fixed_size 8192
		.amdhsa_private_segment_fixed_size 0
		.amdhsa_kernarg_size 124
		.amdhsa_user_sgpr_count 13
		.amdhsa_user_sgpr_dispatch_ptr 0
		.amdhsa_user_sgpr_queue_ptr 0
		.amdhsa_user_sgpr_kernarg_segment_ptr 1
		.amdhsa_user_sgpr_dispatch_id 0
		.amdhsa_user_sgpr_private_segment_size 0
		.amdhsa_wavefront_size32 1
		.amdhsa_uses_dynamic_stack 0
		.amdhsa_enable_private_segment 0
		.amdhsa_system_sgpr_workgroup_id_x 1
		.amdhsa_system_sgpr_workgroup_id_y 1
		.amdhsa_system_sgpr_workgroup_id_z 1
		.amdhsa_system_sgpr_workgroup_info 0
		.amdhsa_system_vgpr_workitem_id 1
		.amdhsa_next_free_vgpr 119
		.amdhsa_next_free_sgpr 40
		.amdhsa_reserve_vcc 1
		.amdhsa_float_round_mode_32 0
		.amdhsa_float_round_mode_16_64 0
		.amdhsa_float_denorm_mode_32 3
		.amdhsa_float_denorm_mode_16_64 3
		.amdhsa_dx10_clamp 1
		.amdhsa_ieee_mode 1
		.amdhsa_fp16_overflow 0
		.amdhsa_workgroup_processor_mode 1
		.amdhsa_memory_ordered 1
		.amdhsa_forward_progress 0
		.amdhsa_shared_vgpr_count 0
		.amdhsa_exception_fp_ieee_invalid_op 0
		.amdhsa_exception_fp_denorm_src 0
		.amdhsa_exception_fp_ieee_div_zero 0
		.amdhsa_exception_fp_ieee_overflow 0
		.amdhsa_exception_fp_ieee_underflow 0
		.amdhsa_exception_fp_ieee_inexact 0
		.amdhsa_exception_int_div_zero 0
	.end_amdhsa_kernel
	.section	.text._ZL34rocblas_syrkx_herkx_general_kernelIl19rocblas_complex_numIdELi16ELi32ELi8ELb0ELb1ELc78ELc76EKS1_S1_EviT_T0_PT8_S3_lS6_S3_lS4_PT9_S3_li,"axG",@progbits,_ZL34rocblas_syrkx_herkx_general_kernelIl19rocblas_complex_numIdELi16ELi32ELi8ELb0ELb1ELc78ELc76EKS1_S1_EviT_T0_PT8_S3_lS6_S3_lS4_PT9_S3_li,comdat
.Lfunc_end1379:
	.size	_ZL34rocblas_syrkx_herkx_general_kernelIl19rocblas_complex_numIdELi16ELi32ELi8ELb0ELb1ELc78ELc76EKS1_S1_EviT_T0_PT8_S3_lS6_S3_lS4_PT9_S3_li, .Lfunc_end1379-_ZL34rocblas_syrkx_herkx_general_kernelIl19rocblas_complex_numIdELi16ELi32ELi8ELb0ELb1ELc78ELc76EKS1_S1_EviT_T0_PT8_S3_lS6_S3_lS4_PT9_S3_li
                                        ; -- End function
	.section	.AMDGPU.csdata,"",@progbits
; Kernel info:
; codeLenInByte = 3696
; NumSgprs: 42
; NumVgprs: 119
; ScratchSize: 0
; MemoryBound: 1
; FloatMode: 240
; IeeeMode: 1
; LDSByteSize: 8192 bytes/workgroup (compile time only)
; SGPRBlocks: 5
; VGPRBlocks: 14
; NumSGPRsForWavesPerEU: 42
; NumVGPRsForWavesPerEU: 119
; Occupancy: 12
; WaveLimiterHint : 0
; COMPUTE_PGM_RSRC2:SCRATCH_EN: 0
; COMPUTE_PGM_RSRC2:USER_SGPR: 13
; COMPUTE_PGM_RSRC2:TRAP_HANDLER: 0
; COMPUTE_PGM_RSRC2:TGID_X_EN: 1
; COMPUTE_PGM_RSRC2:TGID_Y_EN: 1
; COMPUTE_PGM_RSRC2:TGID_Z_EN: 1
; COMPUTE_PGM_RSRC2:TIDIG_COMP_CNT: 1
	.section	.text._ZL34rocblas_syrkx_herkx_general_kernelIl19rocblas_complex_numIdELi16ELi32ELi8ELb0ELb1ELc84ELc85EKS1_S1_EviT_T0_PT8_S3_lS6_S3_lS4_PT9_S3_li,"axG",@progbits,_ZL34rocblas_syrkx_herkx_general_kernelIl19rocblas_complex_numIdELi16ELi32ELi8ELb0ELb1ELc84ELc85EKS1_S1_EviT_T0_PT8_S3_lS6_S3_lS4_PT9_S3_li,comdat
	.globl	_ZL34rocblas_syrkx_herkx_general_kernelIl19rocblas_complex_numIdELi16ELi32ELi8ELb0ELb1ELc84ELc85EKS1_S1_EviT_T0_PT8_S3_lS6_S3_lS4_PT9_S3_li ; -- Begin function _ZL34rocblas_syrkx_herkx_general_kernelIl19rocblas_complex_numIdELi16ELi32ELi8ELb0ELb1ELc84ELc85EKS1_S1_EviT_T0_PT8_S3_lS6_S3_lS4_PT9_S3_li
	.p2align	8
	.type	_ZL34rocblas_syrkx_herkx_general_kernelIl19rocblas_complex_numIdELi16ELi32ELi8ELb0ELb1ELc84ELc85EKS1_S1_EviT_T0_PT8_S3_lS6_S3_lS4_PT9_S3_li,@function
_ZL34rocblas_syrkx_herkx_general_kernelIl19rocblas_complex_numIdELi16ELi32ELi8ELb0ELb1ELc84ELc85EKS1_S1_EviT_T0_PT8_S3_lS6_S3_lS4_PT9_S3_li: ; @_ZL34rocblas_syrkx_herkx_general_kernelIl19rocblas_complex_numIdELi16ELi32ELi8ELb0ELb1ELc84ELc85EKS1_S1_EviT_T0_PT8_S3_lS6_S3_lS4_PT9_S3_li
; %bb.0:
	s_clause 0x3
	s_load_b512 s[16:31], s[0:1], 0x8
	s_load_b32 s12, s[0:1], 0x0
	s_load_b128 s[36:39], s[0:1], 0x68
	s_load_b256 s[4:11], s[0:1], 0x48
	v_mov_b32_e32 v20, 0
	v_dual_mov_b32 v21, 0 :: v_dual_and_b32 v24, 0x3ff, v0
	v_bfe_u32 v25, v0, 10, 10
	s_delay_alu instid0(VALU_DEP_3) | instskip(NEXT) | instid1(VALU_DEP_3)
	v_mov_b32_e32 v14, v20
	v_dual_mov_b32 v18, v20 :: v_dual_mov_b32 v19, v21
	v_dual_mov_b32 v23, v21 :: v_dual_mov_b32 v22, v20
	;; [unrolled: 1-line block ×5, first 2 shown]
	v_mov_b32_e32 v11, v21
	s_waitcnt lgkmcnt(0)
	v_cmp_lt_i64_e64 s0, s[16:17], 1
	v_dual_mov_b32 v8, v20 :: v_dual_mov_b32 v9, v21
	s_lshl_b32 s13, s13, 5
	s_lshl_b32 s14, s14, 5
	s_mov_b64 s[2:3], 0
	s_delay_alu instid0(VALU_DEP_2)
	s_and_b32 vcc_lo, exec_lo, s0
	s_cbranch_vccnz .LBB1380_11
; %bb.1:
	v_lshl_add_u32 v1, v25, 4, v24
	v_mov_b32_e32 v0, 0
	v_and_b32_e32 v26, 7, v24
	s_mul_i32 s1, s27, s15
	s_mul_hi_u32 s27, s26, s15
	v_and_b32_e32 v3, 31, v1
	v_lshrrev_b32_e32 v5, 3, v1
	v_lshrrev_b32_e32 v29, 5, v1
	v_lshlrev_b32_e32 v9, 4, v26
	s_mul_i32 s0, s26, s15
	v_add_nc_u32_e32 v4, s13, v3
	v_add_nc_u32_e32 v7, s14, v5
	v_or_b32_e32 v10, s13, v3
	v_lshlrev_b32_e32 v11, 4, v3
	v_lshl_or_b32 v5, v5, 7, v9
	v_ashrrev_i32_e32 v6, 31, v4
	v_mul_lo_u32 v8, s25, v4
	v_mad_u64_u32 v[1:2], null, s24, v4, 0
	v_ashrrev_i32_e32 v12, 31, v7
	s_delay_alu instid0(VALU_DEP_4)
	v_mul_lo_u32 v6, s24, v6
	v_mul_lo_u32 v13, s31, v7
	v_mad_u64_u32 v[3:4], null, s30, v7, 0
	s_add_i32 s1, s27, s1
	v_add_nc_u32_e32 v31, 0x1000, v5
	s_lshl_b64 s[24:25], s[0:1], 4
	v_lshlrev_b32_e32 v27, 4, v24
	v_add3_u32 v2, v2, v6, v8
	v_mul_lo_u32 v6, s30, v12
	v_cmp_gt_i32_e32 vcc_lo, s12, v10
	v_lshl_add_u32 v28, v25, 7, 0x1000
	s_delay_alu instid0(VALU_DEP_4) | instskip(NEXT) | instid1(VALU_DEP_4)
	v_lshlrev_b64 v[1:2], 4, v[1:2]
	v_add3_u32 v4, v4, v6, v13
	s_delay_alu instid0(VALU_DEP_2) | instskip(NEXT) | instid1(VALU_DEP_1)
	v_add_co_u32 v5, s1, v1, s24
	v_add_co_ci_u32_e64 v6, s1, s25, v2, s1
	s_mul_i32 s1, s5, s15
	s_mul_hi_u32 s5, s4, s15
	v_lshlrev_b64 v[1:2], 4, v[3:4]
	s_add_i32 s5, s5, s1
	s_mul_i32 s4, s4, s15
	v_lshlrev_b32_e32 v3, 4, v29
	s_lshl_b64 s[4:5], s[4:5], 4
	s_delay_alu instid0(VALU_DEP_2) | instid1(SALU_CYCLE_1)
	v_add_co_u32 v1, s1, v1, s4
	s_delay_alu instid0(VALU_DEP_1) | instskip(NEXT) | instid1(VALU_DEP_3)
	v_add_co_ci_u32_e64 v2, s1, s5, v2, s1
	v_add_co_u32 v3, s1, v5, v3
	s_delay_alu instid0(VALU_DEP_1) | instskip(NEXT) | instid1(VALU_DEP_4)
	v_add_co_ci_u32_e64 v5, s1, 0, v6, s1
	v_add_co_u32 v1, s1, v1, v9
	v_mov_b32_e32 v8, 0
	v_mov_b32_e32 v9, 0
	v_add_co_ci_u32_e64 v2, s1, 0, v2, s1
	v_add_co_u32 v4, s1, s22, v3
	s_delay_alu instid0(VALU_DEP_3)
	v_mov_b32_e32 v17, v9
	v_add_co_ci_u32_e64 v5, s1, s23, v5, s1
	v_mov_b32_e32 v16, v8
	v_lshl_or_b32 v30, v29, 9, v11
	v_mov_b32_e32 v11, v9
	v_add_co_u32 v6, s1, s28, v1
	v_mov_b32_e32 v10, v8
	v_cmp_gt_i32_e64 s0, s12, v7
	v_mov_b32_e32 v13, v9
	v_mov_b32_e32 v19, v9
	;; [unrolled: 1-line block ×4, first 2 shown]
	v_dual_mov_b32 v21, v9 :: v_dual_mov_b32 v20, v8
	v_add_co_ci_u32_e64 v7, s1, s29, v2, s1
	v_mov_b32_e32 v12, v8
	v_mov_b32_e32 v18, v8
	;; [unrolled: 1-line block ×4, first 2 shown]
	s_xor_b32 s1, vcc_lo, -1
	s_xor_b32 s0, s0, -1
	s_branch .LBB1380_3
.LBB1380_2:                             ;   in Loop: Header=BB1380_3 Depth=1
	s_or_b32 exec_lo, exec_lo, s4
	s_waitcnt lgkmcnt(0)
	s_barrier
	buffer_gl0_inv
	ds_load_b128 v[32:35], v28
	ds_load_b128 v[36:39], v28 offset:16
	ds_load_b128 v[40:43], v28 offset:32
	;; [unrolled: 1-line block ×3, first 2 shown]
	ds_load_b128 v[48:51], v27
	s_add_u32 s2, s2, 8
	s_addc_u32 s3, s3, 0
	v_add_co_u32 v4, vcc_lo, 0x80, v4
	v_add_co_ci_u32_e32 v5, vcc_lo, 0, v5, vcc_lo
	v_cmp_ge_i64_e64 s4, s[2:3], s[16:17]
	v_add_co_u32 v6, vcc_lo, 0x80, v6
	v_add_co_ci_u32_e32 v7, vcc_lo, 0, v7, vcc_lo
	s_delay_alu instid0(VALU_DEP_3) | instskip(SKIP_3) | instid1(VALU_DEP_2)
	s_and_b32 vcc_lo, exec_lo, s4
	s_waitcnt lgkmcnt(0)
	v_mul_f64 v[1:2], v[34:35], v[50:51]
	v_mul_f64 v[52:53], v[32:33], v[50:51]
	v_fma_f64 v[1:2], v[32:33], v[48:49], -v[1:2]
	s_delay_alu instid0(VALU_DEP_2) | instskip(NEXT) | instid1(VALU_DEP_2)
	v_fma_f64 v[52:53], v[34:35], v[48:49], v[52:53]
	v_add_f64 v[1:2], v[20:21], v[1:2]
	s_delay_alu instid0(VALU_DEP_2) | instskip(SKIP_3) | instid1(VALU_DEP_1)
	v_add_f64 v[52:53], v[22:23], v[52:53]
	ds_load_b128 v[20:23], v27 offset:256
	s_waitcnt lgkmcnt(0)
	v_mul_f64 v[54:55], v[34:35], v[22:23]
	v_fma_f64 v[54:55], v[32:33], v[20:21], -v[54:55]
	v_mul_f64 v[32:33], v[32:33], v[22:23]
	s_delay_alu instid0(VALU_DEP_2) | instskip(NEXT) | instid1(VALU_DEP_2)
	v_add_f64 v[54:55], v[14:15], v[54:55]
	v_fma_f64 v[32:33], v[34:35], v[20:21], v[32:33]
	s_delay_alu instid0(VALU_DEP_1) | instskip(SKIP_4) | instid1(VALU_DEP_2)
	v_add_f64 v[18:19], v[18:19], v[32:33]
	ds_load_b128 v[32:35], v28 offset:2048
	s_waitcnt lgkmcnt(0)
	v_mul_f64 v[14:15], v[34:35], v[50:51]
	v_mul_f64 v[50:51], v[32:33], v[50:51]
	v_fma_f64 v[14:15], v[32:33], v[48:49], -v[14:15]
	s_delay_alu instid0(VALU_DEP_2) | instskip(NEXT) | instid1(VALU_DEP_2)
	v_fma_f64 v[48:49], v[34:35], v[48:49], v[50:51]
	v_add_f64 v[50:51], v[12:13], v[14:15]
	v_mul_f64 v[12:13], v[34:35], v[22:23]
	v_mul_f64 v[14:15], v[32:33], v[22:23]
	s_delay_alu instid0(VALU_DEP_4) | instskip(NEXT) | instid1(VALU_DEP_3)
	v_add_f64 v[48:49], v[16:17], v[48:49]
	v_fma_f64 v[12:13], v[32:33], v[20:21], -v[12:13]
	s_delay_alu instid0(VALU_DEP_3) | instskip(NEXT) | instid1(VALU_DEP_2)
	v_fma_f64 v[14:15], v[34:35], v[20:21], v[14:15]
	v_add_f64 v[20:21], v[10:11], v[12:13]
	s_delay_alu instid0(VALU_DEP_2) | instskip(SKIP_4) | instid1(VALU_DEP_2)
	v_add_f64 v[22:23], v[8:9], v[14:15]
	ds_load_b128 v[8:11], v27 offset:512
	s_waitcnt lgkmcnt(0)
	v_mul_f64 v[12:13], v[38:39], v[10:11]
	v_mul_f64 v[14:15], v[36:37], v[10:11]
	v_fma_f64 v[12:13], v[36:37], v[8:9], -v[12:13]
	s_delay_alu instid0(VALU_DEP_2) | instskip(NEXT) | instid1(VALU_DEP_2)
	v_fma_f64 v[14:15], v[38:39], v[8:9], v[14:15]
	v_add_f64 v[1:2], v[1:2], v[12:13]
	s_delay_alu instid0(VALU_DEP_2) | instskip(SKIP_4) | instid1(VALU_DEP_2)
	v_add_f64 v[32:33], v[52:53], v[14:15]
	ds_load_b128 v[12:15], v27 offset:768
	s_waitcnt lgkmcnt(0)
	v_mul_f64 v[16:17], v[38:39], v[14:15]
	v_mul_f64 v[34:35], v[36:37], v[14:15]
	v_fma_f64 v[16:17], v[36:37], v[12:13], -v[16:17]
	s_delay_alu instid0(VALU_DEP_2) | instskip(NEXT) | instid1(VALU_DEP_2)
	v_fma_f64 v[34:35], v[38:39], v[12:13], v[34:35]
	v_add_f64 v[36:37], v[54:55], v[16:17]
	s_delay_alu instid0(VALU_DEP_2) | instskip(SKIP_4) | instid1(VALU_DEP_2)
	v_add_f64 v[34:35], v[18:19], v[34:35]
	ds_load_b128 v[16:19], v28 offset:2064
	s_waitcnt lgkmcnt(0)
	v_mul_f64 v[38:39], v[18:19], v[10:11]
	v_mul_f64 v[10:11], v[16:17], v[10:11]
	v_fma_f64 v[38:39], v[16:17], v[8:9], -v[38:39]
	s_delay_alu instid0(VALU_DEP_2) | instskip(SKIP_1) | instid1(VALU_DEP_3)
	v_fma_f64 v[8:9], v[18:19], v[8:9], v[10:11]
	v_mul_f64 v[10:11], v[16:17], v[14:15]
	v_add_f64 v[38:39], v[50:51], v[38:39]
	s_delay_alu instid0(VALU_DEP_3) | instskip(SKIP_1) | instid1(VALU_DEP_4)
	v_add_f64 v[48:49], v[48:49], v[8:9]
	v_mul_f64 v[8:9], v[18:19], v[14:15]
	v_fma_f64 v[10:11], v[18:19], v[12:13], v[10:11]
	s_delay_alu instid0(VALU_DEP_2) | instskip(NEXT) | instid1(VALU_DEP_2)
	v_fma_f64 v[8:9], v[16:17], v[12:13], -v[8:9]
	v_add_f64 v[22:23], v[22:23], v[10:11]
	s_delay_alu instid0(VALU_DEP_2) | instskip(SKIP_4) | instid1(VALU_DEP_2)
	v_add_f64 v[20:21], v[20:21], v[8:9]
	ds_load_b128 v[8:11], v27 offset:1024
	s_waitcnt lgkmcnt(0)
	v_mul_f64 v[12:13], v[42:43], v[10:11]
	v_mul_f64 v[14:15], v[40:41], v[10:11]
	v_fma_f64 v[12:13], v[40:41], v[8:9], -v[12:13]
	s_delay_alu instid0(VALU_DEP_2) | instskip(NEXT) | instid1(VALU_DEP_2)
	v_fma_f64 v[14:15], v[42:43], v[8:9], v[14:15]
	v_add_f64 v[1:2], v[1:2], v[12:13]
	s_delay_alu instid0(VALU_DEP_2) | instskip(SKIP_4) | instid1(VALU_DEP_2)
	v_add_f64 v[32:33], v[32:33], v[14:15]
	ds_load_b128 v[12:15], v27 offset:1280
	s_waitcnt lgkmcnt(0)
	v_mul_f64 v[16:17], v[42:43], v[14:15]
	v_mul_f64 v[18:19], v[40:41], v[14:15]
	v_fma_f64 v[16:17], v[40:41], v[12:13], -v[16:17]
	s_delay_alu instid0(VALU_DEP_2) | instskip(NEXT) | instid1(VALU_DEP_2)
	v_fma_f64 v[18:19], v[42:43], v[12:13], v[18:19]
	v_add_f64 v[36:37], v[36:37], v[16:17]
	s_delay_alu instid0(VALU_DEP_2) | instskip(SKIP_4) | instid1(VALU_DEP_2)
	v_add_f64 v[34:35], v[34:35], v[18:19]
	ds_load_b128 v[16:19], v28 offset:2080
	s_waitcnt lgkmcnt(0)
	v_mul_f64 v[40:41], v[18:19], v[10:11]
	v_mul_f64 v[10:11], v[16:17], v[10:11]
	v_fma_f64 v[40:41], v[16:17], v[8:9], -v[40:41]
	s_delay_alu instid0(VALU_DEP_2) | instskip(SKIP_1) | instid1(VALU_DEP_3)
	v_fma_f64 v[8:9], v[18:19], v[8:9], v[10:11]
	v_mul_f64 v[10:11], v[16:17], v[14:15]
	v_add_f64 v[38:39], v[38:39], v[40:41]
	s_delay_alu instid0(VALU_DEP_3) | instskip(SKIP_1) | instid1(VALU_DEP_4)
	v_add_f64 v[40:41], v[48:49], v[8:9]
	v_mul_f64 v[8:9], v[18:19], v[14:15]
	v_fma_f64 v[10:11], v[18:19], v[12:13], v[10:11]
	s_delay_alu instid0(VALU_DEP_2) | instskip(NEXT) | instid1(VALU_DEP_2)
	v_fma_f64 v[8:9], v[16:17], v[12:13], -v[8:9]
	;; [unrolled: 38-line block ×3, first 2 shown]
	v_add_f64 v[22:23], v[22:23], v[10:11]
	s_delay_alu instid0(VALU_DEP_2)
	v_add_f64 v[20:21], v[20:21], v[8:9]
	ds_load_b128 v[8:11], v28 offset:64
	ds_load_b128 v[12:15], v27 offset:2048
	s_waitcnt lgkmcnt(0)
	v_mul_f64 v[16:17], v[10:11], v[14:15]
	v_mul_f64 v[18:19], v[8:9], v[14:15]
	s_delay_alu instid0(VALU_DEP_2) | instskip(NEXT) | instid1(VALU_DEP_2)
	v_fma_f64 v[16:17], v[8:9], v[12:13], -v[16:17]
	v_fma_f64 v[18:19], v[10:11], v[12:13], v[18:19]
	s_delay_alu instid0(VALU_DEP_2) | instskip(NEXT) | instid1(VALU_DEP_2)
	v_add_f64 v[1:2], v[1:2], v[16:17]
	v_add_f64 v[32:33], v[32:33], v[18:19]
	ds_load_b128 v[16:19], v27 offset:2304
	s_waitcnt lgkmcnt(0)
	v_mul_f64 v[42:43], v[10:11], v[18:19]
	s_delay_alu instid0(VALU_DEP_1) | instskip(SKIP_1) | instid1(VALU_DEP_2)
	v_fma_f64 v[42:43], v[8:9], v[16:17], -v[42:43]
	v_mul_f64 v[8:9], v[8:9], v[18:19]
	v_add_f64 v[36:37], v[36:37], v[42:43]
	s_delay_alu instid0(VALU_DEP_2) | instskip(NEXT) | instid1(VALU_DEP_1)
	v_fma_f64 v[8:9], v[10:11], v[16:17], v[8:9]
	v_add_f64 v[34:35], v[34:35], v[8:9]
	ds_load_b128 v[8:11], v28 offset:2112
	s_waitcnt lgkmcnt(0)
	v_mul_f64 v[42:43], v[10:11], v[14:15]
	v_mul_f64 v[14:15], v[8:9], v[14:15]
	s_delay_alu instid0(VALU_DEP_2) | instskip(NEXT) | instid1(VALU_DEP_2)
	v_fma_f64 v[42:43], v[8:9], v[12:13], -v[42:43]
	v_fma_f64 v[12:13], v[10:11], v[12:13], v[14:15]
	s_delay_alu instid0(VALU_DEP_2) | instskip(NEXT) | instid1(VALU_DEP_2)
	v_add_f64 v[38:39], v[38:39], v[42:43]
	v_add_f64 v[40:41], v[40:41], v[12:13]
	v_mul_f64 v[12:13], v[10:11], v[18:19]
	s_delay_alu instid0(VALU_DEP_1) | instskip(SKIP_1) | instid1(VALU_DEP_2)
	v_fma_f64 v[12:13], v[8:9], v[16:17], -v[12:13]
	v_mul_f64 v[8:9], v[8:9], v[18:19]
	v_add_f64 v[20:21], v[20:21], v[12:13]
	s_delay_alu instid0(VALU_DEP_2) | instskip(NEXT) | instid1(VALU_DEP_1)
	v_fma_f64 v[8:9], v[10:11], v[16:17], v[8:9]
	v_add_f64 v[22:23], v[22:23], v[8:9]
	ds_load_b128 v[8:11], v28 offset:80
	ds_load_b128 v[12:15], v27 offset:2560
	s_waitcnt lgkmcnt(0)
	v_mul_f64 v[16:17], v[10:11], v[14:15]
	v_mul_f64 v[18:19], v[8:9], v[14:15]
	s_delay_alu instid0(VALU_DEP_2) | instskip(NEXT) | instid1(VALU_DEP_2)
	v_fma_f64 v[16:17], v[8:9], v[12:13], -v[16:17]
	v_fma_f64 v[18:19], v[10:11], v[12:13], v[18:19]
	s_delay_alu instid0(VALU_DEP_2) | instskip(NEXT) | instid1(VALU_DEP_2)
	v_add_f64 v[1:2], v[1:2], v[16:17]
	v_add_f64 v[32:33], v[32:33], v[18:19]
	ds_load_b128 v[16:19], v27 offset:2816
	s_waitcnt lgkmcnt(0)
	v_mul_f64 v[42:43], v[10:11], v[18:19]
	s_delay_alu instid0(VALU_DEP_1) | instskip(SKIP_1) | instid1(VALU_DEP_2)
	v_fma_f64 v[42:43], v[8:9], v[16:17], -v[42:43]
	v_mul_f64 v[8:9], v[8:9], v[18:19]
	v_add_f64 v[36:37], v[36:37], v[42:43]
	s_delay_alu instid0(VALU_DEP_2) | instskip(NEXT) | instid1(VALU_DEP_1)
	v_fma_f64 v[8:9], v[10:11], v[16:17], v[8:9]
	v_add_f64 v[34:35], v[34:35], v[8:9]
	ds_load_b128 v[8:11], v28 offset:2128
	s_waitcnt lgkmcnt(0)
	v_mul_f64 v[42:43], v[10:11], v[14:15]
	v_mul_f64 v[14:15], v[8:9], v[14:15]
	s_delay_alu instid0(VALU_DEP_2) | instskip(NEXT) | instid1(VALU_DEP_2)
	v_fma_f64 v[42:43], v[8:9], v[12:13], -v[42:43]
	v_fma_f64 v[12:13], v[10:11], v[12:13], v[14:15]
	s_delay_alu instid0(VALU_DEP_2) | instskip(NEXT) | instid1(VALU_DEP_2)
	v_add_f64 v[38:39], v[38:39], v[42:43]
	v_add_f64 v[40:41], v[40:41], v[12:13]
	v_mul_f64 v[12:13], v[10:11], v[18:19]
	s_delay_alu instid0(VALU_DEP_1) | instskip(SKIP_1) | instid1(VALU_DEP_2)
	v_fma_f64 v[12:13], v[8:9], v[16:17], -v[12:13]
	v_mul_f64 v[8:9], v[8:9], v[18:19]
	v_add_f64 v[20:21], v[20:21], v[12:13]
	s_delay_alu instid0(VALU_DEP_2) | instskip(NEXT) | instid1(VALU_DEP_1)
	v_fma_f64 v[8:9], v[10:11], v[16:17], v[8:9]
	;; [unrolled: 39-line block ×3, first 2 shown]
	v_add_f64 v[52:53], v[22:23], v[8:9]
	ds_load_b128 v[8:11], v28 offset:112
	ds_load_b128 v[32:35], v27 offset:3584
	;; [unrolled: 1-line block ×3, first 2 shown]
	s_waitcnt lgkmcnt(1)
	v_mul_f64 v[12:13], v[10:11], v[34:35]
	v_mul_f64 v[14:15], v[8:9], v[34:35]
	s_delay_alu instid0(VALU_DEP_2) | instskip(NEXT) | instid1(VALU_DEP_2)
	v_fma_f64 v[12:13], v[8:9], v[32:33], -v[12:13]
	v_fma_f64 v[14:15], v[10:11], v[32:33], v[14:15]
	s_delay_alu instid0(VALU_DEP_2) | instskip(SKIP_2) | instid1(VALU_DEP_3)
	v_add_f64 v[20:21], v[1:2], v[12:13]
	s_waitcnt lgkmcnt(0)
	v_mul_f64 v[1:2], v[10:11], v[38:39]
	v_add_f64 v[22:23], v[42:43], v[14:15]
	s_delay_alu instid0(VALU_DEP_2) | instskip(SKIP_1) | instid1(VALU_DEP_2)
	v_fma_f64 v[1:2], v[8:9], v[36:37], -v[1:2]
	v_mul_f64 v[8:9], v[8:9], v[38:39]
	v_add_f64 v[14:15], v[44:45], v[1:2]
	s_delay_alu instid0(VALU_DEP_2) | instskip(NEXT) | instid1(VALU_DEP_1)
	v_fma_f64 v[8:9], v[10:11], v[36:37], v[8:9]
	v_add_f64 v[18:19], v[46:47], v[8:9]
	ds_load_b128 v[8:11], v28 offset:2160
	s_waitcnt lgkmcnt(0)
	s_barrier
	buffer_gl0_inv
	v_mul_f64 v[1:2], v[10:11], v[34:35]
	v_mul_f64 v[12:13], v[8:9], v[34:35]
	s_delay_alu instid0(VALU_DEP_2) | instskip(NEXT) | instid1(VALU_DEP_2)
	v_fma_f64 v[1:2], v[8:9], v[32:33], -v[1:2]
	v_fma_f64 v[16:17], v[10:11], v[32:33], v[12:13]
	s_delay_alu instid0(VALU_DEP_2) | instskip(SKIP_1) | instid1(VALU_DEP_3)
	v_add_f64 v[12:13], v[48:49], v[1:2]
	v_mul_f64 v[1:2], v[10:11], v[38:39]
	v_add_f64 v[16:17], v[40:41], v[16:17]
	s_delay_alu instid0(VALU_DEP_2) | instskip(SKIP_1) | instid1(VALU_DEP_1)
	v_fma_f64 v[1:2], v[8:9], v[36:37], -v[1:2]
	v_mul_f64 v[8:9], v[8:9], v[38:39]
	v_fma_f64 v[8:9], v[10:11], v[36:37], v[8:9]
	s_delay_alu instid0(VALU_DEP_3) | instskip(NEXT) | instid1(VALU_DEP_2)
	v_add_f64 v[10:11], v[50:51], v[1:2]
	v_add_f64 v[8:9], v[52:53], v[8:9]
	s_cbranch_vccnz .LBB1380_11
.LBB1380_3:                             ; =>This Inner Loop Header: Depth=1
	v_add_co_u32 v1, s4, v29, s2
	s_delay_alu instid0(VALU_DEP_1) | instskip(NEXT) | instid1(VALU_DEP_1)
	v_add_co_ci_u32_e64 v2, null, 0, s3, s4
	v_cmp_le_i64_e32 vcc_lo, s[16:17], v[1:2]
	s_or_b32 s4, s1, vcc_lo
	s_delay_alu instid0(SALU_CYCLE_1) | instskip(NEXT) | instid1(SALU_CYCLE_1)
	s_and_saveexec_b32 s5, s4
	s_xor_b32 s4, exec_lo, s5
	s_cbranch_execz .LBB1380_5
; %bb.4:                                ;   in Loop: Header=BB1380_3 Depth=1
	v_mov_b32_e32 v1, v0
	v_mov_b32_e32 v2, v0
	v_mov_b32_e32 v3, v0
	ds_store_b128 v30, v[0:3]
.LBB1380_5:                             ;   in Loop: Header=BB1380_3 Depth=1
	s_and_not1_saveexec_b32 s4, s4
	s_cbranch_execz .LBB1380_7
; %bb.6:                                ;   in Loop: Header=BB1380_3 Depth=1
	global_load_b128 v[32:35], v[4:5], off
	s_waitcnt vmcnt(0)
	ds_store_2addr_b64 v30, v[32:33], v[34:35] offset1:1
.LBB1380_7:                             ;   in Loop: Header=BB1380_3 Depth=1
	s_or_b32 exec_lo, exec_lo, s4
	v_add_co_u32 v1, s4, v26, s2
	s_delay_alu instid0(VALU_DEP_1) | instskip(NEXT) | instid1(VALU_DEP_1)
	v_add_co_ci_u32_e64 v2, null, 0, s3, s4
	v_cmp_le_i64_e32 vcc_lo, s[16:17], v[1:2]
	s_or_b32 s4, vcc_lo, s0
	s_delay_alu instid0(SALU_CYCLE_1) | instskip(NEXT) | instid1(SALU_CYCLE_1)
	s_and_saveexec_b32 s5, s4
	s_xor_b32 s4, exec_lo, s5
	s_cbranch_execz .LBB1380_9
; %bb.8:                                ;   in Loop: Header=BB1380_3 Depth=1
	v_mov_b32_e32 v1, v0
	v_mov_b32_e32 v2, v0
	;; [unrolled: 1-line block ×3, first 2 shown]
	ds_store_b128 v31, v[0:3]
.LBB1380_9:                             ;   in Loop: Header=BB1380_3 Depth=1
	s_and_not1_saveexec_b32 s4, s4
	s_cbranch_execz .LBB1380_2
; %bb.10:                               ;   in Loop: Header=BB1380_3 Depth=1
	global_load_b128 v[32:35], v[6:7], off
	s_waitcnt vmcnt(0)
	ds_store_2addr_b64 v31, v[32:33], v[34:35] offset1:1
	s_branch .LBB1380_2
.LBB1380_11:
	v_add_nc_u32_e32 v4, s14, v25
	s_mul_i32 s1, s15, s39
	s_mul_hi_u32 s2, s15, s38
	s_mul_i32 s0, s15, s38
	s_add_i32 s1, s2, s1
	v_ashrrev_i32_e32 v0, 31, v4
	v_mul_lo_u32 v3, v4, s37
	v_mad_u64_u32 v[1:2], null, v4, s36, 0
	s_lshl_b64 s[2:3], s[0:1], 4
	s_delay_alu instid0(VALU_DEP_3) | instskip(SKIP_3) | instid1(VALU_DEP_2)
	v_mul_lo_u32 v0, v0, s36
	s_add_u32 s2, s10, s2
	v_cmp_gt_i32_e32 vcc_lo, s12, v4
	s_addc_u32 s3, s11, s3
	v_add3_u32 v2, v2, v3, v0
	v_add_nc_u32_e32 v0, s13, v24
	s_delay_alu instid0(VALU_DEP_2) | instskip(NEXT) | instid1(VALU_DEP_2)
	v_lshlrev_b64 v[1:2], 4, v[1:2]
	v_cmp_le_i32_e64 s0, v0, v4
	s_delay_alu instid0(VALU_DEP_1) | instskip(NEXT) | instid1(VALU_DEP_2)
	s_and_b32 s0, vcc_lo, s0
	v_add_co_u32 v5, s1, s2, v1
	s_delay_alu instid0(VALU_DEP_1)
	v_add_co_ci_u32_e64 v6, s1, s3, v2, s1
	s_and_saveexec_b32 s1, s0
	s_cbranch_execz .LBB1380_13
; %bb.12:
	v_ashrrev_i32_e32 v1, 31, v0
	v_mul_f64 v[28:29], s[18:19], v[22:23]
	v_mul_f64 v[22:23], s[20:21], v[22:23]
	s_delay_alu instid0(VALU_DEP_3) | instskip(NEXT) | instid1(VALU_DEP_1)
	v_lshlrev_b64 v[1:2], 4, v[0:1]
	v_add_co_u32 v1, s0, v5, v1
	s_delay_alu instid0(VALU_DEP_1)
	v_add_co_ci_u32_e64 v2, s0, v6, v2, s0
	v_cmp_ne_u32_e64 s0, v4, v0
	global_load_b128 v[24:27], v[1:2], off
	v_fma_f64 v[28:29], s[20:21], v[20:21], v[28:29]
	v_fma_f64 v[20:21], s[18:19], v[20:21], -v[22:23]
	s_waitcnt vmcnt(0)
	v_mul_f64 v[30:31], s[6:7], v[26:27]
	v_mul_f64 v[26:27], s[8:9], v[26:27]
	s_delay_alu instid0(VALU_DEP_2) | instskip(NEXT) | instid1(VALU_DEP_2)
	v_fma_f64 v[30:31], s[8:9], v[24:25], v[30:31]
	v_fma_f64 v[22:23], s[6:7], v[24:25], -v[26:27]
	s_delay_alu instid0(VALU_DEP_2) | instskip(NEXT) | instid1(VALU_DEP_2)
	v_add_f64 v[24:25], v[28:29], v[30:31]
	v_add_f64 v[20:21], v[20:21], v[22:23]
	s_delay_alu instid0(VALU_DEP_2) | instskip(NEXT) | instid1(VALU_DEP_3)
	v_cndmask_b32_e64 v23, 0, v25, s0
	v_cndmask_b32_e64 v22, 0, v24, s0
	global_store_b128 v[1:2], v[20:23], off
.LBB1380_13:
	s_or_b32 exec_lo, exec_lo, s1
	v_add_nc_u32_e32 v2, 16, v0
	s_delay_alu instid0(VALU_DEP_1) | instskip(NEXT) | instid1(VALU_DEP_1)
	v_cmp_le_i32_e64 s0, v2, v4
	s_and_b32 s1, vcc_lo, s0
	s_delay_alu instid0(SALU_CYCLE_1)
	s_and_saveexec_b32 s0, s1
	s_cbranch_execz .LBB1380_15
; %bb.14:
	v_ashrrev_i32_e32 v3, 31, v2
	v_mul_f64 v[24:25], s[18:19], v[18:19]
	v_mul_f64 v[18:19], s[20:21], v[18:19]
	s_delay_alu instid0(VALU_DEP_3) | instskip(NEXT) | instid1(VALU_DEP_1)
	v_lshlrev_b64 v[20:21], 4, v[2:3]
	v_add_co_u32 v5, vcc_lo, v5, v20
	s_delay_alu instid0(VALU_DEP_2)
	v_add_co_ci_u32_e32 v6, vcc_lo, v6, v21, vcc_lo
	v_cmp_ne_u32_e32 vcc_lo, v4, v2
	global_load_b128 v[20:23], v[5:6], off
	v_fma_f64 v[24:25], s[20:21], v[14:15], v[24:25]
	v_fma_f64 v[14:15], s[18:19], v[14:15], -v[18:19]
	s_waitcnt vmcnt(0)
	v_mul_f64 v[26:27], s[6:7], v[22:23]
	v_mul_f64 v[22:23], s[8:9], v[22:23]
	s_delay_alu instid0(VALU_DEP_2) | instskip(NEXT) | instid1(VALU_DEP_2)
	v_fma_f64 v[26:27], s[8:9], v[20:21], v[26:27]
	v_fma_f64 v[18:19], s[6:7], v[20:21], -v[22:23]
	s_delay_alu instid0(VALU_DEP_2) | instskip(NEXT) | instid1(VALU_DEP_2)
	v_add_f64 v[20:21], v[24:25], v[26:27]
	v_add_f64 v[18:19], v[14:15], v[18:19]
	s_delay_alu instid0(VALU_DEP_2)
	v_dual_cndmask_b32 v21, 0, v21 :: v_dual_cndmask_b32 v20, 0, v20
	global_store_b128 v[5:6], v[18:21], off
.LBB1380_15:
	s_or_b32 exec_lo, exec_lo, s0
	v_add_nc_u32_e32 v3, 16, v4
	s_delay_alu instid0(VALU_DEP_1) | instskip(SKIP_3) | instid1(VALU_DEP_4)
	v_ashrrev_i32_e32 v1, 31, v3
	v_mul_lo_u32 v7, v3, s37
	v_mad_u64_u32 v[5:6], null, v3, s36, 0
	v_cmp_gt_i32_e32 vcc_lo, s12, v3
	v_mul_lo_u32 v1, v1, s36
	v_cmp_le_i32_e64 s0, v0, v3
	s_delay_alu instid0(VALU_DEP_1) | instskip(NEXT) | instid1(VALU_DEP_2)
	s_and_b32 s0, vcc_lo, s0
	v_add3_u32 v6, v6, v7, v1
	s_delay_alu instid0(VALU_DEP_1) | instskip(NEXT) | instid1(VALU_DEP_1)
	v_lshlrev_b64 v[5:6], 4, v[5:6]
	v_add_co_u32 v5, s1, s2, v5
	s_delay_alu instid0(VALU_DEP_1)
	v_add_co_ci_u32_e64 v6, s1, s3, v6, s1
	s_and_saveexec_b32 s1, s0
	s_cbranch_execz .LBB1380_17
; %bb.16:
	v_ashrrev_i32_e32 v1, 31, v0
	s_delay_alu instid0(VALU_DEP_1) | instskip(NEXT) | instid1(VALU_DEP_1)
	v_lshlrev_b64 v[14:15], 4, v[0:1]
	v_add_co_u32 v22, s0, v5, v14
	s_delay_alu instid0(VALU_DEP_1)
	v_add_co_ci_u32_e64 v23, s0, v6, v15, s0
	v_mul_f64 v[14:15], s[18:19], v[16:17]
	v_mul_f64 v[16:17], s[20:21], v[16:17]
	v_cmp_ne_u32_e64 s0, v3, v0
	global_load_b128 v[18:21], v[22:23], off
	v_fma_f64 v[14:15], s[20:21], v[12:13], v[14:15]
	v_fma_f64 v[12:13], s[18:19], v[12:13], -v[16:17]
	s_waitcnt vmcnt(0)
	v_mul_f64 v[24:25], s[6:7], v[20:21]
	v_mul_f64 v[20:21], s[8:9], v[20:21]
	s_delay_alu instid0(VALU_DEP_2) | instskip(NEXT) | instid1(VALU_DEP_2)
	v_fma_f64 v[24:25], s[8:9], v[18:19], v[24:25]
	v_fma_f64 v[16:17], s[6:7], v[18:19], -v[20:21]
	s_delay_alu instid0(VALU_DEP_2) | instskip(NEXT) | instid1(VALU_DEP_2)
	v_add_f64 v[14:15], v[14:15], v[24:25]
	v_add_f64 v[12:13], v[12:13], v[16:17]
	s_delay_alu instid0(VALU_DEP_2) | instskip(NEXT) | instid1(VALU_DEP_3)
	v_cndmask_b32_e64 v15, 0, v15, s0
	v_cndmask_b32_e64 v14, 0, v14, s0
	global_store_b128 v[22:23], v[12:15], off
.LBB1380_17:
	s_or_b32 exec_lo, exec_lo, s1
	v_cmp_le_i32_e64 s0, v2, v3
	s_delay_alu instid0(VALU_DEP_1) | instskip(NEXT) | instid1(SALU_CYCLE_1)
	s_and_b32 s0, vcc_lo, s0
	s_and_saveexec_b32 s1, s0
	s_cbranch_execz .LBB1380_19
; %bb.18:
	v_ashrrev_i32_e32 v3, 31, v2
	s_delay_alu instid0(VALU_DEP_1) | instskip(NEXT) | instid1(VALU_DEP_1)
	v_lshlrev_b64 v[1:2], 4, v[2:3]
	v_add_co_u32 v5, vcc_lo, v5, v1
	s_delay_alu instid0(VALU_DEP_2)
	v_add_co_ci_u32_e32 v6, vcc_lo, v6, v2, vcc_lo
	v_mul_f64 v[1:2], s[18:19], v[8:9]
	v_mul_f64 v[7:8], s[20:21], v[8:9]
	v_cmp_ne_u32_e32 vcc_lo, v4, v0
	global_load_b128 v[12:15], v[5:6], off
	v_fma_f64 v[1:2], s[20:21], v[10:11], v[1:2]
	v_fma_f64 v[7:8], s[18:19], v[10:11], -v[7:8]
	s_waitcnt vmcnt(0)
	v_mul_f64 v[16:17], s[6:7], v[14:15]
	v_mul_f64 v[14:15], s[8:9], v[14:15]
	s_delay_alu instid0(VALU_DEP_2) | instskip(NEXT) | instid1(VALU_DEP_2)
	v_fma_f64 v[16:17], s[8:9], v[12:13], v[16:17]
	v_fma_f64 v[9:10], s[6:7], v[12:13], -v[14:15]
	s_delay_alu instid0(VALU_DEP_2) | instskip(NEXT) | instid1(VALU_DEP_2)
	v_add_f64 v[11:12], v[1:2], v[16:17]
	v_add_f64 v[1:2], v[7:8], v[9:10]
	s_delay_alu instid0(VALU_DEP_2)
	v_dual_cndmask_b32 v4, 0, v12 :: v_dual_cndmask_b32 v3, 0, v11
	global_store_b128 v[5:6], v[1:4], off
.LBB1380_19:
	s_nop 0
	s_sendmsg sendmsg(MSG_DEALLOC_VGPRS)
	s_endpgm
	.section	.rodata,"a",@progbits
	.p2align	6, 0x0
	.amdhsa_kernel _ZL34rocblas_syrkx_herkx_general_kernelIl19rocblas_complex_numIdELi16ELi32ELi8ELb0ELb1ELc84ELc85EKS1_S1_EviT_T0_PT8_S3_lS6_S3_lS4_PT9_S3_li
		.amdhsa_group_segment_fixed_size 8192
		.amdhsa_private_segment_fixed_size 0
		.amdhsa_kernarg_size 124
		.amdhsa_user_sgpr_count 13
		.amdhsa_user_sgpr_dispatch_ptr 0
		.amdhsa_user_sgpr_queue_ptr 0
		.amdhsa_user_sgpr_kernarg_segment_ptr 1
		.amdhsa_user_sgpr_dispatch_id 0
		.amdhsa_user_sgpr_private_segment_size 0
		.amdhsa_wavefront_size32 1
		.amdhsa_uses_dynamic_stack 0
		.amdhsa_enable_private_segment 0
		.amdhsa_system_sgpr_workgroup_id_x 1
		.amdhsa_system_sgpr_workgroup_id_y 1
		.amdhsa_system_sgpr_workgroup_id_z 1
		.amdhsa_system_sgpr_workgroup_info 0
		.amdhsa_system_vgpr_workitem_id 1
		.amdhsa_next_free_vgpr 56
		.amdhsa_next_free_sgpr 40
		.amdhsa_reserve_vcc 1
		.amdhsa_float_round_mode_32 0
		.amdhsa_float_round_mode_16_64 0
		.amdhsa_float_denorm_mode_32 3
		.amdhsa_float_denorm_mode_16_64 3
		.amdhsa_dx10_clamp 1
		.amdhsa_ieee_mode 1
		.amdhsa_fp16_overflow 0
		.amdhsa_workgroup_processor_mode 1
		.amdhsa_memory_ordered 1
		.amdhsa_forward_progress 0
		.amdhsa_shared_vgpr_count 0
		.amdhsa_exception_fp_ieee_invalid_op 0
		.amdhsa_exception_fp_denorm_src 0
		.amdhsa_exception_fp_ieee_div_zero 0
		.amdhsa_exception_fp_ieee_overflow 0
		.amdhsa_exception_fp_ieee_underflow 0
		.amdhsa_exception_fp_ieee_inexact 0
		.amdhsa_exception_int_div_zero 0
	.end_amdhsa_kernel
	.section	.text._ZL34rocblas_syrkx_herkx_general_kernelIl19rocblas_complex_numIdELi16ELi32ELi8ELb0ELb1ELc84ELc85EKS1_S1_EviT_T0_PT8_S3_lS6_S3_lS4_PT9_S3_li,"axG",@progbits,_ZL34rocblas_syrkx_herkx_general_kernelIl19rocblas_complex_numIdELi16ELi32ELi8ELb0ELb1ELc84ELc85EKS1_S1_EviT_T0_PT8_S3_lS6_S3_lS4_PT9_S3_li,comdat
.Lfunc_end1380:
	.size	_ZL34rocblas_syrkx_herkx_general_kernelIl19rocblas_complex_numIdELi16ELi32ELi8ELb0ELb1ELc84ELc85EKS1_S1_EviT_T0_PT8_S3_lS6_S3_lS4_PT9_S3_li, .Lfunc_end1380-_ZL34rocblas_syrkx_herkx_general_kernelIl19rocblas_complex_numIdELi16ELi32ELi8ELb0ELb1ELc84ELc85EKS1_S1_EviT_T0_PT8_S3_lS6_S3_lS4_PT9_S3_li
                                        ; -- End function
	.section	.AMDGPU.csdata,"",@progbits
; Kernel info:
; codeLenInByte = 3992
; NumSgprs: 42
; NumVgprs: 56
; ScratchSize: 0
; MemoryBound: 0
; FloatMode: 240
; IeeeMode: 1
; LDSByteSize: 8192 bytes/workgroup (compile time only)
; SGPRBlocks: 5
; VGPRBlocks: 6
; NumSGPRsForWavesPerEU: 42
; NumVGPRsForWavesPerEU: 56
; Occupancy: 16
; WaveLimiterHint : 0
; COMPUTE_PGM_RSRC2:SCRATCH_EN: 0
; COMPUTE_PGM_RSRC2:USER_SGPR: 13
; COMPUTE_PGM_RSRC2:TRAP_HANDLER: 0
; COMPUTE_PGM_RSRC2:TGID_X_EN: 1
; COMPUTE_PGM_RSRC2:TGID_Y_EN: 1
; COMPUTE_PGM_RSRC2:TGID_Z_EN: 1
; COMPUTE_PGM_RSRC2:TIDIG_COMP_CNT: 1
	.section	.text._ZL34rocblas_syrkx_herkx_general_kernelIl19rocblas_complex_numIdELi16ELi32ELi8ELb0ELb1ELc67ELc85EKS1_S1_EviT_T0_PT8_S3_lS6_S3_lS4_PT9_S3_li,"axG",@progbits,_ZL34rocblas_syrkx_herkx_general_kernelIl19rocblas_complex_numIdELi16ELi32ELi8ELb0ELb1ELc67ELc85EKS1_S1_EviT_T0_PT8_S3_lS6_S3_lS4_PT9_S3_li,comdat
	.globl	_ZL34rocblas_syrkx_herkx_general_kernelIl19rocblas_complex_numIdELi16ELi32ELi8ELb0ELb1ELc67ELc85EKS1_S1_EviT_T0_PT8_S3_lS6_S3_lS4_PT9_S3_li ; -- Begin function _ZL34rocblas_syrkx_herkx_general_kernelIl19rocblas_complex_numIdELi16ELi32ELi8ELb0ELb1ELc67ELc85EKS1_S1_EviT_T0_PT8_S3_lS6_S3_lS4_PT9_S3_li
	.p2align	8
	.type	_ZL34rocblas_syrkx_herkx_general_kernelIl19rocblas_complex_numIdELi16ELi32ELi8ELb0ELb1ELc67ELc85EKS1_S1_EviT_T0_PT8_S3_lS6_S3_lS4_PT9_S3_li,@function
_ZL34rocblas_syrkx_herkx_general_kernelIl19rocblas_complex_numIdELi16ELi32ELi8ELb0ELb1ELc67ELc85EKS1_S1_EviT_T0_PT8_S3_lS6_S3_lS4_PT9_S3_li: ; @_ZL34rocblas_syrkx_herkx_general_kernelIl19rocblas_complex_numIdELi16ELi32ELi8ELb0ELb1ELc67ELc85EKS1_S1_EviT_T0_PT8_S3_lS6_S3_lS4_PT9_S3_li
; %bb.0:
	s_clause 0x3
	s_load_b512 s[16:31], s[0:1], 0x8
	s_load_b32 s12, s[0:1], 0x0
	s_load_b128 s[36:39], s[0:1], 0x68
	s_load_b256 s[4:11], s[0:1], 0x48
	v_mov_b32_e32 v23, 0
	v_dual_mov_b32 v24, 0 :: v_dual_and_b32 v27, 0x3ff, v0
	v_bfe_u32 v28, v0, 10, 10
	s_delay_alu instid0(VALU_DEP_3) | instskip(NEXT) | instid1(VALU_DEP_3)
	v_mov_b32_e32 v19, v23
	v_dual_mov_b32 v21, v23 :: v_dual_mov_b32 v22, v24
	v_dual_mov_b32 v26, v24 :: v_dual_mov_b32 v25, v23
	;; [unrolled: 1-line block ×5, first 2 shown]
	v_mov_b32_e32 v12, v24
	s_waitcnt lgkmcnt(0)
	v_cmp_lt_i64_e64 s0, s[16:17], 1
	v_dual_mov_b32 v13, v23 :: v_dual_mov_b32 v14, v24
	s_lshl_b32 s13, s13, 5
	s_lshl_b32 s14, s14, 5
	s_mov_b64 s[2:3], 0
	s_delay_alu instid0(VALU_DEP_2)
	s_and_b32 vcc_lo, exec_lo, s0
	s_cbranch_vccnz .LBB1381_9
; %bb.1:
	v_lshl_add_u32 v1, v28, 4, v27
	v_dual_mov_b32 v0, 0 :: v_dual_and_b32 v29, 7, v27
	s_mul_i32 s1, s27, s15
	s_mul_hi_u32 s27, s26, s15
	s_delay_alu instid0(VALU_DEP_2)
	v_and_b32_e32 v3, 31, v1
	v_lshrrev_b32_e32 v5, 3, v1
	v_lshrrev_b32_e32 v32, 5, v1
	v_lshlrev_b32_e32 v9, 4, v29
	s_mul_i32 s0, s26, s15
	v_add_nc_u32_e32 v4, s13, v3
	v_add_nc_u32_e32 v7, s14, v5
	v_or_b32_e32 v10, s13, v3
	v_lshlrev_b32_e32 v11, 4, v3
	v_lshl_or_b32 v5, v5, 7, v9
	v_ashrrev_i32_e32 v6, 31, v4
	v_mul_lo_u32 v8, s25, v4
	v_mad_u64_u32 v[1:2], null, s24, v4, 0
	v_ashrrev_i32_e32 v12, 31, v7
	s_delay_alu instid0(VALU_DEP_4)
	v_mul_lo_u32 v6, s24, v6
	v_mul_lo_u32 v13, s31, v7
	v_mad_u64_u32 v[3:4], null, s30, v7, 0
	s_add_i32 s1, s27, s1
	v_add_nc_u32_e32 v34, 0x1000, v5
	s_lshl_b64 s[24:25], s[0:1], 4
	v_cmp_gt_i32_e32 vcc_lo, s12, v7
	v_add3_u32 v2, v2, v6, v8
	v_mul_lo_u32 v6, s30, v12
	v_lshlrev_b32_e32 v7, 4, v32
	v_lshlrev_b32_e32 v30, 4, v27
	v_lshl_add_u32 v31, v28, 7, 0x1000
	v_lshlrev_b64 v[1:2], 4, v[1:2]
	v_cmp_gt_i32_e64 s0, s12, v10
	v_add3_u32 v4, v4, v6, v13
	s_delay_alu instid0(VALU_DEP_3) | instskip(NEXT) | instid1(VALU_DEP_1)
	v_add_co_u32 v5, s1, v1, s24
	v_add_co_ci_u32_e64 v6, s1, s25, v2, s1
	s_mul_i32 s1, s5, s15
	s_mul_hi_u32 s5, s4, s15
	v_lshlrev_b64 v[1:2], 4, v[3:4]
	s_add_i32 s5, s5, s1
	s_mul_i32 s4, s4, s15
	v_add_co_u32 v3, s1, v5, v7
	s_lshl_b64 s[4:5], s[4:5], 4
	v_add_co_ci_u32_e64 v4, s1, 0, v6, s1
	v_mov_b32_e32 v5, 0
	v_add_co_u32 v1, s1, v1, s4
	v_mov_b32_e32 v6, 0
	v_add_co_ci_u32_e64 v2, s1, s5, v2, s1
	v_add_co_u32 v3, s1, v3, s22
	s_delay_alu instid0(VALU_DEP_1) | instskip(NEXT) | instid1(VALU_DEP_4)
	v_add_co_ci_u32_e64 v4, s1, s23, v4, s1
	v_mov_b32_e32 v18, v6
	v_lshl_or_b32 v33, v32, 9, v11
	v_mov_b32_e32 v12, v6
	v_add_co_u32 v1, s1, v1, v9
	s_delay_alu instid0(VALU_DEP_1) | instskip(SKIP_1) | instid1(VALU_DEP_1)
	v_add_co_ci_u32_e64 v2, s1, 0, v2, s1
	v_add_co_u32 v7, s1, v3, 8
	v_add_co_ci_u32_e64 v8, s1, 0, v4, s1
	v_mov_b32_e32 v16, v6
	v_add_co_u32 v9, s1, s28, v1
	v_dual_mov_b32 v17, v5 :: v_dual_mov_b32 v22, v6
	v_dual_mov_b32 v15, v5 :: v_dual_mov_b32 v20, v6
	v_dual_mov_b32 v14, v6 :: v_dual_mov_b32 v21, v5
	v_dual_mov_b32 v26, v6 :: v_dual_mov_b32 v19, v5
	v_mov_b32_e32 v24, v6
	v_add_co_ci_u32_e64 v10, s1, s29, v2, s1
	v_mov_b32_e32 v13, v5
	v_mov_b32_e32 v11, v5
	;; [unrolled: 1-line block ×4, first 2 shown]
	s_xor_b32 s1, vcc_lo, -1
	s_branch .LBB1381_3
.LBB1381_2:                             ;   in Loop: Header=BB1381_3 Depth=1
	s_or_b32 exec_lo, exec_lo, s4
	s_waitcnt lgkmcnt(0)
	s_barrier
	buffer_gl0_inv
	ds_load_b128 v[1:4], v31
	ds_load_b128 v[35:38], v30
	ds_load_b128 v[39:42], v30 offset:256
	ds_load_b128 v[43:46], v31 offset:2048
	;; [unrolled: 1-line block ×9, first 2 shown]
	s_add_u32 s2, s2, 8
	s_addc_u32 s3, s3, 0
	v_add_co_u32 v7, vcc_lo, 0x80, v7
	v_cmp_ge_i64_e64 s4, s[2:3], s[16:17]
	v_add_co_ci_u32_e32 v8, vcc_lo, 0, v8, vcc_lo
	v_add_co_u32 v9, vcc_lo, 0x80, v9
	v_add_co_ci_u32_e32 v10, vcc_lo, 0, v10, vcc_lo
	s_delay_alu instid0(VALU_DEP_4)
	s_and_b32 vcc_lo, exec_lo, s4
	s_waitcnt lgkmcnt(9)
	v_mul_f64 v[75:76], v[3:4], v[37:38]
	v_mul_f64 v[77:78], v[1:2], v[37:38]
	s_waitcnt lgkmcnt(8)
	v_mul_f64 v[79:80], v[3:4], v[41:42]
	v_mul_f64 v[81:82], v[1:2], v[41:42]
	;; [unrolled: 3-line block ×3, first 2 shown]
	v_mul_f64 v[85:86], v[45:46], v[41:42]
	v_mul_f64 v[41:42], v[43:44], v[41:42]
	s_waitcnt lgkmcnt(4)
	v_mul_f64 v[87:88], v[49:50], v[57:58]
	v_mul_f64 v[89:90], v[47:48], v[57:58]
	s_waitcnt lgkmcnt(3)
	v_mul_f64 v[91:92], v[49:50], v[61:62]
	v_mul_f64 v[93:94], v[47:48], v[61:62]
	v_mul_f64 v[95:96], v[53:54], v[57:58]
	v_mul_f64 v[57:58], v[51:52], v[57:58]
	v_mul_f64 v[97:98], v[53:54], v[61:62]
	v_mul_f64 v[61:62], v[51:52], v[61:62]
	s_waitcnt lgkmcnt(0)
	v_mul_f64 v[115:116], v[73:74], v[65:66]
	v_mul_f64 v[117:118], v[73:74], v[69:70]
	v_fma_f64 v[99:100], v[1:2], v[35:36], -v[75:76]
	v_fma_f64 v[101:102], v[3:4], v[35:36], v[77:78]
	v_fma_f64 v[79:80], v[1:2], v[39:40], -v[79:80]
	v_fma_f64 v[81:82], v[3:4], v[39:40], v[81:82]
	;; [unrolled: 2-line block ×4, first 2 shown]
	ds_load_b128 v[75:78], v31 offset:32
	v_fma_f64 v[87:88], v[47:48], v[55:56], -v[87:88]
	v_fma_f64 v[89:90], v[49:50], v[55:56], v[89:90]
	v_fma_f64 v[47:48], v[47:48], v[59:60], -v[91:92]
	v_fma_f64 v[49:50], v[49:50], v[59:60], v[93:94]
	;; [unrolled: 2-line block ×4, first 2 shown]
	ds_load_b128 v[1:4], v31 offset:48
	ds_load_b128 v[35:38], v31 offset:2096
	;; [unrolled: 1-line block ×4, first 2 shown]
	s_waitcnt lgkmcnt(4)
	v_mul_f64 v[107:108], v[77:78], v[65:66]
	v_mul_f64 v[109:110], v[75:76], v[65:66]
	;; [unrolled: 1-line block ×6, first 2 shown]
	s_waitcnt lgkmcnt(1)
	v_mul_f64 v[93:94], v[1:2], v[41:42]
	s_waitcnt lgkmcnt(0)
	v_mul_f64 v[95:96], v[3:4], v[45:46]
	v_add_f64 v[23:24], v[23:24], v[99:100]
	v_add_f64 v[25:26], v[25:26], v[101:102]
	;; [unrolled: 1-line block ×8, first 2 shown]
	v_mul_f64 v[85:86], v[3:4], v[41:42]
	v_mul_f64 v[97:98], v[1:2], v[45:46]
	;; [unrolled: 1-line block ×6, first 2 shown]
	ds_load_b128 v[11:14], v30 offset:2048
	ds_load_b128 v[15:18], v30 offset:2304
	;; [unrolled: 1-line block ×3, first 2 shown]
	v_fma_f64 v[105:106], v[75:76], v[63:64], -v[107:108]
	v_fma_f64 v[107:108], v[77:78], v[63:64], v[109:110]
	v_fma_f64 v[75:76], v[75:76], v[67:68], -v[111:112]
	v_fma_f64 v[77:78], v[77:78], v[67:68], v[113:114]
	;; [unrolled: 2-line block ×4, first 2 shown]
	s_waitcnt lgkmcnt(0)
	v_mul_f64 v[115:116], v[21:22], v[13:14]
	v_mul_f64 v[117:118], v[21:22], v[17:18]
	v_add_f64 v[69:70], v[23:24], v[87:88]
	v_add_f64 v[71:72], v[25:26], v[89:90]
	;; [unrolled: 1-line block ×8, first 2 shown]
	ds_load_b128 v[23:26], v31 offset:64
	v_fma_f64 v[85:86], v[1:2], v[39:40], -v[85:86]
	v_fma_f64 v[93:94], v[3:4], v[39:40], v[93:94]
	v_fma_f64 v[95:96], v[1:2], v[43:44], -v[95:96]
	v_fma_f64 v[97:98], v[3:4], v[43:44], v[97:98]
	;; [unrolled: 2-line block ×4, first 2 shown]
	ds_load_b128 v[45:48], v31 offset:80
	ds_load_b128 v[49:52], v31 offset:2128
	;; [unrolled: 1-line block ×7, first 2 shown]
	s_waitcnt lgkmcnt(7)
	v_mul_f64 v[89:90], v[25:26], v[13:14]
	v_mul_f64 v[91:92], v[23:24], v[13:14]
	;; [unrolled: 1-line block ×6, first 2 shown]
	s_waitcnt lgkmcnt(3)
	v_mul_f64 v[103:104], v[51:52], v[59:60]
	v_add_f64 v[69:70], v[69:70], v[105:106]
	v_add_f64 v[71:72], v[71:72], v[107:108]
	;; [unrolled: 1-line block ×8, first 2 shown]
	v_mul_f64 v[77:78], v[47:48], v[55:56]
	v_mul_f64 v[79:80], v[45:46], v[55:56]
	;; [unrolled: 1-line block ×7, first 2 shown]
	v_fma_f64 v[89:90], v[23:24], v[11:12], -v[89:90]
	v_fma_f64 v[91:92], v[25:26], v[11:12], v[91:92]
	v_fma_f64 v[107:108], v[23:24], v[15:16], -v[111:112]
	v_fma_f64 v[109:110], v[25:26], v[15:16], v[113:114]
	;; [unrolled: 2-line block ×4, first 2 shown]
	ds_load_b128 v[11:14], v31 offset:96
	v_add_f64 v[69:70], v[69:70], v[85:86]
	v_add_f64 v[71:72], v[71:72], v[93:94]
	v_add_f64 v[73:74], v[73:74], v[95:96]
	v_add_f64 v[75:76], v[75:76], v[97:98]
	v_add_f64 v[85:86], v[61:62], v[99:100]
	v_add_f64 v[63:64], v[63:64], v[119:120]
	v_add_f64 v[65:66], v[65:66], v[101:102]
	v_add_f64 v[43:44], v[67:68], v[43:44]
	s_waitcnt lgkmcnt(1)
	v_mul_f64 v[99:100], v[41:42], v[3:4]
	v_mul_f64 v[101:102], v[41:42], v[37:38]
	v_fma_f64 v[77:78], v[45:46], v[53:54], -v[77:78]
	v_fma_f64 v[79:80], v[47:48], v[53:54], v[79:80]
	v_fma_f64 v[45:46], v[45:46], v[57:58], -v[81:82]
	v_fma_f64 v[47:48], v[47:48], v[57:58], v[83:84]
	;; [unrolled: 2-line block ×4, first 2 shown]
	s_waitcnt lgkmcnt(0)
	v_mul_f64 v[67:68], v[13:14], v[3:4]
	v_mul_f64 v[93:94], v[11:12], v[3:4]
	;; [unrolled: 1-line block ×6, first 2 shown]
	ds_load_b128 v[15:18], v31 offset:112
	ds_load_b128 v[19:22], v31 offset:2160
	;; [unrolled: 1-line block ×4, first 2 shown]
	s_waitcnt lgkmcnt(0)
	s_barrier
	buffer_gl0_inv
	v_add_f64 v[55:56], v[69:70], v[89:90]
	v_add_f64 v[57:58], v[71:72], v[91:92]
	;; [unrolled: 1-line block ×8, first 2 shown]
	v_mul_f64 v[75:76], v[17:18], v[25:26]
	v_mul_f64 v[83:84], v[15:16], v[25:26]
	;; [unrolled: 1-line block ×8, first 2 shown]
	v_fma_f64 v[67:68], v[11:12], v[1:2], -v[67:68]
	v_fma_f64 v[93:94], v[13:14], v[1:2], v[93:94]
	v_fma_f64 v[11:12], v[11:12], v[35:36], -v[95:96]
	v_fma_f64 v[13:14], v[13:14], v[35:36], v[97:98]
	;; [unrolled: 2-line block ×4, first 2 shown]
	v_add_f64 v[37:38], v[55:56], v[77:78]
	v_add_f64 v[39:40], v[57:58], v[79:80]
	;; [unrolled: 1-line block ×8, first 2 shown]
	v_fma_f64 v[51:52], v[15:16], v[23:24], -v[75:76]
	v_fma_f64 v[55:56], v[17:18], v[23:24], v[83:84]
	v_fma_f64 v[15:16], v[15:16], v[59:60], -v[85:86]
	v_fma_f64 v[17:18], v[17:18], v[59:60], v[87:88]
	;; [unrolled: 2-line block ×4, first 2 shown]
	v_add_f64 v[19:20], v[37:38], v[67:68]
	v_add_f64 v[21:22], v[39:40], v[93:94]
	v_add_f64 v[11:12], v[41:42], v[11:12]
	v_add_f64 v[13:14], v[45:46], v[13:14]
	v_add_f64 v[37:38], v[47:48], v[95:96]
	v_add_f64 v[1:2], v[53:54], v[1:2]
	v_add_f64 v[3:4], v[49:50], v[3:4]
	v_add_f64 v[35:36], v[43:44], v[35:36]
	v_add_f64 v[23:24], v[19:20], v[51:52]
	v_add_f64 v[25:26], v[21:22], v[55:56]
	v_add_f64 v[19:20], v[11:12], v[15:16]
	v_add_f64 v[21:22], v[13:14], v[17:18]
	v_add_f64 v[15:16], v[37:38], v[57:58]
	v_add_f64 v[17:18], v[1:2], v[63:64]
	v_add_f64 v[11:12], v[3:4], v[65:66]
	v_add_f64 v[13:14], v[35:36], v[59:60]
	s_cbranch_vccnz .LBB1381_9
.LBB1381_3:                             ; =>This Inner Loop Header: Depth=1
	v_add_co_u32 v1, s4, v32, s2
	s_delay_alu instid0(VALU_DEP_1) | instskip(SKIP_1) | instid1(VALU_DEP_2)
	v_add_co_ci_u32_e64 v2, null, 0, s3, s4
	v_dual_mov_b32 v3, v5 :: v_dual_mov_b32 v4, v6
	v_cmp_gt_i64_e32 vcc_lo, s[16:17], v[1:2]
	v_dual_mov_b32 v1, v5 :: v_dual_mov_b32 v2, v6
	s_and_b32 s5, s0, vcc_lo
	s_delay_alu instid0(SALU_CYCLE_1)
	s_and_saveexec_b32 s4, s5
	s_cbranch_execz .LBB1381_5
; %bb.4:                                ;   in Loop: Header=BB1381_3 Depth=1
	global_load_b128 v[1:4], v[7:8], off offset:-8
	s_waitcnt vmcnt(0)
	v_xor_b32_e32 v4, 0x80000000, v4
.LBB1381_5:                             ;   in Loop: Header=BB1381_3 Depth=1
	s_or_b32 exec_lo, exec_lo, s4
	v_add_co_u32 v35, s4, v29, s2
	s_delay_alu instid0(VALU_DEP_1) | instskip(SKIP_3) | instid1(SALU_CYCLE_1)
	v_add_co_ci_u32_e64 v36, null, 0, s3, s4
	ds_store_b128 v33, v[1:4]
	v_cmp_le_i64_e32 vcc_lo, s[16:17], v[35:36]
	s_or_b32 s4, vcc_lo, s1
	s_and_saveexec_b32 s5, s4
	s_delay_alu instid0(SALU_CYCLE_1)
	s_xor_b32 s4, exec_lo, s5
	s_cbranch_execz .LBB1381_7
; %bb.6:                                ;   in Loop: Header=BB1381_3 Depth=1
	v_mov_b32_e32 v1, v0
	v_mov_b32_e32 v2, v0
	;; [unrolled: 1-line block ×3, first 2 shown]
	ds_store_b128 v34, v[0:3]
.LBB1381_7:                             ;   in Loop: Header=BB1381_3 Depth=1
	s_and_not1_saveexec_b32 s4, s4
	s_cbranch_execz .LBB1381_2
; %bb.8:                                ;   in Loop: Header=BB1381_3 Depth=1
	global_load_b128 v[1:4], v[9:10], off
	s_waitcnt vmcnt(0)
	ds_store_2addr_b64 v34, v[1:2], v[3:4] offset1:1
	s_branch .LBB1381_2
.LBB1381_9:
	v_add_nc_u32_e32 v4, s14, v28
	s_mul_i32 s1, s15, s39
	s_mul_hi_u32 s2, s15, s38
	s_mul_i32 s0, s15, s38
	s_add_i32 s1, s2, s1
	v_ashrrev_i32_e32 v0, 31, v4
	v_mul_lo_u32 v3, v4, s37
	v_mad_u64_u32 v[1:2], null, v4, s36, 0
	s_lshl_b64 s[2:3], s[0:1], 4
	s_delay_alu instid0(VALU_DEP_3) | instskip(SKIP_3) | instid1(VALU_DEP_2)
	v_mul_lo_u32 v0, v0, s36
	s_add_u32 s2, s10, s2
	v_cmp_gt_i32_e32 vcc_lo, s12, v4
	s_addc_u32 s3, s11, s3
	v_add3_u32 v2, v2, v3, v0
	v_add_nc_u32_e32 v0, s13, v27
	s_delay_alu instid0(VALU_DEP_2) | instskip(NEXT) | instid1(VALU_DEP_2)
	v_lshlrev_b64 v[1:2], 4, v[1:2]
	v_cmp_le_i32_e64 s0, v0, v4
	s_delay_alu instid0(VALU_DEP_1) | instskip(NEXT) | instid1(VALU_DEP_2)
	s_and_b32 s0, vcc_lo, s0
	v_add_co_u32 v5, s1, s2, v1
	s_delay_alu instid0(VALU_DEP_1)
	v_add_co_ci_u32_e64 v6, s1, s3, v2, s1
	s_and_saveexec_b32 s1, s0
	s_cbranch_execz .LBB1381_11
; %bb.10:
	v_ashrrev_i32_e32 v1, 31, v0
	v_mul_f64 v[27:28], s[18:19], v[25:26]
	v_mul_f64 v[25:26], s[20:21], v[25:26]
	s_delay_alu instid0(VALU_DEP_3) | instskip(NEXT) | instid1(VALU_DEP_1)
	v_lshlrev_b64 v[1:2], 4, v[0:1]
	v_add_co_u32 v1, s0, v5, v1
	s_delay_alu instid0(VALU_DEP_1)
	v_add_co_ci_u32_e64 v2, s0, v6, v2, s0
	v_cmp_ne_u32_e64 s0, v4, v0
	global_load_b128 v[7:10], v[1:2], off
	v_fma_f64 v[27:28], s[20:21], v[23:24], v[27:28]
	v_fma_f64 v[23:24], s[18:19], v[23:24], -v[25:26]
	s_waitcnt vmcnt(0)
	v_mul_f64 v[29:30], s[6:7], v[9:10]
	v_mul_f64 v[9:10], s[8:9], v[9:10]
	s_delay_alu instid0(VALU_DEP_2) | instskip(NEXT) | instid1(VALU_DEP_2)
	v_fma_f64 v[29:30], s[8:9], v[7:8], v[29:30]
	v_fma_f64 v[7:8], s[6:7], v[7:8], -v[9:10]
	s_delay_alu instid0(VALU_DEP_2) | instskip(NEXT) | instid1(VALU_DEP_2)
	v_add_f64 v[9:10], v[27:28], v[29:30]
	v_add_f64 v[7:8], v[23:24], v[7:8]
	s_delay_alu instid0(VALU_DEP_2) | instskip(NEXT) | instid1(VALU_DEP_3)
	v_cndmask_b32_e64 v10, 0, v10, s0
	v_cndmask_b32_e64 v9, 0, v9, s0
	global_store_b128 v[1:2], v[7:10], off
.LBB1381_11:
	s_or_b32 exec_lo, exec_lo, s1
	v_add_nc_u32_e32 v2, 16, v0
	s_delay_alu instid0(VALU_DEP_1) | instskip(NEXT) | instid1(VALU_DEP_1)
	v_cmp_le_i32_e64 s0, v2, v4
	s_and_b32 s1, vcc_lo, s0
	s_delay_alu instid0(SALU_CYCLE_1)
	s_and_saveexec_b32 s0, s1
	s_cbranch_execz .LBB1381_13
; %bb.12:
	v_ashrrev_i32_e32 v3, 31, v2
	v_mul_f64 v[23:24], s[18:19], v[21:22]
	v_mul_f64 v[21:22], s[20:21], v[21:22]
	s_delay_alu instid0(VALU_DEP_3) | instskip(NEXT) | instid1(VALU_DEP_1)
	v_lshlrev_b64 v[7:8], 4, v[2:3]
	v_add_co_u32 v9, vcc_lo, v5, v7
	s_delay_alu instid0(VALU_DEP_2)
	v_add_co_ci_u32_e32 v10, vcc_lo, v6, v8, vcc_lo
	v_cmp_ne_u32_e32 vcc_lo, v4, v2
	global_load_b128 v[5:8], v[9:10], off
	v_fma_f64 v[23:24], s[20:21], v[19:20], v[23:24]
	v_fma_f64 v[19:20], s[18:19], v[19:20], -v[21:22]
	s_waitcnt vmcnt(0)
	v_mul_f64 v[25:26], s[6:7], v[7:8]
	v_mul_f64 v[7:8], s[8:9], v[7:8]
	s_delay_alu instid0(VALU_DEP_2) | instskip(NEXT) | instid1(VALU_DEP_2)
	v_fma_f64 v[25:26], s[8:9], v[5:6], v[25:26]
	v_fma_f64 v[5:6], s[6:7], v[5:6], -v[7:8]
	s_delay_alu instid0(VALU_DEP_2) | instskip(NEXT) | instid1(VALU_DEP_2)
	v_add_f64 v[7:8], v[23:24], v[25:26]
	v_add_f64 v[5:6], v[19:20], v[5:6]
	s_delay_alu instid0(VALU_DEP_2)
	v_dual_cndmask_b32 v8, 0, v8 :: v_dual_cndmask_b32 v7, 0, v7
	global_store_b128 v[9:10], v[5:8], off
.LBB1381_13:
	s_or_b32 exec_lo, exec_lo, s0
	v_add_nc_u32_e32 v3, 16, v4
	s_delay_alu instid0(VALU_DEP_1) | instskip(SKIP_3) | instid1(VALU_DEP_4)
	v_ashrrev_i32_e32 v1, 31, v3
	v_mul_lo_u32 v7, v3, s37
	v_mad_u64_u32 v[5:6], null, v3, s36, 0
	v_cmp_gt_i32_e32 vcc_lo, s12, v3
	v_mul_lo_u32 v1, v1, s36
	v_cmp_le_i32_e64 s0, v0, v3
	s_delay_alu instid0(VALU_DEP_1) | instskip(NEXT) | instid1(VALU_DEP_2)
	s_and_b32 s0, vcc_lo, s0
	v_add3_u32 v6, v6, v7, v1
	s_delay_alu instid0(VALU_DEP_1) | instskip(NEXT) | instid1(VALU_DEP_1)
	v_lshlrev_b64 v[5:6], 4, v[5:6]
	v_add_co_u32 v5, s1, s2, v5
	s_delay_alu instid0(VALU_DEP_1)
	v_add_co_ci_u32_e64 v6, s1, s3, v6, s1
	s_and_saveexec_b32 s1, s0
	s_cbranch_execz .LBB1381_15
; %bb.14:
	v_ashrrev_i32_e32 v1, 31, v0
	v_mul_f64 v[21:22], s[18:19], v[17:18]
	v_mul_f64 v[17:18], s[20:21], v[17:18]
	s_delay_alu instid0(VALU_DEP_3) | instskip(NEXT) | instid1(VALU_DEP_1)
	v_lshlrev_b64 v[7:8], 4, v[0:1]
	v_add_co_u32 v19, s0, v5, v7
	s_delay_alu instid0(VALU_DEP_1)
	v_add_co_ci_u32_e64 v20, s0, v6, v8, s0
	v_cmp_ne_u32_e64 s0, v3, v0
	global_load_b128 v[7:10], v[19:20], off
	v_fma_f64 v[21:22], s[20:21], v[15:16], v[21:22]
	v_fma_f64 v[15:16], s[18:19], v[15:16], -v[17:18]
	s_waitcnt vmcnt(0)
	v_mul_f64 v[23:24], s[6:7], v[9:10]
	v_mul_f64 v[9:10], s[8:9], v[9:10]
	s_delay_alu instid0(VALU_DEP_2) | instskip(NEXT) | instid1(VALU_DEP_2)
	v_fma_f64 v[23:24], s[8:9], v[7:8], v[23:24]
	v_fma_f64 v[7:8], s[6:7], v[7:8], -v[9:10]
	s_delay_alu instid0(VALU_DEP_2) | instskip(NEXT) | instid1(VALU_DEP_2)
	v_add_f64 v[9:10], v[21:22], v[23:24]
	v_add_f64 v[7:8], v[15:16], v[7:8]
	s_delay_alu instid0(VALU_DEP_2) | instskip(NEXT) | instid1(VALU_DEP_3)
	v_cndmask_b32_e64 v10, 0, v10, s0
	v_cndmask_b32_e64 v9, 0, v9, s0
	global_store_b128 v[19:20], v[7:10], off
.LBB1381_15:
	s_or_b32 exec_lo, exec_lo, s1
	v_cmp_le_i32_e64 s0, v2, v3
	s_delay_alu instid0(VALU_DEP_1) | instskip(NEXT) | instid1(SALU_CYCLE_1)
	s_and_b32 s0, vcc_lo, s0
	s_and_saveexec_b32 s1, s0
	s_cbranch_execz .LBB1381_17
; %bb.16:
	v_ashrrev_i32_e32 v3, 31, v2
	s_delay_alu instid0(VALU_DEP_1) | instskip(NEXT) | instid1(VALU_DEP_1)
	v_lshlrev_b64 v[1:2], 4, v[2:3]
	v_add_co_u32 v9, vcc_lo, v5, v1
	s_delay_alu instid0(VALU_DEP_2)
	v_add_co_ci_u32_e32 v10, vcc_lo, v6, v2, vcc_lo
	v_mul_f64 v[1:2], s[18:19], v[13:14]
	v_mul_f64 v[13:14], s[20:21], v[13:14]
	v_cmp_ne_u32_e32 vcc_lo, v4, v0
	global_load_b128 v[5:8], v[9:10], off
	v_fma_f64 v[1:2], s[20:21], v[11:12], v[1:2]
	v_fma_f64 v[11:12], s[18:19], v[11:12], -v[13:14]
	s_waitcnt vmcnt(0)
	v_mul_f64 v[15:16], s[6:7], v[7:8]
	v_mul_f64 v[7:8], s[8:9], v[7:8]
	s_delay_alu instid0(VALU_DEP_2) | instskip(NEXT) | instid1(VALU_DEP_2)
	v_fma_f64 v[15:16], s[8:9], v[5:6], v[15:16]
	v_fma_f64 v[5:6], s[6:7], v[5:6], -v[7:8]
	s_delay_alu instid0(VALU_DEP_2) | instskip(NEXT) | instid1(VALU_DEP_2)
	v_add_f64 v[7:8], v[1:2], v[15:16]
	v_add_f64 v[1:2], v[11:12], v[5:6]
	s_delay_alu instid0(VALU_DEP_2)
	v_dual_cndmask_b32 v4, 0, v8 :: v_dual_cndmask_b32 v3, 0, v7
	global_store_b128 v[9:10], v[1:4], off
.LBB1381_17:
	s_nop 0
	s_sendmsg sendmsg(MSG_DEALLOC_VGPRS)
	s_endpgm
	.section	.rodata,"a",@progbits
	.p2align	6, 0x0
	.amdhsa_kernel _ZL34rocblas_syrkx_herkx_general_kernelIl19rocblas_complex_numIdELi16ELi32ELi8ELb0ELb1ELc67ELc85EKS1_S1_EviT_T0_PT8_S3_lS6_S3_lS4_PT9_S3_li
		.amdhsa_group_segment_fixed_size 8192
		.amdhsa_private_segment_fixed_size 0
		.amdhsa_kernarg_size 124
		.amdhsa_user_sgpr_count 13
		.amdhsa_user_sgpr_dispatch_ptr 0
		.amdhsa_user_sgpr_queue_ptr 0
		.amdhsa_user_sgpr_kernarg_segment_ptr 1
		.amdhsa_user_sgpr_dispatch_id 0
		.amdhsa_user_sgpr_private_segment_size 0
		.amdhsa_wavefront_size32 1
		.amdhsa_uses_dynamic_stack 0
		.amdhsa_enable_private_segment 0
		.amdhsa_system_sgpr_workgroup_id_x 1
		.amdhsa_system_sgpr_workgroup_id_y 1
		.amdhsa_system_sgpr_workgroup_id_z 1
		.amdhsa_system_sgpr_workgroup_info 0
		.amdhsa_system_vgpr_workitem_id 1
		.amdhsa_next_free_vgpr 121
		.amdhsa_next_free_sgpr 40
		.amdhsa_reserve_vcc 1
		.amdhsa_float_round_mode_32 0
		.amdhsa_float_round_mode_16_64 0
		.amdhsa_float_denorm_mode_32 3
		.amdhsa_float_denorm_mode_16_64 3
		.amdhsa_dx10_clamp 1
		.amdhsa_ieee_mode 1
		.amdhsa_fp16_overflow 0
		.amdhsa_workgroup_processor_mode 1
		.amdhsa_memory_ordered 1
		.amdhsa_forward_progress 0
		.amdhsa_shared_vgpr_count 0
		.amdhsa_exception_fp_ieee_invalid_op 0
		.amdhsa_exception_fp_denorm_src 0
		.amdhsa_exception_fp_ieee_div_zero 0
		.amdhsa_exception_fp_ieee_overflow 0
		.amdhsa_exception_fp_ieee_underflow 0
		.amdhsa_exception_fp_ieee_inexact 0
		.amdhsa_exception_int_div_zero 0
	.end_amdhsa_kernel
	.section	.text._ZL34rocblas_syrkx_herkx_general_kernelIl19rocblas_complex_numIdELi16ELi32ELi8ELb0ELb1ELc67ELc85EKS1_S1_EviT_T0_PT8_S3_lS6_S3_lS4_PT9_S3_li,"axG",@progbits,_ZL34rocblas_syrkx_herkx_general_kernelIl19rocblas_complex_numIdELi16ELi32ELi8ELb0ELb1ELc67ELc85EKS1_S1_EviT_T0_PT8_S3_lS6_S3_lS4_PT9_S3_li,comdat
.Lfunc_end1381:
	.size	_ZL34rocblas_syrkx_herkx_general_kernelIl19rocblas_complex_numIdELi16ELi32ELi8ELb0ELb1ELc67ELc85EKS1_S1_EviT_T0_PT8_S3_lS6_S3_lS4_PT9_S3_li, .Lfunc_end1381-_ZL34rocblas_syrkx_herkx_general_kernelIl19rocblas_complex_numIdELi16ELi32ELi8ELb0ELb1ELc67ELc85EKS1_S1_EviT_T0_PT8_S3_lS6_S3_lS4_PT9_S3_li
                                        ; -- End function
	.section	.AMDGPU.csdata,"",@progbits
; Kernel info:
; codeLenInByte = 3704
; NumSgprs: 42
; NumVgprs: 121
; ScratchSize: 0
; MemoryBound: 1
; FloatMode: 240
; IeeeMode: 1
; LDSByteSize: 8192 bytes/workgroup (compile time only)
; SGPRBlocks: 5
; VGPRBlocks: 15
; NumSGPRsForWavesPerEU: 42
; NumVGPRsForWavesPerEU: 121
; Occupancy: 10
; WaveLimiterHint : 0
; COMPUTE_PGM_RSRC2:SCRATCH_EN: 0
; COMPUTE_PGM_RSRC2:USER_SGPR: 13
; COMPUTE_PGM_RSRC2:TRAP_HANDLER: 0
; COMPUTE_PGM_RSRC2:TGID_X_EN: 1
; COMPUTE_PGM_RSRC2:TGID_Y_EN: 1
; COMPUTE_PGM_RSRC2:TGID_Z_EN: 1
; COMPUTE_PGM_RSRC2:TIDIG_COMP_CNT: 1
	.section	.text._ZL34rocblas_syrkx_herkx_general_kernelIl19rocblas_complex_numIdELi16ELi32ELi8ELb0ELb1ELc78ELc85EKS1_S1_EviT_T0_PT8_S3_lS6_S3_lS4_PT9_S3_li,"axG",@progbits,_ZL34rocblas_syrkx_herkx_general_kernelIl19rocblas_complex_numIdELi16ELi32ELi8ELb0ELb1ELc78ELc85EKS1_S1_EviT_T0_PT8_S3_lS6_S3_lS4_PT9_S3_li,comdat
	.globl	_ZL34rocblas_syrkx_herkx_general_kernelIl19rocblas_complex_numIdELi16ELi32ELi8ELb0ELb1ELc78ELc85EKS1_S1_EviT_T0_PT8_S3_lS6_S3_lS4_PT9_S3_li ; -- Begin function _ZL34rocblas_syrkx_herkx_general_kernelIl19rocblas_complex_numIdELi16ELi32ELi8ELb0ELb1ELc78ELc85EKS1_S1_EviT_T0_PT8_S3_lS6_S3_lS4_PT9_S3_li
	.p2align	8
	.type	_ZL34rocblas_syrkx_herkx_general_kernelIl19rocblas_complex_numIdELi16ELi32ELi8ELb0ELb1ELc78ELc85EKS1_S1_EviT_T0_PT8_S3_lS6_S3_lS4_PT9_S3_li,@function
_ZL34rocblas_syrkx_herkx_general_kernelIl19rocblas_complex_numIdELi16ELi32ELi8ELb0ELb1ELc78ELc85EKS1_S1_EviT_T0_PT8_S3_lS6_S3_lS4_PT9_S3_li: ; @_ZL34rocblas_syrkx_herkx_general_kernelIl19rocblas_complex_numIdELi16ELi32ELi8ELb0ELb1ELc78ELc85EKS1_S1_EviT_T0_PT8_S3_lS6_S3_lS4_PT9_S3_li
; %bb.0:
	s_clause 0x3
	s_load_b512 s[16:31], s[0:1], 0x8
	s_load_b32 s33, s[0:1], 0x0
	s_load_b128 s[36:39], s[0:1], 0x68
	s_load_b256 s[4:11], s[0:1], 0x48
	v_mov_b32_e32 v21, 0
	v_dual_mov_b32 v22, 0 :: v_dual_and_b32 v25, 0x3ff, v0
	v_bfe_u32 v26, v0, 10, 10
	s_delay_alu instid0(VALU_DEP_3) | instskip(NEXT) | instid1(VALU_DEP_3)
	v_mov_b32_e32 v17, v21
	v_dual_mov_b32 v19, v21 :: v_dual_mov_b32 v20, v22
	v_dual_mov_b32 v24, v22 :: v_dual_mov_b32 v23, v21
	;; [unrolled: 1-line block ×5, first 2 shown]
	v_mov_b32_e32 v12, v22
	s_waitcnt lgkmcnt(0)
	v_cmp_lt_i64_e64 s0, s[16:17], 1
	v_dual_mov_b32 v9, v21 :: v_dual_mov_b32 v10, v22
	s_lshl_b32 s34, s13, 5
	s_lshl_b32 s14, s14, 5
	s_mov_b64 s[2:3], 0
	s_delay_alu instid0(VALU_DEP_2)
	s_and_b32 vcc_lo, exec_lo, s0
	s_cbranch_vccnz .LBB1382_9
; %bb.1:
	v_lshl_add_u32 v5, v26, 4, v25
	v_dual_mov_b32 v0, 0 :: v_dual_and_b32 v27, 7, v25
	s_mul_i32 s1, s27, s15
	s_mul_hi_u32 s12, s26, s15
	s_delay_alu instid0(VALU_DEP_2) | instskip(NEXT) | instid1(VALU_DEP_2)
	v_lshrrev_b32_e32 v28, 5, v5
	v_mad_u64_u32 v[3:4], null, s30, v27, 0
	v_lshrrev_b32_e32 v7, 3, v5
	v_and_b32_e32 v10, 31, v5
	s_delay_alu instid0(VALU_DEP_4)
	v_mad_u64_u32 v[1:2], null, s24, v28, 0
	s_mul_i32 s0, s26, s15
	s_add_i32 s1, s12, s1
	s_mul_i32 s5, s5, s15
	s_lshl_b64 s[12:13], s[0:1], 4
	s_mul_hi_u32 s26, s4, s15
	s_mul_i32 s4, s4, s15
	s_delay_alu instid0(VALU_DEP_1)
	v_mad_u64_u32 v[5:6], null, s25, v28, v[2:3]
	v_lshlrev_b32_e32 v2, 4, v27
	v_lshlrev_b32_e32 v29, 4, v25
	v_add_nc_u32_e32 v6, s14, v7
	s_add_i32 s5, s26, s5
	v_or_b32_e32 v11, s34, v10
	v_lshl_or_b32 v7, v7, 7, v2
	v_mov_b32_e32 v2, v5
	v_mad_u64_u32 v[8:9], null, s31, v27, v[4:5]
	v_add_nc_u32_e32 v9, s34, v10
	s_delay_alu instid0(VALU_DEP_4) | instskip(NEXT) | instid1(VALU_DEP_4)
	v_add_nc_u32_e32 v32, 0x1000, v7
	v_lshlrev_b64 v[1:2], 4, v[1:2]
	v_ashrrev_i32_e32 v7, 31, v6
	v_lshlrev_b32_e32 v12, 4, v10
	s_lshl_b64 s[4:5], s[4:5], 4
	v_mov_b32_e32 v4, v8
	v_ashrrev_i32_e32 v10, 31, v9
	v_add_co_u32 v5, s1, v1, s12
	s_delay_alu instid0(VALU_DEP_1) | instskip(NEXT) | instid1(VALU_DEP_4)
	v_add_co_ci_u32_e64 v8, s1, s13, v2, s1
	v_lshlrev_b64 v[1:2], 4, v[3:4]
	v_lshlrev_b64 v[3:4], 4, v[6:7]
	v_cmp_gt_i32_e64 s0, s33, v6
	v_cmp_gt_i32_e32 vcc_lo, s33, v11
	v_lshl_add_u32 v30, v26, 7, 0x1000
	s_lshl_b64 s[12:13], s[30:31], 7
	v_add_co_u32 v6, s1, s4, v1
	s_delay_alu instid0(VALU_DEP_1) | instskip(SKIP_1) | instid1(VALU_DEP_3)
	v_add_co_ci_u32_e64 v7, s1, s5, v2, s1
	v_lshlrev_b64 v[1:2], 4, v[9:10]
	v_add_co_u32 v3, s1, v6, v3
	s_delay_alu instid0(VALU_DEP_1) | instskip(SKIP_1) | instid1(VALU_DEP_4)
	v_add_co_ci_u32_e64 v4, s1, v7, v4, s1
	v_mov_b32_e32 v9, 0
	v_add_co_u32 v1, s1, v5, v1
	s_delay_alu instid0(VALU_DEP_1) | instskip(SKIP_4) | instid1(VALU_DEP_1)
	v_add_co_ci_u32_e64 v2, s1, v8, v2, s1
	v_add_co_u32 v3, s1, v3, s28
	v_mov_b32_e32 v10, 0
	v_add_co_ci_u32_e64 v4, s1, s29, v4, s1
	v_add_co_u32 v5, s1, s22, v1
	v_add_co_ci_u32_e64 v6, s1, s23, v2, s1
	v_add_co_u32 v7, s1, v3, 8
	v_dual_mov_b32 v16, v10 :: v_dual_mov_b32 v15, v9
	v_lshl_or_b32 v31, v28, 9, v12
	v_mov_b32_e32 v12, v10
	v_mov_b32_e32 v14, v10
	;; [unrolled: 1-line block ×5, first 2 shown]
	v_dual_mov_b32 v22, v10 :: v_dual_mov_b32 v21, v9
	v_add_co_ci_u32_e64 v8, s1, 0, v4, s1
	v_mov_b32_e32 v11, v9
	v_mov_b32_e32 v13, v9
	v_mov_b32_e32 v19, v9
	v_mov_b32_e32 v17, v9
	v_mov_b32_e32 v23, v9
	s_lshl_b64 s[4:5], s[24:25], 7
	s_xor_b32 s1, vcc_lo, -1
	s_branch .LBB1382_3
.LBB1382_2:                             ;   in Loop: Header=BB1382_3 Depth=1
	s_or_b32 exec_lo, exec_lo, s22
	ds_store_b128 v32, v[1:4]
	s_waitcnt lgkmcnt(0)
	s_barrier
	buffer_gl0_inv
	ds_load_b128 v[1:4], v30
	ds_load_b128 v[33:36], v29
	ds_load_b128 v[37:40], v29 offset:256
	ds_load_b128 v[41:44], v30 offset:2048
	ds_load_b128 v[45:48], v30 offset:16
	ds_load_b128 v[49:52], v30 offset:2064
	ds_load_b128 v[53:56], v29 offset:512
	ds_load_b128 v[57:60], v29 offset:768
	ds_load_b128 v[61:64], v29 offset:1024
	ds_load_b128 v[65:68], v29 offset:1280
	ds_load_b128 v[69:72], v30 offset:2080
	s_add_u32 s2, s2, 8
	s_addc_u32 s3, s3, 0
	v_add_co_u32 v5, vcc_lo, v5, s4
	v_cmp_ge_i64_e64 s22, s[2:3], s[16:17]
	v_add_co_ci_u32_e32 v6, vcc_lo, s5, v6, vcc_lo
	v_add_co_u32 v7, vcc_lo, v7, s12
	v_add_co_ci_u32_e32 v8, vcc_lo, s13, v8, vcc_lo
	s_delay_alu instid0(VALU_DEP_4)
	s_and_b32 vcc_lo, exec_lo, s22
	s_waitcnt lgkmcnt(9)
	v_mul_f64 v[73:74], v[3:4], v[35:36]
	v_mul_f64 v[75:76], v[1:2], v[35:36]
	s_waitcnt lgkmcnt(8)
	v_mul_f64 v[77:78], v[3:4], v[39:40]
	v_mul_f64 v[79:80], v[1:2], v[39:40]
	;; [unrolled: 3-line block ×3, first 2 shown]
	v_mul_f64 v[83:84], v[43:44], v[39:40]
	v_mul_f64 v[39:40], v[41:42], v[39:40]
	s_waitcnt lgkmcnt(4)
	v_mul_f64 v[85:86], v[47:48], v[55:56]
	v_mul_f64 v[87:88], v[45:46], v[55:56]
	s_waitcnt lgkmcnt(3)
	v_mul_f64 v[89:90], v[47:48], v[59:60]
	v_mul_f64 v[91:92], v[45:46], v[59:60]
	;; [unrolled: 1-line block ×6, first 2 shown]
	v_fma_f64 v[97:98], v[1:2], v[33:34], -v[73:74]
	v_fma_f64 v[99:100], v[3:4], v[33:34], v[75:76]
	ds_load_b128 v[73:76], v30 offset:32
	v_fma_f64 v[77:78], v[1:2], v[37:38], -v[77:78]
	v_fma_f64 v[79:80], v[3:4], v[37:38], v[79:80]
	v_fma_f64 v[81:82], v[41:42], v[33:34], -v[81:82]
	v_fma_f64 v[101:102], v[43:44], v[33:34], v[35:36]
	;; [unrolled: 2-line block ×3, first 2 shown]
	s_waitcnt lgkmcnt(1)
	v_mul_f64 v[113:114], v[71:72], v[63:64]
	v_fma_f64 v[85:86], v[45:46], v[53:54], -v[85:86]
	v_fma_f64 v[87:88], v[47:48], v[53:54], v[87:88]
	v_fma_f64 v[45:46], v[45:46], v[57:58], -v[89:90]
	v_fma_f64 v[47:48], v[47:48], v[57:58], v[91:92]
	v_mul_f64 v[89:90], v[71:72], v[67:68]
	v_fma_f64 v[91:92], v[49:50], v[53:54], -v[93:94]
	v_fma_f64 v[53:54], v[51:52], v[53:54], v[55:56]
	v_fma_f64 v[49:50], v[49:50], v[57:58], -v[95:96]
	v_fma_f64 v[51:52], v[51:52], v[57:58], v[59:60]
	ds_load_b128 v[1:4], v30 offset:48
	ds_load_b128 v[33:36], v30 offset:2096
	;; [unrolled: 1-line block ×4, first 2 shown]
	s_waitcnt lgkmcnt(4)
	v_mul_f64 v[105:106], v[75:76], v[63:64]
	v_mul_f64 v[107:108], v[73:74], v[63:64]
	;; [unrolled: 1-line block ×6, first 2 shown]
	s_waitcnt lgkmcnt(1)
	v_mul_f64 v[93:94], v[1:2], v[39:40]
	v_add_f64 v[21:22], v[21:22], v[97:98]
	v_add_f64 v[23:24], v[23:24], v[99:100]
	;; [unrolled: 1-line block ×8, first 2 shown]
	v_mul_f64 v[83:84], v[3:4], v[39:40]
	s_waitcnt lgkmcnt(0)
	v_mul_f64 v[95:96], v[3:4], v[43:44]
	v_mul_f64 v[97:98], v[1:2], v[43:44]
	;; [unrolled: 1-line block ×6, first 2 shown]
	ds_load_b128 v[9:12], v29 offset:2048
	ds_load_b128 v[13:16], v29 offset:2304
	;; [unrolled: 1-line block ×3, first 2 shown]
	v_fma_f64 v[105:106], v[73:74], v[61:62], -v[105:106]
	v_fma_f64 v[107:108], v[75:76], v[61:62], v[107:108]
	v_fma_f64 v[73:74], v[73:74], v[65:66], -v[109:110]
	v_fma_f64 v[75:76], v[75:76], v[65:66], v[111:112]
	;; [unrolled: 2-line block ×4, first 2 shown]
	s_waitcnt lgkmcnt(0)
	v_mul_f64 v[113:114], v[19:20], v[11:12]
	v_mul_f64 v[115:116], v[19:20], v[15:16]
	v_fma_f64 v[93:94], v[3:4], v[37:38], v[93:94]
	v_add_f64 v[67:68], v[21:22], v[85:86]
	v_add_f64 v[69:70], v[23:24], v[87:88]
	;; [unrolled: 1-line block ×8, first 2 shown]
	ds_load_b128 v[21:24], v30 offset:64
	v_fma_f64 v[83:84], v[1:2], v[37:38], -v[83:84]
	v_fma_f64 v[95:96], v[1:2], v[41:42], -v[95:96]
	v_fma_f64 v[97:98], v[3:4], v[41:42], v[97:98]
	v_fma_f64 v[99:100], v[33:34], v[37:38], -v[99:100]
	v_fma_f64 v[117:118], v[35:36], v[37:38], v[39:40]
	v_fma_f64 v[101:102], v[33:34], v[41:42], -v[101:102]
	v_fma_f64 v[41:42], v[35:36], v[41:42], v[103:104]
	ds_load_b128 v[43:46], v30 offset:80
	ds_load_b128 v[47:50], v30 offset:2128
	;; [unrolled: 1-line block ×7, first 2 shown]
	s_waitcnt lgkmcnt(7)
	v_mul_f64 v[87:88], v[23:24], v[11:12]
	v_mul_f64 v[89:90], v[21:22], v[11:12]
	v_mul_f64 v[91:92], v[23:24], v[15:16]
	v_mul_f64 v[111:112], v[21:22], v[15:16]
	v_mul_f64 v[11:12], v[17:18], v[11:12]
	v_mul_f64 v[15:16], v[17:18], v[15:16]
	s_waitcnt lgkmcnt(3)
	v_mul_f64 v[103:104], v[49:50], v[57:58]
	v_add_f64 v[67:68], v[67:68], v[105:106]
	v_add_f64 v[69:70], v[69:70], v[107:108]
	;; [unrolled: 1-line block ×8, first 2 shown]
	v_mul_f64 v[75:76], v[45:46], v[53:54]
	v_mul_f64 v[77:78], v[43:44], v[53:54]
	;; [unrolled: 1-line block ×7, first 2 shown]
	v_fma_f64 v[109:110], v[17:18], v[9:10], -v[113:114]
	v_fma_f64 v[113:114], v[17:18], v[13:14], -v[115:116]
	;; [unrolled: 1-line block ×3, first 2 shown]
	v_fma_f64 v[89:90], v[23:24], v[9:10], v[89:90]
	v_fma_f64 v[91:92], v[21:22], v[13:14], -v[91:92]
	v_fma_f64 v[107:108], v[23:24], v[13:14], v[111:112]
	v_fma_f64 v[111:112], v[19:20], v[9:10], v[11:12]
	;; [unrolled: 1-line block ×3, first 2 shown]
	ds_load_b128 v[9:12], v30 offset:96
	v_add_f64 v[67:68], v[67:68], v[83:84]
	v_add_f64 v[69:70], v[69:70], v[93:94]
	;; [unrolled: 1-line block ×8, first 2 shown]
	s_waitcnt lgkmcnt(1)
	v_mul_f64 v[99:100], v[39:40], v[3:4]
	v_fma_f64 v[75:76], v[43:44], v[51:52], -v[75:76]
	v_fma_f64 v[77:78], v[45:46], v[51:52], v[77:78]
	v_fma_f64 v[43:44], v[43:44], v[55:56], -v[79:80]
	v_fma_f64 v[45:46], v[45:46], v[55:56], v[81:82]
	v_mul_f64 v[79:80], v[39:40], v[35:36]
	v_fma_f64 v[81:82], v[47:48], v[51:52], -v[85:86]
	v_fma_f64 v[51:52], v[49:50], v[51:52], v[53:54]
	s_waitcnt lgkmcnt(0)
	v_mul_f64 v[65:66], v[11:12], v[3:4]
	v_mul_f64 v[93:94], v[9:10], v[3:4]
	;; [unrolled: 1-line block ×6, first 2 shown]
	v_fma_f64 v[47:48], v[47:48], v[55:56], -v[103:104]
	v_fma_f64 v[49:50], v[49:50], v[55:56], v[105:106]
	ds_load_b128 v[13:16], v30 offset:112
	ds_load_b128 v[17:20], v30 offset:2160
	;; [unrolled: 1-line block ×4, first 2 shown]
	s_waitcnt lgkmcnt(0)
	s_barrier
	buffer_gl0_inv
	v_add_f64 v[53:54], v[67:68], v[87:88]
	v_add_f64 v[55:56], v[69:70], v[89:90]
	v_add_f64 v[67:68], v[71:72], v[91:92]
	v_add_f64 v[69:70], v[73:74], v[107:108]
	v_add_f64 v[71:72], v[83:84], v[109:110]
	v_add_f64 v[61:62], v[61:62], v[111:112]
	v_add_f64 v[63:64], v[63:64], v[113:114]
	v_add_f64 v[41:42], v[41:42], v[115:116]
	v_mul_f64 v[73:74], v[15:16], v[23:24]
	v_mul_f64 v[83:84], v[13:14], v[23:24]
	;; [unrolled: 1-line block ×8, first 2 shown]
	v_fma_f64 v[65:66], v[9:10], v[1:2], -v[65:66]
	v_fma_f64 v[93:94], v[11:12], v[1:2], v[93:94]
	v_fma_f64 v[9:10], v[9:10], v[33:34], -v[95:96]
	v_fma_f64 v[11:12], v[11:12], v[33:34], v[97:98]
	;; [unrolled: 2-line block ×4, first 2 shown]
	v_add_f64 v[35:36], v[53:54], v[75:76]
	v_add_f64 v[37:38], v[55:56], v[77:78]
	;; [unrolled: 1-line block ×8, first 2 shown]
	v_fma_f64 v[49:50], v[13:14], v[21:22], -v[73:74]
	v_fma_f64 v[53:54], v[15:16], v[21:22], v[83:84]
	v_fma_f64 v[13:14], v[13:14], v[57:58], -v[85:86]
	v_fma_f64 v[15:16], v[15:16], v[57:58], v[87:88]
	;; [unrolled: 2-line block ×4, first 2 shown]
	v_add_f64 v[17:18], v[35:36], v[65:66]
	v_add_f64 v[19:20], v[37:38], v[93:94]
	;; [unrolled: 1-line block ×16, first 2 shown]
	s_cbranch_vccnz .LBB1382_9
.LBB1382_3:                             ; =>This Inner Loop Header: Depth=1
	v_add_co_u32 v1, s22, v28, s2
	s_delay_alu instid0(VALU_DEP_1) | instskip(NEXT) | instid1(VALU_DEP_1)
	v_add_co_ci_u32_e64 v2, null, 0, s3, s22
	v_cmp_le_i64_e32 vcc_lo, s[16:17], v[1:2]
	s_or_b32 s22, s1, vcc_lo
	s_delay_alu instid0(SALU_CYCLE_1) | instskip(NEXT) | instid1(SALU_CYCLE_1)
	s_and_saveexec_b32 s23, s22
	s_xor_b32 s22, exec_lo, s23
	s_cbranch_execz .LBB1382_5
; %bb.4:                                ;   in Loop: Header=BB1382_3 Depth=1
	v_mov_b32_e32 v1, v0
	v_mov_b32_e32 v2, v0
	;; [unrolled: 1-line block ×3, first 2 shown]
	ds_store_b128 v31, v[0:3]
.LBB1382_5:                             ;   in Loop: Header=BB1382_3 Depth=1
	s_and_not1_saveexec_b32 s22, s22
	s_cbranch_execz .LBB1382_7
; %bb.6:                                ;   in Loop: Header=BB1382_3 Depth=1
	global_load_b128 v[1:4], v[5:6], off
	s_waitcnt vmcnt(0)
	ds_store_2addr_b64 v31, v[1:2], v[3:4] offset1:1
.LBB1382_7:                             ;   in Loop: Header=BB1382_3 Depth=1
	s_or_b32 exec_lo, exec_lo, s22
	v_add_co_u32 v3, s22, v27, s2
	s_delay_alu instid0(VALU_DEP_1) | instskip(SKIP_2) | instid1(VALU_DEP_3)
	v_add_co_ci_u32_e64 v4, null, 0, s3, s22
	v_mov_b32_e32 v1, 0
	v_mov_b32_e32 v2, 0
	v_cmp_gt_i64_e32 vcc_lo, s[16:17], v[3:4]
	s_delay_alu instid0(VALU_DEP_2) | instskip(SKIP_1) | instid1(SALU_CYCLE_1)
	v_dual_mov_b32 v4, v2 :: v_dual_mov_b32 v3, v1
	s_and_b32 s23, vcc_lo, s0
	s_and_saveexec_b32 s22, s23
	s_cbranch_execz .LBB1382_2
; %bb.8:                                ;   in Loop: Header=BB1382_3 Depth=1
	global_load_b128 v[1:4], v[7:8], off offset:-8
	s_waitcnt vmcnt(0)
	v_xor_b32_e32 v4, 0x80000000, v4
	s_branch .LBB1382_2
.LBB1382_9:
	v_add_nc_u32_e32 v4, s14, v26
	s_mul_i32 s1, s15, s39
	s_mul_hi_u32 s2, s15, s38
	s_mul_i32 s0, s15, s38
	s_add_i32 s1, s2, s1
	v_ashrrev_i32_e32 v0, 31, v4
	v_mul_lo_u32 v3, v4, s37
	v_mad_u64_u32 v[1:2], null, v4, s36, 0
	s_lshl_b64 s[2:3], s[0:1], 4
	s_delay_alu instid0(VALU_DEP_3) | instskip(SKIP_3) | instid1(VALU_DEP_2)
	v_mul_lo_u32 v0, v0, s36
	s_add_u32 s2, s10, s2
	v_cmp_gt_i32_e32 vcc_lo, s33, v4
	s_addc_u32 s3, s11, s3
	v_add3_u32 v2, v2, v3, v0
	v_add_nc_u32_e32 v0, s34, v25
	s_delay_alu instid0(VALU_DEP_2) | instskip(NEXT) | instid1(VALU_DEP_2)
	v_lshlrev_b64 v[1:2], 4, v[1:2]
	v_cmp_le_i32_e64 s0, v0, v4
	s_delay_alu instid0(VALU_DEP_1) | instskip(NEXT) | instid1(VALU_DEP_2)
	s_and_b32 s0, vcc_lo, s0
	v_add_co_u32 v5, s1, s2, v1
	s_delay_alu instid0(VALU_DEP_1)
	v_add_co_ci_u32_e64 v6, s1, s3, v2, s1
	s_and_saveexec_b32 s1, s0
	s_cbranch_execz .LBB1382_11
; %bb.10:
	v_ashrrev_i32_e32 v1, 31, v0
	v_mul_f64 v[7:8], s[18:19], v[23:24]
	v_mul_f64 v[23:24], s[20:21], v[23:24]
	s_delay_alu instid0(VALU_DEP_3) | instskip(NEXT) | instid1(VALU_DEP_1)
	v_lshlrev_b64 v[1:2], 4, v[0:1]
	v_add_co_u32 v1, s0, v5, v1
	s_delay_alu instid0(VALU_DEP_1)
	v_add_co_ci_u32_e64 v2, s0, v6, v2, s0
	v_cmp_ne_u32_e64 s0, v4, v0
	global_load_b128 v[25:28], v[1:2], off
	v_fma_f64 v[7:8], s[20:21], v[21:22], v[7:8]
	v_fma_f64 v[21:22], s[18:19], v[21:22], -v[23:24]
	s_waitcnt vmcnt(0)
	v_mul_f64 v[29:30], s[6:7], v[27:28]
	v_mul_f64 v[27:28], s[8:9], v[27:28]
	s_delay_alu instid0(VALU_DEP_2) | instskip(NEXT) | instid1(VALU_DEP_2)
	v_fma_f64 v[29:30], s[8:9], v[25:26], v[29:30]
	v_fma_f64 v[23:24], s[6:7], v[25:26], -v[27:28]
	s_delay_alu instid0(VALU_DEP_2) | instskip(NEXT) | instid1(VALU_DEP_2)
	v_add_f64 v[7:8], v[7:8], v[29:30]
	v_add_f64 v[21:22], v[21:22], v[23:24]
	s_delay_alu instid0(VALU_DEP_2) | instskip(NEXT) | instid1(VALU_DEP_3)
	v_cndmask_b32_e64 v24, 0, v8, s0
	v_cndmask_b32_e64 v23, 0, v7, s0
	global_store_b128 v[1:2], v[21:24], off
.LBB1382_11:
	s_or_b32 exec_lo, exec_lo, s1
	v_add_nc_u32_e32 v2, 16, v0
	s_delay_alu instid0(VALU_DEP_1) | instskip(NEXT) | instid1(VALU_DEP_1)
	v_cmp_le_i32_e64 s0, v2, v4
	s_and_b32 s1, vcc_lo, s0
	s_delay_alu instid0(SALU_CYCLE_1)
	s_and_saveexec_b32 s0, s1
	s_cbranch_execz .LBB1382_13
; %bb.12:
	v_ashrrev_i32_e32 v3, 31, v2
	v_mul_f64 v[23:24], s[18:19], v[19:20]
	v_mul_f64 v[19:20], s[20:21], v[19:20]
	s_delay_alu instid0(VALU_DEP_3) | instskip(NEXT) | instid1(VALU_DEP_1)
	v_lshlrev_b64 v[7:8], 4, v[2:3]
	v_add_co_u32 v21, vcc_lo, v5, v7
	s_delay_alu instid0(VALU_DEP_2)
	v_add_co_ci_u32_e32 v22, vcc_lo, v6, v8, vcc_lo
	v_cmp_ne_u32_e32 vcc_lo, v4, v2
	global_load_b128 v[5:8], v[21:22], off
	v_fma_f64 v[23:24], s[20:21], v[17:18], v[23:24]
	v_fma_f64 v[17:18], s[18:19], v[17:18], -v[19:20]
	s_waitcnt vmcnt(0)
	v_mul_f64 v[25:26], s[6:7], v[7:8]
	v_mul_f64 v[7:8], s[8:9], v[7:8]
	s_delay_alu instid0(VALU_DEP_2) | instskip(NEXT) | instid1(VALU_DEP_2)
	v_fma_f64 v[25:26], s[8:9], v[5:6], v[25:26]
	v_fma_f64 v[5:6], s[6:7], v[5:6], -v[7:8]
	s_delay_alu instid0(VALU_DEP_2) | instskip(NEXT) | instid1(VALU_DEP_2)
	v_add_f64 v[7:8], v[23:24], v[25:26]
	v_add_f64 v[5:6], v[17:18], v[5:6]
	s_delay_alu instid0(VALU_DEP_2)
	v_dual_cndmask_b32 v8, 0, v8 :: v_dual_cndmask_b32 v7, 0, v7
	global_store_b128 v[21:22], v[5:8], off
.LBB1382_13:
	s_or_b32 exec_lo, exec_lo, s0
	v_add_nc_u32_e32 v3, 16, v4
	s_delay_alu instid0(VALU_DEP_1) | instskip(SKIP_3) | instid1(VALU_DEP_4)
	v_ashrrev_i32_e32 v1, 31, v3
	v_mul_lo_u32 v7, v3, s37
	v_mad_u64_u32 v[5:6], null, v3, s36, 0
	v_cmp_gt_i32_e32 vcc_lo, s33, v3
	v_mul_lo_u32 v1, v1, s36
	v_cmp_le_i32_e64 s0, v0, v3
	s_delay_alu instid0(VALU_DEP_1) | instskip(NEXT) | instid1(VALU_DEP_2)
	s_and_b32 s0, vcc_lo, s0
	v_add3_u32 v6, v6, v7, v1
	s_delay_alu instid0(VALU_DEP_1) | instskip(NEXT) | instid1(VALU_DEP_1)
	v_lshlrev_b64 v[5:6], 4, v[5:6]
	v_add_co_u32 v5, s1, s2, v5
	s_delay_alu instid0(VALU_DEP_1)
	v_add_co_ci_u32_e64 v6, s1, s3, v6, s1
	s_and_saveexec_b32 s1, s0
	s_cbranch_execz .LBB1382_15
; %bb.14:
	v_ashrrev_i32_e32 v1, 31, v0
	v_mul_f64 v[21:22], s[18:19], v[15:16]
	v_mul_f64 v[15:16], s[20:21], v[15:16]
	s_delay_alu instid0(VALU_DEP_3) | instskip(NEXT) | instid1(VALU_DEP_1)
	v_lshlrev_b64 v[7:8], 4, v[0:1]
	v_add_co_u32 v7, s0, v5, v7
	s_delay_alu instid0(VALU_DEP_1)
	v_add_co_ci_u32_e64 v8, s0, v6, v8, s0
	v_cmp_ne_u32_e64 s0, v3, v0
	global_load_b128 v[17:20], v[7:8], off
	v_fma_f64 v[21:22], s[20:21], v[13:14], v[21:22]
	v_fma_f64 v[13:14], s[18:19], v[13:14], -v[15:16]
	s_waitcnt vmcnt(0)
	v_mul_f64 v[23:24], s[6:7], v[19:20]
	v_mul_f64 v[19:20], s[8:9], v[19:20]
	s_delay_alu instid0(VALU_DEP_2) | instskip(NEXT) | instid1(VALU_DEP_2)
	v_fma_f64 v[23:24], s[8:9], v[17:18], v[23:24]
	v_fma_f64 v[15:16], s[6:7], v[17:18], -v[19:20]
	s_delay_alu instid0(VALU_DEP_2) | instskip(NEXT) | instid1(VALU_DEP_2)
	v_add_f64 v[17:18], v[21:22], v[23:24]
	v_add_f64 v[13:14], v[13:14], v[15:16]
	s_delay_alu instid0(VALU_DEP_2) | instskip(NEXT) | instid1(VALU_DEP_3)
	v_cndmask_b32_e64 v16, 0, v18, s0
	v_cndmask_b32_e64 v15, 0, v17, s0
	global_store_b128 v[7:8], v[13:16], off
.LBB1382_15:
	s_or_b32 exec_lo, exec_lo, s1
	v_cmp_le_i32_e64 s0, v2, v3
	s_delay_alu instid0(VALU_DEP_1) | instskip(NEXT) | instid1(SALU_CYCLE_1)
	s_and_b32 s0, vcc_lo, s0
	s_and_saveexec_b32 s1, s0
	s_cbranch_execz .LBB1382_17
; %bb.16:
	v_ashrrev_i32_e32 v3, 31, v2
	s_delay_alu instid0(VALU_DEP_1) | instskip(NEXT) | instid1(VALU_DEP_1)
	v_lshlrev_b64 v[1:2], 4, v[2:3]
	v_add_co_u32 v13, vcc_lo, v5, v1
	s_delay_alu instid0(VALU_DEP_2)
	v_add_co_ci_u32_e32 v14, vcc_lo, v6, v2, vcc_lo
	v_mul_f64 v[1:2], s[18:19], v[9:10]
	v_mul_f64 v[9:10], s[20:21], v[9:10]
	v_cmp_ne_u32_e32 vcc_lo, v4, v0
	global_load_b128 v[5:8], v[13:14], off
	v_fma_f64 v[1:2], s[20:21], v[11:12], v[1:2]
	v_fma_f64 v[9:10], s[18:19], v[11:12], -v[9:10]
	s_waitcnt vmcnt(0)
	v_mul_f64 v[15:16], s[6:7], v[7:8]
	v_mul_f64 v[7:8], s[8:9], v[7:8]
	s_delay_alu instid0(VALU_DEP_2) | instskip(NEXT) | instid1(VALU_DEP_2)
	v_fma_f64 v[15:16], s[8:9], v[5:6], v[15:16]
	v_fma_f64 v[5:6], s[6:7], v[5:6], -v[7:8]
	s_delay_alu instid0(VALU_DEP_2) | instskip(NEXT) | instid1(VALU_DEP_2)
	v_add_f64 v[7:8], v[1:2], v[15:16]
	v_add_f64 v[1:2], v[9:10], v[5:6]
	s_delay_alu instid0(VALU_DEP_2)
	v_dual_cndmask_b32 v4, 0, v8 :: v_dual_cndmask_b32 v3, 0, v7
	global_store_b128 v[13:14], v[1:4], off
.LBB1382_17:
	s_nop 0
	s_sendmsg sendmsg(MSG_DEALLOC_VGPRS)
	s_endpgm
	.section	.rodata,"a",@progbits
	.p2align	6, 0x0
	.amdhsa_kernel _ZL34rocblas_syrkx_herkx_general_kernelIl19rocblas_complex_numIdELi16ELi32ELi8ELb0ELb1ELc78ELc85EKS1_S1_EviT_T0_PT8_S3_lS6_S3_lS4_PT9_S3_li
		.amdhsa_group_segment_fixed_size 8192
		.amdhsa_private_segment_fixed_size 0
		.amdhsa_kernarg_size 124
		.amdhsa_user_sgpr_count 13
		.amdhsa_user_sgpr_dispatch_ptr 0
		.amdhsa_user_sgpr_queue_ptr 0
		.amdhsa_user_sgpr_kernarg_segment_ptr 1
		.amdhsa_user_sgpr_dispatch_id 0
		.amdhsa_user_sgpr_private_segment_size 0
		.amdhsa_wavefront_size32 1
		.amdhsa_uses_dynamic_stack 0
		.amdhsa_enable_private_segment 0
		.amdhsa_system_sgpr_workgroup_id_x 1
		.amdhsa_system_sgpr_workgroup_id_y 1
		.amdhsa_system_sgpr_workgroup_id_z 1
		.amdhsa_system_sgpr_workgroup_info 0
		.amdhsa_system_vgpr_workitem_id 1
		.amdhsa_next_free_vgpr 119
		.amdhsa_next_free_sgpr 40
		.amdhsa_reserve_vcc 1
		.amdhsa_float_round_mode_32 0
		.amdhsa_float_round_mode_16_64 0
		.amdhsa_float_denorm_mode_32 3
		.amdhsa_float_denorm_mode_16_64 3
		.amdhsa_dx10_clamp 1
		.amdhsa_ieee_mode 1
		.amdhsa_fp16_overflow 0
		.amdhsa_workgroup_processor_mode 1
		.amdhsa_memory_ordered 1
		.amdhsa_forward_progress 0
		.amdhsa_shared_vgpr_count 0
		.amdhsa_exception_fp_ieee_invalid_op 0
		.amdhsa_exception_fp_denorm_src 0
		.amdhsa_exception_fp_ieee_div_zero 0
		.amdhsa_exception_fp_ieee_overflow 0
		.amdhsa_exception_fp_ieee_underflow 0
		.amdhsa_exception_fp_ieee_inexact 0
		.amdhsa_exception_int_div_zero 0
	.end_amdhsa_kernel
	.section	.text._ZL34rocblas_syrkx_herkx_general_kernelIl19rocblas_complex_numIdELi16ELi32ELi8ELb0ELb1ELc78ELc85EKS1_S1_EviT_T0_PT8_S3_lS6_S3_lS4_PT9_S3_li,"axG",@progbits,_ZL34rocblas_syrkx_herkx_general_kernelIl19rocblas_complex_numIdELi16ELi32ELi8ELb0ELb1ELc78ELc85EKS1_S1_EviT_T0_PT8_S3_lS6_S3_lS4_PT9_S3_li,comdat
.Lfunc_end1382:
	.size	_ZL34rocblas_syrkx_herkx_general_kernelIl19rocblas_complex_numIdELi16ELi32ELi8ELb0ELb1ELc78ELc85EKS1_S1_EviT_T0_PT8_S3_lS6_S3_lS4_PT9_S3_li, .Lfunc_end1382-_ZL34rocblas_syrkx_herkx_general_kernelIl19rocblas_complex_numIdELi16ELi32ELi8ELb0ELb1ELc78ELc85EKS1_S1_EviT_T0_PT8_S3_lS6_S3_lS4_PT9_S3_li
                                        ; -- End function
	.section	.AMDGPU.csdata,"",@progbits
; Kernel info:
; codeLenInByte = 3696
; NumSgprs: 42
; NumVgprs: 119
; ScratchSize: 0
; MemoryBound: 1
; FloatMode: 240
; IeeeMode: 1
; LDSByteSize: 8192 bytes/workgroup (compile time only)
; SGPRBlocks: 5
; VGPRBlocks: 14
; NumSGPRsForWavesPerEU: 42
; NumVGPRsForWavesPerEU: 119
; Occupancy: 12
; WaveLimiterHint : 0
; COMPUTE_PGM_RSRC2:SCRATCH_EN: 0
; COMPUTE_PGM_RSRC2:USER_SGPR: 13
; COMPUTE_PGM_RSRC2:TRAP_HANDLER: 0
; COMPUTE_PGM_RSRC2:TGID_X_EN: 1
; COMPUTE_PGM_RSRC2:TGID_Y_EN: 1
; COMPUTE_PGM_RSRC2:TGID_Z_EN: 1
; COMPUTE_PGM_RSRC2:TIDIG_COMP_CNT: 1
	.section	.text._ZL26rocblas_syr2k_scale_kernelIlLi128ELi8ELb1E19rocblas_complex_numIdES1_PS1_EvbiT_T3_T4_T5_S3_li,"axG",@progbits,_ZL26rocblas_syr2k_scale_kernelIlLi128ELi8ELb1E19rocblas_complex_numIdES1_PS1_EvbiT_T3_T4_T5_S3_li,comdat
	.globl	_ZL26rocblas_syr2k_scale_kernelIlLi128ELi8ELb1E19rocblas_complex_numIdES1_PS1_EvbiT_T3_T4_T5_S3_li ; -- Begin function _ZL26rocblas_syr2k_scale_kernelIlLi128ELi8ELb1E19rocblas_complex_numIdES1_PS1_EvbiT_T3_T4_T5_S3_li
	.p2align	8
	.type	_ZL26rocblas_syr2k_scale_kernelIlLi128ELi8ELb1E19rocblas_complex_numIdES1_PS1_EvbiT_T3_T4_T5_S3_li,@function
_ZL26rocblas_syr2k_scale_kernelIlLi128ELi8ELb1E19rocblas_complex_numIdES1_PS1_EvbiT_T3_T4_T5_S3_li: ; @_ZL26rocblas_syr2k_scale_kernelIlLi128ELi8ELb1E19rocblas_complex_numIdES1_PS1_EvbiT_T3_T4_T5_S3_li
; %bb.0:
	s_load_b512 s[16:31], s[0:1], 0x8
	s_waitcnt lgkmcnt(0)
	v_cmp_eq_f64_e64 s2, s[22:23], 1.0
	v_cmp_eq_f64_e64 s3, s[24:25], 0
	s_delay_alu instid0(VALU_DEP_1) | instskip(NEXT) | instid1(SALU_CYCLE_1)
	s_and_b32 s2, s2, s3
	s_and_not1_b32 vcc_lo, exec_lo, s2
	s_mov_b32 s2, -1
	s_cbranch_vccnz .LBB1383_3
; %bb.1:
	s_cmp_lg_u64 s[16:17], 0
	s_cbranch_scc0 .LBB1383_8
; %bb.2:
	v_cmp_neq_f64_e64 s2, s[18:19], 0
	v_cmp_neq_f64_e64 s3, s[20:21], 0
	s_delay_alu instid0(VALU_DEP_1)
	s_or_b32 s2, s2, s3
.LBB1383_3:
	s_delay_alu instid0(SALU_CYCLE_1)
	s_and_b32 vcc_lo, exec_lo, s2
	s_cbranch_vccz .LBB1383_9
; %bb.4:
	s_clause 0x1
	s_load_b64 s[2:3], s[0:1], 0x0
	s_load_b32 s0, s[0:1], 0x5c
	s_waitcnt lgkmcnt(0)
	s_bitcmp1_b32 s2, 0
	s_cselect_b32 vcc_lo, -1, 0
	v_and_b32_e32 v1, 0x3ff, v0
	v_bfe_u32 v0, v0, 10, 10
	s_lshr_b32 s1, s0, 16
	s_and_b32 s0, s0, 0xffff
	s_delay_alu instid0(VALU_DEP_2) | instid1(SALU_CYCLE_1)
	v_mad_u64_u32 v[2:3], null, s13, s0, v[1:2]
	s_delay_alu instid0(VALU_DEP_2) | instskip(NEXT) | instid1(VALU_DEP_1)
	v_mad_u64_u32 v[4:5], null, s14, s1, v[0:1]
	v_cndmask_b32_e32 v0, v4, v2, vcc_lo
	v_max_u32_e32 v1, v2, v4
	v_cndmask_b32_e32 v3, v2, v4, vcc_lo
	s_delay_alu instid0(VALU_DEP_2) | instskip(NEXT) | instid1(VALU_DEP_2)
	v_cmp_gt_u32_e32 vcc_lo, s3, v1
	v_cmp_le_i32_e64 s0, v0, v3
	s_delay_alu instid0(VALU_DEP_1) | instskip(NEXT) | instid1(SALU_CYCLE_1)
	s_and_b32 s0, vcc_lo, s0
	s_and_saveexec_b32 s1, s0
	s_cbranch_execz .LBB1383_9
; %bb.5:
	v_cmp_neq_f64_e64 s2, s[22:23], 0
	v_cmp_neq_f64_e64 s3, s[24:25], 0
	v_mad_u64_u32 v[5:6], null, v4, s28, 0
	s_mul_i32 s1, s15, s31
	s_mul_hi_u32 s4, s15, s30
	s_mul_i32 s0, s15, s30
	s_add_i32 s1, s4, s1
	v_mov_b32_e32 v3, 0
	s_lshl_b64 s[0:1], s[0:1], 4
	s_delay_alu instid0(VALU_DEP_2) | instskip(SKIP_2) | instid1(VALU_DEP_1)
	v_mov_b32_e32 v0, v6
	s_add_u32 s0, s26, s0
	s_addc_u32 s1, s27, s1
	v_mad_u64_u32 v[6:7], null, v4, s29, v[0:1]
	v_lshlrev_b64 v[7:8], 4, v[2:3]
	v_mov_b32_e32 v0, 0
	v_mov_b32_e32 v1, 0
	s_delay_alu instid0(VALU_DEP_4) | instskip(NEXT) | instid1(VALU_DEP_1)
	v_lshlrev_b64 v[5:6], 4, v[5:6]
	v_add_co_u32 v3, vcc_lo, s0, v5
	s_delay_alu instid0(VALU_DEP_2) | instskip(NEXT) | instid1(VALU_DEP_2)
	v_add_co_ci_u32_e32 v6, vcc_lo, s1, v6, vcc_lo
	v_add_co_u32 v5, vcc_lo, v3, v7
	s_delay_alu instid0(VALU_DEP_2) | instskip(SKIP_2) | instid1(SALU_CYCLE_1)
	v_add_co_ci_u32_e32 v6, vcc_lo, v6, v8, vcc_lo
	v_dual_mov_b32 v8, v1 :: v_dual_mov_b32 v7, v0
	s_or_b32 s2, s2, s3
	s_and_not1_b32 vcc_lo, exec_lo, s2
	s_cbranch_vccnz .LBB1383_7
; %bb.6:
	global_load_b128 v[7:10], v[5:6], off
	s_waitcnt vmcnt(0)
	v_mul_f64 v[0:1], s[24:25], v[9:10]
	v_mul_f64 v[9:10], s[22:23], v[9:10]
	s_delay_alu instid0(VALU_DEP_2) | instskip(NEXT) | instid1(VALU_DEP_2)
	v_fma_f64 v[0:1], s[22:23], v[7:8], -v[0:1]
	v_fma_f64 v[7:8], s[24:25], v[7:8], v[9:10]
.LBB1383_7:
	v_cmp_ne_u32_e32 vcc_lo, v2, v4
	s_delay_alu instid0(VALU_DEP_2)
	v_dual_cndmask_b32 v3, 0, v8 :: v_dual_cndmask_b32 v2, 0, v7
	global_store_b128 v[5:6], v[0:3], off
	s_nop 0
	s_sendmsg sendmsg(MSG_DEALLOC_VGPRS)
	s_endpgm
.LBB1383_8:
.LBB1383_9:
	s_endpgm
	.section	.rodata,"a",@progbits
	.p2align	6, 0x0
	.amdhsa_kernel _ZL26rocblas_syr2k_scale_kernelIlLi128ELi8ELb1E19rocblas_complex_numIdES1_PS1_EvbiT_T3_T4_T5_S3_li
		.amdhsa_group_segment_fixed_size 0
		.amdhsa_private_segment_fixed_size 0
		.amdhsa_kernarg_size 336
		.amdhsa_user_sgpr_count 13
		.amdhsa_user_sgpr_dispatch_ptr 0
		.amdhsa_user_sgpr_queue_ptr 0
		.amdhsa_user_sgpr_kernarg_segment_ptr 1
		.amdhsa_user_sgpr_dispatch_id 0
		.amdhsa_user_sgpr_private_segment_size 0
		.amdhsa_wavefront_size32 1
		.amdhsa_uses_dynamic_stack 0
		.amdhsa_enable_private_segment 0
		.amdhsa_system_sgpr_workgroup_id_x 1
		.amdhsa_system_sgpr_workgroup_id_y 1
		.amdhsa_system_sgpr_workgroup_id_z 1
		.amdhsa_system_sgpr_workgroup_info 0
		.amdhsa_system_vgpr_workitem_id 1
		.amdhsa_next_free_vgpr 11
		.amdhsa_next_free_sgpr 32
		.amdhsa_reserve_vcc 1
		.amdhsa_float_round_mode_32 0
		.amdhsa_float_round_mode_16_64 0
		.amdhsa_float_denorm_mode_32 3
		.amdhsa_float_denorm_mode_16_64 3
		.amdhsa_dx10_clamp 1
		.amdhsa_ieee_mode 1
		.amdhsa_fp16_overflow 0
		.amdhsa_workgroup_processor_mode 1
		.amdhsa_memory_ordered 1
		.amdhsa_forward_progress 0
		.amdhsa_shared_vgpr_count 0
		.amdhsa_exception_fp_ieee_invalid_op 0
		.amdhsa_exception_fp_denorm_src 0
		.amdhsa_exception_fp_ieee_div_zero 0
		.amdhsa_exception_fp_ieee_overflow 0
		.amdhsa_exception_fp_ieee_underflow 0
		.amdhsa_exception_fp_ieee_inexact 0
		.amdhsa_exception_int_div_zero 0
	.end_amdhsa_kernel
	.section	.text._ZL26rocblas_syr2k_scale_kernelIlLi128ELi8ELb1E19rocblas_complex_numIdES1_PS1_EvbiT_T3_T4_T5_S3_li,"axG",@progbits,_ZL26rocblas_syr2k_scale_kernelIlLi128ELi8ELb1E19rocblas_complex_numIdES1_PS1_EvbiT_T3_T4_T5_S3_li,comdat
.Lfunc_end1383:
	.size	_ZL26rocblas_syr2k_scale_kernelIlLi128ELi8ELb1E19rocblas_complex_numIdES1_PS1_EvbiT_T3_T4_T5_S3_li, .Lfunc_end1383-_ZL26rocblas_syr2k_scale_kernelIlLi128ELi8ELb1E19rocblas_complex_numIdES1_PS1_EvbiT_T3_T4_T5_S3_li
                                        ; -- End function
	.section	.AMDGPU.csdata,"",@progbits
; Kernel info:
; codeLenInByte = 460
; NumSgprs: 34
; NumVgprs: 11
; ScratchSize: 0
; MemoryBound: 0
; FloatMode: 240
; IeeeMode: 1
; LDSByteSize: 0 bytes/workgroup (compile time only)
; SGPRBlocks: 4
; VGPRBlocks: 1
; NumSGPRsForWavesPerEU: 34
; NumVGPRsForWavesPerEU: 11
; Occupancy: 16
; WaveLimiterHint : 0
; COMPUTE_PGM_RSRC2:SCRATCH_EN: 0
; COMPUTE_PGM_RSRC2:USER_SGPR: 13
; COMPUTE_PGM_RSRC2:TRAP_HANDLER: 0
; COMPUTE_PGM_RSRC2:TGID_X_EN: 1
; COMPUTE_PGM_RSRC2:TGID_Y_EN: 1
; COMPUTE_PGM_RSRC2:TGID_Z_EN: 1
; COMPUTE_PGM_RSRC2:TIDIG_COMP_CNT: 1
	.section	.text._ZL26rocblas_syr2k_her2k_kernelIlLb0ELb1ELb0ELi32EPK19rocblas_complex_numIdES3_PS1_EvbiT_T4_T5_S5_lS7_S5_lT6_S5_li,"axG",@progbits,_ZL26rocblas_syr2k_her2k_kernelIlLb0ELb1ELb0ELi32EPK19rocblas_complex_numIdES3_PS1_EvbiT_T4_T5_S5_lS7_S5_lT6_S5_li,comdat
	.globl	_ZL26rocblas_syr2k_her2k_kernelIlLb0ELb1ELb0ELi32EPK19rocblas_complex_numIdES3_PS1_EvbiT_T4_T5_S5_lS7_S5_lT6_S5_li ; -- Begin function _ZL26rocblas_syr2k_her2k_kernelIlLb0ELb1ELb0ELi32EPK19rocblas_complex_numIdES3_PS1_EvbiT_T4_T5_S5_lS7_S5_lT6_S5_li
	.p2align	8
	.type	_ZL26rocblas_syr2k_her2k_kernelIlLb0ELb1ELb0ELi32EPK19rocblas_complex_numIdES3_PS1_EvbiT_T4_T5_S5_lS7_S5_lT6_S5_li,@function
_ZL26rocblas_syr2k_her2k_kernelIlLb0ELb1ELb0ELi32EPK19rocblas_complex_numIdES3_PS1_EvbiT_T4_T5_S5_lS7_S5_lT6_S5_li: ; @_ZL26rocblas_syr2k_her2k_kernelIlLb0ELb1ELb0ELi32EPK19rocblas_complex_numIdES3_PS1_EvbiT_T4_T5_S5_lS7_S5_lT6_S5_li
; %bb.0:
	s_load_b512 s[16:31], s[0:1], 0x8
	s_waitcnt lgkmcnt(0)
	s_load_b128 s[4:7], s[18:19], 0x0
	s_waitcnt lgkmcnt(0)
	v_cmp_eq_f64_e64 s2, s[4:5], 0
	v_cmp_eq_f64_e64 s3, s[6:7], 0
	s_delay_alu instid0(VALU_DEP_1) | instskip(NEXT) | instid1(SALU_CYCLE_1)
	s_and_b32 s2, s2, s3
	s_and_b32 vcc_lo, exec_lo, s2
	s_cbranch_vccnz .LBB1384_13
; %bb.1:
	s_load_b64 s[2:3], s[0:1], 0x0
	s_lshl_b32 s12, s14, 5
	s_lshl_b32 s13, s13, 5
	s_waitcnt lgkmcnt(0)
	s_and_b32 s2, 1, s2
	s_delay_alu instid0(SALU_CYCLE_1) | instskip(SKIP_1) | instid1(SALU_CYCLE_1)
	s_cmp_eq_u32 s2, 1
	s_cselect_b32 s2, -1, 0
	s_and_b32 s8, s2, exec_lo
	s_cselect_b32 s8, s13, s12
	s_cselect_b32 s9, s12, s13
	s_delay_alu instid0(SALU_CYCLE_1)
	s_cmp_gt_i32 s8, s9
	s_cbranch_scc1 .LBB1384_13
; %bb.2:
	s_clause 0x1
	s_load_b64 s[18:19], s[0:1], 0x58
	s_load_b128 s[8:11], s[0:1], 0x48
	v_and_b32_e32 v18, 0x3ff, v0
	v_bfe_u32 v19, v0, 10, 10
	v_cmp_lt_i64_e64 s14, s[16:17], 1
	s_delay_alu instid0(VALU_DEP_3) | instskip(NEXT) | instid1(VALU_DEP_3)
	v_add_nc_u32_e32 v8, s13, v18
	v_add_nc_u32_e32 v12, s12, v19
	s_delay_alu instid0(VALU_DEP_2)
	v_ashrrev_i32_e32 v11, 31, v8
	s_waitcnt lgkmcnt(0)
	s_mul_i32 s1, s15, s19
	s_mul_hi_u32 s19, s15, s18
	s_mul_i32 s0, s15, s18
	s_add_i32 s1, s19, s1
	s_delay_alu instid0(SALU_CYCLE_1) | instskip(NEXT) | instid1(SALU_CYCLE_1)
	s_lshl_b64 s[0:1], s[0:1], 4
	s_add_u32 s18, s8, s0
	s_addc_u32 s19, s9, s1
	s_and_b32 vcc_lo, exec_lo, s14
	s_cbranch_vccnz .LBB1384_11
; %bb.3:
	v_ashrrev_i32_e32 v0, 31, v12
	v_cndmask_b32_e64 v4, v8, v12, s2
	v_cndmask_b32_e64 v5, v12, v8, s2
	v_max_i32_e32 v2, v8, v12
	v_mul_lo_u32 v7, v12, s11
	v_mul_lo_u32 v10, v0, s10
	v_mad_u64_u32 v[0:1], null, v12, s10, 0
	s_delay_alu instid0(VALU_DEP_4)
	v_cmp_gt_i32_e32 vcc_lo, s3, v2
	v_mad_u64_u32 v[2:3], null, s28, v18, 0
	v_cmp_le_i32_e64 s2, v5, v4
	v_mad_u64_u32 v[4:5], null, s22, v19, 0
	v_dual_mov_b32 v9, 0 :: v_dual_lshlrev_b32 v6, 4, v19
	v_lshlrev_b32_e32 v20, 9, v18
	v_add3_u32 v1, v1, v7, v10
	s_delay_alu instid0(VALU_DEP_3) | instskip(NEXT) | instid1(VALU_DEP_4)
	v_dual_mov_b32 v10, v8 :: v_dual_mov_b32 v13, v9
	v_or_b32_e32 v21, 0x4000, v6
	s_delay_alu instid0(VALU_DEP_4) | instskip(SKIP_2) | instid1(VALU_DEP_4)
	v_add_nc_u32_e32 v22, v20, v6
	v_mad_u64_u32 v[6:7], null, s29, v18, v[3:4]
	v_lshlrev_b64 v[0:1], 4, v[0:1]
	v_add_nc_u32_e32 v23, v21, v20
	s_and_b32 s2, s2, vcc_lo
	s_ashr_i32 s9, s3, 31
	s_mov_b32 s8, s3
	s_lshl_b64 s[12:13], s[22:23], 9
	v_add_co_u32 v14, vcc_lo, s18, v0
	v_mov_b32_e32 v3, v6
	v_mad_u64_u32 v[6:7], null, s23, v19, v[5:6]
	v_add_co_ci_u32_e32 v15, vcc_lo, s19, v1, vcc_lo
	v_lshlrev_b64 v[0:1], 4, v[10:11]
	v_cmp_gt_i64_e64 s0, s[8:9], v[8:9]
	v_cmp_gt_i64_e64 s1, s[8:9], v[12:13]
	s_mul_i32 s8, s31, s15
	s_mul_hi_u32 s9, s30, s15
	v_lshlrev_b64 v[2:3], 4, v[2:3]
	s_add_i32 s9, s9, s8
	s_mul_i32 s8, s30, s15
	v_add_co_u32 v14, vcc_lo, v14, v0
	v_mov_b32_e32 v5, v6
	s_lshl_b64 s[8:9], s[8:9], 4
	v_add_co_ci_u32_e32 v15, vcc_lo, v15, v1, vcc_lo
	v_add_co_u32 v6, vcc_lo, s8, v2
	v_add_co_ci_u32_e32 v7, vcc_lo, s9, v3, vcc_lo
	s_mul_i32 s8, s25, s15
	s_mul_hi_u32 s9, s24, s15
	v_lshlrev_b64 v[0:1], 4, v[4:5]
	s_add_i32 s9, s9, s8
	s_mul_i32 s8, s24, s15
	v_lshlrev_b64 v[2:3], 4, v[12:13]
	s_lshl_b64 s[8:9], s[8:9], 4
	s_mov_b64 s[14:15], 0
	v_add_co_u32 v4, vcc_lo, s8, v0
	v_add_co_ci_u32_e32 v5, vcc_lo, s9, v1, vcc_lo
	v_lshlrev_b64 v[0:1], 4, v[8:9]
	v_add_co_u32 v2, vcc_lo, v6, v2
	v_add_co_ci_u32_e32 v3, vcc_lo, v7, v3, vcc_lo
	s_lshl_b64 s[8:9], s[28:29], 9
	s_delay_alu instid0(VALU_DEP_3) | instskip(NEXT) | instid1(VALU_DEP_4)
	v_add_co_u32 v0, vcc_lo, v4, v0
	v_add_co_ci_u32_e32 v1, vcc_lo, v5, v1, vcc_lo
	v_add_co_u32 v2, vcc_lo, v2, s26
	v_add_co_ci_u32_e32 v3, vcc_lo, s27, v3, vcc_lo
	s_delay_alu instid0(VALU_DEP_4) | instskip(NEXT) | instid1(VALU_DEP_4)
	v_add_co_u32 v0, vcc_lo, v0, s20
	v_add_co_ci_u32_e32 v1, vcc_lo, s21, v1, vcc_lo
	s_delay_alu instid0(VALU_DEP_4) | instskip(NEXT) | instid1(VALU_DEP_4)
	;; [unrolled: 3-line block ×3, first 2 shown]
	v_add_co_u32 v16, vcc_lo, v0, 8
	v_add_co_ci_u32_e32 v17, vcc_lo, 0, v1, vcc_lo
	s_branch .LBB1384_5
.LBB1384_4:                             ;   in Loop: Header=BB1384_5 Depth=1
	s_or_b32 exec_lo, exec_lo, s20
	s_add_u32 s14, s14, 32
	s_addc_u32 s15, s15, 0
	v_add_co_u32 v9, vcc_lo, v9, s8
	v_cmp_ge_i64_e64 s20, s[14:15], s[16:17]
	v_add_co_ci_u32_e32 v10, vcc_lo, s9, v10, vcc_lo
	v_add_co_u32 v16, vcc_lo, v16, s12
	v_add_co_ci_u32_e32 v17, vcc_lo, s13, v17, vcc_lo
	s_delay_alu instid0(VALU_DEP_4)
	s_and_b32 vcc_lo, exec_lo, s20
	s_waitcnt_vscnt null, 0x0
	s_barrier
	buffer_gl0_inv
	s_cbranch_vccnz .LBB1384_11
.LBB1384_5:                             ; =>This Inner Loop Header: Depth=1
	v_add_co_u32 v2, s20, v19, s14
	s_delay_alu instid0(VALU_DEP_1) | instskip(SKIP_2) | instid1(VALU_DEP_3)
	v_add_co_ci_u32_e64 v3, null, 0, s15, s20
	v_mov_b32_e32 v0, 0
	v_mov_b32_e32 v1, 0
	v_cmp_gt_i64_e32 vcc_lo, s[16:17], v[2:3]
	s_delay_alu instid0(VALU_DEP_2) | instskip(SKIP_2) | instid1(SALU_CYCLE_1)
	v_dual_mov_b32 v5, v1 :: v_dual_mov_b32 v4, v0
	v_dual_mov_b32 v7, v1 :: v_dual_mov_b32 v6, v0
	s_and_b32 s21, s0, vcc_lo
	s_and_saveexec_b32 s20, s21
	s_cbranch_execz .LBB1384_7
; %bb.6:                                ;   in Loop: Header=BB1384_5 Depth=1
	global_load_b128 v[4:7], v[16:17], off offset:-8
.LBB1384_7:                             ;   in Loop: Header=BB1384_5 Depth=1
	s_or_b32 exec_lo, exec_lo, s20
	v_add_co_u32 v2, s20, v18, s14
	s_delay_alu instid0(VALU_DEP_1)
	v_add_co_ci_u32_e64 v3, null, 0, s15, s20
	s_waitcnt vmcnt(0)
	ds_store_b128 v22, v[4:7]
	v_cmp_gt_i64_e32 vcc_lo, s[16:17], v[2:3]
	v_dual_mov_b32 v3, v1 :: v_dual_mov_b32 v2, v0
	s_and_b32 s21, s1, vcc_lo
	s_delay_alu instid0(SALU_CYCLE_1)
	s_and_saveexec_b32 s20, s21
	s_cbranch_execz .LBB1384_9
; %bb.8:                                ;   in Loop: Header=BB1384_5 Depth=1
	global_load_b128 v[0:3], v[9:10], off offset:-8
	s_waitcnt vmcnt(0)
	v_xor_b32_e32 v3, 0x80000000, v3
.LBB1384_9:                             ;   in Loop: Header=BB1384_5 Depth=1
	s_or_b32 exec_lo, exec_lo, s20
	ds_store_b128 v23, v[0:3]
	s_waitcnt lgkmcnt(0)
	s_barrier
	buffer_gl0_inv
	s_and_saveexec_b32 s20, s2
	s_cbranch_execz .LBB1384_4
; %bb.10:                               ;   in Loop: Header=BB1384_5 Depth=1
	ds_load_b128 v[0:3], v21
	ds_load_b128 v[4:7], v20
	ds_load_b128 v[24:27], v20 offset:16
	ds_load_b128 v[28:31], v21 offset:512
	s_waitcnt lgkmcnt(2)
	v_mul_f64 v[32:33], v[0:1], v[6:7]
	v_mul_f64 v[6:7], v[2:3], v[6:7]
	s_waitcnt lgkmcnt(0)
	v_mul_f64 v[48:49], v[28:29], v[26:27]
	v_mul_f64 v[26:27], v[30:31], v[26:27]
	s_delay_alu instid0(VALU_DEP_4)
	v_fma_f64 v[2:3], v[2:3], v[4:5], v[32:33]
	ds_load_b128 v[32:35], v21 offset:1024
	ds_load_b128 v[36:39], v20 offset:32
	;; [unrolled: 1-line block ×4, first 2 shown]
	v_fma_f64 v[0:1], v[0:1], v[4:5], -v[6:7]
	v_fma_f64 v[4:5], v[30:31], v[24:25], v[48:49]
	v_fma_f64 v[52:53], v[28:29], v[24:25], -v[26:27]
	s_waitcnt lgkmcnt(2)
	v_mul_f64 v[50:51], v[32:33], v[38:39]
	v_mul_f64 v[38:39], v[34:35], v[38:39]
	s_waitcnt lgkmcnt(0)
	v_mul_f64 v[48:49], v[44:45], v[42:43]
	v_mul_f64 v[42:43], v[46:47], v[42:43]
	v_add_f64 v[2:3], v[2:3], 0
	v_fma_f64 v[34:35], v[34:35], v[36:37], v[50:51]
	v_add_f64 v[50:51], v[0:1], 0
	v_fma_f64 v[32:33], v[32:33], v[36:37], -v[38:39]
	v_fma_f64 v[36:37], v[46:47], v[40:41], v[48:49]
	v_add_f64 v[54:55], v[2:3], v[4:5]
	ds_load_b128 v[0:3], v20 offset:64
	ds_load_b128 v[4:7], v21 offset:2048
	ds_load_b128 v[24:27], v21 offset:2560
	ds_load_b128 v[28:31], v20 offset:80
	s_waitcnt lgkmcnt(2)
	v_mul_f64 v[56:57], v[4:5], v[2:3]
	v_add_f64 v[38:39], v[50:51], v[52:53]
	v_mul_f64 v[2:3], v[6:7], v[2:3]
	s_waitcnt lgkmcnt(0)
	v_mul_f64 v[48:49], v[24:25], v[30:31]
	v_fma_f64 v[50:51], v[44:45], v[40:41], -v[42:43]
	v_mul_f64 v[30:31], v[26:27], v[30:31]
	v_add_f64 v[34:35], v[54:55], v[34:35]
	v_fma_f64 v[6:7], v[6:7], v[0:1], v[56:57]
	v_add_f64 v[52:53], v[38:39], v[32:33]
	v_fma_f64 v[0:1], v[4:5], v[0:1], -v[2:3]
	v_fma_f64 v[2:3], v[26:27], v[28:29], v[48:49]
	v_add_f64 v[54:55], v[34:35], v[36:37]
	ds_load_b128 v[32:35], v20 offset:96
	ds_load_b128 v[36:39], v21 offset:3072
	ds_load_b128 v[40:43], v21 offset:3584
	ds_load_b128 v[44:47], v20 offset:112
	s_waitcnt lgkmcnt(2)
	v_mul_f64 v[56:57], v[36:37], v[34:35]
	v_add_f64 v[4:5], v[52:53], v[50:51]
	v_mul_f64 v[34:35], v[38:39], v[34:35]
	s_waitcnt lgkmcnt(0)
	v_mul_f64 v[48:49], v[40:41], v[46:47]
	v_fma_f64 v[50:51], v[24:25], v[28:29], -v[30:31]
	;; [unrolled: 18-line block ×11, first 2 shown]
	v_mul_f64 v[30:31], v[26:27], v[30:31]
	v_add_f64 v[38:39], v[54:55], v[38:39]
	v_fma_f64 v[6:7], v[6:7], v[0:1], v[56:57]
	v_add_f64 v[52:53], v[36:37], v[32:33]
	v_fma_f64 v[0:1], v[4:5], v[0:1], -v[2:3]
	v_fma_f64 v[2:3], v[26:27], v[28:29], v[48:49]
	v_add_f64 v[54:55], v[38:39], v[34:35]
	ds_load_b128 v[32:35], v20 offset:416
	ds_load_b128 v[36:39], v21 offset:13312
	;; [unrolled: 1-line block ×4, first 2 shown]
	s_waitcnt lgkmcnt(2)
	v_mul_f64 v[56:57], v[36:37], v[34:35]
	v_add_f64 v[4:5], v[52:53], v[50:51]
	v_mul_f64 v[34:35], v[38:39], v[34:35]
	s_waitcnt lgkmcnt(0)
	v_mul_f64 v[52:53], v[40:41], v[46:47]
	v_mul_f64 v[46:47], v[42:43], v[46:47]
	v_add_f64 v[6:7], v[54:55], v[6:7]
	v_fma_f64 v[54:55], v[24:25], v[28:29], -v[30:31]
	v_fma_f64 v[38:39], v[38:39], v[32:33], v[56:57]
	v_add_f64 v[56:57], v[4:5], v[0:1]
	v_fma_f64 v[32:33], v[36:37], v[32:33], -v[34:35]
	v_fma_f64 v[34:35], v[42:43], v[44:45], v[52:53]
	v_add_f64 v[58:59], v[6:7], v[2:3]
	ds_load_b128 v[0:3], v20 offset:448
	ds_load_b128 v[4:7], v21 offset:14336
	global_load_b128 v[24:27], v[14:15], off
	ds_load_b128 v[28:31], v21 offset:14848
	ds_load_b128 v[48:51], v20 offset:464
	v_add_f64 v[36:37], v[56:57], v[54:55]
	s_waitcnt lgkmcnt(2)
	v_mul_f64 v[60:61], v[4:5], v[2:3]
	v_mul_f64 v[2:3], v[6:7], v[2:3]
	s_waitcnt lgkmcnt(0)
	v_mul_f64 v[52:53], v[28:29], v[50:51]
	v_fma_f64 v[54:55], v[40:41], v[44:45], -v[46:47]
	v_mul_f64 v[50:51], v[30:31], v[50:51]
	v_add_f64 v[38:39], v[58:59], v[38:39]
	v_add_f64 v[56:57], v[36:37], v[32:33]
	v_fma_f64 v[6:7], v[6:7], v[0:1], v[60:61]
	v_fma_f64 v[0:1], v[4:5], v[0:1], -v[2:3]
	v_fma_f64 v[2:3], v[30:31], v[48:49], v[52:53]
	v_fma_f64 v[28:29], v[28:29], v[48:49], -v[50:51]
	v_add_f64 v[58:59], v[38:39], v[34:35]
	ds_load_b128 v[32:35], v20 offset:480
	ds_load_b128 v[36:39], v21 offset:15360
	;; [unrolled: 1-line block ×4, first 2 shown]
	s_waitcnt lgkmcnt(2)
	v_mul_f64 v[60:61], v[36:37], v[34:35]
	v_add_f64 v[4:5], v[56:57], v[54:55]
	v_mul_f64 v[30:31], v[38:39], v[34:35]
	s_waitcnt lgkmcnt(0)
	v_mul_f64 v[34:35], v[40:41], v[46:47]
	v_add_f64 v[6:7], v[58:59], v[6:7]
	v_fma_f64 v[38:39], v[38:39], v[32:33], v[60:61]
	v_add_f64 v[0:1], v[4:5], v[0:1]
	v_mul_f64 v[4:5], v[42:43], v[46:47]
	s_delay_alu instid0(VALU_DEP_4)
	v_add_f64 v[2:3], v[6:7], v[2:3]
	v_fma_f64 v[6:7], v[36:37], v[32:33], -v[30:31]
	v_fma_f64 v[30:31], v[42:43], v[44:45], v[34:35]
	v_add_f64 v[0:1], v[0:1], v[28:29]
	v_fma_f64 v[4:5], v[40:41], v[44:45], -v[4:5]
	v_add_f64 v[2:3], v[2:3], v[38:39]
	s_delay_alu instid0(VALU_DEP_3) | instskip(NEXT) | instid1(VALU_DEP_2)
	v_add_f64 v[0:1], v[0:1], v[6:7]
	v_add_f64 v[2:3], v[2:3], v[30:31]
	s_delay_alu instid0(VALU_DEP_2) | instskip(NEXT) | instid1(VALU_DEP_2)
	v_add_f64 v[0:1], v[0:1], v[4:5]
	v_mul_f64 v[4:5], s[6:7], v[2:3]
	v_mul_f64 v[2:3], s[4:5], v[2:3]
	s_delay_alu instid0(VALU_DEP_2) | instskip(NEXT) | instid1(VALU_DEP_2)
	v_fma_f64 v[4:5], s[4:5], v[0:1], -v[4:5]
	v_fma_f64 v[2:3], s[6:7], v[0:1], v[2:3]
	s_waitcnt vmcnt(0)
	s_delay_alu instid0(VALU_DEP_2) | instskip(NEXT) | instid1(VALU_DEP_2)
	v_add_f64 v[0:1], v[24:25], v[4:5]
	v_add_f64 v[2:3], v[26:27], v[2:3]
	global_store_b128 v[14:15], v[0:3], off
	s_branch .LBB1384_4
.LBB1384_11:
	v_cmp_eq_u32_e32 vcc_lo, v8, v12
	v_cmp_gt_i32_e64 s0, s3, v8
	s_delay_alu instid0(VALU_DEP_1) | instskip(NEXT) | instid1(SALU_CYCLE_1)
	s_and_b32 s0, vcc_lo, s0
	s_and_saveexec_b32 s1, s0
	s_cbranch_execz .LBB1384_13
; %bb.12:
	v_mul_lo_u32 v2, v8, s11
	v_mul_lo_u32 v3, v11, s10
	v_mad_u64_u32 v[0:1], null, v8, s10, 0
	v_mov_b32_e32 v9, v11
	s_delay_alu instid0(VALU_DEP_2) | instskip(NEXT) | instid1(VALU_DEP_1)
	v_add3_u32 v1, v1, v2, v3
	v_lshlrev_b64 v[0:1], 4, v[0:1]
	s_delay_alu instid0(VALU_DEP_1) | instskip(SKIP_2) | instid1(VALU_DEP_4)
	v_add_co_u32 v4, vcc_lo, s18, v0
	v_mov_b32_e32 v0, 0
	v_lshlrev_b64 v[2:3], 4, v[8:9]
	v_add_co_ci_u32_e32 v1, vcc_lo, s19, v1, vcc_lo
	s_delay_alu instid0(VALU_DEP_2) | instskip(NEXT) | instid1(VALU_DEP_2)
	v_add_co_u32 v2, vcc_lo, v4, v2
	v_add_co_ci_u32_e32 v3, vcc_lo, v1, v3, vcc_lo
	v_mov_b32_e32 v1, v0
	global_store_b64 v[2:3], v[0:1], off offset:8
.LBB1384_13:
	s_nop 0
	s_sendmsg sendmsg(MSG_DEALLOC_VGPRS)
	s_endpgm
	.section	.rodata,"a",@progbits
	.p2align	6, 0x0
	.amdhsa_kernel _ZL26rocblas_syr2k_her2k_kernelIlLb0ELb1ELb0ELi32EPK19rocblas_complex_numIdES3_PS1_EvbiT_T4_T5_S5_lS7_S5_lT6_S5_li
		.amdhsa_group_segment_fixed_size 32768
		.amdhsa_private_segment_fixed_size 0
		.amdhsa_kernarg_size 100
		.amdhsa_user_sgpr_count 13
		.amdhsa_user_sgpr_dispatch_ptr 0
		.amdhsa_user_sgpr_queue_ptr 0
		.amdhsa_user_sgpr_kernarg_segment_ptr 1
		.amdhsa_user_sgpr_dispatch_id 0
		.amdhsa_user_sgpr_private_segment_size 0
		.amdhsa_wavefront_size32 1
		.amdhsa_uses_dynamic_stack 0
		.amdhsa_enable_private_segment 0
		.amdhsa_system_sgpr_workgroup_id_x 1
		.amdhsa_system_sgpr_workgroup_id_y 1
		.amdhsa_system_sgpr_workgroup_id_z 1
		.amdhsa_system_sgpr_workgroup_info 0
		.amdhsa_system_vgpr_workitem_id 1
		.amdhsa_next_free_vgpr 62
		.amdhsa_next_free_sgpr 32
		.amdhsa_reserve_vcc 1
		.amdhsa_float_round_mode_32 0
		.amdhsa_float_round_mode_16_64 0
		.amdhsa_float_denorm_mode_32 3
		.amdhsa_float_denorm_mode_16_64 3
		.amdhsa_dx10_clamp 1
		.amdhsa_ieee_mode 1
		.amdhsa_fp16_overflow 0
		.amdhsa_workgroup_processor_mode 1
		.amdhsa_memory_ordered 1
		.amdhsa_forward_progress 0
		.amdhsa_shared_vgpr_count 0
		.amdhsa_exception_fp_ieee_invalid_op 0
		.amdhsa_exception_fp_denorm_src 0
		.amdhsa_exception_fp_ieee_div_zero 0
		.amdhsa_exception_fp_ieee_overflow 0
		.amdhsa_exception_fp_ieee_underflow 0
		.amdhsa_exception_fp_ieee_inexact 0
		.amdhsa_exception_int_div_zero 0
	.end_amdhsa_kernel
	.section	.text._ZL26rocblas_syr2k_her2k_kernelIlLb0ELb1ELb0ELi32EPK19rocblas_complex_numIdES3_PS1_EvbiT_T4_T5_S5_lS7_S5_lT6_S5_li,"axG",@progbits,_ZL26rocblas_syr2k_her2k_kernelIlLb0ELb1ELb0ELi32EPK19rocblas_complex_numIdES3_PS1_EvbiT_T4_T5_S5_lS7_S5_lT6_S5_li,comdat
.Lfunc_end1384:
	.size	_ZL26rocblas_syr2k_her2k_kernelIlLb0ELb1ELb0ELi32EPK19rocblas_complex_numIdES3_PS1_EvbiT_T4_T5_S5_lS7_S5_lT6_S5_li, .Lfunc_end1384-_ZL26rocblas_syr2k_her2k_kernelIlLb0ELb1ELb0ELi32EPK19rocblas_complex_numIdES3_PS1_EvbiT_T4_T5_S5_lS7_S5_lT6_S5_li
                                        ; -- End function
	.section	.AMDGPU.csdata,"",@progbits
; Kernel info:
; codeLenInByte = 3328
; NumSgprs: 34
; NumVgprs: 62
; ScratchSize: 0
; MemoryBound: 1
; FloatMode: 240
; IeeeMode: 1
; LDSByteSize: 32768 bytes/workgroup (compile time only)
; SGPRBlocks: 4
; VGPRBlocks: 7
; NumSGPRsForWavesPerEU: 34
; NumVGPRsForWavesPerEU: 62
; Occupancy: 16
; WaveLimiterHint : 0
; COMPUTE_PGM_RSRC2:SCRATCH_EN: 0
; COMPUTE_PGM_RSRC2:USER_SGPR: 13
; COMPUTE_PGM_RSRC2:TRAP_HANDLER: 0
; COMPUTE_PGM_RSRC2:TGID_X_EN: 1
; COMPUTE_PGM_RSRC2:TGID_Y_EN: 1
; COMPUTE_PGM_RSRC2:TGID_Z_EN: 1
; COMPUTE_PGM_RSRC2:TIDIG_COMP_CNT: 1
	.section	.text._ZL26rocblas_syr2k_her2k_kernelIlLb0ELb1ELb1ELi32EPK19rocblas_complex_numIdES3_PS1_EvbiT_T4_T5_S5_lS7_S5_lT6_S5_li,"axG",@progbits,_ZL26rocblas_syr2k_her2k_kernelIlLb0ELb1ELb1ELi32EPK19rocblas_complex_numIdES3_PS1_EvbiT_T4_T5_S5_lS7_S5_lT6_S5_li,comdat
	.globl	_ZL26rocblas_syr2k_her2k_kernelIlLb0ELb1ELb1ELi32EPK19rocblas_complex_numIdES3_PS1_EvbiT_T4_T5_S5_lS7_S5_lT6_S5_li ; -- Begin function _ZL26rocblas_syr2k_her2k_kernelIlLb0ELb1ELb1ELi32EPK19rocblas_complex_numIdES3_PS1_EvbiT_T4_T5_S5_lS7_S5_lT6_S5_li
	.p2align	8
	.type	_ZL26rocblas_syr2k_her2k_kernelIlLb0ELb1ELb1ELi32EPK19rocblas_complex_numIdES3_PS1_EvbiT_T4_T5_S5_lS7_S5_lT6_S5_li,@function
_ZL26rocblas_syr2k_her2k_kernelIlLb0ELb1ELb1ELi32EPK19rocblas_complex_numIdES3_PS1_EvbiT_T4_T5_S5_lS7_S5_lT6_S5_li: ; @_ZL26rocblas_syr2k_her2k_kernelIlLb0ELb1ELb1ELi32EPK19rocblas_complex_numIdES3_PS1_EvbiT_T4_T5_S5_lS7_S5_lT6_S5_li
; %bb.0:
	s_load_b512 s[16:31], s[0:1], 0x8
	s_waitcnt lgkmcnt(0)
	s_load_b128 s[4:7], s[18:19], 0x0
	s_waitcnt lgkmcnt(0)
	v_cmp_eq_f64_e64 s2, s[4:5], 0
	v_cmp_eq_f64_e64 s3, s[6:7], 0
	s_delay_alu instid0(VALU_DEP_1) | instskip(NEXT) | instid1(SALU_CYCLE_1)
	s_and_b32 s2, s2, s3
	s_and_b32 vcc_lo, exec_lo, s2
	s_cbranch_vccnz .LBB1385_13
; %bb.1:
	s_load_b64 s[18:19], s[0:1], 0x0
	s_lshl_b32 s3, s14, 5
	s_lshl_b32 s12, s13, 5
	s_waitcnt lgkmcnt(0)
	s_and_b32 s2, 1, s18
	s_delay_alu instid0(SALU_CYCLE_1) | instskip(SKIP_1) | instid1(SALU_CYCLE_1)
	s_cmp_eq_u32 s2, 1
	s_cselect_b32 s2, -1, 0
	s_and_b32 s8, s2, exec_lo
	s_cselect_b32 s8, s12, s3
	s_cselect_b32 s9, s3, s12
	s_delay_alu instid0(SALU_CYCLE_1)
	s_cmp_gt_i32 s8, s9
	s_cbranch_scc1 .LBB1385_13
; %bb.2:
	s_clause 0x1
	s_load_b64 s[34:35], s[0:1], 0x58
	s_load_b128 s[8:11], s[0:1], 0x48
	v_and_b32_e32 v18, 0x3ff, v0
	v_bfe_u32 v19, v0, 10, 10
	v_cmp_lt_i64_e64 s13, s[16:17], 1
	s_delay_alu instid0(VALU_DEP_3) | instskip(NEXT) | instid1(VALU_DEP_3)
	v_add_nc_u32_e32 v8, s12, v18
	v_add_nc_u32_e32 v10, s3, v19
	s_delay_alu instid0(VALU_DEP_2)
	v_ashrrev_i32_e32 v17, 31, v8
	s_waitcnt lgkmcnt(0)
	s_mul_i32 s1, s15, s35
	s_mul_hi_u32 s14, s15, s34
	s_mul_i32 s0, s15, s34
	s_add_i32 s1, s14, s1
	s_delay_alu instid0(SALU_CYCLE_1) | instskip(NEXT) | instid1(SALU_CYCLE_1)
	s_lshl_b64 s[0:1], s[0:1], 4
	s_add_u32 s8, s8, s0
	s_addc_u32 s9, s9, s1
	s_and_b32 vcc_lo, exec_lo, s13
	s_cbranch_vccnz .LBB1385_11
; %bb.3:
	v_ashrrev_i32_e32 v0, 31, v10
	v_cndmask_b32_e64 v4, v8, v10, s2
	v_cndmask_b32_e64 v5, v10, v8, s2
	v_mul_lo_u32 v6, v10, s11
	v_mad_u64_u32 v[2:3], null, s28, v10, 0
	v_mul_lo_u32 v7, v0, s10
	v_mad_u64_u32 v[0:1], null, v10, s10, 0
	v_cmp_le_i32_e64 s2, v5, v4
	v_mad_u64_u32 v[4:5], null, s22, v8, 0
	v_dual_mov_b32 v9, 0 :: v_dual_lshlrev_b32 v20, 9, v18
	s_ashr_i32 s13, s19, 31
	s_delay_alu instid0(VALU_DEP_4)
	v_add3_u32 v1, v1, v6, v7
	s_mov_b32 s12, s19
	v_lshlrev_b32_e32 v13, 4, v19
	v_cmp_gt_i64_e64 s0, s[12:13], v[8:9]
	v_mov_b32_e32 v11, v9
	v_max_i32_e32 v9, v8, v10
	v_mad_u64_u32 v[6:7], null, s29, v10, v[3:4]
	v_add_nc_u32_e32 v22, v20, v13
	v_lshlrev_b64 v[0:1], 4, v[0:1]
	s_delay_alu instid0(VALU_DEP_4)
	v_cmp_gt_i32_e32 vcc_lo, s19, v9
	v_mov_b32_e32 v9, v17
	v_cmp_gt_i64_e64 s1, s[12:13], v[10:11]
	s_mul_hi_u32 s12, s30, s15
	v_mov_b32_e32 v3, v6
	v_add_co_u32 v11, s3, s8, v0
	v_mad_u64_u32 v[6:7], null, s23, v8, v[5:6]
	v_add_co_ci_u32_e64 v12, s3, s9, v1, s3
	v_lshlrev_b64 v[0:1], 4, v[8:9]
	s_mul_i32 s3, s31, s15
	v_lshlrev_b64 v[2:3], 4, v[2:3]
	s_add_i32 s13, s12, s3
	s_mul_i32 s12, s30, s15
	s_delay_alu instid0(VALU_DEP_4) | instskip(SKIP_4) | instid1(VALU_DEP_1)
	v_mov_b32_e32 v5, v6
	v_add_co_u32 v11, s3, v11, v0
	s_lshl_b64 s[12:13], s[12:13], 4
	v_add_co_ci_u32_e64 v12, s3, v12, v1, s3
	v_add_co_u32 v2, s3, s12, v2
	v_add_co_ci_u32_e64 v3, s3, s13, v3, s3
	s_mul_i32 s3, s25, s15
	s_mul_hi_u32 s12, s24, s15
	v_lshlrev_b64 v[0:1], 4, v[4:5]
	v_lshlrev_b32_e32 v4, 4, v18
	s_add_i32 s13, s12, s3
	s_mul_i32 s12, s24, s15
	v_or_b32_e32 v21, 0x4000, v13
	s_lshl_b64 s[12:13], s[12:13], 4
	s_delay_alu instid0(SALU_CYCLE_1) | instskip(NEXT) | instid1(VALU_DEP_1)
	v_add_co_u32 v0, s3, s12, v0
	v_add_co_ci_u32_e64 v1, s3, s13, v1, s3
	v_add_co_u32 v2, s3, v2, v4
	s_delay_alu instid0(VALU_DEP_1) | instskip(NEXT) | instid1(VALU_DEP_4)
	v_add_co_ci_u32_e64 v3, s3, 0, v3, s3
	v_add_co_u32 v0, s3, v0, v13
	s_delay_alu instid0(VALU_DEP_1) | instskip(NEXT) | instid1(VALU_DEP_4)
	;; [unrolled: 3-line block ×5, first 2 shown]
	v_add_co_ci_u32_e64 v14, s3, 0, v3, s3
	v_add_co_u32 v15, s3, v0, 8
	v_add_nc_u32_e32 v23, v21, v20
	v_add_co_ci_u32_e64 v16, s3, 0, v1, s3
	s_and_b32 s12, s2, vcc_lo
	s_mov_b64 s[2:3], 0
	s_branch .LBB1385_5
.LBB1385_4:                             ;   in Loop: Header=BB1385_5 Depth=1
	s_or_b32 exec_lo, exec_lo, s13
	s_add_u32 s2, s2, 32
	s_addc_u32 s3, s3, 0
	v_add_co_u32 v13, vcc_lo, 0x200, v13
	v_cmp_ge_i64_e64 s13, s[2:3], s[16:17]
	v_add_co_ci_u32_e32 v14, vcc_lo, 0, v14, vcc_lo
	v_add_co_u32 v15, vcc_lo, 0x200, v15
	v_add_co_ci_u32_e32 v16, vcc_lo, 0, v16, vcc_lo
	s_delay_alu instid0(VALU_DEP_4)
	s_and_b32 vcc_lo, exec_lo, s13
	s_waitcnt_vscnt null, 0x0
	s_barrier
	buffer_gl0_inv
	s_cbranch_vccnz .LBB1385_11
.LBB1385_5:                             ; =>This Inner Loop Header: Depth=1
	v_add_co_u32 v2, s13, v19, s2
	s_delay_alu instid0(VALU_DEP_1) | instskip(SKIP_2) | instid1(VALU_DEP_3)
	v_add_co_ci_u32_e64 v3, null, 0, s3, s13
	v_mov_b32_e32 v0, 0
	v_mov_b32_e32 v1, 0
	v_cmp_gt_i64_e32 vcc_lo, s[16:17], v[2:3]
	s_delay_alu instid0(VALU_DEP_2) | instskip(SKIP_2) | instid1(SALU_CYCLE_1)
	v_dual_mov_b32 v5, v1 :: v_dual_mov_b32 v4, v0
	v_dual_mov_b32 v7, v1 :: v_dual_mov_b32 v6, v0
	s_and_b32 s14, s0, vcc_lo
	s_and_saveexec_b32 s13, s14
	s_cbranch_execz .LBB1385_7
; %bb.6:                                ;   in Loop: Header=BB1385_5 Depth=1
	global_load_b128 v[4:7], v[15:16], off offset:-8
	s_waitcnt vmcnt(0)
	v_xor_b32_e32 v7, 0x80000000, v7
.LBB1385_7:                             ;   in Loop: Header=BB1385_5 Depth=1
	s_or_b32 exec_lo, exec_lo, s13
	v_add_co_u32 v2, s13, v18, s2
	s_delay_alu instid0(VALU_DEP_1) | instskip(SKIP_4) | instid1(SALU_CYCLE_1)
	v_add_co_ci_u32_e64 v3, null, 0, s3, s13
	ds_store_b128 v22, v[4:7]
	v_cmp_gt_i64_e32 vcc_lo, s[16:17], v[2:3]
	v_dual_mov_b32 v3, v1 :: v_dual_mov_b32 v2, v0
	s_and_b32 s14, s1, vcc_lo
	s_and_saveexec_b32 s13, s14
	s_cbranch_execz .LBB1385_9
; %bb.8:                                ;   in Loop: Header=BB1385_5 Depth=1
	global_load_b128 v[0:3], v[13:14], off offset:-8
.LBB1385_9:                             ;   in Loop: Header=BB1385_5 Depth=1
	s_or_b32 exec_lo, exec_lo, s13
	s_waitcnt vmcnt(0)
	ds_store_b128 v23, v[0:3]
	s_waitcnt lgkmcnt(0)
	s_barrier
	buffer_gl0_inv
	s_and_saveexec_b32 s13, s12
	s_cbranch_execz .LBB1385_4
; %bb.10:                               ;   in Loop: Header=BB1385_5 Depth=1
	ds_load_b128 v[0:3], v21
	ds_load_b128 v[4:7], v20
	ds_load_b128 v[24:27], v20 offset:16
	ds_load_b128 v[28:31], v21 offset:512
	s_waitcnt lgkmcnt(2)
	v_mul_f64 v[32:33], v[0:1], v[6:7]
	v_mul_f64 v[6:7], v[2:3], v[6:7]
	s_waitcnt lgkmcnt(0)
	v_mul_f64 v[48:49], v[28:29], v[26:27]
	v_mul_f64 v[26:27], v[30:31], v[26:27]
	s_delay_alu instid0(VALU_DEP_4)
	v_fma_f64 v[2:3], v[2:3], v[4:5], v[32:33]
	ds_load_b128 v[32:35], v21 offset:1024
	ds_load_b128 v[36:39], v20 offset:32
	;; [unrolled: 1-line block ×4, first 2 shown]
	v_fma_f64 v[0:1], v[0:1], v[4:5], -v[6:7]
	v_fma_f64 v[4:5], v[30:31], v[24:25], v[48:49]
	v_fma_f64 v[52:53], v[28:29], v[24:25], -v[26:27]
	s_waitcnt lgkmcnt(2)
	v_mul_f64 v[50:51], v[32:33], v[38:39]
	v_mul_f64 v[38:39], v[34:35], v[38:39]
	s_waitcnt lgkmcnt(0)
	v_mul_f64 v[48:49], v[44:45], v[42:43]
	v_mul_f64 v[42:43], v[46:47], v[42:43]
	v_add_f64 v[2:3], v[2:3], 0
	v_fma_f64 v[34:35], v[34:35], v[36:37], v[50:51]
	v_add_f64 v[50:51], v[0:1], 0
	v_fma_f64 v[32:33], v[32:33], v[36:37], -v[38:39]
	v_fma_f64 v[36:37], v[46:47], v[40:41], v[48:49]
	v_add_f64 v[54:55], v[2:3], v[4:5]
	ds_load_b128 v[0:3], v20 offset:64
	ds_load_b128 v[4:7], v21 offset:2048
	ds_load_b128 v[24:27], v21 offset:2560
	ds_load_b128 v[28:31], v20 offset:80
	s_waitcnt lgkmcnt(2)
	v_mul_f64 v[56:57], v[4:5], v[2:3]
	v_add_f64 v[38:39], v[50:51], v[52:53]
	v_mul_f64 v[2:3], v[6:7], v[2:3]
	s_waitcnt lgkmcnt(0)
	v_mul_f64 v[48:49], v[24:25], v[30:31]
	v_fma_f64 v[50:51], v[44:45], v[40:41], -v[42:43]
	v_mul_f64 v[30:31], v[26:27], v[30:31]
	v_add_f64 v[34:35], v[54:55], v[34:35]
	v_fma_f64 v[6:7], v[6:7], v[0:1], v[56:57]
	v_add_f64 v[52:53], v[38:39], v[32:33]
	v_fma_f64 v[0:1], v[4:5], v[0:1], -v[2:3]
	v_fma_f64 v[2:3], v[26:27], v[28:29], v[48:49]
	v_add_f64 v[54:55], v[34:35], v[36:37]
	ds_load_b128 v[32:35], v20 offset:96
	ds_load_b128 v[36:39], v21 offset:3072
	ds_load_b128 v[40:43], v21 offset:3584
	ds_load_b128 v[44:47], v20 offset:112
	s_waitcnt lgkmcnt(2)
	v_mul_f64 v[56:57], v[36:37], v[34:35]
	v_add_f64 v[4:5], v[52:53], v[50:51]
	v_mul_f64 v[34:35], v[38:39], v[34:35]
	s_waitcnt lgkmcnt(0)
	v_mul_f64 v[48:49], v[40:41], v[46:47]
	v_fma_f64 v[50:51], v[24:25], v[28:29], -v[30:31]
	;; [unrolled: 18-line block ×11, first 2 shown]
	v_mul_f64 v[30:31], v[26:27], v[30:31]
	v_add_f64 v[38:39], v[54:55], v[38:39]
	v_fma_f64 v[6:7], v[6:7], v[0:1], v[56:57]
	v_add_f64 v[52:53], v[36:37], v[32:33]
	v_fma_f64 v[0:1], v[4:5], v[0:1], -v[2:3]
	v_fma_f64 v[2:3], v[26:27], v[28:29], v[48:49]
	v_add_f64 v[54:55], v[38:39], v[34:35]
	ds_load_b128 v[32:35], v20 offset:416
	ds_load_b128 v[36:39], v21 offset:13312
	;; [unrolled: 1-line block ×4, first 2 shown]
	s_waitcnt lgkmcnt(2)
	v_mul_f64 v[56:57], v[36:37], v[34:35]
	v_add_f64 v[4:5], v[52:53], v[50:51]
	v_mul_f64 v[34:35], v[38:39], v[34:35]
	s_waitcnt lgkmcnt(0)
	v_mul_f64 v[52:53], v[40:41], v[46:47]
	v_mul_f64 v[46:47], v[42:43], v[46:47]
	v_add_f64 v[6:7], v[54:55], v[6:7]
	v_fma_f64 v[54:55], v[24:25], v[28:29], -v[30:31]
	v_fma_f64 v[38:39], v[38:39], v[32:33], v[56:57]
	v_add_f64 v[56:57], v[4:5], v[0:1]
	v_fma_f64 v[32:33], v[36:37], v[32:33], -v[34:35]
	v_fma_f64 v[34:35], v[42:43], v[44:45], v[52:53]
	v_add_f64 v[58:59], v[6:7], v[2:3]
	ds_load_b128 v[0:3], v20 offset:448
	ds_load_b128 v[4:7], v21 offset:14336
	global_load_b128 v[24:27], v[11:12], off
	ds_load_b128 v[28:31], v21 offset:14848
	ds_load_b128 v[48:51], v20 offset:464
	v_add_f64 v[36:37], v[56:57], v[54:55]
	s_waitcnt lgkmcnt(2)
	v_mul_f64 v[60:61], v[4:5], v[2:3]
	v_mul_f64 v[2:3], v[6:7], v[2:3]
	s_waitcnt lgkmcnt(0)
	v_mul_f64 v[52:53], v[28:29], v[50:51]
	v_fma_f64 v[54:55], v[40:41], v[44:45], -v[46:47]
	v_mul_f64 v[50:51], v[30:31], v[50:51]
	v_add_f64 v[38:39], v[58:59], v[38:39]
	v_add_f64 v[56:57], v[36:37], v[32:33]
	v_fma_f64 v[6:7], v[6:7], v[0:1], v[60:61]
	v_fma_f64 v[0:1], v[4:5], v[0:1], -v[2:3]
	v_fma_f64 v[2:3], v[30:31], v[48:49], v[52:53]
	v_fma_f64 v[28:29], v[28:29], v[48:49], -v[50:51]
	v_add_f64 v[58:59], v[38:39], v[34:35]
	ds_load_b128 v[32:35], v20 offset:480
	ds_load_b128 v[36:39], v21 offset:15360
	;; [unrolled: 1-line block ×4, first 2 shown]
	s_waitcnt lgkmcnt(2)
	v_mul_f64 v[60:61], v[36:37], v[34:35]
	v_add_f64 v[4:5], v[56:57], v[54:55]
	v_mul_f64 v[30:31], v[38:39], v[34:35]
	s_waitcnt lgkmcnt(0)
	v_mul_f64 v[34:35], v[40:41], v[46:47]
	v_add_f64 v[6:7], v[58:59], v[6:7]
	v_fma_f64 v[38:39], v[38:39], v[32:33], v[60:61]
	v_add_f64 v[0:1], v[4:5], v[0:1]
	v_mul_f64 v[4:5], v[42:43], v[46:47]
	s_delay_alu instid0(VALU_DEP_4)
	v_add_f64 v[2:3], v[6:7], v[2:3]
	v_fma_f64 v[6:7], v[36:37], v[32:33], -v[30:31]
	v_fma_f64 v[30:31], v[42:43], v[44:45], v[34:35]
	v_add_f64 v[0:1], v[0:1], v[28:29]
	v_fma_f64 v[4:5], v[40:41], v[44:45], -v[4:5]
	v_add_f64 v[2:3], v[2:3], v[38:39]
	s_delay_alu instid0(VALU_DEP_3) | instskip(NEXT) | instid1(VALU_DEP_2)
	v_add_f64 v[0:1], v[0:1], v[6:7]
	v_add_f64 v[2:3], v[2:3], v[30:31]
	s_delay_alu instid0(VALU_DEP_2) | instskip(NEXT) | instid1(VALU_DEP_2)
	v_add_f64 v[0:1], v[0:1], v[4:5]
	v_mul_f64 v[4:5], s[6:7], v[2:3]
	v_mul_f64 v[2:3], s[4:5], v[2:3]
	s_delay_alu instid0(VALU_DEP_2) | instskip(NEXT) | instid1(VALU_DEP_2)
	v_fma_f64 v[4:5], s[4:5], v[0:1], -v[4:5]
	v_fma_f64 v[2:3], s[6:7], v[0:1], v[2:3]
	s_waitcnt vmcnt(0)
	s_delay_alu instid0(VALU_DEP_2) | instskip(NEXT) | instid1(VALU_DEP_2)
	v_add_f64 v[0:1], v[24:25], v[4:5]
	v_add_f64 v[2:3], v[26:27], v[2:3]
	global_store_b128 v[11:12], v[0:3], off
	s_branch .LBB1385_4
.LBB1385_11:
	v_cmp_eq_u32_e32 vcc_lo, v8, v10
	v_cmp_gt_i32_e64 s0, s19, v8
	s_delay_alu instid0(VALU_DEP_1) | instskip(NEXT) | instid1(SALU_CYCLE_1)
	s_and_b32 s0, vcc_lo, s0
	s_and_saveexec_b32 s1, s0
	s_cbranch_execz .LBB1385_13
; %bb.12:
	v_mul_lo_u32 v2, v8, s11
	v_mul_lo_u32 v3, v17, s10
	v_mad_u64_u32 v[0:1], null, v8, s10, 0
	v_mov_b32_e32 v9, v17
	s_delay_alu instid0(VALU_DEP_2) | instskip(NEXT) | instid1(VALU_DEP_1)
	v_add3_u32 v1, v1, v2, v3
	v_lshlrev_b64 v[0:1], 4, v[0:1]
	s_delay_alu instid0(VALU_DEP_1) | instskip(SKIP_2) | instid1(VALU_DEP_4)
	v_add_co_u32 v4, vcc_lo, s8, v0
	v_mov_b32_e32 v0, 0
	v_lshlrev_b64 v[2:3], 4, v[8:9]
	v_add_co_ci_u32_e32 v1, vcc_lo, s9, v1, vcc_lo
	s_delay_alu instid0(VALU_DEP_2) | instskip(NEXT) | instid1(VALU_DEP_2)
	v_add_co_u32 v2, vcc_lo, v4, v2
	v_add_co_ci_u32_e32 v3, vcc_lo, v1, v3, vcc_lo
	v_mov_b32_e32 v1, v0
	global_store_b64 v[2:3], v[0:1], off offset:8
.LBB1385_13:
	s_nop 0
	s_sendmsg sendmsg(MSG_DEALLOC_VGPRS)
	s_endpgm
	.section	.rodata,"a",@progbits
	.p2align	6, 0x0
	.amdhsa_kernel _ZL26rocblas_syr2k_her2k_kernelIlLb0ELb1ELb1ELi32EPK19rocblas_complex_numIdES3_PS1_EvbiT_T4_T5_S5_lS7_S5_lT6_S5_li
		.amdhsa_group_segment_fixed_size 32768
		.amdhsa_private_segment_fixed_size 0
		.amdhsa_kernarg_size 100
		.amdhsa_user_sgpr_count 13
		.amdhsa_user_sgpr_dispatch_ptr 0
		.amdhsa_user_sgpr_queue_ptr 0
		.amdhsa_user_sgpr_kernarg_segment_ptr 1
		.amdhsa_user_sgpr_dispatch_id 0
		.amdhsa_user_sgpr_private_segment_size 0
		.amdhsa_wavefront_size32 1
		.amdhsa_uses_dynamic_stack 0
		.amdhsa_enable_private_segment 0
		.amdhsa_system_sgpr_workgroup_id_x 1
		.amdhsa_system_sgpr_workgroup_id_y 1
		.amdhsa_system_sgpr_workgroup_id_z 1
		.amdhsa_system_sgpr_workgroup_info 0
		.amdhsa_system_vgpr_workitem_id 1
		.amdhsa_next_free_vgpr 62
		.amdhsa_next_free_sgpr 36
		.amdhsa_reserve_vcc 1
		.amdhsa_float_round_mode_32 0
		.amdhsa_float_round_mode_16_64 0
		.amdhsa_float_denorm_mode_32 3
		.amdhsa_float_denorm_mode_16_64 3
		.amdhsa_dx10_clamp 1
		.amdhsa_ieee_mode 1
		.amdhsa_fp16_overflow 0
		.amdhsa_workgroup_processor_mode 1
		.amdhsa_memory_ordered 1
		.amdhsa_forward_progress 0
		.amdhsa_shared_vgpr_count 0
		.amdhsa_exception_fp_ieee_invalid_op 0
		.amdhsa_exception_fp_denorm_src 0
		.amdhsa_exception_fp_ieee_div_zero 0
		.amdhsa_exception_fp_ieee_overflow 0
		.amdhsa_exception_fp_ieee_underflow 0
		.amdhsa_exception_fp_ieee_inexact 0
		.amdhsa_exception_int_div_zero 0
	.end_amdhsa_kernel
	.section	.text._ZL26rocblas_syr2k_her2k_kernelIlLb0ELb1ELb1ELi32EPK19rocblas_complex_numIdES3_PS1_EvbiT_T4_T5_S5_lS7_S5_lT6_S5_li,"axG",@progbits,_ZL26rocblas_syr2k_her2k_kernelIlLb0ELb1ELb1ELi32EPK19rocblas_complex_numIdES3_PS1_EvbiT_T4_T5_S5_lS7_S5_lT6_S5_li,comdat
.Lfunc_end1385:
	.size	_ZL26rocblas_syr2k_her2k_kernelIlLb0ELb1ELb1ELi32EPK19rocblas_complex_numIdES3_PS1_EvbiT_T4_T5_S5_lS7_S5_lT6_S5_li, .Lfunc_end1385-_ZL26rocblas_syr2k_her2k_kernelIlLb0ELb1ELb1ELi32EPK19rocblas_complex_numIdES3_PS1_EvbiT_T4_T5_S5_lS7_S5_lT6_S5_li
                                        ; -- End function
	.section	.AMDGPU.csdata,"",@progbits
; Kernel info:
; codeLenInByte = 3360
; NumSgprs: 38
; NumVgprs: 62
; ScratchSize: 0
; MemoryBound: 1
; FloatMode: 240
; IeeeMode: 1
; LDSByteSize: 32768 bytes/workgroup (compile time only)
; SGPRBlocks: 4
; VGPRBlocks: 7
; NumSGPRsForWavesPerEU: 38
; NumVGPRsForWavesPerEU: 62
; Occupancy: 16
; WaveLimiterHint : 0
; COMPUTE_PGM_RSRC2:SCRATCH_EN: 0
; COMPUTE_PGM_RSRC2:USER_SGPR: 13
; COMPUTE_PGM_RSRC2:TRAP_HANDLER: 0
; COMPUTE_PGM_RSRC2:TGID_X_EN: 1
; COMPUTE_PGM_RSRC2:TGID_Y_EN: 1
; COMPUTE_PGM_RSRC2:TGID_Z_EN: 1
; COMPUTE_PGM_RSRC2:TIDIG_COMP_CNT: 1
	.section	.text._ZL26rocblas_syr2k_her2k_kernelIlLb0ELb0ELb0ELi32EfPKPKfPKPfEvbiT_T4_T5_S7_lS9_S7_lT6_S7_li,"axG",@progbits,_ZL26rocblas_syr2k_her2k_kernelIlLb0ELb0ELb0ELi32EfPKPKfPKPfEvbiT_T4_T5_S7_lS9_S7_lT6_S7_li,comdat
	.globl	_ZL26rocblas_syr2k_her2k_kernelIlLb0ELb0ELb0ELi32EfPKPKfPKPfEvbiT_T4_T5_S7_lS9_S7_lT6_S7_li ; -- Begin function _ZL26rocblas_syr2k_her2k_kernelIlLb0ELb0ELb0ELi32EfPKPKfPKPfEvbiT_T4_T5_S7_lS9_S7_lT6_S7_li
	.p2align	8
	.type	_ZL26rocblas_syr2k_her2k_kernelIlLb0ELb0ELb0ELi32EfPKPKfPKPfEvbiT_T4_T5_S7_lS9_S7_lT6_S7_li,@function
_ZL26rocblas_syr2k_her2k_kernelIlLb0ELb0ELb0ELi32EfPKPKfPKPfEvbiT_T4_T5_S7_lS9_S7_lT6_S7_li: ; @_ZL26rocblas_syr2k_her2k_kernelIlLb0ELb0ELb0ELi32EfPKPKfPKPfEvbiT_T4_T5_S7_lS9_S7_lT6_S7_li
; %bb.0:
	s_load_b32 s24, s[0:1], 0x10
	s_waitcnt lgkmcnt(0)
	v_cmp_eq_f32_e64 s2, s24, 0
	s_delay_alu instid0(VALU_DEP_1)
	s_and_b32 vcc_lo, exec_lo, s2
	s_cbranch_vccnz .LBB1386_11
; %bb.1:
	s_load_b64 s[2:3], s[0:1], 0x0
	s_lshl_b32 s25, s14, 5
	s_lshl_b32 s26, s13, 5
	s_waitcnt lgkmcnt(0)
	s_and_b32 s2, 1, s2
	s_delay_alu instid0(SALU_CYCLE_1) | instskip(SKIP_1) | instid1(SALU_CYCLE_1)
	s_cmp_eq_u32 s2, 1
	s_cselect_b32 s2, -1, 0
	s_and_b32 s4, s2, exec_lo
	s_cselect_b32 s4, s26, s25
	s_cselect_b32 s5, s25, s26
	s_delay_alu instid0(SALU_CYCLE_1)
	s_cmp_gt_i32 s4, s5
	s_cbranch_scc1 .LBB1386_11
; %bb.2:
	s_load_b64 s[20:21], s[0:1], 0x8
	s_waitcnt lgkmcnt(0)
	v_cmp_lt_i64_e64 s4, s[20:21], 1
	s_delay_alu instid0(VALU_DEP_1)
	s_and_b32 vcc_lo, exec_lo, s4
	s_cbranch_vccnz .LBB1386_11
; %bb.3:
	s_mov_b32 s22, s15
	s_load_b512 s[4:19], s[0:1], 0x18
	v_bfe_u32 v6, v0, 10, 10
	v_and_b32_e32 v7, 0x3ff, v0
	v_mov_b32_e32 v3, 0
	s_mov_b32 s23, 0
	s_load_b64 s[0:1], s[0:1], 0x58
	v_add_nc_u32_e32 v4, s25, v6
	v_lshlrev_b32_e32 v8, 7, v7
	s_lshl_b64 s[22:23], s[22:23], 3
	s_mov_b32 s28, s3
	v_mov_b32_e32 v5, v3
	s_waitcnt lgkmcnt(0)
	v_mad_u64_u32 v[16:17], null, s6, v6, 0
	v_lshlrev_b32_e32 v0, 2, v6
	s_add_u32 s4, s4, s22
	v_mul_lo_u32 v21, v4, s19
	v_mad_u64_u32 v[12:13], null, v4, s18, 0
	s_delay_alu instid0(VALU_DEP_3)
	v_add_nc_u32_e32 v9, v8, v0
	v_or_b32_e32 v10, 0x1000, v0
	v_ashrrev_i32_e32 v0, 31, v4
	v_mad_u64_u32 v[14:15], null, s12, v7, 0
	s_addc_u32 s5, s5, s23
	s_add_u32 s10, s10, s22
	s_delay_alu instid0(VALU_DEP_2)
	v_mul_lo_u32 v0, v0, s18
	s_addc_u32 s11, s11, s23
	s_add_u32 s16, s16, s22
	s_addc_u32 s17, s17, s23
	s_lshl_b64 s[0:1], s[0:1], 2
	s_load_b64 s[16:17], s[16:17], 0x0
	s_load_b64 s[4:5], s[4:5], 0x0
	;; [unrolled: 1-line block ×3, first 2 shown]
	v_add3_u32 v13, v13, v21, v0
	v_mov_b32_e32 v0, v15
	v_dual_mov_b32 v15, v17 :: v_dual_add_nc_u32 v2, s26, v7
	s_delay_alu instid0(VALU_DEP_3) | instskip(NEXT) | instid1(VALU_DEP_2)
	v_lshlrev_b64 v[12:13], 2, v[12:13]
	v_cndmask_b32_e64 v18, v2, v4, s2
	v_cndmask_b32_e64 v19, v4, v2, s2
	v_ashrrev_i32_e32 v1, 31, v2
	v_max_i32_e32 v20, v2, v4
	s_delay_alu instid0(VALU_DEP_3) | instskip(NEXT) | instid1(VALU_DEP_3)
	v_cmp_le_i32_e64 s2, v19, v18
	v_mad_u64_u32 v[17:18], null, s13, v7, v[0:1]
	v_mad_u64_u32 v[18:19], null, s7, v6, v[15:16]
	v_mov_b32_e32 v0, v2
	v_cmp_gt_i32_e32 vcc_lo, s3, v20
	s_waitcnt lgkmcnt(0)
	s_add_u32 s11, s16, s0
	s_addc_u32 s16, s17, s1
	s_delay_alu instid0(VALU_DEP_4)
	v_mov_b32_e32 v15, v17
	v_lshlrev_b64 v[0:1], 2, v[0:1]
	s_and_b32 s10, s2, vcc_lo
	v_add_co_u32 v19, vcc_lo, s11, v12
	v_mov_b32_e32 v17, v18
	v_add_co_ci_u32_e32 v20, vcc_lo, s16, v13, vcc_lo
	v_lshlrev_b64 v[12:13], 2, v[14:15]
	s_delay_alu instid0(VALU_DEP_4)
	v_add_co_u32 v0, vcc_lo, v19, v0
	s_ashr_i32 s29, s3, 31
	s_lshl_b64 s[2:3], s[14:15], 2
	v_lshlrev_b64 v[14:15], 2, v[16:17]
	v_add_co_ci_u32_e32 v1, vcc_lo, v20, v1, vcc_lo
	v_add_co_u32 v12, vcc_lo, v12, s2
	v_cmp_gt_i64_e64 s1, s[28:29], v[4:5]
	v_lshlrev_b64 v[4:5], 2, v[4:5]
	v_add_co_ci_u32_e32 v13, vcc_lo, s3, v13, vcc_lo
	s_lshl_b64 s[2:3], s[8:9], 2
	v_cmp_gt_i64_e64 s0, s[28:29], v[2:3]
	v_add_co_u32 v14, vcc_lo, v14, s2
	v_lshlrev_b64 v[2:3], 2, v[2:3]
	v_add_co_ci_u32_e32 v15, vcc_lo, s3, v15, vcc_lo
	v_add_co_u32 v4, vcc_lo, v12, v4
	v_add_co_ci_u32_e32 v5, vcc_lo, v13, v5, vcc_lo
	s_delay_alu instid0(VALU_DEP_4) | instskip(NEXT) | instid1(VALU_DEP_4)
	v_add_co_u32 v12, vcc_lo, v14, v2
	v_add_co_ci_u32_e32 v13, vcc_lo, v15, v3, vcc_lo
	s_delay_alu instid0(VALU_DEP_4) | instskip(NEXT) | instid1(VALU_DEP_4)
	v_add_co_u32 v2, vcc_lo, s18, v4
	v_add_co_ci_u32_e32 v3, vcc_lo, s19, v5, vcc_lo
	s_delay_alu instid0(VALU_DEP_4)
	v_add_co_u32 v4, vcc_lo, s4, v12
	v_add_nc_u32_e32 v12, 0x400, v10
	v_add_nc_u32_e32 v11, v10, v8
	v_add_co_ci_u32_e32 v5, vcc_lo, s5, v13, vcc_lo
	v_add_nc_u32_e32 v13, 0x800, v10
	v_add_nc_u32_e32 v14, 0xc00, v10
	s_lshl_b64 s[2:3], s[12:13], 7
	s_lshl_b64 s[4:5], s[6:7], 7
	s_mov_b64 s[6:7], 0
	s_branch .LBB1386_5
.LBB1386_4:                             ;   in Loop: Header=BB1386_5 Depth=1
	s_or_b32 exec_lo, exec_lo, s8
	s_add_u32 s6, s6, 32
	s_addc_u32 s7, s7, 0
	v_add_co_u32 v2, vcc_lo, v2, s2
	v_cmp_lt_i64_e64 s8, s[6:7], s[20:21]
	v_add_co_ci_u32_e32 v3, vcc_lo, s3, v3, vcc_lo
	v_add_co_u32 v4, vcc_lo, v4, s4
	v_add_co_ci_u32_e32 v5, vcc_lo, s5, v5, vcc_lo
	s_delay_alu instid0(VALU_DEP_4)
	s_and_b32 vcc_lo, exec_lo, s8
	s_waitcnt_vscnt null, 0x0
	s_barrier
	buffer_gl0_inv
	s_cbranch_vccz .LBB1386_11
.LBB1386_5:                             ; =>This Inner Loop Header: Depth=1
	v_add_co_u32 v15, s8, v6, s6
	s_delay_alu instid0(VALU_DEP_1) | instskip(NEXT) | instid1(VALU_DEP_1)
	v_add_co_ci_u32_e64 v16, null, 0, s7, s8
	v_cmp_gt_i64_e32 vcc_lo, s[20:21], v[15:16]
	v_mov_b32_e32 v15, 0
	s_and_b32 s9, s0, vcc_lo
	s_delay_alu instid0(SALU_CYCLE_1)
	s_and_saveexec_b32 s8, s9
	s_cbranch_execz .LBB1386_7
; %bb.6:                                ;   in Loop: Header=BB1386_5 Depth=1
	global_load_b32 v15, v[4:5], off
.LBB1386_7:                             ;   in Loop: Header=BB1386_5 Depth=1
	s_or_b32 exec_lo, exec_lo, s8
	v_add_co_u32 v16, s8, v7, s6
	s_delay_alu instid0(VALU_DEP_1)
	v_add_co_ci_u32_e64 v17, null, 0, s7, s8
	s_waitcnt vmcnt(0)
	ds_store_b32 v9, v15
	v_cmp_gt_i64_e32 vcc_lo, s[20:21], v[16:17]
	v_mov_b32_e32 v16, 0
	s_and_b32 s9, s1, vcc_lo
	s_delay_alu instid0(SALU_CYCLE_1)
	s_and_saveexec_b32 s8, s9
	s_cbranch_execz .LBB1386_9
; %bb.8:                                ;   in Loop: Header=BB1386_5 Depth=1
	global_load_b32 v16, v[2:3], off
.LBB1386_9:                             ;   in Loop: Header=BB1386_5 Depth=1
	s_or_b32 exec_lo, exec_lo, s8
	s_waitcnt vmcnt(0)
	ds_store_b32 v11, v16
	s_waitcnt lgkmcnt(0)
	s_barrier
	buffer_gl0_inv
	s_and_saveexec_b32 s8, s10
	s_cbranch_execz .LBB1386_4
; %bb.10:                               ;   in Loop: Header=BB1386_5 Depth=1
	global_load_b32 v29, v[0:1], off
	ds_load_2addr_b32 v[23:24], v10 offset1:32
	ds_load_b128 v[15:18], v8
	ds_load_2addr_b32 v[25:26], v10 offset0:64 offset1:96
	ds_load_b128 v[19:22], v8 offset:16
	ds_load_2addr_b32 v[27:28], v10 offset0:128 offset1:160
	s_waitcnt lgkmcnt(3)
	v_fma_f32 v30, v15, v23, 0
	s_delay_alu instid0(VALU_DEP_1) | instskip(SKIP_3) | instid1(VALU_DEP_1)
	v_fmac_f32_e32 v30, v16, v24
	ds_load_2addr_b32 v[23:24], v10 offset0:192 offset1:224
	s_waitcnt lgkmcnt(3)
	v_fmac_f32_e32 v30, v17, v25
	v_fmac_f32_e32 v30, v18, v26
	ds_load_2addr_b32 v[25:26], v12 offset1:32
	ds_load_b128 v[15:18], v8 offset:32
	s_waitcnt lgkmcnt(3)
	v_fmac_f32_e32 v30, v19, v27
	s_delay_alu instid0(VALU_DEP_1) | instskip(SKIP_3) | instid1(VALU_DEP_1)
	v_fmac_f32_e32 v30, v20, v28
	ds_load_2addr_b32 v[27:28], v12 offset0:64 offset1:96
	s_waitcnt lgkmcnt(3)
	v_fmac_f32_e32 v30, v21, v23
	v_fmac_f32_e32 v30, v22, v24
	ds_load_b128 v[19:22], v8 offset:48
	ds_load_2addr_b32 v[23:24], v12 offset0:128 offset1:160
	s_waitcnt lgkmcnt(3)
	v_fmac_f32_e32 v30, v15, v25
	s_delay_alu instid0(VALU_DEP_1) | instskip(SKIP_3) | instid1(VALU_DEP_1)
	v_fmac_f32_e32 v30, v16, v26
	ds_load_2addr_b32 v[25:26], v12 offset0:192 offset1:224
	s_waitcnt lgkmcnt(3)
	v_fmac_f32_e32 v30, v17, v27
	v_fmac_f32_e32 v30, v18, v28
	ds_load_2addr_b32 v[27:28], v13 offset1:32
	ds_load_b128 v[15:18], v8 offset:64
	s_waitcnt lgkmcnt(3)
	v_fmac_f32_e32 v30, v19, v23
	s_delay_alu instid0(VALU_DEP_1) | instskip(SKIP_3) | instid1(VALU_DEP_1)
	v_fmac_f32_e32 v30, v20, v24
	ds_load_2addr_b32 v[23:24], v13 offset0:64 offset1:96
	s_waitcnt lgkmcnt(3)
	v_fmac_f32_e32 v30, v21, v25
	v_fmac_f32_e32 v30, v22, v26
	ds_load_b128 v[19:22], v8 offset:80
	ds_load_2addr_b32 v[25:26], v13 offset0:128 offset1:160
	s_waitcnt lgkmcnt(3)
	v_fmac_f32_e32 v30, v15, v27
	;; [unrolled: 20-line block ×3, first 2 shown]
	s_delay_alu instid0(VALU_DEP_1) | instskip(SKIP_3) | instid1(VALU_DEP_1)
	v_fmac_f32_e32 v30, v16, v24
	ds_load_2addr_b32 v[15:16], v14 offset0:192 offset1:224
	s_waitcnt lgkmcnt(3)
	v_fmac_f32_e32 v30, v17, v25
	v_fmac_f32_e32 v30, v18, v26
	s_waitcnt lgkmcnt(1)
	s_delay_alu instid0(VALU_DEP_1) | instskip(NEXT) | instid1(VALU_DEP_1)
	v_fmac_f32_e32 v30, v19, v27
	v_fmac_f32_e32 v30, v20, v28
	s_waitcnt lgkmcnt(0)
	s_delay_alu instid0(VALU_DEP_1) | instskip(NEXT) | instid1(VALU_DEP_1)
	v_fmac_f32_e32 v30, v21, v15
	v_fmac_f32_e32 v30, v22, v16
	s_waitcnt vmcnt(0)
	s_delay_alu instid0(VALU_DEP_1)
	v_fmac_f32_e32 v29, s24, v30
	global_store_b32 v[0:1], v29, off
	s_branch .LBB1386_4
.LBB1386_11:
	s_endpgm
	.section	.rodata,"a",@progbits
	.p2align	6, 0x0
	.amdhsa_kernel _ZL26rocblas_syr2k_her2k_kernelIlLb0ELb0ELb0ELi32EfPKPKfPKPfEvbiT_T4_T5_S7_lS9_S7_lT6_S7_li
		.amdhsa_group_segment_fixed_size 8192
		.amdhsa_private_segment_fixed_size 0
		.amdhsa_kernarg_size 100
		.amdhsa_user_sgpr_count 13
		.amdhsa_user_sgpr_dispatch_ptr 0
		.amdhsa_user_sgpr_queue_ptr 0
		.amdhsa_user_sgpr_kernarg_segment_ptr 1
		.amdhsa_user_sgpr_dispatch_id 0
		.amdhsa_user_sgpr_private_segment_size 0
		.amdhsa_wavefront_size32 1
		.amdhsa_uses_dynamic_stack 0
		.amdhsa_enable_private_segment 0
		.amdhsa_system_sgpr_workgroup_id_x 1
		.amdhsa_system_sgpr_workgroup_id_y 1
		.amdhsa_system_sgpr_workgroup_id_z 1
		.amdhsa_system_sgpr_workgroup_info 0
		.amdhsa_system_vgpr_workitem_id 1
		.amdhsa_next_free_vgpr 31
		.amdhsa_next_free_sgpr 30
		.amdhsa_reserve_vcc 1
		.amdhsa_float_round_mode_32 0
		.amdhsa_float_round_mode_16_64 0
		.amdhsa_float_denorm_mode_32 3
		.amdhsa_float_denorm_mode_16_64 3
		.amdhsa_dx10_clamp 1
		.amdhsa_ieee_mode 1
		.amdhsa_fp16_overflow 0
		.amdhsa_workgroup_processor_mode 1
		.amdhsa_memory_ordered 1
		.amdhsa_forward_progress 0
		.amdhsa_shared_vgpr_count 0
		.amdhsa_exception_fp_ieee_invalid_op 0
		.amdhsa_exception_fp_denorm_src 0
		.amdhsa_exception_fp_ieee_div_zero 0
		.amdhsa_exception_fp_ieee_overflow 0
		.amdhsa_exception_fp_ieee_underflow 0
		.amdhsa_exception_fp_ieee_inexact 0
		.amdhsa_exception_int_div_zero 0
	.end_amdhsa_kernel
	.section	.text._ZL26rocblas_syr2k_her2k_kernelIlLb0ELb0ELb0ELi32EfPKPKfPKPfEvbiT_T4_T5_S7_lS9_S7_lT6_S7_li,"axG",@progbits,_ZL26rocblas_syr2k_her2k_kernelIlLb0ELb0ELb0ELi32EfPKPKfPKPfEvbiT_T4_T5_S7_lS9_S7_lT6_S7_li,comdat
.Lfunc_end1386:
	.size	_ZL26rocblas_syr2k_her2k_kernelIlLb0ELb0ELb0ELi32EfPKPKfPKPfEvbiT_T4_T5_S7_lS9_S7_lT6_S7_li, .Lfunc_end1386-_ZL26rocblas_syr2k_her2k_kernelIlLb0ELb0ELb0ELi32EfPKPKfPKPfEvbiT_T4_T5_S7_lS9_S7_lT6_S7_li
                                        ; -- End function
	.section	.AMDGPU.csdata,"",@progbits
; Kernel info:
; codeLenInByte = 1348
; NumSgprs: 32
; NumVgprs: 31
; ScratchSize: 0
; MemoryBound: 0
; FloatMode: 240
; IeeeMode: 1
; LDSByteSize: 8192 bytes/workgroup (compile time only)
; SGPRBlocks: 3
; VGPRBlocks: 3
; NumSGPRsForWavesPerEU: 32
; NumVGPRsForWavesPerEU: 31
; Occupancy: 16
; WaveLimiterHint : 1
; COMPUTE_PGM_RSRC2:SCRATCH_EN: 0
; COMPUTE_PGM_RSRC2:USER_SGPR: 13
; COMPUTE_PGM_RSRC2:TRAP_HANDLER: 0
; COMPUTE_PGM_RSRC2:TGID_X_EN: 1
; COMPUTE_PGM_RSRC2:TGID_Y_EN: 1
; COMPUTE_PGM_RSRC2:TGID_Z_EN: 1
; COMPUTE_PGM_RSRC2:TIDIG_COMP_CNT: 1
	.section	.text._ZL26rocblas_syr2k_her2k_kernelIlLb0ELb0ELb1ELi32EfPKPKfPKPfEvbiT_T4_T5_S7_lS9_S7_lT6_S7_li,"axG",@progbits,_ZL26rocblas_syr2k_her2k_kernelIlLb0ELb0ELb1ELi32EfPKPKfPKPfEvbiT_T4_T5_S7_lS9_S7_lT6_S7_li,comdat
	.globl	_ZL26rocblas_syr2k_her2k_kernelIlLb0ELb0ELb1ELi32EfPKPKfPKPfEvbiT_T4_T5_S7_lS9_S7_lT6_S7_li ; -- Begin function _ZL26rocblas_syr2k_her2k_kernelIlLb0ELb0ELb1ELi32EfPKPKfPKPfEvbiT_T4_T5_S7_lS9_S7_lT6_S7_li
	.p2align	8
	.type	_ZL26rocblas_syr2k_her2k_kernelIlLb0ELb0ELb1ELi32EfPKPKfPKPfEvbiT_T4_T5_S7_lS9_S7_lT6_S7_li,@function
_ZL26rocblas_syr2k_her2k_kernelIlLb0ELb0ELb1ELi32EfPKPKfPKPfEvbiT_T4_T5_S7_lS9_S7_lT6_S7_li: ; @_ZL26rocblas_syr2k_her2k_kernelIlLb0ELb0ELb1ELi32EfPKPKfPKPfEvbiT_T4_T5_S7_lS9_S7_lT6_S7_li
; %bb.0:
	s_load_b32 s24, s[0:1], 0x10
	s_waitcnt lgkmcnt(0)
	v_cmp_eq_f32_e64 s2, s24, 0
	s_delay_alu instid0(VALU_DEP_1)
	s_and_b32 vcc_lo, exec_lo, s2
	s_cbranch_vccnz .LBB1387_11
; %bb.1:
	s_load_b64 s[2:3], s[0:1], 0x0
	s_lshl_b32 s25, s14, 5
	s_lshl_b32 s26, s13, 5
	s_waitcnt lgkmcnt(0)
	s_and_b32 s2, 1, s2
	s_delay_alu instid0(SALU_CYCLE_1) | instskip(SKIP_1) | instid1(SALU_CYCLE_1)
	s_cmp_eq_u32 s2, 1
	s_cselect_b32 s2, -1, 0
	s_and_b32 s4, s2, exec_lo
	s_cselect_b32 s4, s26, s25
	s_cselect_b32 s5, s25, s26
	s_delay_alu instid0(SALU_CYCLE_1)
	s_cmp_gt_i32 s4, s5
	s_cbranch_scc1 .LBB1387_11
; %bb.2:
	s_load_b64 s[20:21], s[0:1], 0x8
	s_waitcnt lgkmcnt(0)
	v_cmp_lt_i64_e64 s4, s[20:21], 1
	s_delay_alu instid0(VALU_DEP_1)
	s_and_b32 vcc_lo, exec_lo, s4
	s_cbranch_vccnz .LBB1387_11
; %bb.3:
	s_mov_b32 s22, s15
	s_load_b512 s[4:19], s[0:1], 0x18
	s_mov_b32 s23, 0
	v_bfe_u32 v6, v0, 10, 10
	s_lshl_b64 s[22:23], s[22:23], 3
	v_mov_b32_e32 v1, 0
	s_load_b64 s[0:1], s[0:1], 0x58
	v_and_b32_e32 v7, 0x3ff, v0
	v_add_nc_u32_e32 v2, s25, v6
	s_mov_b32 s28, s3
	v_mov_b32_e32 v3, v1
	v_lshlrev_b32_e32 v19, 2, v6
	v_add_nc_u32_e32 v0, s26, v7
	v_ashrrev_i32_e32 v4, 31, v2
	s_delay_alu instid0(VALU_DEP_3) | instskip(NEXT) | instid1(VALU_DEP_3)
	v_or_b32_e32 v10, 0x1000, v19
	v_cndmask_b32_e64 v16, v0, v2, s2
	v_cndmask_b32_e64 v17, v2, v0, s2
	v_max_i32_e32 v18, v0, v2
	s_waitcnt lgkmcnt(0)
	s_add_u32 s4, s4, s22
	s_addc_u32 s5, s5, s23
	s_add_u32 s10, s10, s22
	s_addc_u32 s11, s11, s23
	;; [unrolled: 2-line block ×3, first 2 shown]
	v_mul_lo_u32 v20, v4, s18
	s_load_b64 s[16:17], s[16:17], 0x0
	v_mad_u64_u32 v[4:5], null, s12, v2, 0
	v_mul_lo_u32 v21, v2, s19
	v_mad_u64_u32 v[12:13], null, v2, s18, 0
	v_mad_u64_u32 v[14:15], null, s6, v0, 0
	v_cmp_le_i32_e64 s2, v17, v16
	v_mad_u64_u32 v[16:17], null, s13, v2, v[5:6]
	s_lshl_b64 s[0:1], s[0:1], 2
	s_delay_alu instid0(VALU_DEP_4) | instskip(SKIP_4) | instid1(VALU_DEP_4)
	v_add3_u32 v13, v13, v21, v20
	v_cmp_gt_i32_e32 vcc_lo, s3, v18
	v_lshlrev_b32_e32 v8, 7, v7
	s_load_b64 s[4:5], s[4:5], 0x0
	s_load_b64 s[10:11], s[10:11], 0x0
	v_mov_b32_e32 v5, v16
	v_mad_u64_u32 v[17:18], null, s7, v0, v[15:16]
	s_waitcnt lgkmcnt(0)
	s_add_u32 s6, s16, s0
	s_addc_u32 s12, s17, s1
	s_ashr_i32 s29, s3, 31
	v_lshlrev_b64 v[12:13], 2, v[12:13]
	v_cmp_gt_i64_e64 s0, s[28:29], v[0:1]
	v_ashrrev_i32_e32 v1, 31, v0
	v_mov_b32_e32 v15, v17
	v_cmp_gt_i64_e64 s1, s[28:29], v[2:3]
	v_lshlrev_b64 v[2:3], 2, v[4:5]
	v_add_co_u32 v12, s3, s6, v12
	v_lshlrev_b64 v[0:1], 2, v[0:1]
	v_add_co_ci_u32_e64 v13, s3, s12, v13, s3
	s_lshl_b64 s[6:7], s[14:15], 2
	v_add_nc_u32_e32 v9, v8, v19
	v_add_nc_u32_e32 v11, v10, v8
	s_delay_alu instid0(VALU_DEP_4) | instskip(SKIP_4) | instid1(VALU_DEP_1)
	v_add_co_u32 v0, s3, v12, v0
	v_lshlrev_b32_e32 v12, 2, v7
	v_lshlrev_b64 v[4:5], 2, v[14:15]
	v_add_co_ci_u32_e64 v1, s3, v13, v1, s3
	v_add_co_u32 v2, s3, v2, s6
	v_add_co_ci_u32_e64 v3, s3, s7, v3, s3
	s_lshl_b64 s[6:7], s[8:9], 2
	v_add_nc_u32_e32 v13, 0x800, v10
	v_add_co_u32 v4, s3, v4, s6
	s_delay_alu instid0(VALU_DEP_1) | instskip(SKIP_1) | instid1(VALU_DEP_1)
	v_add_co_ci_u32_e64 v5, s3, s7, v5, s3
	v_add_co_u32 v2, s3, v2, v12
	v_add_co_ci_u32_e64 v3, s3, 0, v3, s3
	s_delay_alu instid0(VALU_DEP_4) | instskip(NEXT) | instid1(VALU_DEP_1)
	v_add_co_u32 v4, s3, v4, v19
	v_add_co_ci_u32_e64 v5, s3, 0, v5, s3
	s_delay_alu instid0(VALU_DEP_4) | instskip(NEXT) | instid1(VALU_DEP_1)
	;; [unrolled: 3-line block ×3, first 2 shown]
	v_add_co_u32 v4, s3, s4, v4
	v_add_co_ci_u32_e64 v5, s3, s5, v5, s3
	v_add_nc_u32_e32 v12, 0x400, v10
	v_add_nc_u32_e32 v14, 0xc00, v10
	s_and_b32 s4, s2, vcc_lo
	s_mov_b64 s[2:3], 0
	s_branch .LBB1387_5
.LBB1387_4:                             ;   in Loop: Header=BB1387_5 Depth=1
	s_or_b32 exec_lo, exec_lo, s5
	s_add_u32 s2, s2, 32
	s_addc_u32 s3, s3, 0
	v_add_co_u32 v2, vcc_lo, 0x80, v2
	v_cmp_lt_i64_e64 s5, s[2:3], s[20:21]
	v_add_co_ci_u32_e32 v3, vcc_lo, 0, v3, vcc_lo
	v_add_co_u32 v4, vcc_lo, 0x80, v4
	v_add_co_ci_u32_e32 v5, vcc_lo, 0, v5, vcc_lo
	s_delay_alu instid0(VALU_DEP_4)
	s_and_b32 vcc_lo, exec_lo, s5
	s_waitcnt_vscnt null, 0x0
	s_barrier
	buffer_gl0_inv
	s_cbranch_vccz .LBB1387_11
.LBB1387_5:                             ; =>This Inner Loop Header: Depth=1
	v_add_co_u32 v15, s5, v6, s2
	s_delay_alu instid0(VALU_DEP_1) | instskip(NEXT) | instid1(VALU_DEP_1)
	v_add_co_ci_u32_e64 v16, null, 0, s3, s5
	v_cmp_gt_i64_e32 vcc_lo, s[20:21], v[15:16]
	v_mov_b32_e32 v15, 0
	s_and_b32 s6, s0, vcc_lo
	s_delay_alu instid0(SALU_CYCLE_1)
	s_and_saveexec_b32 s5, s6
	s_cbranch_execz .LBB1387_7
; %bb.6:                                ;   in Loop: Header=BB1387_5 Depth=1
	global_load_b32 v15, v[4:5], off
.LBB1387_7:                             ;   in Loop: Header=BB1387_5 Depth=1
	s_or_b32 exec_lo, exec_lo, s5
	v_add_co_u32 v16, s5, v7, s2
	s_delay_alu instid0(VALU_DEP_1)
	v_add_co_ci_u32_e64 v17, null, 0, s3, s5
	s_waitcnt vmcnt(0)
	ds_store_b32 v9, v15
	v_cmp_gt_i64_e32 vcc_lo, s[20:21], v[16:17]
	v_mov_b32_e32 v16, 0
	s_and_b32 s6, s1, vcc_lo
	s_delay_alu instid0(SALU_CYCLE_1)
	s_and_saveexec_b32 s5, s6
	s_cbranch_execz .LBB1387_9
; %bb.8:                                ;   in Loop: Header=BB1387_5 Depth=1
	global_load_b32 v16, v[2:3], off
.LBB1387_9:                             ;   in Loop: Header=BB1387_5 Depth=1
	s_or_b32 exec_lo, exec_lo, s5
	s_waitcnt vmcnt(0)
	ds_store_b32 v11, v16
	s_waitcnt lgkmcnt(0)
	s_barrier
	buffer_gl0_inv
	s_and_saveexec_b32 s5, s4
	s_cbranch_execz .LBB1387_4
; %bb.10:                               ;   in Loop: Header=BB1387_5 Depth=1
	global_load_b32 v29, v[0:1], off
	ds_load_2addr_b32 v[23:24], v10 offset1:32
	ds_load_b128 v[15:18], v8
	ds_load_2addr_b32 v[25:26], v10 offset0:64 offset1:96
	ds_load_b128 v[19:22], v8 offset:16
	ds_load_2addr_b32 v[27:28], v10 offset0:128 offset1:160
	s_waitcnt lgkmcnt(3)
	v_fma_f32 v30, v15, v23, 0
	s_delay_alu instid0(VALU_DEP_1) | instskip(SKIP_3) | instid1(VALU_DEP_1)
	v_fmac_f32_e32 v30, v16, v24
	ds_load_2addr_b32 v[23:24], v10 offset0:192 offset1:224
	s_waitcnt lgkmcnt(3)
	v_fmac_f32_e32 v30, v17, v25
	v_fmac_f32_e32 v30, v18, v26
	ds_load_2addr_b32 v[25:26], v12 offset1:32
	ds_load_b128 v[15:18], v8 offset:32
	s_waitcnt lgkmcnt(3)
	v_fmac_f32_e32 v30, v19, v27
	s_delay_alu instid0(VALU_DEP_1) | instskip(SKIP_3) | instid1(VALU_DEP_1)
	v_fmac_f32_e32 v30, v20, v28
	ds_load_2addr_b32 v[27:28], v12 offset0:64 offset1:96
	s_waitcnt lgkmcnt(3)
	v_fmac_f32_e32 v30, v21, v23
	v_fmac_f32_e32 v30, v22, v24
	ds_load_b128 v[19:22], v8 offset:48
	ds_load_2addr_b32 v[23:24], v12 offset0:128 offset1:160
	s_waitcnt lgkmcnt(3)
	v_fmac_f32_e32 v30, v15, v25
	s_delay_alu instid0(VALU_DEP_1) | instskip(SKIP_3) | instid1(VALU_DEP_1)
	v_fmac_f32_e32 v30, v16, v26
	ds_load_2addr_b32 v[25:26], v12 offset0:192 offset1:224
	s_waitcnt lgkmcnt(3)
	v_fmac_f32_e32 v30, v17, v27
	v_fmac_f32_e32 v30, v18, v28
	ds_load_2addr_b32 v[27:28], v13 offset1:32
	ds_load_b128 v[15:18], v8 offset:64
	s_waitcnt lgkmcnt(3)
	v_fmac_f32_e32 v30, v19, v23
	s_delay_alu instid0(VALU_DEP_1) | instskip(SKIP_3) | instid1(VALU_DEP_1)
	v_fmac_f32_e32 v30, v20, v24
	ds_load_2addr_b32 v[23:24], v13 offset0:64 offset1:96
	s_waitcnt lgkmcnt(3)
	v_fmac_f32_e32 v30, v21, v25
	v_fmac_f32_e32 v30, v22, v26
	ds_load_b128 v[19:22], v8 offset:80
	ds_load_2addr_b32 v[25:26], v13 offset0:128 offset1:160
	s_waitcnt lgkmcnt(3)
	v_fmac_f32_e32 v30, v15, v27
	;; [unrolled: 20-line block ×3, first 2 shown]
	s_delay_alu instid0(VALU_DEP_1) | instskip(SKIP_3) | instid1(VALU_DEP_1)
	v_fmac_f32_e32 v30, v16, v24
	ds_load_2addr_b32 v[15:16], v14 offset0:192 offset1:224
	s_waitcnt lgkmcnt(3)
	v_fmac_f32_e32 v30, v17, v25
	v_fmac_f32_e32 v30, v18, v26
	s_waitcnt lgkmcnt(1)
	s_delay_alu instid0(VALU_DEP_1) | instskip(NEXT) | instid1(VALU_DEP_1)
	v_fmac_f32_e32 v30, v19, v27
	v_fmac_f32_e32 v30, v20, v28
	s_waitcnt lgkmcnt(0)
	s_delay_alu instid0(VALU_DEP_1) | instskip(NEXT) | instid1(VALU_DEP_1)
	v_fmac_f32_e32 v30, v21, v15
	v_fmac_f32_e32 v30, v22, v16
	s_waitcnt vmcnt(0)
	s_delay_alu instid0(VALU_DEP_1)
	v_fmac_f32_e32 v29, s24, v30
	global_store_b32 v[0:1], v29, off
	s_branch .LBB1387_4
.LBB1387_11:
	s_endpgm
	.section	.rodata,"a",@progbits
	.p2align	6, 0x0
	.amdhsa_kernel _ZL26rocblas_syr2k_her2k_kernelIlLb0ELb0ELb1ELi32EfPKPKfPKPfEvbiT_T4_T5_S7_lS9_S7_lT6_S7_li
		.amdhsa_group_segment_fixed_size 8192
		.amdhsa_private_segment_fixed_size 0
		.amdhsa_kernarg_size 100
		.amdhsa_user_sgpr_count 13
		.amdhsa_user_sgpr_dispatch_ptr 0
		.amdhsa_user_sgpr_queue_ptr 0
		.amdhsa_user_sgpr_kernarg_segment_ptr 1
		.amdhsa_user_sgpr_dispatch_id 0
		.amdhsa_user_sgpr_private_segment_size 0
		.amdhsa_wavefront_size32 1
		.amdhsa_uses_dynamic_stack 0
		.amdhsa_enable_private_segment 0
		.amdhsa_system_sgpr_workgroup_id_x 1
		.amdhsa_system_sgpr_workgroup_id_y 1
		.amdhsa_system_sgpr_workgroup_id_z 1
		.amdhsa_system_sgpr_workgroup_info 0
		.amdhsa_system_vgpr_workitem_id 1
		.amdhsa_next_free_vgpr 31
		.amdhsa_next_free_sgpr 30
		.amdhsa_reserve_vcc 1
		.amdhsa_float_round_mode_32 0
		.amdhsa_float_round_mode_16_64 0
		.amdhsa_float_denorm_mode_32 3
		.amdhsa_float_denorm_mode_16_64 3
		.amdhsa_dx10_clamp 1
		.amdhsa_ieee_mode 1
		.amdhsa_fp16_overflow 0
		.amdhsa_workgroup_processor_mode 1
		.amdhsa_memory_ordered 1
		.amdhsa_forward_progress 0
		.amdhsa_shared_vgpr_count 0
		.amdhsa_exception_fp_ieee_invalid_op 0
		.amdhsa_exception_fp_denorm_src 0
		.amdhsa_exception_fp_ieee_div_zero 0
		.amdhsa_exception_fp_ieee_overflow 0
		.amdhsa_exception_fp_ieee_underflow 0
		.amdhsa_exception_fp_ieee_inexact 0
		.amdhsa_exception_int_div_zero 0
	.end_amdhsa_kernel
	.section	.text._ZL26rocblas_syr2k_her2k_kernelIlLb0ELb0ELb1ELi32EfPKPKfPKPfEvbiT_T4_T5_S7_lS9_S7_lT6_S7_li,"axG",@progbits,_ZL26rocblas_syr2k_her2k_kernelIlLb0ELb0ELb1ELi32EfPKPKfPKPfEvbiT_T4_T5_S7_lS9_S7_lT6_S7_li,comdat
.Lfunc_end1387:
	.size	_ZL26rocblas_syr2k_her2k_kernelIlLb0ELb0ELb1ELi32EfPKPKfPKPfEvbiT_T4_T5_S7_lS9_S7_lT6_S7_li, .Lfunc_end1387-_ZL26rocblas_syr2k_her2k_kernelIlLb0ELb0ELb1ELi32EfPKPKfPKPfEvbiT_T4_T5_S7_lS9_S7_lT6_S7_li
                                        ; -- End function
	.section	.AMDGPU.csdata,"",@progbits
; Kernel info:
; codeLenInByte = 1348
; NumSgprs: 32
; NumVgprs: 31
; ScratchSize: 0
; MemoryBound: 0
; FloatMode: 240
; IeeeMode: 1
; LDSByteSize: 8192 bytes/workgroup (compile time only)
; SGPRBlocks: 3
; VGPRBlocks: 3
; NumSGPRsForWavesPerEU: 32
; NumVGPRsForWavesPerEU: 31
; Occupancy: 16
; WaveLimiterHint : 1
; COMPUTE_PGM_RSRC2:SCRATCH_EN: 0
; COMPUTE_PGM_RSRC2:USER_SGPR: 13
; COMPUTE_PGM_RSRC2:TRAP_HANDLER: 0
; COMPUTE_PGM_RSRC2:TGID_X_EN: 1
; COMPUTE_PGM_RSRC2:TGID_Y_EN: 1
; COMPUTE_PGM_RSRC2:TGID_Z_EN: 1
; COMPUTE_PGM_RSRC2:TIDIG_COMP_CNT: 1
	.section	.text._ZL37rocblas_syrkx_herkx_restricted_kernelIlfLi16ELi32ELi8ELi1ELi1ELb0ELc84ELc76EKPKfKPfEviT_PT9_S5_lS7_S5_lPT10_S5_li,"axG",@progbits,_ZL37rocblas_syrkx_herkx_restricted_kernelIlfLi16ELi32ELi8ELi1ELi1ELb0ELc84ELc76EKPKfKPfEviT_PT9_S5_lS7_S5_lPT10_S5_li,comdat
	.globl	_ZL37rocblas_syrkx_herkx_restricted_kernelIlfLi16ELi32ELi8ELi1ELi1ELb0ELc84ELc76EKPKfKPfEviT_PT9_S5_lS7_S5_lPT10_S5_li ; -- Begin function _ZL37rocblas_syrkx_herkx_restricted_kernelIlfLi16ELi32ELi8ELi1ELi1ELb0ELc84ELc76EKPKfKPfEviT_PT9_S5_lS7_S5_lPT10_S5_li
	.p2align	8
	.type	_ZL37rocblas_syrkx_herkx_restricted_kernelIlfLi16ELi32ELi8ELi1ELi1ELb0ELc84ELc76EKPKfKPfEviT_PT9_S5_lS7_S5_lPT10_S5_li,@function
_ZL37rocblas_syrkx_herkx_restricted_kernelIlfLi16ELi32ELi8ELi1ELi1ELb0ELc84ELc76EKPKfKPfEviT_PT9_S5_lS7_S5_lPT10_S5_li: ; @_ZL37rocblas_syrkx_herkx_restricted_kernelIlfLi16ELi32ELi8ELi1ELi1ELb0ELc84ELc76EKPKfKPfEviT_PT9_S5_lS7_S5_lPT10_S5_li
; %bb.0:
	s_clause 0x1
	s_load_b128 s[4:7], s[0:1], 0x40
	s_load_b128 s[8:11], s[0:1], 0x8
	s_mov_b32 s2, s15
	s_mov_b32 s3, 0
	v_dual_mov_b32 v9, 0 :: v_dual_and_b32 v6, 0x3ff, v0
	s_lshl_b64 s[16:17], s[2:3], 3
	v_bfe_u32 v7, v0, 10, 10
	v_dual_mov_b32 v8, 0 :: v_dual_mov_b32 v1, 0
	v_mov_b32_e32 v0, 0
	s_waitcnt lgkmcnt(0)
	s_add_u32 s2, s4, s16
	s_addc_u32 s3, s5, s17
	v_cmp_lt_i64_e64 s4, s[8:9], 1
	s_load_b64 s[2:3], s[2:3], 0x0
	s_lshl_b32 s18, s13, 5
	s_lshl_b32 s19, s14, 5
	s_delay_alu instid0(VALU_DEP_1)
	s_and_b32 vcc_lo, exec_lo, s4
	s_cbranch_vccnz .LBB1388_3
; %bb.1:
	s_clause 0x1
	s_load_b128 s[12:15], s[0:1], 0x28
	s_load_b64 s[4:5], s[0:1], 0x18
	v_lshl_add_u32 v2, v7, 4, v6
	s_add_u32 s10, s10, s16
	s_addc_u32 s11, s11, s17
	v_dual_mov_b32 v1, 0 :: v_dual_and_b32 v0, 7, v6
	s_delay_alu instid0(VALU_DEP_2) | instskip(SKIP_2) | instid1(VALU_DEP_4)
	v_lshrrev_b32_e32 v11, 3, v2
	v_and_b32_e32 v12, 31, v2
	v_lshrrev_b32_e32 v2, 5, v2
	v_mov_b32_e32 v3, v1
	s_load_b64 s[10:11], s[10:11], 0x0
	v_add_nc_u32_e32 v10, s19, v11
	v_add_nc_u32_e32 v8, s18, v12
	v_lshlrev_b32_e32 v12, 2, v12
	s_delay_alu instid0(VALU_DEP_3) | instskip(NEXT) | instid1(VALU_DEP_3)
	v_ashrrev_i32_e32 v4, 31, v10
	v_ashrrev_i32_e32 v5, 31, v8
	s_delay_alu instid0(VALU_DEP_3)
	v_lshl_or_b32 v12, v2, 7, v12
	s_waitcnt lgkmcnt(0)
	s_add_u32 s12, s12, s16
	s_addc_u32 s13, s13, s17
	v_mul_lo_u32 v13, v4, s14
	v_mul_lo_u32 v14, s4, v5
	v_mad_u64_u32 v[4:5], null, s4, v8, v[2:3]
	v_mul_lo_u32 v3, s5, v8
	s_load_b64 s[4:5], s[12:13], 0x0
	v_mul_lo_u32 v15, v10, s15
	v_mad_u64_u32 v[8:9], null, v10, s14, v[0:1]
	v_lshlrev_b32_e32 v0, 2, v0
	v_lshlrev_b32_e32 v10, 2, v6
	v_add3_u32 v5, v3, v5, v14
	s_delay_alu instid0(VALU_DEP_3) | instskip(SKIP_2) | instid1(VALU_DEP_4)
	v_lshl_or_b32 v0, v11, 5, v0
	v_add3_u32 v9, v13, v9, v15
	v_lshl_add_u32 v11, v7, 5, 0x400
	v_lshlrev_b64 v[3:4], 2, v[4:5]
	s_delay_alu instid0(VALU_DEP_4) | instskip(NEXT) | instid1(VALU_DEP_4)
	v_dual_mov_b32 v0, v1 :: v_dual_add_nc_u32 v13, 0x400, v0
	v_lshlrev_b64 v[8:9], 2, v[8:9]
	s_delay_alu instid0(VALU_DEP_3) | instskip(NEXT) | instid1(VALU_DEP_4)
	v_add_co_u32 v2, vcc_lo, s10, v3
	v_add_co_ci_u32_e32 v3, vcc_lo, s11, v4, vcc_lo
	s_waitcnt lgkmcnt(0)
	s_delay_alu instid0(VALU_DEP_3) | instskip(NEXT) | instid1(VALU_DEP_4)
	v_add_co_u32 v4, vcc_lo, s4, v8
	v_add_co_ci_u32_e32 v5, vcc_lo, s5, v9, vcc_lo
	v_mov_b32_e32 v8, v1
	v_mov_b32_e32 v9, v1
	s_mov_b64 s[4:5], 0
.LBB1388_2:                             ; =>This Inner Loop Header: Depth=1
	global_load_b32 v14, v[2:3], off
	global_load_b32 v15, v[4:5], off
	s_add_u32 s4, s4, 8
	v_add_co_u32 v2, vcc_lo, v2, 32
	s_addc_u32 s5, s5, 0
	v_add_co_ci_u32_e32 v3, vcc_lo, 0, v3, vcc_lo
	v_cmp_ge_u64_e64 s10, s[4:5], s[8:9]
	v_add_co_u32 v4, vcc_lo, v4, 32
	v_add_co_ci_u32_e32 v5, vcc_lo, 0, v5, vcc_lo
	s_waitcnt vmcnt(1)
	ds_store_b32 v12, v14
	s_waitcnt vmcnt(0)
	ds_store_b32 v13, v15
	s_waitcnt lgkmcnt(0)
	s_barrier
	buffer_gl0_inv
	ds_load_2addr_b32 v[30:31], v10 offset1:16
	ds_load_b128 v[14:17], v11
	ds_load_b128 v[18:21], v11 offset:512
	ds_load_2addr_b32 v[32:33], v10 offset0:32 offset1:48
	ds_load_2addr_b32 v[34:35], v10 offset0:64 offset1:80
	ds_load_b128 v[22:25], v11 offset:16
	ds_load_2addr_b32 v[36:37], v10 offset0:96 offset1:112
	ds_load_2addr_b32 v[38:39], v10 offset0:128 offset1:144
	;; [unrolled: 3-line block ×3, first 2 shown]
	ds_load_2addr_b32 v[44:45], v10 offset0:224 offset1:240
	s_and_b32 vcc_lo, exec_lo, s10
	s_waitcnt lgkmcnt(0)
	s_barrier
	buffer_gl0_inv
	v_fmac_f32_e32 v8, v31, v14
	v_fmac_f32_e32 v9, v30, v14
	;; [unrolled: 1-line block ×4, first 2 shown]
	s_delay_alu instid0(VALU_DEP_4) | instskip(NEXT) | instid1(VALU_DEP_4)
	v_fmac_f32_e32 v8, v33, v15
	v_fmac_f32_e32 v9, v32, v15
	s_delay_alu instid0(VALU_DEP_4) | instskip(NEXT) | instid1(VALU_DEP_4)
	v_fmac_f32_e32 v1, v33, v19
	v_fmac_f32_e32 v0, v32, v19
	;; [unrolled: 3-line block ×14, first 2 shown]
	s_cbranch_vccz .LBB1388_2
.LBB1388_3:
	v_add_nc_u32_e32 v7, s19, v7
	s_load_b32 s4, s[0:1], 0x0
	s_delay_alu instid0(VALU_DEP_1) | instskip(SKIP_2) | instid1(VALU_DEP_3)
	v_ashrrev_i32_e32 v2, 31, v7
	v_mul_lo_u32 v5, v7, s7
	v_mad_u64_u32 v[3:4], null, v7, s6, 0
	v_mul_lo_u32 v2, v2, s6
	s_delay_alu instid0(VALU_DEP_1) | instskip(SKIP_1) | instid1(VALU_DEP_2)
	v_add3_u32 v4, v4, v5, v2
	v_add_nc_u32_e32 v2, s18, v6
	v_lshlrev_b64 v[3:4], 2, v[3:4]
	s_delay_alu instid0(VALU_DEP_2) | instskip(SKIP_2) | instid1(VALU_DEP_3)
	v_cmp_le_i32_e64 s0, v7, v2
	s_waitcnt lgkmcnt(0)
	v_cmp_gt_i32_e32 vcc_lo, s4, v2
	v_add_co_u32 v6, s1, s2, v3
	s_delay_alu instid0(VALU_DEP_1) | instskip(SKIP_1) | instid1(SALU_CYCLE_1)
	v_add_co_ci_u32_e64 v10, s1, s3, v4, s1
	s_and_b32 s0, s0, vcc_lo
	s_and_saveexec_b32 s1, s0
	s_cbranch_execz .LBB1388_5
; %bb.4:
	v_ashrrev_i32_e32 v3, 31, v2
	s_delay_alu instid0(VALU_DEP_1) | instskip(NEXT) | instid1(VALU_DEP_1)
	v_lshlrev_b64 v[3:4], 2, v[2:3]
	v_add_co_u32 v3, s0, v6, v3
	s_delay_alu instid0(VALU_DEP_1)
	v_add_co_ci_u32_e64 v4, s0, v10, v4, s0
	global_load_b32 v5, v[3:4], off
	s_waitcnt vmcnt(0)
	v_add_f32_e32 v5, v9, v5
	global_store_b32 v[3:4], v5, off
.LBB1388_5:
	s_or_b32 exec_lo, exec_lo, s1
	v_add_nc_u32_e32 v4, 16, v2
	s_delay_alu instid0(VALU_DEP_1) | instskip(SKIP_1) | instid1(VALU_DEP_1)
	v_cmp_le_i32_e64 s1, v7, v4
	v_cmp_gt_i32_e64 s0, s4, v4
	s_and_b32 s1, s1, s0
	s_delay_alu instid0(SALU_CYCLE_1)
	s_and_saveexec_b32 s4, s1
	s_cbranch_execz .LBB1388_7
; %bb.6:
	v_ashrrev_i32_e32 v5, 31, v4
	s_delay_alu instid0(VALU_DEP_1) | instskip(NEXT) | instid1(VALU_DEP_1)
	v_lshlrev_b64 v[11:12], 2, v[4:5]
	v_add_co_u32 v5, s1, v6, v11
	s_delay_alu instid0(VALU_DEP_1)
	v_add_co_ci_u32_e64 v6, s1, v10, v12, s1
	global_load_b32 v3, v[5:6], off
	s_waitcnt vmcnt(0)
	v_add_f32_e32 v3, v8, v3
	global_store_b32 v[5:6], v3, off
.LBB1388_7:
	s_or_b32 exec_lo, exec_lo, s4
	v_add_nc_u32_e32 v5, 16, v7
	s_delay_alu instid0(VALU_DEP_1) | instskip(SKIP_3) | instid1(VALU_DEP_4)
	v_ashrrev_i32_e32 v3, 31, v5
	v_mul_lo_u32 v8, v5, s7
	v_mad_u64_u32 v[6:7], null, v5, s6, 0
	v_cmp_le_i32_e64 s1, v5, v2
	v_mul_lo_u32 v3, v3, s6
	s_delay_alu instid0(VALU_DEP_1) | instskip(NEXT) | instid1(VALU_DEP_1)
	v_add3_u32 v7, v7, v8, v3
	v_lshlrev_b64 v[6:7], 2, v[6:7]
	s_delay_alu instid0(VALU_DEP_1) | instskip(NEXT) | instid1(VALU_DEP_1)
	v_add_co_u32 v6, s2, s2, v6
	v_add_co_ci_u32_e64 v7, s2, s3, v7, s2
	s_and_b32 s2, s1, vcc_lo
	s_delay_alu instid0(SALU_CYCLE_1)
	s_and_saveexec_b32 s1, s2
	s_cbranch_execz .LBB1388_9
; %bb.8:
	v_ashrrev_i32_e32 v3, 31, v2
	s_delay_alu instid0(VALU_DEP_1) | instskip(NEXT) | instid1(VALU_DEP_1)
	v_lshlrev_b64 v[2:3], 2, v[2:3]
	v_add_co_u32 v2, vcc_lo, v6, v2
	s_delay_alu instid0(VALU_DEP_2)
	v_add_co_ci_u32_e32 v3, vcc_lo, v7, v3, vcc_lo
	global_load_b32 v8, v[2:3], off
	s_waitcnt vmcnt(0)
	v_add_f32_e32 v0, v0, v8
	global_store_b32 v[2:3], v0, off
.LBB1388_9:
	s_or_b32 exec_lo, exec_lo, s1
	v_cmp_le_i32_e32 vcc_lo, v5, v4
	s_and_b32 s0, vcc_lo, s0
	s_delay_alu instid0(SALU_CYCLE_1)
	s_and_saveexec_b32 s1, s0
	s_cbranch_execz .LBB1388_11
; %bb.10:
	v_ashrrev_i32_e32 v5, 31, v4
	s_delay_alu instid0(VALU_DEP_1) | instskip(NEXT) | instid1(VALU_DEP_1)
	v_lshlrev_b64 v[2:3], 2, v[4:5]
	v_add_co_u32 v2, vcc_lo, v6, v2
	s_delay_alu instid0(VALU_DEP_2)
	v_add_co_ci_u32_e32 v3, vcc_lo, v7, v3, vcc_lo
	global_load_b32 v0, v[2:3], off
	s_waitcnt vmcnt(0)
	v_add_f32_e32 v0, v1, v0
	global_store_b32 v[2:3], v0, off
.LBB1388_11:
	s_nop 0
	s_sendmsg sendmsg(MSG_DEALLOC_VGPRS)
	s_endpgm
	.section	.rodata,"a",@progbits
	.p2align	6, 0x0
	.amdhsa_kernel _ZL37rocblas_syrkx_herkx_restricted_kernelIlfLi16ELi32ELi8ELi1ELi1ELb0ELc84ELc76EKPKfKPfEviT_PT9_S5_lS7_S5_lPT10_S5_li
		.amdhsa_group_segment_fixed_size 2048
		.amdhsa_private_segment_fixed_size 0
		.amdhsa_kernarg_size 92
		.amdhsa_user_sgpr_count 13
		.amdhsa_user_sgpr_dispatch_ptr 0
		.amdhsa_user_sgpr_queue_ptr 0
		.amdhsa_user_sgpr_kernarg_segment_ptr 1
		.amdhsa_user_sgpr_dispatch_id 0
		.amdhsa_user_sgpr_private_segment_size 0
		.amdhsa_wavefront_size32 1
		.amdhsa_uses_dynamic_stack 0
		.amdhsa_enable_private_segment 0
		.amdhsa_system_sgpr_workgroup_id_x 1
		.amdhsa_system_sgpr_workgroup_id_y 1
		.amdhsa_system_sgpr_workgroup_id_z 1
		.amdhsa_system_sgpr_workgroup_info 0
		.amdhsa_system_vgpr_workitem_id 1
		.amdhsa_next_free_vgpr 46
		.amdhsa_next_free_sgpr 20
		.amdhsa_reserve_vcc 1
		.amdhsa_float_round_mode_32 0
		.amdhsa_float_round_mode_16_64 0
		.amdhsa_float_denorm_mode_32 3
		.amdhsa_float_denorm_mode_16_64 3
		.amdhsa_dx10_clamp 1
		.amdhsa_ieee_mode 1
		.amdhsa_fp16_overflow 0
		.amdhsa_workgroup_processor_mode 1
		.amdhsa_memory_ordered 1
		.amdhsa_forward_progress 0
		.amdhsa_shared_vgpr_count 0
		.amdhsa_exception_fp_ieee_invalid_op 0
		.amdhsa_exception_fp_denorm_src 0
		.amdhsa_exception_fp_ieee_div_zero 0
		.amdhsa_exception_fp_ieee_overflow 0
		.amdhsa_exception_fp_ieee_underflow 0
		.amdhsa_exception_fp_ieee_inexact 0
		.amdhsa_exception_int_div_zero 0
	.end_amdhsa_kernel
	.section	.text._ZL37rocblas_syrkx_herkx_restricted_kernelIlfLi16ELi32ELi8ELi1ELi1ELb0ELc84ELc76EKPKfKPfEviT_PT9_S5_lS7_S5_lPT10_S5_li,"axG",@progbits,_ZL37rocblas_syrkx_herkx_restricted_kernelIlfLi16ELi32ELi8ELi1ELi1ELb0ELc84ELc76EKPKfKPfEviT_PT9_S5_lS7_S5_lPT10_S5_li,comdat
.Lfunc_end1388:
	.size	_ZL37rocblas_syrkx_herkx_restricted_kernelIlfLi16ELi32ELi8ELi1ELi1ELb0ELc84ELc76EKPKfKPfEviT_PT9_S5_lS7_S5_lPT10_S5_li, .Lfunc_end1388-_ZL37rocblas_syrkx_herkx_restricted_kernelIlfLi16ELi32ELi8ELi1ELi1ELb0ELc84ELc76EKPKfKPfEviT_PT9_S5_lS7_S5_lPT10_S5_li
                                        ; -- End function
	.section	.AMDGPU.csdata,"",@progbits
; Kernel info:
; codeLenInByte = 1352
; NumSgprs: 22
; NumVgprs: 46
; ScratchSize: 0
; MemoryBound: 0
; FloatMode: 240
; IeeeMode: 1
; LDSByteSize: 2048 bytes/workgroup (compile time only)
; SGPRBlocks: 2
; VGPRBlocks: 5
; NumSGPRsForWavesPerEU: 22
; NumVGPRsForWavesPerEU: 46
; Occupancy: 16
; WaveLimiterHint : 1
; COMPUTE_PGM_RSRC2:SCRATCH_EN: 0
; COMPUTE_PGM_RSRC2:USER_SGPR: 13
; COMPUTE_PGM_RSRC2:TRAP_HANDLER: 0
; COMPUTE_PGM_RSRC2:TGID_X_EN: 1
; COMPUTE_PGM_RSRC2:TGID_Y_EN: 1
; COMPUTE_PGM_RSRC2:TGID_Z_EN: 1
; COMPUTE_PGM_RSRC2:TIDIG_COMP_CNT: 1
	.section	.text._ZL37rocblas_syrkx_herkx_restricted_kernelIlfLi16ELi32ELi8ELi1ELi1ELb0ELc67ELc76EKPKfKPfEviT_PT9_S5_lS7_S5_lPT10_S5_li,"axG",@progbits,_ZL37rocblas_syrkx_herkx_restricted_kernelIlfLi16ELi32ELi8ELi1ELi1ELb0ELc67ELc76EKPKfKPfEviT_PT9_S5_lS7_S5_lPT10_S5_li,comdat
	.globl	_ZL37rocblas_syrkx_herkx_restricted_kernelIlfLi16ELi32ELi8ELi1ELi1ELb0ELc67ELc76EKPKfKPfEviT_PT9_S5_lS7_S5_lPT10_S5_li ; -- Begin function _ZL37rocblas_syrkx_herkx_restricted_kernelIlfLi16ELi32ELi8ELi1ELi1ELb0ELc67ELc76EKPKfKPfEviT_PT9_S5_lS7_S5_lPT10_S5_li
	.p2align	8
	.type	_ZL37rocblas_syrkx_herkx_restricted_kernelIlfLi16ELi32ELi8ELi1ELi1ELb0ELc67ELc76EKPKfKPfEviT_PT9_S5_lS7_S5_lPT10_S5_li,@function
_ZL37rocblas_syrkx_herkx_restricted_kernelIlfLi16ELi32ELi8ELi1ELi1ELb0ELc67ELc76EKPKfKPfEviT_PT9_S5_lS7_S5_lPT10_S5_li: ; @_ZL37rocblas_syrkx_herkx_restricted_kernelIlfLi16ELi32ELi8ELi1ELi1ELb0ELc67ELc76EKPKfKPfEviT_PT9_S5_lS7_S5_lPT10_S5_li
; %bb.0:
	s_clause 0x1
	s_load_b128 s[4:7], s[0:1], 0x40
	s_load_b128 s[8:11], s[0:1], 0x8
	s_mov_b32 s2, s15
	s_mov_b32 s3, 0
	v_dual_mov_b32 v9, 0 :: v_dual_and_b32 v6, 0x3ff, v0
	s_lshl_b64 s[16:17], s[2:3], 3
	v_bfe_u32 v7, v0, 10, 10
	v_dual_mov_b32 v8, 0 :: v_dual_mov_b32 v1, 0
	v_mov_b32_e32 v0, 0
	s_waitcnt lgkmcnt(0)
	s_add_u32 s2, s4, s16
	s_addc_u32 s3, s5, s17
	v_cmp_lt_i64_e64 s4, s[8:9], 1
	s_load_b64 s[2:3], s[2:3], 0x0
	s_lshl_b32 s18, s13, 5
	s_lshl_b32 s19, s14, 5
	s_delay_alu instid0(VALU_DEP_1)
	s_and_b32 vcc_lo, exec_lo, s4
	s_cbranch_vccnz .LBB1389_3
; %bb.1:
	s_clause 0x1
	s_load_b128 s[12:15], s[0:1], 0x28
	s_load_b64 s[4:5], s[0:1], 0x18
	v_lshl_add_u32 v2, v7, 4, v6
	s_add_u32 s10, s10, s16
	s_addc_u32 s11, s11, s17
	v_dual_mov_b32 v1, 0 :: v_dual_and_b32 v0, 7, v6
	s_delay_alu instid0(VALU_DEP_2) | instskip(SKIP_2) | instid1(VALU_DEP_4)
	v_lshrrev_b32_e32 v11, 3, v2
	v_and_b32_e32 v12, 31, v2
	v_lshrrev_b32_e32 v2, 5, v2
	v_mov_b32_e32 v3, v1
	s_load_b64 s[10:11], s[10:11], 0x0
	v_add_nc_u32_e32 v10, s19, v11
	v_add_nc_u32_e32 v8, s18, v12
	v_lshlrev_b32_e32 v12, 2, v12
	s_delay_alu instid0(VALU_DEP_3) | instskip(NEXT) | instid1(VALU_DEP_3)
	v_ashrrev_i32_e32 v4, 31, v10
	v_ashrrev_i32_e32 v5, 31, v8
	s_delay_alu instid0(VALU_DEP_3)
	v_lshl_or_b32 v12, v2, 7, v12
	s_waitcnt lgkmcnt(0)
	s_add_u32 s12, s12, s16
	s_addc_u32 s13, s13, s17
	v_mul_lo_u32 v13, v4, s14
	v_mul_lo_u32 v14, s4, v5
	v_mad_u64_u32 v[4:5], null, s4, v8, v[2:3]
	v_mul_lo_u32 v3, s5, v8
	s_load_b64 s[4:5], s[12:13], 0x0
	v_mul_lo_u32 v15, v10, s15
	v_mad_u64_u32 v[8:9], null, v10, s14, v[0:1]
	v_lshlrev_b32_e32 v0, 2, v0
	v_lshlrev_b32_e32 v10, 2, v6
	v_add3_u32 v5, v3, v5, v14
	s_delay_alu instid0(VALU_DEP_3) | instskip(SKIP_2) | instid1(VALU_DEP_4)
	v_lshl_or_b32 v0, v11, 5, v0
	v_add3_u32 v9, v13, v9, v15
	v_lshl_add_u32 v11, v7, 5, 0x400
	v_lshlrev_b64 v[3:4], 2, v[4:5]
	s_delay_alu instid0(VALU_DEP_4) | instskip(NEXT) | instid1(VALU_DEP_4)
	v_dual_mov_b32 v0, v1 :: v_dual_add_nc_u32 v13, 0x400, v0
	v_lshlrev_b64 v[8:9], 2, v[8:9]
	s_delay_alu instid0(VALU_DEP_3) | instskip(NEXT) | instid1(VALU_DEP_4)
	v_add_co_u32 v2, vcc_lo, s10, v3
	v_add_co_ci_u32_e32 v3, vcc_lo, s11, v4, vcc_lo
	s_waitcnt lgkmcnt(0)
	s_delay_alu instid0(VALU_DEP_3) | instskip(NEXT) | instid1(VALU_DEP_4)
	v_add_co_u32 v4, vcc_lo, s4, v8
	v_add_co_ci_u32_e32 v5, vcc_lo, s5, v9, vcc_lo
	v_mov_b32_e32 v8, v1
	v_mov_b32_e32 v9, v1
	s_mov_b64 s[4:5], 0
.LBB1389_2:                             ; =>This Inner Loop Header: Depth=1
	global_load_b32 v14, v[2:3], off
	global_load_b32 v15, v[4:5], off
	s_add_u32 s4, s4, 8
	v_add_co_u32 v2, vcc_lo, v2, 32
	s_addc_u32 s5, s5, 0
	v_add_co_ci_u32_e32 v3, vcc_lo, 0, v3, vcc_lo
	v_cmp_ge_u64_e64 s10, s[4:5], s[8:9]
	v_add_co_u32 v4, vcc_lo, v4, 32
	v_add_co_ci_u32_e32 v5, vcc_lo, 0, v5, vcc_lo
	s_waitcnt vmcnt(1)
	ds_store_b32 v12, v14
	s_waitcnt vmcnt(0)
	ds_store_b32 v13, v15
	s_waitcnt lgkmcnt(0)
	s_barrier
	buffer_gl0_inv
	ds_load_2addr_b32 v[30:31], v10 offset1:16
	ds_load_b128 v[14:17], v11
	ds_load_b128 v[18:21], v11 offset:512
	ds_load_2addr_b32 v[32:33], v10 offset0:32 offset1:48
	ds_load_2addr_b32 v[34:35], v10 offset0:64 offset1:80
	ds_load_b128 v[22:25], v11 offset:16
	ds_load_2addr_b32 v[36:37], v10 offset0:96 offset1:112
	ds_load_2addr_b32 v[38:39], v10 offset0:128 offset1:144
	;; [unrolled: 3-line block ×3, first 2 shown]
	ds_load_2addr_b32 v[44:45], v10 offset0:224 offset1:240
	s_and_b32 vcc_lo, exec_lo, s10
	s_waitcnt lgkmcnt(0)
	s_barrier
	buffer_gl0_inv
	v_fmac_f32_e32 v8, v31, v14
	v_fmac_f32_e32 v9, v30, v14
	v_fmac_f32_e32 v1, v31, v18
	v_fmac_f32_e32 v0, v30, v18
	s_delay_alu instid0(VALU_DEP_4) | instskip(NEXT) | instid1(VALU_DEP_4)
	v_fmac_f32_e32 v8, v33, v15
	v_fmac_f32_e32 v9, v32, v15
	s_delay_alu instid0(VALU_DEP_4) | instskip(NEXT) | instid1(VALU_DEP_4)
	v_fmac_f32_e32 v1, v33, v19
	v_fmac_f32_e32 v0, v32, v19
	;; [unrolled: 3-line block ×14, first 2 shown]
	s_cbranch_vccz .LBB1389_2
.LBB1389_3:
	v_add_nc_u32_e32 v7, s19, v7
	s_load_b32 s4, s[0:1], 0x0
	s_delay_alu instid0(VALU_DEP_1) | instskip(SKIP_2) | instid1(VALU_DEP_3)
	v_ashrrev_i32_e32 v2, 31, v7
	v_mul_lo_u32 v5, v7, s7
	v_mad_u64_u32 v[3:4], null, v7, s6, 0
	v_mul_lo_u32 v2, v2, s6
	s_delay_alu instid0(VALU_DEP_1) | instskip(SKIP_1) | instid1(VALU_DEP_2)
	v_add3_u32 v4, v4, v5, v2
	v_add_nc_u32_e32 v2, s18, v6
	v_lshlrev_b64 v[3:4], 2, v[3:4]
	s_delay_alu instid0(VALU_DEP_2) | instskip(SKIP_2) | instid1(VALU_DEP_3)
	v_cmp_le_i32_e64 s0, v7, v2
	s_waitcnt lgkmcnt(0)
	v_cmp_gt_i32_e32 vcc_lo, s4, v2
	v_add_co_u32 v6, s1, s2, v3
	s_delay_alu instid0(VALU_DEP_1) | instskip(SKIP_1) | instid1(SALU_CYCLE_1)
	v_add_co_ci_u32_e64 v10, s1, s3, v4, s1
	s_and_b32 s0, s0, vcc_lo
	s_and_saveexec_b32 s1, s0
	s_cbranch_execz .LBB1389_5
; %bb.4:
	v_ashrrev_i32_e32 v3, 31, v2
	s_delay_alu instid0(VALU_DEP_1) | instskip(NEXT) | instid1(VALU_DEP_1)
	v_lshlrev_b64 v[3:4], 2, v[2:3]
	v_add_co_u32 v3, s0, v6, v3
	s_delay_alu instid0(VALU_DEP_1)
	v_add_co_ci_u32_e64 v4, s0, v10, v4, s0
	global_load_b32 v5, v[3:4], off
	s_waitcnt vmcnt(0)
	v_add_f32_e32 v5, v9, v5
	global_store_b32 v[3:4], v5, off
.LBB1389_5:
	s_or_b32 exec_lo, exec_lo, s1
	v_add_nc_u32_e32 v4, 16, v2
	s_delay_alu instid0(VALU_DEP_1) | instskip(SKIP_1) | instid1(VALU_DEP_1)
	v_cmp_le_i32_e64 s1, v7, v4
	v_cmp_gt_i32_e64 s0, s4, v4
	s_and_b32 s1, s1, s0
	s_delay_alu instid0(SALU_CYCLE_1)
	s_and_saveexec_b32 s4, s1
	s_cbranch_execz .LBB1389_7
; %bb.6:
	v_ashrrev_i32_e32 v5, 31, v4
	s_delay_alu instid0(VALU_DEP_1) | instskip(NEXT) | instid1(VALU_DEP_1)
	v_lshlrev_b64 v[11:12], 2, v[4:5]
	v_add_co_u32 v5, s1, v6, v11
	s_delay_alu instid0(VALU_DEP_1)
	v_add_co_ci_u32_e64 v6, s1, v10, v12, s1
	global_load_b32 v3, v[5:6], off
	s_waitcnt vmcnt(0)
	v_add_f32_e32 v3, v8, v3
	global_store_b32 v[5:6], v3, off
.LBB1389_7:
	s_or_b32 exec_lo, exec_lo, s4
	v_add_nc_u32_e32 v5, 16, v7
	s_delay_alu instid0(VALU_DEP_1) | instskip(SKIP_3) | instid1(VALU_DEP_4)
	v_ashrrev_i32_e32 v3, 31, v5
	v_mul_lo_u32 v8, v5, s7
	v_mad_u64_u32 v[6:7], null, v5, s6, 0
	v_cmp_le_i32_e64 s1, v5, v2
	v_mul_lo_u32 v3, v3, s6
	s_delay_alu instid0(VALU_DEP_1) | instskip(NEXT) | instid1(VALU_DEP_1)
	v_add3_u32 v7, v7, v8, v3
	v_lshlrev_b64 v[6:7], 2, v[6:7]
	s_delay_alu instid0(VALU_DEP_1) | instskip(NEXT) | instid1(VALU_DEP_1)
	v_add_co_u32 v6, s2, s2, v6
	v_add_co_ci_u32_e64 v7, s2, s3, v7, s2
	s_and_b32 s2, s1, vcc_lo
	s_delay_alu instid0(SALU_CYCLE_1)
	s_and_saveexec_b32 s1, s2
	s_cbranch_execz .LBB1389_9
; %bb.8:
	v_ashrrev_i32_e32 v3, 31, v2
	s_delay_alu instid0(VALU_DEP_1) | instskip(NEXT) | instid1(VALU_DEP_1)
	v_lshlrev_b64 v[2:3], 2, v[2:3]
	v_add_co_u32 v2, vcc_lo, v6, v2
	s_delay_alu instid0(VALU_DEP_2)
	v_add_co_ci_u32_e32 v3, vcc_lo, v7, v3, vcc_lo
	global_load_b32 v8, v[2:3], off
	s_waitcnt vmcnt(0)
	v_add_f32_e32 v0, v0, v8
	global_store_b32 v[2:3], v0, off
.LBB1389_9:
	s_or_b32 exec_lo, exec_lo, s1
	v_cmp_le_i32_e32 vcc_lo, v5, v4
	s_and_b32 s0, vcc_lo, s0
	s_delay_alu instid0(SALU_CYCLE_1)
	s_and_saveexec_b32 s1, s0
	s_cbranch_execz .LBB1389_11
; %bb.10:
	v_ashrrev_i32_e32 v5, 31, v4
	s_delay_alu instid0(VALU_DEP_1) | instskip(NEXT) | instid1(VALU_DEP_1)
	v_lshlrev_b64 v[2:3], 2, v[4:5]
	v_add_co_u32 v2, vcc_lo, v6, v2
	s_delay_alu instid0(VALU_DEP_2)
	v_add_co_ci_u32_e32 v3, vcc_lo, v7, v3, vcc_lo
	global_load_b32 v0, v[2:3], off
	s_waitcnt vmcnt(0)
	v_add_f32_e32 v0, v1, v0
	global_store_b32 v[2:3], v0, off
.LBB1389_11:
	s_nop 0
	s_sendmsg sendmsg(MSG_DEALLOC_VGPRS)
	s_endpgm
	.section	.rodata,"a",@progbits
	.p2align	6, 0x0
	.amdhsa_kernel _ZL37rocblas_syrkx_herkx_restricted_kernelIlfLi16ELi32ELi8ELi1ELi1ELb0ELc67ELc76EKPKfKPfEviT_PT9_S5_lS7_S5_lPT10_S5_li
		.amdhsa_group_segment_fixed_size 2048
		.amdhsa_private_segment_fixed_size 0
		.amdhsa_kernarg_size 92
		.amdhsa_user_sgpr_count 13
		.amdhsa_user_sgpr_dispatch_ptr 0
		.amdhsa_user_sgpr_queue_ptr 0
		.amdhsa_user_sgpr_kernarg_segment_ptr 1
		.amdhsa_user_sgpr_dispatch_id 0
		.amdhsa_user_sgpr_private_segment_size 0
		.amdhsa_wavefront_size32 1
		.amdhsa_uses_dynamic_stack 0
		.amdhsa_enable_private_segment 0
		.amdhsa_system_sgpr_workgroup_id_x 1
		.amdhsa_system_sgpr_workgroup_id_y 1
		.amdhsa_system_sgpr_workgroup_id_z 1
		.amdhsa_system_sgpr_workgroup_info 0
		.amdhsa_system_vgpr_workitem_id 1
		.amdhsa_next_free_vgpr 46
		.amdhsa_next_free_sgpr 20
		.amdhsa_reserve_vcc 1
		.amdhsa_float_round_mode_32 0
		.amdhsa_float_round_mode_16_64 0
		.amdhsa_float_denorm_mode_32 3
		.amdhsa_float_denorm_mode_16_64 3
		.amdhsa_dx10_clamp 1
		.amdhsa_ieee_mode 1
		.amdhsa_fp16_overflow 0
		.amdhsa_workgroup_processor_mode 1
		.amdhsa_memory_ordered 1
		.amdhsa_forward_progress 0
		.amdhsa_shared_vgpr_count 0
		.amdhsa_exception_fp_ieee_invalid_op 0
		.amdhsa_exception_fp_denorm_src 0
		.amdhsa_exception_fp_ieee_div_zero 0
		.amdhsa_exception_fp_ieee_overflow 0
		.amdhsa_exception_fp_ieee_underflow 0
		.amdhsa_exception_fp_ieee_inexact 0
		.amdhsa_exception_int_div_zero 0
	.end_amdhsa_kernel
	.section	.text._ZL37rocblas_syrkx_herkx_restricted_kernelIlfLi16ELi32ELi8ELi1ELi1ELb0ELc67ELc76EKPKfKPfEviT_PT9_S5_lS7_S5_lPT10_S5_li,"axG",@progbits,_ZL37rocblas_syrkx_herkx_restricted_kernelIlfLi16ELi32ELi8ELi1ELi1ELb0ELc67ELc76EKPKfKPfEviT_PT9_S5_lS7_S5_lPT10_S5_li,comdat
.Lfunc_end1389:
	.size	_ZL37rocblas_syrkx_herkx_restricted_kernelIlfLi16ELi32ELi8ELi1ELi1ELb0ELc67ELc76EKPKfKPfEviT_PT9_S5_lS7_S5_lPT10_S5_li, .Lfunc_end1389-_ZL37rocblas_syrkx_herkx_restricted_kernelIlfLi16ELi32ELi8ELi1ELi1ELb0ELc67ELc76EKPKfKPfEviT_PT9_S5_lS7_S5_lPT10_S5_li
                                        ; -- End function
	.section	.AMDGPU.csdata,"",@progbits
; Kernel info:
; codeLenInByte = 1352
; NumSgprs: 22
; NumVgprs: 46
; ScratchSize: 0
; MemoryBound: 0
; FloatMode: 240
; IeeeMode: 1
; LDSByteSize: 2048 bytes/workgroup (compile time only)
; SGPRBlocks: 2
; VGPRBlocks: 5
; NumSGPRsForWavesPerEU: 22
; NumVGPRsForWavesPerEU: 46
; Occupancy: 16
; WaveLimiterHint : 1
; COMPUTE_PGM_RSRC2:SCRATCH_EN: 0
; COMPUTE_PGM_RSRC2:USER_SGPR: 13
; COMPUTE_PGM_RSRC2:TRAP_HANDLER: 0
; COMPUTE_PGM_RSRC2:TGID_X_EN: 1
; COMPUTE_PGM_RSRC2:TGID_Y_EN: 1
; COMPUTE_PGM_RSRC2:TGID_Z_EN: 1
; COMPUTE_PGM_RSRC2:TIDIG_COMP_CNT: 1
	.section	.text._ZL37rocblas_syrkx_herkx_restricted_kernelIlfLi16ELi32ELi8ELi1ELi1ELb0ELc78ELc76EKPKfKPfEviT_PT9_S5_lS7_S5_lPT10_S5_li,"axG",@progbits,_ZL37rocblas_syrkx_herkx_restricted_kernelIlfLi16ELi32ELi8ELi1ELi1ELb0ELc78ELc76EKPKfKPfEviT_PT9_S5_lS7_S5_lPT10_S5_li,comdat
	.globl	_ZL37rocblas_syrkx_herkx_restricted_kernelIlfLi16ELi32ELi8ELi1ELi1ELb0ELc78ELc76EKPKfKPfEviT_PT9_S5_lS7_S5_lPT10_S5_li ; -- Begin function _ZL37rocblas_syrkx_herkx_restricted_kernelIlfLi16ELi32ELi8ELi1ELi1ELb0ELc78ELc76EKPKfKPfEviT_PT9_S5_lS7_S5_lPT10_S5_li
	.p2align	8
	.type	_ZL37rocblas_syrkx_herkx_restricted_kernelIlfLi16ELi32ELi8ELi1ELi1ELb0ELc78ELc76EKPKfKPfEviT_PT9_S5_lS7_S5_lPT10_S5_li,@function
_ZL37rocblas_syrkx_herkx_restricted_kernelIlfLi16ELi32ELi8ELi1ELi1ELb0ELc78ELc76EKPKfKPfEviT_PT9_S5_lS7_S5_lPT10_S5_li: ; @_ZL37rocblas_syrkx_herkx_restricted_kernelIlfLi16ELi32ELi8ELi1ELi1ELb0ELc78ELc76EKPKfKPfEviT_PT9_S5_lS7_S5_lPT10_S5_li
; %bb.0:
	s_clause 0x1
	s_load_b128 s[4:7], s[0:1], 0x40
	s_load_b128 s[8:11], s[0:1], 0x8
	s_mov_b32 s2, s15
	s_mov_b32 s3, 0
	v_dual_mov_b32 v8, 0 :: v_dual_and_b32 v5, 0x3ff, v0
	s_lshl_b64 s[16:17], s[2:3], 3
	v_bfe_u32 v6, v0, 10, 10
	v_dual_mov_b32 v9, 0 :: v_dual_mov_b32 v4, 0
	v_mov_b32_e32 v7, 0
	s_waitcnt lgkmcnt(0)
	s_add_u32 s2, s4, s16
	s_addc_u32 s3, s5, s17
	v_cmp_lt_i64_e64 s4, s[8:9], 1
	s_load_b64 s[2:3], s[2:3], 0x0
	s_lshl_b32 s18, s13, 5
	s_lshl_b32 s19, s14, 5
	s_delay_alu instid0(VALU_DEP_1)
	s_and_b32 vcc_lo, exec_lo, s4
	s_cbranch_vccnz .LBB1390_3
; %bb.1:
	v_lshl_add_u32 v1, v6, 4, v5
	s_clause 0x1
	s_load_b64 s[4:5], s[0:1], 0x18
	s_load_b128 s[12:15], s[0:1], 0x28
	s_add_u32 s10, s10, s16
	s_addc_u32 s11, s11, s17
	v_lshlrev_b32_e32 v10, 2, v5
	v_and_b32_e32 v14, 31, v1
	v_lshrrev_b32_e32 v15, 3, v1
	v_lshrrev_b32_e32 v16, 5, v1
	s_load_b64 s[10:11], s[10:11], 0x0
	v_lshl_add_u32 v11, v6, 5, 0x400
	v_add_nc_u32_e32 v0, s18, v14
	v_add_nc_u32_e32 v2, s19, v15
	s_delay_alu instid0(VALU_DEP_2) | instskip(NEXT) | instid1(VALU_DEP_2)
	v_ashrrev_i32_e32 v1, 31, v0
	v_ashrrev_i32_e32 v3, 31, v2
	s_waitcnt lgkmcnt(0)
	s_delay_alu instid0(VALU_DEP_2) | instskip(SKIP_4) | instid1(VALU_DEP_1)
	v_mad_u64_u32 v[8:9], null, v16, s4, v[0:1]
	v_and_b32_e32 v7, 7, v5
	s_add_u32 s12, s12, s16
	s_addc_u32 s13, s13, s17
	s_load_b64 s[12:13], s[12:13], 0x0
	v_mad_u64_u32 v[0:1], null, v7, s14, v[2:3]
	s_delay_alu instid0(VALU_DEP_3) | instskip(NEXT) | instid1(VALU_DEP_1)
	v_mov_b32_e32 v2, v9
	v_mad_u64_u32 v[3:4], null, v16, s5, v[2:3]
	s_delay_alu instid0(VALU_DEP_3) | instskip(SKIP_3) | instid1(VALU_DEP_4)
	v_mad_u64_u32 v[12:13], null, v7, s15, v[1:2]
	v_dual_mov_b32 v4, 0 :: v_dual_lshlrev_b32 v1, 2, v7
	v_mov_b32_e32 v7, 0
	s_lshl_b64 s[4:5], s[4:5], 5
	v_mov_b32_e32 v9, v3
	v_lshlrev_b32_e32 v13, 2, v14
	v_lshl_or_b32 v14, v15, 5, v1
	v_mov_b32_e32 v1, v12
	s_delay_alu instid0(VALU_DEP_4)
	v_lshlrev_b64 v[2:3], 2, v[8:9]
	v_mov_b32_e32 v8, 0
	v_lshl_or_b32 v12, v16, 7, v13
	v_add_nc_u32_e32 v13, 0x400, v14
	v_lshlrev_b64 v[14:15], 2, v[0:1]
	v_mov_b32_e32 v9, 0
	v_add_co_u32 v0, vcc_lo, s10, v2
	v_add_co_ci_u32_e32 v1, vcc_lo, s11, v3, vcc_lo
	s_waitcnt lgkmcnt(0)
	s_delay_alu instid0(VALU_DEP_4)
	v_add_co_u32 v2, vcc_lo, s12, v14
	v_add_co_ci_u32_e32 v3, vcc_lo, s13, v15, vcc_lo
	s_lshl_b64 s[10:11], s[14:15], 5
	s_mov_b64 s[12:13], 0
.LBB1390_2:                             ; =>This Inner Loop Header: Depth=1
	global_load_b32 v14, v[0:1], off
	global_load_b32 v15, v[2:3], off
	s_add_u32 s12, s12, 8
	v_add_co_u32 v0, vcc_lo, v0, s4
	s_addc_u32 s13, s13, 0
	v_add_co_ci_u32_e32 v1, vcc_lo, s5, v1, vcc_lo
	v_cmp_ge_u64_e64 s14, s[12:13], s[8:9]
	v_add_co_u32 v2, vcc_lo, v2, s10
	v_add_co_ci_u32_e32 v3, vcc_lo, s11, v3, vcc_lo
	s_waitcnt vmcnt(1)
	ds_store_b32 v12, v14
	s_waitcnt vmcnt(0)
	ds_store_b32 v13, v15
	s_waitcnt lgkmcnt(0)
	s_barrier
	buffer_gl0_inv
	ds_load_2addr_b32 v[30:31], v10 offset1:16
	ds_load_b128 v[14:17], v11
	ds_load_b128 v[18:21], v11 offset:512
	ds_load_2addr_b32 v[32:33], v10 offset0:32 offset1:48
	ds_load_2addr_b32 v[34:35], v10 offset0:64 offset1:80
	ds_load_b128 v[22:25], v11 offset:16
	ds_load_2addr_b32 v[36:37], v10 offset0:96 offset1:112
	ds_load_2addr_b32 v[38:39], v10 offset0:128 offset1:144
	;; [unrolled: 3-line block ×3, first 2 shown]
	ds_load_2addr_b32 v[44:45], v10 offset0:224 offset1:240
	s_and_b32 vcc_lo, exec_lo, s14
	s_waitcnt lgkmcnt(0)
	s_barrier
	buffer_gl0_inv
	v_fmac_f32_e32 v8, v31, v14
	v_fmac_f32_e32 v9, v30, v14
	;; [unrolled: 1-line block ×3, first 2 shown]
	s_delay_alu instid0(VALU_DEP_3) | instskip(NEXT) | instid1(VALU_DEP_3)
	v_dual_fmac_f32 v7, v30, v18 :: v_dual_fmac_f32 v8, v33, v15
	v_fmac_f32_e32 v9, v32, v15
	s_delay_alu instid0(VALU_DEP_3) | instskip(NEXT) | instid1(VALU_DEP_3)
	v_fmac_f32_e32 v4, v33, v19
	v_dual_fmac_f32 v7, v32, v19 :: v_dual_fmac_f32 v8, v35, v16
	s_delay_alu instid0(VALU_DEP_3) | instskip(NEXT) | instid1(VALU_DEP_3)
	v_fmac_f32_e32 v9, v34, v16
	v_fmac_f32_e32 v4, v35, v20
	s_delay_alu instid0(VALU_DEP_3) | instskip(NEXT) | instid1(VALU_DEP_3)
	v_dual_fmac_f32 v7, v34, v20 :: v_dual_fmac_f32 v8, v37, v17
	v_fmac_f32_e32 v9, v36, v17
	s_delay_alu instid0(VALU_DEP_3) | instskip(NEXT) | instid1(VALU_DEP_3)
	v_fmac_f32_e32 v4, v37, v21
	v_dual_fmac_f32 v7, v36, v21 :: v_dual_fmac_f32 v8, v39, v22
	s_delay_alu instid0(VALU_DEP_3) | instskip(NEXT) | instid1(VALU_DEP_3)
	v_fmac_f32_e32 v9, v38, v22
	v_fmac_f32_e32 v4, v39, v26
	;; [unrolled: 9-line block ×3, first 2 shown]
	s_delay_alu instid0(VALU_DEP_3) | instskip(NEXT) | instid1(VALU_DEP_3)
	v_dual_fmac_f32 v7, v42, v28 :: v_dual_fmac_f32 v8, v45, v25
	v_fmac_f32_e32 v9, v44, v25
	s_delay_alu instid0(VALU_DEP_3) | instskip(NEXT) | instid1(VALU_DEP_3)
	v_fmac_f32_e32 v4, v45, v29
	v_fmac_f32_e32 v7, v44, v29
	s_cbranch_vccz .LBB1390_2
.LBB1390_3:
	v_add_nc_u32_e32 v6, s19, v6
	s_load_b32 s4, s[0:1], 0x0
	s_delay_alu instid0(VALU_DEP_1) | instskip(SKIP_2) | instid1(VALU_DEP_3)
	v_ashrrev_i32_e32 v0, 31, v6
	v_mul_lo_u32 v3, v6, s7
	v_mad_u64_u32 v[1:2], null, v6, s6, 0
	v_mul_lo_u32 v0, v0, s6
	s_delay_alu instid0(VALU_DEP_1) | instskip(SKIP_1) | instid1(VALU_DEP_2)
	v_add3_u32 v2, v2, v3, v0
	v_add_nc_u32_e32 v0, s18, v5
	v_lshlrev_b64 v[1:2], 2, v[1:2]
	s_delay_alu instid0(VALU_DEP_2) | instskip(SKIP_2) | instid1(VALU_DEP_3)
	v_cmp_le_i32_e64 s0, v6, v0
	s_waitcnt lgkmcnt(0)
	v_cmp_gt_i32_e32 vcc_lo, s4, v0
	v_add_co_u32 v5, s1, s2, v1
	s_delay_alu instid0(VALU_DEP_1) | instskip(SKIP_1) | instid1(SALU_CYCLE_1)
	v_add_co_ci_u32_e64 v10, s1, s3, v2, s1
	s_and_b32 s0, s0, vcc_lo
	s_and_saveexec_b32 s1, s0
	s_cbranch_execz .LBB1390_5
; %bb.4:
	v_ashrrev_i32_e32 v1, 31, v0
	s_delay_alu instid0(VALU_DEP_1) | instskip(NEXT) | instid1(VALU_DEP_1)
	v_lshlrev_b64 v[1:2], 2, v[0:1]
	v_add_co_u32 v1, s0, v5, v1
	s_delay_alu instid0(VALU_DEP_1)
	v_add_co_ci_u32_e64 v2, s0, v10, v2, s0
	global_load_b32 v3, v[1:2], off
	s_waitcnt vmcnt(0)
	v_add_f32_e32 v3, v9, v3
	global_store_b32 v[1:2], v3, off
.LBB1390_5:
	s_or_b32 exec_lo, exec_lo, s1
	v_add_nc_u32_e32 v2, 16, v0
	s_delay_alu instid0(VALU_DEP_1) | instskip(SKIP_1) | instid1(VALU_DEP_1)
	v_cmp_le_i32_e64 s1, v6, v2
	v_cmp_gt_i32_e64 s0, s4, v2
	s_and_b32 s1, s1, s0
	s_delay_alu instid0(SALU_CYCLE_1)
	s_and_saveexec_b32 s4, s1
	s_cbranch_execz .LBB1390_7
; %bb.6:
	v_ashrrev_i32_e32 v3, 31, v2
	s_delay_alu instid0(VALU_DEP_1) | instskip(NEXT) | instid1(VALU_DEP_1)
	v_lshlrev_b64 v[11:12], 2, v[2:3]
	v_add_co_u32 v9, s1, v5, v11
	s_delay_alu instid0(VALU_DEP_1)
	v_add_co_ci_u32_e64 v10, s1, v10, v12, s1
	global_load_b32 v1, v[9:10], off
	s_waitcnt vmcnt(0)
	v_add_f32_e32 v1, v8, v1
	global_store_b32 v[9:10], v1, off
.LBB1390_7:
	s_or_b32 exec_lo, exec_lo, s4
	v_add_nc_u32_e32 v3, 16, v6
	s_delay_alu instid0(VALU_DEP_1) | instskip(SKIP_3) | instid1(VALU_DEP_4)
	v_ashrrev_i32_e32 v1, 31, v3
	v_mul_lo_u32 v8, v3, s7
	v_mad_u64_u32 v[5:6], null, v3, s6, 0
	v_cmp_le_i32_e64 s1, v3, v0
	v_mul_lo_u32 v1, v1, s6
	s_delay_alu instid0(VALU_DEP_1) | instskip(NEXT) | instid1(VALU_DEP_1)
	v_add3_u32 v6, v6, v8, v1
	v_lshlrev_b64 v[5:6], 2, v[5:6]
	s_delay_alu instid0(VALU_DEP_1) | instskip(NEXT) | instid1(VALU_DEP_1)
	v_add_co_u32 v5, s2, s2, v5
	v_add_co_ci_u32_e64 v6, s2, s3, v6, s2
	s_and_b32 s2, s1, vcc_lo
	s_delay_alu instid0(SALU_CYCLE_1)
	s_and_saveexec_b32 s1, s2
	s_cbranch_execz .LBB1390_9
; %bb.8:
	v_ashrrev_i32_e32 v1, 31, v0
	s_delay_alu instid0(VALU_DEP_1) | instskip(NEXT) | instid1(VALU_DEP_1)
	v_lshlrev_b64 v[0:1], 2, v[0:1]
	v_add_co_u32 v0, vcc_lo, v5, v0
	s_delay_alu instid0(VALU_DEP_2)
	v_add_co_ci_u32_e32 v1, vcc_lo, v6, v1, vcc_lo
	global_load_b32 v8, v[0:1], off
	s_waitcnt vmcnt(0)
	v_add_f32_e32 v7, v7, v8
	global_store_b32 v[0:1], v7, off
.LBB1390_9:
	s_or_b32 exec_lo, exec_lo, s1
	v_cmp_le_i32_e32 vcc_lo, v3, v2
	s_and_b32 s0, vcc_lo, s0
	s_delay_alu instid0(SALU_CYCLE_1)
	s_and_saveexec_b32 s1, s0
	s_cbranch_execz .LBB1390_11
; %bb.10:
	v_ashrrev_i32_e32 v3, 31, v2
	s_delay_alu instid0(VALU_DEP_1) | instskip(NEXT) | instid1(VALU_DEP_1)
	v_lshlrev_b64 v[0:1], 2, v[2:3]
	v_add_co_u32 v0, vcc_lo, v5, v0
	s_delay_alu instid0(VALU_DEP_2)
	v_add_co_ci_u32_e32 v1, vcc_lo, v6, v1, vcc_lo
	global_load_b32 v2, v[0:1], off
	s_waitcnt vmcnt(0)
	v_add_f32_e32 v2, v4, v2
	global_store_b32 v[0:1], v2, off
.LBB1390_11:
	s_nop 0
	s_sendmsg sendmsg(MSG_DEALLOC_VGPRS)
	s_endpgm
	.section	.rodata,"a",@progbits
	.p2align	6, 0x0
	.amdhsa_kernel _ZL37rocblas_syrkx_herkx_restricted_kernelIlfLi16ELi32ELi8ELi1ELi1ELb0ELc78ELc76EKPKfKPfEviT_PT9_S5_lS7_S5_lPT10_S5_li
		.amdhsa_group_segment_fixed_size 2048
		.amdhsa_private_segment_fixed_size 0
		.amdhsa_kernarg_size 92
		.amdhsa_user_sgpr_count 13
		.amdhsa_user_sgpr_dispatch_ptr 0
		.amdhsa_user_sgpr_queue_ptr 0
		.amdhsa_user_sgpr_kernarg_segment_ptr 1
		.amdhsa_user_sgpr_dispatch_id 0
		.amdhsa_user_sgpr_private_segment_size 0
		.amdhsa_wavefront_size32 1
		.amdhsa_uses_dynamic_stack 0
		.amdhsa_enable_private_segment 0
		.amdhsa_system_sgpr_workgroup_id_x 1
		.amdhsa_system_sgpr_workgroup_id_y 1
		.amdhsa_system_sgpr_workgroup_id_z 1
		.amdhsa_system_sgpr_workgroup_info 0
		.amdhsa_system_vgpr_workitem_id 1
		.amdhsa_next_free_vgpr 46
		.amdhsa_next_free_sgpr 20
		.amdhsa_reserve_vcc 1
		.amdhsa_float_round_mode_32 0
		.amdhsa_float_round_mode_16_64 0
		.amdhsa_float_denorm_mode_32 3
		.amdhsa_float_denorm_mode_16_64 3
		.amdhsa_dx10_clamp 1
		.amdhsa_ieee_mode 1
		.amdhsa_fp16_overflow 0
		.amdhsa_workgroup_processor_mode 1
		.amdhsa_memory_ordered 1
		.amdhsa_forward_progress 0
		.amdhsa_shared_vgpr_count 0
		.amdhsa_exception_fp_ieee_invalid_op 0
		.amdhsa_exception_fp_denorm_src 0
		.amdhsa_exception_fp_ieee_div_zero 0
		.amdhsa_exception_fp_ieee_overflow 0
		.amdhsa_exception_fp_ieee_underflow 0
		.amdhsa_exception_fp_ieee_inexact 0
		.amdhsa_exception_int_div_zero 0
	.end_amdhsa_kernel
	.section	.text._ZL37rocblas_syrkx_herkx_restricted_kernelIlfLi16ELi32ELi8ELi1ELi1ELb0ELc78ELc76EKPKfKPfEviT_PT9_S5_lS7_S5_lPT10_S5_li,"axG",@progbits,_ZL37rocblas_syrkx_herkx_restricted_kernelIlfLi16ELi32ELi8ELi1ELi1ELb0ELc78ELc76EKPKfKPfEviT_PT9_S5_lS7_S5_lPT10_S5_li,comdat
.Lfunc_end1390:
	.size	_ZL37rocblas_syrkx_herkx_restricted_kernelIlfLi16ELi32ELi8ELi1ELi1ELb0ELc78ELc76EKPKfKPfEviT_PT9_S5_lS7_S5_lPT10_S5_li, .Lfunc_end1390-_ZL37rocblas_syrkx_herkx_restricted_kernelIlfLi16ELi32ELi8ELi1ELi1ELb0ELc78ELc76EKPKfKPfEviT_PT9_S5_lS7_S5_lPT10_S5_li
                                        ; -- End function
	.section	.AMDGPU.csdata,"",@progbits
; Kernel info:
; codeLenInByte = 1320
; NumSgprs: 22
; NumVgprs: 46
; ScratchSize: 0
; MemoryBound: 0
; FloatMode: 240
; IeeeMode: 1
; LDSByteSize: 2048 bytes/workgroup (compile time only)
; SGPRBlocks: 2
; VGPRBlocks: 5
; NumSGPRsForWavesPerEU: 22
; NumVGPRsForWavesPerEU: 46
; Occupancy: 16
; WaveLimiterHint : 1
; COMPUTE_PGM_RSRC2:SCRATCH_EN: 0
; COMPUTE_PGM_RSRC2:USER_SGPR: 13
; COMPUTE_PGM_RSRC2:TRAP_HANDLER: 0
; COMPUTE_PGM_RSRC2:TGID_X_EN: 1
; COMPUTE_PGM_RSRC2:TGID_Y_EN: 1
; COMPUTE_PGM_RSRC2:TGID_Z_EN: 1
; COMPUTE_PGM_RSRC2:TIDIG_COMP_CNT: 1
	.section	.text._ZL37rocblas_syrkx_herkx_restricted_kernelIlfLi16ELi32ELi8ELi1ELi1ELb0ELc84ELc85EKPKfKPfEviT_PT9_S5_lS7_S5_lPT10_S5_li,"axG",@progbits,_ZL37rocblas_syrkx_herkx_restricted_kernelIlfLi16ELi32ELi8ELi1ELi1ELb0ELc84ELc85EKPKfKPfEviT_PT9_S5_lS7_S5_lPT10_S5_li,comdat
	.globl	_ZL37rocblas_syrkx_herkx_restricted_kernelIlfLi16ELi32ELi8ELi1ELi1ELb0ELc84ELc85EKPKfKPfEviT_PT9_S5_lS7_S5_lPT10_S5_li ; -- Begin function _ZL37rocblas_syrkx_herkx_restricted_kernelIlfLi16ELi32ELi8ELi1ELi1ELb0ELc84ELc85EKPKfKPfEviT_PT9_S5_lS7_S5_lPT10_S5_li
	.p2align	8
	.type	_ZL37rocblas_syrkx_herkx_restricted_kernelIlfLi16ELi32ELi8ELi1ELi1ELb0ELc84ELc85EKPKfKPfEviT_PT9_S5_lS7_S5_lPT10_S5_li,@function
_ZL37rocblas_syrkx_herkx_restricted_kernelIlfLi16ELi32ELi8ELi1ELi1ELb0ELc84ELc85EKPKfKPfEviT_PT9_S5_lS7_S5_lPT10_S5_li: ; @_ZL37rocblas_syrkx_herkx_restricted_kernelIlfLi16ELi32ELi8ELi1ELi1ELb0ELc84ELc85EKPKfKPfEviT_PT9_S5_lS7_S5_lPT10_S5_li
; %bb.0:
	s_clause 0x1
	s_load_b128 s[4:7], s[0:1], 0x40
	s_load_b128 s[8:11], s[0:1], 0x8
	s_mov_b32 s2, s15
	s_mov_b32 s3, 0
	v_dual_mov_b32 v9, 0 :: v_dual_and_b32 v6, 0x3ff, v0
	s_lshl_b64 s[16:17], s[2:3], 3
	v_bfe_u32 v7, v0, 10, 10
	v_dual_mov_b32 v8, 0 :: v_dual_mov_b32 v1, 0
	v_mov_b32_e32 v0, 0
	s_waitcnt lgkmcnt(0)
	s_add_u32 s2, s4, s16
	s_addc_u32 s3, s5, s17
	v_cmp_lt_i64_e64 s4, s[8:9], 1
	s_load_b64 s[2:3], s[2:3], 0x0
	s_lshl_b32 s18, s13, 5
	s_lshl_b32 s19, s14, 5
	s_delay_alu instid0(VALU_DEP_1)
	s_and_b32 vcc_lo, exec_lo, s4
	s_cbranch_vccnz .LBB1391_3
; %bb.1:
	s_clause 0x1
	s_load_b128 s[12:15], s[0:1], 0x28
	s_load_b64 s[4:5], s[0:1], 0x18
	v_lshl_add_u32 v2, v7, 4, v6
	s_add_u32 s10, s10, s16
	s_addc_u32 s11, s11, s17
	v_dual_mov_b32 v1, 0 :: v_dual_and_b32 v0, 7, v6
	s_delay_alu instid0(VALU_DEP_2) | instskip(SKIP_2) | instid1(VALU_DEP_4)
	v_lshrrev_b32_e32 v11, 3, v2
	v_and_b32_e32 v12, 31, v2
	v_lshrrev_b32_e32 v2, 5, v2
	v_mov_b32_e32 v3, v1
	s_load_b64 s[10:11], s[10:11], 0x0
	v_add_nc_u32_e32 v10, s19, v11
	v_add_nc_u32_e32 v8, s18, v12
	v_lshlrev_b32_e32 v12, 2, v12
	s_delay_alu instid0(VALU_DEP_3) | instskip(NEXT) | instid1(VALU_DEP_3)
	v_ashrrev_i32_e32 v4, 31, v10
	v_ashrrev_i32_e32 v5, 31, v8
	s_delay_alu instid0(VALU_DEP_3)
	v_lshl_or_b32 v12, v2, 7, v12
	s_waitcnt lgkmcnt(0)
	s_add_u32 s12, s12, s16
	s_addc_u32 s13, s13, s17
	v_mul_lo_u32 v13, v4, s14
	v_mul_lo_u32 v14, s4, v5
	v_mad_u64_u32 v[4:5], null, s4, v8, v[2:3]
	v_mul_lo_u32 v3, s5, v8
	s_load_b64 s[4:5], s[12:13], 0x0
	v_mul_lo_u32 v15, v10, s15
	v_mad_u64_u32 v[8:9], null, v10, s14, v[0:1]
	v_lshlrev_b32_e32 v0, 2, v0
	v_lshlrev_b32_e32 v10, 2, v6
	v_add3_u32 v5, v3, v5, v14
	s_delay_alu instid0(VALU_DEP_3) | instskip(SKIP_2) | instid1(VALU_DEP_4)
	v_lshl_or_b32 v0, v11, 5, v0
	v_add3_u32 v9, v13, v9, v15
	v_lshl_add_u32 v11, v7, 5, 0x400
	v_lshlrev_b64 v[3:4], 2, v[4:5]
	s_delay_alu instid0(VALU_DEP_4) | instskip(NEXT) | instid1(VALU_DEP_4)
	v_dual_mov_b32 v0, v1 :: v_dual_add_nc_u32 v13, 0x400, v0
	v_lshlrev_b64 v[8:9], 2, v[8:9]
	s_delay_alu instid0(VALU_DEP_3) | instskip(NEXT) | instid1(VALU_DEP_4)
	v_add_co_u32 v2, vcc_lo, s10, v3
	v_add_co_ci_u32_e32 v3, vcc_lo, s11, v4, vcc_lo
	s_waitcnt lgkmcnt(0)
	s_delay_alu instid0(VALU_DEP_3) | instskip(NEXT) | instid1(VALU_DEP_4)
	v_add_co_u32 v4, vcc_lo, s4, v8
	v_add_co_ci_u32_e32 v5, vcc_lo, s5, v9, vcc_lo
	v_mov_b32_e32 v8, v1
	v_mov_b32_e32 v9, v1
	s_mov_b64 s[4:5], 0
.LBB1391_2:                             ; =>This Inner Loop Header: Depth=1
	global_load_b32 v14, v[2:3], off
	global_load_b32 v15, v[4:5], off
	s_add_u32 s4, s4, 8
	v_add_co_u32 v2, vcc_lo, v2, 32
	s_addc_u32 s5, s5, 0
	v_add_co_ci_u32_e32 v3, vcc_lo, 0, v3, vcc_lo
	v_cmp_ge_u64_e64 s10, s[4:5], s[8:9]
	v_add_co_u32 v4, vcc_lo, v4, 32
	v_add_co_ci_u32_e32 v5, vcc_lo, 0, v5, vcc_lo
	s_waitcnt vmcnt(1)
	ds_store_b32 v12, v14
	s_waitcnt vmcnt(0)
	ds_store_b32 v13, v15
	s_waitcnt lgkmcnt(0)
	s_barrier
	buffer_gl0_inv
	ds_load_2addr_b32 v[30:31], v10 offset1:16
	ds_load_b128 v[14:17], v11
	ds_load_b128 v[18:21], v11 offset:512
	ds_load_2addr_b32 v[32:33], v10 offset0:32 offset1:48
	ds_load_2addr_b32 v[34:35], v10 offset0:64 offset1:80
	ds_load_b128 v[22:25], v11 offset:16
	ds_load_2addr_b32 v[36:37], v10 offset0:96 offset1:112
	ds_load_2addr_b32 v[38:39], v10 offset0:128 offset1:144
	;; [unrolled: 3-line block ×3, first 2 shown]
	ds_load_2addr_b32 v[44:45], v10 offset0:224 offset1:240
	s_and_b32 vcc_lo, exec_lo, s10
	s_waitcnt lgkmcnt(0)
	s_barrier
	buffer_gl0_inv
	v_fmac_f32_e32 v8, v31, v14
	v_fmac_f32_e32 v9, v30, v14
	;; [unrolled: 1-line block ×4, first 2 shown]
	s_delay_alu instid0(VALU_DEP_4) | instskip(NEXT) | instid1(VALU_DEP_4)
	v_fmac_f32_e32 v8, v33, v15
	v_fmac_f32_e32 v9, v32, v15
	s_delay_alu instid0(VALU_DEP_4) | instskip(NEXT) | instid1(VALU_DEP_4)
	v_fmac_f32_e32 v1, v33, v19
	v_fmac_f32_e32 v0, v32, v19
	;; [unrolled: 3-line block ×14, first 2 shown]
	s_cbranch_vccz .LBB1391_2
.LBB1391_3:
	v_add_nc_u32_e32 v7, s19, v7
	s_load_b32 s4, s[0:1], 0x0
	s_delay_alu instid0(VALU_DEP_1) | instskip(SKIP_2) | instid1(VALU_DEP_3)
	v_ashrrev_i32_e32 v2, 31, v7
	v_mul_lo_u32 v5, v7, s7
	v_mad_u64_u32 v[3:4], null, v7, s6, 0
	v_mul_lo_u32 v2, v2, s6
	s_delay_alu instid0(VALU_DEP_1) | instskip(SKIP_3) | instid1(VALU_DEP_3)
	v_add3_u32 v4, v4, v5, v2
	v_add_nc_u32_e32 v2, s18, v6
	s_waitcnt lgkmcnt(0)
	v_cmp_gt_i32_e32 vcc_lo, s4, v7
	v_lshlrev_b64 v[3:4], 2, v[3:4]
	s_delay_alu instid0(VALU_DEP_3) | instskip(NEXT) | instid1(VALU_DEP_1)
	v_cmp_le_i32_e64 s0, v2, v7
	s_and_b32 s0, vcc_lo, s0
	s_delay_alu instid0(VALU_DEP_2) | instskip(NEXT) | instid1(VALU_DEP_1)
	v_add_co_u32 v6, s1, s2, v3
	v_add_co_ci_u32_e64 v10, s1, s3, v4, s1
	s_and_saveexec_b32 s1, s0
	s_cbranch_execz .LBB1391_5
; %bb.4:
	v_ashrrev_i32_e32 v3, 31, v2
	s_delay_alu instid0(VALU_DEP_1) | instskip(NEXT) | instid1(VALU_DEP_1)
	v_lshlrev_b64 v[3:4], 2, v[2:3]
	v_add_co_u32 v3, s0, v6, v3
	s_delay_alu instid0(VALU_DEP_1)
	v_add_co_ci_u32_e64 v4, s0, v10, v4, s0
	global_load_b32 v5, v[3:4], off
	s_waitcnt vmcnt(0)
	v_add_f32_e32 v5, v9, v5
	global_store_b32 v[3:4], v5, off
.LBB1391_5:
	s_or_b32 exec_lo, exec_lo, s1
	v_add_nc_u32_e32 v4, 16, v2
	s_delay_alu instid0(VALU_DEP_1) | instskip(NEXT) | instid1(VALU_DEP_1)
	v_cmp_le_i32_e64 s0, v4, v7
	s_and_b32 s1, vcc_lo, s0
	s_delay_alu instid0(SALU_CYCLE_1)
	s_and_saveexec_b32 s0, s1
	s_cbranch_execz .LBB1391_7
; %bb.6:
	v_ashrrev_i32_e32 v5, 31, v4
	s_delay_alu instid0(VALU_DEP_1) | instskip(NEXT) | instid1(VALU_DEP_1)
	v_lshlrev_b64 v[11:12], 2, v[4:5]
	v_add_co_u32 v5, vcc_lo, v6, v11
	s_delay_alu instid0(VALU_DEP_2)
	v_add_co_ci_u32_e32 v6, vcc_lo, v10, v12, vcc_lo
	global_load_b32 v3, v[5:6], off
	s_waitcnt vmcnt(0)
	v_add_f32_e32 v3, v8, v3
	global_store_b32 v[5:6], v3, off
.LBB1391_7:
	s_or_b32 exec_lo, exec_lo, s0
	v_add_nc_u32_e32 v5, 16, v7
	s_delay_alu instid0(VALU_DEP_1) | instskip(SKIP_3) | instid1(VALU_DEP_4)
	v_ashrrev_i32_e32 v3, 31, v5
	v_mul_lo_u32 v8, v5, s7
	v_mad_u64_u32 v[6:7], null, v5, s6, 0
	v_cmp_gt_i32_e32 vcc_lo, s4, v5
	v_mul_lo_u32 v3, v3, s6
	v_cmp_le_i32_e64 s0, v2, v5
	s_delay_alu instid0(VALU_DEP_1) | instskip(NEXT) | instid1(VALU_DEP_2)
	s_and_b32 s0, vcc_lo, s0
	v_add3_u32 v7, v7, v8, v3
	s_delay_alu instid0(VALU_DEP_1) | instskip(NEXT) | instid1(VALU_DEP_1)
	v_lshlrev_b64 v[6:7], 2, v[6:7]
	v_add_co_u32 v6, s1, s2, v6
	s_delay_alu instid0(VALU_DEP_1)
	v_add_co_ci_u32_e64 v7, s1, s3, v7, s1
	s_and_saveexec_b32 s1, s0
	s_cbranch_execz .LBB1391_9
; %bb.8:
	v_ashrrev_i32_e32 v3, 31, v2
	s_delay_alu instid0(VALU_DEP_1) | instskip(NEXT) | instid1(VALU_DEP_1)
	v_lshlrev_b64 v[2:3], 2, v[2:3]
	v_add_co_u32 v2, s0, v6, v2
	s_delay_alu instid0(VALU_DEP_1)
	v_add_co_ci_u32_e64 v3, s0, v7, v3, s0
	global_load_b32 v8, v[2:3], off
	s_waitcnt vmcnt(0)
	v_add_f32_e32 v0, v0, v8
	global_store_b32 v[2:3], v0, off
.LBB1391_9:
	s_or_b32 exec_lo, exec_lo, s1
	v_cmp_le_i32_e64 s0, v4, v5
	s_delay_alu instid0(VALU_DEP_1) | instskip(NEXT) | instid1(SALU_CYCLE_1)
	s_and_b32 s0, vcc_lo, s0
	s_and_saveexec_b32 s1, s0
	s_cbranch_execz .LBB1391_11
; %bb.10:
	v_ashrrev_i32_e32 v5, 31, v4
	s_delay_alu instid0(VALU_DEP_1) | instskip(NEXT) | instid1(VALU_DEP_1)
	v_lshlrev_b64 v[2:3], 2, v[4:5]
	v_add_co_u32 v2, vcc_lo, v6, v2
	s_delay_alu instid0(VALU_DEP_2)
	v_add_co_ci_u32_e32 v3, vcc_lo, v7, v3, vcc_lo
	global_load_b32 v0, v[2:3], off
	s_waitcnt vmcnt(0)
	v_add_f32_e32 v0, v1, v0
	global_store_b32 v[2:3], v0, off
.LBB1391_11:
	s_nop 0
	s_sendmsg sendmsg(MSG_DEALLOC_VGPRS)
	s_endpgm
	.section	.rodata,"a",@progbits
	.p2align	6, 0x0
	.amdhsa_kernel _ZL37rocblas_syrkx_herkx_restricted_kernelIlfLi16ELi32ELi8ELi1ELi1ELb0ELc84ELc85EKPKfKPfEviT_PT9_S5_lS7_S5_lPT10_S5_li
		.amdhsa_group_segment_fixed_size 2048
		.amdhsa_private_segment_fixed_size 0
		.amdhsa_kernarg_size 92
		.amdhsa_user_sgpr_count 13
		.amdhsa_user_sgpr_dispatch_ptr 0
		.amdhsa_user_sgpr_queue_ptr 0
		.amdhsa_user_sgpr_kernarg_segment_ptr 1
		.amdhsa_user_sgpr_dispatch_id 0
		.amdhsa_user_sgpr_private_segment_size 0
		.amdhsa_wavefront_size32 1
		.amdhsa_uses_dynamic_stack 0
		.amdhsa_enable_private_segment 0
		.amdhsa_system_sgpr_workgroup_id_x 1
		.amdhsa_system_sgpr_workgroup_id_y 1
		.amdhsa_system_sgpr_workgroup_id_z 1
		.amdhsa_system_sgpr_workgroup_info 0
		.amdhsa_system_vgpr_workitem_id 1
		.amdhsa_next_free_vgpr 46
		.amdhsa_next_free_sgpr 20
		.amdhsa_reserve_vcc 1
		.amdhsa_float_round_mode_32 0
		.amdhsa_float_round_mode_16_64 0
		.amdhsa_float_denorm_mode_32 3
		.amdhsa_float_denorm_mode_16_64 3
		.amdhsa_dx10_clamp 1
		.amdhsa_ieee_mode 1
		.amdhsa_fp16_overflow 0
		.amdhsa_workgroup_processor_mode 1
		.amdhsa_memory_ordered 1
		.amdhsa_forward_progress 0
		.amdhsa_shared_vgpr_count 0
		.amdhsa_exception_fp_ieee_invalid_op 0
		.amdhsa_exception_fp_denorm_src 0
		.amdhsa_exception_fp_ieee_div_zero 0
		.amdhsa_exception_fp_ieee_overflow 0
		.amdhsa_exception_fp_ieee_underflow 0
		.amdhsa_exception_fp_ieee_inexact 0
		.amdhsa_exception_int_div_zero 0
	.end_amdhsa_kernel
	.section	.text._ZL37rocblas_syrkx_herkx_restricted_kernelIlfLi16ELi32ELi8ELi1ELi1ELb0ELc84ELc85EKPKfKPfEviT_PT9_S5_lS7_S5_lPT10_S5_li,"axG",@progbits,_ZL37rocblas_syrkx_herkx_restricted_kernelIlfLi16ELi32ELi8ELi1ELi1ELb0ELc84ELc85EKPKfKPfEviT_PT9_S5_lS7_S5_lPT10_S5_li,comdat
.Lfunc_end1391:
	.size	_ZL37rocblas_syrkx_herkx_restricted_kernelIlfLi16ELi32ELi8ELi1ELi1ELb0ELc84ELc85EKPKfKPfEviT_PT9_S5_lS7_S5_lPT10_S5_li, .Lfunc_end1391-_ZL37rocblas_syrkx_herkx_restricted_kernelIlfLi16ELi32ELi8ELi1ELi1ELb0ELc84ELc85EKPKfKPfEviT_PT9_S5_lS7_S5_lPT10_S5_li
                                        ; -- End function
	.section	.AMDGPU.csdata,"",@progbits
; Kernel info:
; codeLenInByte = 1352
; NumSgprs: 22
; NumVgprs: 46
; ScratchSize: 0
; MemoryBound: 0
; FloatMode: 240
; IeeeMode: 1
; LDSByteSize: 2048 bytes/workgroup (compile time only)
; SGPRBlocks: 2
; VGPRBlocks: 5
; NumSGPRsForWavesPerEU: 22
; NumVGPRsForWavesPerEU: 46
; Occupancy: 16
; WaveLimiterHint : 1
; COMPUTE_PGM_RSRC2:SCRATCH_EN: 0
; COMPUTE_PGM_RSRC2:USER_SGPR: 13
; COMPUTE_PGM_RSRC2:TRAP_HANDLER: 0
; COMPUTE_PGM_RSRC2:TGID_X_EN: 1
; COMPUTE_PGM_RSRC2:TGID_Y_EN: 1
; COMPUTE_PGM_RSRC2:TGID_Z_EN: 1
; COMPUTE_PGM_RSRC2:TIDIG_COMP_CNT: 1
	.section	.text._ZL37rocblas_syrkx_herkx_restricted_kernelIlfLi16ELi32ELi8ELi1ELi1ELb0ELc67ELc85EKPKfKPfEviT_PT9_S5_lS7_S5_lPT10_S5_li,"axG",@progbits,_ZL37rocblas_syrkx_herkx_restricted_kernelIlfLi16ELi32ELi8ELi1ELi1ELb0ELc67ELc85EKPKfKPfEviT_PT9_S5_lS7_S5_lPT10_S5_li,comdat
	.globl	_ZL37rocblas_syrkx_herkx_restricted_kernelIlfLi16ELi32ELi8ELi1ELi1ELb0ELc67ELc85EKPKfKPfEviT_PT9_S5_lS7_S5_lPT10_S5_li ; -- Begin function _ZL37rocblas_syrkx_herkx_restricted_kernelIlfLi16ELi32ELi8ELi1ELi1ELb0ELc67ELc85EKPKfKPfEviT_PT9_S5_lS7_S5_lPT10_S5_li
	.p2align	8
	.type	_ZL37rocblas_syrkx_herkx_restricted_kernelIlfLi16ELi32ELi8ELi1ELi1ELb0ELc67ELc85EKPKfKPfEviT_PT9_S5_lS7_S5_lPT10_S5_li,@function
_ZL37rocblas_syrkx_herkx_restricted_kernelIlfLi16ELi32ELi8ELi1ELi1ELb0ELc67ELc85EKPKfKPfEviT_PT9_S5_lS7_S5_lPT10_S5_li: ; @_ZL37rocblas_syrkx_herkx_restricted_kernelIlfLi16ELi32ELi8ELi1ELi1ELb0ELc67ELc85EKPKfKPfEviT_PT9_S5_lS7_S5_lPT10_S5_li
; %bb.0:
	s_clause 0x1
	s_load_b128 s[4:7], s[0:1], 0x40
	s_load_b128 s[8:11], s[0:1], 0x8
	s_mov_b32 s2, s15
	s_mov_b32 s3, 0
	v_dual_mov_b32 v9, 0 :: v_dual_and_b32 v6, 0x3ff, v0
	s_lshl_b64 s[16:17], s[2:3], 3
	v_bfe_u32 v7, v0, 10, 10
	v_dual_mov_b32 v8, 0 :: v_dual_mov_b32 v1, 0
	v_mov_b32_e32 v0, 0
	s_waitcnt lgkmcnt(0)
	s_add_u32 s2, s4, s16
	s_addc_u32 s3, s5, s17
	v_cmp_lt_i64_e64 s4, s[8:9], 1
	s_load_b64 s[2:3], s[2:3], 0x0
	s_lshl_b32 s18, s13, 5
	s_lshl_b32 s19, s14, 5
	s_delay_alu instid0(VALU_DEP_1)
	s_and_b32 vcc_lo, exec_lo, s4
	s_cbranch_vccnz .LBB1392_3
; %bb.1:
	s_clause 0x1
	s_load_b128 s[12:15], s[0:1], 0x28
	s_load_b64 s[4:5], s[0:1], 0x18
	v_lshl_add_u32 v2, v7, 4, v6
	s_add_u32 s10, s10, s16
	s_addc_u32 s11, s11, s17
	v_dual_mov_b32 v1, 0 :: v_dual_and_b32 v0, 7, v6
	s_delay_alu instid0(VALU_DEP_2) | instskip(SKIP_2) | instid1(VALU_DEP_4)
	v_lshrrev_b32_e32 v11, 3, v2
	v_and_b32_e32 v12, 31, v2
	v_lshrrev_b32_e32 v2, 5, v2
	v_mov_b32_e32 v3, v1
	s_load_b64 s[10:11], s[10:11], 0x0
	v_add_nc_u32_e32 v10, s19, v11
	v_add_nc_u32_e32 v8, s18, v12
	v_lshlrev_b32_e32 v12, 2, v12
	s_delay_alu instid0(VALU_DEP_3) | instskip(NEXT) | instid1(VALU_DEP_3)
	v_ashrrev_i32_e32 v4, 31, v10
	v_ashrrev_i32_e32 v5, 31, v8
	s_delay_alu instid0(VALU_DEP_3)
	v_lshl_or_b32 v12, v2, 7, v12
	s_waitcnt lgkmcnt(0)
	s_add_u32 s12, s12, s16
	s_addc_u32 s13, s13, s17
	v_mul_lo_u32 v13, v4, s14
	v_mul_lo_u32 v14, s4, v5
	v_mad_u64_u32 v[4:5], null, s4, v8, v[2:3]
	v_mul_lo_u32 v3, s5, v8
	s_load_b64 s[4:5], s[12:13], 0x0
	v_mul_lo_u32 v15, v10, s15
	v_mad_u64_u32 v[8:9], null, v10, s14, v[0:1]
	v_lshlrev_b32_e32 v0, 2, v0
	v_lshlrev_b32_e32 v10, 2, v6
	v_add3_u32 v5, v3, v5, v14
	s_delay_alu instid0(VALU_DEP_3) | instskip(SKIP_2) | instid1(VALU_DEP_4)
	v_lshl_or_b32 v0, v11, 5, v0
	v_add3_u32 v9, v13, v9, v15
	v_lshl_add_u32 v11, v7, 5, 0x400
	v_lshlrev_b64 v[3:4], 2, v[4:5]
	s_delay_alu instid0(VALU_DEP_4) | instskip(NEXT) | instid1(VALU_DEP_4)
	v_dual_mov_b32 v0, v1 :: v_dual_add_nc_u32 v13, 0x400, v0
	v_lshlrev_b64 v[8:9], 2, v[8:9]
	s_delay_alu instid0(VALU_DEP_3) | instskip(NEXT) | instid1(VALU_DEP_4)
	v_add_co_u32 v2, vcc_lo, s10, v3
	v_add_co_ci_u32_e32 v3, vcc_lo, s11, v4, vcc_lo
	s_waitcnt lgkmcnt(0)
	s_delay_alu instid0(VALU_DEP_3) | instskip(NEXT) | instid1(VALU_DEP_4)
	v_add_co_u32 v4, vcc_lo, s4, v8
	v_add_co_ci_u32_e32 v5, vcc_lo, s5, v9, vcc_lo
	v_mov_b32_e32 v8, v1
	v_mov_b32_e32 v9, v1
	s_mov_b64 s[4:5], 0
.LBB1392_2:                             ; =>This Inner Loop Header: Depth=1
	global_load_b32 v14, v[2:3], off
	global_load_b32 v15, v[4:5], off
	s_add_u32 s4, s4, 8
	v_add_co_u32 v2, vcc_lo, v2, 32
	s_addc_u32 s5, s5, 0
	v_add_co_ci_u32_e32 v3, vcc_lo, 0, v3, vcc_lo
	v_cmp_ge_u64_e64 s10, s[4:5], s[8:9]
	v_add_co_u32 v4, vcc_lo, v4, 32
	v_add_co_ci_u32_e32 v5, vcc_lo, 0, v5, vcc_lo
	s_waitcnt vmcnt(1)
	ds_store_b32 v12, v14
	s_waitcnt vmcnt(0)
	ds_store_b32 v13, v15
	s_waitcnt lgkmcnt(0)
	s_barrier
	buffer_gl0_inv
	ds_load_2addr_b32 v[30:31], v10 offset1:16
	ds_load_b128 v[14:17], v11
	ds_load_b128 v[18:21], v11 offset:512
	ds_load_2addr_b32 v[32:33], v10 offset0:32 offset1:48
	ds_load_2addr_b32 v[34:35], v10 offset0:64 offset1:80
	ds_load_b128 v[22:25], v11 offset:16
	ds_load_2addr_b32 v[36:37], v10 offset0:96 offset1:112
	ds_load_2addr_b32 v[38:39], v10 offset0:128 offset1:144
	;; [unrolled: 3-line block ×3, first 2 shown]
	ds_load_2addr_b32 v[44:45], v10 offset0:224 offset1:240
	s_and_b32 vcc_lo, exec_lo, s10
	s_waitcnt lgkmcnt(0)
	s_barrier
	buffer_gl0_inv
	v_fmac_f32_e32 v8, v31, v14
	v_fmac_f32_e32 v9, v30, v14
	;; [unrolled: 1-line block ×4, first 2 shown]
	s_delay_alu instid0(VALU_DEP_4) | instskip(NEXT) | instid1(VALU_DEP_4)
	v_fmac_f32_e32 v8, v33, v15
	v_fmac_f32_e32 v9, v32, v15
	s_delay_alu instid0(VALU_DEP_4) | instskip(NEXT) | instid1(VALU_DEP_4)
	v_fmac_f32_e32 v1, v33, v19
	v_fmac_f32_e32 v0, v32, v19
	;; [unrolled: 3-line block ×14, first 2 shown]
	s_cbranch_vccz .LBB1392_2
.LBB1392_3:
	v_add_nc_u32_e32 v7, s19, v7
	s_load_b32 s4, s[0:1], 0x0
	s_delay_alu instid0(VALU_DEP_1) | instskip(SKIP_2) | instid1(VALU_DEP_3)
	v_ashrrev_i32_e32 v2, 31, v7
	v_mul_lo_u32 v5, v7, s7
	v_mad_u64_u32 v[3:4], null, v7, s6, 0
	v_mul_lo_u32 v2, v2, s6
	s_delay_alu instid0(VALU_DEP_1) | instskip(SKIP_3) | instid1(VALU_DEP_3)
	v_add3_u32 v4, v4, v5, v2
	v_add_nc_u32_e32 v2, s18, v6
	s_waitcnt lgkmcnt(0)
	v_cmp_gt_i32_e32 vcc_lo, s4, v7
	v_lshlrev_b64 v[3:4], 2, v[3:4]
	s_delay_alu instid0(VALU_DEP_3) | instskip(NEXT) | instid1(VALU_DEP_1)
	v_cmp_le_i32_e64 s0, v2, v7
	s_and_b32 s0, vcc_lo, s0
	s_delay_alu instid0(VALU_DEP_2) | instskip(NEXT) | instid1(VALU_DEP_1)
	v_add_co_u32 v6, s1, s2, v3
	v_add_co_ci_u32_e64 v10, s1, s3, v4, s1
	s_and_saveexec_b32 s1, s0
	s_cbranch_execz .LBB1392_5
; %bb.4:
	v_ashrrev_i32_e32 v3, 31, v2
	s_delay_alu instid0(VALU_DEP_1) | instskip(NEXT) | instid1(VALU_DEP_1)
	v_lshlrev_b64 v[3:4], 2, v[2:3]
	v_add_co_u32 v3, s0, v6, v3
	s_delay_alu instid0(VALU_DEP_1)
	v_add_co_ci_u32_e64 v4, s0, v10, v4, s0
	global_load_b32 v5, v[3:4], off
	s_waitcnt vmcnt(0)
	v_add_f32_e32 v5, v9, v5
	global_store_b32 v[3:4], v5, off
.LBB1392_5:
	s_or_b32 exec_lo, exec_lo, s1
	v_add_nc_u32_e32 v4, 16, v2
	s_delay_alu instid0(VALU_DEP_1) | instskip(NEXT) | instid1(VALU_DEP_1)
	v_cmp_le_i32_e64 s0, v4, v7
	s_and_b32 s1, vcc_lo, s0
	s_delay_alu instid0(SALU_CYCLE_1)
	s_and_saveexec_b32 s0, s1
	s_cbranch_execz .LBB1392_7
; %bb.6:
	v_ashrrev_i32_e32 v5, 31, v4
	s_delay_alu instid0(VALU_DEP_1) | instskip(NEXT) | instid1(VALU_DEP_1)
	v_lshlrev_b64 v[11:12], 2, v[4:5]
	v_add_co_u32 v5, vcc_lo, v6, v11
	s_delay_alu instid0(VALU_DEP_2)
	v_add_co_ci_u32_e32 v6, vcc_lo, v10, v12, vcc_lo
	global_load_b32 v3, v[5:6], off
	s_waitcnt vmcnt(0)
	v_add_f32_e32 v3, v8, v3
	global_store_b32 v[5:6], v3, off
.LBB1392_7:
	s_or_b32 exec_lo, exec_lo, s0
	v_add_nc_u32_e32 v5, 16, v7
	s_delay_alu instid0(VALU_DEP_1) | instskip(SKIP_3) | instid1(VALU_DEP_4)
	v_ashrrev_i32_e32 v3, 31, v5
	v_mul_lo_u32 v8, v5, s7
	v_mad_u64_u32 v[6:7], null, v5, s6, 0
	v_cmp_gt_i32_e32 vcc_lo, s4, v5
	v_mul_lo_u32 v3, v3, s6
	v_cmp_le_i32_e64 s0, v2, v5
	s_delay_alu instid0(VALU_DEP_1) | instskip(NEXT) | instid1(VALU_DEP_2)
	s_and_b32 s0, vcc_lo, s0
	v_add3_u32 v7, v7, v8, v3
	s_delay_alu instid0(VALU_DEP_1) | instskip(NEXT) | instid1(VALU_DEP_1)
	v_lshlrev_b64 v[6:7], 2, v[6:7]
	v_add_co_u32 v6, s1, s2, v6
	s_delay_alu instid0(VALU_DEP_1)
	v_add_co_ci_u32_e64 v7, s1, s3, v7, s1
	s_and_saveexec_b32 s1, s0
	s_cbranch_execz .LBB1392_9
; %bb.8:
	v_ashrrev_i32_e32 v3, 31, v2
	s_delay_alu instid0(VALU_DEP_1) | instskip(NEXT) | instid1(VALU_DEP_1)
	v_lshlrev_b64 v[2:3], 2, v[2:3]
	v_add_co_u32 v2, s0, v6, v2
	s_delay_alu instid0(VALU_DEP_1)
	v_add_co_ci_u32_e64 v3, s0, v7, v3, s0
	global_load_b32 v8, v[2:3], off
	s_waitcnt vmcnt(0)
	v_add_f32_e32 v0, v0, v8
	global_store_b32 v[2:3], v0, off
.LBB1392_9:
	s_or_b32 exec_lo, exec_lo, s1
	v_cmp_le_i32_e64 s0, v4, v5
	s_delay_alu instid0(VALU_DEP_1) | instskip(NEXT) | instid1(SALU_CYCLE_1)
	s_and_b32 s0, vcc_lo, s0
	s_and_saveexec_b32 s1, s0
	s_cbranch_execz .LBB1392_11
; %bb.10:
	v_ashrrev_i32_e32 v5, 31, v4
	s_delay_alu instid0(VALU_DEP_1) | instskip(NEXT) | instid1(VALU_DEP_1)
	v_lshlrev_b64 v[2:3], 2, v[4:5]
	v_add_co_u32 v2, vcc_lo, v6, v2
	s_delay_alu instid0(VALU_DEP_2)
	v_add_co_ci_u32_e32 v3, vcc_lo, v7, v3, vcc_lo
	global_load_b32 v0, v[2:3], off
	s_waitcnt vmcnt(0)
	v_add_f32_e32 v0, v1, v0
	global_store_b32 v[2:3], v0, off
.LBB1392_11:
	s_nop 0
	s_sendmsg sendmsg(MSG_DEALLOC_VGPRS)
	s_endpgm
	.section	.rodata,"a",@progbits
	.p2align	6, 0x0
	.amdhsa_kernel _ZL37rocblas_syrkx_herkx_restricted_kernelIlfLi16ELi32ELi8ELi1ELi1ELb0ELc67ELc85EKPKfKPfEviT_PT9_S5_lS7_S5_lPT10_S5_li
		.amdhsa_group_segment_fixed_size 2048
		.amdhsa_private_segment_fixed_size 0
		.amdhsa_kernarg_size 92
		.amdhsa_user_sgpr_count 13
		.amdhsa_user_sgpr_dispatch_ptr 0
		.amdhsa_user_sgpr_queue_ptr 0
		.amdhsa_user_sgpr_kernarg_segment_ptr 1
		.amdhsa_user_sgpr_dispatch_id 0
		.amdhsa_user_sgpr_private_segment_size 0
		.amdhsa_wavefront_size32 1
		.amdhsa_uses_dynamic_stack 0
		.amdhsa_enable_private_segment 0
		.amdhsa_system_sgpr_workgroup_id_x 1
		.amdhsa_system_sgpr_workgroup_id_y 1
		.amdhsa_system_sgpr_workgroup_id_z 1
		.amdhsa_system_sgpr_workgroup_info 0
		.amdhsa_system_vgpr_workitem_id 1
		.amdhsa_next_free_vgpr 46
		.amdhsa_next_free_sgpr 20
		.amdhsa_reserve_vcc 1
		.amdhsa_float_round_mode_32 0
		.amdhsa_float_round_mode_16_64 0
		.amdhsa_float_denorm_mode_32 3
		.amdhsa_float_denorm_mode_16_64 3
		.amdhsa_dx10_clamp 1
		.amdhsa_ieee_mode 1
		.amdhsa_fp16_overflow 0
		.amdhsa_workgroup_processor_mode 1
		.amdhsa_memory_ordered 1
		.amdhsa_forward_progress 0
		.amdhsa_shared_vgpr_count 0
		.amdhsa_exception_fp_ieee_invalid_op 0
		.amdhsa_exception_fp_denorm_src 0
		.amdhsa_exception_fp_ieee_div_zero 0
		.amdhsa_exception_fp_ieee_overflow 0
		.amdhsa_exception_fp_ieee_underflow 0
		.amdhsa_exception_fp_ieee_inexact 0
		.amdhsa_exception_int_div_zero 0
	.end_amdhsa_kernel
	.section	.text._ZL37rocblas_syrkx_herkx_restricted_kernelIlfLi16ELi32ELi8ELi1ELi1ELb0ELc67ELc85EKPKfKPfEviT_PT9_S5_lS7_S5_lPT10_S5_li,"axG",@progbits,_ZL37rocblas_syrkx_herkx_restricted_kernelIlfLi16ELi32ELi8ELi1ELi1ELb0ELc67ELc85EKPKfKPfEviT_PT9_S5_lS7_S5_lPT10_S5_li,comdat
.Lfunc_end1392:
	.size	_ZL37rocblas_syrkx_herkx_restricted_kernelIlfLi16ELi32ELi8ELi1ELi1ELb0ELc67ELc85EKPKfKPfEviT_PT9_S5_lS7_S5_lPT10_S5_li, .Lfunc_end1392-_ZL37rocblas_syrkx_herkx_restricted_kernelIlfLi16ELi32ELi8ELi1ELi1ELb0ELc67ELc85EKPKfKPfEviT_PT9_S5_lS7_S5_lPT10_S5_li
                                        ; -- End function
	.section	.AMDGPU.csdata,"",@progbits
; Kernel info:
; codeLenInByte = 1352
; NumSgprs: 22
; NumVgprs: 46
; ScratchSize: 0
; MemoryBound: 0
; FloatMode: 240
; IeeeMode: 1
; LDSByteSize: 2048 bytes/workgroup (compile time only)
; SGPRBlocks: 2
; VGPRBlocks: 5
; NumSGPRsForWavesPerEU: 22
; NumVGPRsForWavesPerEU: 46
; Occupancy: 16
; WaveLimiterHint : 1
; COMPUTE_PGM_RSRC2:SCRATCH_EN: 0
; COMPUTE_PGM_RSRC2:USER_SGPR: 13
; COMPUTE_PGM_RSRC2:TRAP_HANDLER: 0
; COMPUTE_PGM_RSRC2:TGID_X_EN: 1
; COMPUTE_PGM_RSRC2:TGID_Y_EN: 1
; COMPUTE_PGM_RSRC2:TGID_Z_EN: 1
; COMPUTE_PGM_RSRC2:TIDIG_COMP_CNT: 1
	.section	.text._ZL37rocblas_syrkx_herkx_restricted_kernelIlfLi16ELi32ELi8ELi1ELi1ELb0ELc78ELc85EKPKfKPfEviT_PT9_S5_lS7_S5_lPT10_S5_li,"axG",@progbits,_ZL37rocblas_syrkx_herkx_restricted_kernelIlfLi16ELi32ELi8ELi1ELi1ELb0ELc78ELc85EKPKfKPfEviT_PT9_S5_lS7_S5_lPT10_S5_li,comdat
	.globl	_ZL37rocblas_syrkx_herkx_restricted_kernelIlfLi16ELi32ELi8ELi1ELi1ELb0ELc78ELc85EKPKfKPfEviT_PT9_S5_lS7_S5_lPT10_S5_li ; -- Begin function _ZL37rocblas_syrkx_herkx_restricted_kernelIlfLi16ELi32ELi8ELi1ELi1ELb0ELc78ELc85EKPKfKPfEviT_PT9_S5_lS7_S5_lPT10_S5_li
	.p2align	8
	.type	_ZL37rocblas_syrkx_herkx_restricted_kernelIlfLi16ELi32ELi8ELi1ELi1ELb0ELc78ELc85EKPKfKPfEviT_PT9_S5_lS7_S5_lPT10_S5_li,@function
_ZL37rocblas_syrkx_herkx_restricted_kernelIlfLi16ELi32ELi8ELi1ELi1ELb0ELc78ELc85EKPKfKPfEviT_PT9_S5_lS7_S5_lPT10_S5_li: ; @_ZL37rocblas_syrkx_herkx_restricted_kernelIlfLi16ELi32ELi8ELi1ELi1ELb0ELc78ELc85EKPKfKPfEviT_PT9_S5_lS7_S5_lPT10_S5_li
; %bb.0:
	s_clause 0x1
	s_load_b128 s[4:7], s[0:1], 0x40
	s_load_b128 s[8:11], s[0:1], 0x8
	s_mov_b32 s2, s15
	s_mov_b32 s3, 0
	v_dual_mov_b32 v8, 0 :: v_dual_and_b32 v5, 0x3ff, v0
	s_lshl_b64 s[16:17], s[2:3], 3
	v_bfe_u32 v6, v0, 10, 10
	v_dual_mov_b32 v9, 0 :: v_dual_mov_b32 v4, 0
	v_mov_b32_e32 v7, 0
	s_waitcnt lgkmcnt(0)
	s_add_u32 s2, s4, s16
	s_addc_u32 s3, s5, s17
	v_cmp_lt_i64_e64 s4, s[8:9], 1
	s_load_b64 s[2:3], s[2:3], 0x0
	s_lshl_b32 s18, s13, 5
	s_lshl_b32 s19, s14, 5
	s_delay_alu instid0(VALU_DEP_1)
	s_and_b32 vcc_lo, exec_lo, s4
	s_cbranch_vccnz .LBB1393_3
; %bb.1:
	v_lshl_add_u32 v1, v6, 4, v5
	s_clause 0x1
	s_load_b64 s[4:5], s[0:1], 0x18
	s_load_b128 s[12:15], s[0:1], 0x28
	s_add_u32 s10, s10, s16
	s_addc_u32 s11, s11, s17
	v_lshlrev_b32_e32 v10, 2, v5
	v_and_b32_e32 v14, 31, v1
	v_lshrrev_b32_e32 v15, 3, v1
	v_lshrrev_b32_e32 v16, 5, v1
	s_load_b64 s[10:11], s[10:11], 0x0
	v_lshl_add_u32 v11, v6, 5, 0x400
	v_add_nc_u32_e32 v0, s18, v14
	v_add_nc_u32_e32 v2, s19, v15
	s_delay_alu instid0(VALU_DEP_2) | instskip(NEXT) | instid1(VALU_DEP_2)
	v_ashrrev_i32_e32 v1, 31, v0
	v_ashrrev_i32_e32 v3, 31, v2
	s_waitcnt lgkmcnt(0)
	s_delay_alu instid0(VALU_DEP_2) | instskip(SKIP_4) | instid1(VALU_DEP_1)
	v_mad_u64_u32 v[8:9], null, v16, s4, v[0:1]
	v_and_b32_e32 v7, 7, v5
	s_add_u32 s12, s12, s16
	s_addc_u32 s13, s13, s17
	s_load_b64 s[12:13], s[12:13], 0x0
	v_mad_u64_u32 v[0:1], null, v7, s14, v[2:3]
	s_delay_alu instid0(VALU_DEP_3) | instskip(NEXT) | instid1(VALU_DEP_1)
	v_mov_b32_e32 v2, v9
	v_mad_u64_u32 v[3:4], null, v16, s5, v[2:3]
	s_delay_alu instid0(VALU_DEP_3) | instskip(SKIP_3) | instid1(VALU_DEP_4)
	v_mad_u64_u32 v[12:13], null, v7, s15, v[1:2]
	v_dual_mov_b32 v4, 0 :: v_dual_lshlrev_b32 v1, 2, v7
	v_mov_b32_e32 v7, 0
	s_lshl_b64 s[4:5], s[4:5], 5
	v_mov_b32_e32 v9, v3
	v_lshlrev_b32_e32 v13, 2, v14
	v_lshl_or_b32 v14, v15, 5, v1
	v_mov_b32_e32 v1, v12
	s_delay_alu instid0(VALU_DEP_4)
	v_lshlrev_b64 v[2:3], 2, v[8:9]
	v_mov_b32_e32 v8, 0
	v_lshl_or_b32 v12, v16, 7, v13
	v_add_nc_u32_e32 v13, 0x400, v14
	v_lshlrev_b64 v[14:15], 2, v[0:1]
	v_mov_b32_e32 v9, 0
	v_add_co_u32 v0, vcc_lo, s10, v2
	v_add_co_ci_u32_e32 v1, vcc_lo, s11, v3, vcc_lo
	s_waitcnt lgkmcnt(0)
	s_delay_alu instid0(VALU_DEP_4)
	v_add_co_u32 v2, vcc_lo, s12, v14
	v_add_co_ci_u32_e32 v3, vcc_lo, s13, v15, vcc_lo
	s_lshl_b64 s[10:11], s[14:15], 5
	s_mov_b64 s[12:13], 0
.LBB1393_2:                             ; =>This Inner Loop Header: Depth=1
	global_load_b32 v14, v[0:1], off
	global_load_b32 v15, v[2:3], off
	s_add_u32 s12, s12, 8
	v_add_co_u32 v0, vcc_lo, v0, s4
	s_addc_u32 s13, s13, 0
	v_add_co_ci_u32_e32 v1, vcc_lo, s5, v1, vcc_lo
	v_cmp_ge_u64_e64 s14, s[12:13], s[8:9]
	v_add_co_u32 v2, vcc_lo, v2, s10
	v_add_co_ci_u32_e32 v3, vcc_lo, s11, v3, vcc_lo
	s_waitcnt vmcnt(1)
	ds_store_b32 v12, v14
	s_waitcnt vmcnt(0)
	ds_store_b32 v13, v15
	s_waitcnt lgkmcnt(0)
	s_barrier
	buffer_gl0_inv
	ds_load_2addr_b32 v[30:31], v10 offset1:16
	ds_load_b128 v[14:17], v11
	ds_load_b128 v[18:21], v11 offset:512
	ds_load_2addr_b32 v[32:33], v10 offset0:32 offset1:48
	ds_load_2addr_b32 v[34:35], v10 offset0:64 offset1:80
	ds_load_b128 v[22:25], v11 offset:16
	ds_load_2addr_b32 v[36:37], v10 offset0:96 offset1:112
	ds_load_2addr_b32 v[38:39], v10 offset0:128 offset1:144
	;; [unrolled: 3-line block ×3, first 2 shown]
	ds_load_2addr_b32 v[44:45], v10 offset0:224 offset1:240
	s_and_b32 vcc_lo, exec_lo, s14
	s_waitcnt lgkmcnt(0)
	s_barrier
	buffer_gl0_inv
	v_fmac_f32_e32 v8, v31, v14
	v_fmac_f32_e32 v9, v30, v14
	;; [unrolled: 1-line block ×3, first 2 shown]
	s_delay_alu instid0(VALU_DEP_3) | instskip(NEXT) | instid1(VALU_DEP_3)
	v_dual_fmac_f32 v7, v30, v18 :: v_dual_fmac_f32 v8, v33, v15
	v_fmac_f32_e32 v9, v32, v15
	s_delay_alu instid0(VALU_DEP_3) | instskip(NEXT) | instid1(VALU_DEP_3)
	v_fmac_f32_e32 v4, v33, v19
	v_dual_fmac_f32 v7, v32, v19 :: v_dual_fmac_f32 v8, v35, v16
	s_delay_alu instid0(VALU_DEP_3) | instskip(NEXT) | instid1(VALU_DEP_3)
	v_fmac_f32_e32 v9, v34, v16
	v_fmac_f32_e32 v4, v35, v20
	s_delay_alu instid0(VALU_DEP_3) | instskip(NEXT) | instid1(VALU_DEP_3)
	v_dual_fmac_f32 v7, v34, v20 :: v_dual_fmac_f32 v8, v37, v17
	v_fmac_f32_e32 v9, v36, v17
	s_delay_alu instid0(VALU_DEP_3) | instskip(NEXT) | instid1(VALU_DEP_3)
	v_fmac_f32_e32 v4, v37, v21
	v_dual_fmac_f32 v7, v36, v21 :: v_dual_fmac_f32 v8, v39, v22
	s_delay_alu instid0(VALU_DEP_3) | instskip(NEXT) | instid1(VALU_DEP_3)
	v_fmac_f32_e32 v9, v38, v22
	v_fmac_f32_e32 v4, v39, v26
	;; [unrolled: 9-line block ×3, first 2 shown]
	s_delay_alu instid0(VALU_DEP_3) | instskip(NEXT) | instid1(VALU_DEP_3)
	v_dual_fmac_f32 v7, v42, v28 :: v_dual_fmac_f32 v8, v45, v25
	v_fmac_f32_e32 v9, v44, v25
	s_delay_alu instid0(VALU_DEP_3) | instskip(NEXT) | instid1(VALU_DEP_3)
	v_fmac_f32_e32 v4, v45, v29
	v_fmac_f32_e32 v7, v44, v29
	s_cbranch_vccz .LBB1393_2
.LBB1393_3:
	v_add_nc_u32_e32 v6, s19, v6
	s_load_b32 s4, s[0:1], 0x0
	s_delay_alu instid0(VALU_DEP_1) | instskip(SKIP_2) | instid1(VALU_DEP_3)
	v_ashrrev_i32_e32 v0, 31, v6
	v_mul_lo_u32 v3, v6, s7
	v_mad_u64_u32 v[1:2], null, v6, s6, 0
	v_mul_lo_u32 v0, v0, s6
	s_delay_alu instid0(VALU_DEP_1) | instskip(SKIP_3) | instid1(VALU_DEP_3)
	v_add3_u32 v2, v2, v3, v0
	v_add_nc_u32_e32 v0, s18, v5
	s_waitcnt lgkmcnt(0)
	v_cmp_gt_i32_e32 vcc_lo, s4, v6
	v_lshlrev_b64 v[1:2], 2, v[1:2]
	s_delay_alu instid0(VALU_DEP_3) | instskip(NEXT) | instid1(VALU_DEP_1)
	v_cmp_le_i32_e64 s0, v0, v6
	s_and_b32 s0, vcc_lo, s0
	s_delay_alu instid0(VALU_DEP_2) | instskip(NEXT) | instid1(VALU_DEP_1)
	v_add_co_u32 v5, s1, s2, v1
	v_add_co_ci_u32_e64 v10, s1, s3, v2, s1
	s_and_saveexec_b32 s1, s0
	s_cbranch_execz .LBB1393_5
; %bb.4:
	v_ashrrev_i32_e32 v1, 31, v0
	s_delay_alu instid0(VALU_DEP_1) | instskip(NEXT) | instid1(VALU_DEP_1)
	v_lshlrev_b64 v[1:2], 2, v[0:1]
	v_add_co_u32 v1, s0, v5, v1
	s_delay_alu instid0(VALU_DEP_1)
	v_add_co_ci_u32_e64 v2, s0, v10, v2, s0
	global_load_b32 v3, v[1:2], off
	s_waitcnt vmcnt(0)
	v_add_f32_e32 v3, v9, v3
	global_store_b32 v[1:2], v3, off
.LBB1393_5:
	s_or_b32 exec_lo, exec_lo, s1
	v_add_nc_u32_e32 v2, 16, v0
	s_delay_alu instid0(VALU_DEP_1) | instskip(NEXT) | instid1(VALU_DEP_1)
	v_cmp_le_i32_e64 s0, v2, v6
	s_and_b32 s1, vcc_lo, s0
	s_delay_alu instid0(SALU_CYCLE_1)
	s_and_saveexec_b32 s0, s1
	s_cbranch_execz .LBB1393_7
; %bb.6:
	v_ashrrev_i32_e32 v3, 31, v2
	s_delay_alu instid0(VALU_DEP_1) | instskip(NEXT) | instid1(VALU_DEP_1)
	v_lshlrev_b64 v[11:12], 2, v[2:3]
	v_add_co_u32 v9, vcc_lo, v5, v11
	s_delay_alu instid0(VALU_DEP_2)
	v_add_co_ci_u32_e32 v10, vcc_lo, v10, v12, vcc_lo
	global_load_b32 v1, v[9:10], off
	s_waitcnt vmcnt(0)
	v_add_f32_e32 v1, v8, v1
	global_store_b32 v[9:10], v1, off
.LBB1393_7:
	s_or_b32 exec_lo, exec_lo, s0
	v_add_nc_u32_e32 v3, 16, v6
	s_delay_alu instid0(VALU_DEP_1) | instskip(SKIP_3) | instid1(VALU_DEP_4)
	v_ashrrev_i32_e32 v1, 31, v3
	v_mul_lo_u32 v8, v3, s7
	v_mad_u64_u32 v[5:6], null, v3, s6, 0
	v_cmp_gt_i32_e32 vcc_lo, s4, v3
	v_mul_lo_u32 v1, v1, s6
	v_cmp_le_i32_e64 s0, v0, v3
	s_delay_alu instid0(VALU_DEP_1) | instskip(NEXT) | instid1(VALU_DEP_2)
	s_and_b32 s0, vcc_lo, s0
	v_add3_u32 v6, v6, v8, v1
	s_delay_alu instid0(VALU_DEP_1) | instskip(NEXT) | instid1(VALU_DEP_1)
	v_lshlrev_b64 v[5:6], 2, v[5:6]
	v_add_co_u32 v5, s1, s2, v5
	s_delay_alu instid0(VALU_DEP_1)
	v_add_co_ci_u32_e64 v6, s1, s3, v6, s1
	s_and_saveexec_b32 s1, s0
	s_cbranch_execz .LBB1393_9
; %bb.8:
	v_ashrrev_i32_e32 v1, 31, v0
	s_delay_alu instid0(VALU_DEP_1) | instskip(NEXT) | instid1(VALU_DEP_1)
	v_lshlrev_b64 v[0:1], 2, v[0:1]
	v_add_co_u32 v0, s0, v5, v0
	s_delay_alu instid0(VALU_DEP_1)
	v_add_co_ci_u32_e64 v1, s0, v6, v1, s0
	global_load_b32 v8, v[0:1], off
	s_waitcnt vmcnt(0)
	v_add_f32_e32 v7, v7, v8
	global_store_b32 v[0:1], v7, off
.LBB1393_9:
	s_or_b32 exec_lo, exec_lo, s1
	v_cmp_le_i32_e64 s0, v2, v3
	s_delay_alu instid0(VALU_DEP_1) | instskip(NEXT) | instid1(SALU_CYCLE_1)
	s_and_b32 s0, vcc_lo, s0
	s_and_saveexec_b32 s1, s0
	s_cbranch_execz .LBB1393_11
; %bb.10:
	v_ashrrev_i32_e32 v3, 31, v2
	s_delay_alu instid0(VALU_DEP_1) | instskip(NEXT) | instid1(VALU_DEP_1)
	v_lshlrev_b64 v[0:1], 2, v[2:3]
	v_add_co_u32 v0, vcc_lo, v5, v0
	s_delay_alu instid0(VALU_DEP_2)
	v_add_co_ci_u32_e32 v1, vcc_lo, v6, v1, vcc_lo
	global_load_b32 v2, v[0:1], off
	s_waitcnt vmcnt(0)
	v_add_f32_e32 v2, v4, v2
	global_store_b32 v[0:1], v2, off
.LBB1393_11:
	s_nop 0
	s_sendmsg sendmsg(MSG_DEALLOC_VGPRS)
	s_endpgm
	.section	.rodata,"a",@progbits
	.p2align	6, 0x0
	.amdhsa_kernel _ZL37rocblas_syrkx_herkx_restricted_kernelIlfLi16ELi32ELi8ELi1ELi1ELb0ELc78ELc85EKPKfKPfEviT_PT9_S5_lS7_S5_lPT10_S5_li
		.amdhsa_group_segment_fixed_size 2048
		.amdhsa_private_segment_fixed_size 0
		.amdhsa_kernarg_size 92
		.amdhsa_user_sgpr_count 13
		.amdhsa_user_sgpr_dispatch_ptr 0
		.amdhsa_user_sgpr_queue_ptr 0
		.amdhsa_user_sgpr_kernarg_segment_ptr 1
		.amdhsa_user_sgpr_dispatch_id 0
		.amdhsa_user_sgpr_private_segment_size 0
		.amdhsa_wavefront_size32 1
		.amdhsa_uses_dynamic_stack 0
		.amdhsa_enable_private_segment 0
		.amdhsa_system_sgpr_workgroup_id_x 1
		.amdhsa_system_sgpr_workgroup_id_y 1
		.amdhsa_system_sgpr_workgroup_id_z 1
		.amdhsa_system_sgpr_workgroup_info 0
		.amdhsa_system_vgpr_workitem_id 1
		.amdhsa_next_free_vgpr 46
		.amdhsa_next_free_sgpr 20
		.amdhsa_reserve_vcc 1
		.amdhsa_float_round_mode_32 0
		.amdhsa_float_round_mode_16_64 0
		.amdhsa_float_denorm_mode_32 3
		.amdhsa_float_denorm_mode_16_64 3
		.amdhsa_dx10_clamp 1
		.amdhsa_ieee_mode 1
		.amdhsa_fp16_overflow 0
		.amdhsa_workgroup_processor_mode 1
		.amdhsa_memory_ordered 1
		.amdhsa_forward_progress 0
		.amdhsa_shared_vgpr_count 0
		.amdhsa_exception_fp_ieee_invalid_op 0
		.amdhsa_exception_fp_denorm_src 0
		.amdhsa_exception_fp_ieee_div_zero 0
		.amdhsa_exception_fp_ieee_overflow 0
		.amdhsa_exception_fp_ieee_underflow 0
		.amdhsa_exception_fp_ieee_inexact 0
		.amdhsa_exception_int_div_zero 0
	.end_amdhsa_kernel
	.section	.text._ZL37rocblas_syrkx_herkx_restricted_kernelIlfLi16ELi32ELi8ELi1ELi1ELb0ELc78ELc85EKPKfKPfEviT_PT9_S5_lS7_S5_lPT10_S5_li,"axG",@progbits,_ZL37rocblas_syrkx_herkx_restricted_kernelIlfLi16ELi32ELi8ELi1ELi1ELb0ELc78ELc85EKPKfKPfEviT_PT9_S5_lS7_S5_lPT10_S5_li,comdat
.Lfunc_end1393:
	.size	_ZL37rocblas_syrkx_herkx_restricted_kernelIlfLi16ELi32ELi8ELi1ELi1ELb0ELc78ELc85EKPKfKPfEviT_PT9_S5_lS7_S5_lPT10_S5_li, .Lfunc_end1393-_ZL37rocblas_syrkx_herkx_restricted_kernelIlfLi16ELi32ELi8ELi1ELi1ELb0ELc78ELc85EKPKfKPfEviT_PT9_S5_lS7_S5_lPT10_S5_li
                                        ; -- End function
	.section	.AMDGPU.csdata,"",@progbits
; Kernel info:
; codeLenInByte = 1320
; NumSgprs: 22
; NumVgprs: 46
; ScratchSize: 0
; MemoryBound: 0
; FloatMode: 240
; IeeeMode: 1
; LDSByteSize: 2048 bytes/workgroup (compile time only)
; SGPRBlocks: 2
; VGPRBlocks: 5
; NumSGPRsForWavesPerEU: 22
; NumVGPRsForWavesPerEU: 46
; Occupancy: 16
; WaveLimiterHint : 1
; COMPUTE_PGM_RSRC2:SCRATCH_EN: 0
; COMPUTE_PGM_RSRC2:USER_SGPR: 13
; COMPUTE_PGM_RSRC2:TRAP_HANDLER: 0
; COMPUTE_PGM_RSRC2:TGID_X_EN: 1
; COMPUTE_PGM_RSRC2:TGID_Y_EN: 1
; COMPUTE_PGM_RSRC2:TGID_Z_EN: 1
; COMPUTE_PGM_RSRC2:TIDIG_COMP_CNT: 1
	.section	.text._ZL37rocblas_syrkx_herkx_restricted_kernelIlfLi16ELi32ELi8ELi1ELin1ELb0ELc84ELc76EKPKfKPfEviT_PT9_S5_lS7_S5_lPT10_S5_li,"axG",@progbits,_ZL37rocblas_syrkx_herkx_restricted_kernelIlfLi16ELi32ELi8ELi1ELin1ELb0ELc84ELc76EKPKfKPfEviT_PT9_S5_lS7_S5_lPT10_S5_li,comdat
	.globl	_ZL37rocblas_syrkx_herkx_restricted_kernelIlfLi16ELi32ELi8ELi1ELin1ELb0ELc84ELc76EKPKfKPfEviT_PT9_S5_lS7_S5_lPT10_S5_li ; -- Begin function _ZL37rocblas_syrkx_herkx_restricted_kernelIlfLi16ELi32ELi8ELi1ELin1ELb0ELc84ELc76EKPKfKPfEviT_PT9_S5_lS7_S5_lPT10_S5_li
	.p2align	8
	.type	_ZL37rocblas_syrkx_herkx_restricted_kernelIlfLi16ELi32ELi8ELi1ELin1ELb0ELc84ELc76EKPKfKPfEviT_PT9_S5_lS7_S5_lPT10_S5_li,@function
_ZL37rocblas_syrkx_herkx_restricted_kernelIlfLi16ELi32ELi8ELi1ELin1ELb0ELc84ELc76EKPKfKPfEviT_PT9_S5_lS7_S5_lPT10_S5_li: ; @_ZL37rocblas_syrkx_herkx_restricted_kernelIlfLi16ELi32ELi8ELi1ELin1ELb0ELc84ELc76EKPKfKPfEviT_PT9_S5_lS7_S5_lPT10_S5_li
; %bb.0:
	s_clause 0x1
	s_load_b128 s[4:7], s[0:1], 0x40
	s_load_b128 s[8:11], s[0:1], 0x8
	s_mov_b32 s2, s15
	s_mov_b32 s3, 0
	v_dual_mov_b32 v9, 0 :: v_dual_and_b32 v6, 0x3ff, v0
	s_lshl_b64 s[16:17], s[2:3], 3
	v_bfe_u32 v7, v0, 10, 10
	v_dual_mov_b32 v8, 0 :: v_dual_mov_b32 v1, 0
	v_mov_b32_e32 v0, 0
	s_waitcnt lgkmcnt(0)
	s_add_u32 s2, s4, s16
	s_addc_u32 s3, s5, s17
	v_cmp_lt_i64_e64 s4, s[8:9], 1
	s_load_b64 s[2:3], s[2:3], 0x0
	s_lshl_b32 s18, s13, 5
	s_lshl_b32 s19, s14, 5
	s_delay_alu instid0(VALU_DEP_1)
	s_and_b32 vcc_lo, exec_lo, s4
	s_cbranch_vccnz .LBB1394_3
; %bb.1:
	s_clause 0x1
	s_load_b128 s[12:15], s[0:1], 0x28
	s_load_b64 s[4:5], s[0:1], 0x18
	v_lshl_add_u32 v2, v7, 4, v6
	s_add_u32 s10, s10, s16
	s_addc_u32 s11, s11, s17
	v_dual_mov_b32 v1, 0 :: v_dual_and_b32 v0, 7, v6
	s_delay_alu instid0(VALU_DEP_2) | instskip(SKIP_2) | instid1(VALU_DEP_4)
	v_lshrrev_b32_e32 v11, 3, v2
	v_and_b32_e32 v12, 31, v2
	v_lshrrev_b32_e32 v2, 5, v2
	v_mov_b32_e32 v3, v1
	s_load_b64 s[10:11], s[10:11], 0x0
	v_add_nc_u32_e32 v10, s19, v11
	v_add_nc_u32_e32 v8, s18, v12
	v_lshlrev_b32_e32 v12, 2, v12
	s_delay_alu instid0(VALU_DEP_3) | instskip(NEXT) | instid1(VALU_DEP_3)
	v_ashrrev_i32_e32 v4, 31, v10
	v_ashrrev_i32_e32 v5, 31, v8
	s_delay_alu instid0(VALU_DEP_3)
	v_lshl_or_b32 v12, v2, 7, v12
	s_waitcnt lgkmcnt(0)
	s_add_u32 s12, s12, s16
	s_addc_u32 s13, s13, s17
	v_mul_lo_u32 v13, v4, s14
	v_mul_lo_u32 v14, s4, v5
	v_mad_u64_u32 v[4:5], null, s4, v8, v[2:3]
	v_mul_lo_u32 v3, s5, v8
	s_load_b64 s[4:5], s[12:13], 0x0
	v_mul_lo_u32 v15, v10, s15
	v_mad_u64_u32 v[8:9], null, v10, s14, v[0:1]
	v_lshlrev_b32_e32 v0, 2, v0
	v_lshlrev_b32_e32 v10, 2, v6
	v_add3_u32 v5, v3, v5, v14
	s_delay_alu instid0(VALU_DEP_3) | instskip(SKIP_2) | instid1(VALU_DEP_4)
	v_lshl_or_b32 v0, v11, 5, v0
	v_add3_u32 v9, v13, v9, v15
	v_lshl_add_u32 v11, v7, 5, 0x400
	v_lshlrev_b64 v[3:4], 2, v[4:5]
	s_delay_alu instid0(VALU_DEP_4) | instskip(NEXT) | instid1(VALU_DEP_4)
	v_dual_mov_b32 v0, v1 :: v_dual_add_nc_u32 v13, 0x400, v0
	v_lshlrev_b64 v[8:9], 2, v[8:9]
	s_delay_alu instid0(VALU_DEP_3) | instskip(NEXT) | instid1(VALU_DEP_4)
	v_add_co_u32 v2, vcc_lo, s10, v3
	v_add_co_ci_u32_e32 v3, vcc_lo, s11, v4, vcc_lo
	s_waitcnt lgkmcnt(0)
	s_delay_alu instid0(VALU_DEP_3) | instskip(NEXT) | instid1(VALU_DEP_4)
	v_add_co_u32 v4, vcc_lo, s4, v8
	v_add_co_ci_u32_e32 v5, vcc_lo, s5, v9, vcc_lo
	v_mov_b32_e32 v8, v1
	v_mov_b32_e32 v9, v1
	s_mov_b64 s[4:5], 0
.LBB1394_2:                             ; =>This Inner Loop Header: Depth=1
	global_load_b32 v14, v[2:3], off
	global_load_b32 v15, v[4:5], off
	s_add_u32 s4, s4, 8
	v_add_co_u32 v2, vcc_lo, v2, 32
	s_addc_u32 s5, s5, 0
	v_add_co_ci_u32_e32 v3, vcc_lo, 0, v3, vcc_lo
	v_cmp_ge_u64_e64 s10, s[4:5], s[8:9]
	v_add_co_u32 v4, vcc_lo, v4, 32
	v_add_co_ci_u32_e32 v5, vcc_lo, 0, v5, vcc_lo
	s_waitcnt vmcnt(1)
	ds_store_b32 v12, v14
	s_waitcnt vmcnt(0)
	ds_store_b32 v13, v15
	s_waitcnt lgkmcnt(0)
	s_barrier
	buffer_gl0_inv
	ds_load_2addr_b32 v[30:31], v10 offset1:16
	ds_load_b128 v[14:17], v11
	ds_load_b128 v[18:21], v11 offset:512
	ds_load_2addr_b32 v[32:33], v10 offset0:32 offset1:48
	ds_load_2addr_b32 v[34:35], v10 offset0:64 offset1:80
	ds_load_b128 v[22:25], v11 offset:16
	ds_load_2addr_b32 v[36:37], v10 offset0:96 offset1:112
	ds_load_2addr_b32 v[38:39], v10 offset0:128 offset1:144
	;; [unrolled: 3-line block ×3, first 2 shown]
	ds_load_2addr_b32 v[44:45], v10 offset0:224 offset1:240
	s_and_b32 vcc_lo, exec_lo, s10
	s_waitcnt lgkmcnt(0)
	s_barrier
	buffer_gl0_inv
	v_fmac_f32_e32 v8, v31, v14
	v_fmac_f32_e32 v9, v30, v14
	;; [unrolled: 1-line block ×4, first 2 shown]
	s_delay_alu instid0(VALU_DEP_4) | instskip(NEXT) | instid1(VALU_DEP_4)
	v_fmac_f32_e32 v8, v33, v15
	v_fmac_f32_e32 v9, v32, v15
	s_delay_alu instid0(VALU_DEP_4) | instskip(NEXT) | instid1(VALU_DEP_4)
	v_fmac_f32_e32 v1, v33, v19
	v_fmac_f32_e32 v0, v32, v19
	;; [unrolled: 3-line block ×14, first 2 shown]
	s_cbranch_vccz .LBB1394_2
.LBB1394_3:
	v_add_nc_u32_e32 v7, s19, v7
	s_load_b32 s4, s[0:1], 0x0
	s_delay_alu instid0(VALU_DEP_1) | instskip(SKIP_2) | instid1(VALU_DEP_3)
	v_ashrrev_i32_e32 v2, 31, v7
	v_mul_lo_u32 v5, v7, s7
	v_mad_u64_u32 v[3:4], null, v7, s6, 0
	v_mul_lo_u32 v2, v2, s6
	s_delay_alu instid0(VALU_DEP_1) | instskip(SKIP_1) | instid1(VALU_DEP_2)
	v_add3_u32 v4, v4, v5, v2
	v_add_nc_u32_e32 v2, s18, v6
	v_lshlrev_b64 v[3:4], 2, v[3:4]
	s_delay_alu instid0(VALU_DEP_2) | instskip(SKIP_2) | instid1(VALU_DEP_3)
	v_cmp_le_i32_e64 s0, v7, v2
	s_waitcnt lgkmcnt(0)
	v_cmp_gt_i32_e32 vcc_lo, s4, v2
	v_add_co_u32 v6, s1, s2, v3
	s_delay_alu instid0(VALU_DEP_1) | instskip(SKIP_1) | instid1(SALU_CYCLE_1)
	v_add_co_ci_u32_e64 v10, s1, s3, v4, s1
	s_and_b32 s0, s0, vcc_lo
	s_and_saveexec_b32 s1, s0
	s_cbranch_execz .LBB1394_5
; %bb.4:
	v_ashrrev_i32_e32 v3, 31, v2
	s_delay_alu instid0(VALU_DEP_1) | instskip(NEXT) | instid1(VALU_DEP_1)
	v_lshlrev_b64 v[3:4], 2, v[2:3]
	v_add_co_u32 v3, s0, v6, v3
	s_delay_alu instid0(VALU_DEP_1)
	v_add_co_ci_u32_e64 v4, s0, v10, v4, s0
	global_load_b32 v5, v[3:4], off
	s_waitcnt vmcnt(0)
	v_sub_f32_e32 v5, v9, v5
	global_store_b32 v[3:4], v5, off
.LBB1394_5:
	s_or_b32 exec_lo, exec_lo, s1
	v_add_nc_u32_e32 v4, 16, v2
	s_delay_alu instid0(VALU_DEP_1) | instskip(SKIP_1) | instid1(VALU_DEP_1)
	v_cmp_le_i32_e64 s1, v7, v4
	v_cmp_gt_i32_e64 s0, s4, v4
	s_and_b32 s1, s1, s0
	s_delay_alu instid0(SALU_CYCLE_1)
	s_and_saveexec_b32 s4, s1
	s_cbranch_execz .LBB1394_7
; %bb.6:
	v_ashrrev_i32_e32 v5, 31, v4
	s_delay_alu instid0(VALU_DEP_1) | instskip(NEXT) | instid1(VALU_DEP_1)
	v_lshlrev_b64 v[11:12], 2, v[4:5]
	v_add_co_u32 v5, s1, v6, v11
	s_delay_alu instid0(VALU_DEP_1)
	v_add_co_ci_u32_e64 v6, s1, v10, v12, s1
	global_load_b32 v3, v[5:6], off
	s_waitcnt vmcnt(0)
	v_sub_f32_e32 v3, v8, v3
	global_store_b32 v[5:6], v3, off
.LBB1394_7:
	s_or_b32 exec_lo, exec_lo, s4
	v_add_nc_u32_e32 v5, 16, v7
	s_delay_alu instid0(VALU_DEP_1) | instskip(SKIP_3) | instid1(VALU_DEP_4)
	v_ashrrev_i32_e32 v3, 31, v5
	v_mul_lo_u32 v8, v5, s7
	v_mad_u64_u32 v[6:7], null, v5, s6, 0
	v_cmp_le_i32_e64 s1, v5, v2
	v_mul_lo_u32 v3, v3, s6
	s_delay_alu instid0(VALU_DEP_1) | instskip(NEXT) | instid1(VALU_DEP_1)
	v_add3_u32 v7, v7, v8, v3
	v_lshlrev_b64 v[6:7], 2, v[6:7]
	s_delay_alu instid0(VALU_DEP_1) | instskip(NEXT) | instid1(VALU_DEP_1)
	v_add_co_u32 v6, s2, s2, v6
	v_add_co_ci_u32_e64 v7, s2, s3, v7, s2
	s_and_b32 s2, s1, vcc_lo
	s_delay_alu instid0(SALU_CYCLE_1)
	s_and_saveexec_b32 s1, s2
	s_cbranch_execz .LBB1394_9
; %bb.8:
	v_ashrrev_i32_e32 v3, 31, v2
	s_delay_alu instid0(VALU_DEP_1) | instskip(NEXT) | instid1(VALU_DEP_1)
	v_lshlrev_b64 v[2:3], 2, v[2:3]
	v_add_co_u32 v2, vcc_lo, v6, v2
	s_delay_alu instid0(VALU_DEP_2)
	v_add_co_ci_u32_e32 v3, vcc_lo, v7, v3, vcc_lo
	global_load_b32 v8, v[2:3], off
	s_waitcnt vmcnt(0)
	v_sub_f32_e32 v0, v0, v8
	global_store_b32 v[2:3], v0, off
.LBB1394_9:
	s_or_b32 exec_lo, exec_lo, s1
	v_cmp_le_i32_e32 vcc_lo, v5, v4
	s_and_b32 s0, vcc_lo, s0
	s_delay_alu instid0(SALU_CYCLE_1)
	s_and_saveexec_b32 s1, s0
	s_cbranch_execz .LBB1394_11
; %bb.10:
	v_ashrrev_i32_e32 v5, 31, v4
	s_delay_alu instid0(VALU_DEP_1) | instskip(NEXT) | instid1(VALU_DEP_1)
	v_lshlrev_b64 v[2:3], 2, v[4:5]
	v_add_co_u32 v2, vcc_lo, v6, v2
	s_delay_alu instid0(VALU_DEP_2)
	v_add_co_ci_u32_e32 v3, vcc_lo, v7, v3, vcc_lo
	global_load_b32 v0, v[2:3], off
	s_waitcnt vmcnt(0)
	v_sub_f32_e32 v0, v1, v0
	global_store_b32 v[2:3], v0, off
.LBB1394_11:
	s_nop 0
	s_sendmsg sendmsg(MSG_DEALLOC_VGPRS)
	s_endpgm
	.section	.rodata,"a",@progbits
	.p2align	6, 0x0
	.amdhsa_kernel _ZL37rocblas_syrkx_herkx_restricted_kernelIlfLi16ELi32ELi8ELi1ELin1ELb0ELc84ELc76EKPKfKPfEviT_PT9_S5_lS7_S5_lPT10_S5_li
		.amdhsa_group_segment_fixed_size 2048
		.amdhsa_private_segment_fixed_size 0
		.amdhsa_kernarg_size 92
		.amdhsa_user_sgpr_count 13
		.amdhsa_user_sgpr_dispatch_ptr 0
		.amdhsa_user_sgpr_queue_ptr 0
		.amdhsa_user_sgpr_kernarg_segment_ptr 1
		.amdhsa_user_sgpr_dispatch_id 0
		.amdhsa_user_sgpr_private_segment_size 0
		.amdhsa_wavefront_size32 1
		.amdhsa_uses_dynamic_stack 0
		.amdhsa_enable_private_segment 0
		.amdhsa_system_sgpr_workgroup_id_x 1
		.amdhsa_system_sgpr_workgroup_id_y 1
		.amdhsa_system_sgpr_workgroup_id_z 1
		.amdhsa_system_sgpr_workgroup_info 0
		.amdhsa_system_vgpr_workitem_id 1
		.amdhsa_next_free_vgpr 46
		.amdhsa_next_free_sgpr 20
		.amdhsa_reserve_vcc 1
		.amdhsa_float_round_mode_32 0
		.amdhsa_float_round_mode_16_64 0
		.amdhsa_float_denorm_mode_32 3
		.amdhsa_float_denorm_mode_16_64 3
		.amdhsa_dx10_clamp 1
		.amdhsa_ieee_mode 1
		.amdhsa_fp16_overflow 0
		.amdhsa_workgroup_processor_mode 1
		.amdhsa_memory_ordered 1
		.amdhsa_forward_progress 0
		.amdhsa_shared_vgpr_count 0
		.amdhsa_exception_fp_ieee_invalid_op 0
		.amdhsa_exception_fp_denorm_src 0
		.amdhsa_exception_fp_ieee_div_zero 0
		.amdhsa_exception_fp_ieee_overflow 0
		.amdhsa_exception_fp_ieee_underflow 0
		.amdhsa_exception_fp_ieee_inexact 0
		.amdhsa_exception_int_div_zero 0
	.end_amdhsa_kernel
	.section	.text._ZL37rocblas_syrkx_herkx_restricted_kernelIlfLi16ELi32ELi8ELi1ELin1ELb0ELc84ELc76EKPKfKPfEviT_PT9_S5_lS7_S5_lPT10_S5_li,"axG",@progbits,_ZL37rocblas_syrkx_herkx_restricted_kernelIlfLi16ELi32ELi8ELi1ELin1ELb0ELc84ELc76EKPKfKPfEviT_PT9_S5_lS7_S5_lPT10_S5_li,comdat
.Lfunc_end1394:
	.size	_ZL37rocblas_syrkx_herkx_restricted_kernelIlfLi16ELi32ELi8ELi1ELin1ELb0ELc84ELc76EKPKfKPfEviT_PT9_S5_lS7_S5_lPT10_S5_li, .Lfunc_end1394-_ZL37rocblas_syrkx_herkx_restricted_kernelIlfLi16ELi32ELi8ELi1ELin1ELb0ELc84ELc76EKPKfKPfEviT_PT9_S5_lS7_S5_lPT10_S5_li
                                        ; -- End function
	.section	.AMDGPU.csdata,"",@progbits
; Kernel info:
; codeLenInByte = 1352
; NumSgprs: 22
; NumVgprs: 46
; ScratchSize: 0
; MemoryBound: 0
; FloatMode: 240
; IeeeMode: 1
; LDSByteSize: 2048 bytes/workgroup (compile time only)
; SGPRBlocks: 2
; VGPRBlocks: 5
; NumSGPRsForWavesPerEU: 22
; NumVGPRsForWavesPerEU: 46
; Occupancy: 16
; WaveLimiterHint : 1
; COMPUTE_PGM_RSRC2:SCRATCH_EN: 0
; COMPUTE_PGM_RSRC2:USER_SGPR: 13
; COMPUTE_PGM_RSRC2:TRAP_HANDLER: 0
; COMPUTE_PGM_RSRC2:TGID_X_EN: 1
; COMPUTE_PGM_RSRC2:TGID_Y_EN: 1
; COMPUTE_PGM_RSRC2:TGID_Z_EN: 1
; COMPUTE_PGM_RSRC2:TIDIG_COMP_CNT: 1
	.section	.text._ZL37rocblas_syrkx_herkx_restricted_kernelIlfLi16ELi32ELi8ELi1ELin1ELb0ELc67ELc76EKPKfKPfEviT_PT9_S5_lS7_S5_lPT10_S5_li,"axG",@progbits,_ZL37rocblas_syrkx_herkx_restricted_kernelIlfLi16ELi32ELi8ELi1ELin1ELb0ELc67ELc76EKPKfKPfEviT_PT9_S5_lS7_S5_lPT10_S5_li,comdat
	.globl	_ZL37rocblas_syrkx_herkx_restricted_kernelIlfLi16ELi32ELi8ELi1ELin1ELb0ELc67ELc76EKPKfKPfEviT_PT9_S5_lS7_S5_lPT10_S5_li ; -- Begin function _ZL37rocblas_syrkx_herkx_restricted_kernelIlfLi16ELi32ELi8ELi1ELin1ELb0ELc67ELc76EKPKfKPfEviT_PT9_S5_lS7_S5_lPT10_S5_li
	.p2align	8
	.type	_ZL37rocblas_syrkx_herkx_restricted_kernelIlfLi16ELi32ELi8ELi1ELin1ELb0ELc67ELc76EKPKfKPfEviT_PT9_S5_lS7_S5_lPT10_S5_li,@function
_ZL37rocblas_syrkx_herkx_restricted_kernelIlfLi16ELi32ELi8ELi1ELin1ELb0ELc67ELc76EKPKfKPfEviT_PT9_S5_lS7_S5_lPT10_S5_li: ; @_ZL37rocblas_syrkx_herkx_restricted_kernelIlfLi16ELi32ELi8ELi1ELin1ELb0ELc67ELc76EKPKfKPfEviT_PT9_S5_lS7_S5_lPT10_S5_li
; %bb.0:
	s_clause 0x1
	s_load_b128 s[4:7], s[0:1], 0x40
	s_load_b128 s[8:11], s[0:1], 0x8
	s_mov_b32 s2, s15
	s_mov_b32 s3, 0
	v_dual_mov_b32 v9, 0 :: v_dual_and_b32 v6, 0x3ff, v0
	s_lshl_b64 s[16:17], s[2:3], 3
	v_bfe_u32 v7, v0, 10, 10
	v_dual_mov_b32 v8, 0 :: v_dual_mov_b32 v1, 0
	v_mov_b32_e32 v0, 0
	s_waitcnt lgkmcnt(0)
	s_add_u32 s2, s4, s16
	s_addc_u32 s3, s5, s17
	v_cmp_lt_i64_e64 s4, s[8:9], 1
	s_load_b64 s[2:3], s[2:3], 0x0
	s_lshl_b32 s18, s13, 5
	s_lshl_b32 s19, s14, 5
	s_delay_alu instid0(VALU_DEP_1)
	s_and_b32 vcc_lo, exec_lo, s4
	s_cbranch_vccnz .LBB1395_3
; %bb.1:
	s_clause 0x1
	s_load_b128 s[12:15], s[0:1], 0x28
	s_load_b64 s[4:5], s[0:1], 0x18
	v_lshl_add_u32 v2, v7, 4, v6
	s_add_u32 s10, s10, s16
	s_addc_u32 s11, s11, s17
	v_dual_mov_b32 v1, 0 :: v_dual_and_b32 v0, 7, v6
	s_delay_alu instid0(VALU_DEP_2) | instskip(SKIP_2) | instid1(VALU_DEP_4)
	v_lshrrev_b32_e32 v11, 3, v2
	v_and_b32_e32 v12, 31, v2
	v_lshrrev_b32_e32 v2, 5, v2
	v_mov_b32_e32 v3, v1
	s_load_b64 s[10:11], s[10:11], 0x0
	v_add_nc_u32_e32 v10, s19, v11
	v_add_nc_u32_e32 v8, s18, v12
	v_lshlrev_b32_e32 v12, 2, v12
	s_delay_alu instid0(VALU_DEP_3) | instskip(NEXT) | instid1(VALU_DEP_3)
	v_ashrrev_i32_e32 v4, 31, v10
	v_ashrrev_i32_e32 v5, 31, v8
	s_delay_alu instid0(VALU_DEP_3)
	v_lshl_or_b32 v12, v2, 7, v12
	s_waitcnt lgkmcnt(0)
	s_add_u32 s12, s12, s16
	s_addc_u32 s13, s13, s17
	v_mul_lo_u32 v13, v4, s14
	v_mul_lo_u32 v14, s4, v5
	v_mad_u64_u32 v[4:5], null, s4, v8, v[2:3]
	v_mul_lo_u32 v3, s5, v8
	s_load_b64 s[4:5], s[12:13], 0x0
	v_mul_lo_u32 v15, v10, s15
	v_mad_u64_u32 v[8:9], null, v10, s14, v[0:1]
	v_lshlrev_b32_e32 v0, 2, v0
	v_lshlrev_b32_e32 v10, 2, v6
	v_add3_u32 v5, v3, v5, v14
	s_delay_alu instid0(VALU_DEP_3) | instskip(SKIP_2) | instid1(VALU_DEP_4)
	v_lshl_or_b32 v0, v11, 5, v0
	v_add3_u32 v9, v13, v9, v15
	v_lshl_add_u32 v11, v7, 5, 0x400
	v_lshlrev_b64 v[3:4], 2, v[4:5]
	s_delay_alu instid0(VALU_DEP_4) | instskip(NEXT) | instid1(VALU_DEP_4)
	v_dual_mov_b32 v0, v1 :: v_dual_add_nc_u32 v13, 0x400, v0
	v_lshlrev_b64 v[8:9], 2, v[8:9]
	s_delay_alu instid0(VALU_DEP_3) | instskip(NEXT) | instid1(VALU_DEP_4)
	v_add_co_u32 v2, vcc_lo, s10, v3
	v_add_co_ci_u32_e32 v3, vcc_lo, s11, v4, vcc_lo
	s_waitcnt lgkmcnt(0)
	s_delay_alu instid0(VALU_DEP_3) | instskip(NEXT) | instid1(VALU_DEP_4)
	v_add_co_u32 v4, vcc_lo, s4, v8
	v_add_co_ci_u32_e32 v5, vcc_lo, s5, v9, vcc_lo
	v_mov_b32_e32 v8, v1
	v_mov_b32_e32 v9, v1
	s_mov_b64 s[4:5], 0
.LBB1395_2:                             ; =>This Inner Loop Header: Depth=1
	global_load_b32 v14, v[2:3], off
	global_load_b32 v15, v[4:5], off
	s_add_u32 s4, s4, 8
	v_add_co_u32 v2, vcc_lo, v2, 32
	s_addc_u32 s5, s5, 0
	v_add_co_ci_u32_e32 v3, vcc_lo, 0, v3, vcc_lo
	v_cmp_ge_u64_e64 s10, s[4:5], s[8:9]
	v_add_co_u32 v4, vcc_lo, v4, 32
	v_add_co_ci_u32_e32 v5, vcc_lo, 0, v5, vcc_lo
	s_waitcnt vmcnt(1)
	ds_store_b32 v12, v14
	s_waitcnt vmcnt(0)
	ds_store_b32 v13, v15
	s_waitcnt lgkmcnt(0)
	s_barrier
	buffer_gl0_inv
	ds_load_2addr_b32 v[30:31], v10 offset1:16
	ds_load_b128 v[14:17], v11
	ds_load_b128 v[18:21], v11 offset:512
	ds_load_2addr_b32 v[32:33], v10 offset0:32 offset1:48
	ds_load_2addr_b32 v[34:35], v10 offset0:64 offset1:80
	ds_load_b128 v[22:25], v11 offset:16
	ds_load_2addr_b32 v[36:37], v10 offset0:96 offset1:112
	ds_load_2addr_b32 v[38:39], v10 offset0:128 offset1:144
	;; [unrolled: 3-line block ×3, first 2 shown]
	ds_load_2addr_b32 v[44:45], v10 offset0:224 offset1:240
	s_and_b32 vcc_lo, exec_lo, s10
	s_waitcnt lgkmcnt(0)
	s_barrier
	buffer_gl0_inv
	v_fmac_f32_e32 v8, v31, v14
	v_fmac_f32_e32 v9, v30, v14
	;; [unrolled: 1-line block ×4, first 2 shown]
	s_delay_alu instid0(VALU_DEP_4) | instskip(NEXT) | instid1(VALU_DEP_4)
	v_fmac_f32_e32 v8, v33, v15
	v_fmac_f32_e32 v9, v32, v15
	s_delay_alu instid0(VALU_DEP_4) | instskip(NEXT) | instid1(VALU_DEP_4)
	v_fmac_f32_e32 v1, v33, v19
	v_fmac_f32_e32 v0, v32, v19
	s_delay_alu instid0(VALU_DEP_4) | instskip(NEXT) | instid1(VALU_DEP_4)
	v_fmac_f32_e32 v8, v35, v16
	v_fmac_f32_e32 v9, v34, v16
	s_delay_alu instid0(VALU_DEP_4) | instskip(NEXT) | instid1(VALU_DEP_4)
	v_fmac_f32_e32 v1, v35, v20
	v_fmac_f32_e32 v0, v34, v20
	s_delay_alu instid0(VALU_DEP_4) | instskip(NEXT) | instid1(VALU_DEP_4)
	v_fmac_f32_e32 v8, v37, v17
	v_fmac_f32_e32 v9, v36, v17
	s_delay_alu instid0(VALU_DEP_4) | instskip(NEXT) | instid1(VALU_DEP_4)
	v_fmac_f32_e32 v1, v37, v21
	v_fmac_f32_e32 v0, v36, v21
	s_delay_alu instid0(VALU_DEP_4) | instskip(NEXT) | instid1(VALU_DEP_4)
	v_fmac_f32_e32 v8, v39, v22
	v_fmac_f32_e32 v9, v38, v22
	s_delay_alu instid0(VALU_DEP_4) | instskip(NEXT) | instid1(VALU_DEP_4)
	v_fmac_f32_e32 v1, v39, v26
	v_fmac_f32_e32 v0, v38, v26
	s_delay_alu instid0(VALU_DEP_4) | instskip(NEXT) | instid1(VALU_DEP_4)
	v_fmac_f32_e32 v8, v41, v23
	v_fmac_f32_e32 v9, v40, v23
	s_delay_alu instid0(VALU_DEP_4) | instskip(NEXT) | instid1(VALU_DEP_4)
	v_fmac_f32_e32 v1, v41, v27
	v_fmac_f32_e32 v0, v40, v27
	s_delay_alu instid0(VALU_DEP_4) | instskip(NEXT) | instid1(VALU_DEP_4)
	v_fmac_f32_e32 v8, v43, v24
	v_fmac_f32_e32 v9, v42, v24
	s_delay_alu instid0(VALU_DEP_4) | instskip(NEXT) | instid1(VALU_DEP_4)
	v_fmac_f32_e32 v1, v43, v28
	v_fmac_f32_e32 v0, v42, v28
	s_delay_alu instid0(VALU_DEP_4) | instskip(NEXT) | instid1(VALU_DEP_4)
	v_fmac_f32_e32 v8, v45, v25
	v_fmac_f32_e32 v9, v44, v25
	s_delay_alu instid0(VALU_DEP_4) | instskip(NEXT) | instid1(VALU_DEP_4)
	v_fmac_f32_e32 v1, v45, v29
	v_fmac_f32_e32 v0, v44, v29
	s_cbranch_vccz .LBB1395_2
.LBB1395_3:
	v_add_nc_u32_e32 v7, s19, v7
	s_load_b32 s4, s[0:1], 0x0
	s_delay_alu instid0(VALU_DEP_1) | instskip(SKIP_2) | instid1(VALU_DEP_3)
	v_ashrrev_i32_e32 v2, 31, v7
	v_mul_lo_u32 v5, v7, s7
	v_mad_u64_u32 v[3:4], null, v7, s6, 0
	v_mul_lo_u32 v2, v2, s6
	s_delay_alu instid0(VALU_DEP_1) | instskip(SKIP_1) | instid1(VALU_DEP_2)
	v_add3_u32 v4, v4, v5, v2
	v_add_nc_u32_e32 v2, s18, v6
	v_lshlrev_b64 v[3:4], 2, v[3:4]
	s_delay_alu instid0(VALU_DEP_2) | instskip(SKIP_2) | instid1(VALU_DEP_3)
	v_cmp_le_i32_e64 s0, v7, v2
	s_waitcnt lgkmcnt(0)
	v_cmp_gt_i32_e32 vcc_lo, s4, v2
	v_add_co_u32 v6, s1, s2, v3
	s_delay_alu instid0(VALU_DEP_1) | instskip(SKIP_1) | instid1(SALU_CYCLE_1)
	v_add_co_ci_u32_e64 v10, s1, s3, v4, s1
	s_and_b32 s0, s0, vcc_lo
	s_and_saveexec_b32 s1, s0
	s_cbranch_execz .LBB1395_5
; %bb.4:
	v_ashrrev_i32_e32 v3, 31, v2
	s_delay_alu instid0(VALU_DEP_1) | instskip(NEXT) | instid1(VALU_DEP_1)
	v_lshlrev_b64 v[3:4], 2, v[2:3]
	v_add_co_u32 v3, s0, v6, v3
	s_delay_alu instid0(VALU_DEP_1)
	v_add_co_ci_u32_e64 v4, s0, v10, v4, s0
	global_load_b32 v5, v[3:4], off
	s_waitcnt vmcnt(0)
	v_sub_f32_e32 v5, v9, v5
	global_store_b32 v[3:4], v5, off
.LBB1395_5:
	s_or_b32 exec_lo, exec_lo, s1
	v_add_nc_u32_e32 v4, 16, v2
	s_delay_alu instid0(VALU_DEP_1) | instskip(SKIP_1) | instid1(VALU_DEP_1)
	v_cmp_le_i32_e64 s1, v7, v4
	v_cmp_gt_i32_e64 s0, s4, v4
	s_and_b32 s1, s1, s0
	s_delay_alu instid0(SALU_CYCLE_1)
	s_and_saveexec_b32 s4, s1
	s_cbranch_execz .LBB1395_7
; %bb.6:
	v_ashrrev_i32_e32 v5, 31, v4
	s_delay_alu instid0(VALU_DEP_1) | instskip(NEXT) | instid1(VALU_DEP_1)
	v_lshlrev_b64 v[11:12], 2, v[4:5]
	v_add_co_u32 v5, s1, v6, v11
	s_delay_alu instid0(VALU_DEP_1)
	v_add_co_ci_u32_e64 v6, s1, v10, v12, s1
	global_load_b32 v3, v[5:6], off
	s_waitcnt vmcnt(0)
	v_sub_f32_e32 v3, v8, v3
	global_store_b32 v[5:6], v3, off
.LBB1395_7:
	s_or_b32 exec_lo, exec_lo, s4
	v_add_nc_u32_e32 v5, 16, v7
	s_delay_alu instid0(VALU_DEP_1) | instskip(SKIP_3) | instid1(VALU_DEP_4)
	v_ashrrev_i32_e32 v3, 31, v5
	v_mul_lo_u32 v8, v5, s7
	v_mad_u64_u32 v[6:7], null, v5, s6, 0
	v_cmp_le_i32_e64 s1, v5, v2
	v_mul_lo_u32 v3, v3, s6
	s_delay_alu instid0(VALU_DEP_1) | instskip(NEXT) | instid1(VALU_DEP_1)
	v_add3_u32 v7, v7, v8, v3
	v_lshlrev_b64 v[6:7], 2, v[6:7]
	s_delay_alu instid0(VALU_DEP_1) | instskip(NEXT) | instid1(VALU_DEP_1)
	v_add_co_u32 v6, s2, s2, v6
	v_add_co_ci_u32_e64 v7, s2, s3, v7, s2
	s_and_b32 s2, s1, vcc_lo
	s_delay_alu instid0(SALU_CYCLE_1)
	s_and_saveexec_b32 s1, s2
	s_cbranch_execz .LBB1395_9
; %bb.8:
	v_ashrrev_i32_e32 v3, 31, v2
	s_delay_alu instid0(VALU_DEP_1) | instskip(NEXT) | instid1(VALU_DEP_1)
	v_lshlrev_b64 v[2:3], 2, v[2:3]
	v_add_co_u32 v2, vcc_lo, v6, v2
	s_delay_alu instid0(VALU_DEP_2)
	v_add_co_ci_u32_e32 v3, vcc_lo, v7, v3, vcc_lo
	global_load_b32 v8, v[2:3], off
	s_waitcnt vmcnt(0)
	v_sub_f32_e32 v0, v0, v8
	global_store_b32 v[2:3], v0, off
.LBB1395_9:
	s_or_b32 exec_lo, exec_lo, s1
	v_cmp_le_i32_e32 vcc_lo, v5, v4
	s_and_b32 s0, vcc_lo, s0
	s_delay_alu instid0(SALU_CYCLE_1)
	s_and_saveexec_b32 s1, s0
	s_cbranch_execz .LBB1395_11
; %bb.10:
	v_ashrrev_i32_e32 v5, 31, v4
	s_delay_alu instid0(VALU_DEP_1) | instskip(NEXT) | instid1(VALU_DEP_1)
	v_lshlrev_b64 v[2:3], 2, v[4:5]
	v_add_co_u32 v2, vcc_lo, v6, v2
	s_delay_alu instid0(VALU_DEP_2)
	v_add_co_ci_u32_e32 v3, vcc_lo, v7, v3, vcc_lo
	global_load_b32 v0, v[2:3], off
	s_waitcnt vmcnt(0)
	v_sub_f32_e32 v0, v1, v0
	global_store_b32 v[2:3], v0, off
.LBB1395_11:
	s_nop 0
	s_sendmsg sendmsg(MSG_DEALLOC_VGPRS)
	s_endpgm
	.section	.rodata,"a",@progbits
	.p2align	6, 0x0
	.amdhsa_kernel _ZL37rocblas_syrkx_herkx_restricted_kernelIlfLi16ELi32ELi8ELi1ELin1ELb0ELc67ELc76EKPKfKPfEviT_PT9_S5_lS7_S5_lPT10_S5_li
		.amdhsa_group_segment_fixed_size 2048
		.amdhsa_private_segment_fixed_size 0
		.amdhsa_kernarg_size 92
		.amdhsa_user_sgpr_count 13
		.amdhsa_user_sgpr_dispatch_ptr 0
		.amdhsa_user_sgpr_queue_ptr 0
		.amdhsa_user_sgpr_kernarg_segment_ptr 1
		.amdhsa_user_sgpr_dispatch_id 0
		.amdhsa_user_sgpr_private_segment_size 0
		.amdhsa_wavefront_size32 1
		.amdhsa_uses_dynamic_stack 0
		.amdhsa_enable_private_segment 0
		.amdhsa_system_sgpr_workgroup_id_x 1
		.amdhsa_system_sgpr_workgroup_id_y 1
		.amdhsa_system_sgpr_workgroup_id_z 1
		.amdhsa_system_sgpr_workgroup_info 0
		.amdhsa_system_vgpr_workitem_id 1
		.amdhsa_next_free_vgpr 46
		.amdhsa_next_free_sgpr 20
		.amdhsa_reserve_vcc 1
		.amdhsa_float_round_mode_32 0
		.amdhsa_float_round_mode_16_64 0
		.amdhsa_float_denorm_mode_32 3
		.amdhsa_float_denorm_mode_16_64 3
		.amdhsa_dx10_clamp 1
		.amdhsa_ieee_mode 1
		.amdhsa_fp16_overflow 0
		.amdhsa_workgroup_processor_mode 1
		.amdhsa_memory_ordered 1
		.amdhsa_forward_progress 0
		.amdhsa_shared_vgpr_count 0
		.amdhsa_exception_fp_ieee_invalid_op 0
		.amdhsa_exception_fp_denorm_src 0
		.amdhsa_exception_fp_ieee_div_zero 0
		.amdhsa_exception_fp_ieee_overflow 0
		.amdhsa_exception_fp_ieee_underflow 0
		.amdhsa_exception_fp_ieee_inexact 0
		.amdhsa_exception_int_div_zero 0
	.end_amdhsa_kernel
	.section	.text._ZL37rocblas_syrkx_herkx_restricted_kernelIlfLi16ELi32ELi8ELi1ELin1ELb0ELc67ELc76EKPKfKPfEviT_PT9_S5_lS7_S5_lPT10_S5_li,"axG",@progbits,_ZL37rocblas_syrkx_herkx_restricted_kernelIlfLi16ELi32ELi8ELi1ELin1ELb0ELc67ELc76EKPKfKPfEviT_PT9_S5_lS7_S5_lPT10_S5_li,comdat
.Lfunc_end1395:
	.size	_ZL37rocblas_syrkx_herkx_restricted_kernelIlfLi16ELi32ELi8ELi1ELin1ELb0ELc67ELc76EKPKfKPfEviT_PT9_S5_lS7_S5_lPT10_S5_li, .Lfunc_end1395-_ZL37rocblas_syrkx_herkx_restricted_kernelIlfLi16ELi32ELi8ELi1ELin1ELb0ELc67ELc76EKPKfKPfEviT_PT9_S5_lS7_S5_lPT10_S5_li
                                        ; -- End function
	.section	.AMDGPU.csdata,"",@progbits
; Kernel info:
; codeLenInByte = 1352
; NumSgprs: 22
; NumVgprs: 46
; ScratchSize: 0
; MemoryBound: 0
; FloatMode: 240
; IeeeMode: 1
; LDSByteSize: 2048 bytes/workgroup (compile time only)
; SGPRBlocks: 2
; VGPRBlocks: 5
; NumSGPRsForWavesPerEU: 22
; NumVGPRsForWavesPerEU: 46
; Occupancy: 16
; WaveLimiterHint : 1
; COMPUTE_PGM_RSRC2:SCRATCH_EN: 0
; COMPUTE_PGM_RSRC2:USER_SGPR: 13
; COMPUTE_PGM_RSRC2:TRAP_HANDLER: 0
; COMPUTE_PGM_RSRC2:TGID_X_EN: 1
; COMPUTE_PGM_RSRC2:TGID_Y_EN: 1
; COMPUTE_PGM_RSRC2:TGID_Z_EN: 1
; COMPUTE_PGM_RSRC2:TIDIG_COMP_CNT: 1
	.section	.text._ZL37rocblas_syrkx_herkx_restricted_kernelIlfLi16ELi32ELi8ELi1ELin1ELb0ELc78ELc76EKPKfKPfEviT_PT9_S5_lS7_S5_lPT10_S5_li,"axG",@progbits,_ZL37rocblas_syrkx_herkx_restricted_kernelIlfLi16ELi32ELi8ELi1ELin1ELb0ELc78ELc76EKPKfKPfEviT_PT9_S5_lS7_S5_lPT10_S5_li,comdat
	.globl	_ZL37rocblas_syrkx_herkx_restricted_kernelIlfLi16ELi32ELi8ELi1ELin1ELb0ELc78ELc76EKPKfKPfEviT_PT9_S5_lS7_S5_lPT10_S5_li ; -- Begin function _ZL37rocblas_syrkx_herkx_restricted_kernelIlfLi16ELi32ELi8ELi1ELin1ELb0ELc78ELc76EKPKfKPfEviT_PT9_S5_lS7_S5_lPT10_S5_li
	.p2align	8
	.type	_ZL37rocblas_syrkx_herkx_restricted_kernelIlfLi16ELi32ELi8ELi1ELin1ELb0ELc78ELc76EKPKfKPfEviT_PT9_S5_lS7_S5_lPT10_S5_li,@function
_ZL37rocblas_syrkx_herkx_restricted_kernelIlfLi16ELi32ELi8ELi1ELin1ELb0ELc78ELc76EKPKfKPfEviT_PT9_S5_lS7_S5_lPT10_S5_li: ; @_ZL37rocblas_syrkx_herkx_restricted_kernelIlfLi16ELi32ELi8ELi1ELin1ELb0ELc78ELc76EKPKfKPfEviT_PT9_S5_lS7_S5_lPT10_S5_li
; %bb.0:
	s_clause 0x1
	s_load_b128 s[4:7], s[0:1], 0x40
	s_load_b128 s[8:11], s[0:1], 0x8
	s_mov_b32 s2, s15
	s_mov_b32 s3, 0
	v_dual_mov_b32 v8, 0 :: v_dual_and_b32 v5, 0x3ff, v0
	s_lshl_b64 s[16:17], s[2:3], 3
	v_bfe_u32 v6, v0, 10, 10
	v_dual_mov_b32 v9, 0 :: v_dual_mov_b32 v4, 0
	v_mov_b32_e32 v7, 0
	s_waitcnt lgkmcnt(0)
	s_add_u32 s2, s4, s16
	s_addc_u32 s3, s5, s17
	v_cmp_lt_i64_e64 s4, s[8:9], 1
	s_load_b64 s[2:3], s[2:3], 0x0
	s_lshl_b32 s18, s13, 5
	s_lshl_b32 s19, s14, 5
	s_delay_alu instid0(VALU_DEP_1)
	s_and_b32 vcc_lo, exec_lo, s4
	s_cbranch_vccnz .LBB1396_3
; %bb.1:
	v_lshl_add_u32 v1, v6, 4, v5
	s_clause 0x1
	s_load_b64 s[4:5], s[0:1], 0x18
	s_load_b128 s[12:15], s[0:1], 0x28
	s_add_u32 s10, s10, s16
	s_addc_u32 s11, s11, s17
	v_lshlrev_b32_e32 v10, 2, v5
	v_and_b32_e32 v14, 31, v1
	v_lshrrev_b32_e32 v15, 3, v1
	v_lshrrev_b32_e32 v16, 5, v1
	s_load_b64 s[10:11], s[10:11], 0x0
	v_lshl_add_u32 v11, v6, 5, 0x400
	v_add_nc_u32_e32 v0, s18, v14
	v_add_nc_u32_e32 v2, s19, v15
	s_delay_alu instid0(VALU_DEP_2) | instskip(NEXT) | instid1(VALU_DEP_2)
	v_ashrrev_i32_e32 v1, 31, v0
	v_ashrrev_i32_e32 v3, 31, v2
	s_waitcnt lgkmcnt(0)
	s_delay_alu instid0(VALU_DEP_2) | instskip(SKIP_4) | instid1(VALU_DEP_1)
	v_mad_u64_u32 v[8:9], null, v16, s4, v[0:1]
	v_and_b32_e32 v7, 7, v5
	s_add_u32 s12, s12, s16
	s_addc_u32 s13, s13, s17
	s_load_b64 s[12:13], s[12:13], 0x0
	v_mad_u64_u32 v[0:1], null, v7, s14, v[2:3]
	s_delay_alu instid0(VALU_DEP_3) | instskip(NEXT) | instid1(VALU_DEP_1)
	v_mov_b32_e32 v2, v9
	v_mad_u64_u32 v[3:4], null, v16, s5, v[2:3]
	s_delay_alu instid0(VALU_DEP_3) | instskip(SKIP_3) | instid1(VALU_DEP_4)
	v_mad_u64_u32 v[12:13], null, v7, s15, v[1:2]
	v_dual_mov_b32 v4, 0 :: v_dual_lshlrev_b32 v1, 2, v7
	v_mov_b32_e32 v7, 0
	s_lshl_b64 s[4:5], s[4:5], 5
	v_mov_b32_e32 v9, v3
	v_lshlrev_b32_e32 v13, 2, v14
	v_lshl_or_b32 v14, v15, 5, v1
	v_mov_b32_e32 v1, v12
	s_delay_alu instid0(VALU_DEP_4)
	v_lshlrev_b64 v[2:3], 2, v[8:9]
	v_mov_b32_e32 v8, 0
	v_lshl_or_b32 v12, v16, 7, v13
	v_add_nc_u32_e32 v13, 0x400, v14
	v_lshlrev_b64 v[14:15], 2, v[0:1]
	v_mov_b32_e32 v9, 0
	v_add_co_u32 v0, vcc_lo, s10, v2
	v_add_co_ci_u32_e32 v1, vcc_lo, s11, v3, vcc_lo
	s_waitcnt lgkmcnt(0)
	s_delay_alu instid0(VALU_DEP_4)
	v_add_co_u32 v2, vcc_lo, s12, v14
	v_add_co_ci_u32_e32 v3, vcc_lo, s13, v15, vcc_lo
	s_lshl_b64 s[10:11], s[14:15], 5
	s_mov_b64 s[12:13], 0
.LBB1396_2:                             ; =>This Inner Loop Header: Depth=1
	global_load_b32 v14, v[0:1], off
	global_load_b32 v15, v[2:3], off
	s_add_u32 s12, s12, 8
	v_add_co_u32 v0, vcc_lo, v0, s4
	s_addc_u32 s13, s13, 0
	v_add_co_ci_u32_e32 v1, vcc_lo, s5, v1, vcc_lo
	v_cmp_ge_u64_e64 s14, s[12:13], s[8:9]
	v_add_co_u32 v2, vcc_lo, v2, s10
	v_add_co_ci_u32_e32 v3, vcc_lo, s11, v3, vcc_lo
	s_waitcnt vmcnt(1)
	ds_store_b32 v12, v14
	s_waitcnt vmcnt(0)
	ds_store_b32 v13, v15
	s_waitcnt lgkmcnt(0)
	s_barrier
	buffer_gl0_inv
	ds_load_2addr_b32 v[30:31], v10 offset1:16
	ds_load_b128 v[14:17], v11
	ds_load_b128 v[18:21], v11 offset:512
	ds_load_2addr_b32 v[32:33], v10 offset0:32 offset1:48
	ds_load_2addr_b32 v[34:35], v10 offset0:64 offset1:80
	ds_load_b128 v[22:25], v11 offset:16
	ds_load_2addr_b32 v[36:37], v10 offset0:96 offset1:112
	ds_load_2addr_b32 v[38:39], v10 offset0:128 offset1:144
	;; [unrolled: 3-line block ×3, first 2 shown]
	ds_load_2addr_b32 v[44:45], v10 offset0:224 offset1:240
	s_and_b32 vcc_lo, exec_lo, s14
	s_waitcnt lgkmcnt(0)
	s_barrier
	buffer_gl0_inv
	v_fmac_f32_e32 v8, v31, v14
	v_fmac_f32_e32 v9, v30, v14
	v_fmac_f32_e32 v4, v31, v18
	s_delay_alu instid0(VALU_DEP_3) | instskip(NEXT) | instid1(VALU_DEP_3)
	v_dual_fmac_f32 v7, v30, v18 :: v_dual_fmac_f32 v8, v33, v15
	v_fmac_f32_e32 v9, v32, v15
	s_delay_alu instid0(VALU_DEP_3) | instskip(NEXT) | instid1(VALU_DEP_3)
	v_fmac_f32_e32 v4, v33, v19
	v_dual_fmac_f32 v7, v32, v19 :: v_dual_fmac_f32 v8, v35, v16
	s_delay_alu instid0(VALU_DEP_3) | instskip(NEXT) | instid1(VALU_DEP_3)
	v_fmac_f32_e32 v9, v34, v16
	v_fmac_f32_e32 v4, v35, v20
	s_delay_alu instid0(VALU_DEP_3) | instskip(NEXT) | instid1(VALU_DEP_3)
	v_dual_fmac_f32 v7, v34, v20 :: v_dual_fmac_f32 v8, v37, v17
	v_fmac_f32_e32 v9, v36, v17
	s_delay_alu instid0(VALU_DEP_3) | instskip(NEXT) | instid1(VALU_DEP_3)
	v_fmac_f32_e32 v4, v37, v21
	v_dual_fmac_f32 v7, v36, v21 :: v_dual_fmac_f32 v8, v39, v22
	s_delay_alu instid0(VALU_DEP_3) | instskip(NEXT) | instid1(VALU_DEP_3)
	v_fmac_f32_e32 v9, v38, v22
	v_fmac_f32_e32 v4, v39, v26
	;; [unrolled: 9-line block ×3, first 2 shown]
	s_delay_alu instid0(VALU_DEP_3) | instskip(NEXT) | instid1(VALU_DEP_3)
	v_dual_fmac_f32 v7, v42, v28 :: v_dual_fmac_f32 v8, v45, v25
	v_fmac_f32_e32 v9, v44, v25
	s_delay_alu instid0(VALU_DEP_3) | instskip(NEXT) | instid1(VALU_DEP_3)
	v_fmac_f32_e32 v4, v45, v29
	v_fmac_f32_e32 v7, v44, v29
	s_cbranch_vccz .LBB1396_2
.LBB1396_3:
	v_add_nc_u32_e32 v6, s19, v6
	s_load_b32 s4, s[0:1], 0x0
	s_delay_alu instid0(VALU_DEP_1) | instskip(SKIP_2) | instid1(VALU_DEP_3)
	v_ashrrev_i32_e32 v0, 31, v6
	v_mul_lo_u32 v3, v6, s7
	v_mad_u64_u32 v[1:2], null, v6, s6, 0
	v_mul_lo_u32 v0, v0, s6
	s_delay_alu instid0(VALU_DEP_1) | instskip(SKIP_1) | instid1(VALU_DEP_2)
	v_add3_u32 v2, v2, v3, v0
	v_add_nc_u32_e32 v0, s18, v5
	v_lshlrev_b64 v[1:2], 2, v[1:2]
	s_delay_alu instid0(VALU_DEP_2) | instskip(SKIP_2) | instid1(VALU_DEP_3)
	v_cmp_le_i32_e64 s0, v6, v0
	s_waitcnt lgkmcnt(0)
	v_cmp_gt_i32_e32 vcc_lo, s4, v0
	v_add_co_u32 v5, s1, s2, v1
	s_delay_alu instid0(VALU_DEP_1) | instskip(SKIP_1) | instid1(SALU_CYCLE_1)
	v_add_co_ci_u32_e64 v10, s1, s3, v2, s1
	s_and_b32 s0, s0, vcc_lo
	s_and_saveexec_b32 s1, s0
	s_cbranch_execz .LBB1396_5
; %bb.4:
	v_ashrrev_i32_e32 v1, 31, v0
	s_delay_alu instid0(VALU_DEP_1) | instskip(NEXT) | instid1(VALU_DEP_1)
	v_lshlrev_b64 v[1:2], 2, v[0:1]
	v_add_co_u32 v1, s0, v5, v1
	s_delay_alu instid0(VALU_DEP_1)
	v_add_co_ci_u32_e64 v2, s0, v10, v2, s0
	global_load_b32 v3, v[1:2], off
	s_waitcnt vmcnt(0)
	v_sub_f32_e32 v3, v9, v3
	global_store_b32 v[1:2], v3, off
.LBB1396_5:
	s_or_b32 exec_lo, exec_lo, s1
	v_add_nc_u32_e32 v2, 16, v0
	s_delay_alu instid0(VALU_DEP_1) | instskip(SKIP_1) | instid1(VALU_DEP_1)
	v_cmp_le_i32_e64 s1, v6, v2
	v_cmp_gt_i32_e64 s0, s4, v2
	s_and_b32 s1, s1, s0
	s_delay_alu instid0(SALU_CYCLE_1)
	s_and_saveexec_b32 s4, s1
	s_cbranch_execz .LBB1396_7
; %bb.6:
	v_ashrrev_i32_e32 v3, 31, v2
	s_delay_alu instid0(VALU_DEP_1) | instskip(NEXT) | instid1(VALU_DEP_1)
	v_lshlrev_b64 v[11:12], 2, v[2:3]
	v_add_co_u32 v9, s1, v5, v11
	s_delay_alu instid0(VALU_DEP_1)
	v_add_co_ci_u32_e64 v10, s1, v10, v12, s1
	global_load_b32 v1, v[9:10], off
	s_waitcnt vmcnt(0)
	v_sub_f32_e32 v1, v8, v1
	global_store_b32 v[9:10], v1, off
.LBB1396_7:
	s_or_b32 exec_lo, exec_lo, s4
	v_add_nc_u32_e32 v3, 16, v6
	s_delay_alu instid0(VALU_DEP_1) | instskip(SKIP_3) | instid1(VALU_DEP_4)
	v_ashrrev_i32_e32 v1, 31, v3
	v_mul_lo_u32 v8, v3, s7
	v_mad_u64_u32 v[5:6], null, v3, s6, 0
	v_cmp_le_i32_e64 s1, v3, v0
	v_mul_lo_u32 v1, v1, s6
	s_delay_alu instid0(VALU_DEP_1) | instskip(NEXT) | instid1(VALU_DEP_1)
	v_add3_u32 v6, v6, v8, v1
	v_lshlrev_b64 v[5:6], 2, v[5:6]
	s_delay_alu instid0(VALU_DEP_1) | instskip(NEXT) | instid1(VALU_DEP_1)
	v_add_co_u32 v5, s2, s2, v5
	v_add_co_ci_u32_e64 v6, s2, s3, v6, s2
	s_and_b32 s2, s1, vcc_lo
	s_delay_alu instid0(SALU_CYCLE_1)
	s_and_saveexec_b32 s1, s2
	s_cbranch_execz .LBB1396_9
; %bb.8:
	v_ashrrev_i32_e32 v1, 31, v0
	s_delay_alu instid0(VALU_DEP_1) | instskip(NEXT) | instid1(VALU_DEP_1)
	v_lshlrev_b64 v[0:1], 2, v[0:1]
	v_add_co_u32 v0, vcc_lo, v5, v0
	s_delay_alu instid0(VALU_DEP_2)
	v_add_co_ci_u32_e32 v1, vcc_lo, v6, v1, vcc_lo
	global_load_b32 v8, v[0:1], off
	s_waitcnt vmcnt(0)
	v_sub_f32_e32 v7, v7, v8
	global_store_b32 v[0:1], v7, off
.LBB1396_9:
	s_or_b32 exec_lo, exec_lo, s1
	v_cmp_le_i32_e32 vcc_lo, v3, v2
	s_and_b32 s0, vcc_lo, s0
	s_delay_alu instid0(SALU_CYCLE_1)
	s_and_saveexec_b32 s1, s0
	s_cbranch_execz .LBB1396_11
; %bb.10:
	v_ashrrev_i32_e32 v3, 31, v2
	s_delay_alu instid0(VALU_DEP_1) | instskip(NEXT) | instid1(VALU_DEP_1)
	v_lshlrev_b64 v[0:1], 2, v[2:3]
	v_add_co_u32 v0, vcc_lo, v5, v0
	s_delay_alu instid0(VALU_DEP_2)
	v_add_co_ci_u32_e32 v1, vcc_lo, v6, v1, vcc_lo
	global_load_b32 v2, v[0:1], off
	s_waitcnt vmcnt(0)
	v_sub_f32_e32 v2, v4, v2
	global_store_b32 v[0:1], v2, off
.LBB1396_11:
	s_nop 0
	s_sendmsg sendmsg(MSG_DEALLOC_VGPRS)
	s_endpgm
	.section	.rodata,"a",@progbits
	.p2align	6, 0x0
	.amdhsa_kernel _ZL37rocblas_syrkx_herkx_restricted_kernelIlfLi16ELi32ELi8ELi1ELin1ELb0ELc78ELc76EKPKfKPfEviT_PT9_S5_lS7_S5_lPT10_S5_li
		.amdhsa_group_segment_fixed_size 2048
		.amdhsa_private_segment_fixed_size 0
		.amdhsa_kernarg_size 92
		.amdhsa_user_sgpr_count 13
		.amdhsa_user_sgpr_dispatch_ptr 0
		.amdhsa_user_sgpr_queue_ptr 0
		.amdhsa_user_sgpr_kernarg_segment_ptr 1
		.amdhsa_user_sgpr_dispatch_id 0
		.amdhsa_user_sgpr_private_segment_size 0
		.amdhsa_wavefront_size32 1
		.amdhsa_uses_dynamic_stack 0
		.amdhsa_enable_private_segment 0
		.amdhsa_system_sgpr_workgroup_id_x 1
		.amdhsa_system_sgpr_workgroup_id_y 1
		.amdhsa_system_sgpr_workgroup_id_z 1
		.amdhsa_system_sgpr_workgroup_info 0
		.amdhsa_system_vgpr_workitem_id 1
		.amdhsa_next_free_vgpr 46
		.amdhsa_next_free_sgpr 20
		.amdhsa_reserve_vcc 1
		.amdhsa_float_round_mode_32 0
		.amdhsa_float_round_mode_16_64 0
		.amdhsa_float_denorm_mode_32 3
		.amdhsa_float_denorm_mode_16_64 3
		.amdhsa_dx10_clamp 1
		.amdhsa_ieee_mode 1
		.amdhsa_fp16_overflow 0
		.amdhsa_workgroup_processor_mode 1
		.amdhsa_memory_ordered 1
		.amdhsa_forward_progress 0
		.amdhsa_shared_vgpr_count 0
		.amdhsa_exception_fp_ieee_invalid_op 0
		.amdhsa_exception_fp_denorm_src 0
		.amdhsa_exception_fp_ieee_div_zero 0
		.amdhsa_exception_fp_ieee_overflow 0
		.amdhsa_exception_fp_ieee_underflow 0
		.amdhsa_exception_fp_ieee_inexact 0
		.amdhsa_exception_int_div_zero 0
	.end_amdhsa_kernel
	.section	.text._ZL37rocblas_syrkx_herkx_restricted_kernelIlfLi16ELi32ELi8ELi1ELin1ELb0ELc78ELc76EKPKfKPfEviT_PT9_S5_lS7_S5_lPT10_S5_li,"axG",@progbits,_ZL37rocblas_syrkx_herkx_restricted_kernelIlfLi16ELi32ELi8ELi1ELin1ELb0ELc78ELc76EKPKfKPfEviT_PT9_S5_lS7_S5_lPT10_S5_li,comdat
.Lfunc_end1396:
	.size	_ZL37rocblas_syrkx_herkx_restricted_kernelIlfLi16ELi32ELi8ELi1ELin1ELb0ELc78ELc76EKPKfKPfEviT_PT9_S5_lS7_S5_lPT10_S5_li, .Lfunc_end1396-_ZL37rocblas_syrkx_herkx_restricted_kernelIlfLi16ELi32ELi8ELi1ELin1ELb0ELc78ELc76EKPKfKPfEviT_PT9_S5_lS7_S5_lPT10_S5_li
                                        ; -- End function
	.section	.AMDGPU.csdata,"",@progbits
; Kernel info:
; codeLenInByte = 1320
; NumSgprs: 22
; NumVgprs: 46
; ScratchSize: 0
; MemoryBound: 0
; FloatMode: 240
; IeeeMode: 1
; LDSByteSize: 2048 bytes/workgroup (compile time only)
; SGPRBlocks: 2
; VGPRBlocks: 5
; NumSGPRsForWavesPerEU: 22
; NumVGPRsForWavesPerEU: 46
; Occupancy: 16
; WaveLimiterHint : 1
; COMPUTE_PGM_RSRC2:SCRATCH_EN: 0
; COMPUTE_PGM_RSRC2:USER_SGPR: 13
; COMPUTE_PGM_RSRC2:TRAP_HANDLER: 0
; COMPUTE_PGM_RSRC2:TGID_X_EN: 1
; COMPUTE_PGM_RSRC2:TGID_Y_EN: 1
; COMPUTE_PGM_RSRC2:TGID_Z_EN: 1
; COMPUTE_PGM_RSRC2:TIDIG_COMP_CNT: 1
	.section	.text._ZL37rocblas_syrkx_herkx_restricted_kernelIlfLi16ELi32ELi8ELi1ELin1ELb0ELc84ELc85EKPKfKPfEviT_PT9_S5_lS7_S5_lPT10_S5_li,"axG",@progbits,_ZL37rocblas_syrkx_herkx_restricted_kernelIlfLi16ELi32ELi8ELi1ELin1ELb0ELc84ELc85EKPKfKPfEviT_PT9_S5_lS7_S5_lPT10_S5_li,comdat
	.globl	_ZL37rocblas_syrkx_herkx_restricted_kernelIlfLi16ELi32ELi8ELi1ELin1ELb0ELc84ELc85EKPKfKPfEviT_PT9_S5_lS7_S5_lPT10_S5_li ; -- Begin function _ZL37rocblas_syrkx_herkx_restricted_kernelIlfLi16ELi32ELi8ELi1ELin1ELb0ELc84ELc85EKPKfKPfEviT_PT9_S5_lS7_S5_lPT10_S5_li
	.p2align	8
	.type	_ZL37rocblas_syrkx_herkx_restricted_kernelIlfLi16ELi32ELi8ELi1ELin1ELb0ELc84ELc85EKPKfKPfEviT_PT9_S5_lS7_S5_lPT10_S5_li,@function
_ZL37rocblas_syrkx_herkx_restricted_kernelIlfLi16ELi32ELi8ELi1ELin1ELb0ELc84ELc85EKPKfKPfEviT_PT9_S5_lS7_S5_lPT10_S5_li: ; @_ZL37rocblas_syrkx_herkx_restricted_kernelIlfLi16ELi32ELi8ELi1ELin1ELb0ELc84ELc85EKPKfKPfEviT_PT9_S5_lS7_S5_lPT10_S5_li
; %bb.0:
	s_clause 0x1
	s_load_b128 s[4:7], s[0:1], 0x40
	s_load_b128 s[8:11], s[0:1], 0x8
	s_mov_b32 s2, s15
	s_mov_b32 s3, 0
	v_dual_mov_b32 v9, 0 :: v_dual_and_b32 v6, 0x3ff, v0
	s_lshl_b64 s[16:17], s[2:3], 3
	v_bfe_u32 v7, v0, 10, 10
	v_dual_mov_b32 v8, 0 :: v_dual_mov_b32 v1, 0
	v_mov_b32_e32 v0, 0
	s_waitcnt lgkmcnt(0)
	s_add_u32 s2, s4, s16
	s_addc_u32 s3, s5, s17
	v_cmp_lt_i64_e64 s4, s[8:9], 1
	s_load_b64 s[2:3], s[2:3], 0x0
	s_lshl_b32 s18, s13, 5
	s_lshl_b32 s19, s14, 5
	s_delay_alu instid0(VALU_DEP_1)
	s_and_b32 vcc_lo, exec_lo, s4
	s_cbranch_vccnz .LBB1397_3
; %bb.1:
	s_clause 0x1
	s_load_b128 s[12:15], s[0:1], 0x28
	s_load_b64 s[4:5], s[0:1], 0x18
	v_lshl_add_u32 v2, v7, 4, v6
	s_add_u32 s10, s10, s16
	s_addc_u32 s11, s11, s17
	v_dual_mov_b32 v1, 0 :: v_dual_and_b32 v0, 7, v6
	s_delay_alu instid0(VALU_DEP_2) | instskip(SKIP_2) | instid1(VALU_DEP_4)
	v_lshrrev_b32_e32 v11, 3, v2
	v_and_b32_e32 v12, 31, v2
	v_lshrrev_b32_e32 v2, 5, v2
	v_mov_b32_e32 v3, v1
	s_load_b64 s[10:11], s[10:11], 0x0
	v_add_nc_u32_e32 v10, s19, v11
	v_add_nc_u32_e32 v8, s18, v12
	v_lshlrev_b32_e32 v12, 2, v12
	s_delay_alu instid0(VALU_DEP_3) | instskip(NEXT) | instid1(VALU_DEP_3)
	v_ashrrev_i32_e32 v4, 31, v10
	v_ashrrev_i32_e32 v5, 31, v8
	s_delay_alu instid0(VALU_DEP_3)
	v_lshl_or_b32 v12, v2, 7, v12
	s_waitcnt lgkmcnt(0)
	s_add_u32 s12, s12, s16
	s_addc_u32 s13, s13, s17
	v_mul_lo_u32 v13, v4, s14
	v_mul_lo_u32 v14, s4, v5
	v_mad_u64_u32 v[4:5], null, s4, v8, v[2:3]
	v_mul_lo_u32 v3, s5, v8
	s_load_b64 s[4:5], s[12:13], 0x0
	v_mul_lo_u32 v15, v10, s15
	v_mad_u64_u32 v[8:9], null, v10, s14, v[0:1]
	v_lshlrev_b32_e32 v0, 2, v0
	v_lshlrev_b32_e32 v10, 2, v6
	v_add3_u32 v5, v3, v5, v14
	s_delay_alu instid0(VALU_DEP_3) | instskip(SKIP_2) | instid1(VALU_DEP_4)
	v_lshl_or_b32 v0, v11, 5, v0
	v_add3_u32 v9, v13, v9, v15
	v_lshl_add_u32 v11, v7, 5, 0x400
	v_lshlrev_b64 v[3:4], 2, v[4:5]
	s_delay_alu instid0(VALU_DEP_4) | instskip(NEXT) | instid1(VALU_DEP_4)
	v_dual_mov_b32 v0, v1 :: v_dual_add_nc_u32 v13, 0x400, v0
	v_lshlrev_b64 v[8:9], 2, v[8:9]
	s_delay_alu instid0(VALU_DEP_3) | instskip(NEXT) | instid1(VALU_DEP_4)
	v_add_co_u32 v2, vcc_lo, s10, v3
	v_add_co_ci_u32_e32 v3, vcc_lo, s11, v4, vcc_lo
	s_waitcnt lgkmcnt(0)
	s_delay_alu instid0(VALU_DEP_3) | instskip(NEXT) | instid1(VALU_DEP_4)
	v_add_co_u32 v4, vcc_lo, s4, v8
	v_add_co_ci_u32_e32 v5, vcc_lo, s5, v9, vcc_lo
	v_mov_b32_e32 v8, v1
	v_mov_b32_e32 v9, v1
	s_mov_b64 s[4:5], 0
.LBB1397_2:                             ; =>This Inner Loop Header: Depth=1
	global_load_b32 v14, v[2:3], off
	global_load_b32 v15, v[4:5], off
	s_add_u32 s4, s4, 8
	v_add_co_u32 v2, vcc_lo, v2, 32
	s_addc_u32 s5, s5, 0
	v_add_co_ci_u32_e32 v3, vcc_lo, 0, v3, vcc_lo
	v_cmp_ge_u64_e64 s10, s[4:5], s[8:9]
	v_add_co_u32 v4, vcc_lo, v4, 32
	v_add_co_ci_u32_e32 v5, vcc_lo, 0, v5, vcc_lo
	s_waitcnt vmcnt(1)
	ds_store_b32 v12, v14
	s_waitcnt vmcnt(0)
	ds_store_b32 v13, v15
	s_waitcnt lgkmcnt(0)
	s_barrier
	buffer_gl0_inv
	ds_load_2addr_b32 v[30:31], v10 offset1:16
	ds_load_b128 v[14:17], v11
	ds_load_b128 v[18:21], v11 offset:512
	ds_load_2addr_b32 v[32:33], v10 offset0:32 offset1:48
	ds_load_2addr_b32 v[34:35], v10 offset0:64 offset1:80
	ds_load_b128 v[22:25], v11 offset:16
	ds_load_2addr_b32 v[36:37], v10 offset0:96 offset1:112
	ds_load_2addr_b32 v[38:39], v10 offset0:128 offset1:144
	;; [unrolled: 3-line block ×3, first 2 shown]
	ds_load_2addr_b32 v[44:45], v10 offset0:224 offset1:240
	s_and_b32 vcc_lo, exec_lo, s10
	s_waitcnt lgkmcnt(0)
	s_barrier
	buffer_gl0_inv
	v_fmac_f32_e32 v8, v31, v14
	v_fmac_f32_e32 v9, v30, v14
	;; [unrolled: 1-line block ×4, first 2 shown]
	s_delay_alu instid0(VALU_DEP_4) | instskip(NEXT) | instid1(VALU_DEP_4)
	v_fmac_f32_e32 v8, v33, v15
	v_fmac_f32_e32 v9, v32, v15
	s_delay_alu instid0(VALU_DEP_4) | instskip(NEXT) | instid1(VALU_DEP_4)
	v_fmac_f32_e32 v1, v33, v19
	v_fmac_f32_e32 v0, v32, v19
	;; [unrolled: 3-line block ×14, first 2 shown]
	s_cbranch_vccz .LBB1397_2
.LBB1397_3:
	v_add_nc_u32_e32 v7, s19, v7
	s_load_b32 s4, s[0:1], 0x0
	s_delay_alu instid0(VALU_DEP_1) | instskip(SKIP_2) | instid1(VALU_DEP_3)
	v_ashrrev_i32_e32 v2, 31, v7
	v_mul_lo_u32 v5, v7, s7
	v_mad_u64_u32 v[3:4], null, v7, s6, 0
	v_mul_lo_u32 v2, v2, s6
	s_delay_alu instid0(VALU_DEP_1) | instskip(SKIP_3) | instid1(VALU_DEP_3)
	v_add3_u32 v4, v4, v5, v2
	v_add_nc_u32_e32 v2, s18, v6
	s_waitcnt lgkmcnt(0)
	v_cmp_gt_i32_e32 vcc_lo, s4, v7
	v_lshlrev_b64 v[3:4], 2, v[3:4]
	s_delay_alu instid0(VALU_DEP_3) | instskip(NEXT) | instid1(VALU_DEP_1)
	v_cmp_le_i32_e64 s0, v2, v7
	s_and_b32 s0, vcc_lo, s0
	s_delay_alu instid0(VALU_DEP_2) | instskip(NEXT) | instid1(VALU_DEP_1)
	v_add_co_u32 v6, s1, s2, v3
	v_add_co_ci_u32_e64 v10, s1, s3, v4, s1
	s_and_saveexec_b32 s1, s0
	s_cbranch_execz .LBB1397_5
; %bb.4:
	v_ashrrev_i32_e32 v3, 31, v2
	s_delay_alu instid0(VALU_DEP_1) | instskip(NEXT) | instid1(VALU_DEP_1)
	v_lshlrev_b64 v[3:4], 2, v[2:3]
	v_add_co_u32 v3, s0, v6, v3
	s_delay_alu instid0(VALU_DEP_1)
	v_add_co_ci_u32_e64 v4, s0, v10, v4, s0
	global_load_b32 v5, v[3:4], off
	s_waitcnt vmcnt(0)
	v_sub_f32_e32 v5, v9, v5
	global_store_b32 v[3:4], v5, off
.LBB1397_5:
	s_or_b32 exec_lo, exec_lo, s1
	v_add_nc_u32_e32 v4, 16, v2
	s_delay_alu instid0(VALU_DEP_1) | instskip(NEXT) | instid1(VALU_DEP_1)
	v_cmp_le_i32_e64 s0, v4, v7
	s_and_b32 s1, vcc_lo, s0
	s_delay_alu instid0(SALU_CYCLE_1)
	s_and_saveexec_b32 s0, s1
	s_cbranch_execz .LBB1397_7
; %bb.6:
	v_ashrrev_i32_e32 v5, 31, v4
	s_delay_alu instid0(VALU_DEP_1) | instskip(NEXT) | instid1(VALU_DEP_1)
	v_lshlrev_b64 v[11:12], 2, v[4:5]
	v_add_co_u32 v5, vcc_lo, v6, v11
	s_delay_alu instid0(VALU_DEP_2)
	v_add_co_ci_u32_e32 v6, vcc_lo, v10, v12, vcc_lo
	global_load_b32 v3, v[5:6], off
	s_waitcnt vmcnt(0)
	v_sub_f32_e32 v3, v8, v3
	global_store_b32 v[5:6], v3, off
.LBB1397_7:
	s_or_b32 exec_lo, exec_lo, s0
	v_add_nc_u32_e32 v5, 16, v7
	s_delay_alu instid0(VALU_DEP_1) | instskip(SKIP_3) | instid1(VALU_DEP_4)
	v_ashrrev_i32_e32 v3, 31, v5
	v_mul_lo_u32 v8, v5, s7
	v_mad_u64_u32 v[6:7], null, v5, s6, 0
	v_cmp_gt_i32_e32 vcc_lo, s4, v5
	v_mul_lo_u32 v3, v3, s6
	v_cmp_le_i32_e64 s0, v2, v5
	s_delay_alu instid0(VALU_DEP_1) | instskip(NEXT) | instid1(VALU_DEP_2)
	s_and_b32 s0, vcc_lo, s0
	v_add3_u32 v7, v7, v8, v3
	s_delay_alu instid0(VALU_DEP_1) | instskip(NEXT) | instid1(VALU_DEP_1)
	v_lshlrev_b64 v[6:7], 2, v[6:7]
	v_add_co_u32 v6, s1, s2, v6
	s_delay_alu instid0(VALU_DEP_1)
	v_add_co_ci_u32_e64 v7, s1, s3, v7, s1
	s_and_saveexec_b32 s1, s0
	s_cbranch_execz .LBB1397_9
; %bb.8:
	v_ashrrev_i32_e32 v3, 31, v2
	s_delay_alu instid0(VALU_DEP_1) | instskip(NEXT) | instid1(VALU_DEP_1)
	v_lshlrev_b64 v[2:3], 2, v[2:3]
	v_add_co_u32 v2, s0, v6, v2
	s_delay_alu instid0(VALU_DEP_1)
	v_add_co_ci_u32_e64 v3, s0, v7, v3, s0
	global_load_b32 v8, v[2:3], off
	s_waitcnt vmcnt(0)
	v_sub_f32_e32 v0, v0, v8
	global_store_b32 v[2:3], v0, off
.LBB1397_9:
	s_or_b32 exec_lo, exec_lo, s1
	v_cmp_le_i32_e64 s0, v4, v5
	s_delay_alu instid0(VALU_DEP_1) | instskip(NEXT) | instid1(SALU_CYCLE_1)
	s_and_b32 s0, vcc_lo, s0
	s_and_saveexec_b32 s1, s0
	s_cbranch_execz .LBB1397_11
; %bb.10:
	v_ashrrev_i32_e32 v5, 31, v4
	s_delay_alu instid0(VALU_DEP_1) | instskip(NEXT) | instid1(VALU_DEP_1)
	v_lshlrev_b64 v[2:3], 2, v[4:5]
	v_add_co_u32 v2, vcc_lo, v6, v2
	s_delay_alu instid0(VALU_DEP_2)
	v_add_co_ci_u32_e32 v3, vcc_lo, v7, v3, vcc_lo
	global_load_b32 v0, v[2:3], off
	s_waitcnt vmcnt(0)
	v_sub_f32_e32 v0, v1, v0
	global_store_b32 v[2:3], v0, off
.LBB1397_11:
	s_nop 0
	s_sendmsg sendmsg(MSG_DEALLOC_VGPRS)
	s_endpgm
	.section	.rodata,"a",@progbits
	.p2align	6, 0x0
	.amdhsa_kernel _ZL37rocblas_syrkx_herkx_restricted_kernelIlfLi16ELi32ELi8ELi1ELin1ELb0ELc84ELc85EKPKfKPfEviT_PT9_S5_lS7_S5_lPT10_S5_li
		.amdhsa_group_segment_fixed_size 2048
		.amdhsa_private_segment_fixed_size 0
		.amdhsa_kernarg_size 92
		.amdhsa_user_sgpr_count 13
		.amdhsa_user_sgpr_dispatch_ptr 0
		.amdhsa_user_sgpr_queue_ptr 0
		.amdhsa_user_sgpr_kernarg_segment_ptr 1
		.amdhsa_user_sgpr_dispatch_id 0
		.amdhsa_user_sgpr_private_segment_size 0
		.amdhsa_wavefront_size32 1
		.amdhsa_uses_dynamic_stack 0
		.amdhsa_enable_private_segment 0
		.amdhsa_system_sgpr_workgroup_id_x 1
		.amdhsa_system_sgpr_workgroup_id_y 1
		.amdhsa_system_sgpr_workgroup_id_z 1
		.amdhsa_system_sgpr_workgroup_info 0
		.amdhsa_system_vgpr_workitem_id 1
		.amdhsa_next_free_vgpr 46
		.amdhsa_next_free_sgpr 20
		.amdhsa_reserve_vcc 1
		.amdhsa_float_round_mode_32 0
		.amdhsa_float_round_mode_16_64 0
		.amdhsa_float_denorm_mode_32 3
		.amdhsa_float_denorm_mode_16_64 3
		.amdhsa_dx10_clamp 1
		.amdhsa_ieee_mode 1
		.amdhsa_fp16_overflow 0
		.amdhsa_workgroup_processor_mode 1
		.amdhsa_memory_ordered 1
		.amdhsa_forward_progress 0
		.amdhsa_shared_vgpr_count 0
		.amdhsa_exception_fp_ieee_invalid_op 0
		.amdhsa_exception_fp_denorm_src 0
		.amdhsa_exception_fp_ieee_div_zero 0
		.amdhsa_exception_fp_ieee_overflow 0
		.amdhsa_exception_fp_ieee_underflow 0
		.amdhsa_exception_fp_ieee_inexact 0
		.amdhsa_exception_int_div_zero 0
	.end_amdhsa_kernel
	.section	.text._ZL37rocblas_syrkx_herkx_restricted_kernelIlfLi16ELi32ELi8ELi1ELin1ELb0ELc84ELc85EKPKfKPfEviT_PT9_S5_lS7_S5_lPT10_S5_li,"axG",@progbits,_ZL37rocblas_syrkx_herkx_restricted_kernelIlfLi16ELi32ELi8ELi1ELin1ELb0ELc84ELc85EKPKfKPfEviT_PT9_S5_lS7_S5_lPT10_S5_li,comdat
.Lfunc_end1397:
	.size	_ZL37rocblas_syrkx_herkx_restricted_kernelIlfLi16ELi32ELi8ELi1ELin1ELb0ELc84ELc85EKPKfKPfEviT_PT9_S5_lS7_S5_lPT10_S5_li, .Lfunc_end1397-_ZL37rocblas_syrkx_herkx_restricted_kernelIlfLi16ELi32ELi8ELi1ELin1ELb0ELc84ELc85EKPKfKPfEviT_PT9_S5_lS7_S5_lPT10_S5_li
                                        ; -- End function
	.section	.AMDGPU.csdata,"",@progbits
; Kernel info:
; codeLenInByte = 1352
; NumSgprs: 22
; NumVgprs: 46
; ScratchSize: 0
; MemoryBound: 0
; FloatMode: 240
; IeeeMode: 1
; LDSByteSize: 2048 bytes/workgroup (compile time only)
; SGPRBlocks: 2
; VGPRBlocks: 5
; NumSGPRsForWavesPerEU: 22
; NumVGPRsForWavesPerEU: 46
; Occupancy: 16
; WaveLimiterHint : 1
; COMPUTE_PGM_RSRC2:SCRATCH_EN: 0
; COMPUTE_PGM_RSRC2:USER_SGPR: 13
; COMPUTE_PGM_RSRC2:TRAP_HANDLER: 0
; COMPUTE_PGM_RSRC2:TGID_X_EN: 1
; COMPUTE_PGM_RSRC2:TGID_Y_EN: 1
; COMPUTE_PGM_RSRC2:TGID_Z_EN: 1
; COMPUTE_PGM_RSRC2:TIDIG_COMP_CNT: 1
	.section	.text._ZL37rocblas_syrkx_herkx_restricted_kernelIlfLi16ELi32ELi8ELi1ELin1ELb0ELc67ELc85EKPKfKPfEviT_PT9_S5_lS7_S5_lPT10_S5_li,"axG",@progbits,_ZL37rocblas_syrkx_herkx_restricted_kernelIlfLi16ELi32ELi8ELi1ELin1ELb0ELc67ELc85EKPKfKPfEviT_PT9_S5_lS7_S5_lPT10_S5_li,comdat
	.globl	_ZL37rocblas_syrkx_herkx_restricted_kernelIlfLi16ELi32ELi8ELi1ELin1ELb0ELc67ELc85EKPKfKPfEviT_PT9_S5_lS7_S5_lPT10_S5_li ; -- Begin function _ZL37rocblas_syrkx_herkx_restricted_kernelIlfLi16ELi32ELi8ELi1ELin1ELb0ELc67ELc85EKPKfKPfEviT_PT9_S5_lS7_S5_lPT10_S5_li
	.p2align	8
	.type	_ZL37rocblas_syrkx_herkx_restricted_kernelIlfLi16ELi32ELi8ELi1ELin1ELb0ELc67ELc85EKPKfKPfEviT_PT9_S5_lS7_S5_lPT10_S5_li,@function
_ZL37rocblas_syrkx_herkx_restricted_kernelIlfLi16ELi32ELi8ELi1ELin1ELb0ELc67ELc85EKPKfKPfEviT_PT9_S5_lS7_S5_lPT10_S5_li: ; @_ZL37rocblas_syrkx_herkx_restricted_kernelIlfLi16ELi32ELi8ELi1ELin1ELb0ELc67ELc85EKPKfKPfEviT_PT9_S5_lS7_S5_lPT10_S5_li
; %bb.0:
	s_clause 0x1
	s_load_b128 s[4:7], s[0:1], 0x40
	s_load_b128 s[8:11], s[0:1], 0x8
	s_mov_b32 s2, s15
	s_mov_b32 s3, 0
	v_dual_mov_b32 v9, 0 :: v_dual_and_b32 v6, 0x3ff, v0
	s_lshl_b64 s[16:17], s[2:3], 3
	v_bfe_u32 v7, v0, 10, 10
	v_dual_mov_b32 v8, 0 :: v_dual_mov_b32 v1, 0
	v_mov_b32_e32 v0, 0
	s_waitcnt lgkmcnt(0)
	s_add_u32 s2, s4, s16
	s_addc_u32 s3, s5, s17
	v_cmp_lt_i64_e64 s4, s[8:9], 1
	s_load_b64 s[2:3], s[2:3], 0x0
	s_lshl_b32 s18, s13, 5
	s_lshl_b32 s19, s14, 5
	s_delay_alu instid0(VALU_DEP_1)
	s_and_b32 vcc_lo, exec_lo, s4
	s_cbranch_vccnz .LBB1398_3
; %bb.1:
	s_clause 0x1
	s_load_b128 s[12:15], s[0:1], 0x28
	s_load_b64 s[4:5], s[0:1], 0x18
	v_lshl_add_u32 v2, v7, 4, v6
	s_add_u32 s10, s10, s16
	s_addc_u32 s11, s11, s17
	v_dual_mov_b32 v1, 0 :: v_dual_and_b32 v0, 7, v6
	s_delay_alu instid0(VALU_DEP_2) | instskip(SKIP_2) | instid1(VALU_DEP_4)
	v_lshrrev_b32_e32 v11, 3, v2
	v_and_b32_e32 v12, 31, v2
	v_lshrrev_b32_e32 v2, 5, v2
	v_mov_b32_e32 v3, v1
	s_load_b64 s[10:11], s[10:11], 0x0
	v_add_nc_u32_e32 v10, s19, v11
	v_add_nc_u32_e32 v8, s18, v12
	v_lshlrev_b32_e32 v12, 2, v12
	s_delay_alu instid0(VALU_DEP_3) | instskip(NEXT) | instid1(VALU_DEP_3)
	v_ashrrev_i32_e32 v4, 31, v10
	v_ashrrev_i32_e32 v5, 31, v8
	s_delay_alu instid0(VALU_DEP_3)
	v_lshl_or_b32 v12, v2, 7, v12
	s_waitcnt lgkmcnt(0)
	s_add_u32 s12, s12, s16
	s_addc_u32 s13, s13, s17
	v_mul_lo_u32 v13, v4, s14
	v_mul_lo_u32 v14, s4, v5
	v_mad_u64_u32 v[4:5], null, s4, v8, v[2:3]
	v_mul_lo_u32 v3, s5, v8
	s_load_b64 s[4:5], s[12:13], 0x0
	v_mul_lo_u32 v15, v10, s15
	v_mad_u64_u32 v[8:9], null, v10, s14, v[0:1]
	v_lshlrev_b32_e32 v0, 2, v0
	v_lshlrev_b32_e32 v10, 2, v6
	v_add3_u32 v5, v3, v5, v14
	s_delay_alu instid0(VALU_DEP_3) | instskip(SKIP_2) | instid1(VALU_DEP_4)
	v_lshl_or_b32 v0, v11, 5, v0
	v_add3_u32 v9, v13, v9, v15
	v_lshl_add_u32 v11, v7, 5, 0x400
	v_lshlrev_b64 v[3:4], 2, v[4:5]
	s_delay_alu instid0(VALU_DEP_4) | instskip(NEXT) | instid1(VALU_DEP_4)
	v_dual_mov_b32 v0, v1 :: v_dual_add_nc_u32 v13, 0x400, v0
	v_lshlrev_b64 v[8:9], 2, v[8:9]
	s_delay_alu instid0(VALU_DEP_3) | instskip(NEXT) | instid1(VALU_DEP_4)
	v_add_co_u32 v2, vcc_lo, s10, v3
	v_add_co_ci_u32_e32 v3, vcc_lo, s11, v4, vcc_lo
	s_waitcnt lgkmcnt(0)
	s_delay_alu instid0(VALU_DEP_3) | instskip(NEXT) | instid1(VALU_DEP_4)
	v_add_co_u32 v4, vcc_lo, s4, v8
	v_add_co_ci_u32_e32 v5, vcc_lo, s5, v9, vcc_lo
	v_mov_b32_e32 v8, v1
	v_mov_b32_e32 v9, v1
	s_mov_b64 s[4:5], 0
.LBB1398_2:                             ; =>This Inner Loop Header: Depth=1
	global_load_b32 v14, v[2:3], off
	global_load_b32 v15, v[4:5], off
	s_add_u32 s4, s4, 8
	v_add_co_u32 v2, vcc_lo, v2, 32
	s_addc_u32 s5, s5, 0
	v_add_co_ci_u32_e32 v3, vcc_lo, 0, v3, vcc_lo
	v_cmp_ge_u64_e64 s10, s[4:5], s[8:9]
	v_add_co_u32 v4, vcc_lo, v4, 32
	v_add_co_ci_u32_e32 v5, vcc_lo, 0, v5, vcc_lo
	s_waitcnt vmcnt(1)
	ds_store_b32 v12, v14
	s_waitcnt vmcnt(0)
	ds_store_b32 v13, v15
	s_waitcnt lgkmcnt(0)
	s_barrier
	buffer_gl0_inv
	ds_load_2addr_b32 v[30:31], v10 offset1:16
	ds_load_b128 v[14:17], v11
	ds_load_b128 v[18:21], v11 offset:512
	ds_load_2addr_b32 v[32:33], v10 offset0:32 offset1:48
	ds_load_2addr_b32 v[34:35], v10 offset0:64 offset1:80
	ds_load_b128 v[22:25], v11 offset:16
	ds_load_2addr_b32 v[36:37], v10 offset0:96 offset1:112
	ds_load_2addr_b32 v[38:39], v10 offset0:128 offset1:144
	;; [unrolled: 3-line block ×3, first 2 shown]
	ds_load_2addr_b32 v[44:45], v10 offset0:224 offset1:240
	s_and_b32 vcc_lo, exec_lo, s10
	s_waitcnt lgkmcnt(0)
	s_barrier
	buffer_gl0_inv
	v_fmac_f32_e32 v8, v31, v14
	v_fmac_f32_e32 v9, v30, v14
	;; [unrolled: 1-line block ×4, first 2 shown]
	s_delay_alu instid0(VALU_DEP_4) | instskip(NEXT) | instid1(VALU_DEP_4)
	v_fmac_f32_e32 v8, v33, v15
	v_fmac_f32_e32 v9, v32, v15
	s_delay_alu instid0(VALU_DEP_4) | instskip(NEXT) | instid1(VALU_DEP_4)
	v_fmac_f32_e32 v1, v33, v19
	v_fmac_f32_e32 v0, v32, v19
	;; [unrolled: 3-line block ×14, first 2 shown]
	s_cbranch_vccz .LBB1398_2
.LBB1398_3:
	v_add_nc_u32_e32 v7, s19, v7
	s_load_b32 s4, s[0:1], 0x0
	s_delay_alu instid0(VALU_DEP_1) | instskip(SKIP_2) | instid1(VALU_DEP_3)
	v_ashrrev_i32_e32 v2, 31, v7
	v_mul_lo_u32 v5, v7, s7
	v_mad_u64_u32 v[3:4], null, v7, s6, 0
	v_mul_lo_u32 v2, v2, s6
	s_delay_alu instid0(VALU_DEP_1) | instskip(SKIP_3) | instid1(VALU_DEP_3)
	v_add3_u32 v4, v4, v5, v2
	v_add_nc_u32_e32 v2, s18, v6
	s_waitcnt lgkmcnt(0)
	v_cmp_gt_i32_e32 vcc_lo, s4, v7
	v_lshlrev_b64 v[3:4], 2, v[3:4]
	s_delay_alu instid0(VALU_DEP_3) | instskip(NEXT) | instid1(VALU_DEP_1)
	v_cmp_le_i32_e64 s0, v2, v7
	s_and_b32 s0, vcc_lo, s0
	s_delay_alu instid0(VALU_DEP_2) | instskip(NEXT) | instid1(VALU_DEP_1)
	v_add_co_u32 v6, s1, s2, v3
	v_add_co_ci_u32_e64 v10, s1, s3, v4, s1
	s_and_saveexec_b32 s1, s0
	s_cbranch_execz .LBB1398_5
; %bb.4:
	v_ashrrev_i32_e32 v3, 31, v2
	s_delay_alu instid0(VALU_DEP_1) | instskip(NEXT) | instid1(VALU_DEP_1)
	v_lshlrev_b64 v[3:4], 2, v[2:3]
	v_add_co_u32 v3, s0, v6, v3
	s_delay_alu instid0(VALU_DEP_1)
	v_add_co_ci_u32_e64 v4, s0, v10, v4, s0
	global_load_b32 v5, v[3:4], off
	s_waitcnt vmcnt(0)
	v_sub_f32_e32 v5, v9, v5
	global_store_b32 v[3:4], v5, off
.LBB1398_5:
	s_or_b32 exec_lo, exec_lo, s1
	v_add_nc_u32_e32 v4, 16, v2
	s_delay_alu instid0(VALU_DEP_1) | instskip(NEXT) | instid1(VALU_DEP_1)
	v_cmp_le_i32_e64 s0, v4, v7
	s_and_b32 s1, vcc_lo, s0
	s_delay_alu instid0(SALU_CYCLE_1)
	s_and_saveexec_b32 s0, s1
	s_cbranch_execz .LBB1398_7
; %bb.6:
	v_ashrrev_i32_e32 v5, 31, v4
	s_delay_alu instid0(VALU_DEP_1) | instskip(NEXT) | instid1(VALU_DEP_1)
	v_lshlrev_b64 v[11:12], 2, v[4:5]
	v_add_co_u32 v5, vcc_lo, v6, v11
	s_delay_alu instid0(VALU_DEP_2)
	v_add_co_ci_u32_e32 v6, vcc_lo, v10, v12, vcc_lo
	global_load_b32 v3, v[5:6], off
	s_waitcnt vmcnt(0)
	v_sub_f32_e32 v3, v8, v3
	global_store_b32 v[5:6], v3, off
.LBB1398_7:
	s_or_b32 exec_lo, exec_lo, s0
	v_add_nc_u32_e32 v5, 16, v7
	s_delay_alu instid0(VALU_DEP_1) | instskip(SKIP_3) | instid1(VALU_DEP_4)
	v_ashrrev_i32_e32 v3, 31, v5
	v_mul_lo_u32 v8, v5, s7
	v_mad_u64_u32 v[6:7], null, v5, s6, 0
	v_cmp_gt_i32_e32 vcc_lo, s4, v5
	v_mul_lo_u32 v3, v3, s6
	v_cmp_le_i32_e64 s0, v2, v5
	s_delay_alu instid0(VALU_DEP_1) | instskip(NEXT) | instid1(VALU_DEP_2)
	s_and_b32 s0, vcc_lo, s0
	v_add3_u32 v7, v7, v8, v3
	s_delay_alu instid0(VALU_DEP_1) | instskip(NEXT) | instid1(VALU_DEP_1)
	v_lshlrev_b64 v[6:7], 2, v[6:7]
	v_add_co_u32 v6, s1, s2, v6
	s_delay_alu instid0(VALU_DEP_1)
	v_add_co_ci_u32_e64 v7, s1, s3, v7, s1
	s_and_saveexec_b32 s1, s0
	s_cbranch_execz .LBB1398_9
; %bb.8:
	v_ashrrev_i32_e32 v3, 31, v2
	s_delay_alu instid0(VALU_DEP_1) | instskip(NEXT) | instid1(VALU_DEP_1)
	v_lshlrev_b64 v[2:3], 2, v[2:3]
	v_add_co_u32 v2, s0, v6, v2
	s_delay_alu instid0(VALU_DEP_1)
	v_add_co_ci_u32_e64 v3, s0, v7, v3, s0
	global_load_b32 v8, v[2:3], off
	s_waitcnt vmcnt(0)
	v_sub_f32_e32 v0, v0, v8
	global_store_b32 v[2:3], v0, off
.LBB1398_9:
	s_or_b32 exec_lo, exec_lo, s1
	v_cmp_le_i32_e64 s0, v4, v5
	s_delay_alu instid0(VALU_DEP_1) | instskip(NEXT) | instid1(SALU_CYCLE_1)
	s_and_b32 s0, vcc_lo, s0
	s_and_saveexec_b32 s1, s0
	s_cbranch_execz .LBB1398_11
; %bb.10:
	v_ashrrev_i32_e32 v5, 31, v4
	s_delay_alu instid0(VALU_DEP_1) | instskip(NEXT) | instid1(VALU_DEP_1)
	v_lshlrev_b64 v[2:3], 2, v[4:5]
	v_add_co_u32 v2, vcc_lo, v6, v2
	s_delay_alu instid0(VALU_DEP_2)
	v_add_co_ci_u32_e32 v3, vcc_lo, v7, v3, vcc_lo
	global_load_b32 v0, v[2:3], off
	s_waitcnt vmcnt(0)
	v_sub_f32_e32 v0, v1, v0
	global_store_b32 v[2:3], v0, off
.LBB1398_11:
	s_nop 0
	s_sendmsg sendmsg(MSG_DEALLOC_VGPRS)
	s_endpgm
	.section	.rodata,"a",@progbits
	.p2align	6, 0x0
	.amdhsa_kernel _ZL37rocblas_syrkx_herkx_restricted_kernelIlfLi16ELi32ELi8ELi1ELin1ELb0ELc67ELc85EKPKfKPfEviT_PT9_S5_lS7_S5_lPT10_S5_li
		.amdhsa_group_segment_fixed_size 2048
		.amdhsa_private_segment_fixed_size 0
		.amdhsa_kernarg_size 92
		.amdhsa_user_sgpr_count 13
		.amdhsa_user_sgpr_dispatch_ptr 0
		.amdhsa_user_sgpr_queue_ptr 0
		.amdhsa_user_sgpr_kernarg_segment_ptr 1
		.amdhsa_user_sgpr_dispatch_id 0
		.amdhsa_user_sgpr_private_segment_size 0
		.amdhsa_wavefront_size32 1
		.amdhsa_uses_dynamic_stack 0
		.amdhsa_enable_private_segment 0
		.amdhsa_system_sgpr_workgroup_id_x 1
		.amdhsa_system_sgpr_workgroup_id_y 1
		.amdhsa_system_sgpr_workgroup_id_z 1
		.amdhsa_system_sgpr_workgroup_info 0
		.amdhsa_system_vgpr_workitem_id 1
		.amdhsa_next_free_vgpr 46
		.amdhsa_next_free_sgpr 20
		.amdhsa_reserve_vcc 1
		.amdhsa_float_round_mode_32 0
		.amdhsa_float_round_mode_16_64 0
		.amdhsa_float_denorm_mode_32 3
		.amdhsa_float_denorm_mode_16_64 3
		.amdhsa_dx10_clamp 1
		.amdhsa_ieee_mode 1
		.amdhsa_fp16_overflow 0
		.amdhsa_workgroup_processor_mode 1
		.amdhsa_memory_ordered 1
		.amdhsa_forward_progress 0
		.amdhsa_shared_vgpr_count 0
		.amdhsa_exception_fp_ieee_invalid_op 0
		.amdhsa_exception_fp_denorm_src 0
		.amdhsa_exception_fp_ieee_div_zero 0
		.amdhsa_exception_fp_ieee_overflow 0
		.amdhsa_exception_fp_ieee_underflow 0
		.amdhsa_exception_fp_ieee_inexact 0
		.amdhsa_exception_int_div_zero 0
	.end_amdhsa_kernel
	.section	.text._ZL37rocblas_syrkx_herkx_restricted_kernelIlfLi16ELi32ELi8ELi1ELin1ELb0ELc67ELc85EKPKfKPfEviT_PT9_S5_lS7_S5_lPT10_S5_li,"axG",@progbits,_ZL37rocblas_syrkx_herkx_restricted_kernelIlfLi16ELi32ELi8ELi1ELin1ELb0ELc67ELc85EKPKfKPfEviT_PT9_S5_lS7_S5_lPT10_S5_li,comdat
.Lfunc_end1398:
	.size	_ZL37rocblas_syrkx_herkx_restricted_kernelIlfLi16ELi32ELi8ELi1ELin1ELb0ELc67ELc85EKPKfKPfEviT_PT9_S5_lS7_S5_lPT10_S5_li, .Lfunc_end1398-_ZL37rocblas_syrkx_herkx_restricted_kernelIlfLi16ELi32ELi8ELi1ELin1ELb0ELc67ELc85EKPKfKPfEviT_PT9_S5_lS7_S5_lPT10_S5_li
                                        ; -- End function
	.section	.AMDGPU.csdata,"",@progbits
; Kernel info:
; codeLenInByte = 1352
; NumSgprs: 22
; NumVgprs: 46
; ScratchSize: 0
; MemoryBound: 0
; FloatMode: 240
; IeeeMode: 1
; LDSByteSize: 2048 bytes/workgroup (compile time only)
; SGPRBlocks: 2
; VGPRBlocks: 5
; NumSGPRsForWavesPerEU: 22
; NumVGPRsForWavesPerEU: 46
; Occupancy: 16
; WaveLimiterHint : 1
; COMPUTE_PGM_RSRC2:SCRATCH_EN: 0
; COMPUTE_PGM_RSRC2:USER_SGPR: 13
; COMPUTE_PGM_RSRC2:TRAP_HANDLER: 0
; COMPUTE_PGM_RSRC2:TGID_X_EN: 1
; COMPUTE_PGM_RSRC2:TGID_Y_EN: 1
; COMPUTE_PGM_RSRC2:TGID_Z_EN: 1
; COMPUTE_PGM_RSRC2:TIDIG_COMP_CNT: 1
	.section	.text._ZL37rocblas_syrkx_herkx_restricted_kernelIlfLi16ELi32ELi8ELi1ELin1ELb0ELc78ELc85EKPKfKPfEviT_PT9_S5_lS7_S5_lPT10_S5_li,"axG",@progbits,_ZL37rocblas_syrkx_herkx_restricted_kernelIlfLi16ELi32ELi8ELi1ELin1ELb0ELc78ELc85EKPKfKPfEviT_PT9_S5_lS7_S5_lPT10_S5_li,comdat
	.globl	_ZL37rocblas_syrkx_herkx_restricted_kernelIlfLi16ELi32ELi8ELi1ELin1ELb0ELc78ELc85EKPKfKPfEviT_PT9_S5_lS7_S5_lPT10_S5_li ; -- Begin function _ZL37rocblas_syrkx_herkx_restricted_kernelIlfLi16ELi32ELi8ELi1ELin1ELb0ELc78ELc85EKPKfKPfEviT_PT9_S5_lS7_S5_lPT10_S5_li
	.p2align	8
	.type	_ZL37rocblas_syrkx_herkx_restricted_kernelIlfLi16ELi32ELi8ELi1ELin1ELb0ELc78ELc85EKPKfKPfEviT_PT9_S5_lS7_S5_lPT10_S5_li,@function
_ZL37rocblas_syrkx_herkx_restricted_kernelIlfLi16ELi32ELi8ELi1ELin1ELb0ELc78ELc85EKPKfKPfEviT_PT9_S5_lS7_S5_lPT10_S5_li: ; @_ZL37rocblas_syrkx_herkx_restricted_kernelIlfLi16ELi32ELi8ELi1ELin1ELb0ELc78ELc85EKPKfKPfEviT_PT9_S5_lS7_S5_lPT10_S5_li
; %bb.0:
	s_clause 0x1
	s_load_b128 s[4:7], s[0:1], 0x40
	s_load_b128 s[8:11], s[0:1], 0x8
	s_mov_b32 s2, s15
	s_mov_b32 s3, 0
	v_dual_mov_b32 v8, 0 :: v_dual_and_b32 v5, 0x3ff, v0
	s_lshl_b64 s[16:17], s[2:3], 3
	v_bfe_u32 v6, v0, 10, 10
	v_dual_mov_b32 v9, 0 :: v_dual_mov_b32 v4, 0
	v_mov_b32_e32 v7, 0
	s_waitcnt lgkmcnt(0)
	s_add_u32 s2, s4, s16
	s_addc_u32 s3, s5, s17
	v_cmp_lt_i64_e64 s4, s[8:9], 1
	s_load_b64 s[2:3], s[2:3], 0x0
	s_lshl_b32 s18, s13, 5
	s_lshl_b32 s19, s14, 5
	s_delay_alu instid0(VALU_DEP_1)
	s_and_b32 vcc_lo, exec_lo, s4
	s_cbranch_vccnz .LBB1399_3
; %bb.1:
	v_lshl_add_u32 v1, v6, 4, v5
	s_clause 0x1
	s_load_b64 s[4:5], s[0:1], 0x18
	s_load_b128 s[12:15], s[0:1], 0x28
	s_add_u32 s10, s10, s16
	s_addc_u32 s11, s11, s17
	v_lshlrev_b32_e32 v10, 2, v5
	v_and_b32_e32 v14, 31, v1
	v_lshrrev_b32_e32 v15, 3, v1
	v_lshrrev_b32_e32 v16, 5, v1
	s_load_b64 s[10:11], s[10:11], 0x0
	v_lshl_add_u32 v11, v6, 5, 0x400
	v_add_nc_u32_e32 v0, s18, v14
	v_add_nc_u32_e32 v2, s19, v15
	s_delay_alu instid0(VALU_DEP_2) | instskip(NEXT) | instid1(VALU_DEP_2)
	v_ashrrev_i32_e32 v1, 31, v0
	v_ashrrev_i32_e32 v3, 31, v2
	s_waitcnt lgkmcnt(0)
	s_delay_alu instid0(VALU_DEP_2) | instskip(SKIP_4) | instid1(VALU_DEP_1)
	v_mad_u64_u32 v[8:9], null, v16, s4, v[0:1]
	v_and_b32_e32 v7, 7, v5
	s_add_u32 s12, s12, s16
	s_addc_u32 s13, s13, s17
	s_load_b64 s[12:13], s[12:13], 0x0
	v_mad_u64_u32 v[0:1], null, v7, s14, v[2:3]
	s_delay_alu instid0(VALU_DEP_3) | instskip(NEXT) | instid1(VALU_DEP_1)
	v_mov_b32_e32 v2, v9
	v_mad_u64_u32 v[3:4], null, v16, s5, v[2:3]
	s_delay_alu instid0(VALU_DEP_3) | instskip(SKIP_3) | instid1(VALU_DEP_4)
	v_mad_u64_u32 v[12:13], null, v7, s15, v[1:2]
	v_dual_mov_b32 v4, 0 :: v_dual_lshlrev_b32 v1, 2, v7
	v_mov_b32_e32 v7, 0
	s_lshl_b64 s[4:5], s[4:5], 5
	v_mov_b32_e32 v9, v3
	v_lshlrev_b32_e32 v13, 2, v14
	v_lshl_or_b32 v14, v15, 5, v1
	v_mov_b32_e32 v1, v12
	s_delay_alu instid0(VALU_DEP_4)
	v_lshlrev_b64 v[2:3], 2, v[8:9]
	v_mov_b32_e32 v8, 0
	v_lshl_or_b32 v12, v16, 7, v13
	v_add_nc_u32_e32 v13, 0x400, v14
	v_lshlrev_b64 v[14:15], 2, v[0:1]
	v_mov_b32_e32 v9, 0
	v_add_co_u32 v0, vcc_lo, s10, v2
	v_add_co_ci_u32_e32 v1, vcc_lo, s11, v3, vcc_lo
	s_waitcnt lgkmcnt(0)
	s_delay_alu instid0(VALU_DEP_4)
	v_add_co_u32 v2, vcc_lo, s12, v14
	v_add_co_ci_u32_e32 v3, vcc_lo, s13, v15, vcc_lo
	s_lshl_b64 s[10:11], s[14:15], 5
	s_mov_b64 s[12:13], 0
.LBB1399_2:                             ; =>This Inner Loop Header: Depth=1
	global_load_b32 v14, v[0:1], off
	global_load_b32 v15, v[2:3], off
	s_add_u32 s12, s12, 8
	v_add_co_u32 v0, vcc_lo, v0, s4
	s_addc_u32 s13, s13, 0
	v_add_co_ci_u32_e32 v1, vcc_lo, s5, v1, vcc_lo
	v_cmp_ge_u64_e64 s14, s[12:13], s[8:9]
	v_add_co_u32 v2, vcc_lo, v2, s10
	v_add_co_ci_u32_e32 v3, vcc_lo, s11, v3, vcc_lo
	s_waitcnt vmcnt(1)
	ds_store_b32 v12, v14
	s_waitcnt vmcnt(0)
	ds_store_b32 v13, v15
	s_waitcnt lgkmcnt(0)
	s_barrier
	buffer_gl0_inv
	ds_load_2addr_b32 v[30:31], v10 offset1:16
	ds_load_b128 v[14:17], v11
	ds_load_b128 v[18:21], v11 offset:512
	ds_load_2addr_b32 v[32:33], v10 offset0:32 offset1:48
	ds_load_2addr_b32 v[34:35], v10 offset0:64 offset1:80
	ds_load_b128 v[22:25], v11 offset:16
	ds_load_2addr_b32 v[36:37], v10 offset0:96 offset1:112
	ds_load_2addr_b32 v[38:39], v10 offset0:128 offset1:144
	;; [unrolled: 3-line block ×3, first 2 shown]
	ds_load_2addr_b32 v[44:45], v10 offset0:224 offset1:240
	s_and_b32 vcc_lo, exec_lo, s14
	s_waitcnt lgkmcnt(0)
	s_barrier
	buffer_gl0_inv
	v_fmac_f32_e32 v8, v31, v14
	v_fmac_f32_e32 v9, v30, v14
	v_fmac_f32_e32 v4, v31, v18
	s_delay_alu instid0(VALU_DEP_3) | instskip(NEXT) | instid1(VALU_DEP_3)
	v_dual_fmac_f32 v7, v30, v18 :: v_dual_fmac_f32 v8, v33, v15
	v_fmac_f32_e32 v9, v32, v15
	s_delay_alu instid0(VALU_DEP_3) | instskip(NEXT) | instid1(VALU_DEP_3)
	v_fmac_f32_e32 v4, v33, v19
	v_dual_fmac_f32 v7, v32, v19 :: v_dual_fmac_f32 v8, v35, v16
	s_delay_alu instid0(VALU_DEP_3) | instskip(NEXT) | instid1(VALU_DEP_3)
	v_fmac_f32_e32 v9, v34, v16
	v_fmac_f32_e32 v4, v35, v20
	s_delay_alu instid0(VALU_DEP_3) | instskip(NEXT) | instid1(VALU_DEP_3)
	v_dual_fmac_f32 v7, v34, v20 :: v_dual_fmac_f32 v8, v37, v17
	v_fmac_f32_e32 v9, v36, v17
	s_delay_alu instid0(VALU_DEP_3) | instskip(NEXT) | instid1(VALU_DEP_3)
	v_fmac_f32_e32 v4, v37, v21
	v_dual_fmac_f32 v7, v36, v21 :: v_dual_fmac_f32 v8, v39, v22
	s_delay_alu instid0(VALU_DEP_3) | instskip(NEXT) | instid1(VALU_DEP_3)
	v_fmac_f32_e32 v9, v38, v22
	v_fmac_f32_e32 v4, v39, v26
	;; [unrolled: 9-line block ×3, first 2 shown]
	s_delay_alu instid0(VALU_DEP_3) | instskip(NEXT) | instid1(VALU_DEP_3)
	v_dual_fmac_f32 v7, v42, v28 :: v_dual_fmac_f32 v8, v45, v25
	v_fmac_f32_e32 v9, v44, v25
	s_delay_alu instid0(VALU_DEP_3) | instskip(NEXT) | instid1(VALU_DEP_3)
	v_fmac_f32_e32 v4, v45, v29
	v_fmac_f32_e32 v7, v44, v29
	s_cbranch_vccz .LBB1399_2
.LBB1399_3:
	v_add_nc_u32_e32 v6, s19, v6
	s_load_b32 s4, s[0:1], 0x0
	s_delay_alu instid0(VALU_DEP_1) | instskip(SKIP_2) | instid1(VALU_DEP_3)
	v_ashrrev_i32_e32 v0, 31, v6
	v_mul_lo_u32 v3, v6, s7
	v_mad_u64_u32 v[1:2], null, v6, s6, 0
	v_mul_lo_u32 v0, v0, s6
	s_delay_alu instid0(VALU_DEP_1) | instskip(SKIP_3) | instid1(VALU_DEP_3)
	v_add3_u32 v2, v2, v3, v0
	v_add_nc_u32_e32 v0, s18, v5
	s_waitcnt lgkmcnt(0)
	v_cmp_gt_i32_e32 vcc_lo, s4, v6
	v_lshlrev_b64 v[1:2], 2, v[1:2]
	s_delay_alu instid0(VALU_DEP_3) | instskip(NEXT) | instid1(VALU_DEP_1)
	v_cmp_le_i32_e64 s0, v0, v6
	s_and_b32 s0, vcc_lo, s0
	s_delay_alu instid0(VALU_DEP_2) | instskip(NEXT) | instid1(VALU_DEP_1)
	v_add_co_u32 v5, s1, s2, v1
	v_add_co_ci_u32_e64 v10, s1, s3, v2, s1
	s_and_saveexec_b32 s1, s0
	s_cbranch_execz .LBB1399_5
; %bb.4:
	v_ashrrev_i32_e32 v1, 31, v0
	s_delay_alu instid0(VALU_DEP_1) | instskip(NEXT) | instid1(VALU_DEP_1)
	v_lshlrev_b64 v[1:2], 2, v[0:1]
	v_add_co_u32 v1, s0, v5, v1
	s_delay_alu instid0(VALU_DEP_1)
	v_add_co_ci_u32_e64 v2, s0, v10, v2, s0
	global_load_b32 v3, v[1:2], off
	s_waitcnt vmcnt(0)
	v_sub_f32_e32 v3, v9, v3
	global_store_b32 v[1:2], v3, off
.LBB1399_5:
	s_or_b32 exec_lo, exec_lo, s1
	v_add_nc_u32_e32 v2, 16, v0
	s_delay_alu instid0(VALU_DEP_1) | instskip(NEXT) | instid1(VALU_DEP_1)
	v_cmp_le_i32_e64 s0, v2, v6
	s_and_b32 s1, vcc_lo, s0
	s_delay_alu instid0(SALU_CYCLE_1)
	s_and_saveexec_b32 s0, s1
	s_cbranch_execz .LBB1399_7
; %bb.6:
	v_ashrrev_i32_e32 v3, 31, v2
	s_delay_alu instid0(VALU_DEP_1) | instskip(NEXT) | instid1(VALU_DEP_1)
	v_lshlrev_b64 v[11:12], 2, v[2:3]
	v_add_co_u32 v9, vcc_lo, v5, v11
	s_delay_alu instid0(VALU_DEP_2)
	v_add_co_ci_u32_e32 v10, vcc_lo, v10, v12, vcc_lo
	global_load_b32 v1, v[9:10], off
	s_waitcnt vmcnt(0)
	v_sub_f32_e32 v1, v8, v1
	global_store_b32 v[9:10], v1, off
.LBB1399_7:
	s_or_b32 exec_lo, exec_lo, s0
	v_add_nc_u32_e32 v3, 16, v6
	s_delay_alu instid0(VALU_DEP_1) | instskip(SKIP_3) | instid1(VALU_DEP_4)
	v_ashrrev_i32_e32 v1, 31, v3
	v_mul_lo_u32 v8, v3, s7
	v_mad_u64_u32 v[5:6], null, v3, s6, 0
	v_cmp_gt_i32_e32 vcc_lo, s4, v3
	v_mul_lo_u32 v1, v1, s6
	v_cmp_le_i32_e64 s0, v0, v3
	s_delay_alu instid0(VALU_DEP_1) | instskip(NEXT) | instid1(VALU_DEP_2)
	s_and_b32 s0, vcc_lo, s0
	v_add3_u32 v6, v6, v8, v1
	s_delay_alu instid0(VALU_DEP_1) | instskip(NEXT) | instid1(VALU_DEP_1)
	v_lshlrev_b64 v[5:6], 2, v[5:6]
	v_add_co_u32 v5, s1, s2, v5
	s_delay_alu instid0(VALU_DEP_1)
	v_add_co_ci_u32_e64 v6, s1, s3, v6, s1
	s_and_saveexec_b32 s1, s0
	s_cbranch_execz .LBB1399_9
; %bb.8:
	v_ashrrev_i32_e32 v1, 31, v0
	s_delay_alu instid0(VALU_DEP_1) | instskip(NEXT) | instid1(VALU_DEP_1)
	v_lshlrev_b64 v[0:1], 2, v[0:1]
	v_add_co_u32 v0, s0, v5, v0
	s_delay_alu instid0(VALU_DEP_1)
	v_add_co_ci_u32_e64 v1, s0, v6, v1, s0
	global_load_b32 v8, v[0:1], off
	s_waitcnt vmcnt(0)
	v_sub_f32_e32 v7, v7, v8
	global_store_b32 v[0:1], v7, off
.LBB1399_9:
	s_or_b32 exec_lo, exec_lo, s1
	v_cmp_le_i32_e64 s0, v2, v3
	s_delay_alu instid0(VALU_DEP_1) | instskip(NEXT) | instid1(SALU_CYCLE_1)
	s_and_b32 s0, vcc_lo, s0
	s_and_saveexec_b32 s1, s0
	s_cbranch_execz .LBB1399_11
; %bb.10:
	v_ashrrev_i32_e32 v3, 31, v2
	s_delay_alu instid0(VALU_DEP_1) | instskip(NEXT) | instid1(VALU_DEP_1)
	v_lshlrev_b64 v[0:1], 2, v[2:3]
	v_add_co_u32 v0, vcc_lo, v5, v0
	s_delay_alu instid0(VALU_DEP_2)
	v_add_co_ci_u32_e32 v1, vcc_lo, v6, v1, vcc_lo
	global_load_b32 v2, v[0:1], off
	s_waitcnt vmcnt(0)
	v_sub_f32_e32 v2, v4, v2
	global_store_b32 v[0:1], v2, off
.LBB1399_11:
	s_nop 0
	s_sendmsg sendmsg(MSG_DEALLOC_VGPRS)
	s_endpgm
	.section	.rodata,"a",@progbits
	.p2align	6, 0x0
	.amdhsa_kernel _ZL37rocblas_syrkx_herkx_restricted_kernelIlfLi16ELi32ELi8ELi1ELin1ELb0ELc78ELc85EKPKfKPfEviT_PT9_S5_lS7_S5_lPT10_S5_li
		.amdhsa_group_segment_fixed_size 2048
		.amdhsa_private_segment_fixed_size 0
		.amdhsa_kernarg_size 92
		.amdhsa_user_sgpr_count 13
		.amdhsa_user_sgpr_dispatch_ptr 0
		.amdhsa_user_sgpr_queue_ptr 0
		.amdhsa_user_sgpr_kernarg_segment_ptr 1
		.amdhsa_user_sgpr_dispatch_id 0
		.amdhsa_user_sgpr_private_segment_size 0
		.amdhsa_wavefront_size32 1
		.amdhsa_uses_dynamic_stack 0
		.amdhsa_enable_private_segment 0
		.amdhsa_system_sgpr_workgroup_id_x 1
		.amdhsa_system_sgpr_workgroup_id_y 1
		.amdhsa_system_sgpr_workgroup_id_z 1
		.amdhsa_system_sgpr_workgroup_info 0
		.amdhsa_system_vgpr_workitem_id 1
		.amdhsa_next_free_vgpr 46
		.amdhsa_next_free_sgpr 20
		.amdhsa_reserve_vcc 1
		.amdhsa_float_round_mode_32 0
		.amdhsa_float_round_mode_16_64 0
		.amdhsa_float_denorm_mode_32 3
		.amdhsa_float_denorm_mode_16_64 3
		.amdhsa_dx10_clamp 1
		.amdhsa_ieee_mode 1
		.amdhsa_fp16_overflow 0
		.amdhsa_workgroup_processor_mode 1
		.amdhsa_memory_ordered 1
		.amdhsa_forward_progress 0
		.amdhsa_shared_vgpr_count 0
		.amdhsa_exception_fp_ieee_invalid_op 0
		.amdhsa_exception_fp_denorm_src 0
		.amdhsa_exception_fp_ieee_div_zero 0
		.amdhsa_exception_fp_ieee_overflow 0
		.amdhsa_exception_fp_ieee_underflow 0
		.amdhsa_exception_fp_ieee_inexact 0
		.amdhsa_exception_int_div_zero 0
	.end_amdhsa_kernel
	.section	.text._ZL37rocblas_syrkx_herkx_restricted_kernelIlfLi16ELi32ELi8ELi1ELin1ELb0ELc78ELc85EKPKfKPfEviT_PT9_S5_lS7_S5_lPT10_S5_li,"axG",@progbits,_ZL37rocblas_syrkx_herkx_restricted_kernelIlfLi16ELi32ELi8ELi1ELin1ELb0ELc78ELc85EKPKfKPfEviT_PT9_S5_lS7_S5_lPT10_S5_li,comdat
.Lfunc_end1399:
	.size	_ZL37rocblas_syrkx_herkx_restricted_kernelIlfLi16ELi32ELi8ELi1ELin1ELb0ELc78ELc85EKPKfKPfEviT_PT9_S5_lS7_S5_lPT10_S5_li, .Lfunc_end1399-_ZL37rocblas_syrkx_herkx_restricted_kernelIlfLi16ELi32ELi8ELi1ELin1ELb0ELc78ELc85EKPKfKPfEviT_PT9_S5_lS7_S5_lPT10_S5_li
                                        ; -- End function
	.section	.AMDGPU.csdata,"",@progbits
; Kernel info:
; codeLenInByte = 1320
; NumSgprs: 22
; NumVgprs: 46
; ScratchSize: 0
; MemoryBound: 0
; FloatMode: 240
; IeeeMode: 1
; LDSByteSize: 2048 bytes/workgroup (compile time only)
; SGPRBlocks: 2
; VGPRBlocks: 5
; NumSGPRsForWavesPerEU: 22
; NumVGPRsForWavesPerEU: 46
; Occupancy: 16
; WaveLimiterHint : 1
; COMPUTE_PGM_RSRC2:SCRATCH_EN: 0
; COMPUTE_PGM_RSRC2:USER_SGPR: 13
; COMPUTE_PGM_RSRC2:TRAP_HANDLER: 0
; COMPUTE_PGM_RSRC2:TGID_X_EN: 1
; COMPUTE_PGM_RSRC2:TGID_Y_EN: 1
; COMPUTE_PGM_RSRC2:TGID_Z_EN: 1
; COMPUTE_PGM_RSRC2:TIDIG_COMP_CNT: 1
	.section	.text._ZL37rocblas_syrkx_herkx_restricted_kernelIlfLi16ELi32ELi8ELi1ELi0ELb0ELc84ELc76EKPKfKPfEviT_PT9_S5_lS7_S5_lPT10_S5_li,"axG",@progbits,_ZL37rocblas_syrkx_herkx_restricted_kernelIlfLi16ELi32ELi8ELi1ELi0ELb0ELc84ELc76EKPKfKPfEviT_PT9_S5_lS7_S5_lPT10_S5_li,comdat
	.globl	_ZL37rocblas_syrkx_herkx_restricted_kernelIlfLi16ELi32ELi8ELi1ELi0ELb0ELc84ELc76EKPKfKPfEviT_PT9_S5_lS7_S5_lPT10_S5_li ; -- Begin function _ZL37rocblas_syrkx_herkx_restricted_kernelIlfLi16ELi32ELi8ELi1ELi0ELb0ELc84ELc76EKPKfKPfEviT_PT9_S5_lS7_S5_lPT10_S5_li
	.p2align	8
	.type	_ZL37rocblas_syrkx_herkx_restricted_kernelIlfLi16ELi32ELi8ELi1ELi0ELb0ELc84ELc76EKPKfKPfEviT_PT9_S5_lS7_S5_lPT10_S5_li,@function
_ZL37rocblas_syrkx_herkx_restricted_kernelIlfLi16ELi32ELi8ELi1ELi0ELb0ELc84ELc76EKPKfKPfEviT_PT9_S5_lS7_S5_lPT10_S5_li: ; @_ZL37rocblas_syrkx_herkx_restricted_kernelIlfLi16ELi32ELi8ELi1ELi0ELb0ELc84ELc76EKPKfKPfEviT_PT9_S5_lS7_S5_lPT10_S5_li
; %bb.0:
	s_clause 0x1
	s_load_b128 s[4:7], s[0:1], 0x40
	s_load_b128 s[8:11], s[0:1], 0x8
	s_mov_b32 s2, s15
	s_mov_b32 s3, 0
	v_dual_mov_b32 v9, 0 :: v_dual_and_b32 v6, 0x3ff, v0
	s_lshl_b64 s[16:17], s[2:3], 3
	v_bfe_u32 v7, v0, 10, 10
	v_dual_mov_b32 v8, 0 :: v_dual_mov_b32 v1, 0
	v_mov_b32_e32 v0, 0
	s_waitcnt lgkmcnt(0)
	s_add_u32 s2, s4, s16
	s_addc_u32 s3, s5, s17
	v_cmp_lt_i64_e64 s4, s[8:9], 1
	s_load_b64 s[2:3], s[2:3], 0x0
	s_lshl_b32 s18, s13, 5
	s_lshl_b32 s19, s14, 5
	s_delay_alu instid0(VALU_DEP_1)
	s_and_b32 vcc_lo, exec_lo, s4
	s_cbranch_vccnz .LBB1400_3
; %bb.1:
	s_clause 0x1
	s_load_b128 s[12:15], s[0:1], 0x28
	s_load_b64 s[4:5], s[0:1], 0x18
	v_lshl_add_u32 v2, v7, 4, v6
	s_add_u32 s10, s10, s16
	s_addc_u32 s11, s11, s17
	v_dual_mov_b32 v1, 0 :: v_dual_and_b32 v0, 7, v6
	s_delay_alu instid0(VALU_DEP_2) | instskip(SKIP_2) | instid1(VALU_DEP_4)
	v_lshrrev_b32_e32 v11, 3, v2
	v_and_b32_e32 v12, 31, v2
	v_lshrrev_b32_e32 v2, 5, v2
	v_mov_b32_e32 v3, v1
	s_load_b64 s[10:11], s[10:11], 0x0
	v_add_nc_u32_e32 v10, s19, v11
	v_add_nc_u32_e32 v8, s18, v12
	v_lshlrev_b32_e32 v12, 2, v12
	s_delay_alu instid0(VALU_DEP_3) | instskip(NEXT) | instid1(VALU_DEP_3)
	v_ashrrev_i32_e32 v4, 31, v10
	v_ashrrev_i32_e32 v5, 31, v8
	s_delay_alu instid0(VALU_DEP_3)
	v_lshl_or_b32 v12, v2, 7, v12
	s_waitcnt lgkmcnt(0)
	s_add_u32 s12, s12, s16
	s_addc_u32 s13, s13, s17
	v_mul_lo_u32 v13, v4, s14
	v_mul_lo_u32 v14, s4, v5
	v_mad_u64_u32 v[4:5], null, s4, v8, v[2:3]
	v_mul_lo_u32 v3, s5, v8
	s_load_b64 s[4:5], s[12:13], 0x0
	v_mul_lo_u32 v15, v10, s15
	v_mad_u64_u32 v[8:9], null, v10, s14, v[0:1]
	v_lshlrev_b32_e32 v0, 2, v0
	v_lshlrev_b32_e32 v10, 2, v6
	v_add3_u32 v5, v3, v5, v14
	s_delay_alu instid0(VALU_DEP_3) | instskip(SKIP_2) | instid1(VALU_DEP_4)
	v_lshl_or_b32 v0, v11, 5, v0
	v_add3_u32 v9, v13, v9, v15
	v_lshl_add_u32 v11, v7, 5, 0x400
	v_lshlrev_b64 v[3:4], 2, v[4:5]
	s_delay_alu instid0(VALU_DEP_4) | instskip(NEXT) | instid1(VALU_DEP_4)
	v_dual_mov_b32 v0, v1 :: v_dual_add_nc_u32 v13, 0x400, v0
	v_lshlrev_b64 v[8:9], 2, v[8:9]
	s_delay_alu instid0(VALU_DEP_3) | instskip(NEXT) | instid1(VALU_DEP_4)
	v_add_co_u32 v2, vcc_lo, s10, v3
	v_add_co_ci_u32_e32 v3, vcc_lo, s11, v4, vcc_lo
	s_waitcnt lgkmcnt(0)
	s_delay_alu instid0(VALU_DEP_3) | instskip(NEXT) | instid1(VALU_DEP_4)
	v_add_co_u32 v4, vcc_lo, s4, v8
	v_add_co_ci_u32_e32 v5, vcc_lo, s5, v9, vcc_lo
	v_mov_b32_e32 v8, v1
	v_mov_b32_e32 v9, v1
	s_mov_b64 s[4:5], 0
.LBB1400_2:                             ; =>This Inner Loop Header: Depth=1
	global_load_b32 v14, v[2:3], off
	global_load_b32 v15, v[4:5], off
	s_add_u32 s4, s4, 8
	v_add_co_u32 v2, vcc_lo, v2, 32
	s_addc_u32 s5, s5, 0
	v_add_co_ci_u32_e32 v3, vcc_lo, 0, v3, vcc_lo
	v_cmp_ge_u64_e64 s10, s[4:5], s[8:9]
	v_add_co_u32 v4, vcc_lo, v4, 32
	v_add_co_ci_u32_e32 v5, vcc_lo, 0, v5, vcc_lo
	s_waitcnt vmcnt(1)
	ds_store_b32 v12, v14
	s_waitcnt vmcnt(0)
	ds_store_b32 v13, v15
	s_waitcnt lgkmcnt(0)
	s_barrier
	buffer_gl0_inv
	ds_load_2addr_b32 v[30:31], v10 offset1:16
	ds_load_b128 v[14:17], v11
	ds_load_b128 v[18:21], v11 offset:512
	ds_load_2addr_b32 v[32:33], v10 offset0:32 offset1:48
	ds_load_2addr_b32 v[34:35], v10 offset0:64 offset1:80
	ds_load_b128 v[22:25], v11 offset:16
	ds_load_2addr_b32 v[36:37], v10 offset0:96 offset1:112
	ds_load_2addr_b32 v[38:39], v10 offset0:128 offset1:144
	;; [unrolled: 3-line block ×3, first 2 shown]
	ds_load_2addr_b32 v[44:45], v10 offset0:224 offset1:240
	s_and_b32 vcc_lo, exec_lo, s10
	s_waitcnt lgkmcnt(0)
	s_barrier
	buffer_gl0_inv
	v_fmac_f32_e32 v8, v31, v14
	v_fmac_f32_e32 v9, v30, v14
	;; [unrolled: 1-line block ×4, first 2 shown]
	s_delay_alu instid0(VALU_DEP_4) | instskip(NEXT) | instid1(VALU_DEP_4)
	v_fmac_f32_e32 v8, v33, v15
	v_fmac_f32_e32 v9, v32, v15
	s_delay_alu instid0(VALU_DEP_4) | instskip(NEXT) | instid1(VALU_DEP_4)
	v_fmac_f32_e32 v1, v33, v19
	v_fmac_f32_e32 v0, v32, v19
	;; [unrolled: 3-line block ×14, first 2 shown]
	s_cbranch_vccz .LBB1400_2
.LBB1400_3:
	v_add_nc_u32_e32 v7, s19, v7
	s_load_b32 s4, s[0:1], 0x0
	s_delay_alu instid0(VALU_DEP_1) | instskip(SKIP_2) | instid1(VALU_DEP_3)
	v_ashrrev_i32_e32 v2, 31, v7
	v_mul_lo_u32 v5, v7, s7
	v_mad_u64_u32 v[3:4], null, v7, s6, 0
	v_mul_lo_u32 v2, v2, s6
	s_delay_alu instid0(VALU_DEP_1) | instskip(SKIP_1) | instid1(VALU_DEP_2)
	v_add3_u32 v4, v4, v5, v2
	v_add_nc_u32_e32 v2, s18, v6
	v_lshlrev_b64 v[3:4], 2, v[3:4]
	s_delay_alu instid0(VALU_DEP_2) | instskip(SKIP_2) | instid1(VALU_DEP_3)
	v_cmp_le_i32_e64 s0, v7, v2
	s_waitcnt lgkmcnt(0)
	v_cmp_gt_i32_e32 vcc_lo, s4, v2
	v_add_co_u32 v6, s1, s2, v3
	s_delay_alu instid0(VALU_DEP_1) | instskip(SKIP_1) | instid1(SALU_CYCLE_1)
	v_add_co_ci_u32_e64 v10, s1, s3, v4, s1
	s_and_b32 s0, s0, vcc_lo
	s_and_saveexec_b32 s1, s0
	s_cbranch_execz .LBB1400_5
; %bb.4:
	v_ashrrev_i32_e32 v3, 31, v2
	s_delay_alu instid0(VALU_DEP_1) | instskip(NEXT) | instid1(VALU_DEP_1)
	v_lshlrev_b64 v[3:4], 2, v[2:3]
	v_add_co_u32 v3, s0, v6, v3
	s_delay_alu instid0(VALU_DEP_1)
	v_add_co_ci_u32_e64 v4, s0, v10, v4, s0
	global_store_b32 v[3:4], v9, off
.LBB1400_5:
	s_or_b32 exec_lo, exec_lo, s1
	v_add_nc_u32_e32 v4, 16, v2
	s_delay_alu instid0(VALU_DEP_1) | instskip(SKIP_1) | instid1(VALU_DEP_1)
	v_cmp_le_i32_e64 s1, v7, v4
	v_cmp_gt_i32_e64 s0, s4, v4
	s_and_b32 s1, s1, s0
	s_delay_alu instid0(SALU_CYCLE_1)
	s_and_saveexec_b32 s4, s1
	s_cbranch_execz .LBB1400_7
; %bb.6:
	v_ashrrev_i32_e32 v5, 31, v4
	s_delay_alu instid0(VALU_DEP_1) | instskip(NEXT) | instid1(VALU_DEP_1)
	v_lshlrev_b64 v[11:12], 2, v[4:5]
	v_add_co_u32 v5, s1, v6, v11
	s_delay_alu instid0(VALU_DEP_1)
	v_add_co_ci_u32_e64 v6, s1, v10, v12, s1
	global_store_b32 v[5:6], v8, off
.LBB1400_7:
	s_or_b32 exec_lo, exec_lo, s4
	v_add_nc_u32_e32 v5, 16, v7
	s_delay_alu instid0(VALU_DEP_1) | instskip(SKIP_3) | instid1(VALU_DEP_4)
	v_ashrrev_i32_e32 v3, 31, v5
	v_mul_lo_u32 v8, v5, s7
	v_mad_u64_u32 v[6:7], null, v5, s6, 0
	v_cmp_le_i32_e64 s1, v5, v2
	v_mul_lo_u32 v3, v3, s6
	s_delay_alu instid0(VALU_DEP_1) | instskip(NEXT) | instid1(VALU_DEP_1)
	v_add3_u32 v7, v7, v8, v3
	v_lshlrev_b64 v[6:7], 2, v[6:7]
	s_delay_alu instid0(VALU_DEP_1) | instskip(NEXT) | instid1(VALU_DEP_1)
	v_add_co_u32 v6, s2, s2, v6
	v_add_co_ci_u32_e64 v7, s2, s3, v7, s2
	s_and_b32 s2, s1, vcc_lo
	s_delay_alu instid0(SALU_CYCLE_1)
	s_and_saveexec_b32 s1, s2
	s_cbranch_execz .LBB1400_9
; %bb.8:
	v_ashrrev_i32_e32 v3, 31, v2
	s_delay_alu instid0(VALU_DEP_1) | instskip(NEXT) | instid1(VALU_DEP_1)
	v_lshlrev_b64 v[2:3], 2, v[2:3]
	v_add_co_u32 v2, vcc_lo, v6, v2
	s_delay_alu instid0(VALU_DEP_2)
	v_add_co_ci_u32_e32 v3, vcc_lo, v7, v3, vcc_lo
	global_store_b32 v[2:3], v0, off
.LBB1400_9:
	s_or_b32 exec_lo, exec_lo, s1
	v_cmp_le_i32_e32 vcc_lo, v5, v4
	s_and_b32 s0, vcc_lo, s0
	s_delay_alu instid0(SALU_CYCLE_1)
	s_and_saveexec_b32 s1, s0
	s_cbranch_execz .LBB1400_11
; %bb.10:
	v_ashrrev_i32_e32 v5, 31, v4
	s_delay_alu instid0(VALU_DEP_1) | instskip(NEXT) | instid1(VALU_DEP_1)
	v_lshlrev_b64 v[2:3], 2, v[4:5]
	v_add_co_u32 v2, vcc_lo, v6, v2
	s_delay_alu instid0(VALU_DEP_2)
	v_add_co_ci_u32_e32 v3, vcc_lo, v7, v3, vcc_lo
	global_store_b32 v[2:3], v1, off
.LBB1400_11:
	s_nop 0
	s_sendmsg sendmsg(MSG_DEALLOC_VGPRS)
	s_endpgm
	.section	.rodata,"a",@progbits
	.p2align	6, 0x0
	.amdhsa_kernel _ZL37rocblas_syrkx_herkx_restricted_kernelIlfLi16ELi32ELi8ELi1ELi0ELb0ELc84ELc76EKPKfKPfEviT_PT9_S5_lS7_S5_lPT10_S5_li
		.amdhsa_group_segment_fixed_size 2048
		.amdhsa_private_segment_fixed_size 0
		.amdhsa_kernarg_size 92
		.amdhsa_user_sgpr_count 13
		.amdhsa_user_sgpr_dispatch_ptr 0
		.amdhsa_user_sgpr_queue_ptr 0
		.amdhsa_user_sgpr_kernarg_segment_ptr 1
		.amdhsa_user_sgpr_dispatch_id 0
		.amdhsa_user_sgpr_private_segment_size 0
		.amdhsa_wavefront_size32 1
		.amdhsa_uses_dynamic_stack 0
		.amdhsa_enable_private_segment 0
		.amdhsa_system_sgpr_workgroup_id_x 1
		.amdhsa_system_sgpr_workgroup_id_y 1
		.amdhsa_system_sgpr_workgroup_id_z 1
		.amdhsa_system_sgpr_workgroup_info 0
		.amdhsa_system_vgpr_workitem_id 1
		.amdhsa_next_free_vgpr 46
		.amdhsa_next_free_sgpr 20
		.amdhsa_reserve_vcc 1
		.amdhsa_float_round_mode_32 0
		.amdhsa_float_round_mode_16_64 0
		.amdhsa_float_denorm_mode_32 3
		.amdhsa_float_denorm_mode_16_64 3
		.amdhsa_dx10_clamp 1
		.amdhsa_ieee_mode 1
		.amdhsa_fp16_overflow 0
		.amdhsa_workgroup_processor_mode 1
		.amdhsa_memory_ordered 1
		.amdhsa_forward_progress 0
		.amdhsa_shared_vgpr_count 0
		.amdhsa_exception_fp_ieee_invalid_op 0
		.amdhsa_exception_fp_denorm_src 0
		.amdhsa_exception_fp_ieee_div_zero 0
		.amdhsa_exception_fp_ieee_overflow 0
		.amdhsa_exception_fp_ieee_underflow 0
		.amdhsa_exception_fp_ieee_inexact 0
		.amdhsa_exception_int_div_zero 0
	.end_amdhsa_kernel
	.section	.text._ZL37rocblas_syrkx_herkx_restricted_kernelIlfLi16ELi32ELi8ELi1ELi0ELb0ELc84ELc76EKPKfKPfEviT_PT9_S5_lS7_S5_lPT10_S5_li,"axG",@progbits,_ZL37rocblas_syrkx_herkx_restricted_kernelIlfLi16ELi32ELi8ELi1ELi0ELb0ELc84ELc76EKPKfKPfEviT_PT9_S5_lS7_S5_lPT10_S5_li,comdat
.Lfunc_end1400:
	.size	_ZL37rocblas_syrkx_herkx_restricted_kernelIlfLi16ELi32ELi8ELi1ELi0ELb0ELc84ELc76EKPKfKPfEviT_PT9_S5_lS7_S5_lPT10_S5_li, .Lfunc_end1400-_ZL37rocblas_syrkx_herkx_restricted_kernelIlfLi16ELi32ELi8ELi1ELi0ELb0ELc84ELc76EKPKfKPfEviT_PT9_S5_lS7_S5_lPT10_S5_li
                                        ; -- End function
	.section	.AMDGPU.csdata,"",@progbits
; Kernel info:
; codeLenInByte = 1288
; NumSgprs: 22
; NumVgprs: 46
; ScratchSize: 0
; MemoryBound: 0
; FloatMode: 240
; IeeeMode: 1
; LDSByteSize: 2048 bytes/workgroup (compile time only)
; SGPRBlocks: 2
; VGPRBlocks: 5
; NumSGPRsForWavesPerEU: 22
; NumVGPRsForWavesPerEU: 46
; Occupancy: 16
; WaveLimiterHint : 1
; COMPUTE_PGM_RSRC2:SCRATCH_EN: 0
; COMPUTE_PGM_RSRC2:USER_SGPR: 13
; COMPUTE_PGM_RSRC2:TRAP_HANDLER: 0
; COMPUTE_PGM_RSRC2:TGID_X_EN: 1
; COMPUTE_PGM_RSRC2:TGID_Y_EN: 1
; COMPUTE_PGM_RSRC2:TGID_Z_EN: 1
; COMPUTE_PGM_RSRC2:TIDIG_COMP_CNT: 1
	.section	.text._ZL37rocblas_syrkx_herkx_restricted_kernelIlfLi16ELi32ELi8ELi1ELi0ELb0ELc67ELc76EKPKfKPfEviT_PT9_S5_lS7_S5_lPT10_S5_li,"axG",@progbits,_ZL37rocblas_syrkx_herkx_restricted_kernelIlfLi16ELi32ELi8ELi1ELi0ELb0ELc67ELc76EKPKfKPfEviT_PT9_S5_lS7_S5_lPT10_S5_li,comdat
	.globl	_ZL37rocblas_syrkx_herkx_restricted_kernelIlfLi16ELi32ELi8ELi1ELi0ELb0ELc67ELc76EKPKfKPfEviT_PT9_S5_lS7_S5_lPT10_S5_li ; -- Begin function _ZL37rocblas_syrkx_herkx_restricted_kernelIlfLi16ELi32ELi8ELi1ELi0ELb0ELc67ELc76EKPKfKPfEviT_PT9_S5_lS7_S5_lPT10_S5_li
	.p2align	8
	.type	_ZL37rocblas_syrkx_herkx_restricted_kernelIlfLi16ELi32ELi8ELi1ELi0ELb0ELc67ELc76EKPKfKPfEviT_PT9_S5_lS7_S5_lPT10_S5_li,@function
_ZL37rocblas_syrkx_herkx_restricted_kernelIlfLi16ELi32ELi8ELi1ELi0ELb0ELc67ELc76EKPKfKPfEviT_PT9_S5_lS7_S5_lPT10_S5_li: ; @_ZL37rocblas_syrkx_herkx_restricted_kernelIlfLi16ELi32ELi8ELi1ELi0ELb0ELc67ELc76EKPKfKPfEviT_PT9_S5_lS7_S5_lPT10_S5_li
; %bb.0:
	s_clause 0x1
	s_load_b128 s[4:7], s[0:1], 0x40
	s_load_b128 s[8:11], s[0:1], 0x8
	s_mov_b32 s2, s15
	s_mov_b32 s3, 0
	v_dual_mov_b32 v9, 0 :: v_dual_and_b32 v6, 0x3ff, v0
	s_lshl_b64 s[16:17], s[2:3], 3
	v_bfe_u32 v7, v0, 10, 10
	v_dual_mov_b32 v8, 0 :: v_dual_mov_b32 v1, 0
	v_mov_b32_e32 v0, 0
	s_waitcnt lgkmcnt(0)
	s_add_u32 s2, s4, s16
	s_addc_u32 s3, s5, s17
	v_cmp_lt_i64_e64 s4, s[8:9], 1
	s_load_b64 s[2:3], s[2:3], 0x0
	s_lshl_b32 s18, s13, 5
	s_lshl_b32 s19, s14, 5
	s_delay_alu instid0(VALU_DEP_1)
	s_and_b32 vcc_lo, exec_lo, s4
	s_cbranch_vccnz .LBB1401_3
; %bb.1:
	s_clause 0x1
	s_load_b128 s[12:15], s[0:1], 0x28
	s_load_b64 s[4:5], s[0:1], 0x18
	v_lshl_add_u32 v2, v7, 4, v6
	s_add_u32 s10, s10, s16
	s_addc_u32 s11, s11, s17
	v_dual_mov_b32 v1, 0 :: v_dual_and_b32 v0, 7, v6
	s_delay_alu instid0(VALU_DEP_2) | instskip(SKIP_2) | instid1(VALU_DEP_4)
	v_lshrrev_b32_e32 v11, 3, v2
	v_and_b32_e32 v12, 31, v2
	v_lshrrev_b32_e32 v2, 5, v2
	v_mov_b32_e32 v3, v1
	s_load_b64 s[10:11], s[10:11], 0x0
	v_add_nc_u32_e32 v10, s19, v11
	v_add_nc_u32_e32 v8, s18, v12
	v_lshlrev_b32_e32 v12, 2, v12
	s_delay_alu instid0(VALU_DEP_3) | instskip(NEXT) | instid1(VALU_DEP_3)
	v_ashrrev_i32_e32 v4, 31, v10
	v_ashrrev_i32_e32 v5, 31, v8
	s_delay_alu instid0(VALU_DEP_3)
	v_lshl_or_b32 v12, v2, 7, v12
	s_waitcnt lgkmcnt(0)
	s_add_u32 s12, s12, s16
	s_addc_u32 s13, s13, s17
	v_mul_lo_u32 v13, v4, s14
	v_mul_lo_u32 v14, s4, v5
	v_mad_u64_u32 v[4:5], null, s4, v8, v[2:3]
	v_mul_lo_u32 v3, s5, v8
	s_load_b64 s[4:5], s[12:13], 0x0
	v_mul_lo_u32 v15, v10, s15
	v_mad_u64_u32 v[8:9], null, v10, s14, v[0:1]
	v_lshlrev_b32_e32 v0, 2, v0
	v_lshlrev_b32_e32 v10, 2, v6
	v_add3_u32 v5, v3, v5, v14
	s_delay_alu instid0(VALU_DEP_3) | instskip(SKIP_2) | instid1(VALU_DEP_4)
	v_lshl_or_b32 v0, v11, 5, v0
	v_add3_u32 v9, v13, v9, v15
	v_lshl_add_u32 v11, v7, 5, 0x400
	v_lshlrev_b64 v[3:4], 2, v[4:5]
	s_delay_alu instid0(VALU_DEP_4) | instskip(NEXT) | instid1(VALU_DEP_4)
	v_dual_mov_b32 v0, v1 :: v_dual_add_nc_u32 v13, 0x400, v0
	v_lshlrev_b64 v[8:9], 2, v[8:9]
	s_delay_alu instid0(VALU_DEP_3) | instskip(NEXT) | instid1(VALU_DEP_4)
	v_add_co_u32 v2, vcc_lo, s10, v3
	v_add_co_ci_u32_e32 v3, vcc_lo, s11, v4, vcc_lo
	s_waitcnt lgkmcnt(0)
	s_delay_alu instid0(VALU_DEP_3) | instskip(NEXT) | instid1(VALU_DEP_4)
	v_add_co_u32 v4, vcc_lo, s4, v8
	v_add_co_ci_u32_e32 v5, vcc_lo, s5, v9, vcc_lo
	v_mov_b32_e32 v8, v1
	v_mov_b32_e32 v9, v1
	s_mov_b64 s[4:5], 0
.LBB1401_2:                             ; =>This Inner Loop Header: Depth=1
	global_load_b32 v14, v[2:3], off
	global_load_b32 v15, v[4:5], off
	s_add_u32 s4, s4, 8
	v_add_co_u32 v2, vcc_lo, v2, 32
	s_addc_u32 s5, s5, 0
	v_add_co_ci_u32_e32 v3, vcc_lo, 0, v3, vcc_lo
	v_cmp_ge_u64_e64 s10, s[4:5], s[8:9]
	v_add_co_u32 v4, vcc_lo, v4, 32
	v_add_co_ci_u32_e32 v5, vcc_lo, 0, v5, vcc_lo
	s_waitcnt vmcnt(1)
	ds_store_b32 v12, v14
	s_waitcnt vmcnt(0)
	ds_store_b32 v13, v15
	s_waitcnt lgkmcnt(0)
	s_barrier
	buffer_gl0_inv
	ds_load_2addr_b32 v[30:31], v10 offset1:16
	ds_load_b128 v[14:17], v11
	ds_load_b128 v[18:21], v11 offset:512
	ds_load_2addr_b32 v[32:33], v10 offset0:32 offset1:48
	ds_load_2addr_b32 v[34:35], v10 offset0:64 offset1:80
	ds_load_b128 v[22:25], v11 offset:16
	ds_load_2addr_b32 v[36:37], v10 offset0:96 offset1:112
	ds_load_2addr_b32 v[38:39], v10 offset0:128 offset1:144
	;; [unrolled: 3-line block ×3, first 2 shown]
	ds_load_2addr_b32 v[44:45], v10 offset0:224 offset1:240
	s_and_b32 vcc_lo, exec_lo, s10
	s_waitcnt lgkmcnt(0)
	s_barrier
	buffer_gl0_inv
	v_fmac_f32_e32 v8, v31, v14
	v_fmac_f32_e32 v9, v30, v14
	;; [unrolled: 1-line block ×4, first 2 shown]
	s_delay_alu instid0(VALU_DEP_4) | instskip(NEXT) | instid1(VALU_DEP_4)
	v_fmac_f32_e32 v8, v33, v15
	v_fmac_f32_e32 v9, v32, v15
	s_delay_alu instid0(VALU_DEP_4) | instskip(NEXT) | instid1(VALU_DEP_4)
	v_fmac_f32_e32 v1, v33, v19
	v_fmac_f32_e32 v0, v32, v19
	;; [unrolled: 3-line block ×14, first 2 shown]
	s_cbranch_vccz .LBB1401_2
.LBB1401_3:
	v_add_nc_u32_e32 v7, s19, v7
	s_load_b32 s4, s[0:1], 0x0
	s_delay_alu instid0(VALU_DEP_1) | instskip(SKIP_2) | instid1(VALU_DEP_3)
	v_ashrrev_i32_e32 v2, 31, v7
	v_mul_lo_u32 v5, v7, s7
	v_mad_u64_u32 v[3:4], null, v7, s6, 0
	v_mul_lo_u32 v2, v2, s6
	s_delay_alu instid0(VALU_DEP_1) | instskip(SKIP_1) | instid1(VALU_DEP_2)
	v_add3_u32 v4, v4, v5, v2
	v_add_nc_u32_e32 v2, s18, v6
	v_lshlrev_b64 v[3:4], 2, v[3:4]
	s_delay_alu instid0(VALU_DEP_2) | instskip(SKIP_2) | instid1(VALU_DEP_3)
	v_cmp_le_i32_e64 s0, v7, v2
	s_waitcnt lgkmcnt(0)
	v_cmp_gt_i32_e32 vcc_lo, s4, v2
	v_add_co_u32 v6, s1, s2, v3
	s_delay_alu instid0(VALU_DEP_1) | instskip(SKIP_1) | instid1(SALU_CYCLE_1)
	v_add_co_ci_u32_e64 v10, s1, s3, v4, s1
	s_and_b32 s0, s0, vcc_lo
	s_and_saveexec_b32 s1, s0
	s_cbranch_execz .LBB1401_5
; %bb.4:
	v_ashrrev_i32_e32 v3, 31, v2
	s_delay_alu instid0(VALU_DEP_1) | instskip(NEXT) | instid1(VALU_DEP_1)
	v_lshlrev_b64 v[3:4], 2, v[2:3]
	v_add_co_u32 v3, s0, v6, v3
	s_delay_alu instid0(VALU_DEP_1)
	v_add_co_ci_u32_e64 v4, s0, v10, v4, s0
	global_store_b32 v[3:4], v9, off
.LBB1401_5:
	s_or_b32 exec_lo, exec_lo, s1
	v_add_nc_u32_e32 v4, 16, v2
	s_delay_alu instid0(VALU_DEP_1) | instskip(SKIP_1) | instid1(VALU_DEP_1)
	v_cmp_le_i32_e64 s1, v7, v4
	v_cmp_gt_i32_e64 s0, s4, v4
	s_and_b32 s1, s1, s0
	s_delay_alu instid0(SALU_CYCLE_1)
	s_and_saveexec_b32 s4, s1
	s_cbranch_execz .LBB1401_7
; %bb.6:
	v_ashrrev_i32_e32 v5, 31, v4
	s_delay_alu instid0(VALU_DEP_1) | instskip(NEXT) | instid1(VALU_DEP_1)
	v_lshlrev_b64 v[11:12], 2, v[4:5]
	v_add_co_u32 v5, s1, v6, v11
	s_delay_alu instid0(VALU_DEP_1)
	v_add_co_ci_u32_e64 v6, s1, v10, v12, s1
	global_store_b32 v[5:6], v8, off
.LBB1401_7:
	s_or_b32 exec_lo, exec_lo, s4
	v_add_nc_u32_e32 v5, 16, v7
	s_delay_alu instid0(VALU_DEP_1) | instskip(SKIP_3) | instid1(VALU_DEP_4)
	v_ashrrev_i32_e32 v3, 31, v5
	v_mul_lo_u32 v8, v5, s7
	v_mad_u64_u32 v[6:7], null, v5, s6, 0
	v_cmp_le_i32_e64 s1, v5, v2
	v_mul_lo_u32 v3, v3, s6
	s_delay_alu instid0(VALU_DEP_1) | instskip(NEXT) | instid1(VALU_DEP_1)
	v_add3_u32 v7, v7, v8, v3
	v_lshlrev_b64 v[6:7], 2, v[6:7]
	s_delay_alu instid0(VALU_DEP_1) | instskip(NEXT) | instid1(VALU_DEP_1)
	v_add_co_u32 v6, s2, s2, v6
	v_add_co_ci_u32_e64 v7, s2, s3, v7, s2
	s_and_b32 s2, s1, vcc_lo
	s_delay_alu instid0(SALU_CYCLE_1)
	s_and_saveexec_b32 s1, s2
	s_cbranch_execz .LBB1401_9
; %bb.8:
	v_ashrrev_i32_e32 v3, 31, v2
	s_delay_alu instid0(VALU_DEP_1) | instskip(NEXT) | instid1(VALU_DEP_1)
	v_lshlrev_b64 v[2:3], 2, v[2:3]
	v_add_co_u32 v2, vcc_lo, v6, v2
	s_delay_alu instid0(VALU_DEP_2)
	v_add_co_ci_u32_e32 v3, vcc_lo, v7, v3, vcc_lo
	global_store_b32 v[2:3], v0, off
.LBB1401_9:
	s_or_b32 exec_lo, exec_lo, s1
	v_cmp_le_i32_e32 vcc_lo, v5, v4
	s_and_b32 s0, vcc_lo, s0
	s_delay_alu instid0(SALU_CYCLE_1)
	s_and_saveexec_b32 s1, s0
	s_cbranch_execz .LBB1401_11
; %bb.10:
	v_ashrrev_i32_e32 v5, 31, v4
	s_delay_alu instid0(VALU_DEP_1) | instskip(NEXT) | instid1(VALU_DEP_1)
	v_lshlrev_b64 v[2:3], 2, v[4:5]
	v_add_co_u32 v2, vcc_lo, v6, v2
	s_delay_alu instid0(VALU_DEP_2)
	v_add_co_ci_u32_e32 v3, vcc_lo, v7, v3, vcc_lo
	global_store_b32 v[2:3], v1, off
.LBB1401_11:
	s_nop 0
	s_sendmsg sendmsg(MSG_DEALLOC_VGPRS)
	s_endpgm
	.section	.rodata,"a",@progbits
	.p2align	6, 0x0
	.amdhsa_kernel _ZL37rocblas_syrkx_herkx_restricted_kernelIlfLi16ELi32ELi8ELi1ELi0ELb0ELc67ELc76EKPKfKPfEviT_PT9_S5_lS7_S5_lPT10_S5_li
		.amdhsa_group_segment_fixed_size 2048
		.amdhsa_private_segment_fixed_size 0
		.amdhsa_kernarg_size 92
		.amdhsa_user_sgpr_count 13
		.amdhsa_user_sgpr_dispatch_ptr 0
		.amdhsa_user_sgpr_queue_ptr 0
		.amdhsa_user_sgpr_kernarg_segment_ptr 1
		.amdhsa_user_sgpr_dispatch_id 0
		.amdhsa_user_sgpr_private_segment_size 0
		.amdhsa_wavefront_size32 1
		.amdhsa_uses_dynamic_stack 0
		.amdhsa_enable_private_segment 0
		.amdhsa_system_sgpr_workgroup_id_x 1
		.amdhsa_system_sgpr_workgroup_id_y 1
		.amdhsa_system_sgpr_workgroup_id_z 1
		.amdhsa_system_sgpr_workgroup_info 0
		.amdhsa_system_vgpr_workitem_id 1
		.amdhsa_next_free_vgpr 46
		.amdhsa_next_free_sgpr 20
		.amdhsa_reserve_vcc 1
		.amdhsa_float_round_mode_32 0
		.amdhsa_float_round_mode_16_64 0
		.amdhsa_float_denorm_mode_32 3
		.amdhsa_float_denorm_mode_16_64 3
		.amdhsa_dx10_clamp 1
		.amdhsa_ieee_mode 1
		.amdhsa_fp16_overflow 0
		.amdhsa_workgroup_processor_mode 1
		.amdhsa_memory_ordered 1
		.amdhsa_forward_progress 0
		.amdhsa_shared_vgpr_count 0
		.amdhsa_exception_fp_ieee_invalid_op 0
		.amdhsa_exception_fp_denorm_src 0
		.amdhsa_exception_fp_ieee_div_zero 0
		.amdhsa_exception_fp_ieee_overflow 0
		.amdhsa_exception_fp_ieee_underflow 0
		.amdhsa_exception_fp_ieee_inexact 0
		.amdhsa_exception_int_div_zero 0
	.end_amdhsa_kernel
	.section	.text._ZL37rocblas_syrkx_herkx_restricted_kernelIlfLi16ELi32ELi8ELi1ELi0ELb0ELc67ELc76EKPKfKPfEviT_PT9_S5_lS7_S5_lPT10_S5_li,"axG",@progbits,_ZL37rocblas_syrkx_herkx_restricted_kernelIlfLi16ELi32ELi8ELi1ELi0ELb0ELc67ELc76EKPKfKPfEviT_PT9_S5_lS7_S5_lPT10_S5_li,comdat
.Lfunc_end1401:
	.size	_ZL37rocblas_syrkx_herkx_restricted_kernelIlfLi16ELi32ELi8ELi1ELi0ELb0ELc67ELc76EKPKfKPfEviT_PT9_S5_lS7_S5_lPT10_S5_li, .Lfunc_end1401-_ZL37rocblas_syrkx_herkx_restricted_kernelIlfLi16ELi32ELi8ELi1ELi0ELb0ELc67ELc76EKPKfKPfEviT_PT9_S5_lS7_S5_lPT10_S5_li
                                        ; -- End function
	.section	.AMDGPU.csdata,"",@progbits
; Kernel info:
; codeLenInByte = 1288
; NumSgprs: 22
; NumVgprs: 46
; ScratchSize: 0
; MemoryBound: 0
; FloatMode: 240
; IeeeMode: 1
; LDSByteSize: 2048 bytes/workgroup (compile time only)
; SGPRBlocks: 2
; VGPRBlocks: 5
; NumSGPRsForWavesPerEU: 22
; NumVGPRsForWavesPerEU: 46
; Occupancy: 16
; WaveLimiterHint : 1
; COMPUTE_PGM_RSRC2:SCRATCH_EN: 0
; COMPUTE_PGM_RSRC2:USER_SGPR: 13
; COMPUTE_PGM_RSRC2:TRAP_HANDLER: 0
; COMPUTE_PGM_RSRC2:TGID_X_EN: 1
; COMPUTE_PGM_RSRC2:TGID_Y_EN: 1
; COMPUTE_PGM_RSRC2:TGID_Z_EN: 1
; COMPUTE_PGM_RSRC2:TIDIG_COMP_CNT: 1
	.section	.text._ZL37rocblas_syrkx_herkx_restricted_kernelIlfLi16ELi32ELi8ELi1ELi0ELb0ELc78ELc76EKPKfKPfEviT_PT9_S5_lS7_S5_lPT10_S5_li,"axG",@progbits,_ZL37rocblas_syrkx_herkx_restricted_kernelIlfLi16ELi32ELi8ELi1ELi0ELb0ELc78ELc76EKPKfKPfEviT_PT9_S5_lS7_S5_lPT10_S5_li,comdat
	.globl	_ZL37rocblas_syrkx_herkx_restricted_kernelIlfLi16ELi32ELi8ELi1ELi0ELb0ELc78ELc76EKPKfKPfEviT_PT9_S5_lS7_S5_lPT10_S5_li ; -- Begin function _ZL37rocblas_syrkx_herkx_restricted_kernelIlfLi16ELi32ELi8ELi1ELi0ELb0ELc78ELc76EKPKfKPfEviT_PT9_S5_lS7_S5_lPT10_S5_li
	.p2align	8
	.type	_ZL37rocblas_syrkx_herkx_restricted_kernelIlfLi16ELi32ELi8ELi1ELi0ELb0ELc78ELc76EKPKfKPfEviT_PT9_S5_lS7_S5_lPT10_S5_li,@function
_ZL37rocblas_syrkx_herkx_restricted_kernelIlfLi16ELi32ELi8ELi1ELi0ELb0ELc78ELc76EKPKfKPfEviT_PT9_S5_lS7_S5_lPT10_S5_li: ; @_ZL37rocblas_syrkx_herkx_restricted_kernelIlfLi16ELi32ELi8ELi1ELi0ELb0ELc78ELc76EKPKfKPfEviT_PT9_S5_lS7_S5_lPT10_S5_li
; %bb.0:
	s_clause 0x1
	s_load_b128 s[4:7], s[0:1], 0x40
	s_load_b128 s[8:11], s[0:1], 0x8
	s_mov_b32 s2, s15
	s_mov_b32 s3, 0
	v_dual_mov_b32 v8, 0 :: v_dual_and_b32 v5, 0x3ff, v0
	s_lshl_b64 s[16:17], s[2:3], 3
	v_bfe_u32 v6, v0, 10, 10
	v_dual_mov_b32 v9, 0 :: v_dual_mov_b32 v4, 0
	v_mov_b32_e32 v7, 0
	s_waitcnt lgkmcnt(0)
	s_add_u32 s2, s4, s16
	s_addc_u32 s3, s5, s17
	v_cmp_lt_i64_e64 s4, s[8:9], 1
	s_load_b64 s[2:3], s[2:3], 0x0
	s_lshl_b32 s18, s13, 5
	s_lshl_b32 s19, s14, 5
	s_delay_alu instid0(VALU_DEP_1)
	s_and_b32 vcc_lo, exec_lo, s4
	s_cbranch_vccnz .LBB1402_3
; %bb.1:
	v_lshl_add_u32 v1, v6, 4, v5
	s_clause 0x1
	s_load_b64 s[4:5], s[0:1], 0x18
	s_load_b128 s[12:15], s[0:1], 0x28
	s_add_u32 s10, s10, s16
	s_addc_u32 s11, s11, s17
	v_lshlrev_b32_e32 v10, 2, v5
	v_and_b32_e32 v14, 31, v1
	v_lshrrev_b32_e32 v15, 3, v1
	v_lshrrev_b32_e32 v16, 5, v1
	s_load_b64 s[10:11], s[10:11], 0x0
	v_lshl_add_u32 v11, v6, 5, 0x400
	v_add_nc_u32_e32 v0, s18, v14
	v_add_nc_u32_e32 v2, s19, v15
	s_delay_alu instid0(VALU_DEP_2) | instskip(NEXT) | instid1(VALU_DEP_2)
	v_ashrrev_i32_e32 v1, 31, v0
	v_ashrrev_i32_e32 v3, 31, v2
	s_waitcnt lgkmcnt(0)
	s_delay_alu instid0(VALU_DEP_2) | instskip(SKIP_4) | instid1(VALU_DEP_1)
	v_mad_u64_u32 v[8:9], null, v16, s4, v[0:1]
	v_and_b32_e32 v7, 7, v5
	s_add_u32 s12, s12, s16
	s_addc_u32 s13, s13, s17
	s_load_b64 s[12:13], s[12:13], 0x0
	v_mad_u64_u32 v[0:1], null, v7, s14, v[2:3]
	s_delay_alu instid0(VALU_DEP_3) | instskip(NEXT) | instid1(VALU_DEP_1)
	v_mov_b32_e32 v2, v9
	v_mad_u64_u32 v[3:4], null, v16, s5, v[2:3]
	s_delay_alu instid0(VALU_DEP_3) | instskip(SKIP_3) | instid1(VALU_DEP_4)
	v_mad_u64_u32 v[12:13], null, v7, s15, v[1:2]
	v_dual_mov_b32 v4, 0 :: v_dual_lshlrev_b32 v1, 2, v7
	v_mov_b32_e32 v7, 0
	s_lshl_b64 s[4:5], s[4:5], 5
	v_mov_b32_e32 v9, v3
	v_lshlrev_b32_e32 v13, 2, v14
	v_lshl_or_b32 v14, v15, 5, v1
	v_mov_b32_e32 v1, v12
	s_delay_alu instid0(VALU_DEP_4)
	v_lshlrev_b64 v[2:3], 2, v[8:9]
	v_mov_b32_e32 v8, 0
	v_lshl_or_b32 v12, v16, 7, v13
	v_add_nc_u32_e32 v13, 0x400, v14
	v_lshlrev_b64 v[14:15], 2, v[0:1]
	v_mov_b32_e32 v9, 0
	v_add_co_u32 v0, vcc_lo, s10, v2
	v_add_co_ci_u32_e32 v1, vcc_lo, s11, v3, vcc_lo
	s_waitcnt lgkmcnt(0)
	s_delay_alu instid0(VALU_DEP_4)
	v_add_co_u32 v2, vcc_lo, s12, v14
	v_add_co_ci_u32_e32 v3, vcc_lo, s13, v15, vcc_lo
	s_lshl_b64 s[10:11], s[14:15], 5
	s_mov_b64 s[12:13], 0
.LBB1402_2:                             ; =>This Inner Loop Header: Depth=1
	global_load_b32 v14, v[0:1], off
	global_load_b32 v15, v[2:3], off
	s_add_u32 s12, s12, 8
	v_add_co_u32 v0, vcc_lo, v0, s4
	s_addc_u32 s13, s13, 0
	v_add_co_ci_u32_e32 v1, vcc_lo, s5, v1, vcc_lo
	v_cmp_ge_u64_e64 s14, s[12:13], s[8:9]
	v_add_co_u32 v2, vcc_lo, v2, s10
	v_add_co_ci_u32_e32 v3, vcc_lo, s11, v3, vcc_lo
	s_waitcnt vmcnt(1)
	ds_store_b32 v12, v14
	s_waitcnt vmcnt(0)
	ds_store_b32 v13, v15
	s_waitcnt lgkmcnt(0)
	s_barrier
	buffer_gl0_inv
	ds_load_2addr_b32 v[30:31], v10 offset1:16
	ds_load_b128 v[14:17], v11
	ds_load_b128 v[18:21], v11 offset:512
	ds_load_2addr_b32 v[32:33], v10 offset0:32 offset1:48
	ds_load_2addr_b32 v[34:35], v10 offset0:64 offset1:80
	ds_load_b128 v[22:25], v11 offset:16
	ds_load_2addr_b32 v[36:37], v10 offset0:96 offset1:112
	ds_load_2addr_b32 v[38:39], v10 offset0:128 offset1:144
	;; [unrolled: 3-line block ×3, first 2 shown]
	ds_load_2addr_b32 v[44:45], v10 offset0:224 offset1:240
	s_and_b32 vcc_lo, exec_lo, s14
	s_waitcnt lgkmcnt(0)
	s_barrier
	buffer_gl0_inv
	v_fmac_f32_e32 v8, v31, v14
	v_fmac_f32_e32 v9, v30, v14
	;; [unrolled: 1-line block ×3, first 2 shown]
	s_delay_alu instid0(VALU_DEP_3) | instskip(NEXT) | instid1(VALU_DEP_3)
	v_dual_fmac_f32 v7, v30, v18 :: v_dual_fmac_f32 v8, v33, v15
	v_fmac_f32_e32 v9, v32, v15
	s_delay_alu instid0(VALU_DEP_3) | instskip(NEXT) | instid1(VALU_DEP_3)
	v_fmac_f32_e32 v4, v33, v19
	v_dual_fmac_f32 v7, v32, v19 :: v_dual_fmac_f32 v8, v35, v16
	s_delay_alu instid0(VALU_DEP_3) | instskip(NEXT) | instid1(VALU_DEP_3)
	v_fmac_f32_e32 v9, v34, v16
	v_fmac_f32_e32 v4, v35, v20
	s_delay_alu instid0(VALU_DEP_3) | instskip(NEXT) | instid1(VALU_DEP_3)
	v_dual_fmac_f32 v7, v34, v20 :: v_dual_fmac_f32 v8, v37, v17
	v_fmac_f32_e32 v9, v36, v17
	s_delay_alu instid0(VALU_DEP_3) | instskip(NEXT) | instid1(VALU_DEP_3)
	v_fmac_f32_e32 v4, v37, v21
	v_dual_fmac_f32 v7, v36, v21 :: v_dual_fmac_f32 v8, v39, v22
	s_delay_alu instid0(VALU_DEP_3) | instskip(NEXT) | instid1(VALU_DEP_3)
	v_fmac_f32_e32 v9, v38, v22
	v_fmac_f32_e32 v4, v39, v26
	;; [unrolled: 9-line block ×3, first 2 shown]
	s_delay_alu instid0(VALU_DEP_3) | instskip(NEXT) | instid1(VALU_DEP_3)
	v_dual_fmac_f32 v7, v42, v28 :: v_dual_fmac_f32 v8, v45, v25
	v_fmac_f32_e32 v9, v44, v25
	s_delay_alu instid0(VALU_DEP_3) | instskip(NEXT) | instid1(VALU_DEP_3)
	v_fmac_f32_e32 v4, v45, v29
	v_fmac_f32_e32 v7, v44, v29
	s_cbranch_vccz .LBB1402_2
.LBB1402_3:
	v_add_nc_u32_e32 v6, s19, v6
	s_load_b32 s4, s[0:1], 0x0
	s_delay_alu instid0(VALU_DEP_1) | instskip(SKIP_2) | instid1(VALU_DEP_3)
	v_ashrrev_i32_e32 v0, 31, v6
	v_mul_lo_u32 v3, v6, s7
	v_mad_u64_u32 v[1:2], null, v6, s6, 0
	v_mul_lo_u32 v0, v0, s6
	s_delay_alu instid0(VALU_DEP_1) | instskip(SKIP_1) | instid1(VALU_DEP_2)
	v_add3_u32 v2, v2, v3, v0
	v_add_nc_u32_e32 v0, s18, v5
	v_lshlrev_b64 v[1:2], 2, v[1:2]
	s_delay_alu instid0(VALU_DEP_2) | instskip(SKIP_2) | instid1(VALU_DEP_3)
	v_cmp_le_i32_e64 s0, v6, v0
	s_waitcnt lgkmcnt(0)
	v_cmp_gt_i32_e32 vcc_lo, s4, v0
	v_add_co_u32 v5, s1, s2, v1
	s_delay_alu instid0(VALU_DEP_1) | instskip(SKIP_1) | instid1(SALU_CYCLE_1)
	v_add_co_ci_u32_e64 v10, s1, s3, v2, s1
	s_and_b32 s0, s0, vcc_lo
	s_and_saveexec_b32 s1, s0
	s_cbranch_execz .LBB1402_5
; %bb.4:
	v_ashrrev_i32_e32 v1, 31, v0
	s_delay_alu instid0(VALU_DEP_1) | instskip(NEXT) | instid1(VALU_DEP_1)
	v_lshlrev_b64 v[1:2], 2, v[0:1]
	v_add_co_u32 v1, s0, v5, v1
	s_delay_alu instid0(VALU_DEP_1)
	v_add_co_ci_u32_e64 v2, s0, v10, v2, s0
	global_store_b32 v[1:2], v9, off
.LBB1402_5:
	s_or_b32 exec_lo, exec_lo, s1
	v_add_nc_u32_e32 v2, 16, v0
	s_delay_alu instid0(VALU_DEP_1) | instskip(SKIP_1) | instid1(VALU_DEP_1)
	v_cmp_le_i32_e64 s1, v6, v2
	v_cmp_gt_i32_e64 s0, s4, v2
	s_and_b32 s1, s1, s0
	s_delay_alu instid0(SALU_CYCLE_1)
	s_and_saveexec_b32 s4, s1
	s_cbranch_execz .LBB1402_7
; %bb.6:
	v_ashrrev_i32_e32 v3, 31, v2
	s_delay_alu instid0(VALU_DEP_1) | instskip(NEXT) | instid1(VALU_DEP_1)
	v_lshlrev_b64 v[11:12], 2, v[2:3]
	v_add_co_u32 v9, s1, v5, v11
	s_delay_alu instid0(VALU_DEP_1)
	v_add_co_ci_u32_e64 v10, s1, v10, v12, s1
	global_store_b32 v[9:10], v8, off
.LBB1402_7:
	s_or_b32 exec_lo, exec_lo, s4
	v_add_nc_u32_e32 v3, 16, v6
	s_delay_alu instid0(VALU_DEP_1) | instskip(SKIP_3) | instid1(VALU_DEP_4)
	v_ashrrev_i32_e32 v1, 31, v3
	v_mul_lo_u32 v8, v3, s7
	v_mad_u64_u32 v[5:6], null, v3, s6, 0
	v_cmp_le_i32_e64 s1, v3, v0
	v_mul_lo_u32 v1, v1, s6
	s_delay_alu instid0(VALU_DEP_1) | instskip(NEXT) | instid1(VALU_DEP_1)
	v_add3_u32 v6, v6, v8, v1
	v_lshlrev_b64 v[5:6], 2, v[5:6]
	s_delay_alu instid0(VALU_DEP_1) | instskip(NEXT) | instid1(VALU_DEP_1)
	v_add_co_u32 v5, s2, s2, v5
	v_add_co_ci_u32_e64 v6, s2, s3, v6, s2
	s_and_b32 s2, s1, vcc_lo
	s_delay_alu instid0(SALU_CYCLE_1)
	s_and_saveexec_b32 s1, s2
	s_cbranch_execz .LBB1402_9
; %bb.8:
	v_ashrrev_i32_e32 v1, 31, v0
	s_delay_alu instid0(VALU_DEP_1) | instskip(NEXT) | instid1(VALU_DEP_1)
	v_lshlrev_b64 v[0:1], 2, v[0:1]
	v_add_co_u32 v0, vcc_lo, v5, v0
	s_delay_alu instid0(VALU_DEP_2)
	v_add_co_ci_u32_e32 v1, vcc_lo, v6, v1, vcc_lo
	global_store_b32 v[0:1], v7, off
.LBB1402_9:
	s_or_b32 exec_lo, exec_lo, s1
	v_cmp_le_i32_e32 vcc_lo, v3, v2
	s_and_b32 s0, vcc_lo, s0
	s_delay_alu instid0(SALU_CYCLE_1)
	s_and_saveexec_b32 s1, s0
	s_cbranch_execz .LBB1402_11
; %bb.10:
	v_ashrrev_i32_e32 v3, 31, v2
	s_delay_alu instid0(VALU_DEP_1) | instskip(NEXT) | instid1(VALU_DEP_1)
	v_lshlrev_b64 v[0:1], 2, v[2:3]
	v_add_co_u32 v0, vcc_lo, v5, v0
	s_delay_alu instid0(VALU_DEP_2)
	v_add_co_ci_u32_e32 v1, vcc_lo, v6, v1, vcc_lo
	global_store_b32 v[0:1], v4, off
.LBB1402_11:
	s_nop 0
	s_sendmsg sendmsg(MSG_DEALLOC_VGPRS)
	s_endpgm
	.section	.rodata,"a",@progbits
	.p2align	6, 0x0
	.amdhsa_kernel _ZL37rocblas_syrkx_herkx_restricted_kernelIlfLi16ELi32ELi8ELi1ELi0ELb0ELc78ELc76EKPKfKPfEviT_PT9_S5_lS7_S5_lPT10_S5_li
		.amdhsa_group_segment_fixed_size 2048
		.amdhsa_private_segment_fixed_size 0
		.amdhsa_kernarg_size 92
		.amdhsa_user_sgpr_count 13
		.amdhsa_user_sgpr_dispatch_ptr 0
		.amdhsa_user_sgpr_queue_ptr 0
		.amdhsa_user_sgpr_kernarg_segment_ptr 1
		.amdhsa_user_sgpr_dispatch_id 0
		.amdhsa_user_sgpr_private_segment_size 0
		.amdhsa_wavefront_size32 1
		.amdhsa_uses_dynamic_stack 0
		.amdhsa_enable_private_segment 0
		.amdhsa_system_sgpr_workgroup_id_x 1
		.amdhsa_system_sgpr_workgroup_id_y 1
		.amdhsa_system_sgpr_workgroup_id_z 1
		.amdhsa_system_sgpr_workgroup_info 0
		.amdhsa_system_vgpr_workitem_id 1
		.amdhsa_next_free_vgpr 46
		.amdhsa_next_free_sgpr 20
		.amdhsa_reserve_vcc 1
		.amdhsa_float_round_mode_32 0
		.amdhsa_float_round_mode_16_64 0
		.amdhsa_float_denorm_mode_32 3
		.amdhsa_float_denorm_mode_16_64 3
		.amdhsa_dx10_clamp 1
		.amdhsa_ieee_mode 1
		.amdhsa_fp16_overflow 0
		.amdhsa_workgroup_processor_mode 1
		.amdhsa_memory_ordered 1
		.amdhsa_forward_progress 0
		.amdhsa_shared_vgpr_count 0
		.amdhsa_exception_fp_ieee_invalid_op 0
		.amdhsa_exception_fp_denorm_src 0
		.amdhsa_exception_fp_ieee_div_zero 0
		.amdhsa_exception_fp_ieee_overflow 0
		.amdhsa_exception_fp_ieee_underflow 0
		.amdhsa_exception_fp_ieee_inexact 0
		.amdhsa_exception_int_div_zero 0
	.end_amdhsa_kernel
	.section	.text._ZL37rocblas_syrkx_herkx_restricted_kernelIlfLi16ELi32ELi8ELi1ELi0ELb0ELc78ELc76EKPKfKPfEviT_PT9_S5_lS7_S5_lPT10_S5_li,"axG",@progbits,_ZL37rocblas_syrkx_herkx_restricted_kernelIlfLi16ELi32ELi8ELi1ELi0ELb0ELc78ELc76EKPKfKPfEviT_PT9_S5_lS7_S5_lPT10_S5_li,comdat
.Lfunc_end1402:
	.size	_ZL37rocblas_syrkx_herkx_restricted_kernelIlfLi16ELi32ELi8ELi1ELi0ELb0ELc78ELc76EKPKfKPfEviT_PT9_S5_lS7_S5_lPT10_S5_li, .Lfunc_end1402-_ZL37rocblas_syrkx_herkx_restricted_kernelIlfLi16ELi32ELi8ELi1ELi0ELb0ELc78ELc76EKPKfKPfEviT_PT9_S5_lS7_S5_lPT10_S5_li
                                        ; -- End function
	.section	.AMDGPU.csdata,"",@progbits
; Kernel info:
; codeLenInByte = 1256
; NumSgprs: 22
; NumVgprs: 46
; ScratchSize: 0
; MemoryBound: 0
; FloatMode: 240
; IeeeMode: 1
; LDSByteSize: 2048 bytes/workgroup (compile time only)
; SGPRBlocks: 2
; VGPRBlocks: 5
; NumSGPRsForWavesPerEU: 22
; NumVGPRsForWavesPerEU: 46
; Occupancy: 16
; WaveLimiterHint : 1
; COMPUTE_PGM_RSRC2:SCRATCH_EN: 0
; COMPUTE_PGM_RSRC2:USER_SGPR: 13
; COMPUTE_PGM_RSRC2:TRAP_HANDLER: 0
; COMPUTE_PGM_RSRC2:TGID_X_EN: 1
; COMPUTE_PGM_RSRC2:TGID_Y_EN: 1
; COMPUTE_PGM_RSRC2:TGID_Z_EN: 1
; COMPUTE_PGM_RSRC2:TIDIG_COMP_CNT: 1
	.section	.text._ZL37rocblas_syrkx_herkx_restricted_kernelIlfLi16ELi32ELi8ELi1ELi0ELb0ELc84ELc85EKPKfKPfEviT_PT9_S5_lS7_S5_lPT10_S5_li,"axG",@progbits,_ZL37rocblas_syrkx_herkx_restricted_kernelIlfLi16ELi32ELi8ELi1ELi0ELb0ELc84ELc85EKPKfKPfEviT_PT9_S5_lS7_S5_lPT10_S5_li,comdat
	.globl	_ZL37rocblas_syrkx_herkx_restricted_kernelIlfLi16ELi32ELi8ELi1ELi0ELb0ELc84ELc85EKPKfKPfEviT_PT9_S5_lS7_S5_lPT10_S5_li ; -- Begin function _ZL37rocblas_syrkx_herkx_restricted_kernelIlfLi16ELi32ELi8ELi1ELi0ELb0ELc84ELc85EKPKfKPfEviT_PT9_S5_lS7_S5_lPT10_S5_li
	.p2align	8
	.type	_ZL37rocblas_syrkx_herkx_restricted_kernelIlfLi16ELi32ELi8ELi1ELi0ELb0ELc84ELc85EKPKfKPfEviT_PT9_S5_lS7_S5_lPT10_S5_li,@function
_ZL37rocblas_syrkx_herkx_restricted_kernelIlfLi16ELi32ELi8ELi1ELi0ELb0ELc84ELc85EKPKfKPfEviT_PT9_S5_lS7_S5_lPT10_S5_li: ; @_ZL37rocblas_syrkx_herkx_restricted_kernelIlfLi16ELi32ELi8ELi1ELi0ELb0ELc84ELc85EKPKfKPfEviT_PT9_S5_lS7_S5_lPT10_S5_li
; %bb.0:
	s_clause 0x1
	s_load_b128 s[4:7], s[0:1], 0x40
	s_load_b128 s[8:11], s[0:1], 0x8
	s_mov_b32 s2, s15
	s_mov_b32 s3, 0
	v_dual_mov_b32 v9, 0 :: v_dual_and_b32 v6, 0x3ff, v0
	s_lshl_b64 s[16:17], s[2:3], 3
	v_bfe_u32 v7, v0, 10, 10
	v_dual_mov_b32 v8, 0 :: v_dual_mov_b32 v1, 0
	v_mov_b32_e32 v0, 0
	s_waitcnt lgkmcnt(0)
	s_add_u32 s2, s4, s16
	s_addc_u32 s3, s5, s17
	v_cmp_lt_i64_e64 s4, s[8:9], 1
	s_load_b64 s[2:3], s[2:3], 0x0
	s_lshl_b32 s18, s13, 5
	s_lshl_b32 s19, s14, 5
	s_delay_alu instid0(VALU_DEP_1)
	s_and_b32 vcc_lo, exec_lo, s4
	s_cbranch_vccnz .LBB1403_3
; %bb.1:
	s_clause 0x1
	s_load_b128 s[12:15], s[0:1], 0x28
	s_load_b64 s[4:5], s[0:1], 0x18
	v_lshl_add_u32 v2, v7, 4, v6
	s_add_u32 s10, s10, s16
	s_addc_u32 s11, s11, s17
	v_dual_mov_b32 v1, 0 :: v_dual_and_b32 v0, 7, v6
	s_delay_alu instid0(VALU_DEP_2) | instskip(SKIP_2) | instid1(VALU_DEP_4)
	v_lshrrev_b32_e32 v11, 3, v2
	v_and_b32_e32 v12, 31, v2
	v_lshrrev_b32_e32 v2, 5, v2
	v_mov_b32_e32 v3, v1
	s_load_b64 s[10:11], s[10:11], 0x0
	v_add_nc_u32_e32 v10, s19, v11
	v_add_nc_u32_e32 v8, s18, v12
	v_lshlrev_b32_e32 v12, 2, v12
	s_delay_alu instid0(VALU_DEP_3) | instskip(NEXT) | instid1(VALU_DEP_3)
	v_ashrrev_i32_e32 v4, 31, v10
	v_ashrrev_i32_e32 v5, 31, v8
	s_delay_alu instid0(VALU_DEP_3)
	v_lshl_or_b32 v12, v2, 7, v12
	s_waitcnt lgkmcnt(0)
	s_add_u32 s12, s12, s16
	s_addc_u32 s13, s13, s17
	v_mul_lo_u32 v13, v4, s14
	v_mul_lo_u32 v14, s4, v5
	v_mad_u64_u32 v[4:5], null, s4, v8, v[2:3]
	v_mul_lo_u32 v3, s5, v8
	s_load_b64 s[4:5], s[12:13], 0x0
	v_mul_lo_u32 v15, v10, s15
	v_mad_u64_u32 v[8:9], null, v10, s14, v[0:1]
	v_lshlrev_b32_e32 v0, 2, v0
	v_lshlrev_b32_e32 v10, 2, v6
	v_add3_u32 v5, v3, v5, v14
	s_delay_alu instid0(VALU_DEP_3) | instskip(SKIP_2) | instid1(VALU_DEP_4)
	v_lshl_or_b32 v0, v11, 5, v0
	v_add3_u32 v9, v13, v9, v15
	v_lshl_add_u32 v11, v7, 5, 0x400
	v_lshlrev_b64 v[3:4], 2, v[4:5]
	s_delay_alu instid0(VALU_DEP_4) | instskip(NEXT) | instid1(VALU_DEP_4)
	v_dual_mov_b32 v0, v1 :: v_dual_add_nc_u32 v13, 0x400, v0
	v_lshlrev_b64 v[8:9], 2, v[8:9]
	s_delay_alu instid0(VALU_DEP_3) | instskip(NEXT) | instid1(VALU_DEP_4)
	v_add_co_u32 v2, vcc_lo, s10, v3
	v_add_co_ci_u32_e32 v3, vcc_lo, s11, v4, vcc_lo
	s_waitcnt lgkmcnt(0)
	s_delay_alu instid0(VALU_DEP_3) | instskip(NEXT) | instid1(VALU_DEP_4)
	v_add_co_u32 v4, vcc_lo, s4, v8
	v_add_co_ci_u32_e32 v5, vcc_lo, s5, v9, vcc_lo
	v_mov_b32_e32 v8, v1
	v_mov_b32_e32 v9, v1
	s_mov_b64 s[4:5], 0
.LBB1403_2:                             ; =>This Inner Loop Header: Depth=1
	global_load_b32 v14, v[2:3], off
	global_load_b32 v15, v[4:5], off
	s_add_u32 s4, s4, 8
	v_add_co_u32 v2, vcc_lo, v2, 32
	s_addc_u32 s5, s5, 0
	v_add_co_ci_u32_e32 v3, vcc_lo, 0, v3, vcc_lo
	v_cmp_ge_u64_e64 s10, s[4:5], s[8:9]
	v_add_co_u32 v4, vcc_lo, v4, 32
	v_add_co_ci_u32_e32 v5, vcc_lo, 0, v5, vcc_lo
	s_waitcnt vmcnt(1)
	ds_store_b32 v12, v14
	s_waitcnt vmcnt(0)
	ds_store_b32 v13, v15
	s_waitcnt lgkmcnt(0)
	s_barrier
	buffer_gl0_inv
	ds_load_2addr_b32 v[30:31], v10 offset1:16
	ds_load_b128 v[14:17], v11
	ds_load_b128 v[18:21], v11 offset:512
	ds_load_2addr_b32 v[32:33], v10 offset0:32 offset1:48
	ds_load_2addr_b32 v[34:35], v10 offset0:64 offset1:80
	ds_load_b128 v[22:25], v11 offset:16
	ds_load_2addr_b32 v[36:37], v10 offset0:96 offset1:112
	ds_load_2addr_b32 v[38:39], v10 offset0:128 offset1:144
	;; [unrolled: 3-line block ×3, first 2 shown]
	ds_load_2addr_b32 v[44:45], v10 offset0:224 offset1:240
	s_and_b32 vcc_lo, exec_lo, s10
	s_waitcnt lgkmcnt(0)
	s_barrier
	buffer_gl0_inv
	v_fmac_f32_e32 v8, v31, v14
	v_fmac_f32_e32 v9, v30, v14
	;; [unrolled: 1-line block ×4, first 2 shown]
	s_delay_alu instid0(VALU_DEP_4) | instskip(NEXT) | instid1(VALU_DEP_4)
	v_fmac_f32_e32 v8, v33, v15
	v_fmac_f32_e32 v9, v32, v15
	s_delay_alu instid0(VALU_DEP_4) | instskip(NEXT) | instid1(VALU_DEP_4)
	v_fmac_f32_e32 v1, v33, v19
	v_fmac_f32_e32 v0, v32, v19
	;; [unrolled: 3-line block ×14, first 2 shown]
	s_cbranch_vccz .LBB1403_2
.LBB1403_3:
	v_add_nc_u32_e32 v7, s19, v7
	s_load_b32 s4, s[0:1], 0x0
	s_delay_alu instid0(VALU_DEP_1) | instskip(SKIP_2) | instid1(VALU_DEP_3)
	v_ashrrev_i32_e32 v2, 31, v7
	v_mul_lo_u32 v5, v7, s7
	v_mad_u64_u32 v[3:4], null, v7, s6, 0
	v_mul_lo_u32 v2, v2, s6
	s_delay_alu instid0(VALU_DEP_1) | instskip(SKIP_3) | instid1(VALU_DEP_3)
	v_add3_u32 v4, v4, v5, v2
	v_add_nc_u32_e32 v2, s18, v6
	s_waitcnt lgkmcnt(0)
	v_cmp_gt_i32_e32 vcc_lo, s4, v7
	v_lshlrev_b64 v[3:4], 2, v[3:4]
	s_delay_alu instid0(VALU_DEP_3) | instskip(NEXT) | instid1(VALU_DEP_1)
	v_cmp_le_i32_e64 s0, v2, v7
	s_and_b32 s0, vcc_lo, s0
	s_delay_alu instid0(VALU_DEP_2) | instskip(NEXT) | instid1(VALU_DEP_1)
	v_add_co_u32 v6, s1, s2, v3
	v_add_co_ci_u32_e64 v10, s1, s3, v4, s1
	s_and_saveexec_b32 s1, s0
	s_cbranch_execz .LBB1403_5
; %bb.4:
	v_ashrrev_i32_e32 v3, 31, v2
	s_delay_alu instid0(VALU_DEP_1) | instskip(NEXT) | instid1(VALU_DEP_1)
	v_lshlrev_b64 v[3:4], 2, v[2:3]
	v_add_co_u32 v3, s0, v6, v3
	s_delay_alu instid0(VALU_DEP_1)
	v_add_co_ci_u32_e64 v4, s0, v10, v4, s0
	global_store_b32 v[3:4], v9, off
.LBB1403_5:
	s_or_b32 exec_lo, exec_lo, s1
	v_add_nc_u32_e32 v4, 16, v2
	s_delay_alu instid0(VALU_DEP_1) | instskip(NEXT) | instid1(VALU_DEP_1)
	v_cmp_le_i32_e64 s0, v4, v7
	s_and_b32 s1, vcc_lo, s0
	s_delay_alu instid0(SALU_CYCLE_1)
	s_and_saveexec_b32 s0, s1
	s_cbranch_execz .LBB1403_7
; %bb.6:
	v_ashrrev_i32_e32 v5, 31, v4
	s_delay_alu instid0(VALU_DEP_1) | instskip(NEXT) | instid1(VALU_DEP_1)
	v_lshlrev_b64 v[11:12], 2, v[4:5]
	v_add_co_u32 v5, vcc_lo, v6, v11
	s_delay_alu instid0(VALU_DEP_2)
	v_add_co_ci_u32_e32 v6, vcc_lo, v10, v12, vcc_lo
	global_store_b32 v[5:6], v8, off
.LBB1403_7:
	s_or_b32 exec_lo, exec_lo, s0
	v_add_nc_u32_e32 v5, 16, v7
	s_delay_alu instid0(VALU_DEP_1) | instskip(SKIP_3) | instid1(VALU_DEP_4)
	v_ashrrev_i32_e32 v3, 31, v5
	v_mul_lo_u32 v8, v5, s7
	v_mad_u64_u32 v[6:7], null, v5, s6, 0
	v_cmp_gt_i32_e32 vcc_lo, s4, v5
	v_mul_lo_u32 v3, v3, s6
	v_cmp_le_i32_e64 s0, v2, v5
	s_delay_alu instid0(VALU_DEP_1) | instskip(NEXT) | instid1(VALU_DEP_2)
	s_and_b32 s0, vcc_lo, s0
	v_add3_u32 v7, v7, v8, v3
	s_delay_alu instid0(VALU_DEP_1) | instskip(NEXT) | instid1(VALU_DEP_1)
	v_lshlrev_b64 v[6:7], 2, v[6:7]
	v_add_co_u32 v6, s1, s2, v6
	s_delay_alu instid0(VALU_DEP_1)
	v_add_co_ci_u32_e64 v7, s1, s3, v7, s1
	s_and_saveexec_b32 s1, s0
	s_cbranch_execz .LBB1403_9
; %bb.8:
	v_ashrrev_i32_e32 v3, 31, v2
	s_delay_alu instid0(VALU_DEP_1) | instskip(NEXT) | instid1(VALU_DEP_1)
	v_lshlrev_b64 v[2:3], 2, v[2:3]
	v_add_co_u32 v2, s0, v6, v2
	s_delay_alu instid0(VALU_DEP_1)
	v_add_co_ci_u32_e64 v3, s0, v7, v3, s0
	global_store_b32 v[2:3], v0, off
.LBB1403_9:
	s_or_b32 exec_lo, exec_lo, s1
	v_cmp_le_i32_e64 s0, v4, v5
	s_delay_alu instid0(VALU_DEP_1) | instskip(NEXT) | instid1(SALU_CYCLE_1)
	s_and_b32 s0, vcc_lo, s0
	s_and_saveexec_b32 s1, s0
	s_cbranch_execz .LBB1403_11
; %bb.10:
	v_ashrrev_i32_e32 v5, 31, v4
	s_delay_alu instid0(VALU_DEP_1) | instskip(NEXT) | instid1(VALU_DEP_1)
	v_lshlrev_b64 v[2:3], 2, v[4:5]
	v_add_co_u32 v2, vcc_lo, v6, v2
	s_delay_alu instid0(VALU_DEP_2)
	v_add_co_ci_u32_e32 v3, vcc_lo, v7, v3, vcc_lo
	global_store_b32 v[2:3], v1, off
.LBB1403_11:
	s_nop 0
	s_sendmsg sendmsg(MSG_DEALLOC_VGPRS)
	s_endpgm
	.section	.rodata,"a",@progbits
	.p2align	6, 0x0
	.amdhsa_kernel _ZL37rocblas_syrkx_herkx_restricted_kernelIlfLi16ELi32ELi8ELi1ELi0ELb0ELc84ELc85EKPKfKPfEviT_PT9_S5_lS7_S5_lPT10_S5_li
		.amdhsa_group_segment_fixed_size 2048
		.amdhsa_private_segment_fixed_size 0
		.amdhsa_kernarg_size 92
		.amdhsa_user_sgpr_count 13
		.amdhsa_user_sgpr_dispatch_ptr 0
		.amdhsa_user_sgpr_queue_ptr 0
		.amdhsa_user_sgpr_kernarg_segment_ptr 1
		.amdhsa_user_sgpr_dispatch_id 0
		.amdhsa_user_sgpr_private_segment_size 0
		.amdhsa_wavefront_size32 1
		.amdhsa_uses_dynamic_stack 0
		.amdhsa_enable_private_segment 0
		.amdhsa_system_sgpr_workgroup_id_x 1
		.amdhsa_system_sgpr_workgroup_id_y 1
		.amdhsa_system_sgpr_workgroup_id_z 1
		.amdhsa_system_sgpr_workgroup_info 0
		.amdhsa_system_vgpr_workitem_id 1
		.amdhsa_next_free_vgpr 46
		.amdhsa_next_free_sgpr 20
		.amdhsa_reserve_vcc 1
		.amdhsa_float_round_mode_32 0
		.amdhsa_float_round_mode_16_64 0
		.amdhsa_float_denorm_mode_32 3
		.amdhsa_float_denorm_mode_16_64 3
		.amdhsa_dx10_clamp 1
		.amdhsa_ieee_mode 1
		.amdhsa_fp16_overflow 0
		.amdhsa_workgroup_processor_mode 1
		.amdhsa_memory_ordered 1
		.amdhsa_forward_progress 0
		.amdhsa_shared_vgpr_count 0
		.amdhsa_exception_fp_ieee_invalid_op 0
		.amdhsa_exception_fp_denorm_src 0
		.amdhsa_exception_fp_ieee_div_zero 0
		.amdhsa_exception_fp_ieee_overflow 0
		.amdhsa_exception_fp_ieee_underflow 0
		.amdhsa_exception_fp_ieee_inexact 0
		.amdhsa_exception_int_div_zero 0
	.end_amdhsa_kernel
	.section	.text._ZL37rocblas_syrkx_herkx_restricted_kernelIlfLi16ELi32ELi8ELi1ELi0ELb0ELc84ELc85EKPKfKPfEviT_PT9_S5_lS7_S5_lPT10_S5_li,"axG",@progbits,_ZL37rocblas_syrkx_herkx_restricted_kernelIlfLi16ELi32ELi8ELi1ELi0ELb0ELc84ELc85EKPKfKPfEviT_PT9_S5_lS7_S5_lPT10_S5_li,comdat
.Lfunc_end1403:
	.size	_ZL37rocblas_syrkx_herkx_restricted_kernelIlfLi16ELi32ELi8ELi1ELi0ELb0ELc84ELc85EKPKfKPfEviT_PT9_S5_lS7_S5_lPT10_S5_li, .Lfunc_end1403-_ZL37rocblas_syrkx_herkx_restricted_kernelIlfLi16ELi32ELi8ELi1ELi0ELb0ELc84ELc85EKPKfKPfEviT_PT9_S5_lS7_S5_lPT10_S5_li
                                        ; -- End function
	.section	.AMDGPU.csdata,"",@progbits
; Kernel info:
; codeLenInByte = 1288
; NumSgprs: 22
; NumVgprs: 46
; ScratchSize: 0
; MemoryBound: 0
; FloatMode: 240
; IeeeMode: 1
; LDSByteSize: 2048 bytes/workgroup (compile time only)
; SGPRBlocks: 2
; VGPRBlocks: 5
; NumSGPRsForWavesPerEU: 22
; NumVGPRsForWavesPerEU: 46
; Occupancy: 16
; WaveLimiterHint : 1
; COMPUTE_PGM_RSRC2:SCRATCH_EN: 0
; COMPUTE_PGM_RSRC2:USER_SGPR: 13
; COMPUTE_PGM_RSRC2:TRAP_HANDLER: 0
; COMPUTE_PGM_RSRC2:TGID_X_EN: 1
; COMPUTE_PGM_RSRC2:TGID_Y_EN: 1
; COMPUTE_PGM_RSRC2:TGID_Z_EN: 1
; COMPUTE_PGM_RSRC2:TIDIG_COMP_CNT: 1
	.section	.text._ZL37rocblas_syrkx_herkx_restricted_kernelIlfLi16ELi32ELi8ELi1ELi0ELb0ELc67ELc85EKPKfKPfEviT_PT9_S5_lS7_S5_lPT10_S5_li,"axG",@progbits,_ZL37rocblas_syrkx_herkx_restricted_kernelIlfLi16ELi32ELi8ELi1ELi0ELb0ELc67ELc85EKPKfKPfEviT_PT9_S5_lS7_S5_lPT10_S5_li,comdat
	.globl	_ZL37rocblas_syrkx_herkx_restricted_kernelIlfLi16ELi32ELi8ELi1ELi0ELb0ELc67ELc85EKPKfKPfEviT_PT9_S5_lS7_S5_lPT10_S5_li ; -- Begin function _ZL37rocblas_syrkx_herkx_restricted_kernelIlfLi16ELi32ELi8ELi1ELi0ELb0ELc67ELc85EKPKfKPfEviT_PT9_S5_lS7_S5_lPT10_S5_li
	.p2align	8
	.type	_ZL37rocblas_syrkx_herkx_restricted_kernelIlfLi16ELi32ELi8ELi1ELi0ELb0ELc67ELc85EKPKfKPfEviT_PT9_S5_lS7_S5_lPT10_S5_li,@function
_ZL37rocblas_syrkx_herkx_restricted_kernelIlfLi16ELi32ELi8ELi1ELi0ELb0ELc67ELc85EKPKfKPfEviT_PT9_S5_lS7_S5_lPT10_S5_li: ; @_ZL37rocblas_syrkx_herkx_restricted_kernelIlfLi16ELi32ELi8ELi1ELi0ELb0ELc67ELc85EKPKfKPfEviT_PT9_S5_lS7_S5_lPT10_S5_li
; %bb.0:
	s_clause 0x1
	s_load_b128 s[4:7], s[0:1], 0x40
	s_load_b128 s[8:11], s[0:1], 0x8
	s_mov_b32 s2, s15
	s_mov_b32 s3, 0
	v_dual_mov_b32 v9, 0 :: v_dual_and_b32 v6, 0x3ff, v0
	s_lshl_b64 s[16:17], s[2:3], 3
	v_bfe_u32 v7, v0, 10, 10
	v_dual_mov_b32 v8, 0 :: v_dual_mov_b32 v1, 0
	v_mov_b32_e32 v0, 0
	s_waitcnt lgkmcnt(0)
	s_add_u32 s2, s4, s16
	s_addc_u32 s3, s5, s17
	v_cmp_lt_i64_e64 s4, s[8:9], 1
	s_load_b64 s[2:3], s[2:3], 0x0
	s_lshl_b32 s18, s13, 5
	s_lshl_b32 s19, s14, 5
	s_delay_alu instid0(VALU_DEP_1)
	s_and_b32 vcc_lo, exec_lo, s4
	s_cbranch_vccnz .LBB1404_3
; %bb.1:
	s_clause 0x1
	s_load_b128 s[12:15], s[0:1], 0x28
	s_load_b64 s[4:5], s[0:1], 0x18
	v_lshl_add_u32 v2, v7, 4, v6
	s_add_u32 s10, s10, s16
	s_addc_u32 s11, s11, s17
	v_dual_mov_b32 v1, 0 :: v_dual_and_b32 v0, 7, v6
	s_delay_alu instid0(VALU_DEP_2) | instskip(SKIP_2) | instid1(VALU_DEP_4)
	v_lshrrev_b32_e32 v11, 3, v2
	v_and_b32_e32 v12, 31, v2
	v_lshrrev_b32_e32 v2, 5, v2
	v_mov_b32_e32 v3, v1
	s_load_b64 s[10:11], s[10:11], 0x0
	v_add_nc_u32_e32 v10, s19, v11
	v_add_nc_u32_e32 v8, s18, v12
	v_lshlrev_b32_e32 v12, 2, v12
	s_delay_alu instid0(VALU_DEP_3) | instskip(NEXT) | instid1(VALU_DEP_3)
	v_ashrrev_i32_e32 v4, 31, v10
	v_ashrrev_i32_e32 v5, 31, v8
	s_delay_alu instid0(VALU_DEP_3)
	v_lshl_or_b32 v12, v2, 7, v12
	s_waitcnt lgkmcnt(0)
	s_add_u32 s12, s12, s16
	s_addc_u32 s13, s13, s17
	v_mul_lo_u32 v13, v4, s14
	v_mul_lo_u32 v14, s4, v5
	v_mad_u64_u32 v[4:5], null, s4, v8, v[2:3]
	v_mul_lo_u32 v3, s5, v8
	s_load_b64 s[4:5], s[12:13], 0x0
	v_mul_lo_u32 v15, v10, s15
	v_mad_u64_u32 v[8:9], null, v10, s14, v[0:1]
	v_lshlrev_b32_e32 v0, 2, v0
	v_lshlrev_b32_e32 v10, 2, v6
	v_add3_u32 v5, v3, v5, v14
	s_delay_alu instid0(VALU_DEP_3) | instskip(SKIP_2) | instid1(VALU_DEP_4)
	v_lshl_or_b32 v0, v11, 5, v0
	v_add3_u32 v9, v13, v9, v15
	v_lshl_add_u32 v11, v7, 5, 0x400
	v_lshlrev_b64 v[3:4], 2, v[4:5]
	s_delay_alu instid0(VALU_DEP_4) | instskip(NEXT) | instid1(VALU_DEP_4)
	v_dual_mov_b32 v0, v1 :: v_dual_add_nc_u32 v13, 0x400, v0
	v_lshlrev_b64 v[8:9], 2, v[8:9]
	s_delay_alu instid0(VALU_DEP_3) | instskip(NEXT) | instid1(VALU_DEP_4)
	v_add_co_u32 v2, vcc_lo, s10, v3
	v_add_co_ci_u32_e32 v3, vcc_lo, s11, v4, vcc_lo
	s_waitcnt lgkmcnt(0)
	s_delay_alu instid0(VALU_DEP_3) | instskip(NEXT) | instid1(VALU_DEP_4)
	v_add_co_u32 v4, vcc_lo, s4, v8
	v_add_co_ci_u32_e32 v5, vcc_lo, s5, v9, vcc_lo
	v_mov_b32_e32 v8, v1
	v_mov_b32_e32 v9, v1
	s_mov_b64 s[4:5], 0
.LBB1404_2:                             ; =>This Inner Loop Header: Depth=1
	global_load_b32 v14, v[2:3], off
	global_load_b32 v15, v[4:5], off
	s_add_u32 s4, s4, 8
	v_add_co_u32 v2, vcc_lo, v2, 32
	s_addc_u32 s5, s5, 0
	v_add_co_ci_u32_e32 v3, vcc_lo, 0, v3, vcc_lo
	v_cmp_ge_u64_e64 s10, s[4:5], s[8:9]
	v_add_co_u32 v4, vcc_lo, v4, 32
	v_add_co_ci_u32_e32 v5, vcc_lo, 0, v5, vcc_lo
	s_waitcnt vmcnt(1)
	ds_store_b32 v12, v14
	s_waitcnt vmcnt(0)
	ds_store_b32 v13, v15
	s_waitcnt lgkmcnt(0)
	s_barrier
	buffer_gl0_inv
	ds_load_2addr_b32 v[30:31], v10 offset1:16
	ds_load_b128 v[14:17], v11
	ds_load_b128 v[18:21], v11 offset:512
	ds_load_2addr_b32 v[32:33], v10 offset0:32 offset1:48
	ds_load_2addr_b32 v[34:35], v10 offset0:64 offset1:80
	ds_load_b128 v[22:25], v11 offset:16
	ds_load_2addr_b32 v[36:37], v10 offset0:96 offset1:112
	ds_load_2addr_b32 v[38:39], v10 offset0:128 offset1:144
	;; [unrolled: 3-line block ×3, first 2 shown]
	ds_load_2addr_b32 v[44:45], v10 offset0:224 offset1:240
	s_and_b32 vcc_lo, exec_lo, s10
	s_waitcnt lgkmcnt(0)
	s_barrier
	buffer_gl0_inv
	v_fmac_f32_e32 v8, v31, v14
	v_fmac_f32_e32 v9, v30, v14
	v_fmac_f32_e32 v1, v31, v18
	v_fmac_f32_e32 v0, v30, v18
	s_delay_alu instid0(VALU_DEP_4) | instskip(NEXT) | instid1(VALU_DEP_4)
	v_fmac_f32_e32 v8, v33, v15
	v_fmac_f32_e32 v9, v32, v15
	s_delay_alu instid0(VALU_DEP_4) | instskip(NEXT) | instid1(VALU_DEP_4)
	v_fmac_f32_e32 v1, v33, v19
	v_fmac_f32_e32 v0, v32, v19
	;; [unrolled: 3-line block ×14, first 2 shown]
	s_cbranch_vccz .LBB1404_2
.LBB1404_3:
	v_add_nc_u32_e32 v7, s19, v7
	s_load_b32 s4, s[0:1], 0x0
	s_delay_alu instid0(VALU_DEP_1) | instskip(SKIP_2) | instid1(VALU_DEP_3)
	v_ashrrev_i32_e32 v2, 31, v7
	v_mul_lo_u32 v5, v7, s7
	v_mad_u64_u32 v[3:4], null, v7, s6, 0
	v_mul_lo_u32 v2, v2, s6
	s_delay_alu instid0(VALU_DEP_1) | instskip(SKIP_3) | instid1(VALU_DEP_3)
	v_add3_u32 v4, v4, v5, v2
	v_add_nc_u32_e32 v2, s18, v6
	s_waitcnt lgkmcnt(0)
	v_cmp_gt_i32_e32 vcc_lo, s4, v7
	v_lshlrev_b64 v[3:4], 2, v[3:4]
	s_delay_alu instid0(VALU_DEP_3) | instskip(NEXT) | instid1(VALU_DEP_1)
	v_cmp_le_i32_e64 s0, v2, v7
	s_and_b32 s0, vcc_lo, s0
	s_delay_alu instid0(VALU_DEP_2) | instskip(NEXT) | instid1(VALU_DEP_1)
	v_add_co_u32 v6, s1, s2, v3
	v_add_co_ci_u32_e64 v10, s1, s3, v4, s1
	s_and_saveexec_b32 s1, s0
	s_cbranch_execz .LBB1404_5
; %bb.4:
	v_ashrrev_i32_e32 v3, 31, v2
	s_delay_alu instid0(VALU_DEP_1) | instskip(NEXT) | instid1(VALU_DEP_1)
	v_lshlrev_b64 v[3:4], 2, v[2:3]
	v_add_co_u32 v3, s0, v6, v3
	s_delay_alu instid0(VALU_DEP_1)
	v_add_co_ci_u32_e64 v4, s0, v10, v4, s0
	global_store_b32 v[3:4], v9, off
.LBB1404_5:
	s_or_b32 exec_lo, exec_lo, s1
	v_add_nc_u32_e32 v4, 16, v2
	s_delay_alu instid0(VALU_DEP_1) | instskip(NEXT) | instid1(VALU_DEP_1)
	v_cmp_le_i32_e64 s0, v4, v7
	s_and_b32 s1, vcc_lo, s0
	s_delay_alu instid0(SALU_CYCLE_1)
	s_and_saveexec_b32 s0, s1
	s_cbranch_execz .LBB1404_7
; %bb.6:
	v_ashrrev_i32_e32 v5, 31, v4
	s_delay_alu instid0(VALU_DEP_1) | instskip(NEXT) | instid1(VALU_DEP_1)
	v_lshlrev_b64 v[11:12], 2, v[4:5]
	v_add_co_u32 v5, vcc_lo, v6, v11
	s_delay_alu instid0(VALU_DEP_2)
	v_add_co_ci_u32_e32 v6, vcc_lo, v10, v12, vcc_lo
	global_store_b32 v[5:6], v8, off
.LBB1404_7:
	s_or_b32 exec_lo, exec_lo, s0
	v_add_nc_u32_e32 v5, 16, v7
	s_delay_alu instid0(VALU_DEP_1) | instskip(SKIP_3) | instid1(VALU_DEP_4)
	v_ashrrev_i32_e32 v3, 31, v5
	v_mul_lo_u32 v8, v5, s7
	v_mad_u64_u32 v[6:7], null, v5, s6, 0
	v_cmp_gt_i32_e32 vcc_lo, s4, v5
	v_mul_lo_u32 v3, v3, s6
	v_cmp_le_i32_e64 s0, v2, v5
	s_delay_alu instid0(VALU_DEP_1) | instskip(NEXT) | instid1(VALU_DEP_2)
	s_and_b32 s0, vcc_lo, s0
	v_add3_u32 v7, v7, v8, v3
	s_delay_alu instid0(VALU_DEP_1) | instskip(NEXT) | instid1(VALU_DEP_1)
	v_lshlrev_b64 v[6:7], 2, v[6:7]
	v_add_co_u32 v6, s1, s2, v6
	s_delay_alu instid0(VALU_DEP_1)
	v_add_co_ci_u32_e64 v7, s1, s3, v7, s1
	s_and_saveexec_b32 s1, s0
	s_cbranch_execz .LBB1404_9
; %bb.8:
	v_ashrrev_i32_e32 v3, 31, v2
	s_delay_alu instid0(VALU_DEP_1) | instskip(NEXT) | instid1(VALU_DEP_1)
	v_lshlrev_b64 v[2:3], 2, v[2:3]
	v_add_co_u32 v2, s0, v6, v2
	s_delay_alu instid0(VALU_DEP_1)
	v_add_co_ci_u32_e64 v3, s0, v7, v3, s0
	global_store_b32 v[2:3], v0, off
.LBB1404_9:
	s_or_b32 exec_lo, exec_lo, s1
	v_cmp_le_i32_e64 s0, v4, v5
	s_delay_alu instid0(VALU_DEP_1) | instskip(NEXT) | instid1(SALU_CYCLE_1)
	s_and_b32 s0, vcc_lo, s0
	s_and_saveexec_b32 s1, s0
	s_cbranch_execz .LBB1404_11
; %bb.10:
	v_ashrrev_i32_e32 v5, 31, v4
	s_delay_alu instid0(VALU_DEP_1) | instskip(NEXT) | instid1(VALU_DEP_1)
	v_lshlrev_b64 v[2:3], 2, v[4:5]
	v_add_co_u32 v2, vcc_lo, v6, v2
	s_delay_alu instid0(VALU_DEP_2)
	v_add_co_ci_u32_e32 v3, vcc_lo, v7, v3, vcc_lo
	global_store_b32 v[2:3], v1, off
.LBB1404_11:
	s_nop 0
	s_sendmsg sendmsg(MSG_DEALLOC_VGPRS)
	s_endpgm
	.section	.rodata,"a",@progbits
	.p2align	6, 0x0
	.amdhsa_kernel _ZL37rocblas_syrkx_herkx_restricted_kernelIlfLi16ELi32ELi8ELi1ELi0ELb0ELc67ELc85EKPKfKPfEviT_PT9_S5_lS7_S5_lPT10_S5_li
		.amdhsa_group_segment_fixed_size 2048
		.amdhsa_private_segment_fixed_size 0
		.amdhsa_kernarg_size 92
		.amdhsa_user_sgpr_count 13
		.amdhsa_user_sgpr_dispatch_ptr 0
		.amdhsa_user_sgpr_queue_ptr 0
		.amdhsa_user_sgpr_kernarg_segment_ptr 1
		.amdhsa_user_sgpr_dispatch_id 0
		.amdhsa_user_sgpr_private_segment_size 0
		.amdhsa_wavefront_size32 1
		.amdhsa_uses_dynamic_stack 0
		.amdhsa_enable_private_segment 0
		.amdhsa_system_sgpr_workgroup_id_x 1
		.amdhsa_system_sgpr_workgroup_id_y 1
		.amdhsa_system_sgpr_workgroup_id_z 1
		.amdhsa_system_sgpr_workgroup_info 0
		.amdhsa_system_vgpr_workitem_id 1
		.amdhsa_next_free_vgpr 46
		.amdhsa_next_free_sgpr 20
		.amdhsa_reserve_vcc 1
		.amdhsa_float_round_mode_32 0
		.amdhsa_float_round_mode_16_64 0
		.amdhsa_float_denorm_mode_32 3
		.amdhsa_float_denorm_mode_16_64 3
		.amdhsa_dx10_clamp 1
		.amdhsa_ieee_mode 1
		.amdhsa_fp16_overflow 0
		.amdhsa_workgroup_processor_mode 1
		.amdhsa_memory_ordered 1
		.amdhsa_forward_progress 0
		.amdhsa_shared_vgpr_count 0
		.amdhsa_exception_fp_ieee_invalid_op 0
		.amdhsa_exception_fp_denorm_src 0
		.amdhsa_exception_fp_ieee_div_zero 0
		.amdhsa_exception_fp_ieee_overflow 0
		.amdhsa_exception_fp_ieee_underflow 0
		.amdhsa_exception_fp_ieee_inexact 0
		.amdhsa_exception_int_div_zero 0
	.end_amdhsa_kernel
	.section	.text._ZL37rocblas_syrkx_herkx_restricted_kernelIlfLi16ELi32ELi8ELi1ELi0ELb0ELc67ELc85EKPKfKPfEviT_PT9_S5_lS7_S5_lPT10_S5_li,"axG",@progbits,_ZL37rocblas_syrkx_herkx_restricted_kernelIlfLi16ELi32ELi8ELi1ELi0ELb0ELc67ELc85EKPKfKPfEviT_PT9_S5_lS7_S5_lPT10_S5_li,comdat
.Lfunc_end1404:
	.size	_ZL37rocblas_syrkx_herkx_restricted_kernelIlfLi16ELi32ELi8ELi1ELi0ELb0ELc67ELc85EKPKfKPfEviT_PT9_S5_lS7_S5_lPT10_S5_li, .Lfunc_end1404-_ZL37rocblas_syrkx_herkx_restricted_kernelIlfLi16ELi32ELi8ELi1ELi0ELb0ELc67ELc85EKPKfKPfEviT_PT9_S5_lS7_S5_lPT10_S5_li
                                        ; -- End function
	.section	.AMDGPU.csdata,"",@progbits
; Kernel info:
; codeLenInByte = 1288
; NumSgprs: 22
; NumVgprs: 46
; ScratchSize: 0
; MemoryBound: 0
; FloatMode: 240
; IeeeMode: 1
; LDSByteSize: 2048 bytes/workgroup (compile time only)
; SGPRBlocks: 2
; VGPRBlocks: 5
; NumSGPRsForWavesPerEU: 22
; NumVGPRsForWavesPerEU: 46
; Occupancy: 16
; WaveLimiterHint : 1
; COMPUTE_PGM_RSRC2:SCRATCH_EN: 0
; COMPUTE_PGM_RSRC2:USER_SGPR: 13
; COMPUTE_PGM_RSRC2:TRAP_HANDLER: 0
; COMPUTE_PGM_RSRC2:TGID_X_EN: 1
; COMPUTE_PGM_RSRC2:TGID_Y_EN: 1
; COMPUTE_PGM_RSRC2:TGID_Z_EN: 1
; COMPUTE_PGM_RSRC2:TIDIG_COMP_CNT: 1
	.section	.text._ZL37rocblas_syrkx_herkx_restricted_kernelIlfLi16ELi32ELi8ELi1ELi0ELb0ELc78ELc85EKPKfKPfEviT_PT9_S5_lS7_S5_lPT10_S5_li,"axG",@progbits,_ZL37rocblas_syrkx_herkx_restricted_kernelIlfLi16ELi32ELi8ELi1ELi0ELb0ELc78ELc85EKPKfKPfEviT_PT9_S5_lS7_S5_lPT10_S5_li,comdat
	.globl	_ZL37rocblas_syrkx_herkx_restricted_kernelIlfLi16ELi32ELi8ELi1ELi0ELb0ELc78ELc85EKPKfKPfEviT_PT9_S5_lS7_S5_lPT10_S5_li ; -- Begin function _ZL37rocblas_syrkx_herkx_restricted_kernelIlfLi16ELi32ELi8ELi1ELi0ELb0ELc78ELc85EKPKfKPfEviT_PT9_S5_lS7_S5_lPT10_S5_li
	.p2align	8
	.type	_ZL37rocblas_syrkx_herkx_restricted_kernelIlfLi16ELi32ELi8ELi1ELi0ELb0ELc78ELc85EKPKfKPfEviT_PT9_S5_lS7_S5_lPT10_S5_li,@function
_ZL37rocblas_syrkx_herkx_restricted_kernelIlfLi16ELi32ELi8ELi1ELi0ELb0ELc78ELc85EKPKfKPfEviT_PT9_S5_lS7_S5_lPT10_S5_li: ; @_ZL37rocblas_syrkx_herkx_restricted_kernelIlfLi16ELi32ELi8ELi1ELi0ELb0ELc78ELc85EKPKfKPfEviT_PT9_S5_lS7_S5_lPT10_S5_li
; %bb.0:
	s_clause 0x1
	s_load_b128 s[4:7], s[0:1], 0x40
	s_load_b128 s[8:11], s[0:1], 0x8
	s_mov_b32 s2, s15
	s_mov_b32 s3, 0
	v_dual_mov_b32 v8, 0 :: v_dual_and_b32 v5, 0x3ff, v0
	s_lshl_b64 s[16:17], s[2:3], 3
	v_bfe_u32 v6, v0, 10, 10
	v_dual_mov_b32 v9, 0 :: v_dual_mov_b32 v4, 0
	v_mov_b32_e32 v7, 0
	s_waitcnt lgkmcnt(0)
	s_add_u32 s2, s4, s16
	s_addc_u32 s3, s5, s17
	v_cmp_lt_i64_e64 s4, s[8:9], 1
	s_load_b64 s[2:3], s[2:3], 0x0
	s_lshl_b32 s18, s13, 5
	s_lshl_b32 s19, s14, 5
	s_delay_alu instid0(VALU_DEP_1)
	s_and_b32 vcc_lo, exec_lo, s4
	s_cbranch_vccnz .LBB1405_3
; %bb.1:
	v_lshl_add_u32 v1, v6, 4, v5
	s_clause 0x1
	s_load_b64 s[4:5], s[0:1], 0x18
	s_load_b128 s[12:15], s[0:1], 0x28
	s_add_u32 s10, s10, s16
	s_addc_u32 s11, s11, s17
	v_lshlrev_b32_e32 v10, 2, v5
	v_and_b32_e32 v14, 31, v1
	v_lshrrev_b32_e32 v15, 3, v1
	v_lshrrev_b32_e32 v16, 5, v1
	s_load_b64 s[10:11], s[10:11], 0x0
	v_lshl_add_u32 v11, v6, 5, 0x400
	v_add_nc_u32_e32 v0, s18, v14
	v_add_nc_u32_e32 v2, s19, v15
	s_delay_alu instid0(VALU_DEP_2) | instskip(NEXT) | instid1(VALU_DEP_2)
	v_ashrrev_i32_e32 v1, 31, v0
	v_ashrrev_i32_e32 v3, 31, v2
	s_waitcnt lgkmcnt(0)
	s_delay_alu instid0(VALU_DEP_2) | instskip(SKIP_4) | instid1(VALU_DEP_1)
	v_mad_u64_u32 v[8:9], null, v16, s4, v[0:1]
	v_and_b32_e32 v7, 7, v5
	s_add_u32 s12, s12, s16
	s_addc_u32 s13, s13, s17
	s_load_b64 s[12:13], s[12:13], 0x0
	v_mad_u64_u32 v[0:1], null, v7, s14, v[2:3]
	s_delay_alu instid0(VALU_DEP_3) | instskip(NEXT) | instid1(VALU_DEP_1)
	v_mov_b32_e32 v2, v9
	v_mad_u64_u32 v[3:4], null, v16, s5, v[2:3]
	s_delay_alu instid0(VALU_DEP_3) | instskip(SKIP_3) | instid1(VALU_DEP_4)
	v_mad_u64_u32 v[12:13], null, v7, s15, v[1:2]
	v_dual_mov_b32 v4, 0 :: v_dual_lshlrev_b32 v1, 2, v7
	v_mov_b32_e32 v7, 0
	s_lshl_b64 s[4:5], s[4:5], 5
	v_mov_b32_e32 v9, v3
	v_lshlrev_b32_e32 v13, 2, v14
	v_lshl_or_b32 v14, v15, 5, v1
	v_mov_b32_e32 v1, v12
	s_delay_alu instid0(VALU_DEP_4)
	v_lshlrev_b64 v[2:3], 2, v[8:9]
	v_mov_b32_e32 v8, 0
	v_lshl_or_b32 v12, v16, 7, v13
	v_add_nc_u32_e32 v13, 0x400, v14
	v_lshlrev_b64 v[14:15], 2, v[0:1]
	v_mov_b32_e32 v9, 0
	v_add_co_u32 v0, vcc_lo, s10, v2
	v_add_co_ci_u32_e32 v1, vcc_lo, s11, v3, vcc_lo
	s_waitcnt lgkmcnt(0)
	s_delay_alu instid0(VALU_DEP_4)
	v_add_co_u32 v2, vcc_lo, s12, v14
	v_add_co_ci_u32_e32 v3, vcc_lo, s13, v15, vcc_lo
	s_lshl_b64 s[10:11], s[14:15], 5
	s_mov_b64 s[12:13], 0
.LBB1405_2:                             ; =>This Inner Loop Header: Depth=1
	global_load_b32 v14, v[0:1], off
	global_load_b32 v15, v[2:3], off
	s_add_u32 s12, s12, 8
	v_add_co_u32 v0, vcc_lo, v0, s4
	s_addc_u32 s13, s13, 0
	v_add_co_ci_u32_e32 v1, vcc_lo, s5, v1, vcc_lo
	v_cmp_ge_u64_e64 s14, s[12:13], s[8:9]
	v_add_co_u32 v2, vcc_lo, v2, s10
	v_add_co_ci_u32_e32 v3, vcc_lo, s11, v3, vcc_lo
	s_waitcnt vmcnt(1)
	ds_store_b32 v12, v14
	s_waitcnt vmcnt(0)
	ds_store_b32 v13, v15
	s_waitcnt lgkmcnt(0)
	s_barrier
	buffer_gl0_inv
	ds_load_2addr_b32 v[30:31], v10 offset1:16
	ds_load_b128 v[14:17], v11
	ds_load_b128 v[18:21], v11 offset:512
	ds_load_2addr_b32 v[32:33], v10 offset0:32 offset1:48
	ds_load_2addr_b32 v[34:35], v10 offset0:64 offset1:80
	ds_load_b128 v[22:25], v11 offset:16
	ds_load_2addr_b32 v[36:37], v10 offset0:96 offset1:112
	ds_load_2addr_b32 v[38:39], v10 offset0:128 offset1:144
	;; [unrolled: 3-line block ×3, first 2 shown]
	ds_load_2addr_b32 v[44:45], v10 offset0:224 offset1:240
	s_and_b32 vcc_lo, exec_lo, s14
	s_waitcnt lgkmcnt(0)
	s_barrier
	buffer_gl0_inv
	v_fmac_f32_e32 v8, v31, v14
	v_fmac_f32_e32 v9, v30, v14
	;; [unrolled: 1-line block ×3, first 2 shown]
	s_delay_alu instid0(VALU_DEP_3) | instskip(NEXT) | instid1(VALU_DEP_3)
	v_dual_fmac_f32 v7, v30, v18 :: v_dual_fmac_f32 v8, v33, v15
	v_fmac_f32_e32 v9, v32, v15
	s_delay_alu instid0(VALU_DEP_3) | instskip(NEXT) | instid1(VALU_DEP_3)
	v_fmac_f32_e32 v4, v33, v19
	v_dual_fmac_f32 v7, v32, v19 :: v_dual_fmac_f32 v8, v35, v16
	s_delay_alu instid0(VALU_DEP_3) | instskip(NEXT) | instid1(VALU_DEP_3)
	v_fmac_f32_e32 v9, v34, v16
	v_fmac_f32_e32 v4, v35, v20
	s_delay_alu instid0(VALU_DEP_3) | instskip(NEXT) | instid1(VALU_DEP_3)
	v_dual_fmac_f32 v7, v34, v20 :: v_dual_fmac_f32 v8, v37, v17
	v_fmac_f32_e32 v9, v36, v17
	s_delay_alu instid0(VALU_DEP_3) | instskip(NEXT) | instid1(VALU_DEP_3)
	v_fmac_f32_e32 v4, v37, v21
	v_dual_fmac_f32 v7, v36, v21 :: v_dual_fmac_f32 v8, v39, v22
	s_delay_alu instid0(VALU_DEP_3) | instskip(NEXT) | instid1(VALU_DEP_3)
	v_fmac_f32_e32 v9, v38, v22
	v_fmac_f32_e32 v4, v39, v26
	;; [unrolled: 9-line block ×3, first 2 shown]
	s_delay_alu instid0(VALU_DEP_3) | instskip(NEXT) | instid1(VALU_DEP_3)
	v_dual_fmac_f32 v7, v42, v28 :: v_dual_fmac_f32 v8, v45, v25
	v_fmac_f32_e32 v9, v44, v25
	s_delay_alu instid0(VALU_DEP_3) | instskip(NEXT) | instid1(VALU_DEP_3)
	v_fmac_f32_e32 v4, v45, v29
	v_fmac_f32_e32 v7, v44, v29
	s_cbranch_vccz .LBB1405_2
.LBB1405_3:
	v_add_nc_u32_e32 v6, s19, v6
	s_load_b32 s4, s[0:1], 0x0
	s_delay_alu instid0(VALU_DEP_1) | instskip(SKIP_2) | instid1(VALU_DEP_3)
	v_ashrrev_i32_e32 v0, 31, v6
	v_mul_lo_u32 v3, v6, s7
	v_mad_u64_u32 v[1:2], null, v6, s6, 0
	v_mul_lo_u32 v0, v0, s6
	s_delay_alu instid0(VALU_DEP_1) | instskip(SKIP_3) | instid1(VALU_DEP_3)
	v_add3_u32 v2, v2, v3, v0
	v_add_nc_u32_e32 v0, s18, v5
	s_waitcnt lgkmcnt(0)
	v_cmp_gt_i32_e32 vcc_lo, s4, v6
	v_lshlrev_b64 v[1:2], 2, v[1:2]
	s_delay_alu instid0(VALU_DEP_3) | instskip(NEXT) | instid1(VALU_DEP_1)
	v_cmp_le_i32_e64 s0, v0, v6
	s_and_b32 s0, vcc_lo, s0
	s_delay_alu instid0(VALU_DEP_2) | instskip(NEXT) | instid1(VALU_DEP_1)
	v_add_co_u32 v5, s1, s2, v1
	v_add_co_ci_u32_e64 v10, s1, s3, v2, s1
	s_and_saveexec_b32 s1, s0
	s_cbranch_execz .LBB1405_5
; %bb.4:
	v_ashrrev_i32_e32 v1, 31, v0
	s_delay_alu instid0(VALU_DEP_1) | instskip(NEXT) | instid1(VALU_DEP_1)
	v_lshlrev_b64 v[1:2], 2, v[0:1]
	v_add_co_u32 v1, s0, v5, v1
	s_delay_alu instid0(VALU_DEP_1)
	v_add_co_ci_u32_e64 v2, s0, v10, v2, s0
	global_store_b32 v[1:2], v9, off
.LBB1405_5:
	s_or_b32 exec_lo, exec_lo, s1
	v_add_nc_u32_e32 v2, 16, v0
	s_delay_alu instid0(VALU_DEP_1) | instskip(NEXT) | instid1(VALU_DEP_1)
	v_cmp_le_i32_e64 s0, v2, v6
	s_and_b32 s1, vcc_lo, s0
	s_delay_alu instid0(SALU_CYCLE_1)
	s_and_saveexec_b32 s0, s1
	s_cbranch_execz .LBB1405_7
; %bb.6:
	v_ashrrev_i32_e32 v3, 31, v2
	s_delay_alu instid0(VALU_DEP_1) | instskip(NEXT) | instid1(VALU_DEP_1)
	v_lshlrev_b64 v[11:12], 2, v[2:3]
	v_add_co_u32 v9, vcc_lo, v5, v11
	s_delay_alu instid0(VALU_DEP_2)
	v_add_co_ci_u32_e32 v10, vcc_lo, v10, v12, vcc_lo
	global_store_b32 v[9:10], v8, off
.LBB1405_7:
	s_or_b32 exec_lo, exec_lo, s0
	v_add_nc_u32_e32 v3, 16, v6
	s_delay_alu instid0(VALU_DEP_1) | instskip(SKIP_3) | instid1(VALU_DEP_4)
	v_ashrrev_i32_e32 v1, 31, v3
	v_mul_lo_u32 v8, v3, s7
	v_mad_u64_u32 v[5:6], null, v3, s6, 0
	v_cmp_gt_i32_e32 vcc_lo, s4, v3
	v_mul_lo_u32 v1, v1, s6
	v_cmp_le_i32_e64 s0, v0, v3
	s_delay_alu instid0(VALU_DEP_1) | instskip(NEXT) | instid1(VALU_DEP_2)
	s_and_b32 s0, vcc_lo, s0
	v_add3_u32 v6, v6, v8, v1
	s_delay_alu instid0(VALU_DEP_1) | instskip(NEXT) | instid1(VALU_DEP_1)
	v_lshlrev_b64 v[5:6], 2, v[5:6]
	v_add_co_u32 v5, s1, s2, v5
	s_delay_alu instid0(VALU_DEP_1)
	v_add_co_ci_u32_e64 v6, s1, s3, v6, s1
	s_and_saveexec_b32 s1, s0
	s_cbranch_execz .LBB1405_9
; %bb.8:
	v_ashrrev_i32_e32 v1, 31, v0
	s_delay_alu instid0(VALU_DEP_1) | instskip(NEXT) | instid1(VALU_DEP_1)
	v_lshlrev_b64 v[0:1], 2, v[0:1]
	v_add_co_u32 v0, s0, v5, v0
	s_delay_alu instid0(VALU_DEP_1)
	v_add_co_ci_u32_e64 v1, s0, v6, v1, s0
	global_store_b32 v[0:1], v7, off
.LBB1405_9:
	s_or_b32 exec_lo, exec_lo, s1
	v_cmp_le_i32_e64 s0, v2, v3
	s_delay_alu instid0(VALU_DEP_1) | instskip(NEXT) | instid1(SALU_CYCLE_1)
	s_and_b32 s0, vcc_lo, s0
	s_and_saveexec_b32 s1, s0
	s_cbranch_execz .LBB1405_11
; %bb.10:
	v_ashrrev_i32_e32 v3, 31, v2
	s_delay_alu instid0(VALU_DEP_1) | instskip(NEXT) | instid1(VALU_DEP_1)
	v_lshlrev_b64 v[0:1], 2, v[2:3]
	v_add_co_u32 v0, vcc_lo, v5, v0
	s_delay_alu instid0(VALU_DEP_2)
	v_add_co_ci_u32_e32 v1, vcc_lo, v6, v1, vcc_lo
	global_store_b32 v[0:1], v4, off
.LBB1405_11:
	s_nop 0
	s_sendmsg sendmsg(MSG_DEALLOC_VGPRS)
	s_endpgm
	.section	.rodata,"a",@progbits
	.p2align	6, 0x0
	.amdhsa_kernel _ZL37rocblas_syrkx_herkx_restricted_kernelIlfLi16ELi32ELi8ELi1ELi0ELb0ELc78ELc85EKPKfKPfEviT_PT9_S5_lS7_S5_lPT10_S5_li
		.amdhsa_group_segment_fixed_size 2048
		.amdhsa_private_segment_fixed_size 0
		.amdhsa_kernarg_size 92
		.amdhsa_user_sgpr_count 13
		.amdhsa_user_sgpr_dispatch_ptr 0
		.amdhsa_user_sgpr_queue_ptr 0
		.amdhsa_user_sgpr_kernarg_segment_ptr 1
		.amdhsa_user_sgpr_dispatch_id 0
		.amdhsa_user_sgpr_private_segment_size 0
		.amdhsa_wavefront_size32 1
		.amdhsa_uses_dynamic_stack 0
		.amdhsa_enable_private_segment 0
		.amdhsa_system_sgpr_workgroup_id_x 1
		.amdhsa_system_sgpr_workgroup_id_y 1
		.amdhsa_system_sgpr_workgroup_id_z 1
		.amdhsa_system_sgpr_workgroup_info 0
		.amdhsa_system_vgpr_workitem_id 1
		.amdhsa_next_free_vgpr 46
		.amdhsa_next_free_sgpr 20
		.amdhsa_reserve_vcc 1
		.amdhsa_float_round_mode_32 0
		.amdhsa_float_round_mode_16_64 0
		.amdhsa_float_denorm_mode_32 3
		.amdhsa_float_denorm_mode_16_64 3
		.amdhsa_dx10_clamp 1
		.amdhsa_ieee_mode 1
		.amdhsa_fp16_overflow 0
		.amdhsa_workgroup_processor_mode 1
		.amdhsa_memory_ordered 1
		.amdhsa_forward_progress 0
		.amdhsa_shared_vgpr_count 0
		.amdhsa_exception_fp_ieee_invalid_op 0
		.amdhsa_exception_fp_denorm_src 0
		.amdhsa_exception_fp_ieee_div_zero 0
		.amdhsa_exception_fp_ieee_overflow 0
		.amdhsa_exception_fp_ieee_underflow 0
		.amdhsa_exception_fp_ieee_inexact 0
		.amdhsa_exception_int_div_zero 0
	.end_amdhsa_kernel
	.section	.text._ZL37rocblas_syrkx_herkx_restricted_kernelIlfLi16ELi32ELi8ELi1ELi0ELb0ELc78ELc85EKPKfKPfEviT_PT9_S5_lS7_S5_lPT10_S5_li,"axG",@progbits,_ZL37rocblas_syrkx_herkx_restricted_kernelIlfLi16ELi32ELi8ELi1ELi0ELb0ELc78ELc85EKPKfKPfEviT_PT9_S5_lS7_S5_lPT10_S5_li,comdat
.Lfunc_end1405:
	.size	_ZL37rocblas_syrkx_herkx_restricted_kernelIlfLi16ELi32ELi8ELi1ELi0ELb0ELc78ELc85EKPKfKPfEviT_PT9_S5_lS7_S5_lPT10_S5_li, .Lfunc_end1405-_ZL37rocblas_syrkx_herkx_restricted_kernelIlfLi16ELi32ELi8ELi1ELi0ELb0ELc78ELc85EKPKfKPfEviT_PT9_S5_lS7_S5_lPT10_S5_li
                                        ; -- End function
	.section	.AMDGPU.csdata,"",@progbits
; Kernel info:
; codeLenInByte = 1256
; NumSgprs: 22
; NumVgprs: 46
; ScratchSize: 0
; MemoryBound: 0
; FloatMode: 240
; IeeeMode: 1
; LDSByteSize: 2048 bytes/workgroup (compile time only)
; SGPRBlocks: 2
; VGPRBlocks: 5
; NumSGPRsForWavesPerEU: 22
; NumVGPRsForWavesPerEU: 46
; Occupancy: 16
; WaveLimiterHint : 1
; COMPUTE_PGM_RSRC2:SCRATCH_EN: 0
; COMPUTE_PGM_RSRC2:USER_SGPR: 13
; COMPUTE_PGM_RSRC2:TRAP_HANDLER: 0
; COMPUTE_PGM_RSRC2:TGID_X_EN: 1
; COMPUTE_PGM_RSRC2:TGID_Y_EN: 1
; COMPUTE_PGM_RSRC2:TGID_Z_EN: 1
; COMPUTE_PGM_RSRC2:TIDIG_COMP_CNT: 1
	.section	.text._ZL37rocblas_syrkx_herkx_restricted_kernelIlfLi16ELi32ELi8ELin1ELi0ELb0ELc84ELc76EKPKfKPfEviT_PT9_S5_lS7_S5_lPT10_S5_li,"axG",@progbits,_ZL37rocblas_syrkx_herkx_restricted_kernelIlfLi16ELi32ELi8ELin1ELi0ELb0ELc84ELc76EKPKfKPfEviT_PT9_S5_lS7_S5_lPT10_S5_li,comdat
	.globl	_ZL37rocblas_syrkx_herkx_restricted_kernelIlfLi16ELi32ELi8ELin1ELi0ELb0ELc84ELc76EKPKfKPfEviT_PT9_S5_lS7_S5_lPT10_S5_li ; -- Begin function _ZL37rocblas_syrkx_herkx_restricted_kernelIlfLi16ELi32ELi8ELin1ELi0ELb0ELc84ELc76EKPKfKPfEviT_PT9_S5_lS7_S5_lPT10_S5_li
	.p2align	8
	.type	_ZL37rocblas_syrkx_herkx_restricted_kernelIlfLi16ELi32ELi8ELin1ELi0ELb0ELc84ELc76EKPKfKPfEviT_PT9_S5_lS7_S5_lPT10_S5_li,@function
_ZL37rocblas_syrkx_herkx_restricted_kernelIlfLi16ELi32ELi8ELin1ELi0ELb0ELc84ELc76EKPKfKPfEviT_PT9_S5_lS7_S5_lPT10_S5_li: ; @_ZL37rocblas_syrkx_herkx_restricted_kernelIlfLi16ELi32ELi8ELin1ELi0ELb0ELc84ELc76EKPKfKPfEviT_PT9_S5_lS7_S5_lPT10_S5_li
; %bb.0:
	s_clause 0x1
	s_load_b128 s[4:7], s[0:1], 0x40
	s_load_b128 s[8:11], s[0:1], 0x8
	s_mov_b32 s2, s15
	s_mov_b32 s3, 0
	v_dual_mov_b32 v9, 0 :: v_dual_and_b32 v6, 0x3ff, v0
	s_lshl_b64 s[16:17], s[2:3], 3
	v_bfe_u32 v7, v0, 10, 10
	v_dual_mov_b32 v8, 0 :: v_dual_mov_b32 v1, 0
	v_mov_b32_e32 v0, 0
	s_waitcnt lgkmcnt(0)
	s_add_u32 s2, s4, s16
	s_addc_u32 s3, s5, s17
	v_cmp_lt_i64_e64 s4, s[8:9], 1
	s_load_b64 s[2:3], s[2:3], 0x0
	s_lshl_b32 s18, s13, 5
	s_lshl_b32 s19, s14, 5
	s_delay_alu instid0(VALU_DEP_1)
	s_and_b32 vcc_lo, exec_lo, s4
	s_cbranch_vccnz .LBB1406_3
; %bb.1:
	s_clause 0x1
	s_load_b128 s[12:15], s[0:1], 0x28
	s_load_b64 s[4:5], s[0:1], 0x18
	v_lshl_add_u32 v2, v7, 4, v6
	s_add_u32 s10, s10, s16
	s_addc_u32 s11, s11, s17
	v_dual_mov_b32 v1, 0 :: v_dual_and_b32 v0, 7, v6
	s_delay_alu instid0(VALU_DEP_2) | instskip(SKIP_2) | instid1(VALU_DEP_4)
	v_lshrrev_b32_e32 v11, 3, v2
	v_and_b32_e32 v12, 31, v2
	v_lshrrev_b32_e32 v2, 5, v2
	v_mov_b32_e32 v3, v1
	s_load_b64 s[10:11], s[10:11], 0x0
	v_add_nc_u32_e32 v10, s19, v11
	v_add_nc_u32_e32 v8, s18, v12
	v_lshlrev_b32_e32 v12, 2, v12
	s_delay_alu instid0(VALU_DEP_3) | instskip(NEXT) | instid1(VALU_DEP_3)
	v_ashrrev_i32_e32 v4, 31, v10
	v_ashrrev_i32_e32 v5, 31, v8
	s_delay_alu instid0(VALU_DEP_3)
	v_lshl_or_b32 v12, v2, 7, v12
	s_waitcnt lgkmcnt(0)
	s_add_u32 s12, s12, s16
	s_addc_u32 s13, s13, s17
	v_mul_lo_u32 v13, v4, s14
	v_mul_lo_u32 v14, s4, v5
	v_mad_u64_u32 v[4:5], null, s4, v8, v[2:3]
	v_mul_lo_u32 v3, s5, v8
	s_load_b64 s[4:5], s[12:13], 0x0
	v_mul_lo_u32 v15, v10, s15
	v_mad_u64_u32 v[8:9], null, v10, s14, v[0:1]
	v_lshlrev_b32_e32 v0, 2, v0
	v_lshlrev_b32_e32 v10, 2, v6
	v_add3_u32 v5, v3, v5, v14
	s_delay_alu instid0(VALU_DEP_3) | instskip(SKIP_2) | instid1(VALU_DEP_4)
	v_lshl_or_b32 v0, v11, 5, v0
	v_add3_u32 v9, v13, v9, v15
	v_lshl_add_u32 v11, v7, 5, 0x400
	v_lshlrev_b64 v[3:4], 2, v[4:5]
	s_delay_alu instid0(VALU_DEP_4) | instskip(NEXT) | instid1(VALU_DEP_4)
	v_dual_mov_b32 v0, v1 :: v_dual_add_nc_u32 v13, 0x400, v0
	v_lshlrev_b64 v[8:9], 2, v[8:9]
	s_delay_alu instid0(VALU_DEP_3) | instskip(NEXT) | instid1(VALU_DEP_4)
	v_add_co_u32 v2, vcc_lo, s10, v3
	v_add_co_ci_u32_e32 v3, vcc_lo, s11, v4, vcc_lo
	s_waitcnt lgkmcnt(0)
	s_delay_alu instid0(VALU_DEP_3) | instskip(NEXT) | instid1(VALU_DEP_4)
	v_add_co_u32 v4, vcc_lo, s4, v8
	v_add_co_ci_u32_e32 v5, vcc_lo, s5, v9, vcc_lo
	v_mov_b32_e32 v8, v1
	v_mov_b32_e32 v9, v1
	s_mov_b64 s[4:5], 0
.LBB1406_2:                             ; =>This Inner Loop Header: Depth=1
	global_load_b32 v14, v[2:3], off
	global_load_b32 v15, v[4:5], off
	s_add_u32 s4, s4, 8
	v_add_co_u32 v2, vcc_lo, v2, 32
	s_addc_u32 s5, s5, 0
	v_add_co_ci_u32_e32 v3, vcc_lo, 0, v3, vcc_lo
	v_cmp_ge_u64_e64 s10, s[4:5], s[8:9]
	v_add_co_u32 v4, vcc_lo, v4, 32
	v_add_co_ci_u32_e32 v5, vcc_lo, 0, v5, vcc_lo
	s_waitcnt vmcnt(1)
	ds_store_b32 v12, v14
	s_waitcnt vmcnt(0)
	ds_store_b32 v13, v15
	s_waitcnt lgkmcnt(0)
	s_barrier
	buffer_gl0_inv
	ds_load_2addr_b32 v[30:31], v10 offset1:16
	ds_load_b128 v[14:17], v11
	ds_load_b128 v[18:21], v11 offset:512
	ds_load_2addr_b32 v[32:33], v10 offset0:32 offset1:48
	ds_load_2addr_b32 v[34:35], v10 offset0:64 offset1:80
	ds_load_b128 v[22:25], v11 offset:16
	ds_load_2addr_b32 v[36:37], v10 offset0:96 offset1:112
	ds_load_2addr_b32 v[38:39], v10 offset0:128 offset1:144
	;; [unrolled: 3-line block ×3, first 2 shown]
	ds_load_2addr_b32 v[44:45], v10 offset0:224 offset1:240
	s_and_b32 vcc_lo, exec_lo, s10
	s_waitcnt lgkmcnt(0)
	s_barrier
	buffer_gl0_inv
	v_fmac_f32_e32 v8, v31, v14
	v_fmac_f32_e32 v9, v30, v14
	;; [unrolled: 1-line block ×4, first 2 shown]
	s_delay_alu instid0(VALU_DEP_4) | instskip(NEXT) | instid1(VALU_DEP_4)
	v_fmac_f32_e32 v8, v33, v15
	v_fmac_f32_e32 v9, v32, v15
	s_delay_alu instid0(VALU_DEP_4) | instskip(NEXT) | instid1(VALU_DEP_4)
	v_fmac_f32_e32 v1, v33, v19
	v_fmac_f32_e32 v0, v32, v19
	;; [unrolled: 3-line block ×14, first 2 shown]
	s_cbranch_vccz .LBB1406_2
.LBB1406_3:
	v_add_nc_u32_e32 v7, s19, v7
	s_load_b32 s4, s[0:1], 0x0
	s_delay_alu instid0(VALU_DEP_1) | instskip(SKIP_2) | instid1(VALU_DEP_3)
	v_ashrrev_i32_e32 v2, 31, v7
	v_mul_lo_u32 v5, v7, s7
	v_mad_u64_u32 v[3:4], null, v7, s6, 0
	v_mul_lo_u32 v2, v2, s6
	s_delay_alu instid0(VALU_DEP_1) | instskip(SKIP_1) | instid1(VALU_DEP_2)
	v_add3_u32 v4, v4, v5, v2
	v_add_nc_u32_e32 v2, s18, v6
	v_lshlrev_b64 v[3:4], 2, v[3:4]
	s_delay_alu instid0(VALU_DEP_2) | instskip(SKIP_2) | instid1(VALU_DEP_3)
	v_cmp_le_i32_e64 s0, v7, v2
	s_waitcnt lgkmcnt(0)
	v_cmp_gt_i32_e32 vcc_lo, s4, v2
	v_add_co_u32 v6, s1, s2, v3
	s_delay_alu instid0(VALU_DEP_1) | instskip(SKIP_1) | instid1(SALU_CYCLE_1)
	v_add_co_ci_u32_e64 v10, s1, s3, v4, s1
	s_and_b32 s0, s0, vcc_lo
	s_and_saveexec_b32 s1, s0
	s_cbranch_execz .LBB1406_5
; %bb.4:
	v_ashrrev_i32_e32 v3, 31, v2
	v_xor_b32_e32 v5, 0x80000000, v9
	s_delay_alu instid0(VALU_DEP_2) | instskip(NEXT) | instid1(VALU_DEP_1)
	v_lshlrev_b64 v[3:4], 2, v[2:3]
	v_add_co_u32 v3, s0, v6, v3
	s_delay_alu instid0(VALU_DEP_1)
	v_add_co_ci_u32_e64 v4, s0, v10, v4, s0
	global_store_b32 v[3:4], v5, off
.LBB1406_5:
	s_or_b32 exec_lo, exec_lo, s1
	v_add_nc_u32_e32 v4, 16, v2
	s_delay_alu instid0(VALU_DEP_1) | instskip(SKIP_1) | instid1(VALU_DEP_1)
	v_cmp_le_i32_e64 s1, v7, v4
	v_cmp_gt_i32_e64 s0, s4, v4
	s_and_b32 s1, s1, s0
	s_delay_alu instid0(SALU_CYCLE_1)
	s_and_saveexec_b32 s4, s1
	s_cbranch_execz .LBB1406_7
; %bb.6:
	v_ashrrev_i32_e32 v5, 31, v4
	v_xor_b32_e32 v3, 0x80000000, v8
	s_delay_alu instid0(VALU_DEP_2) | instskip(NEXT) | instid1(VALU_DEP_1)
	v_lshlrev_b64 v[11:12], 2, v[4:5]
	v_add_co_u32 v5, s1, v6, v11
	s_delay_alu instid0(VALU_DEP_1)
	v_add_co_ci_u32_e64 v6, s1, v10, v12, s1
	global_store_b32 v[5:6], v3, off
.LBB1406_7:
	s_or_b32 exec_lo, exec_lo, s4
	v_add_nc_u32_e32 v5, 16, v7
	s_delay_alu instid0(VALU_DEP_1) | instskip(SKIP_3) | instid1(VALU_DEP_4)
	v_ashrrev_i32_e32 v3, 31, v5
	v_mul_lo_u32 v8, v5, s7
	v_mad_u64_u32 v[6:7], null, v5, s6, 0
	v_cmp_le_i32_e64 s1, v5, v2
	v_mul_lo_u32 v3, v3, s6
	s_delay_alu instid0(VALU_DEP_1) | instskip(NEXT) | instid1(VALU_DEP_1)
	v_add3_u32 v7, v7, v8, v3
	v_lshlrev_b64 v[6:7], 2, v[6:7]
	s_delay_alu instid0(VALU_DEP_1) | instskip(NEXT) | instid1(VALU_DEP_1)
	v_add_co_u32 v6, s2, s2, v6
	v_add_co_ci_u32_e64 v7, s2, s3, v7, s2
	s_and_b32 s2, s1, vcc_lo
	s_delay_alu instid0(SALU_CYCLE_1)
	s_and_saveexec_b32 s1, s2
	s_cbranch_execz .LBB1406_9
; %bb.8:
	v_ashrrev_i32_e32 v3, 31, v2
	v_xor_b32_e32 v0, 0x80000000, v0
	s_delay_alu instid0(VALU_DEP_2) | instskip(NEXT) | instid1(VALU_DEP_1)
	v_lshlrev_b64 v[2:3], 2, v[2:3]
	v_add_co_u32 v2, vcc_lo, v6, v2
	s_delay_alu instid0(VALU_DEP_2)
	v_add_co_ci_u32_e32 v3, vcc_lo, v7, v3, vcc_lo
	global_store_b32 v[2:3], v0, off
.LBB1406_9:
	s_or_b32 exec_lo, exec_lo, s1
	v_cmp_le_i32_e32 vcc_lo, v5, v4
	s_and_b32 s0, vcc_lo, s0
	s_delay_alu instid0(SALU_CYCLE_1)
	s_and_saveexec_b32 s1, s0
	s_cbranch_execz .LBB1406_11
; %bb.10:
	v_ashrrev_i32_e32 v5, 31, v4
	s_delay_alu instid0(VALU_DEP_1) | instskip(SKIP_1) | instid1(VALU_DEP_2)
	v_lshlrev_b64 v[2:3], 2, v[4:5]
	v_xor_b32_e32 v4, 0x80000000, v1
	v_add_co_u32 v0, vcc_lo, v6, v2
	s_delay_alu instid0(VALU_DEP_3)
	v_add_co_ci_u32_e32 v1, vcc_lo, v7, v3, vcc_lo
	global_store_b32 v[0:1], v4, off
.LBB1406_11:
	s_nop 0
	s_sendmsg sendmsg(MSG_DEALLOC_VGPRS)
	s_endpgm
	.section	.rodata,"a",@progbits
	.p2align	6, 0x0
	.amdhsa_kernel _ZL37rocblas_syrkx_herkx_restricted_kernelIlfLi16ELi32ELi8ELin1ELi0ELb0ELc84ELc76EKPKfKPfEviT_PT9_S5_lS7_S5_lPT10_S5_li
		.amdhsa_group_segment_fixed_size 2048
		.amdhsa_private_segment_fixed_size 0
		.amdhsa_kernarg_size 92
		.amdhsa_user_sgpr_count 13
		.amdhsa_user_sgpr_dispatch_ptr 0
		.amdhsa_user_sgpr_queue_ptr 0
		.amdhsa_user_sgpr_kernarg_segment_ptr 1
		.amdhsa_user_sgpr_dispatch_id 0
		.amdhsa_user_sgpr_private_segment_size 0
		.amdhsa_wavefront_size32 1
		.amdhsa_uses_dynamic_stack 0
		.amdhsa_enable_private_segment 0
		.amdhsa_system_sgpr_workgroup_id_x 1
		.amdhsa_system_sgpr_workgroup_id_y 1
		.amdhsa_system_sgpr_workgroup_id_z 1
		.amdhsa_system_sgpr_workgroup_info 0
		.amdhsa_system_vgpr_workitem_id 1
		.amdhsa_next_free_vgpr 46
		.amdhsa_next_free_sgpr 20
		.amdhsa_reserve_vcc 1
		.amdhsa_float_round_mode_32 0
		.amdhsa_float_round_mode_16_64 0
		.amdhsa_float_denorm_mode_32 3
		.amdhsa_float_denorm_mode_16_64 3
		.amdhsa_dx10_clamp 1
		.amdhsa_ieee_mode 1
		.amdhsa_fp16_overflow 0
		.amdhsa_workgroup_processor_mode 1
		.amdhsa_memory_ordered 1
		.amdhsa_forward_progress 0
		.amdhsa_shared_vgpr_count 0
		.amdhsa_exception_fp_ieee_invalid_op 0
		.amdhsa_exception_fp_denorm_src 0
		.amdhsa_exception_fp_ieee_div_zero 0
		.amdhsa_exception_fp_ieee_overflow 0
		.amdhsa_exception_fp_ieee_underflow 0
		.amdhsa_exception_fp_ieee_inexact 0
		.amdhsa_exception_int_div_zero 0
	.end_amdhsa_kernel
	.section	.text._ZL37rocblas_syrkx_herkx_restricted_kernelIlfLi16ELi32ELi8ELin1ELi0ELb0ELc84ELc76EKPKfKPfEviT_PT9_S5_lS7_S5_lPT10_S5_li,"axG",@progbits,_ZL37rocblas_syrkx_herkx_restricted_kernelIlfLi16ELi32ELi8ELin1ELi0ELb0ELc84ELc76EKPKfKPfEviT_PT9_S5_lS7_S5_lPT10_S5_li,comdat
.Lfunc_end1406:
	.size	_ZL37rocblas_syrkx_herkx_restricted_kernelIlfLi16ELi32ELi8ELin1ELi0ELb0ELc84ELc76EKPKfKPfEviT_PT9_S5_lS7_S5_lPT10_S5_li, .Lfunc_end1406-_ZL37rocblas_syrkx_herkx_restricted_kernelIlfLi16ELi32ELi8ELin1ELi0ELb0ELc84ELc76EKPKfKPfEviT_PT9_S5_lS7_S5_lPT10_S5_li
                                        ; -- End function
	.section	.AMDGPU.csdata,"",@progbits
; Kernel info:
; codeLenInByte = 1320
; NumSgprs: 22
; NumVgprs: 46
; ScratchSize: 0
; MemoryBound: 0
; FloatMode: 240
; IeeeMode: 1
; LDSByteSize: 2048 bytes/workgroup (compile time only)
; SGPRBlocks: 2
; VGPRBlocks: 5
; NumSGPRsForWavesPerEU: 22
; NumVGPRsForWavesPerEU: 46
; Occupancy: 16
; WaveLimiterHint : 1
; COMPUTE_PGM_RSRC2:SCRATCH_EN: 0
; COMPUTE_PGM_RSRC2:USER_SGPR: 13
; COMPUTE_PGM_RSRC2:TRAP_HANDLER: 0
; COMPUTE_PGM_RSRC2:TGID_X_EN: 1
; COMPUTE_PGM_RSRC2:TGID_Y_EN: 1
; COMPUTE_PGM_RSRC2:TGID_Z_EN: 1
; COMPUTE_PGM_RSRC2:TIDIG_COMP_CNT: 1
	.section	.text._ZL37rocblas_syrkx_herkx_restricted_kernelIlfLi16ELi32ELi8ELin1ELi0ELb0ELc67ELc76EKPKfKPfEviT_PT9_S5_lS7_S5_lPT10_S5_li,"axG",@progbits,_ZL37rocblas_syrkx_herkx_restricted_kernelIlfLi16ELi32ELi8ELin1ELi0ELb0ELc67ELc76EKPKfKPfEviT_PT9_S5_lS7_S5_lPT10_S5_li,comdat
	.globl	_ZL37rocblas_syrkx_herkx_restricted_kernelIlfLi16ELi32ELi8ELin1ELi0ELb0ELc67ELc76EKPKfKPfEviT_PT9_S5_lS7_S5_lPT10_S5_li ; -- Begin function _ZL37rocblas_syrkx_herkx_restricted_kernelIlfLi16ELi32ELi8ELin1ELi0ELb0ELc67ELc76EKPKfKPfEviT_PT9_S5_lS7_S5_lPT10_S5_li
	.p2align	8
	.type	_ZL37rocblas_syrkx_herkx_restricted_kernelIlfLi16ELi32ELi8ELin1ELi0ELb0ELc67ELc76EKPKfKPfEviT_PT9_S5_lS7_S5_lPT10_S5_li,@function
_ZL37rocblas_syrkx_herkx_restricted_kernelIlfLi16ELi32ELi8ELin1ELi0ELb0ELc67ELc76EKPKfKPfEviT_PT9_S5_lS7_S5_lPT10_S5_li: ; @_ZL37rocblas_syrkx_herkx_restricted_kernelIlfLi16ELi32ELi8ELin1ELi0ELb0ELc67ELc76EKPKfKPfEviT_PT9_S5_lS7_S5_lPT10_S5_li
; %bb.0:
	s_clause 0x1
	s_load_b128 s[4:7], s[0:1], 0x40
	s_load_b128 s[8:11], s[0:1], 0x8
	s_mov_b32 s2, s15
	s_mov_b32 s3, 0
	v_dual_mov_b32 v9, 0 :: v_dual_and_b32 v6, 0x3ff, v0
	s_lshl_b64 s[16:17], s[2:3], 3
	v_bfe_u32 v7, v0, 10, 10
	v_dual_mov_b32 v8, 0 :: v_dual_mov_b32 v1, 0
	v_mov_b32_e32 v0, 0
	s_waitcnt lgkmcnt(0)
	s_add_u32 s2, s4, s16
	s_addc_u32 s3, s5, s17
	v_cmp_lt_i64_e64 s4, s[8:9], 1
	s_load_b64 s[2:3], s[2:3], 0x0
	s_lshl_b32 s18, s13, 5
	s_lshl_b32 s19, s14, 5
	s_delay_alu instid0(VALU_DEP_1)
	s_and_b32 vcc_lo, exec_lo, s4
	s_cbranch_vccnz .LBB1407_3
; %bb.1:
	s_clause 0x1
	s_load_b128 s[12:15], s[0:1], 0x28
	s_load_b64 s[4:5], s[0:1], 0x18
	v_lshl_add_u32 v2, v7, 4, v6
	s_add_u32 s10, s10, s16
	s_addc_u32 s11, s11, s17
	v_dual_mov_b32 v1, 0 :: v_dual_and_b32 v0, 7, v6
	s_delay_alu instid0(VALU_DEP_2) | instskip(SKIP_2) | instid1(VALU_DEP_4)
	v_lshrrev_b32_e32 v11, 3, v2
	v_and_b32_e32 v12, 31, v2
	v_lshrrev_b32_e32 v2, 5, v2
	v_mov_b32_e32 v3, v1
	s_load_b64 s[10:11], s[10:11], 0x0
	v_add_nc_u32_e32 v10, s19, v11
	v_add_nc_u32_e32 v8, s18, v12
	v_lshlrev_b32_e32 v12, 2, v12
	s_delay_alu instid0(VALU_DEP_3) | instskip(NEXT) | instid1(VALU_DEP_3)
	v_ashrrev_i32_e32 v4, 31, v10
	v_ashrrev_i32_e32 v5, 31, v8
	s_delay_alu instid0(VALU_DEP_3)
	v_lshl_or_b32 v12, v2, 7, v12
	s_waitcnt lgkmcnt(0)
	s_add_u32 s12, s12, s16
	s_addc_u32 s13, s13, s17
	v_mul_lo_u32 v13, v4, s14
	v_mul_lo_u32 v14, s4, v5
	v_mad_u64_u32 v[4:5], null, s4, v8, v[2:3]
	v_mul_lo_u32 v3, s5, v8
	s_load_b64 s[4:5], s[12:13], 0x0
	v_mul_lo_u32 v15, v10, s15
	v_mad_u64_u32 v[8:9], null, v10, s14, v[0:1]
	v_lshlrev_b32_e32 v0, 2, v0
	v_lshlrev_b32_e32 v10, 2, v6
	v_add3_u32 v5, v3, v5, v14
	s_delay_alu instid0(VALU_DEP_3) | instskip(SKIP_2) | instid1(VALU_DEP_4)
	v_lshl_or_b32 v0, v11, 5, v0
	v_add3_u32 v9, v13, v9, v15
	v_lshl_add_u32 v11, v7, 5, 0x400
	v_lshlrev_b64 v[3:4], 2, v[4:5]
	s_delay_alu instid0(VALU_DEP_4) | instskip(NEXT) | instid1(VALU_DEP_4)
	v_dual_mov_b32 v0, v1 :: v_dual_add_nc_u32 v13, 0x400, v0
	v_lshlrev_b64 v[8:9], 2, v[8:9]
	s_delay_alu instid0(VALU_DEP_3) | instskip(NEXT) | instid1(VALU_DEP_4)
	v_add_co_u32 v2, vcc_lo, s10, v3
	v_add_co_ci_u32_e32 v3, vcc_lo, s11, v4, vcc_lo
	s_waitcnt lgkmcnt(0)
	s_delay_alu instid0(VALU_DEP_3) | instskip(NEXT) | instid1(VALU_DEP_4)
	v_add_co_u32 v4, vcc_lo, s4, v8
	v_add_co_ci_u32_e32 v5, vcc_lo, s5, v9, vcc_lo
	v_mov_b32_e32 v8, v1
	v_mov_b32_e32 v9, v1
	s_mov_b64 s[4:5], 0
.LBB1407_2:                             ; =>This Inner Loop Header: Depth=1
	global_load_b32 v14, v[2:3], off
	global_load_b32 v15, v[4:5], off
	s_add_u32 s4, s4, 8
	v_add_co_u32 v2, vcc_lo, v2, 32
	s_addc_u32 s5, s5, 0
	v_add_co_ci_u32_e32 v3, vcc_lo, 0, v3, vcc_lo
	v_cmp_ge_u64_e64 s10, s[4:5], s[8:9]
	v_add_co_u32 v4, vcc_lo, v4, 32
	v_add_co_ci_u32_e32 v5, vcc_lo, 0, v5, vcc_lo
	s_waitcnt vmcnt(1)
	ds_store_b32 v12, v14
	s_waitcnt vmcnt(0)
	ds_store_b32 v13, v15
	s_waitcnt lgkmcnt(0)
	s_barrier
	buffer_gl0_inv
	ds_load_2addr_b32 v[30:31], v10 offset1:16
	ds_load_b128 v[14:17], v11
	ds_load_b128 v[18:21], v11 offset:512
	ds_load_2addr_b32 v[32:33], v10 offset0:32 offset1:48
	ds_load_2addr_b32 v[34:35], v10 offset0:64 offset1:80
	ds_load_b128 v[22:25], v11 offset:16
	ds_load_2addr_b32 v[36:37], v10 offset0:96 offset1:112
	ds_load_2addr_b32 v[38:39], v10 offset0:128 offset1:144
	;; [unrolled: 3-line block ×3, first 2 shown]
	ds_load_2addr_b32 v[44:45], v10 offset0:224 offset1:240
	s_and_b32 vcc_lo, exec_lo, s10
	s_waitcnt lgkmcnt(0)
	s_barrier
	buffer_gl0_inv
	v_fmac_f32_e32 v8, v31, v14
	v_fmac_f32_e32 v9, v30, v14
	;; [unrolled: 1-line block ×4, first 2 shown]
	s_delay_alu instid0(VALU_DEP_4) | instskip(NEXT) | instid1(VALU_DEP_4)
	v_fmac_f32_e32 v8, v33, v15
	v_fmac_f32_e32 v9, v32, v15
	s_delay_alu instid0(VALU_DEP_4) | instskip(NEXT) | instid1(VALU_DEP_4)
	v_fmac_f32_e32 v1, v33, v19
	v_fmac_f32_e32 v0, v32, v19
	;; [unrolled: 3-line block ×14, first 2 shown]
	s_cbranch_vccz .LBB1407_2
.LBB1407_3:
	v_add_nc_u32_e32 v7, s19, v7
	s_load_b32 s4, s[0:1], 0x0
	s_delay_alu instid0(VALU_DEP_1) | instskip(SKIP_2) | instid1(VALU_DEP_3)
	v_ashrrev_i32_e32 v2, 31, v7
	v_mul_lo_u32 v5, v7, s7
	v_mad_u64_u32 v[3:4], null, v7, s6, 0
	v_mul_lo_u32 v2, v2, s6
	s_delay_alu instid0(VALU_DEP_1) | instskip(SKIP_1) | instid1(VALU_DEP_2)
	v_add3_u32 v4, v4, v5, v2
	v_add_nc_u32_e32 v2, s18, v6
	v_lshlrev_b64 v[3:4], 2, v[3:4]
	s_delay_alu instid0(VALU_DEP_2) | instskip(SKIP_2) | instid1(VALU_DEP_3)
	v_cmp_le_i32_e64 s0, v7, v2
	s_waitcnt lgkmcnt(0)
	v_cmp_gt_i32_e32 vcc_lo, s4, v2
	v_add_co_u32 v6, s1, s2, v3
	s_delay_alu instid0(VALU_DEP_1) | instskip(SKIP_1) | instid1(SALU_CYCLE_1)
	v_add_co_ci_u32_e64 v10, s1, s3, v4, s1
	s_and_b32 s0, s0, vcc_lo
	s_and_saveexec_b32 s1, s0
	s_cbranch_execz .LBB1407_5
; %bb.4:
	v_ashrrev_i32_e32 v3, 31, v2
	v_xor_b32_e32 v5, 0x80000000, v9
	s_delay_alu instid0(VALU_DEP_2) | instskip(NEXT) | instid1(VALU_DEP_1)
	v_lshlrev_b64 v[3:4], 2, v[2:3]
	v_add_co_u32 v3, s0, v6, v3
	s_delay_alu instid0(VALU_DEP_1)
	v_add_co_ci_u32_e64 v4, s0, v10, v4, s0
	global_store_b32 v[3:4], v5, off
.LBB1407_5:
	s_or_b32 exec_lo, exec_lo, s1
	v_add_nc_u32_e32 v4, 16, v2
	s_delay_alu instid0(VALU_DEP_1) | instskip(SKIP_1) | instid1(VALU_DEP_1)
	v_cmp_le_i32_e64 s1, v7, v4
	v_cmp_gt_i32_e64 s0, s4, v4
	s_and_b32 s1, s1, s0
	s_delay_alu instid0(SALU_CYCLE_1)
	s_and_saveexec_b32 s4, s1
	s_cbranch_execz .LBB1407_7
; %bb.6:
	v_ashrrev_i32_e32 v5, 31, v4
	v_xor_b32_e32 v3, 0x80000000, v8
	s_delay_alu instid0(VALU_DEP_2) | instskip(NEXT) | instid1(VALU_DEP_1)
	v_lshlrev_b64 v[11:12], 2, v[4:5]
	v_add_co_u32 v5, s1, v6, v11
	s_delay_alu instid0(VALU_DEP_1)
	v_add_co_ci_u32_e64 v6, s1, v10, v12, s1
	global_store_b32 v[5:6], v3, off
.LBB1407_7:
	s_or_b32 exec_lo, exec_lo, s4
	v_add_nc_u32_e32 v5, 16, v7
	s_delay_alu instid0(VALU_DEP_1) | instskip(SKIP_3) | instid1(VALU_DEP_4)
	v_ashrrev_i32_e32 v3, 31, v5
	v_mul_lo_u32 v8, v5, s7
	v_mad_u64_u32 v[6:7], null, v5, s6, 0
	v_cmp_le_i32_e64 s1, v5, v2
	v_mul_lo_u32 v3, v3, s6
	s_delay_alu instid0(VALU_DEP_1) | instskip(NEXT) | instid1(VALU_DEP_1)
	v_add3_u32 v7, v7, v8, v3
	v_lshlrev_b64 v[6:7], 2, v[6:7]
	s_delay_alu instid0(VALU_DEP_1) | instskip(NEXT) | instid1(VALU_DEP_1)
	v_add_co_u32 v6, s2, s2, v6
	v_add_co_ci_u32_e64 v7, s2, s3, v7, s2
	s_and_b32 s2, s1, vcc_lo
	s_delay_alu instid0(SALU_CYCLE_1)
	s_and_saveexec_b32 s1, s2
	s_cbranch_execz .LBB1407_9
; %bb.8:
	v_ashrrev_i32_e32 v3, 31, v2
	v_xor_b32_e32 v0, 0x80000000, v0
	s_delay_alu instid0(VALU_DEP_2) | instskip(NEXT) | instid1(VALU_DEP_1)
	v_lshlrev_b64 v[2:3], 2, v[2:3]
	v_add_co_u32 v2, vcc_lo, v6, v2
	s_delay_alu instid0(VALU_DEP_2)
	v_add_co_ci_u32_e32 v3, vcc_lo, v7, v3, vcc_lo
	global_store_b32 v[2:3], v0, off
.LBB1407_9:
	s_or_b32 exec_lo, exec_lo, s1
	v_cmp_le_i32_e32 vcc_lo, v5, v4
	s_and_b32 s0, vcc_lo, s0
	s_delay_alu instid0(SALU_CYCLE_1)
	s_and_saveexec_b32 s1, s0
	s_cbranch_execz .LBB1407_11
; %bb.10:
	v_ashrrev_i32_e32 v5, 31, v4
	s_delay_alu instid0(VALU_DEP_1) | instskip(SKIP_1) | instid1(VALU_DEP_2)
	v_lshlrev_b64 v[2:3], 2, v[4:5]
	v_xor_b32_e32 v4, 0x80000000, v1
	v_add_co_u32 v0, vcc_lo, v6, v2
	s_delay_alu instid0(VALU_DEP_3)
	v_add_co_ci_u32_e32 v1, vcc_lo, v7, v3, vcc_lo
	global_store_b32 v[0:1], v4, off
.LBB1407_11:
	s_nop 0
	s_sendmsg sendmsg(MSG_DEALLOC_VGPRS)
	s_endpgm
	.section	.rodata,"a",@progbits
	.p2align	6, 0x0
	.amdhsa_kernel _ZL37rocblas_syrkx_herkx_restricted_kernelIlfLi16ELi32ELi8ELin1ELi0ELb0ELc67ELc76EKPKfKPfEviT_PT9_S5_lS7_S5_lPT10_S5_li
		.amdhsa_group_segment_fixed_size 2048
		.amdhsa_private_segment_fixed_size 0
		.amdhsa_kernarg_size 92
		.amdhsa_user_sgpr_count 13
		.amdhsa_user_sgpr_dispatch_ptr 0
		.amdhsa_user_sgpr_queue_ptr 0
		.amdhsa_user_sgpr_kernarg_segment_ptr 1
		.amdhsa_user_sgpr_dispatch_id 0
		.amdhsa_user_sgpr_private_segment_size 0
		.amdhsa_wavefront_size32 1
		.amdhsa_uses_dynamic_stack 0
		.amdhsa_enable_private_segment 0
		.amdhsa_system_sgpr_workgroup_id_x 1
		.amdhsa_system_sgpr_workgroup_id_y 1
		.amdhsa_system_sgpr_workgroup_id_z 1
		.amdhsa_system_sgpr_workgroup_info 0
		.amdhsa_system_vgpr_workitem_id 1
		.amdhsa_next_free_vgpr 46
		.amdhsa_next_free_sgpr 20
		.amdhsa_reserve_vcc 1
		.amdhsa_float_round_mode_32 0
		.amdhsa_float_round_mode_16_64 0
		.amdhsa_float_denorm_mode_32 3
		.amdhsa_float_denorm_mode_16_64 3
		.amdhsa_dx10_clamp 1
		.amdhsa_ieee_mode 1
		.amdhsa_fp16_overflow 0
		.amdhsa_workgroup_processor_mode 1
		.amdhsa_memory_ordered 1
		.amdhsa_forward_progress 0
		.amdhsa_shared_vgpr_count 0
		.amdhsa_exception_fp_ieee_invalid_op 0
		.amdhsa_exception_fp_denorm_src 0
		.amdhsa_exception_fp_ieee_div_zero 0
		.amdhsa_exception_fp_ieee_overflow 0
		.amdhsa_exception_fp_ieee_underflow 0
		.amdhsa_exception_fp_ieee_inexact 0
		.amdhsa_exception_int_div_zero 0
	.end_amdhsa_kernel
	.section	.text._ZL37rocblas_syrkx_herkx_restricted_kernelIlfLi16ELi32ELi8ELin1ELi0ELb0ELc67ELc76EKPKfKPfEviT_PT9_S5_lS7_S5_lPT10_S5_li,"axG",@progbits,_ZL37rocblas_syrkx_herkx_restricted_kernelIlfLi16ELi32ELi8ELin1ELi0ELb0ELc67ELc76EKPKfKPfEviT_PT9_S5_lS7_S5_lPT10_S5_li,comdat
.Lfunc_end1407:
	.size	_ZL37rocblas_syrkx_herkx_restricted_kernelIlfLi16ELi32ELi8ELin1ELi0ELb0ELc67ELc76EKPKfKPfEviT_PT9_S5_lS7_S5_lPT10_S5_li, .Lfunc_end1407-_ZL37rocblas_syrkx_herkx_restricted_kernelIlfLi16ELi32ELi8ELin1ELi0ELb0ELc67ELc76EKPKfKPfEviT_PT9_S5_lS7_S5_lPT10_S5_li
                                        ; -- End function
	.section	.AMDGPU.csdata,"",@progbits
; Kernel info:
; codeLenInByte = 1320
; NumSgprs: 22
; NumVgprs: 46
; ScratchSize: 0
; MemoryBound: 0
; FloatMode: 240
; IeeeMode: 1
; LDSByteSize: 2048 bytes/workgroup (compile time only)
; SGPRBlocks: 2
; VGPRBlocks: 5
; NumSGPRsForWavesPerEU: 22
; NumVGPRsForWavesPerEU: 46
; Occupancy: 16
; WaveLimiterHint : 1
; COMPUTE_PGM_RSRC2:SCRATCH_EN: 0
; COMPUTE_PGM_RSRC2:USER_SGPR: 13
; COMPUTE_PGM_RSRC2:TRAP_HANDLER: 0
; COMPUTE_PGM_RSRC2:TGID_X_EN: 1
; COMPUTE_PGM_RSRC2:TGID_Y_EN: 1
; COMPUTE_PGM_RSRC2:TGID_Z_EN: 1
; COMPUTE_PGM_RSRC2:TIDIG_COMP_CNT: 1
	.section	.text._ZL37rocblas_syrkx_herkx_restricted_kernelIlfLi16ELi32ELi8ELin1ELi0ELb0ELc78ELc76EKPKfKPfEviT_PT9_S5_lS7_S5_lPT10_S5_li,"axG",@progbits,_ZL37rocblas_syrkx_herkx_restricted_kernelIlfLi16ELi32ELi8ELin1ELi0ELb0ELc78ELc76EKPKfKPfEviT_PT9_S5_lS7_S5_lPT10_S5_li,comdat
	.globl	_ZL37rocblas_syrkx_herkx_restricted_kernelIlfLi16ELi32ELi8ELin1ELi0ELb0ELc78ELc76EKPKfKPfEviT_PT9_S5_lS7_S5_lPT10_S5_li ; -- Begin function _ZL37rocblas_syrkx_herkx_restricted_kernelIlfLi16ELi32ELi8ELin1ELi0ELb0ELc78ELc76EKPKfKPfEviT_PT9_S5_lS7_S5_lPT10_S5_li
	.p2align	8
	.type	_ZL37rocblas_syrkx_herkx_restricted_kernelIlfLi16ELi32ELi8ELin1ELi0ELb0ELc78ELc76EKPKfKPfEviT_PT9_S5_lS7_S5_lPT10_S5_li,@function
_ZL37rocblas_syrkx_herkx_restricted_kernelIlfLi16ELi32ELi8ELin1ELi0ELb0ELc78ELc76EKPKfKPfEviT_PT9_S5_lS7_S5_lPT10_S5_li: ; @_ZL37rocblas_syrkx_herkx_restricted_kernelIlfLi16ELi32ELi8ELin1ELi0ELb0ELc78ELc76EKPKfKPfEviT_PT9_S5_lS7_S5_lPT10_S5_li
; %bb.0:
	s_clause 0x1
	s_load_b128 s[4:7], s[0:1], 0x40
	s_load_b128 s[8:11], s[0:1], 0x8
	s_mov_b32 s2, s15
	s_mov_b32 s3, 0
	v_dual_mov_b32 v8, 0 :: v_dual_and_b32 v5, 0x3ff, v0
	s_lshl_b64 s[16:17], s[2:3], 3
	v_bfe_u32 v6, v0, 10, 10
	v_dual_mov_b32 v9, 0 :: v_dual_mov_b32 v4, 0
	v_mov_b32_e32 v7, 0
	s_waitcnt lgkmcnt(0)
	s_add_u32 s2, s4, s16
	s_addc_u32 s3, s5, s17
	v_cmp_lt_i64_e64 s4, s[8:9], 1
	s_load_b64 s[2:3], s[2:3], 0x0
	s_lshl_b32 s18, s13, 5
	s_lshl_b32 s19, s14, 5
	s_delay_alu instid0(VALU_DEP_1)
	s_and_b32 vcc_lo, exec_lo, s4
	s_cbranch_vccnz .LBB1408_3
; %bb.1:
	v_lshl_add_u32 v1, v6, 4, v5
	s_clause 0x1
	s_load_b64 s[4:5], s[0:1], 0x18
	s_load_b128 s[12:15], s[0:1], 0x28
	s_add_u32 s10, s10, s16
	s_addc_u32 s11, s11, s17
	v_lshlrev_b32_e32 v10, 2, v5
	v_and_b32_e32 v14, 31, v1
	v_lshrrev_b32_e32 v15, 3, v1
	v_lshrrev_b32_e32 v16, 5, v1
	s_load_b64 s[10:11], s[10:11], 0x0
	v_lshl_add_u32 v11, v6, 5, 0x400
	v_add_nc_u32_e32 v0, s18, v14
	v_add_nc_u32_e32 v2, s19, v15
	s_delay_alu instid0(VALU_DEP_2) | instskip(NEXT) | instid1(VALU_DEP_2)
	v_ashrrev_i32_e32 v1, 31, v0
	v_ashrrev_i32_e32 v3, 31, v2
	s_waitcnt lgkmcnt(0)
	s_delay_alu instid0(VALU_DEP_2) | instskip(SKIP_4) | instid1(VALU_DEP_1)
	v_mad_u64_u32 v[8:9], null, v16, s4, v[0:1]
	v_and_b32_e32 v7, 7, v5
	s_add_u32 s12, s12, s16
	s_addc_u32 s13, s13, s17
	s_load_b64 s[12:13], s[12:13], 0x0
	v_mad_u64_u32 v[0:1], null, v7, s14, v[2:3]
	s_delay_alu instid0(VALU_DEP_3) | instskip(NEXT) | instid1(VALU_DEP_1)
	v_mov_b32_e32 v2, v9
	v_mad_u64_u32 v[3:4], null, v16, s5, v[2:3]
	s_delay_alu instid0(VALU_DEP_3) | instskip(SKIP_3) | instid1(VALU_DEP_4)
	v_mad_u64_u32 v[12:13], null, v7, s15, v[1:2]
	v_dual_mov_b32 v4, 0 :: v_dual_lshlrev_b32 v1, 2, v7
	v_mov_b32_e32 v7, 0
	s_lshl_b64 s[4:5], s[4:5], 5
	v_mov_b32_e32 v9, v3
	v_lshlrev_b32_e32 v13, 2, v14
	v_lshl_or_b32 v14, v15, 5, v1
	v_mov_b32_e32 v1, v12
	s_delay_alu instid0(VALU_DEP_4)
	v_lshlrev_b64 v[2:3], 2, v[8:9]
	v_mov_b32_e32 v8, 0
	v_lshl_or_b32 v12, v16, 7, v13
	v_add_nc_u32_e32 v13, 0x400, v14
	v_lshlrev_b64 v[14:15], 2, v[0:1]
	v_mov_b32_e32 v9, 0
	v_add_co_u32 v0, vcc_lo, s10, v2
	v_add_co_ci_u32_e32 v1, vcc_lo, s11, v3, vcc_lo
	s_waitcnt lgkmcnt(0)
	s_delay_alu instid0(VALU_DEP_4)
	v_add_co_u32 v2, vcc_lo, s12, v14
	v_add_co_ci_u32_e32 v3, vcc_lo, s13, v15, vcc_lo
	s_lshl_b64 s[10:11], s[14:15], 5
	s_mov_b64 s[12:13], 0
.LBB1408_2:                             ; =>This Inner Loop Header: Depth=1
	global_load_b32 v14, v[0:1], off
	global_load_b32 v15, v[2:3], off
	s_add_u32 s12, s12, 8
	v_add_co_u32 v0, vcc_lo, v0, s4
	s_addc_u32 s13, s13, 0
	v_add_co_ci_u32_e32 v1, vcc_lo, s5, v1, vcc_lo
	v_cmp_ge_u64_e64 s14, s[12:13], s[8:9]
	v_add_co_u32 v2, vcc_lo, v2, s10
	v_add_co_ci_u32_e32 v3, vcc_lo, s11, v3, vcc_lo
	s_waitcnt vmcnt(1)
	ds_store_b32 v12, v14
	s_waitcnt vmcnt(0)
	ds_store_b32 v13, v15
	s_waitcnt lgkmcnt(0)
	s_barrier
	buffer_gl0_inv
	ds_load_2addr_b32 v[30:31], v10 offset1:16
	ds_load_b128 v[14:17], v11
	ds_load_b128 v[18:21], v11 offset:512
	ds_load_2addr_b32 v[32:33], v10 offset0:32 offset1:48
	ds_load_2addr_b32 v[34:35], v10 offset0:64 offset1:80
	ds_load_b128 v[22:25], v11 offset:16
	ds_load_2addr_b32 v[36:37], v10 offset0:96 offset1:112
	ds_load_2addr_b32 v[38:39], v10 offset0:128 offset1:144
	;; [unrolled: 3-line block ×3, first 2 shown]
	ds_load_2addr_b32 v[44:45], v10 offset0:224 offset1:240
	s_and_b32 vcc_lo, exec_lo, s14
	s_waitcnt lgkmcnt(0)
	s_barrier
	buffer_gl0_inv
	v_fmac_f32_e32 v8, v31, v14
	v_fmac_f32_e32 v9, v30, v14
	;; [unrolled: 1-line block ×3, first 2 shown]
	s_delay_alu instid0(VALU_DEP_3) | instskip(NEXT) | instid1(VALU_DEP_3)
	v_dual_fmac_f32 v7, v30, v18 :: v_dual_fmac_f32 v8, v33, v15
	v_fmac_f32_e32 v9, v32, v15
	s_delay_alu instid0(VALU_DEP_3) | instskip(NEXT) | instid1(VALU_DEP_3)
	v_fmac_f32_e32 v4, v33, v19
	v_dual_fmac_f32 v7, v32, v19 :: v_dual_fmac_f32 v8, v35, v16
	s_delay_alu instid0(VALU_DEP_3) | instskip(NEXT) | instid1(VALU_DEP_3)
	v_fmac_f32_e32 v9, v34, v16
	v_fmac_f32_e32 v4, v35, v20
	s_delay_alu instid0(VALU_DEP_3) | instskip(NEXT) | instid1(VALU_DEP_3)
	v_dual_fmac_f32 v7, v34, v20 :: v_dual_fmac_f32 v8, v37, v17
	v_fmac_f32_e32 v9, v36, v17
	s_delay_alu instid0(VALU_DEP_3) | instskip(NEXT) | instid1(VALU_DEP_3)
	v_fmac_f32_e32 v4, v37, v21
	v_dual_fmac_f32 v7, v36, v21 :: v_dual_fmac_f32 v8, v39, v22
	s_delay_alu instid0(VALU_DEP_3) | instskip(NEXT) | instid1(VALU_DEP_3)
	v_fmac_f32_e32 v9, v38, v22
	v_fmac_f32_e32 v4, v39, v26
	;; [unrolled: 9-line block ×3, first 2 shown]
	s_delay_alu instid0(VALU_DEP_3) | instskip(NEXT) | instid1(VALU_DEP_3)
	v_dual_fmac_f32 v7, v42, v28 :: v_dual_fmac_f32 v8, v45, v25
	v_fmac_f32_e32 v9, v44, v25
	s_delay_alu instid0(VALU_DEP_3) | instskip(NEXT) | instid1(VALU_DEP_3)
	v_fmac_f32_e32 v4, v45, v29
	v_fmac_f32_e32 v7, v44, v29
	s_cbranch_vccz .LBB1408_2
.LBB1408_3:
	v_add_nc_u32_e32 v6, s19, v6
	s_load_b32 s4, s[0:1], 0x0
	s_delay_alu instid0(VALU_DEP_1) | instskip(SKIP_2) | instid1(VALU_DEP_3)
	v_ashrrev_i32_e32 v0, 31, v6
	v_mul_lo_u32 v3, v6, s7
	v_mad_u64_u32 v[1:2], null, v6, s6, 0
	v_mul_lo_u32 v0, v0, s6
	s_delay_alu instid0(VALU_DEP_1) | instskip(SKIP_1) | instid1(VALU_DEP_2)
	v_add3_u32 v2, v2, v3, v0
	v_add_nc_u32_e32 v0, s18, v5
	v_lshlrev_b64 v[1:2], 2, v[1:2]
	s_delay_alu instid0(VALU_DEP_2) | instskip(SKIP_2) | instid1(VALU_DEP_3)
	v_cmp_le_i32_e64 s0, v6, v0
	s_waitcnt lgkmcnt(0)
	v_cmp_gt_i32_e32 vcc_lo, s4, v0
	v_add_co_u32 v5, s1, s2, v1
	s_delay_alu instid0(VALU_DEP_1) | instskip(SKIP_1) | instid1(SALU_CYCLE_1)
	v_add_co_ci_u32_e64 v10, s1, s3, v2, s1
	s_and_b32 s0, s0, vcc_lo
	s_and_saveexec_b32 s1, s0
	s_cbranch_execz .LBB1408_5
; %bb.4:
	v_ashrrev_i32_e32 v1, 31, v0
	v_xor_b32_e32 v3, 0x80000000, v9
	s_delay_alu instid0(VALU_DEP_2) | instskip(NEXT) | instid1(VALU_DEP_1)
	v_lshlrev_b64 v[1:2], 2, v[0:1]
	v_add_co_u32 v1, s0, v5, v1
	s_delay_alu instid0(VALU_DEP_1)
	v_add_co_ci_u32_e64 v2, s0, v10, v2, s0
	global_store_b32 v[1:2], v3, off
.LBB1408_5:
	s_or_b32 exec_lo, exec_lo, s1
	v_add_nc_u32_e32 v2, 16, v0
	s_delay_alu instid0(VALU_DEP_1) | instskip(SKIP_1) | instid1(VALU_DEP_1)
	v_cmp_le_i32_e64 s1, v6, v2
	v_cmp_gt_i32_e64 s0, s4, v2
	s_and_b32 s1, s1, s0
	s_delay_alu instid0(SALU_CYCLE_1)
	s_and_saveexec_b32 s4, s1
	s_cbranch_execz .LBB1408_7
; %bb.6:
	v_ashrrev_i32_e32 v3, 31, v2
	v_xor_b32_e32 v1, 0x80000000, v8
	s_delay_alu instid0(VALU_DEP_2) | instskip(NEXT) | instid1(VALU_DEP_1)
	v_lshlrev_b64 v[11:12], 2, v[2:3]
	v_add_co_u32 v8, s1, v5, v11
	s_delay_alu instid0(VALU_DEP_1)
	v_add_co_ci_u32_e64 v9, s1, v10, v12, s1
	global_store_b32 v[8:9], v1, off
.LBB1408_7:
	s_or_b32 exec_lo, exec_lo, s4
	v_add_nc_u32_e32 v3, 16, v6
	s_delay_alu instid0(VALU_DEP_1) | instskip(SKIP_3) | instid1(VALU_DEP_4)
	v_ashrrev_i32_e32 v1, 31, v3
	v_mul_lo_u32 v8, v3, s7
	v_mad_u64_u32 v[5:6], null, v3, s6, 0
	v_cmp_le_i32_e64 s1, v3, v0
	v_mul_lo_u32 v1, v1, s6
	s_delay_alu instid0(VALU_DEP_1) | instskip(NEXT) | instid1(VALU_DEP_1)
	v_add3_u32 v6, v6, v8, v1
	v_lshlrev_b64 v[5:6], 2, v[5:6]
	s_delay_alu instid0(VALU_DEP_1) | instskip(NEXT) | instid1(VALU_DEP_1)
	v_add_co_u32 v5, s2, s2, v5
	v_add_co_ci_u32_e64 v6, s2, s3, v6, s2
	s_and_b32 s2, s1, vcc_lo
	s_delay_alu instid0(SALU_CYCLE_1)
	s_and_saveexec_b32 s1, s2
	s_cbranch_execz .LBB1408_9
; %bb.8:
	v_ashrrev_i32_e32 v1, 31, v0
	v_xor_b32_e32 v7, 0x80000000, v7
	s_delay_alu instid0(VALU_DEP_2) | instskip(NEXT) | instid1(VALU_DEP_1)
	v_lshlrev_b64 v[0:1], 2, v[0:1]
	v_add_co_u32 v0, vcc_lo, v5, v0
	s_delay_alu instid0(VALU_DEP_2)
	v_add_co_ci_u32_e32 v1, vcc_lo, v6, v1, vcc_lo
	global_store_b32 v[0:1], v7, off
.LBB1408_9:
	s_or_b32 exec_lo, exec_lo, s1
	v_cmp_le_i32_e32 vcc_lo, v3, v2
	s_and_b32 s0, vcc_lo, s0
	s_delay_alu instid0(SALU_CYCLE_1)
	s_and_saveexec_b32 s1, s0
	s_cbranch_execz .LBB1408_11
; %bb.10:
	v_ashrrev_i32_e32 v3, 31, v2
	s_delay_alu instid0(VALU_DEP_1) | instskip(SKIP_1) | instid1(VALU_DEP_2)
	v_lshlrev_b64 v[0:1], 2, v[2:3]
	v_xor_b32_e32 v2, 0x80000000, v4
	v_add_co_u32 v0, vcc_lo, v5, v0
	s_delay_alu instid0(VALU_DEP_3)
	v_add_co_ci_u32_e32 v1, vcc_lo, v6, v1, vcc_lo
	global_store_b32 v[0:1], v2, off
.LBB1408_11:
	s_nop 0
	s_sendmsg sendmsg(MSG_DEALLOC_VGPRS)
	s_endpgm
	.section	.rodata,"a",@progbits
	.p2align	6, 0x0
	.amdhsa_kernel _ZL37rocblas_syrkx_herkx_restricted_kernelIlfLi16ELi32ELi8ELin1ELi0ELb0ELc78ELc76EKPKfKPfEviT_PT9_S5_lS7_S5_lPT10_S5_li
		.amdhsa_group_segment_fixed_size 2048
		.amdhsa_private_segment_fixed_size 0
		.amdhsa_kernarg_size 92
		.amdhsa_user_sgpr_count 13
		.amdhsa_user_sgpr_dispatch_ptr 0
		.amdhsa_user_sgpr_queue_ptr 0
		.amdhsa_user_sgpr_kernarg_segment_ptr 1
		.amdhsa_user_sgpr_dispatch_id 0
		.amdhsa_user_sgpr_private_segment_size 0
		.amdhsa_wavefront_size32 1
		.amdhsa_uses_dynamic_stack 0
		.amdhsa_enable_private_segment 0
		.amdhsa_system_sgpr_workgroup_id_x 1
		.amdhsa_system_sgpr_workgroup_id_y 1
		.amdhsa_system_sgpr_workgroup_id_z 1
		.amdhsa_system_sgpr_workgroup_info 0
		.amdhsa_system_vgpr_workitem_id 1
		.amdhsa_next_free_vgpr 46
		.amdhsa_next_free_sgpr 20
		.amdhsa_reserve_vcc 1
		.amdhsa_float_round_mode_32 0
		.amdhsa_float_round_mode_16_64 0
		.amdhsa_float_denorm_mode_32 3
		.amdhsa_float_denorm_mode_16_64 3
		.amdhsa_dx10_clamp 1
		.amdhsa_ieee_mode 1
		.amdhsa_fp16_overflow 0
		.amdhsa_workgroup_processor_mode 1
		.amdhsa_memory_ordered 1
		.amdhsa_forward_progress 0
		.amdhsa_shared_vgpr_count 0
		.amdhsa_exception_fp_ieee_invalid_op 0
		.amdhsa_exception_fp_denorm_src 0
		.amdhsa_exception_fp_ieee_div_zero 0
		.amdhsa_exception_fp_ieee_overflow 0
		.amdhsa_exception_fp_ieee_underflow 0
		.amdhsa_exception_fp_ieee_inexact 0
		.amdhsa_exception_int_div_zero 0
	.end_amdhsa_kernel
	.section	.text._ZL37rocblas_syrkx_herkx_restricted_kernelIlfLi16ELi32ELi8ELin1ELi0ELb0ELc78ELc76EKPKfKPfEviT_PT9_S5_lS7_S5_lPT10_S5_li,"axG",@progbits,_ZL37rocblas_syrkx_herkx_restricted_kernelIlfLi16ELi32ELi8ELin1ELi0ELb0ELc78ELc76EKPKfKPfEviT_PT9_S5_lS7_S5_lPT10_S5_li,comdat
.Lfunc_end1408:
	.size	_ZL37rocblas_syrkx_herkx_restricted_kernelIlfLi16ELi32ELi8ELin1ELi0ELb0ELc78ELc76EKPKfKPfEviT_PT9_S5_lS7_S5_lPT10_S5_li, .Lfunc_end1408-_ZL37rocblas_syrkx_herkx_restricted_kernelIlfLi16ELi32ELi8ELin1ELi0ELb0ELc78ELc76EKPKfKPfEviT_PT9_S5_lS7_S5_lPT10_S5_li
                                        ; -- End function
	.section	.AMDGPU.csdata,"",@progbits
; Kernel info:
; codeLenInByte = 1288
; NumSgprs: 22
; NumVgprs: 46
; ScratchSize: 0
; MemoryBound: 0
; FloatMode: 240
; IeeeMode: 1
; LDSByteSize: 2048 bytes/workgroup (compile time only)
; SGPRBlocks: 2
; VGPRBlocks: 5
; NumSGPRsForWavesPerEU: 22
; NumVGPRsForWavesPerEU: 46
; Occupancy: 16
; WaveLimiterHint : 1
; COMPUTE_PGM_RSRC2:SCRATCH_EN: 0
; COMPUTE_PGM_RSRC2:USER_SGPR: 13
; COMPUTE_PGM_RSRC2:TRAP_HANDLER: 0
; COMPUTE_PGM_RSRC2:TGID_X_EN: 1
; COMPUTE_PGM_RSRC2:TGID_Y_EN: 1
; COMPUTE_PGM_RSRC2:TGID_Z_EN: 1
; COMPUTE_PGM_RSRC2:TIDIG_COMP_CNT: 1
	.section	.text._ZL37rocblas_syrkx_herkx_restricted_kernelIlfLi16ELi32ELi8ELin1ELi0ELb0ELc84ELc85EKPKfKPfEviT_PT9_S5_lS7_S5_lPT10_S5_li,"axG",@progbits,_ZL37rocblas_syrkx_herkx_restricted_kernelIlfLi16ELi32ELi8ELin1ELi0ELb0ELc84ELc85EKPKfKPfEviT_PT9_S5_lS7_S5_lPT10_S5_li,comdat
	.globl	_ZL37rocblas_syrkx_herkx_restricted_kernelIlfLi16ELi32ELi8ELin1ELi0ELb0ELc84ELc85EKPKfKPfEviT_PT9_S5_lS7_S5_lPT10_S5_li ; -- Begin function _ZL37rocblas_syrkx_herkx_restricted_kernelIlfLi16ELi32ELi8ELin1ELi0ELb0ELc84ELc85EKPKfKPfEviT_PT9_S5_lS7_S5_lPT10_S5_li
	.p2align	8
	.type	_ZL37rocblas_syrkx_herkx_restricted_kernelIlfLi16ELi32ELi8ELin1ELi0ELb0ELc84ELc85EKPKfKPfEviT_PT9_S5_lS7_S5_lPT10_S5_li,@function
_ZL37rocblas_syrkx_herkx_restricted_kernelIlfLi16ELi32ELi8ELin1ELi0ELb0ELc84ELc85EKPKfKPfEviT_PT9_S5_lS7_S5_lPT10_S5_li: ; @_ZL37rocblas_syrkx_herkx_restricted_kernelIlfLi16ELi32ELi8ELin1ELi0ELb0ELc84ELc85EKPKfKPfEviT_PT9_S5_lS7_S5_lPT10_S5_li
; %bb.0:
	s_clause 0x1
	s_load_b128 s[4:7], s[0:1], 0x40
	s_load_b128 s[8:11], s[0:1], 0x8
	s_mov_b32 s2, s15
	s_mov_b32 s3, 0
	v_dual_mov_b32 v9, 0 :: v_dual_and_b32 v6, 0x3ff, v0
	s_lshl_b64 s[16:17], s[2:3], 3
	v_bfe_u32 v7, v0, 10, 10
	v_dual_mov_b32 v8, 0 :: v_dual_mov_b32 v1, 0
	v_mov_b32_e32 v0, 0
	s_waitcnt lgkmcnt(0)
	s_add_u32 s2, s4, s16
	s_addc_u32 s3, s5, s17
	v_cmp_lt_i64_e64 s4, s[8:9], 1
	s_load_b64 s[2:3], s[2:3], 0x0
	s_lshl_b32 s18, s13, 5
	s_lshl_b32 s19, s14, 5
	s_delay_alu instid0(VALU_DEP_1)
	s_and_b32 vcc_lo, exec_lo, s4
	s_cbranch_vccnz .LBB1409_3
; %bb.1:
	s_clause 0x1
	s_load_b128 s[12:15], s[0:1], 0x28
	s_load_b64 s[4:5], s[0:1], 0x18
	v_lshl_add_u32 v2, v7, 4, v6
	s_add_u32 s10, s10, s16
	s_addc_u32 s11, s11, s17
	v_dual_mov_b32 v1, 0 :: v_dual_and_b32 v0, 7, v6
	s_delay_alu instid0(VALU_DEP_2) | instskip(SKIP_2) | instid1(VALU_DEP_4)
	v_lshrrev_b32_e32 v11, 3, v2
	v_and_b32_e32 v12, 31, v2
	v_lshrrev_b32_e32 v2, 5, v2
	v_mov_b32_e32 v3, v1
	s_load_b64 s[10:11], s[10:11], 0x0
	v_add_nc_u32_e32 v10, s19, v11
	v_add_nc_u32_e32 v8, s18, v12
	v_lshlrev_b32_e32 v12, 2, v12
	s_delay_alu instid0(VALU_DEP_3) | instskip(NEXT) | instid1(VALU_DEP_3)
	v_ashrrev_i32_e32 v4, 31, v10
	v_ashrrev_i32_e32 v5, 31, v8
	s_delay_alu instid0(VALU_DEP_3)
	v_lshl_or_b32 v12, v2, 7, v12
	s_waitcnt lgkmcnt(0)
	s_add_u32 s12, s12, s16
	s_addc_u32 s13, s13, s17
	v_mul_lo_u32 v13, v4, s14
	v_mul_lo_u32 v14, s4, v5
	v_mad_u64_u32 v[4:5], null, s4, v8, v[2:3]
	v_mul_lo_u32 v3, s5, v8
	s_load_b64 s[4:5], s[12:13], 0x0
	v_mul_lo_u32 v15, v10, s15
	v_mad_u64_u32 v[8:9], null, v10, s14, v[0:1]
	v_lshlrev_b32_e32 v0, 2, v0
	v_lshlrev_b32_e32 v10, 2, v6
	v_add3_u32 v5, v3, v5, v14
	s_delay_alu instid0(VALU_DEP_3) | instskip(SKIP_2) | instid1(VALU_DEP_4)
	v_lshl_or_b32 v0, v11, 5, v0
	v_add3_u32 v9, v13, v9, v15
	v_lshl_add_u32 v11, v7, 5, 0x400
	v_lshlrev_b64 v[3:4], 2, v[4:5]
	s_delay_alu instid0(VALU_DEP_4) | instskip(NEXT) | instid1(VALU_DEP_4)
	v_dual_mov_b32 v0, v1 :: v_dual_add_nc_u32 v13, 0x400, v0
	v_lshlrev_b64 v[8:9], 2, v[8:9]
	s_delay_alu instid0(VALU_DEP_3) | instskip(NEXT) | instid1(VALU_DEP_4)
	v_add_co_u32 v2, vcc_lo, s10, v3
	v_add_co_ci_u32_e32 v3, vcc_lo, s11, v4, vcc_lo
	s_waitcnt lgkmcnt(0)
	s_delay_alu instid0(VALU_DEP_3) | instskip(NEXT) | instid1(VALU_DEP_4)
	v_add_co_u32 v4, vcc_lo, s4, v8
	v_add_co_ci_u32_e32 v5, vcc_lo, s5, v9, vcc_lo
	v_mov_b32_e32 v8, v1
	v_mov_b32_e32 v9, v1
	s_mov_b64 s[4:5], 0
.LBB1409_2:                             ; =>This Inner Loop Header: Depth=1
	global_load_b32 v14, v[2:3], off
	global_load_b32 v15, v[4:5], off
	s_add_u32 s4, s4, 8
	v_add_co_u32 v2, vcc_lo, v2, 32
	s_addc_u32 s5, s5, 0
	v_add_co_ci_u32_e32 v3, vcc_lo, 0, v3, vcc_lo
	v_cmp_ge_u64_e64 s10, s[4:5], s[8:9]
	v_add_co_u32 v4, vcc_lo, v4, 32
	v_add_co_ci_u32_e32 v5, vcc_lo, 0, v5, vcc_lo
	s_waitcnt vmcnt(1)
	ds_store_b32 v12, v14
	s_waitcnt vmcnt(0)
	ds_store_b32 v13, v15
	s_waitcnt lgkmcnt(0)
	s_barrier
	buffer_gl0_inv
	ds_load_2addr_b32 v[30:31], v10 offset1:16
	ds_load_b128 v[14:17], v11
	ds_load_b128 v[18:21], v11 offset:512
	ds_load_2addr_b32 v[32:33], v10 offset0:32 offset1:48
	ds_load_2addr_b32 v[34:35], v10 offset0:64 offset1:80
	ds_load_b128 v[22:25], v11 offset:16
	ds_load_2addr_b32 v[36:37], v10 offset0:96 offset1:112
	ds_load_2addr_b32 v[38:39], v10 offset0:128 offset1:144
	;; [unrolled: 3-line block ×3, first 2 shown]
	ds_load_2addr_b32 v[44:45], v10 offset0:224 offset1:240
	s_and_b32 vcc_lo, exec_lo, s10
	s_waitcnt lgkmcnt(0)
	s_barrier
	buffer_gl0_inv
	v_fmac_f32_e32 v8, v31, v14
	v_fmac_f32_e32 v9, v30, v14
	;; [unrolled: 1-line block ×4, first 2 shown]
	s_delay_alu instid0(VALU_DEP_4) | instskip(NEXT) | instid1(VALU_DEP_4)
	v_fmac_f32_e32 v8, v33, v15
	v_fmac_f32_e32 v9, v32, v15
	s_delay_alu instid0(VALU_DEP_4) | instskip(NEXT) | instid1(VALU_DEP_4)
	v_fmac_f32_e32 v1, v33, v19
	v_fmac_f32_e32 v0, v32, v19
	;; [unrolled: 3-line block ×14, first 2 shown]
	s_cbranch_vccz .LBB1409_2
.LBB1409_3:
	v_add_nc_u32_e32 v7, s19, v7
	s_load_b32 s4, s[0:1], 0x0
	s_delay_alu instid0(VALU_DEP_1) | instskip(SKIP_2) | instid1(VALU_DEP_3)
	v_ashrrev_i32_e32 v2, 31, v7
	v_mul_lo_u32 v5, v7, s7
	v_mad_u64_u32 v[3:4], null, v7, s6, 0
	v_mul_lo_u32 v2, v2, s6
	s_delay_alu instid0(VALU_DEP_1) | instskip(SKIP_3) | instid1(VALU_DEP_3)
	v_add3_u32 v4, v4, v5, v2
	v_add_nc_u32_e32 v2, s18, v6
	s_waitcnt lgkmcnt(0)
	v_cmp_gt_i32_e32 vcc_lo, s4, v7
	v_lshlrev_b64 v[3:4], 2, v[3:4]
	s_delay_alu instid0(VALU_DEP_3) | instskip(NEXT) | instid1(VALU_DEP_1)
	v_cmp_le_i32_e64 s0, v2, v7
	s_and_b32 s0, vcc_lo, s0
	s_delay_alu instid0(VALU_DEP_2) | instskip(NEXT) | instid1(VALU_DEP_1)
	v_add_co_u32 v6, s1, s2, v3
	v_add_co_ci_u32_e64 v10, s1, s3, v4, s1
	s_and_saveexec_b32 s1, s0
	s_cbranch_execz .LBB1409_5
; %bb.4:
	v_ashrrev_i32_e32 v3, 31, v2
	v_xor_b32_e32 v5, 0x80000000, v9
	s_delay_alu instid0(VALU_DEP_2) | instskip(NEXT) | instid1(VALU_DEP_1)
	v_lshlrev_b64 v[3:4], 2, v[2:3]
	v_add_co_u32 v3, s0, v6, v3
	s_delay_alu instid0(VALU_DEP_1)
	v_add_co_ci_u32_e64 v4, s0, v10, v4, s0
	global_store_b32 v[3:4], v5, off
.LBB1409_5:
	s_or_b32 exec_lo, exec_lo, s1
	v_add_nc_u32_e32 v4, 16, v2
	s_delay_alu instid0(VALU_DEP_1) | instskip(NEXT) | instid1(VALU_DEP_1)
	v_cmp_le_i32_e64 s0, v4, v7
	s_and_b32 s1, vcc_lo, s0
	s_delay_alu instid0(SALU_CYCLE_1)
	s_and_saveexec_b32 s0, s1
	s_cbranch_execz .LBB1409_7
; %bb.6:
	v_ashrrev_i32_e32 v5, 31, v4
	v_xor_b32_e32 v3, 0x80000000, v8
	s_delay_alu instid0(VALU_DEP_2) | instskip(NEXT) | instid1(VALU_DEP_1)
	v_lshlrev_b64 v[11:12], 2, v[4:5]
	v_add_co_u32 v5, vcc_lo, v6, v11
	s_delay_alu instid0(VALU_DEP_2)
	v_add_co_ci_u32_e32 v6, vcc_lo, v10, v12, vcc_lo
	global_store_b32 v[5:6], v3, off
.LBB1409_7:
	s_or_b32 exec_lo, exec_lo, s0
	v_add_nc_u32_e32 v5, 16, v7
	s_delay_alu instid0(VALU_DEP_1) | instskip(SKIP_3) | instid1(VALU_DEP_4)
	v_ashrrev_i32_e32 v3, 31, v5
	v_mul_lo_u32 v8, v5, s7
	v_mad_u64_u32 v[6:7], null, v5, s6, 0
	v_cmp_gt_i32_e32 vcc_lo, s4, v5
	v_mul_lo_u32 v3, v3, s6
	v_cmp_le_i32_e64 s0, v2, v5
	s_delay_alu instid0(VALU_DEP_1) | instskip(NEXT) | instid1(VALU_DEP_2)
	s_and_b32 s0, vcc_lo, s0
	v_add3_u32 v7, v7, v8, v3
	s_delay_alu instid0(VALU_DEP_1) | instskip(NEXT) | instid1(VALU_DEP_1)
	v_lshlrev_b64 v[6:7], 2, v[6:7]
	v_add_co_u32 v6, s1, s2, v6
	s_delay_alu instid0(VALU_DEP_1)
	v_add_co_ci_u32_e64 v7, s1, s3, v7, s1
	s_and_saveexec_b32 s1, s0
	s_cbranch_execz .LBB1409_9
; %bb.8:
	v_ashrrev_i32_e32 v3, 31, v2
	v_xor_b32_e32 v0, 0x80000000, v0
	s_delay_alu instid0(VALU_DEP_2) | instskip(NEXT) | instid1(VALU_DEP_1)
	v_lshlrev_b64 v[2:3], 2, v[2:3]
	v_add_co_u32 v2, s0, v6, v2
	s_delay_alu instid0(VALU_DEP_1)
	v_add_co_ci_u32_e64 v3, s0, v7, v3, s0
	global_store_b32 v[2:3], v0, off
.LBB1409_9:
	s_or_b32 exec_lo, exec_lo, s1
	v_cmp_le_i32_e64 s0, v4, v5
	s_delay_alu instid0(VALU_DEP_1) | instskip(NEXT) | instid1(SALU_CYCLE_1)
	s_and_b32 s0, vcc_lo, s0
	s_and_saveexec_b32 s1, s0
	s_cbranch_execz .LBB1409_11
; %bb.10:
	v_ashrrev_i32_e32 v5, 31, v4
	s_delay_alu instid0(VALU_DEP_1) | instskip(SKIP_1) | instid1(VALU_DEP_2)
	v_lshlrev_b64 v[2:3], 2, v[4:5]
	v_xor_b32_e32 v4, 0x80000000, v1
	v_add_co_u32 v0, vcc_lo, v6, v2
	s_delay_alu instid0(VALU_DEP_3)
	v_add_co_ci_u32_e32 v1, vcc_lo, v7, v3, vcc_lo
	global_store_b32 v[0:1], v4, off
.LBB1409_11:
	s_nop 0
	s_sendmsg sendmsg(MSG_DEALLOC_VGPRS)
	s_endpgm
	.section	.rodata,"a",@progbits
	.p2align	6, 0x0
	.amdhsa_kernel _ZL37rocblas_syrkx_herkx_restricted_kernelIlfLi16ELi32ELi8ELin1ELi0ELb0ELc84ELc85EKPKfKPfEviT_PT9_S5_lS7_S5_lPT10_S5_li
		.amdhsa_group_segment_fixed_size 2048
		.amdhsa_private_segment_fixed_size 0
		.amdhsa_kernarg_size 92
		.amdhsa_user_sgpr_count 13
		.amdhsa_user_sgpr_dispatch_ptr 0
		.amdhsa_user_sgpr_queue_ptr 0
		.amdhsa_user_sgpr_kernarg_segment_ptr 1
		.amdhsa_user_sgpr_dispatch_id 0
		.amdhsa_user_sgpr_private_segment_size 0
		.amdhsa_wavefront_size32 1
		.amdhsa_uses_dynamic_stack 0
		.amdhsa_enable_private_segment 0
		.amdhsa_system_sgpr_workgroup_id_x 1
		.amdhsa_system_sgpr_workgroup_id_y 1
		.amdhsa_system_sgpr_workgroup_id_z 1
		.amdhsa_system_sgpr_workgroup_info 0
		.amdhsa_system_vgpr_workitem_id 1
		.amdhsa_next_free_vgpr 46
		.amdhsa_next_free_sgpr 20
		.amdhsa_reserve_vcc 1
		.amdhsa_float_round_mode_32 0
		.amdhsa_float_round_mode_16_64 0
		.amdhsa_float_denorm_mode_32 3
		.amdhsa_float_denorm_mode_16_64 3
		.amdhsa_dx10_clamp 1
		.amdhsa_ieee_mode 1
		.amdhsa_fp16_overflow 0
		.amdhsa_workgroup_processor_mode 1
		.amdhsa_memory_ordered 1
		.amdhsa_forward_progress 0
		.amdhsa_shared_vgpr_count 0
		.amdhsa_exception_fp_ieee_invalid_op 0
		.amdhsa_exception_fp_denorm_src 0
		.amdhsa_exception_fp_ieee_div_zero 0
		.amdhsa_exception_fp_ieee_overflow 0
		.amdhsa_exception_fp_ieee_underflow 0
		.amdhsa_exception_fp_ieee_inexact 0
		.amdhsa_exception_int_div_zero 0
	.end_amdhsa_kernel
	.section	.text._ZL37rocblas_syrkx_herkx_restricted_kernelIlfLi16ELi32ELi8ELin1ELi0ELb0ELc84ELc85EKPKfKPfEviT_PT9_S5_lS7_S5_lPT10_S5_li,"axG",@progbits,_ZL37rocblas_syrkx_herkx_restricted_kernelIlfLi16ELi32ELi8ELin1ELi0ELb0ELc84ELc85EKPKfKPfEviT_PT9_S5_lS7_S5_lPT10_S5_li,comdat
.Lfunc_end1409:
	.size	_ZL37rocblas_syrkx_herkx_restricted_kernelIlfLi16ELi32ELi8ELin1ELi0ELb0ELc84ELc85EKPKfKPfEviT_PT9_S5_lS7_S5_lPT10_S5_li, .Lfunc_end1409-_ZL37rocblas_syrkx_herkx_restricted_kernelIlfLi16ELi32ELi8ELin1ELi0ELb0ELc84ELc85EKPKfKPfEviT_PT9_S5_lS7_S5_lPT10_S5_li
                                        ; -- End function
	.section	.AMDGPU.csdata,"",@progbits
; Kernel info:
; codeLenInByte = 1320
; NumSgprs: 22
; NumVgprs: 46
; ScratchSize: 0
; MemoryBound: 0
; FloatMode: 240
; IeeeMode: 1
; LDSByteSize: 2048 bytes/workgroup (compile time only)
; SGPRBlocks: 2
; VGPRBlocks: 5
; NumSGPRsForWavesPerEU: 22
; NumVGPRsForWavesPerEU: 46
; Occupancy: 16
; WaveLimiterHint : 1
; COMPUTE_PGM_RSRC2:SCRATCH_EN: 0
; COMPUTE_PGM_RSRC2:USER_SGPR: 13
; COMPUTE_PGM_RSRC2:TRAP_HANDLER: 0
; COMPUTE_PGM_RSRC2:TGID_X_EN: 1
; COMPUTE_PGM_RSRC2:TGID_Y_EN: 1
; COMPUTE_PGM_RSRC2:TGID_Z_EN: 1
; COMPUTE_PGM_RSRC2:TIDIG_COMP_CNT: 1
	.section	.text._ZL37rocblas_syrkx_herkx_restricted_kernelIlfLi16ELi32ELi8ELin1ELi0ELb0ELc67ELc85EKPKfKPfEviT_PT9_S5_lS7_S5_lPT10_S5_li,"axG",@progbits,_ZL37rocblas_syrkx_herkx_restricted_kernelIlfLi16ELi32ELi8ELin1ELi0ELb0ELc67ELc85EKPKfKPfEviT_PT9_S5_lS7_S5_lPT10_S5_li,comdat
	.globl	_ZL37rocblas_syrkx_herkx_restricted_kernelIlfLi16ELi32ELi8ELin1ELi0ELb0ELc67ELc85EKPKfKPfEviT_PT9_S5_lS7_S5_lPT10_S5_li ; -- Begin function _ZL37rocblas_syrkx_herkx_restricted_kernelIlfLi16ELi32ELi8ELin1ELi0ELb0ELc67ELc85EKPKfKPfEviT_PT9_S5_lS7_S5_lPT10_S5_li
	.p2align	8
	.type	_ZL37rocblas_syrkx_herkx_restricted_kernelIlfLi16ELi32ELi8ELin1ELi0ELb0ELc67ELc85EKPKfKPfEviT_PT9_S5_lS7_S5_lPT10_S5_li,@function
_ZL37rocblas_syrkx_herkx_restricted_kernelIlfLi16ELi32ELi8ELin1ELi0ELb0ELc67ELc85EKPKfKPfEviT_PT9_S5_lS7_S5_lPT10_S5_li: ; @_ZL37rocblas_syrkx_herkx_restricted_kernelIlfLi16ELi32ELi8ELin1ELi0ELb0ELc67ELc85EKPKfKPfEviT_PT9_S5_lS7_S5_lPT10_S5_li
; %bb.0:
	s_clause 0x1
	s_load_b128 s[4:7], s[0:1], 0x40
	s_load_b128 s[8:11], s[0:1], 0x8
	s_mov_b32 s2, s15
	s_mov_b32 s3, 0
	v_dual_mov_b32 v9, 0 :: v_dual_and_b32 v6, 0x3ff, v0
	s_lshl_b64 s[16:17], s[2:3], 3
	v_bfe_u32 v7, v0, 10, 10
	v_dual_mov_b32 v8, 0 :: v_dual_mov_b32 v1, 0
	v_mov_b32_e32 v0, 0
	s_waitcnt lgkmcnt(0)
	s_add_u32 s2, s4, s16
	s_addc_u32 s3, s5, s17
	v_cmp_lt_i64_e64 s4, s[8:9], 1
	s_load_b64 s[2:3], s[2:3], 0x0
	s_lshl_b32 s18, s13, 5
	s_lshl_b32 s19, s14, 5
	s_delay_alu instid0(VALU_DEP_1)
	s_and_b32 vcc_lo, exec_lo, s4
	s_cbranch_vccnz .LBB1410_3
; %bb.1:
	s_clause 0x1
	s_load_b128 s[12:15], s[0:1], 0x28
	s_load_b64 s[4:5], s[0:1], 0x18
	v_lshl_add_u32 v2, v7, 4, v6
	s_add_u32 s10, s10, s16
	s_addc_u32 s11, s11, s17
	v_dual_mov_b32 v1, 0 :: v_dual_and_b32 v0, 7, v6
	s_delay_alu instid0(VALU_DEP_2) | instskip(SKIP_2) | instid1(VALU_DEP_4)
	v_lshrrev_b32_e32 v11, 3, v2
	v_and_b32_e32 v12, 31, v2
	v_lshrrev_b32_e32 v2, 5, v2
	v_mov_b32_e32 v3, v1
	s_load_b64 s[10:11], s[10:11], 0x0
	v_add_nc_u32_e32 v10, s19, v11
	v_add_nc_u32_e32 v8, s18, v12
	v_lshlrev_b32_e32 v12, 2, v12
	s_delay_alu instid0(VALU_DEP_3) | instskip(NEXT) | instid1(VALU_DEP_3)
	v_ashrrev_i32_e32 v4, 31, v10
	v_ashrrev_i32_e32 v5, 31, v8
	s_delay_alu instid0(VALU_DEP_3)
	v_lshl_or_b32 v12, v2, 7, v12
	s_waitcnt lgkmcnt(0)
	s_add_u32 s12, s12, s16
	s_addc_u32 s13, s13, s17
	v_mul_lo_u32 v13, v4, s14
	v_mul_lo_u32 v14, s4, v5
	v_mad_u64_u32 v[4:5], null, s4, v8, v[2:3]
	v_mul_lo_u32 v3, s5, v8
	s_load_b64 s[4:5], s[12:13], 0x0
	v_mul_lo_u32 v15, v10, s15
	v_mad_u64_u32 v[8:9], null, v10, s14, v[0:1]
	v_lshlrev_b32_e32 v0, 2, v0
	v_lshlrev_b32_e32 v10, 2, v6
	v_add3_u32 v5, v3, v5, v14
	s_delay_alu instid0(VALU_DEP_3) | instskip(SKIP_2) | instid1(VALU_DEP_4)
	v_lshl_or_b32 v0, v11, 5, v0
	v_add3_u32 v9, v13, v9, v15
	v_lshl_add_u32 v11, v7, 5, 0x400
	v_lshlrev_b64 v[3:4], 2, v[4:5]
	s_delay_alu instid0(VALU_DEP_4) | instskip(NEXT) | instid1(VALU_DEP_4)
	v_dual_mov_b32 v0, v1 :: v_dual_add_nc_u32 v13, 0x400, v0
	v_lshlrev_b64 v[8:9], 2, v[8:9]
	s_delay_alu instid0(VALU_DEP_3) | instskip(NEXT) | instid1(VALU_DEP_4)
	v_add_co_u32 v2, vcc_lo, s10, v3
	v_add_co_ci_u32_e32 v3, vcc_lo, s11, v4, vcc_lo
	s_waitcnt lgkmcnt(0)
	s_delay_alu instid0(VALU_DEP_3) | instskip(NEXT) | instid1(VALU_DEP_4)
	v_add_co_u32 v4, vcc_lo, s4, v8
	v_add_co_ci_u32_e32 v5, vcc_lo, s5, v9, vcc_lo
	v_mov_b32_e32 v8, v1
	v_mov_b32_e32 v9, v1
	s_mov_b64 s[4:5], 0
.LBB1410_2:                             ; =>This Inner Loop Header: Depth=1
	global_load_b32 v14, v[2:3], off
	global_load_b32 v15, v[4:5], off
	s_add_u32 s4, s4, 8
	v_add_co_u32 v2, vcc_lo, v2, 32
	s_addc_u32 s5, s5, 0
	v_add_co_ci_u32_e32 v3, vcc_lo, 0, v3, vcc_lo
	v_cmp_ge_u64_e64 s10, s[4:5], s[8:9]
	v_add_co_u32 v4, vcc_lo, v4, 32
	v_add_co_ci_u32_e32 v5, vcc_lo, 0, v5, vcc_lo
	s_waitcnt vmcnt(1)
	ds_store_b32 v12, v14
	s_waitcnt vmcnt(0)
	ds_store_b32 v13, v15
	s_waitcnt lgkmcnt(0)
	s_barrier
	buffer_gl0_inv
	ds_load_2addr_b32 v[30:31], v10 offset1:16
	ds_load_b128 v[14:17], v11
	ds_load_b128 v[18:21], v11 offset:512
	ds_load_2addr_b32 v[32:33], v10 offset0:32 offset1:48
	ds_load_2addr_b32 v[34:35], v10 offset0:64 offset1:80
	ds_load_b128 v[22:25], v11 offset:16
	ds_load_2addr_b32 v[36:37], v10 offset0:96 offset1:112
	ds_load_2addr_b32 v[38:39], v10 offset0:128 offset1:144
	;; [unrolled: 3-line block ×3, first 2 shown]
	ds_load_2addr_b32 v[44:45], v10 offset0:224 offset1:240
	s_and_b32 vcc_lo, exec_lo, s10
	s_waitcnt lgkmcnt(0)
	s_barrier
	buffer_gl0_inv
	v_fmac_f32_e32 v8, v31, v14
	v_fmac_f32_e32 v9, v30, v14
	;; [unrolled: 1-line block ×4, first 2 shown]
	s_delay_alu instid0(VALU_DEP_4) | instskip(NEXT) | instid1(VALU_DEP_4)
	v_fmac_f32_e32 v8, v33, v15
	v_fmac_f32_e32 v9, v32, v15
	s_delay_alu instid0(VALU_DEP_4) | instskip(NEXT) | instid1(VALU_DEP_4)
	v_fmac_f32_e32 v1, v33, v19
	v_fmac_f32_e32 v0, v32, v19
	;; [unrolled: 3-line block ×14, first 2 shown]
	s_cbranch_vccz .LBB1410_2
.LBB1410_3:
	v_add_nc_u32_e32 v7, s19, v7
	s_load_b32 s4, s[0:1], 0x0
	s_delay_alu instid0(VALU_DEP_1) | instskip(SKIP_2) | instid1(VALU_DEP_3)
	v_ashrrev_i32_e32 v2, 31, v7
	v_mul_lo_u32 v5, v7, s7
	v_mad_u64_u32 v[3:4], null, v7, s6, 0
	v_mul_lo_u32 v2, v2, s6
	s_delay_alu instid0(VALU_DEP_1) | instskip(SKIP_3) | instid1(VALU_DEP_3)
	v_add3_u32 v4, v4, v5, v2
	v_add_nc_u32_e32 v2, s18, v6
	s_waitcnt lgkmcnt(0)
	v_cmp_gt_i32_e32 vcc_lo, s4, v7
	v_lshlrev_b64 v[3:4], 2, v[3:4]
	s_delay_alu instid0(VALU_DEP_3) | instskip(NEXT) | instid1(VALU_DEP_1)
	v_cmp_le_i32_e64 s0, v2, v7
	s_and_b32 s0, vcc_lo, s0
	s_delay_alu instid0(VALU_DEP_2) | instskip(NEXT) | instid1(VALU_DEP_1)
	v_add_co_u32 v6, s1, s2, v3
	v_add_co_ci_u32_e64 v10, s1, s3, v4, s1
	s_and_saveexec_b32 s1, s0
	s_cbranch_execz .LBB1410_5
; %bb.4:
	v_ashrrev_i32_e32 v3, 31, v2
	v_xor_b32_e32 v5, 0x80000000, v9
	s_delay_alu instid0(VALU_DEP_2) | instskip(NEXT) | instid1(VALU_DEP_1)
	v_lshlrev_b64 v[3:4], 2, v[2:3]
	v_add_co_u32 v3, s0, v6, v3
	s_delay_alu instid0(VALU_DEP_1)
	v_add_co_ci_u32_e64 v4, s0, v10, v4, s0
	global_store_b32 v[3:4], v5, off
.LBB1410_5:
	s_or_b32 exec_lo, exec_lo, s1
	v_add_nc_u32_e32 v4, 16, v2
	s_delay_alu instid0(VALU_DEP_1) | instskip(NEXT) | instid1(VALU_DEP_1)
	v_cmp_le_i32_e64 s0, v4, v7
	s_and_b32 s1, vcc_lo, s0
	s_delay_alu instid0(SALU_CYCLE_1)
	s_and_saveexec_b32 s0, s1
	s_cbranch_execz .LBB1410_7
; %bb.6:
	v_ashrrev_i32_e32 v5, 31, v4
	v_xor_b32_e32 v3, 0x80000000, v8
	s_delay_alu instid0(VALU_DEP_2) | instskip(NEXT) | instid1(VALU_DEP_1)
	v_lshlrev_b64 v[11:12], 2, v[4:5]
	v_add_co_u32 v5, vcc_lo, v6, v11
	s_delay_alu instid0(VALU_DEP_2)
	v_add_co_ci_u32_e32 v6, vcc_lo, v10, v12, vcc_lo
	global_store_b32 v[5:6], v3, off
.LBB1410_7:
	s_or_b32 exec_lo, exec_lo, s0
	v_add_nc_u32_e32 v5, 16, v7
	s_delay_alu instid0(VALU_DEP_1) | instskip(SKIP_3) | instid1(VALU_DEP_4)
	v_ashrrev_i32_e32 v3, 31, v5
	v_mul_lo_u32 v8, v5, s7
	v_mad_u64_u32 v[6:7], null, v5, s6, 0
	v_cmp_gt_i32_e32 vcc_lo, s4, v5
	v_mul_lo_u32 v3, v3, s6
	v_cmp_le_i32_e64 s0, v2, v5
	s_delay_alu instid0(VALU_DEP_1) | instskip(NEXT) | instid1(VALU_DEP_2)
	s_and_b32 s0, vcc_lo, s0
	v_add3_u32 v7, v7, v8, v3
	s_delay_alu instid0(VALU_DEP_1) | instskip(NEXT) | instid1(VALU_DEP_1)
	v_lshlrev_b64 v[6:7], 2, v[6:7]
	v_add_co_u32 v6, s1, s2, v6
	s_delay_alu instid0(VALU_DEP_1)
	v_add_co_ci_u32_e64 v7, s1, s3, v7, s1
	s_and_saveexec_b32 s1, s0
	s_cbranch_execz .LBB1410_9
; %bb.8:
	v_ashrrev_i32_e32 v3, 31, v2
	v_xor_b32_e32 v0, 0x80000000, v0
	s_delay_alu instid0(VALU_DEP_2) | instskip(NEXT) | instid1(VALU_DEP_1)
	v_lshlrev_b64 v[2:3], 2, v[2:3]
	v_add_co_u32 v2, s0, v6, v2
	s_delay_alu instid0(VALU_DEP_1)
	v_add_co_ci_u32_e64 v3, s0, v7, v3, s0
	global_store_b32 v[2:3], v0, off
.LBB1410_9:
	s_or_b32 exec_lo, exec_lo, s1
	v_cmp_le_i32_e64 s0, v4, v5
	s_delay_alu instid0(VALU_DEP_1) | instskip(NEXT) | instid1(SALU_CYCLE_1)
	s_and_b32 s0, vcc_lo, s0
	s_and_saveexec_b32 s1, s0
	s_cbranch_execz .LBB1410_11
; %bb.10:
	v_ashrrev_i32_e32 v5, 31, v4
	s_delay_alu instid0(VALU_DEP_1) | instskip(SKIP_1) | instid1(VALU_DEP_2)
	v_lshlrev_b64 v[2:3], 2, v[4:5]
	v_xor_b32_e32 v4, 0x80000000, v1
	v_add_co_u32 v0, vcc_lo, v6, v2
	s_delay_alu instid0(VALU_DEP_3)
	v_add_co_ci_u32_e32 v1, vcc_lo, v7, v3, vcc_lo
	global_store_b32 v[0:1], v4, off
.LBB1410_11:
	s_nop 0
	s_sendmsg sendmsg(MSG_DEALLOC_VGPRS)
	s_endpgm
	.section	.rodata,"a",@progbits
	.p2align	6, 0x0
	.amdhsa_kernel _ZL37rocblas_syrkx_herkx_restricted_kernelIlfLi16ELi32ELi8ELin1ELi0ELb0ELc67ELc85EKPKfKPfEviT_PT9_S5_lS7_S5_lPT10_S5_li
		.amdhsa_group_segment_fixed_size 2048
		.amdhsa_private_segment_fixed_size 0
		.amdhsa_kernarg_size 92
		.amdhsa_user_sgpr_count 13
		.amdhsa_user_sgpr_dispatch_ptr 0
		.amdhsa_user_sgpr_queue_ptr 0
		.amdhsa_user_sgpr_kernarg_segment_ptr 1
		.amdhsa_user_sgpr_dispatch_id 0
		.amdhsa_user_sgpr_private_segment_size 0
		.amdhsa_wavefront_size32 1
		.amdhsa_uses_dynamic_stack 0
		.amdhsa_enable_private_segment 0
		.amdhsa_system_sgpr_workgroup_id_x 1
		.amdhsa_system_sgpr_workgroup_id_y 1
		.amdhsa_system_sgpr_workgroup_id_z 1
		.amdhsa_system_sgpr_workgroup_info 0
		.amdhsa_system_vgpr_workitem_id 1
		.amdhsa_next_free_vgpr 46
		.amdhsa_next_free_sgpr 20
		.amdhsa_reserve_vcc 1
		.amdhsa_float_round_mode_32 0
		.amdhsa_float_round_mode_16_64 0
		.amdhsa_float_denorm_mode_32 3
		.amdhsa_float_denorm_mode_16_64 3
		.amdhsa_dx10_clamp 1
		.amdhsa_ieee_mode 1
		.amdhsa_fp16_overflow 0
		.amdhsa_workgroup_processor_mode 1
		.amdhsa_memory_ordered 1
		.amdhsa_forward_progress 0
		.amdhsa_shared_vgpr_count 0
		.amdhsa_exception_fp_ieee_invalid_op 0
		.amdhsa_exception_fp_denorm_src 0
		.amdhsa_exception_fp_ieee_div_zero 0
		.amdhsa_exception_fp_ieee_overflow 0
		.amdhsa_exception_fp_ieee_underflow 0
		.amdhsa_exception_fp_ieee_inexact 0
		.amdhsa_exception_int_div_zero 0
	.end_amdhsa_kernel
	.section	.text._ZL37rocblas_syrkx_herkx_restricted_kernelIlfLi16ELi32ELi8ELin1ELi0ELb0ELc67ELc85EKPKfKPfEviT_PT9_S5_lS7_S5_lPT10_S5_li,"axG",@progbits,_ZL37rocblas_syrkx_herkx_restricted_kernelIlfLi16ELi32ELi8ELin1ELi0ELb0ELc67ELc85EKPKfKPfEviT_PT9_S5_lS7_S5_lPT10_S5_li,comdat
.Lfunc_end1410:
	.size	_ZL37rocblas_syrkx_herkx_restricted_kernelIlfLi16ELi32ELi8ELin1ELi0ELb0ELc67ELc85EKPKfKPfEviT_PT9_S5_lS7_S5_lPT10_S5_li, .Lfunc_end1410-_ZL37rocblas_syrkx_herkx_restricted_kernelIlfLi16ELi32ELi8ELin1ELi0ELb0ELc67ELc85EKPKfKPfEviT_PT9_S5_lS7_S5_lPT10_S5_li
                                        ; -- End function
	.section	.AMDGPU.csdata,"",@progbits
; Kernel info:
; codeLenInByte = 1320
; NumSgprs: 22
; NumVgprs: 46
; ScratchSize: 0
; MemoryBound: 0
; FloatMode: 240
; IeeeMode: 1
; LDSByteSize: 2048 bytes/workgroup (compile time only)
; SGPRBlocks: 2
; VGPRBlocks: 5
; NumSGPRsForWavesPerEU: 22
; NumVGPRsForWavesPerEU: 46
; Occupancy: 16
; WaveLimiterHint : 1
; COMPUTE_PGM_RSRC2:SCRATCH_EN: 0
; COMPUTE_PGM_RSRC2:USER_SGPR: 13
; COMPUTE_PGM_RSRC2:TRAP_HANDLER: 0
; COMPUTE_PGM_RSRC2:TGID_X_EN: 1
; COMPUTE_PGM_RSRC2:TGID_Y_EN: 1
; COMPUTE_PGM_RSRC2:TGID_Z_EN: 1
; COMPUTE_PGM_RSRC2:TIDIG_COMP_CNT: 1
	.section	.text._ZL37rocblas_syrkx_herkx_restricted_kernelIlfLi16ELi32ELi8ELin1ELi0ELb0ELc78ELc85EKPKfKPfEviT_PT9_S5_lS7_S5_lPT10_S5_li,"axG",@progbits,_ZL37rocblas_syrkx_herkx_restricted_kernelIlfLi16ELi32ELi8ELin1ELi0ELb0ELc78ELc85EKPKfKPfEviT_PT9_S5_lS7_S5_lPT10_S5_li,comdat
	.globl	_ZL37rocblas_syrkx_herkx_restricted_kernelIlfLi16ELi32ELi8ELin1ELi0ELb0ELc78ELc85EKPKfKPfEviT_PT9_S5_lS7_S5_lPT10_S5_li ; -- Begin function _ZL37rocblas_syrkx_herkx_restricted_kernelIlfLi16ELi32ELi8ELin1ELi0ELb0ELc78ELc85EKPKfKPfEviT_PT9_S5_lS7_S5_lPT10_S5_li
	.p2align	8
	.type	_ZL37rocblas_syrkx_herkx_restricted_kernelIlfLi16ELi32ELi8ELin1ELi0ELb0ELc78ELc85EKPKfKPfEviT_PT9_S5_lS7_S5_lPT10_S5_li,@function
_ZL37rocblas_syrkx_herkx_restricted_kernelIlfLi16ELi32ELi8ELin1ELi0ELb0ELc78ELc85EKPKfKPfEviT_PT9_S5_lS7_S5_lPT10_S5_li: ; @_ZL37rocblas_syrkx_herkx_restricted_kernelIlfLi16ELi32ELi8ELin1ELi0ELb0ELc78ELc85EKPKfKPfEviT_PT9_S5_lS7_S5_lPT10_S5_li
; %bb.0:
	s_clause 0x1
	s_load_b128 s[4:7], s[0:1], 0x40
	s_load_b128 s[8:11], s[0:1], 0x8
	s_mov_b32 s2, s15
	s_mov_b32 s3, 0
	v_dual_mov_b32 v8, 0 :: v_dual_and_b32 v5, 0x3ff, v0
	s_lshl_b64 s[16:17], s[2:3], 3
	v_bfe_u32 v6, v0, 10, 10
	v_dual_mov_b32 v9, 0 :: v_dual_mov_b32 v4, 0
	v_mov_b32_e32 v7, 0
	s_waitcnt lgkmcnt(0)
	s_add_u32 s2, s4, s16
	s_addc_u32 s3, s5, s17
	v_cmp_lt_i64_e64 s4, s[8:9], 1
	s_load_b64 s[2:3], s[2:3], 0x0
	s_lshl_b32 s18, s13, 5
	s_lshl_b32 s19, s14, 5
	s_delay_alu instid0(VALU_DEP_1)
	s_and_b32 vcc_lo, exec_lo, s4
	s_cbranch_vccnz .LBB1411_3
; %bb.1:
	v_lshl_add_u32 v1, v6, 4, v5
	s_clause 0x1
	s_load_b64 s[4:5], s[0:1], 0x18
	s_load_b128 s[12:15], s[0:1], 0x28
	s_add_u32 s10, s10, s16
	s_addc_u32 s11, s11, s17
	v_lshlrev_b32_e32 v10, 2, v5
	v_and_b32_e32 v14, 31, v1
	v_lshrrev_b32_e32 v15, 3, v1
	v_lshrrev_b32_e32 v16, 5, v1
	s_load_b64 s[10:11], s[10:11], 0x0
	v_lshl_add_u32 v11, v6, 5, 0x400
	v_add_nc_u32_e32 v0, s18, v14
	v_add_nc_u32_e32 v2, s19, v15
	s_delay_alu instid0(VALU_DEP_2) | instskip(NEXT) | instid1(VALU_DEP_2)
	v_ashrrev_i32_e32 v1, 31, v0
	v_ashrrev_i32_e32 v3, 31, v2
	s_waitcnt lgkmcnt(0)
	s_delay_alu instid0(VALU_DEP_2) | instskip(SKIP_4) | instid1(VALU_DEP_1)
	v_mad_u64_u32 v[8:9], null, v16, s4, v[0:1]
	v_and_b32_e32 v7, 7, v5
	s_add_u32 s12, s12, s16
	s_addc_u32 s13, s13, s17
	s_load_b64 s[12:13], s[12:13], 0x0
	v_mad_u64_u32 v[0:1], null, v7, s14, v[2:3]
	s_delay_alu instid0(VALU_DEP_3) | instskip(NEXT) | instid1(VALU_DEP_1)
	v_mov_b32_e32 v2, v9
	v_mad_u64_u32 v[3:4], null, v16, s5, v[2:3]
	s_delay_alu instid0(VALU_DEP_3) | instskip(SKIP_3) | instid1(VALU_DEP_4)
	v_mad_u64_u32 v[12:13], null, v7, s15, v[1:2]
	v_dual_mov_b32 v4, 0 :: v_dual_lshlrev_b32 v1, 2, v7
	v_mov_b32_e32 v7, 0
	s_lshl_b64 s[4:5], s[4:5], 5
	v_mov_b32_e32 v9, v3
	v_lshlrev_b32_e32 v13, 2, v14
	v_lshl_or_b32 v14, v15, 5, v1
	v_mov_b32_e32 v1, v12
	s_delay_alu instid0(VALU_DEP_4)
	v_lshlrev_b64 v[2:3], 2, v[8:9]
	v_mov_b32_e32 v8, 0
	v_lshl_or_b32 v12, v16, 7, v13
	v_add_nc_u32_e32 v13, 0x400, v14
	v_lshlrev_b64 v[14:15], 2, v[0:1]
	v_mov_b32_e32 v9, 0
	v_add_co_u32 v0, vcc_lo, s10, v2
	v_add_co_ci_u32_e32 v1, vcc_lo, s11, v3, vcc_lo
	s_waitcnt lgkmcnt(0)
	s_delay_alu instid0(VALU_DEP_4)
	v_add_co_u32 v2, vcc_lo, s12, v14
	v_add_co_ci_u32_e32 v3, vcc_lo, s13, v15, vcc_lo
	s_lshl_b64 s[10:11], s[14:15], 5
	s_mov_b64 s[12:13], 0
.LBB1411_2:                             ; =>This Inner Loop Header: Depth=1
	global_load_b32 v14, v[0:1], off
	global_load_b32 v15, v[2:3], off
	s_add_u32 s12, s12, 8
	v_add_co_u32 v0, vcc_lo, v0, s4
	s_addc_u32 s13, s13, 0
	v_add_co_ci_u32_e32 v1, vcc_lo, s5, v1, vcc_lo
	v_cmp_ge_u64_e64 s14, s[12:13], s[8:9]
	v_add_co_u32 v2, vcc_lo, v2, s10
	v_add_co_ci_u32_e32 v3, vcc_lo, s11, v3, vcc_lo
	s_waitcnt vmcnt(1)
	ds_store_b32 v12, v14
	s_waitcnt vmcnt(0)
	ds_store_b32 v13, v15
	s_waitcnt lgkmcnt(0)
	s_barrier
	buffer_gl0_inv
	ds_load_2addr_b32 v[30:31], v10 offset1:16
	ds_load_b128 v[14:17], v11
	ds_load_b128 v[18:21], v11 offset:512
	ds_load_2addr_b32 v[32:33], v10 offset0:32 offset1:48
	ds_load_2addr_b32 v[34:35], v10 offset0:64 offset1:80
	ds_load_b128 v[22:25], v11 offset:16
	ds_load_2addr_b32 v[36:37], v10 offset0:96 offset1:112
	ds_load_2addr_b32 v[38:39], v10 offset0:128 offset1:144
	;; [unrolled: 3-line block ×3, first 2 shown]
	ds_load_2addr_b32 v[44:45], v10 offset0:224 offset1:240
	s_and_b32 vcc_lo, exec_lo, s14
	s_waitcnt lgkmcnt(0)
	s_barrier
	buffer_gl0_inv
	v_fmac_f32_e32 v8, v31, v14
	v_fmac_f32_e32 v9, v30, v14
	;; [unrolled: 1-line block ×3, first 2 shown]
	s_delay_alu instid0(VALU_DEP_3) | instskip(NEXT) | instid1(VALU_DEP_3)
	v_dual_fmac_f32 v7, v30, v18 :: v_dual_fmac_f32 v8, v33, v15
	v_fmac_f32_e32 v9, v32, v15
	s_delay_alu instid0(VALU_DEP_3) | instskip(NEXT) | instid1(VALU_DEP_3)
	v_fmac_f32_e32 v4, v33, v19
	v_dual_fmac_f32 v7, v32, v19 :: v_dual_fmac_f32 v8, v35, v16
	s_delay_alu instid0(VALU_DEP_3) | instskip(NEXT) | instid1(VALU_DEP_3)
	v_fmac_f32_e32 v9, v34, v16
	v_fmac_f32_e32 v4, v35, v20
	s_delay_alu instid0(VALU_DEP_3) | instskip(NEXT) | instid1(VALU_DEP_3)
	v_dual_fmac_f32 v7, v34, v20 :: v_dual_fmac_f32 v8, v37, v17
	v_fmac_f32_e32 v9, v36, v17
	s_delay_alu instid0(VALU_DEP_3) | instskip(NEXT) | instid1(VALU_DEP_3)
	v_fmac_f32_e32 v4, v37, v21
	v_dual_fmac_f32 v7, v36, v21 :: v_dual_fmac_f32 v8, v39, v22
	s_delay_alu instid0(VALU_DEP_3) | instskip(NEXT) | instid1(VALU_DEP_3)
	v_fmac_f32_e32 v9, v38, v22
	v_fmac_f32_e32 v4, v39, v26
	;; [unrolled: 9-line block ×3, first 2 shown]
	s_delay_alu instid0(VALU_DEP_3) | instskip(NEXT) | instid1(VALU_DEP_3)
	v_dual_fmac_f32 v7, v42, v28 :: v_dual_fmac_f32 v8, v45, v25
	v_fmac_f32_e32 v9, v44, v25
	s_delay_alu instid0(VALU_DEP_3) | instskip(NEXT) | instid1(VALU_DEP_3)
	v_fmac_f32_e32 v4, v45, v29
	v_fmac_f32_e32 v7, v44, v29
	s_cbranch_vccz .LBB1411_2
.LBB1411_3:
	v_add_nc_u32_e32 v6, s19, v6
	s_load_b32 s4, s[0:1], 0x0
	s_delay_alu instid0(VALU_DEP_1) | instskip(SKIP_2) | instid1(VALU_DEP_3)
	v_ashrrev_i32_e32 v0, 31, v6
	v_mul_lo_u32 v3, v6, s7
	v_mad_u64_u32 v[1:2], null, v6, s6, 0
	v_mul_lo_u32 v0, v0, s6
	s_delay_alu instid0(VALU_DEP_1) | instskip(SKIP_3) | instid1(VALU_DEP_3)
	v_add3_u32 v2, v2, v3, v0
	v_add_nc_u32_e32 v0, s18, v5
	s_waitcnt lgkmcnt(0)
	v_cmp_gt_i32_e32 vcc_lo, s4, v6
	v_lshlrev_b64 v[1:2], 2, v[1:2]
	s_delay_alu instid0(VALU_DEP_3) | instskip(NEXT) | instid1(VALU_DEP_1)
	v_cmp_le_i32_e64 s0, v0, v6
	s_and_b32 s0, vcc_lo, s0
	s_delay_alu instid0(VALU_DEP_2) | instskip(NEXT) | instid1(VALU_DEP_1)
	v_add_co_u32 v5, s1, s2, v1
	v_add_co_ci_u32_e64 v10, s1, s3, v2, s1
	s_and_saveexec_b32 s1, s0
	s_cbranch_execz .LBB1411_5
; %bb.4:
	v_ashrrev_i32_e32 v1, 31, v0
	v_xor_b32_e32 v3, 0x80000000, v9
	s_delay_alu instid0(VALU_DEP_2) | instskip(NEXT) | instid1(VALU_DEP_1)
	v_lshlrev_b64 v[1:2], 2, v[0:1]
	v_add_co_u32 v1, s0, v5, v1
	s_delay_alu instid0(VALU_DEP_1)
	v_add_co_ci_u32_e64 v2, s0, v10, v2, s0
	global_store_b32 v[1:2], v3, off
.LBB1411_5:
	s_or_b32 exec_lo, exec_lo, s1
	v_add_nc_u32_e32 v2, 16, v0
	s_delay_alu instid0(VALU_DEP_1) | instskip(NEXT) | instid1(VALU_DEP_1)
	v_cmp_le_i32_e64 s0, v2, v6
	s_and_b32 s1, vcc_lo, s0
	s_delay_alu instid0(SALU_CYCLE_1)
	s_and_saveexec_b32 s0, s1
	s_cbranch_execz .LBB1411_7
; %bb.6:
	v_ashrrev_i32_e32 v3, 31, v2
	v_xor_b32_e32 v1, 0x80000000, v8
	s_delay_alu instid0(VALU_DEP_2) | instskip(NEXT) | instid1(VALU_DEP_1)
	v_lshlrev_b64 v[11:12], 2, v[2:3]
	v_add_co_u32 v8, vcc_lo, v5, v11
	s_delay_alu instid0(VALU_DEP_2)
	v_add_co_ci_u32_e32 v9, vcc_lo, v10, v12, vcc_lo
	global_store_b32 v[8:9], v1, off
.LBB1411_7:
	s_or_b32 exec_lo, exec_lo, s0
	v_add_nc_u32_e32 v3, 16, v6
	s_delay_alu instid0(VALU_DEP_1) | instskip(SKIP_3) | instid1(VALU_DEP_4)
	v_ashrrev_i32_e32 v1, 31, v3
	v_mul_lo_u32 v8, v3, s7
	v_mad_u64_u32 v[5:6], null, v3, s6, 0
	v_cmp_gt_i32_e32 vcc_lo, s4, v3
	v_mul_lo_u32 v1, v1, s6
	v_cmp_le_i32_e64 s0, v0, v3
	s_delay_alu instid0(VALU_DEP_1) | instskip(NEXT) | instid1(VALU_DEP_2)
	s_and_b32 s0, vcc_lo, s0
	v_add3_u32 v6, v6, v8, v1
	s_delay_alu instid0(VALU_DEP_1) | instskip(NEXT) | instid1(VALU_DEP_1)
	v_lshlrev_b64 v[5:6], 2, v[5:6]
	v_add_co_u32 v5, s1, s2, v5
	s_delay_alu instid0(VALU_DEP_1)
	v_add_co_ci_u32_e64 v6, s1, s3, v6, s1
	s_and_saveexec_b32 s1, s0
	s_cbranch_execz .LBB1411_9
; %bb.8:
	v_ashrrev_i32_e32 v1, 31, v0
	v_xor_b32_e32 v7, 0x80000000, v7
	s_delay_alu instid0(VALU_DEP_2) | instskip(NEXT) | instid1(VALU_DEP_1)
	v_lshlrev_b64 v[0:1], 2, v[0:1]
	v_add_co_u32 v0, s0, v5, v0
	s_delay_alu instid0(VALU_DEP_1)
	v_add_co_ci_u32_e64 v1, s0, v6, v1, s0
	global_store_b32 v[0:1], v7, off
.LBB1411_9:
	s_or_b32 exec_lo, exec_lo, s1
	v_cmp_le_i32_e64 s0, v2, v3
	s_delay_alu instid0(VALU_DEP_1) | instskip(NEXT) | instid1(SALU_CYCLE_1)
	s_and_b32 s0, vcc_lo, s0
	s_and_saveexec_b32 s1, s0
	s_cbranch_execz .LBB1411_11
; %bb.10:
	v_ashrrev_i32_e32 v3, 31, v2
	s_delay_alu instid0(VALU_DEP_1) | instskip(SKIP_1) | instid1(VALU_DEP_2)
	v_lshlrev_b64 v[0:1], 2, v[2:3]
	v_xor_b32_e32 v2, 0x80000000, v4
	v_add_co_u32 v0, vcc_lo, v5, v0
	s_delay_alu instid0(VALU_DEP_3)
	v_add_co_ci_u32_e32 v1, vcc_lo, v6, v1, vcc_lo
	global_store_b32 v[0:1], v2, off
.LBB1411_11:
	s_nop 0
	s_sendmsg sendmsg(MSG_DEALLOC_VGPRS)
	s_endpgm
	.section	.rodata,"a",@progbits
	.p2align	6, 0x0
	.amdhsa_kernel _ZL37rocblas_syrkx_herkx_restricted_kernelIlfLi16ELi32ELi8ELin1ELi0ELb0ELc78ELc85EKPKfKPfEviT_PT9_S5_lS7_S5_lPT10_S5_li
		.amdhsa_group_segment_fixed_size 2048
		.amdhsa_private_segment_fixed_size 0
		.amdhsa_kernarg_size 92
		.amdhsa_user_sgpr_count 13
		.amdhsa_user_sgpr_dispatch_ptr 0
		.amdhsa_user_sgpr_queue_ptr 0
		.amdhsa_user_sgpr_kernarg_segment_ptr 1
		.amdhsa_user_sgpr_dispatch_id 0
		.amdhsa_user_sgpr_private_segment_size 0
		.amdhsa_wavefront_size32 1
		.amdhsa_uses_dynamic_stack 0
		.amdhsa_enable_private_segment 0
		.amdhsa_system_sgpr_workgroup_id_x 1
		.amdhsa_system_sgpr_workgroup_id_y 1
		.amdhsa_system_sgpr_workgroup_id_z 1
		.amdhsa_system_sgpr_workgroup_info 0
		.amdhsa_system_vgpr_workitem_id 1
		.amdhsa_next_free_vgpr 46
		.amdhsa_next_free_sgpr 20
		.amdhsa_reserve_vcc 1
		.amdhsa_float_round_mode_32 0
		.amdhsa_float_round_mode_16_64 0
		.amdhsa_float_denorm_mode_32 3
		.amdhsa_float_denorm_mode_16_64 3
		.amdhsa_dx10_clamp 1
		.amdhsa_ieee_mode 1
		.amdhsa_fp16_overflow 0
		.amdhsa_workgroup_processor_mode 1
		.amdhsa_memory_ordered 1
		.amdhsa_forward_progress 0
		.amdhsa_shared_vgpr_count 0
		.amdhsa_exception_fp_ieee_invalid_op 0
		.amdhsa_exception_fp_denorm_src 0
		.amdhsa_exception_fp_ieee_div_zero 0
		.amdhsa_exception_fp_ieee_overflow 0
		.amdhsa_exception_fp_ieee_underflow 0
		.amdhsa_exception_fp_ieee_inexact 0
		.amdhsa_exception_int_div_zero 0
	.end_amdhsa_kernel
	.section	.text._ZL37rocblas_syrkx_herkx_restricted_kernelIlfLi16ELi32ELi8ELin1ELi0ELb0ELc78ELc85EKPKfKPfEviT_PT9_S5_lS7_S5_lPT10_S5_li,"axG",@progbits,_ZL37rocblas_syrkx_herkx_restricted_kernelIlfLi16ELi32ELi8ELin1ELi0ELb0ELc78ELc85EKPKfKPfEviT_PT9_S5_lS7_S5_lPT10_S5_li,comdat
.Lfunc_end1411:
	.size	_ZL37rocblas_syrkx_herkx_restricted_kernelIlfLi16ELi32ELi8ELin1ELi0ELb0ELc78ELc85EKPKfKPfEviT_PT9_S5_lS7_S5_lPT10_S5_li, .Lfunc_end1411-_ZL37rocblas_syrkx_herkx_restricted_kernelIlfLi16ELi32ELi8ELin1ELi0ELb0ELc78ELc85EKPKfKPfEviT_PT9_S5_lS7_S5_lPT10_S5_li
                                        ; -- End function
	.section	.AMDGPU.csdata,"",@progbits
; Kernel info:
; codeLenInByte = 1288
; NumSgprs: 22
; NumVgprs: 46
; ScratchSize: 0
; MemoryBound: 0
; FloatMode: 240
; IeeeMode: 1
; LDSByteSize: 2048 bytes/workgroup (compile time only)
; SGPRBlocks: 2
; VGPRBlocks: 5
; NumSGPRsForWavesPerEU: 22
; NumVGPRsForWavesPerEU: 46
; Occupancy: 16
; WaveLimiterHint : 1
; COMPUTE_PGM_RSRC2:SCRATCH_EN: 0
; COMPUTE_PGM_RSRC2:USER_SGPR: 13
; COMPUTE_PGM_RSRC2:TRAP_HANDLER: 0
; COMPUTE_PGM_RSRC2:TGID_X_EN: 1
; COMPUTE_PGM_RSRC2:TGID_Y_EN: 1
; COMPUTE_PGM_RSRC2:TGID_Z_EN: 1
; COMPUTE_PGM_RSRC2:TIDIG_COMP_CNT: 1
	.section	.text._ZL37rocblas_syrkx_herkx_restricted_kernelIlfLi16ELi32ELi8ELb1ELb0ELc84ELc76EKPKfKPfEviT_T0_PT8_S5_lS8_S5_lS6_PT9_S5_li,"axG",@progbits,_ZL37rocblas_syrkx_herkx_restricted_kernelIlfLi16ELi32ELi8ELb1ELb0ELc84ELc76EKPKfKPfEviT_T0_PT8_S5_lS8_S5_lS6_PT9_S5_li,comdat
	.globl	_ZL37rocblas_syrkx_herkx_restricted_kernelIlfLi16ELi32ELi8ELb1ELb0ELc84ELc76EKPKfKPfEviT_T0_PT8_S5_lS8_S5_lS6_PT9_S5_li ; -- Begin function _ZL37rocblas_syrkx_herkx_restricted_kernelIlfLi16ELi32ELi8ELb1ELb0ELc84ELc76EKPKfKPfEviT_T0_PT8_S5_lS8_S5_lS6_PT9_S5_li
	.p2align	8
	.type	_ZL37rocblas_syrkx_herkx_restricted_kernelIlfLi16ELi32ELi8ELb1ELb0ELc84ELc76EKPKfKPfEviT_T0_PT8_S5_lS8_S5_lS6_PT9_S5_li,@function
_ZL37rocblas_syrkx_herkx_restricted_kernelIlfLi16ELi32ELi8ELb1ELb0ELc84ELc76EKPKfKPfEviT_T0_PT8_S5_lS8_S5_lS6_PT9_S5_li: ; @_ZL37rocblas_syrkx_herkx_restricted_kernelIlfLi16ELi32ELi8ELb1ELb0ELc84ELc76EKPKfKPfEviT_T0_PT8_S5_lS8_S5_lS6_PT9_S5_li
; %bb.0:
	s_clause 0x1
	s_load_b128 s[4:7], s[0:1], 0x50
	s_load_b64 s[16:17], s[0:1], 0x8
	s_mov_b32 s2, s15
	s_mov_b32 s3, 0
	v_dual_mov_b32 v9, 0 :: v_dual_and_b32 v6, 0x3ff, v0
	s_lshl_b64 s[18:19], s[2:3], 3
	v_bfe_u32 v7, v0, 10, 10
	v_dual_mov_b32 v8, 0 :: v_dual_mov_b32 v1, 0
	v_mov_b32_e32 v0, 0
	s_waitcnt lgkmcnt(0)
	s_add_u32 s2, s4, s18
	s_addc_u32 s3, s5, s19
	v_cmp_lt_i64_e64 s4, s[16:17], 1
	s_load_b64 s[2:3], s[2:3], 0x0
	s_lshl_b32 s20, s13, 5
	s_lshl_b32 s21, s14, 5
	s_delay_alu instid0(VALU_DEP_1)
	s_and_b32 vcc_lo, exec_lo, s4
	s_cbranch_vccnz .LBB1412_3
; %bb.1:
	s_clause 0x1
	s_load_b128 s[12:15], s[0:1], 0x18
	s_load_b128 s[8:11], s[0:1], 0x30
	v_lshl_add_u32 v2, v7, 4, v6
	v_dual_mov_b32 v1, 0 :: v_dual_and_b32 v0, 7, v6
	s_delay_alu instid0(VALU_DEP_2) | instskip(SKIP_2) | instid1(VALU_DEP_3)
	v_lshrrev_b32_e32 v11, 3, v2
	v_and_b32_e32 v12, 31, v2
	v_lshrrev_b32_e32 v2, 5, v2
	v_dual_mov_b32 v3, v1 :: v_dual_add_nc_u32 v10, s21, v11
	s_delay_alu instid0(VALU_DEP_3) | instskip(SKIP_1) | instid1(VALU_DEP_3)
	v_add_nc_u32_e32 v8, s20, v12
	v_lshlrev_b32_e32 v12, 2, v12
	v_ashrrev_i32_e32 v4, 31, v10
	s_delay_alu instid0(VALU_DEP_3) | instskip(NEXT) | instid1(VALU_DEP_3)
	v_ashrrev_i32_e32 v5, 31, v8
	v_lshl_or_b32 v12, v2, 7, v12
	s_waitcnt lgkmcnt(0)
	s_add_u32 s4, s12, s18
	s_addc_u32 s5, s13, s19
	s_add_u32 s8, s8, s18
	s_load_b64 s[4:5], s[4:5], 0x0
	v_mul_lo_u32 v13, v4, s10
	v_mul_lo_u32 v14, s14, v5
	v_mad_u64_u32 v[4:5], null, s14, v8, v[2:3]
	v_mul_lo_u32 v3, s15, v8
	s_addc_u32 s9, s9, s19
	v_mul_lo_u32 v15, v10, s11
	s_load_b64 s[8:9], s[8:9], 0x0
	v_mad_u64_u32 v[8:9], null, v10, s10, v[0:1]
	v_lshlrev_b32_e32 v0, 2, v0
	v_lshlrev_b32_e32 v10, 2, v6
	v_add3_u32 v5, v3, v5, v14
	s_delay_alu instid0(VALU_DEP_3) | instskip(SKIP_1) | instid1(VALU_DEP_3)
	v_lshl_or_b32 v0, v11, 5, v0
	v_add3_u32 v9, v13, v9, v15
	v_lshlrev_b64 v[3:4], 2, v[4:5]
	v_lshl_add_u32 v11, v7, 5, 0x400
	s_delay_alu instid0(VALU_DEP_4) | instskip(NEXT) | instid1(VALU_DEP_4)
	v_dual_mov_b32 v0, v1 :: v_dual_add_nc_u32 v13, 0x400, v0
	v_lshlrev_b64 v[8:9], 2, v[8:9]
	s_waitcnt lgkmcnt(0)
	s_delay_alu instid0(VALU_DEP_4) | instskip(SKIP_2) | instid1(VALU_DEP_3)
	v_add_co_u32 v2, vcc_lo, s4, v3
	v_add_co_ci_u32_e32 v3, vcc_lo, s5, v4, vcc_lo
	s_mov_b64 s[4:5], 0
	v_add_co_u32 v4, vcc_lo, s8, v8
	v_add_co_ci_u32_e32 v5, vcc_lo, s9, v9, vcc_lo
	v_mov_b32_e32 v8, v1
	v_mov_b32_e32 v9, v1
.LBB1412_2:                             ; =>This Inner Loop Header: Depth=1
	global_load_b32 v14, v[2:3], off
	global_load_b32 v15, v[4:5], off
	s_add_u32 s4, s4, 8
	v_add_co_u32 v4, vcc_lo, v4, 32
	s_addc_u32 s5, s5, 0
	v_add_co_ci_u32_e32 v5, vcc_lo, 0, v5, vcc_lo
	v_cmp_ge_u64_e64 s8, s[4:5], s[16:17]
	v_add_co_u32 v2, vcc_lo, v2, 32
	v_add_co_ci_u32_e32 v3, vcc_lo, 0, v3, vcc_lo
	s_waitcnt vmcnt(1)
	ds_store_b32 v12, v14
	s_waitcnt vmcnt(0)
	ds_store_b32 v13, v15
	s_waitcnt lgkmcnt(0)
	s_barrier
	buffer_gl0_inv
	ds_load_2addr_b32 v[30:31], v10 offset1:16
	ds_load_b128 v[14:17], v11
	ds_load_b128 v[18:21], v11 offset:512
	ds_load_2addr_b32 v[32:33], v10 offset0:32 offset1:48
	ds_load_2addr_b32 v[34:35], v10 offset0:64 offset1:80
	ds_load_b128 v[22:25], v11 offset:16
	ds_load_2addr_b32 v[36:37], v10 offset0:96 offset1:112
	ds_load_2addr_b32 v[38:39], v10 offset0:128 offset1:144
	;; [unrolled: 3-line block ×3, first 2 shown]
	ds_load_2addr_b32 v[44:45], v10 offset0:224 offset1:240
	s_and_b32 vcc_lo, exec_lo, s8
	s_waitcnt lgkmcnt(0)
	s_barrier
	buffer_gl0_inv
	v_fmac_f32_e32 v8, v31, v14
	v_fmac_f32_e32 v9, v30, v14
	;; [unrolled: 1-line block ×4, first 2 shown]
	s_delay_alu instid0(VALU_DEP_4) | instskip(NEXT) | instid1(VALU_DEP_4)
	v_fmac_f32_e32 v8, v33, v15
	v_fmac_f32_e32 v9, v32, v15
	s_delay_alu instid0(VALU_DEP_4) | instskip(NEXT) | instid1(VALU_DEP_4)
	v_fmac_f32_e32 v1, v33, v19
	v_fmac_f32_e32 v0, v32, v19
	;; [unrolled: 3-line block ×14, first 2 shown]
	s_cbranch_vccz .LBB1412_2
.LBB1412_3:
	v_add_nc_u32_e32 v7, s21, v7
	s_clause 0x1
	s_load_b32 s5, s[0:1], 0x0
	s_load_b32 s4, s[0:1], 0x10
	s_delay_alu instid0(VALU_DEP_1) | instskip(SKIP_2) | instid1(VALU_DEP_3)
	v_ashrrev_i32_e32 v2, 31, v7
	v_mul_lo_u32 v5, v7, s7
	v_mad_u64_u32 v[3:4], null, v7, s6, 0
	v_mul_lo_u32 v2, v2, s6
	s_delay_alu instid0(VALU_DEP_1) | instskip(SKIP_1) | instid1(VALU_DEP_2)
	v_add3_u32 v4, v4, v5, v2
	v_add_nc_u32_e32 v2, s20, v6
	v_lshlrev_b64 v[3:4], 2, v[3:4]
	s_delay_alu instid0(VALU_DEP_2) | instskip(SKIP_2) | instid1(VALU_DEP_3)
	v_cmp_le_i32_e64 s0, v7, v2
	s_waitcnt lgkmcnt(0)
	v_cmp_gt_i32_e32 vcc_lo, s5, v2
	v_add_co_u32 v6, s1, s2, v3
	s_delay_alu instid0(VALU_DEP_1) | instskip(SKIP_1) | instid1(SALU_CYCLE_1)
	v_add_co_ci_u32_e64 v10, s1, s3, v4, s1
	s_and_b32 s0, s0, vcc_lo
	s_and_saveexec_b32 s1, s0
	s_cbranch_execz .LBB1412_5
; %bb.4:
	v_ashrrev_i32_e32 v3, 31, v2
	v_mul_f32_e32 v5, s4, v9
	s_delay_alu instid0(VALU_DEP_2) | instskip(NEXT) | instid1(VALU_DEP_1)
	v_lshlrev_b64 v[3:4], 2, v[2:3]
	v_add_co_u32 v3, s0, v6, v3
	s_delay_alu instid0(VALU_DEP_1)
	v_add_co_ci_u32_e64 v4, s0, v10, v4, s0
	global_store_b32 v[3:4], v5, off
.LBB1412_5:
	s_or_b32 exec_lo, exec_lo, s1
	v_add_nc_u32_e32 v4, 16, v2
	s_delay_alu instid0(VALU_DEP_1) | instskip(SKIP_1) | instid1(VALU_DEP_1)
	v_cmp_le_i32_e64 s1, v7, v4
	v_cmp_gt_i32_e64 s0, s5, v4
	s_and_b32 s1, s1, s0
	s_delay_alu instid0(SALU_CYCLE_1)
	s_and_saveexec_b32 s5, s1
	s_cbranch_execz .LBB1412_7
; %bb.6:
	v_ashrrev_i32_e32 v5, 31, v4
	v_mul_f32_e32 v3, s4, v8
	s_delay_alu instid0(VALU_DEP_2) | instskip(NEXT) | instid1(VALU_DEP_1)
	v_lshlrev_b64 v[11:12], 2, v[4:5]
	v_add_co_u32 v5, s1, v6, v11
	s_delay_alu instid0(VALU_DEP_1)
	v_add_co_ci_u32_e64 v6, s1, v10, v12, s1
	global_store_b32 v[5:6], v3, off
.LBB1412_7:
	s_or_b32 exec_lo, exec_lo, s5
	v_add_nc_u32_e32 v5, 16, v7
	s_delay_alu instid0(VALU_DEP_1) | instskip(SKIP_3) | instid1(VALU_DEP_4)
	v_ashrrev_i32_e32 v3, 31, v5
	v_mul_lo_u32 v8, v5, s7
	v_mad_u64_u32 v[6:7], null, v5, s6, 0
	v_cmp_le_i32_e64 s1, v5, v2
	v_mul_lo_u32 v3, v3, s6
	s_delay_alu instid0(VALU_DEP_1) | instskip(NEXT) | instid1(VALU_DEP_1)
	v_add3_u32 v7, v7, v8, v3
	v_lshlrev_b64 v[6:7], 2, v[6:7]
	s_delay_alu instid0(VALU_DEP_1) | instskip(NEXT) | instid1(VALU_DEP_1)
	v_add_co_u32 v6, s2, s2, v6
	v_add_co_ci_u32_e64 v7, s2, s3, v7, s2
	s_and_b32 s2, s1, vcc_lo
	s_delay_alu instid0(SALU_CYCLE_1)
	s_and_saveexec_b32 s1, s2
	s_cbranch_execz .LBB1412_9
; %bb.8:
	v_ashrrev_i32_e32 v3, 31, v2
	v_mul_f32_e32 v0, s4, v0
	s_delay_alu instid0(VALU_DEP_2) | instskip(NEXT) | instid1(VALU_DEP_1)
	v_lshlrev_b64 v[2:3], 2, v[2:3]
	v_add_co_u32 v2, vcc_lo, v6, v2
	s_delay_alu instid0(VALU_DEP_2)
	v_add_co_ci_u32_e32 v3, vcc_lo, v7, v3, vcc_lo
	global_store_b32 v[2:3], v0, off
.LBB1412_9:
	s_or_b32 exec_lo, exec_lo, s1
	v_cmp_le_i32_e32 vcc_lo, v5, v4
	s_and_b32 s0, vcc_lo, s0
	s_delay_alu instid0(SALU_CYCLE_1)
	s_and_saveexec_b32 s1, s0
	s_cbranch_execz .LBB1412_11
; %bb.10:
	v_ashrrev_i32_e32 v5, 31, v4
	s_delay_alu instid0(VALU_DEP_1) | instskip(SKIP_1) | instid1(VALU_DEP_2)
	v_lshlrev_b64 v[2:3], 2, v[4:5]
	v_mul_f32_e32 v4, s4, v1
	v_add_co_u32 v0, vcc_lo, v6, v2
	s_delay_alu instid0(VALU_DEP_3)
	v_add_co_ci_u32_e32 v1, vcc_lo, v7, v3, vcc_lo
	global_store_b32 v[0:1], v4, off
.LBB1412_11:
	s_nop 0
	s_sendmsg sendmsg(MSG_DEALLOC_VGPRS)
	s_endpgm
	.section	.rodata,"a",@progbits
	.p2align	6, 0x0
	.amdhsa_kernel _ZL37rocblas_syrkx_herkx_restricted_kernelIlfLi16ELi32ELi8ELb1ELb0ELc84ELc76EKPKfKPfEviT_T0_PT8_S5_lS8_S5_lS6_PT9_S5_li
		.amdhsa_group_segment_fixed_size 2048
		.amdhsa_private_segment_fixed_size 0
		.amdhsa_kernarg_size 108
		.amdhsa_user_sgpr_count 13
		.amdhsa_user_sgpr_dispatch_ptr 0
		.amdhsa_user_sgpr_queue_ptr 0
		.amdhsa_user_sgpr_kernarg_segment_ptr 1
		.amdhsa_user_sgpr_dispatch_id 0
		.amdhsa_user_sgpr_private_segment_size 0
		.amdhsa_wavefront_size32 1
		.amdhsa_uses_dynamic_stack 0
		.amdhsa_enable_private_segment 0
		.amdhsa_system_sgpr_workgroup_id_x 1
		.amdhsa_system_sgpr_workgroup_id_y 1
		.amdhsa_system_sgpr_workgroup_id_z 1
		.amdhsa_system_sgpr_workgroup_info 0
		.amdhsa_system_vgpr_workitem_id 1
		.amdhsa_next_free_vgpr 46
		.amdhsa_next_free_sgpr 22
		.amdhsa_reserve_vcc 1
		.amdhsa_float_round_mode_32 0
		.amdhsa_float_round_mode_16_64 0
		.amdhsa_float_denorm_mode_32 3
		.amdhsa_float_denorm_mode_16_64 3
		.amdhsa_dx10_clamp 1
		.amdhsa_ieee_mode 1
		.amdhsa_fp16_overflow 0
		.amdhsa_workgroup_processor_mode 1
		.amdhsa_memory_ordered 1
		.amdhsa_forward_progress 0
		.amdhsa_shared_vgpr_count 0
		.amdhsa_exception_fp_ieee_invalid_op 0
		.amdhsa_exception_fp_denorm_src 0
		.amdhsa_exception_fp_ieee_div_zero 0
		.amdhsa_exception_fp_ieee_overflow 0
		.amdhsa_exception_fp_ieee_underflow 0
		.amdhsa_exception_fp_ieee_inexact 0
		.amdhsa_exception_int_div_zero 0
	.end_amdhsa_kernel
	.section	.text._ZL37rocblas_syrkx_herkx_restricted_kernelIlfLi16ELi32ELi8ELb1ELb0ELc84ELc76EKPKfKPfEviT_T0_PT8_S5_lS8_S5_lS6_PT9_S5_li,"axG",@progbits,_ZL37rocblas_syrkx_herkx_restricted_kernelIlfLi16ELi32ELi8ELb1ELb0ELc84ELc76EKPKfKPfEviT_T0_PT8_S5_lS8_S5_lS6_PT9_S5_li,comdat
.Lfunc_end1412:
	.size	_ZL37rocblas_syrkx_herkx_restricted_kernelIlfLi16ELi32ELi8ELb1ELb0ELc84ELc76EKPKfKPfEviT_T0_PT8_S5_lS8_S5_lS6_PT9_S5_li, .Lfunc_end1412-_ZL37rocblas_syrkx_herkx_restricted_kernelIlfLi16ELi32ELi8ELb1ELb0ELc84ELc76EKPKfKPfEviT_T0_PT8_S5_lS8_S5_lS6_PT9_S5_li
                                        ; -- End function
	.section	.AMDGPU.csdata,"",@progbits
; Kernel info:
; codeLenInByte = 1312
; NumSgprs: 24
; NumVgprs: 46
; ScratchSize: 0
; MemoryBound: 0
; FloatMode: 240
; IeeeMode: 1
; LDSByteSize: 2048 bytes/workgroup (compile time only)
; SGPRBlocks: 2
; VGPRBlocks: 5
; NumSGPRsForWavesPerEU: 24
; NumVGPRsForWavesPerEU: 46
; Occupancy: 16
; WaveLimiterHint : 1
; COMPUTE_PGM_RSRC2:SCRATCH_EN: 0
; COMPUTE_PGM_RSRC2:USER_SGPR: 13
; COMPUTE_PGM_RSRC2:TRAP_HANDLER: 0
; COMPUTE_PGM_RSRC2:TGID_X_EN: 1
; COMPUTE_PGM_RSRC2:TGID_Y_EN: 1
; COMPUTE_PGM_RSRC2:TGID_Z_EN: 1
; COMPUTE_PGM_RSRC2:TIDIG_COMP_CNT: 1
	.section	.text._ZL37rocblas_syrkx_herkx_restricted_kernelIlfLi16ELi32ELi8ELb1ELb0ELc67ELc76EKPKfKPfEviT_T0_PT8_S5_lS8_S5_lS6_PT9_S5_li,"axG",@progbits,_ZL37rocblas_syrkx_herkx_restricted_kernelIlfLi16ELi32ELi8ELb1ELb0ELc67ELc76EKPKfKPfEviT_T0_PT8_S5_lS8_S5_lS6_PT9_S5_li,comdat
	.globl	_ZL37rocblas_syrkx_herkx_restricted_kernelIlfLi16ELi32ELi8ELb1ELb0ELc67ELc76EKPKfKPfEviT_T0_PT8_S5_lS8_S5_lS6_PT9_S5_li ; -- Begin function _ZL37rocblas_syrkx_herkx_restricted_kernelIlfLi16ELi32ELi8ELb1ELb0ELc67ELc76EKPKfKPfEviT_T0_PT8_S5_lS8_S5_lS6_PT9_S5_li
	.p2align	8
	.type	_ZL37rocblas_syrkx_herkx_restricted_kernelIlfLi16ELi32ELi8ELb1ELb0ELc67ELc76EKPKfKPfEviT_T0_PT8_S5_lS8_S5_lS6_PT9_S5_li,@function
_ZL37rocblas_syrkx_herkx_restricted_kernelIlfLi16ELi32ELi8ELb1ELb0ELc67ELc76EKPKfKPfEviT_T0_PT8_S5_lS8_S5_lS6_PT9_S5_li: ; @_ZL37rocblas_syrkx_herkx_restricted_kernelIlfLi16ELi32ELi8ELb1ELb0ELc67ELc76EKPKfKPfEviT_T0_PT8_S5_lS8_S5_lS6_PT9_S5_li
; %bb.0:
	s_clause 0x1
	s_load_b128 s[4:7], s[0:1], 0x50
	s_load_b64 s[16:17], s[0:1], 0x8
	s_mov_b32 s2, s15
	s_mov_b32 s3, 0
	v_dual_mov_b32 v9, 0 :: v_dual_and_b32 v6, 0x3ff, v0
	s_lshl_b64 s[18:19], s[2:3], 3
	v_bfe_u32 v7, v0, 10, 10
	v_dual_mov_b32 v8, 0 :: v_dual_mov_b32 v1, 0
	v_mov_b32_e32 v0, 0
	s_waitcnt lgkmcnt(0)
	s_add_u32 s2, s4, s18
	s_addc_u32 s3, s5, s19
	v_cmp_lt_i64_e64 s4, s[16:17], 1
	s_load_b64 s[2:3], s[2:3], 0x0
	s_lshl_b32 s20, s13, 5
	s_lshl_b32 s21, s14, 5
	s_delay_alu instid0(VALU_DEP_1)
	s_and_b32 vcc_lo, exec_lo, s4
	s_cbranch_vccnz .LBB1413_3
; %bb.1:
	s_clause 0x1
	s_load_b128 s[12:15], s[0:1], 0x18
	s_load_b128 s[8:11], s[0:1], 0x30
	v_lshl_add_u32 v2, v7, 4, v6
	v_dual_mov_b32 v1, 0 :: v_dual_and_b32 v0, 7, v6
	s_delay_alu instid0(VALU_DEP_2) | instskip(SKIP_2) | instid1(VALU_DEP_3)
	v_lshrrev_b32_e32 v11, 3, v2
	v_and_b32_e32 v12, 31, v2
	v_lshrrev_b32_e32 v2, 5, v2
	v_dual_mov_b32 v3, v1 :: v_dual_add_nc_u32 v10, s21, v11
	s_delay_alu instid0(VALU_DEP_3) | instskip(SKIP_1) | instid1(VALU_DEP_3)
	v_add_nc_u32_e32 v8, s20, v12
	v_lshlrev_b32_e32 v12, 2, v12
	v_ashrrev_i32_e32 v4, 31, v10
	s_delay_alu instid0(VALU_DEP_3) | instskip(NEXT) | instid1(VALU_DEP_3)
	v_ashrrev_i32_e32 v5, 31, v8
	v_lshl_or_b32 v12, v2, 7, v12
	s_waitcnt lgkmcnt(0)
	s_add_u32 s4, s12, s18
	s_addc_u32 s5, s13, s19
	s_add_u32 s8, s8, s18
	s_load_b64 s[4:5], s[4:5], 0x0
	v_mul_lo_u32 v13, v4, s10
	v_mul_lo_u32 v14, s14, v5
	v_mad_u64_u32 v[4:5], null, s14, v8, v[2:3]
	v_mul_lo_u32 v3, s15, v8
	s_addc_u32 s9, s9, s19
	v_mul_lo_u32 v15, v10, s11
	s_load_b64 s[8:9], s[8:9], 0x0
	v_mad_u64_u32 v[8:9], null, v10, s10, v[0:1]
	v_lshlrev_b32_e32 v0, 2, v0
	v_lshlrev_b32_e32 v10, 2, v6
	v_add3_u32 v5, v3, v5, v14
	s_delay_alu instid0(VALU_DEP_3) | instskip(SKIP_1) | instid1(VALU_DEP_3)
	v_lshl_or_b32 v0, v11, 5, v0
	v_add3_u32 v9, v13, v9, v15
	v_lshlrev_b64 v[3:4], 2, v[4:5]
	v_lshl_add_u32 v11, v7, 5, 0x400
	s_delay_alu instid0(VALU_DEP_4) | instskip(NEXT) | instid1(VALU_DEP_4)
	v_dual_mov_b32 v0, v1 :: v_dual_add_nc_u32 v13, 0x400, v0
	v_lshlrev_b64 v[8:9], 2, v[8:9]
	s_waitcnt lgkmcnt(0)
	s_delay_alu instid0(VALU_DEP_4) | instskip(SKIP_2) | instid1(VALU_DEP_3)
	v_add_co_u32 v2, vcc_lo, s4, v3
	v_add_co_ci_u32_e32 v3, vcc_lo, s5, v4, vcc_lo
	s_mov_b64 s[4:5], 0
	v_add_co_u32 v4, vcc_lo, s8, v8
	v_add_co_ci_u32_e32 v5, vcc_lo, s9, v9, vcc_lo
	v_mov_b32_e32 v8, v1
	v_mov_b32_e32 v9, v1
.LBB1413_2:                             ; =>This Inner Loop Header: Depth=1
	global_load_b32 v14, v[2:3], off
	global_load_b32 v15, v[4:5], off
	s_add_u32 s4, s4, 8
	v_add_co_u32 v4, vcc_lo, v4, 32
	s_addc_u32 s5, s5, 0
	v_add_co_ci_u32_e32 v5, vcc_lo, 0, v5, vcc_lo
	v_cmp_ge_u64_e64 s8, s[4:5], s[16:17]
	v_add_co_u32 v2, vcc_lo, v2, 32
	v_add_co_ci_u32_e32 v3, vcc_lo, 0, v3, vcc_lo
	s_waitcnt vmcnt(1)
	ds_store_b32 v12, v14
	s_waitcnt vmcnt(0)
	ds_store_b32 v13, v15
	s_waitcnt lgkmcnt(0)
	s_barrier
	buffer_gl0_inv
	ds_load_2addr_b32 v[30:31], v10 offset1:16
	ds_load_b128 v[14:17], v11
	ds_load_b128 v[18:21], v11 offset:512
	ds_load_2addr_b32 v[32:33], v10 offset0:32 offset1:48
	ds_load_2addr_b32 v[34:35], v10 offset0:64 offset1:80
	ds_load_b128 v[22:25], v11 offset:16
	ds_load_2addr_b32 v[36:37], v10 offset0:96 offset1:112
	ds_load_2addr_b32 v[38:39], v10 offset0:128 offset1:144
	;; [unrolled: 3-line block ×3, first 2 shown]
	ds_load_2addr_b32 v[44:45], v10 offset0:224 offset1:240
	s_and_b32 vcc_lo, exec_lo, s8
	s_waitcnt lgkmcnt(0)
	s_barrier
	buffer_gl0_inv
	v_fmac_f32_e32 v8, v31, v14
	v_fmac_f32_e32 v9, v30, v14
	;; [unrolled: 1-line block ×4, first 2 shown]
	s_delay_alu instid0(VALU_DEP_4) | instskip(NEXT) | instid1(VALU_DEP_4)
	v_fmac_f32_e32 v8, v33, v15
	v_fmac_f32_e32 v9, v32, v15
	s_delay_alu instid0(VALU_DEP_4) | instskip(NEXT) | instid1(VALU_DEP_4)
	v_fmac_f32_e32 v1, v33, v19
	v_fmac_f32_e32 v0, v32, v19
	;; [unrolled: 3-line block ×14, first 2 shown]
	s_cbranch_vccz .LBB1413_2
.LBB1413_3:
	v_add_nc_u32_e32 v7, s21, v7
	s_clause 0x1
	s_load_b32 s5, s[0:1], 0x0
	s_load_b32 s4, s[0:1], 0x10
	s_delay_alu instid0(VALU_DEP_1) | instskip(SKIP_2) | instid1(VALU_DEP_3)
	v_ashrrev_i32_e32 v2, 31, v7
	v_mul_lo_u32 v5, v7, s7
	v_mad_u64_u32 v[3:4], null, v7, s6, 0
	v_mul_lo_u32 v2, v2, s6
	s_delay_alu instid0(VALU_DEP_1) | instskip(SKIP_1) | instid1(VALU_DEP_2)
	v_add3_u32 v4, v4, v5, v2
	v_add_nc_u32_e32 v2, s20, v6
	v_lshlrev_b64 v[3:4], 2, v[3:4]
	s_delay_alu instid0(VALU_DEP_2) | instskip(SKIP_2) | instid1(VALU_DEP_3)
	v_cmp_le_i32_e64 s0, v7, v2
	s_waitcnt lgkmcnt(0)
	v_cmp_gt_i32_e32 vcc_lo, s5, v2
	v_add_co_u32 v6, s1, s2, v3
	s_delay_alu instid0(VALU_DEP_1) | instskip(SKIP_1) | instid1(SALU_CYCLE_1)
	v_add_co_ci_u32_e64 v10, s1, s3, v4, s1
	s_and_b32 s0, s0, vcc_lo
	s_and_saveexec_b32 s1, s0
	s_cbranch_execz .LBB1413_5
; %bb.4:
	v_ashrrev_i32_e32 v3, 31, v2
	v_mul_f32_e32 v5, s4, v9
	s_delay_alu instid0(VALU_DEP_2) | instskip(NEXT) | instid1(VALU_DEP_1)
	v_lshlrev_b64 v[3:4], 2, v[2:3]
	v_add_co_u32 v3, s0, v6, v3
	s_delay_alu instid0(VALU_DEP_1)
	v_add_co_ci_u32_e64 v4, s0, v10, v4, s0
	global_store_b32 v[3:4], v5, off
.LBB1413_5:
	s_or_b32 exec_lo, exec_lo, s1
	v_add_nc_u32_e32 v4, 16, v2
	s_delay_alu instid0(VALU_DEP_1) | instskip(SKIP_1) | instid1(VALU_DEP_1)
	v_cmp_le_i32_e64 s1, v7, v4
	v_cmp_gt_i32_e64 s0, s5, v4
	s_and_b32 s1, s1, s0
	s_delay_alu instid0(SALU_CYCLE_1)
	s_and_saveexec_b32 s5, s1
	s_cbranch_execz .LBB1413_7
; %bb.6:
	v_ashrrev_i32_e32 v5, 31, v4
	v_mul_f32_e32 v3, s4, v8
	s_delay_alu instid0(VALU_DEP_2) | instskip(NEXT) | instid1(VALU_DEP_1)
	v_lshlrev_b64 v[11:12], 2, v[4:5]
	v_add_co_u32 v5, s1, v6, v11
	s_delay_alu instid0(VALU_DEP_1)
	v_add_co_ci_u32_e64 v6, s1, v10, v12, s1
	global_store_b32 v[5:6], v3, off
.LBB1413_7:
	s_or_b32 exec_lo, exec_lo, s5
	v_add_nc_u32_e32 v5, 16, v7
	s_delay_alu instid0(VALU_DEP_1) | instskip(SKIP_3) | instid1(VALU_DEP_4)
	v_ashrrev_i32_e32 v3, 31, v5
	v_mul_lo_u32 v8, v5, s7
	v_mad_u64_u32 v[6:7], null, v5, s6, 0
	v_cmp_le_i32_e64 s1, v5, v2
	v_mul_lo_u32 v3, v3, s6
	s_delay_alu instid0(VALU_DEP_1) | instskip(NEXT) | instid1(VALU_DEP_1)
	v_add3_u32 v7, v7, v8, v3
	v_lshlrev_b64 v[6:7], 2, v[6:7]
	s_delay_alu instid0(VALU_DEP_1) | instskip(NEXT) | instid1(VALU_DEP_1)
	v_add_co_u32 v6, s2, s2, v6
	v_add_co_ci_u32_e64 v7, s2, s3, v7, s2
	s_and_b32 s2, s1, vcc_lo
	s_delay_alu instid0(SALU_CYCLE_1)
	s_and_saveexec_b32 s1, s2
	s_cbranch_execz .LBB1413_9
; %bb.8:
	v_ashrrev_i32_e32 v3, 31, v2
	v_mul_f32_e32 v0, s4, v0
	s_delay_alu instid0(VALU_DEP_2) | instskip(NEXT) | instid1(VALU_DEP_1)
	v_lshlrev_b64 v[2:3], 2, v[2:3]
	v_add_co_u32 v2, vcc_lo, v6, v2
	s_delay_alu instid0(VALU_DEP_2)
	v_add_co_ci_u32_e32 v3, vcc_lo, v7, v3, vcc_lo
	global_store_b32 v[2:3], v0, off
.LBB1413_9:
	s_or_b32 exec_lo, exec_lo, s1
	v_cmp_le_i32_e32 vcc_lo, v5, v4
	s_and_b32 s0, vcc_lo, s0
	s_delay_alu instid0(SALU_CYCLE_1)
	s_and_saveexec_b32 s1, s0
	s_cbranch_execz .LBB1413_11
; %bb.10:
	v_ashrrev_i32_e32 v5, 31, v4
	s_delay_alu instid0(VALU_DEP_1) | instskip(SKIP_1) | instid1(VALU_DEP_2)
	v_lshlrev_b64 v[2:3], 2, v[4:5]
	v_mul_f32_e32 v4, s4, v1
	v_add_co_u32 v0, vcc_lo, v6, v2
	s_delay_alu instid0(VALU_DEP_3)
	v_add_co_ci_u32_e32 v1, vcc_lo, v7, v3, vcc_lo
	global_store_b32 v[0:1], v4, off
.LBB1413_11:
	s_nop 0
	s_sendmsg sendmsg(MSG_DEALLOC_VGPRS)
	s_endpgm
	.section	.rodata,"a",@progbits
	.p2align	6, 0x0
	.amdhsa_kernel _ZL37rocblas_syrkx_herkx_restricted_kernelIlfLi16ELi32ELi8ELb1ELb0ELc67ELc76EKPKfKPfEviT_T0_PT8_S5_lS8_S5_lS6_PT9_S5_li
		.amdhsa_group_segment_fixed_size 2048
		.amdhsa_private_segment_fixed_size 0
		.amdhsa_kernarg_size 108
		.amdhsa_user_sgpr_count 13
		.amdhsa_user_sgpr_dispatch_ptr 0
		.amdhsa_user_sgpr_queue_ptr 0
		.amdhsa_user_sgpr_kernarg_segment_ptr 1
		.amdhsa_user_sgpr_dispatch_id 0
		.amdhsa_user_sgpr_private_segment_size 0
		.amdhsa_wavefront_size32 1
		.amdhsa_uses_dynamic_stack 0
		.amdhsa_enable_private_segment 0
		.amdhsa_system_sgpr_workgroup_id_x 1
		.amdhsa_system_sgpr_workgroup_id_y 1
		.amdhsa_system_sgpr_workgroup_id_z 1
		.amdhsa_system_sgpr_workgroup_info 0
		.amdhsa_system_vgpr_workitem_id 1
		.amdhsa_next_free_vgpr 46
		.amdhsa_next_free_sgpr 22
		.amdhsa_reserve_vcc 1
		.amdhsa_float_round_mode_32 0
		.amdhsa_float_round_mode_16_64 0
		.amdhsa_float_denorm_mode_32 3
		.amdhsa_float_denorm_mode_16_64 3
		.amdhsa_dx10_clamp 1
		.amdhsa_ieee_mode 1
		.amdhsa_fp16_overflow 0
		.amdhsa_workgroup_processor_mode 1
		.amdhsa_memory_ordered 1
		.amdhsa_forward_progress 0
		.amdhsa_shared_vgpr_count 0
		.amdhsa_exception_fp_ieee_invalid_op 0
		.amdhsa_exception_fp_denorm_src 0
		.amdhsa_exception_fp_ieee_div_zero 0
		.amdhsa_exception_fp_ieee_overflow 0
		.amdhsa_exception_fp_ieee_underflow 0
		.amdhsa_exception_fp_ieee_inexact 0
		.amdhsa_exception_int_div_zero 0
	.end_amdhsa_kernel
	.section	.text._ZL37rocblas_syrkx_herkx_restricted_kernelIlfLi16ELi32ELi8ELb1ELb0ELc67ELc76EKPKfKPfEviT_T0_PT8_S5_lS8_S5_lS6_PT9_S5_li,"axG",@progbits,_ZL37rocblas_syrkx_herkx_restricted_kernelIlfLi16ELi32ELi8ELb1ELb0ELc67ELc76EKPKfKPfEviT_T0_PT8_S5_lS8_S5_lS6_PT9_S5_li,comdat
.Lfunc_end1413:
	.size	_ZL37rocblas_syrkx_herkx_restricted_kernelIlfLi16ELi32ELi8ELb1ELb0ELc67ELc76EKPKfKPfEviT_T0_PT8_S5_lS8_S5_lS6_PT9_S5_li, .Lfunc_end1413-_ZL37rocblas_syrkx_herkx_restricted_kernelIlfLi16ELi32ELi8ELb1ELb0ELc67ELc76EKPKfKPfEviT_T0_PT8_S5_lS8_S5_lS6_PT9_S5_li
                                        ; -- End function
	.section	.AMDGPU.csdata,"",@progbits
; Kernel info:
; codeLenInByte = 1312
; NumSgprs: 24
; NumVgprs: 46
; ScratchSize: 0
; MemoryBound: 0
; FloatMode: 240
; IeeeMode: 1
; LDSByteSize: 2048 bytes/workgroup (compile time only)
; SGPRBlocks: 2
; VGPRBlocks: 5
; NumSGPRsForWavesPerEU: 24
; NumVGPRsForWavesPerEU: 46
; Occupancy: 16
; WaveLimiterHint : 1
; COMPUTE_PGM_RSRC2:SCRATCH_EN: 0
; COMPUTE_PGM_RSRC2:USER_SGPR: 13
; COMPUTE_PGM_RSRC2:TRAP_HANDLER: 0
; COMPUTE_PGM_RSRC2:TGID_X_EN: 1
; COMPUTE_PGM_RSRC2:TGID_Y_EN: 1
; COMPUTE_PGM_RSRC2:TGID_Z_EN: 1
; COMPUTE_PGM_RSRC2:TIDIG_COMP_CNT: 1
	.section	.text._ZL37rocblas_syrkx_herkx_restricted_kernelIlfLi16ELi32ELi8ELb1ELb0ELc78ELc76EKPKfKPfEviT_T0_PT8_S5_lS8_S5_lS6_PT9_S5_li,"axG",@progbits,_ZL37rocblas_syrkx_herkx_restricted_kernelIlfLi16ELi32ELi8ELb1ELb0ELc78ELc76EKPKfKPfEviT_T0_PT8_S5_lS8_S5_lS6_PT9_S5_li,comdat
	.globl	_ZL37rocblas_syrkx_herkx_restricted_kernelIlfLi16ELi32ELi8ELb1ELb0ELc78ELc76EKPKfKPfEviT_T0_PT8_S5_lS8_S5_lS6_PT9_S5_li ; -- Begin function _ZL37rocblas_syrkx_herkx_restricted_kernelIlfLi16ELi32ELi8ELb1ELb0ELc78ELc76EKPKfKPfEviT_T0_PT8_S5_lS8_S5_lS6_PT9_S5_li
	.p2align	8
	.type	_ZL37rocblas_syrkx_herkx_restricted_kernelIlfLi16ELi32ELi8ELb1ELb0ELc78ELc76EKPKfKPfEviT_T0_PT8_S5_lS8_S5_lS6_PT9_S5_li,@function
_ZL37rocblas_syrkx_herkx_restricted_kernelIlfLi16ELi32ELi8ELb1ELb0ELc78ELc76EKPKfKPfEviT_T0_PT8_S5_lS8_S5_lS6_PT9_S5_li: ; @_ZL37rocblas_syrkx_herkx_restricted_kernelIlfLi16ELi32ELi8ELb1ELb0ELc78ELc76EKPKfKPfEviT_T0_PT8_S5_lS8_S5_lS6_PT9_S5_li
; %bb.0:
	s_clause 0x1
	s_load_b128 s[4:7], s[0:1], 0x50
	s_load_b64 s[16:17], s[0:1], 0x8
	s_mov_b32 s2, s15
	s_mov_b32 s3, 0
	v_dual_mov_b32 v8, 0 :: v_dual_and_b32 v5, 0x3ff, v0
	s_lshl_b64 s[18:19], s[2:3], 3
	v_bfe_u32 v6, v0, 10, 10
	v_dual_mov_b32 v9, 0 :: v_dual_mov_b32 v4, 0
	v_mov_b32_e32 v7, 0
	s_waitcnt lgkmcnt(0)
	s_add_u32 s2, s4, s18
	s_addc_u32 s3, s5, s19
	v_cmp_lt_i64_e64 s4, s[16:17], 1
	s_load_b64 s[2:3], s[2:3], 0x0
	s_lshl_b32 s20, s13, 5
	s_lshl_b32 s21, s14, 5
	s_delay_alu instid0(VALU_DEP_1)
	s_and_b32 vcc_lo, exec_lo, s4
	s_cbranch_vccnz .LBB1414_3
; %bb.1:
	s_clause 0x1
	s_load_b128 s[8:11], s[0:1], 0x30
	s_load_b128 s[12:15], s[0:1], 0x18
	v_lshl_add_u32 v3, v6, 4, v5
	v_and_b32_e32 v7, 7, v5
	v_lshl_add_u32 v11, v6, 5, 0x400
	s_delay_alu instid0(VALU_DEP_3) | instskip(SKIP_1) | instid1(VALU_DEP_2)
	v_lshrrev_b32_e32 v14, 3, v3
	v_lshrrev_b32_e32 v16, 5, v3
	v_add_nc_u32_e32 v0, s21, v14
	s_delay_alu instid0(VALU_DEP_1) | instskip(SKIP_2) | instid1(VALU_DEP_1)
	v_ashrrev_i32_e32 v1, 31, v0
	s_waitcnt lgkmcnt(0)
	s_add_u32 s4, s12, s18
	v_mad_u64_u32 v[8:9], null, v7, s10, v[0:1]
	v_and_b32_e32 v15, 31, v3
	s_addc_u32 s5, s13, s19
	s_add_u32 s8, s8, s18
	s_addc_u32 s9, s9, s19
	s_load_b64 s[4:5], s[4:5], 0x0
	v_add_nc_u32_e32 v2, s20, v15
	s_load_b64 s[8:9], s[8:9], 0x0
	s_delay_alu instid0(VALU_DEP_1) | instskip(NEXT) | instid1(VALU_DEP_1)
	v_ashrrev_i32_e32 v3, 31, v2
	v_mad_u64_u32 v[0:1], null, v16, s14, v[2:3]
	v_mov_b32_e32 v2, v9
	s_delay_alu instid0(VALU_DEP_1) | instskip(NEXT) | instid1(VALU_DEP_3)
	v_mad_u64_u32 v[3:4], null, v7, s11, v[2:3]
	v_mad_u64_u32 v[12:13], null, v16, s15, v[1:2]
	v_dual_mov_b32 v4, 0 :: v_dual_lshlrev_b32 v1, 2, v7
	v_lshlrev_b32_e32 v10, 2, v5
	v_lshlrev_b32_e32 v13, 2, v15
	v_mov_b32_e32 v9, v3
	v_mov_b32_e32 v7, 0
	s_delay_alu instid0(VALU_DEP_2)
	v_lshlrev_b64 v[2:3], 2, v[8:9]
	v_mov_b32_e32 v8, 0
	v_lshl_or_b32 v14, v14, 5, v1
	v_mov_b32_e32 v1, v12
	v_lshl_or_b32 v12, v16, 7, v13
	v_mov_b32_e32 v9, 0
	s_delay_alu instid0(VALU_DEP_4) | instskip(NEXT) | instid1(VALU_DEP_4)
	v_add_nc_u32_e32 v13, 0x400, v14
	v_lshlrev_b64 v[14:15], 2, v[0:1]
	s_waitcnt lgkmcnt(0)
	v_add_co_u32 v0, vcc_lo, s8, v2
	v_add_co_ci_u32_e32 v1, vcc_lo, s9, v3, vcc_lo
	s_lshl_b64 s[8:9], s[14:15], 5
	s_delay_alu instid0(VALU_DEP_3)
	v_add_co_u32 v2, vcc_lo, s4, v14
	v_add_co_ci_u32_e32 v3, vcc_lo, s5, v15, vcc_lo
	s_lshl_b64 s[4:5], s[10:11], 5
	s_mov_b64 s[10:11], 0
.LBB1414_2:                             ; =>This Inner Loop Header: Depth=1
	global_load_b32 v14, v[2:3], off
	global_load_b32 v15, v[0:1], off
	s_add_u32 s10, s10, 8
	v_add_co_u32 v0, vcc_lo, v0, s4
	s_addc_u32 s11, s11, 0
	v_add_co_ci_u32_e32 v1, vcc_lo, s5, v1, vcc_lo
	v_cmp_ge_u64_e64 s12, s[10:11], s[16:17]
	v_add_co_u32 v2, vcc_lo, v2, s8
	v_add_co_ci_u32_e32 v3, vcc_lo, s9, v3, vcc_lo
	s_waitcnt vmcnt(1)
	ds_store_b32 v12, v14
	s_waitcnt vmcnt(0)
	ds_store_b32 v13, v15
	s_waitcnt lgkmcnt(0)
	s_barrier
	buffer_gl0_inv
	ds_load_2addr_b32 v[30:31], v10 offset1:16
	ds_load_b128 v[14:17], v11
	ds_load_b128 v[18:21], v11 offset:512
	ds_load_2addr_b32 v[32:33], v10 offset0:32 offset1:48
	ds_load_2addr_b32 v[34:35], v10 offset0:64 offset1:80
	ds_load_b128 v[22:25], v11 offset:16
	ds_load_2addr_b32 v[36:37], v10 offset0:96 offset1:112
	ds_load_2addr_b32 v[38:39], v10 offset0:128 offset1:144
	;; [unrolled: 3-line block ×3, first 2 shown]
	ds_load_2addr_b32 v[44:45], v10 offset0:224 offset1:240
	s_and_b32 vcc_lo, exec_lo, s12
	s_waitcnt lgkmcnt(0)
	s_barrier
	buffer_gl0_inv
	v_fmac_f32_e32 v8, v31, v14
	v_fmac_f32_e32 v9, v30, v14
	;; [unrolled: 1-line block ×3, first 2 shown]
	s_delay_alu instid0(VALU_DEP_3) | instskip(NEXT) | instid1(VALU_DEP_3)
	v_dual_fmac_f32 v7, v30, v18 :: v_dual_fmac_f32 v8, v33, v15
	v_fmac_f32_e32 v9, v32, v15
	s_delay_alu instid0(VALU_DEP_3) | instskip(NEXT) | instid1(VALU_DEP_3)
	v_fmac_f32_e32 v4, v33, v19
	v_dual_fmac_f32 v7, v32, v19 :: v_dual_fmac_f32 v8, v35, v16
	s_delay_alu instid0(VALU_DEP_3) | instskip(NEXT) | instid1(VALU_DEP_3)
	v_fmac_f32_e32 v9, v34, v16
	v_fmac_f32_e32 v4, v35, v20
	s_delay_alu instid0(VALU_DEP_3) | instskip(NEXT) | instid1(VALU_DEP_3)
	v_dual_fmac_f32 v7, v34, v20 :: v_dual_fmac_f32 v8, v37, v17
	v_fmac_f32_e32 v9, v36, v17
	s_delay_alu instid0(VALU_DEP_3) | instskip(NEXT) | instid1(VALU_DEP_3)
	v_fmac_f32_e32 v4, v37, v21
	v_dual_fmac_f32 v7, v36, v21 :: v_dual_fmac_f32 v8, v39, v22
	s_delay_alu instid0(VALU_DEP_3) | instskip(NEXT) | instid1(VALU_DEP_3)
	v_fmac_f32_e32 v9, v38, v22
	v_fmac_f32_e32 v4, v39, v26
	;; [unrolled: 9-line block ×3, first 2 shown]
	s_delay_alu instid0(VALU_DEP_3) | instskip(NEXT) | instid1(VALU_DEP_3)
	v_dual_fmac_f32 v7, v42, v28 :: v_dual_fmac_f32 v8, v45, v25
	v_fmac_f32_e32 v9, v44, v25
	s_delay_alu instid0(VALU_DEP_3) | instskip(NEXT) | instid1(VALU_DEP_3)
	v_fmac_f32_e32 v4, v45, v29
	v_fmac_f32_e32 v7, v44, v29
	s_cbranch_vccz .LBB1414_2
.LBB1414_3:
	v_add_nc_u32_e32 v6, s21, v6
	s_clause 0x1
	s_load_b32 s5, s[0:1], 0x0
	s_load_b32 s4, s[0:1], 0x10
	s_delay_alu instid0(VALU_DEP_1) | instskip(SKIP_2) | instid1(VALU_DEP_3)
	v_ashrrev_i32_e32 v0, 31, v6
	v_mul_lo_u32 v3, v6, s7
	v_mad_u64_u32 v[1:2], null, v6, s6, 0
	v_mul_lo_u32 v0, v0, s6
	s_delay_alu instid0(VALU_DEP_1) | instskip(SKIP_1) | instid1(VALU_DEP_2)
	v_add3_u32 v2, v2, v3, v0
	v_add_nc_u32_e32 v0, s20, v5
	v_lshlrev_b64 v[1:2], 2, v[1:2]
	s_delay_alu instid0(VALU_DEP_2) | instskip(SKIP_2) | instid1(VALU_DEP_3)
	v_cmp_le_i32_e64 s0, v6, v0
	s_waitcnt lgkmcnt(0)
	v_cmp_gt_i32_e32 vcc_lo, s5, v0
	v_add_co_u32 v5, s1, s2, v1
	s_delay_alu instid0(VALU_DEP_1) | instskip(SKIP_1) | instid1(SALU_CYCLE_1)
	v_add_co_ci_u32_e64 v10, s1, s3, v2, s1
	s_and_b32 s0, s0, vcc_lo
	s_and_saveexec_b32 s1, s0
	s_cbranch_execz .LBB1414_5
; %bb.4:
	v_ashrrev_i32_e32 v1, 31, v0
	v_mul_f32_e32 v3, s4, v9
	s_delay_alu instid0(VALU_DEP_2) | instskip(NEXT) | instid1(VALU_DEP_1)
	v_lshlrev_b64 v[1:2], 2, v[0:1]
	v_add_co_u32 v1, s0, v5, v1
	s_delay_alu instid0(VALU_DEP_1)
	v_add_co_ci_u32_e64 v2, s0, v10, v2, s0
	global_store_b32 v[1:2], v3, off
.LBB1414_5:
	s_or_b32 exec_lo, exec_lo, s1
	v_add_nc_u32_e32 v2, 16, v0
	s_delay_alu instid0(VALU_DEP_1) | instskip(SKIP_1) | instid1(VALU_DEP_1)
	v_cmp_le_i32_e64 s1, v6, v2
	v_cmp_gt_i32_e64 s0, s5, v2
	s_and_b32 s1, s1, s0
	s_delay_alu instid0(SALU_CYCLE_1)
	s_and_saveexec_b32 s5, s1
	s_cbranch_execz .LBB1414_7
; %bb.6:
	v_ashrrev_i32_e32 v3, 31, v2
	v_mul_f32_e32 v1, s4, v8
	s_delay_alu instid0(VALU_DEP_2) | instskip(NEXT) | instid1(VALU_DEP_1)
	v_lshlrev_b64 v[11:12], 2, v[2:3]
	v_add_co_u32 v8, s1, v5, v11
	s_delay_alu instid0(VALU_DEP_1)
	v_add_co_ci_u32_e64 v9, s1, v10, v12, s1
	global_store_b32 v[8:9], v1, off
.LBB1414_7:
	s_or_b32 exec_lo, exec_lo, s5
	v_add_nc_u32_e32 v3, 16, v6
	s_delay_alu instid0(VALU_DEP_1) | instskip(SKIP_3) | instid1(VALU_DEP_4)
	v_ashrrev_i32_e32 v1, 31, v3
	v_mul_lo_u32 v8, v3, s7
	v_mad_u64_u32 v[5:6], null, v3, s6, 0
	v_cmp_le_i32_e64 s1, v3, v0
	v_mul_lo_u32 v1, v1, s6
	s_delay_alu instid0(VALU_DEP_1) | instskip(NEXT) | instid1(VALU_DEP_1)
	v_add3_u32 v6, v6, v8, v1
	v_lshlrev_b64 v[5:6], 2, v[5:6]
	s_delay_alu instid0(VALU_DEP_1) | instskip(NEXT) | instid1(VALU_DEP_1)
	v_add_co_u32 v5, s2, s2, v5
	v_add_co_ci_u32_e64 v6, s2, s3, v6, s2
	s_and_b32 s2, s1, vcc_lo
	s_delay_alu instid0(SALU_CYCLE_1)
	s_and_saveexec_b32 s1, s2
	s_cbranch_execz .LBB1414_9
; %bb.8:
	v_ashrrev_i32_e32 v1, 31, v0
	v_mul_f32_e32 v7, s4, v7
	s_delay_alu instid0(VALU_DEP_2) | instskip(NEXT) | instid1(VALU_DEP_1)
	v_lshlrev_b64 v[0:1], 2, v[0:1]
	v_add_co_u32 v0, vcc_lo, v5, v0
	s_delay_alu instid0(VALU_DEP_2)
	v_add_co_ci_u32_e32 v1, vcc_lo, v6, v1, vcc_lo
	global_store_b32 v[0:1], v7, off
.LBB1414_9:
	s_or_b32 exec_lo, exec_lo, s1
	v_cmp_le_i32_e32 vcc_lo, v3, v2
	s_and_b32 s0, vcc_lo, s0
	s_delay_alu instid0(SALU_CYCLE_1)
	s_and_saveexec_b32 s1, s0
	s_cbranch_execz .LBB1414_11
; %bb.10:
	v_ashrrev_i32_e32 v3, 31, v2
	s_delay_alu instid0(VALU_DEP_1) | instskip(SKIP_1) | instid1(VALU_DEP_2)
	v_lshlrev_b64 v[0:1], 2, v[2:3]
	v_mul_f32_e32 v2, s4, v4
	v_add_co_u32 v0, vcc_lo, v5, v0
	s_delay_alu instid0(VALU_DEP_3)
	v_add_co_ci_u32_e32 v1, vcc_lo, v6, v1, vcc_lo
	global_store_b32 v[0:1], v2, off
.LBB1414_11:
	s_nop 0
	s_sendmsg sendmsg(MSG_DEALLOC_VGPRS)
	s_endpgm
	.section	.rodata,"a",@progbits
	.p2align	6, 0x0
	.amdhsa_kernel _ZL37rocblas_syrkx_herkx_restricted_kernelIlfLi16ELi32ELi8ELb1ELb0ELc78ELc76EKPKfKPfEviT_T0_PT8_S5_lS8_S5_lS6_PT9_S5_li
		.amdhsa_group_segment_fixed_size 2048
		.amdhsa_private_segment_fixed_size 0
		.amdhsa_kernarg_size 108
		.amdhsa_user_sgpr_count 13
		.amdhsa_user_sgpr_dispatch_ptr 0
		.amdhsa_user_sgpr_queue_ptr 0
		.amdhsa_user_sgpr_kernarg_segment_ptr 1
		.amdhsa_user_sgpr_dispatch_id 0
		.amdhsa_user_sgpr_private_segment_size 0
		.amdhsa_wavefront_size32 1
		.amdhsa_uses_dynamic_stack 0
		.amdhsa_enable_private_segment 0
		.amdhsa_system_sgpr_workgroup_id_x 1
		.amdhsa_system_sgpr_workgroup_id_y 1
		.amdhsa_system_sgpr_workgroup_id_z 1
		.amdhsa_system_sgpr_workgroup_info 0
		.amdhsa_system_vgpr_workitem_id 1
		.amdhsa_next_free_vgpr 46
		.amdhsa_next_free_sgpr 22
		.amdhsa_reserve_vcc 1
		.amdhsa_float_round_mode_32 0
		.amdhsa_float_round_mode_16_64 0
		.amdhsa_float_denorm_mode_32 3
		.amdhsa_float_denorm_mode_16_64 3
		.amdhsa_dx10_clamp 1
		.amdhsa_ieee_mode 1
		.amdhsa_fp16_overflow 0
		.amdhsa_workgroup_processor_mode 1
		.amdhsa_memory_ordered 1
		.amdhsa_forward_progress 0
		.amdhsa_shared_vgpr_count 0
		.amdhsa_exception_fp_ieee_invalid_op 0
		.amdhsa_exception_fp_denorm_src 0
		.amdhsa_exception_fp_ieee_div_zero 0
		.amdhsa_exception_fp_ieee_overflow 0
		.amdhsa_exception_fp_ieee_underflow 0
		.amdhsa_exception_fp_ieee_inexact 0
		.amdhsa_exception_int_div_zero 0
	.end_amdhsa_kernel
	.section	.text._ZL37rocblas_syrkx_herkx_restricted_kernelIlfLi16ELi32ELi8ELb1ELb0ELc78ELc76EKPKfKPfEviT_T0_PT8_S5_lS8_S5_lS6_PT9_S5_li,"axG",@progbits,_ZL37rocblas_syrkx_herkx_restricted_kernelIlfLi16ELi32ELi8ELb1ELb0ELc78ELc76EKPKfKPfEviT_T0_PT8_S5_lS8_S5_lS6_PT9_S5_li,comdat
.Lfunc_end1414:
	.size	_ZL37rocblas_syrkx_herkx_restricted_kernelIlfLi16ELi32ELi8ELb1ELb0ELc78ELc76EKPKfKPfEviT_T0_PT8_S5_lS8_S5_lS6_PT9_S5_li, .Lfunc_end1414-_ZL37rocblas_syrkx_herkx_restricted_kernelIlfLi16ELi32ELi8ELb1ELb0ELc78ELc76EKPKfKPfEviT_T0_PT8_S5_lS8_S5_lS6_PT9_S5_li
                                        ; -- End function
	.section	.AMDGPU.csdata,"",@progbits
; Kernel info:
; codeLenInByte = 1288
; NumSgprs: 24
; NumVgprs: 46
; ScratchSize: 0
; MemoryBound: 0
; FloatMode: 240
; IeeeMode: 1
; LDSByteSize: 2048 bytes/workgroup (compile time only)
; SGPRBlocks: 2
; VGPRBlocks: 5
; NumSGPRsForWavesPerEU: 24
; NumVGPRsForWavesPerEU: 46
; Occupancy: 16
; WaveLimiterHint : 1
; COMPUTE_PGM_RSRC2:SCRATCH_EN: 0
; COMPUTE_PGM_RSRC2:USER_SGPR: 13
; COMPUTE_PGM_RSRC2:TRAP_HANDLER: 0
; COMPUTE_PGM_RSRC2:TGID_X_EN: 1
; COMPUTE_PGM_RSRC2:TGID_Y_EN: 1
; COMPUTE_PGM_RSRC2:TGID_Z_EN: 1
; COMPUTE_PGM_RSRC2:TIDIG_COMP_CNT: 1
	.section	.text._ZL37rocblas_syrkx_herkx_restricted_kernelIlfLi16ELi32ELi8ELb1ELb0ELc84ELc85EKPKfKPfEviT_T0_PT8_S5_lS8_S5_lS6_PT9_S5_li,"axG",@progbits,_ZL37rocblas_syrkx_herkx_restricted_kernelIlfLi16ELi32ELi8ELb1ELb0ELc84ELc85EKPKfKPfEviT_T0_PT8_S5_lS8_S5_lS6_PT9_S5_li,comdat
	.globl	_ZL37rocblas_syrkx_herkx_restricted_kernelIlfLi16ELi32ELi8ELb1ELb0ELc84ELc85EKPKfKPfEviT_T0_PT8_S5_lS8_S5_lS6_PT9_S5_li ; -- Begin function _ZL37rocblas_syrkx_herkx_restricted_kernelIlfLi16ELi32ELi8ELb1ELb0ELc84ELc85EKPKfKPfEviT_T0_PT8_S5_lS8_S5_lS6_PT9_S5_li
	.p2align	8
	.type	_ZL37rocblas_syrkx_herkx_restricted_kernelIlfLi16ELi32ELi8ELb1ELb0ELc84ELc85EKPKfKPfEviT_T0_PT8_S5_lS8_S5_lS6_PT9_S5_li,@function
_ZL37rocblas_syrkx_herkx_restricted_kernelIlfLi16ELi32ELi8ELb1ELb0ELc84ELc85EKPKfKPfEviT_T0_PT8_S5_lS8_S5_lS6_PT9_S5_li: ; @_ZL37rocblas_syrkx_herkx_restricted_kernelIlfLi16ELi32ELi8ELb1ELb0ELc84ELc85EKPKfKPfEviT_T0_PT8_S5_lS8_S5_lS6_PT9_S5_li
; %bb.0:
	s_clause 0x1
	s_load_b128 s[4:7], s[0:1], 0x50
	s_load_b64 s[16:17], s[0:1], 0x8
	s_mov_b32 s2, s15
	s_mov_b32 s3, 0
	v_dual_mov_b32 v9, 0 :: v_dual_and_b32 v6, 0x3ff, v0
	s_lshl_b64 s[18:19], s[2:3], 3
	v_bfe_u32 v7, v0, 10, 10
	v_dual_mov_b32 v8, 0 :: v_dual_mov_b32 v1, 0
	v_mov_b32_e32 v0, 0
	s_waitcnt lgkmcnt(0)
	s_add_u32 s2, s4, s18
	s_addc_u32 s3, s5, s19
	v_cmp_lt_i64_e64 s4, s[16:17], 1
	s_load_b64 s[2:3], s[2:3], 0x0
	s_lshl_b32 s20, s13, 5
	s_lshl_b32 s21, s14, 5
	s_delay_alu instid0(VALU_DEP_1)
	s_and_b32 vcc_lo, exec_lo, s4
	s_cbranch_vccnz .LBB1415_3
; %bb.1:
	s_clause 0x1
	s_load_b128 s[12:15], s[0:1], 0x18
	s_load_b128 s[8:11], s[0:1], 0x30
	v_lshl_add_u32 v2, v7, 4, v6
	v_dual_mov_b32 v1, 0 :: v_dual_and_b32 v0, 7, v6
	s_delay_alu instid0(VALU_DEP_2) | instskip(SKIP_2) | instid1(VALU_DEP_3)
	v_lshrrev_b32_e32 v11, 3, v2
	v_and_b32_e32 v12, 31, v2
	v_lshrrev_b32_e32 v2, 5, v2
	v_dual_mov_b32 v3, v1 :: v_dual_add_nc_u32 v10, s21, v11
	s_delay_alu instid0(VALU_DEP_3) | instskip(SKIP_1) | instid1(VALU_DEP_3)
	v_add_nc_u32_e32 v8, s20, v12
	v_lshlrev_b32_e32 v12, 2, v12
	v_ashrrev_i32_e32 v4, 31, v10
	s_delay_alu instid0(VALU_DEP_3) | instskip(NEXT) | instid1(VALU_DEP_3)
	v_ashrrev_i32_e32 v5, 31, v8
	v_lshl_or_b32 v12, v2, 7, v12
	s_waitcnt lgkmcnt(0)
	s_add_u32 s4, s12, s18
	s_addc_u32 s5, s13, s19
	s_add_u32 s8, s8, s18
	s_load_b64 s[4:5], s[4:5], 0x0
	v_mul_lo_u32 v13, v4, s10
	v_mul_lo_u32 v14, s14, v5
	v_mad_u64_u32 v[4:5], null, s14, v8, v[2:3]
	v_mul_lo_u32 v3, s15, v8
	s_addc_u32 s9, s9, s19
	v_mul_lo_u32 v15, v10, s11
	s_load_b64 s[8:9], s[8:9], 0x0
	v_mad_u64_u32 v[8:9], null, v10, s10, v[0:1]
	v_lshlrev_b32_e32 v0, 2, v0
	v_lshlrev_b32_e32 v10, 2, v6
	v_add3_u32 v5, v3, v5, v14
	s_delay_alu instid0(VALU_DEP_3) | instskip(SKIP_1) | instid1(VALU_DEP_3)
	v_lshl_or_b32 v0, v11, 5, v0
	v_add3_u32 v9, v13, v9, v15
	v_lshlrev_b64 v[3:4], 2, v[4:5]
	v_lshl_add_u32 v11, v7, 5, 0x400
	s_delay_alu instid0(VALU_DEP_4) | instskip(NEXT) | instid1(VALU_DEP_4)
	v_dual_mov_b32 v0, v1 :: v_dual_add_nc_u32 v13, 0x400, v0
	v_lshlrev_b64 v[8:9], 2, v[8:9]
	s_waitcnt lgkmcnt(0)
	s_delay_alu instid0(VALU_DEP_4) | instskip(SKIP_2) | instid1(VALU_DEP_3)
	v_add_co_u32 v2, vcc_lo, s4, v3
	v_add_co_ci_u32_e32 v3, vcc_lo, s5, v4, vcc_lo
	s_mov_b64 s[4:5], 0
	v_add_co_u32 v4, vcc_lo, s8, v8
	v_add_co_ci_u32_e32 v5, vcc_lo, s9, v9, vcc_lo
	v_mov_b32_e32 v8, v1
	v_mov_b32_e32 v9, v1
.LBB1415_2:                             ; =>This Inner Loop Header: Depth=1
	global_load_b32 v14, v[2:3], off
	global_load_b32 v15, v[4:5], off
	s_add_u32 s4, s4, 8
	v_add_co_u32 v4, vcc_lo, v4, 32
	s_addc_u32 s5, s5, 0
	v_add_co_ci_u32_e32 v5, vcc_lo, 0, v5, vcc_lo
	v_cmp_ge_u64_e64 s8, s[4:5], s[16:17]
	v_add_co_u32 v2, vcc_lo, v2, 32
	v_add_co_ci_u32_e32 v3, vcc_lo, 0, v3, vcc_lo
	s_waitcnt vmcnt(1)
	ds_store_b32 v12, v14
	s_waitcnt vmcnt(0)
	ds_store_b32 v13, v15
	s_waitcnt lgkmcnt(0)
	s_barrier
	buffer_gl0_inv
	ds_load_2addr_b32 v[30:31], v10 offset1:16
	ds_load_b128 v[14:17], v11
	ds_load_b128 v[18:21], v11 offset:512
	ds_load_2addr_b32 v[32:33], v10 offset0:32 offset1:48
	ds_load_2addr_b32 v[34:35], v10 offset0:64 offset1:80
	ds_load_b128 v[22:25], v11 offset:16
	ds_load_2addr_b32 v[36:37], v10 offset0:96 offset1:112
	ds_load_2addr_b32 v[38:39], v10 offset0:128 offset1:144
	;; [unrolled: 3-line block ×3, first 2 shown]
	ds_load_2addr_b32 v[44:45], v10 offset0:224 offset1:240
	s_and_b32 vcc_lo, exec_lo, s8
	s_waitcnt lgkmcnt(0)
	s_barrier
	buffer_gl0_inv
	v_fmac_f32_e32 v8, v31, v14
	v_fmac_f32_e32 v9, v30, v14
	;; [unrolled: 1-line block ×4, first 2 shown]
	s_delay_alu instid0(VALU_DEP_4) | instskip(NEXT) | instid1(VALU_DEP_4)
	v_fmac_f32_e32 v8, v33, v15
	v_fmac_f32_e32 v9, v32, v15
	s_delay_alu instid0(VALU_DEP_4) | instskip(NEXT) | instid1(VALU_DEP_4)
	v_fmac_f32_e32 v1, v33, v19
	v_fmac_f32_e32 v0, v32, v19
	;; [unrolled: 3-line block ×14, first 2 shown]
	s_cbranch_vccz .LBB1415_2
.LBB1415_3:
	v_add_nc_u32_e32 v7, s21, v7
	s_clause 0x1
	s_load_b32 s5, s[0:1], 0x0
	s_load_b32 s4, s[0:1], 0x10
	s_delay_alu instid0(VALU_DEP_1) | instskip(SKIP_2) | instid1(VALU_DEP_3)
	v_ashrrev_i32_e32 v2, 31, v7
	v_mul_lo_u32 v5, v7, s7
	v_mad_u64_u32 v[3:4], null, v7, s6, 0
	v_mul_lo_u32 v2, v2, s6
	s_delay_alu instid0(VALU_DEP_1) | instskip(SKIP_3) | instid1(VALU_DEP_3)
	v_add3_u32 v4, v4, v5, v2
	v_add_nc_u32_e32 v2, s20, v6
	s_waitcnt lgkmcnt(0)
	v_cmp_gt_i32_e32 vcc_lo, s5, v7
	v_lshlrev_b64 v[3:4], 2, v[3:4]
	s_delay_alu instid0(VALU_DEP_3) | instskip(NEXT) | instid1(VALU_DEP_1)
	v_cmp_le_i32_e64 s0, v2, v7
	s_and_b32 s0, vcc_lo, s0
	s_delay_alu instid0(VALU_DEP_2) | instskip(NEXT) | instid1(VALU_DEP_1)
	v_add_co_u32 v6, s1, s2, v3
	v_add_co_ci_u32_e64 v10, s1, s3, v4, s1
	s_and_saveexec_b32 s1, s0
	s_cbranch_execz .LBB1415_5
; %bb.4:
	v_ashrrev_i32_e32 v3, 31, v2
	v_mul_f32_e32 v5, s4, v9
	s_delay_alu instid0(VALU_DEP_2) | instskip(NEXT) | instid1(VALU_DEP_1)
	v_lshlrev_b64 v[3:4], 2, v[2:3]
	v_add_co_u32 v3, s0, v6, v3
	s_delay_alu instid0(VALU_DEP_1)
	v_add_co_ci_u32_e64 v4, s0, v10, v4, s0
	global_store_b32 v[3:4], v5, off
.LBB1415_5:
	s_or_b32 exec_lo, exec_lo, s1
	v_add_nc_u32_e32 v4, 16, v2
	s_delay_alu instid0(VALU_DEP_1) | instskip(NEXT) | instid1(VALU_DEP_1)
	v_cmp_le_i32_e64 s0, v4, v7
	s_and_b32 s1, vcc_lo, s0
	s_delay_alu instid0(SALU_CYCLE_1)
	s_and_saveexec_b32 s0, s1
	s_cbranch_execz .LBB1415_7
; %bb.6:
	v_ashrrev_i32_e32 v5, 31, v4
	v_mul_f32_e32 v3, s4, v8
	s_delay_alu instid0(VALU_DEP_2) | instskip(NEXT) | instid1(VALU_DEP_1)
	v_lshlrev_b64 v[11:12], 2, v[4:5]
	v_add_co_u32 v5, vcc_lo, v6, v11
	s_delay_alu instid0(VALU_DEP_2)
	v_add_co_ci_u32_e32 v6, vcc_lo, v10, v12, vcc_lo
	global_store_b32 v[5:6], v3, off
.LBB1415_7:
	s_or_b32 exec_lo, exec_lo, s0
	v_add_nc_u32_e32 v5, 16, v7
	s_delay_alu instid0(VALU_DEP_1) | instskip(SKIP_3) | instid1(VALU_DEP_4)
	v_ashrrev_i32_e32 v3, 31, v5
	v_mul_lo_u32 v8, v5, s7
	v_mad_u64_u32 v[6:7], null, v5, s6, 0
	v_cmp_gt_i32_e32 vcc_lo, s5, v5
	v_mul_lo_u32 v3, v3, s6
	v_cmp_le_i32_e64 s0, v2, v5
	s_delay_alu instid0(VALU_DEP_1) | instskip(NEXT) | instid1(VALU_DEP_2)
	s_and_b32 s0, vcc_lo, s0
	v_add3_u32 v7, v7, v8, v3
	s_delay_alu instid0(VALU_DEP_1) | instskip(NEXT) | instid1(VALU_DEP_1)
	v_lshlrev_b64 v[6:7], 2, v[6:7]
	v_add_co_u32 v6, s1, s2, v6
	s_delay_alu instid0(VALU_DEP_1)
	v_add_co_ci_u32_e64 v7, s1, s3, v7, s1
	s_and_saveexec_b32 s1, s0
	s_cbranch_execz .LBB1415_9
; %bb.8:
	v_ashrrev_i32_e32 v3, 31, v2
	v_mul_f32_e32 v0, s4, v0
	s_delay_alu instid0(VALU_DEP_2) | instskip(NEXT) | instid1(VALU_DEP_1)
	v_lshlrev_b64 v[2:3], 2, v[2:3]
	v_add_co_u32 v2, s0, v6, v2
	s_delay_alu instid0(VALU_DEP_1)
	v_add_co_ci_u32_e64 v3, s0, v7, v3, s0
	global_store_b32 v[2:3], v0, off
.LBB1415_9:
	s_or_b32 exec_lo, exec_lo, s1
	v_cmp_le_i32_e64 s0, v4, v5
	s_delay_alu instid0(VALU_DEP_1) | instskip(NEXT) | instid1(SALU_CYCLE_1)
	s_and_b32 s0, vcc_lo, s0
	s_and_saveexec_b32 s1, s0
	s_cbranch_execz .LBB1415_11
; %bb.10:
	v_ashrrev_i32_e32 v5, 31, v4
	s_delay_alu instid0(VALU_DEP_1) | instskip(SKIP_1) | instid1(VALU_DEP_2)
	v_lshlrev_b64 v[2:3], 2, v[4:5]
	v_mul_f32_e32 v4, s4, v1
	v_add_co_u32 v0, vcc_lo, v6, v2
	s_delay_alu instid0(VALU_DEP_3)
	v_add_co_ci_u32_e32 v1, vcc_lo, v7, v3, vcc_lo
	global_store_b32 v[0:1], v4, off
.LBB1415_11:
	s_nop 0
	s_sendmsg sendmsg(MSG_DEALLOC_VGPRS)
	s_endpgm
	.section	.rodata,"a",@progbits
	.p2align	6, 0x0
	.amdhsa_kernel _ZL37rocblas_syrkx_herkx_restricted_kernelIlfLi16ELi32ELi8ELb1ELb0ELc84ELc85EKPKfKPfEviT_T0_PT8_S5_lS8_S5_lS6_PT9_S5_li
		.amdhsa_group_segment_fixed_size 2048
		.amdhsa_private_segment_fixed_size 0
		.amdhsa_kernarg_size 108
		.amdhsa_user_sgpr_count 13
		.amdhsa_user_sgpr_dispatch_ptr 0
		.amdhsa_user_sgpr_queue_ptr 0
		.amdhsa_user_sgpr_kernarg_segment_ptr 1
		.amdhsa_user_sgpr_dispatch_id 0
		.amdhsa_user_sgpr_private_segment_size 0
		.amdhsa_wavefront_size32 1
		.amdhsa_uses_dynamic_stack 0
		.amdhsa_enable_private_segment 0
		.amdhsa_system_sgpr_workgroup_id_x 1
		.amdhsa_system_sgpr_workgroup_id_y 1
		.amdhsa_system_sgpr_workgroup_id_z 1
		.amdhsa_system_sgpr_workgroup_info 0
		.amdhsa_system_vgpr_workitem_id 1
		.amdhsa_next_free_vgpr 46
		.amdhsa_next_free_sgpr 22
		.amdhsa_reserve_vcc 1
		.amdhsa_float_round_mode_32 0
		.amdhsa_float_round_mode_16_64 0
		.amdhsa_float_denorm_mode_32 3
		.amdhsa_float_denorm_mode_16_64 3
		.amdhsa_dx10_clamp 1
		.amdhsa_ieee_mode 1
		.amdhsa_fp16_overflow 0
		.amdhsa_workgroup_processor_mode 1
		.amdhsa_memory_ordered 1
		.amdhsa_forward_progress 0
		.amdhsa_shared_vgpr_count 0
		.amdhsa_exception_fp_ieee_invalid_op 0
		.amdhsa_exception_fp_denorm_src 0
		.amdhsa_exception_fp_ieee_div_zero 0
		.amdhsa_exception_fp_ieee_overflow 0
		.amdhsa_exception_fp_ieee_underflow 0
		.amdhsa_exception_fp_ieee_inexact 0
		.amdhsa_exception_int_div_zero 0
	.end_amdhsa_kernel
	.section	.text._ZL37rocblas_syrkx_herkx_restricted_kernelIlfLi16ELi32ELi8ELb1ELb0ELc84ELc85EKPKfKPfEviT_T0_PT8_S5_lS8_S5_lS6_PT9_S5_li,"axG",@progbits,_ZL37rocblas_syrkx_herkx_restricted_kernelIlfLi16ELi32ELi8ELb1ELb0ELc84ELc85EKPKfKPfEviT_T0_PT8_S5_lS8_S5_lS6_PT9_S5_li,comdat
.Lfunc_end1415:
	.size	_ZL37rocblas_syrkx_herkx_restricted_kernelIlfLi16ELi32ELi8ELb1ELb0ELc84ELc85EKPKfKPfEviT_T0_PT8_S5_lS8_S5_lS6_PT9_S5_li, .Lfunc_end1415-_ZL37rocblas_syrkx_herkx_restricted_kernelIlfLi16ELi32ELi8ELb1ELb0ELc84ELc85EKPKfKPfEviT_T0_PT8_S5_lS8_S5_lS6_PT9_S5_li
                                        ; -- End function
	.section	.AMDGPU.csdata,"",@progbits
; Kernel info:
; codeLenInByte = 1312
; NumSgprs: 24
; NumVgprs: 46
; ScratchSize: 0
; MemoryBound: 0
; FloatMode: 240
; IeeeMode: 1
; LDSByteSize: 2048 bytes/workgroup (compile time only)
; SGPRBlocks: 2
; VGPRBlocks: 5
; NumSGPRsForWavesPerEU: 24
; NumVGPRsForWavesPerEU: 46
; Occupancy: 16
; WaveLimiterHint : 1
; COMPUTE_PGM_RSRC2:SCRATCH_EN: 0
; COMPUTE_PGM_RSRC2:USER_SGPR: 13
; COMPUTE_PGM_RSRC2:TRAP_HANDLER: 0
; COMPUTE_PGM_RSRC2:TGID_X_EN: 1
; COMPUTE_PGM_RSRC2:TGID_Y_EN: 1
; COMPUTE_PGM_RSRC2:TGID_Z_EN: 1
; COMPUTE_PGM_RSRC2:TIDIG_COMP_CNT: 1
	.section	.text._ZL37rocblas_syrkx_herkx_restricted_kernelIlfLi16ELi32ELi8ELb1ELb0ELc67ELc85EKPKfKPfEviT_T0_PT8_S5_lS8_S5_lS6_PT9_S5_li,"axG",@progbits,_ZL37rocblas_syrkx_herkx_restricted_kernelIlfLi16ELi32ELi8ELb1ELb0ELc67ELc85EKPKfKPfEviT_T0_PT8_S5_lS8_S5_lS6_PT9_S5_li,comdat
	.globl	_ZL37rocblas_syrkx_herkx_restricted_kernelIlfLi16ELi32ELi8ELb1ELb0ELc67ELc85EKPKfKPfEviT_T0_PT8_S5_lS8_S5_lS6_PT9_S5_li ; -- Begin function _ZL37rocblas_syrkx_herkx_restricted_kernelIlfLi16ELi32ELi8ELb1ELb0ELc67ELc85EKPKfKPfEviT_T0_PT8_S5_lS8_S5_lS6_PT9_S5_li
	.p2align	8
	.type	_ZL37rocblas_syrkx_herkx_restricted_kernelIlfLi16ELi32ELi8ELb1ELb0ELc67ELc85EKPKfKPfEviT_T0_PT8_S5_lS8_S5_lS6_PT9_S5_li,@function
_ZL37rocblas_syrkx_herkx_restricted_kernelIlfLi16ELi32ELi8ELb1ELb0ELc67ELc85EKPKfKPfEviT_T0_PT8_S5_lS8_S5_lS6_PT9_S5_li: ; @_ZL37rocblas_syrkx_herkx_restricted_kernelIlfLi16ELi32ELi8ELb1ELb0ELc67ELc85EKPKfKPfEviT_T0_PT8_S5_lS8_S5_lS6_PT9_S5_li
; %bb.0:
	s_clause 0x1
	s_load_b128 s[4:7], s[0:1], 0x50
	s_load_b64 s[16:17], s[0:1], 0x8
	s_mov_b32 s2, s15
	s_mov_b32 s3, 0
	v_dual_mov_b32 v9, 0 :: v_dual_and_b32 v6, 0x3ff, v0
	s_lshl_b64 s[18:19], s[2:3], 3
	v_bfe_u32 v7, v0, 10, 10
	v_dual_mov_b32 v8, 0 :: v_dual_mov_b32 v1, 0
	v_mov_b32_e32 v0, 0
	s_waitcnt lgkmcnt(0)
	s_add_u32 s2, s4, s18
	s_addc_u32 s3, s5, s19
	v_cmp_lt_i64_e64 s4, s[16:17], 1
	s_load_b64 s[2:3], s[2:3], 0x0
	s_lshl_b32 s20, s13, 5
	s_lshl_b32 s21, s14, 5
	s_delay_alu instid0(VALU_DEP_1)
	s_and_b32 vcc_lo, exec_lo, s4
	s_cbranch_vccnz .LBB1416_3
; %bb.1:
	s_clause 0x1
	s_load_b128 s[12:15], s[0:1], 0x18
	s_load_b128 s[8:11], s[0:1], 0x30
	v_lshl_add_u32 v2, v7, 4, v6
	v_dual_mov_b32 v1, 0 :: v_dual_and_b32 v0, 7, v6
	s_delay_alu instid0(VALU_DEP_2) | instskip(SKIP_2) | instid1(VALU_DEP_3)
	v_lshrrev_b32_e32 v11, 3, v2
	v_and_b32_e32 v12, 31, v2
	v_lshrrev_b32_e32 v2, 5, v2
	v_dual_mov_b32 v3, v1 :: v_dual_add_nc_u32 v10, s21, v11
	s_delay_alu instid0(VALU_DEP_3) | instskip(SKIP_1) | instid1(VALU_DEP_3)
	v_add_nc_u32_e32 v8, s20, v12
	v_lshlrev_b32_e32 v12, 2, v12
	v_ashrrev_i32_e32 v4, 31, v10
	s_delay_alu instid0(VALU_DEP_3) | instskip(NEXT) | instid1(VALU_DEP_3)
	v_ashrrev_i32_e32 v5, 31, v8
	v_lshl_or_b32 v12, v2, 7, v12
	s_waitcnt lgkmcnt(0)
	s_add_u32 s4, s12, s18
	s_addc_u32 s5, s13, s19
	s_add_u32 s8, s8, s18
	s_load_b64 s[4:5], s[4:5], 0x0
	v_mul_lo_u32 v13, v4, s10
	v_mul_lo_u32 v14, s14, v5
	v_mad_u64_u32 v[4:5], null, s14, v8, v[2:3]
	v_mul_lo_u32 v3, s15, v8
	s_addc_u32 s9, s9, s19
	v_mul_lo_u32 v15, v10, s11
	s_load_b64 s[8:9], s[8:9], 0x0
	v_mad_u64_u32 v[8:9], null, v10, s10, v[0:1]
	v_lshlrev_b32_e32 v0, 2, v0
	v_lshlrev_b32_e32 v10, 2, v6
	v_add3_u32 v5, v3, v5, v14
	s_delay_alu instid0(VALU_DEP_3) | instskip(SKIP_1) | instid1(VALU_DEP_3)
	v_lshl_or_b32 v0, v11, 5, v0
	v_add3_u32 v9, v13, v9, v15
	v_lshlrev_b64 v[3:4], 2, v[4:5]
	v_lshl_add_u32 v11, v7, 5, 0x400
	s_delay_alu instid0(VALU_DEP_4) | instskip(NEXT) | instid1(VALU_DEP_4)
	v_dual_mov_b32 v0, v1 :: v_dual_add_nc_u32 v13, 0x400, v0
	v_lshlrev_b64 v[8:9], 2, v[8:9]
	s_waitcnt lgkmcnt(0)
	s_delay_alu instid0(VALU_DEP_4) | instskip(SKIP_2) | instid1(VALU_DEP_3)
	v_add_co_u32 v2, vcc_lo, s4, v3
	v_add_co_ci_u32_e32 v3, vcc_lo, s5, v4, vcc_lo
	s_mov_b64 s[4:5], 0
	v_add_co_u32 v4, vcc_lo, s8, v8
	v_add_co_ci_u32_e32 v5, vcc_lo, s9, v9, vcc_lo
	v_mov_b32_e32 v8, v1
	v_mov_b32_e32 v9, v1
.LBB1416_2:                             ; =>This Inner Loop Header: Depth=1
	global_load_b32 v14, v[2:3], off
	global_load_b32 v15, v[4:5], off
	s_add_u32 s4, s4, 8
	v_add_co_u32 v4, vcc_lo, v4, 32
	s_addc_u32 s5, s5, 0
	v_add_co_ci_u32_e32 v5, vcc_lo, 0, v5, vcc_lo
	v_cmp_ge_u64_e64 s8, s[4:5], s[16:17]
	v_add_co_u32 v2, vcc_lo, v2, 32
	v_add_co_ci_u32_e32 v3, vcc_lo, 0, v3, vcc_lo
	s_waitcnt vmcnt(1)
	ds_store_b32 v12, v14
	s_waitcnt vmcnt(0)
	ds_store_b32 v13, v15
	s_waitcnt lgkmcnt(0)
	s_barrier
	buffer_gl0_inv
	ds_load_2addr_b32 v[30:31], v10 offset1:16
	ds_load_b128 v[14:17], v11
	ds_load_b128 v[18:21], v11 offset:512
	ds_load_2addr_b32 v[32:33], v10 offset0:32 offset1:48
	ds_load_2addr_b32 v[34:35], v10 offset0:64 offset1:80
	ds_load_b128 v[22:25], v11 offset:16
	ds_load_2addr_b32 v[36:37], v10 offset0:96 offset1:112
	ds_load_2addr_b32 v[38:39], v10 offset0:128 offset1:144
	;; [unrolled: 3-line block ×3, first 2 shown]
	ds_load_2addr_b32 v[44:45], v10 offset0:224 offset1:240
	s_and_b32 vcc_lo, exec_lo, s8
	s_waitcnt lgkmcnt(0)
	s_barrier
	buffer_gl0_inv
	v_fmac_f32_e32 v8, v31, v14
	v_fmac_f32_e32 v9, v30, v14
	;; [unrolled: 1-line block ×4, first 2 shown]
	s_delay_alu instid0(VALU_DEP_4) | instskip(NEXT) | instid1(VALU_DEP_4)
	v_fmac_f32_e32 v8, v33, v15
	v_fmac_f32_e32 v9, v32, v15
	s_delay_alu instid0(VALU_DEP_4) | instskip(NEXT) | instid1(VALU_DEP_4)
	v_fmac_f32_e32 v1, v33, v19
	v_fmac_f32_e32 v0, v32, v19
	;; [unrolled: 3-line block ×14, first 2 shown]
	s_cbranch_vccz .LBB1416_2
.LBB1416_3:
	v_add_nc_u32_e32 v7, s21, v7
	s_clause 0x1
	s_load_b32 s5, s[0:1], 0x0
	s_load_b32 s4, s[0:1], 0x10
	s_delay_alu instid0(VALU_DEP_1) | instskip(SKIP_2) | instid1(VALU_DEP_3)
	v_ashrrev_i32_e32 v2, 31, v7
	v_mul_lo_u32 v5, v7, s7
	v_mad_u64_u32 v[3:4], null, v7, s6, 0
	v_mul_lo_u32 v2, v2, s6
	s_delay_alu instid0(VALU_DEP_1) | instskip(SKIP_3) | instid1(VALU_DEP_3)
	v_add3_u32 v4, v4, v5, v2
	v_add_nc_u32_e32 v2, s20, v6
	s_waitcnt lgkmcnt(0)
	v_cmp_gt_i32_e32 vcc_lo, s5, v7
	v_lshlrev_b64 v[3:4], 2, v[3:4]
	s_delay_alu instid0(VALU_DEP_3) | instskip(NEXT) | instid1(VALU_DEP_1)
	v_cmp_le_i32_e64 s0, v2, v7
	s_and_b32 s0, vcc_lo, s0
	s_delay_alu instid0(VALU_DEP_2) | instskip(NEXT) | instid1(VALU_DEP_1)
	v_add_co_u32 v6, s1, s2, v3
	v_add_co_ci_u32_e64 v10, s1, s3, v4, s1
	s_and_saveexec_b32 s1, s0
	s_cbranch_execz .LBB1416_5
; %bb.4:
	v_ashrrev_i32_e32 v3, 31, v2
	v_mul_f32_e32 v5, s4, v9
	s_delay_alu instid0(VALU_DEP_2) | instskip(NEXT) | instid1(VALU_DEP_1)
	v_lshlrev_b64 v[3:4], 2, v[2:3]
	v_add_co_u32 v3, s0, v6, v3
	s_delay_alu instid0(VALU_DEP_1)
	v_add_co_ci_u32_e64 v4, s0, v10, v4, s0
	global_store_b32 v[3:4], v5, off
.LBB1416_5:
	s_or_b32 exec_lo, exec_lo, s1
	v_add_nc_u32_e32 v4, 16, v2
	s_delay_alu instid0(VALU_DEP_1) | instskip(NEXT) | instid1(VALU_DEP_1)
	v_cmp_le_i32_e64 s0, v4, v7
	s_and_b32 s1, vcc_lo, s0
	s_delay_alu instid0(SALU_CYCLE_1)
	s_and_saveexec_b32 s0, s1
	s_cbranch_execz .LBB1416_7
; %bb.6:
	v_ashrrev_i32_e32 v5, 31, v4
	v_mul_f32_e32 v3, s4, v8
	s_delay_alu instid0(VALU_DEP_2) | instskip(NEXT) | instid1(VALU_DEP_1)
	v_lshlrev_b64 v[11:12], 2, v[4:5]
	v_add_co_u32 v5, vcc_lo, v6, v11
	s_delay_alu instid0(VALU_DEP_2)
	v_add_co_ci_u32_e32 v6, vcc_lo, v10, v12, vcc_lo
	global_store_b32 v[5:6], v3, off
.LBB1416_7:
	s_or_b32 exec_lo, exec_lo, s0
	v_add_nc_u32_e32 v5, 16, v7
	s_delay_alu instid0(VALU_DEP_1) | instskip(SKIP_3) | instid1(VALU_DEP_4)
	v_ashrrev_i32_e32 v3, 31, v5
	v_mul_lo_u32 v8, v5, s7
	v_mad_u64_u32 v[6:7], null, v5, s6, 0
	v_cmp_gt_i32_e32 vcc_lo, s5, v5
	v_mul_lo_u32 v3, v3, s6
	v_cmp_le_i32_e64 s0, v2, v5
	s_delay_alu instid0(VALU_DEP_1) | instskip(NEXT) | instid1(VALU_DEP_2)
	s_and_b32 s0, vcc_lo, s0
	v_add3_u32 v7, v7, v8, v3
	s_delay_alu instid0(VALU_DEP_1) | instskip(NEXT) | instid1(VALU_DEP_1)
	v_lshlrev_b64 v[6:7], 2, v[6:7]
	v_add_co_u32 v6, s1, s2, v6
	s_delay_alu instid0(VALU_DEP_1)
	v_add_co_ci_u32_e64 v7, s1, s3, v7, s1
	s_and_saveexec_b32 s1, s0
	s_cbranch_execz .LBB1416_9
; %bb.8:
	v_ashrrev_i32_e32 v3, 31, v2
	v_mul_f32_e32 v0, s4, v0
	s_delay_alu instid0(VALU_DEP_2) | instskip(NEXT) | instid1(VALU_DEP_1)
	v_lshlrev_b64 v[2:3], 2, v[2:3]
	v_add_co_u32 v2, s0, v6, v2
	s_delay_alu instid0(VALU_DEP_1)
	v_add_co_ci_u32_e64 v3, s0, v7, v3, s0
	global_store_b32 v[2:3], v0, off
.LBB1416_9:
	s_or_b32 exec_lo, exec_lo, s1
	v_cmp_le_i32_e64 s0, v4, v5
	s_delay_alu instid0(VALU_DEP_1) | instskip(NEXT) | instid1(SALU_CYCLE_1)
	s_and_b32 s0, vcc_lo, s0
	s_and_saveexec_b32 s1, s0
	s_cbranch_execz .LBB1416_11
; %bb.10:
	v_ashrrev_i32_e32 v5, 31, v4
	s_delay_alu instid0(VALU_DEP_1) | instskip(SKIP_1) | instid1(VALU_DEP_2)
	v_lshlrev_b64 v[2:3], 2, v[4:5]
	v_mul_f32_e32 v4, s4, v1
	v_add_co_u32 v0, vcc_lo, v6, v2
	s_delay_alu instid0(VALU_DEP_3)
	v_add_co_ci_u32_e32 v1, vcc_lo, v7, v3, vcc_lo
	global_store_b32 v[0:1], v4, off
.LBB1416_11:
	s_nop 0
	s_sendmsg sendmsg(MSG_DEALLOC_VGPRS)
	s_endpgm
	.section	.rodata,"a",@progbits
	.p2align	6, 0x0
	.amdhsa_kernel _ZL37rocblas_syrkx_herkx_restricted_kernelIlfLi16ELi32ELi8ELb1ELb0ELc67ELc85EKPKfKPfEviT_T0_PT8_S5_lS8_S5_lS6_PT9_S5_li
		.amdhsa_group_segment_fixed_size 2048
		.amdhsa_private_segment_fixed_size 0
		.amdhsa_kernarg_size 108
		.amdhsa_user_sgpr_count 13
		.amdhsa_user_sgpr_dispatch_ptr 0
		.amdhsa_user_sgpr_queue_ptr 0
		.amdhsa_user_sgpr_kernarg_segment_ptr 1
		.amdhsa_user_sgpr_dispatch_id 0
		.amdhsa_user_sgpr_private_segment_size 0
		.amdhsa_wavefront_size32 1
		.amdhsa_uses_dynamic_stack 0
		.amdhsa_enable_private_segment 0
		.amdhsa_system_sgpr_workgroup_id_x 1
		.amdhsa_system_sgpr_workgroup_id_y 1
		.amdhsa_system_sgpr_workgroup_id_z 1
		.amdhsa_system_sgpr_workgroup_info 0
		.amdhsa_system_vgpr_workitem_id 1
		.amdhsa_next_free_vgpr 46
		.amdhsa_next_free_sgpr 22
		.amdhsa_reserve_vcc 1
		.amdhsa_float_round_mode_32 0
		.amdhsa_float_round_mode_16_64 0
		.amdhsa_float_denorm_mode_32 3
		.amdhsa_float_denorm_mode_16_64 3
		.amdhsa_dx10_clamp 1
		.amdhsa_ieee_mode 1
		.amdhsa_fp16_overflow 0
		.amdhsa_workgroup_processor_mode 1
		.amdhsa_memory_ordered 1
		.amdhsa_forward_progress 0
		.amdhsa_shared_vgpr_count 0
		.amdhsa_exception_fp_ieee_invalid_op 0
		.amdhsa_exception_fp_denorm_src 0
		.amdhsa_exception_fp_ieee_div_zero 0
		.amdhsa_exception_fp_ieee_overflow 0
		.amdhsa_exception_fp_ieee_underflow 0
		.amdhsa_exception_fp_ieee_inexact 0
		.amdhsa_exception_int_div_zero 0
	.end_amdhsa_kernel
	.section	.text._ZL37rocblas_syrkx_herkx_restricted_kernelIlfLi16ELi32ELi8ELb1ELb0ELc67ELc85EKPKfKPfEviT_T0_PT8_S5_lS8_S5_lS6_PT9_S5_li,"axG",@progbits,_ZL37rocblas_syrkx_herkx_restricted_kernelIlfLi16ELi32ELi8ELb1ELb0ELc67ELc85EKPKfKPfEviT_T0_PT8_S5_lS8_S5_lS6_PT9_S5_li,comdat
.Lfunc_end1416:
	.size	_ZL37rocblas_syrkx_herkx_restricted_kernelIlfLi16ELi32ELi8ELb1ELb0ELc67ELc85EKPKfKPfEviT_T0_PT8_S5_lS8_S5_lS6_PT9_S5_li, .Lfunc_end1416-_ZL37rocblas_syrkx_herkx_restricted_kernelIlfLi16ELi32ELi8ELb1ELb0ELc67ELc85EKPKfKPfEviT_T0_PT8_S5_lS8_S5_lS6_PT9_S5_li
                                        ; -- End function
	.section	.AMDGPU.csdata,"",@progbits
; Kernel info:
; codeLenInByte = 1312
; NumSgprs: 24
; NumVgprs: 46
; ScratchSize: 0
; MemoryBound: 0
; FloatMode: 240
; IeeeMode: 1
; LDSByteSize: 2048 bytes/workgroup (compile time only)
; SGPRBlocks: 2
; VGPRBlocks: 5
; NumSGPRsForWavesPerEU: 24
; NumVGPRsForWavesPerEU: 46
; Occupancy: 16
; WaveLimiterHint : 1
; COMPUTE_PGM_RSRC2:SCRATCH_EN: 0
; COMPUTE_PGM_RSRC2:USER_SGPR: 13
; COMPUTE_PGM_RSRC2:TRAP_HANDLER: 0
; COMPUTE_PGM_RSRC2:TGID_X_EN: 1
; COMPUTE_PGM_RSRC2:TGID_Y_EN: 1
; COMPUTE_PGM_RSRC2:TGID_Z_EN: 1
; COMPUTE_PGM_RSRC2:TIDIG_COMP_CNT: 1
	.section	.text._ZL37rocblas_syrkx_herkx_restricted_kernelIlfLi16ELi32ELi8ELb1ELb0ELc78ELc85EKPKfKPfEviT_T0_PT8_S5_lS8_S5_lS6_PT9_S5_li,"axG",@progbits,_ZL37rocblas_syrkx_herkx_restricted_kernelIlfLi16ELi32ELi8ELb1ELb0ELc78ELc85EKPKfKPfEviT_T0_PT8_S5_lS8_S5_lS6_PT9_S5_li,comdat
	.globl	_ZL37rocblas_syrkx_herkx_restricted_kernelIlfLi16ELi32ELi8ELb1ELb0ELc78ELc85EKPKfKPfEviT_T0_PT8_S5_lS8_S5_lS6_PT9_S5_li ; -- Begin function _ZL37rocblas_syrkx_herkx_restricted_kernelIlfLi16ELi32ELi8ELb1ELb0ELc78ELc85EKPKfKPfEviT_T0_PT8_S5_lS8_S5_lS6_PT9_S5_li
	.p2align	8
	.type	_ZL37rocblas_syrkx_herkx_restricted_kernelIlfLi16ELi32ELi8ELb1ELb0ELc78ELc85EKPKfKPfEviT_T0_PT8_S5_lS8_S5_lS6_PT9_S5_li,@function
_ZL37rocblas_syrkx_herkx_restricted_kernelIlfLi16ELi32ELi8ELb1ELb0ELc78ELc85EKPKfKPfEviT_T0_PT8_S5_lS8_S5_lS6_PT9_S5_li: ; @_ZL37rocblas_syrkx_herkx_restricted_kernelIlfLi16ELi32ELi8ELb1ELb0ELc78ELc85EKPKfKPfEviT_T0_PT8_S5_lS8_S5_lS6_PT9_S5_li
; %bb.0:
	s_clause 0x1
	s_load_b128 s[4:7], s[0:1], 0x50
	s_load_b64 s[16:17], s[0:1], 0x8
	s_mov_b32 s2, s15
	s_mov_b32 s3, 0
	v_dual_mov_b32 v8, 0 :: v_dual_and_b32 v5, 0x3ff, v0
	s_lshl_b64 s[18:19], s[2:3], 3
	v_bfe_u32 v6, v0, 10, 10
	v_dual_mov_b32 v9, 0 :: v_dual_mov_b32 v4, 0
	v_mov_b32_e32 v7, 0
	s_waitcnt lgkmcnt(0)
	s_add_u32 s2, s4, s18
	s_addc_u32 s3, s5, s19
	v_cmp_lt_i64_e64 s4, s[16:17], 1
	s_load_b64 s[2:3], s[2:3], 0x0
	s_lshl_b32 s20, s13, 5
	s_lshl_b32 s21, s14, 5
	s_delay_alu instid0(VALU_DEP_1)
	s_and_b32 vcc_lo, exec_lo, s4
	s_cbranch_vccnz .LBB1417_3
; %bb.1:
	s_clause 0x1
	s_load_b128 s[8:11], s[0:1], 0x30
	s_load_b128 s[12:15], s[0:1], 0x18
	v_lshl_add_u32 v3, v6, 4, v5
	v_and_b32_e32 v7, 7, v5
	v_lshl_add_u32 v11, v6, 5, 0x400
	s_delay_alu instid0(VALU_DEP_3) | instskip(SKIP_1) | instid1(VALU_DEP_2)
	v_lshrrev_b32_e32 v14, 3, v3
	v_lshrrev_b32_e32 v16, 5, v3
	v_add_nc_u32_e32 v0, s21, v14
	s_delay_alu instid0(VALU_DEP_1) | instskip(SKIP_2) | instid1(VALU_DEP_1)
	v_ashrrev_i32_e32 v1, 31, v0
	s_waitcnt lgkmcnt(0)
	s_add_u32 s4, s12, s18
	v_mad_u64_u32 v[8:9], null, v7, s10, v[0:1]
	v_and_b32_e32 v15, 31, v3
	s_addc_u32 s5, s13, s19
	s_add_u32 s8, s8, s18
	s_addc_u32 s9, s9, s19
	s_load_b64 s[4:5], s[4:5], 0x0
	v_add_nc_u32_e32 v2, s20, v15
	s_load_b64 s[8:9], s[8:9], 0x0
	s_delay_alu instid0(VALU_DEP_1) | instskip(NEXT) | instid1(VALU_DEP_1)
	v_ashrrev_i32_e32 v3, 31, v2
	v_mad_u64_u32 v[0:1], null, v16, s14, v[2:3]
	v_mov_b32_e32 v2, v9
	s_delay_alu instid0(VALU_DEP_1) | instskip(NEXT) | instid1(VALU_DEP_3)
	v_mad_u64_u32 v[3:4], null, v7, s11, v[2:3]
	v_mad_u64_u32 v[12:13], null, v16, s15, v[1:2]
	v_dual_mov_b32 v4, 0 :: v_dual_lshlrev_b32 v1, 2, v7
	v_lshlrev_b32_e32 v10, 2, v5
	v_lshlrev_b32_e32 v13, 2, v15
	v_mov_b32_e32 v9, v3
	v_mov_b32_e32 v7, 0
	s_delay_alu instid0(VALU_DEP_2)
	v_lshlrev_b64 v[2:3], 2, v[8:9]
	v_mov_b32_e32 v8, 0
	v_lshl_or_b32 v14, v14, 5, v1
	v_mov_b32_e32 v1, v12
	v_lshl_or_b32 v12, v16, 7, v13
	v_mov_b32_e32 v9, 0
	s_delay_alu instid0(VALU_DEP_4) | instskip(NEXT) | instid1(VALU_DEP_4)
	v_add_nc_u32_e32 v13, 0x400, v14
	v_lshlrev_b64 v[14:15], 2, v[0:1]
	s_waitcnt lgkmcnt(0)
	v_add_co_u32 v0, vcc_lo, s8, v2
	v_add_co_ci_u32_e32 v1, vcc_lo, s9, v3, vcc_lo
	s_lshl_b64 s[8:9], s[14:15], 5
	s_delay_alu instid0(VALU_DEP_3)
	v_add_co_u32 v2, vcc_lo, s4, v14
	v_add_co_ci_u32_e32 v3, vcc_lo, s5, v15, vcc_lo
	s_lshl_b64 s[4:5], s[10:11], 5
	s_mov_b64 s[10:11], 0
.LBB1417_2:                             ; =>This Inner Loop Header: Depth=1
	global_load_b32 v14, v[2:3], off
	global_load_b32 v15, v[0:1], off
	s_add_u32 s10, s10, 8
	v_add_co_u32 v0, vcc_lo, v0, s4
	s_addc_u32 s11, s11, 0
	v_add_co_ci_u32_e32 v1, vcc_lo, s5, v1, vcc_lo
	v_cmp_ge_u64_e64 s12, s[10:11], s[16:17]
	v_add_co_u32 v2, vcc_lo, v2, s8
	v_add_co_ci_u32_e32 v3, vcc_lo, s9, v3, vcc_lo
	s_waitcnt vmcnt(1)
	ds_store_b32 v12, v14
	s_waitcnt vmcnt(0)
	ds_store_b32 v13, v15
	s_waitcnt lgkmcnt(0)
	s_barrier
	buffer_gl0_inv
	ds_load_2addr_b32 v[30:31], v10 offset1:16
	ds_load_b128 v[14:17], v11
	ds_load_b128 v[18:21], v11 offset:512
	ds_load_2addr_b32 v[32:33], v10 offset0:32 offset1:48
	ds_load_2addr_b32 v[34:35], v10 offset0:64 offset1:80
	ds_load_b128 v[22:25], v11 offset:16
	ds_load_2addr_b32 v[36:37], v10 offset0:96 offset1:112
	ds_load_2addr_b32 v[38:39], v10 offset0:128 offset1:144
	;; [unrolled: 3-line block ×3, first 2 shown]
	ds_load_2addr_b32 v[44:45], v10 offset0:224 offset1:240
	s_and_b32 vcc_lo, exec_lo, s12
	s_waitcnt lgkmcnt(0)
	s_barrier
	buffer_gl0_inv
	v_fmac_f32_e32 v8, v31, v14
	v_fmac_f32_e32 v9, v30, v14
	;; [unrolled: 1-line block ×3, first 2 shown]
	s_delay_alu instid0(VALU_DEP_3) | instskip(NEXT) | instid1(VALU_DEP_3)
	v_dual_fmac_f32 v7, v30, v18 :: v_dual_fmac_f32 v8, v33, v15
	v_fmac_f32_e32 v9, v32, v15
	s_delay_alu instid0(VALU_DEP_3) | instskip(NEXT) | instid1(VALU_DEP_3)
	v_fmac_f32_e32 v4, v33, v19
	v_dual_fmac_f32 v7, v32, v19 :: v_dual_fmac_f32 v8, v35, v16
	s_delay_alu instid0(VALU_DEP_3) | instskip(NEXT) | instid1(VALU_DEP_3)
	v_fmac_f32_e32 v9, v34, v16
	v_fmac_f32_e32 v4, v35, v20
	s_delay_alu instid0(VALU_DEP_3) | instskip(NEXT) | instid1(VALU_DEP_3)
	v_dual_fmac_f32 v7, v34, v20 :: v_dual_fmac_f32 v8, v37, v17
	v_fmac_f32_e32 v9, v36, v17
	s_delay_alu instid0(VALU_DEP_3) | instskip(NEXT) | instid1(VALU_DEP_3)
	v_fmac_f32_e32 v4, v37, v21
	v_dual_fmac_f32 v7, v36, v21 :: v_dual_fmac_f32 v8, v39, v22
	s_delay_alu instid0(VALU_DEP_3) | instskip(NEXT) | instid1(VALU_DEP_3)
	v_fmac_f32_e32 v9, v38, v22
	v_fmac_f32_e32 v4, v39, v26
	;; [unrolled: 9-line block ×3, first 2 shown]
	s_delay_alu instid0(VALU_DEP_3) | instskip(NEXT) | instid1(VALU_DEP_3)
	v_dual_fmac_f32 v7, v42, v28 :: v_dual_fmac_f32 v8, v45, v25
	v_fmac_f32_e32 v9, v44, v25
	s_delay_alu instid0(VALU_DEP_3) | instskip(NEXT) | instid1(VALU_DEP_3)
	v_fmac_f32_e32 v4, v45, v29
	v_fmac_f32_e32 v7, v44, v29
	s_cbranch_vccz .LBB1417_2
.LBB1417_3:
	v_add_nc_u32_e32 v6, s21, v6
	s_clause 0x1
	s_load_b32 s5, s[0:1], 0x0
	s_load_b32 s4, s[0:1], 0x10
	s_delay_alu instid0(VALU_DEP_1) | instskip(SKIP_2) | instid1(VALU_DEP_3)
	v_ashrrev_i32_e32 v0, 31, v6
	v_mul_lo_u32 v3, v6, s7
	v_mad_u64_u32 v[1:2], null, v6, s6, 0
	v_mul_lo_u32 v0, v0, s6
	s_delay_alu instid0(VALU_DEP_1) | instskip(SKIP_3) | instid1(VALU_DEP_3)
	v_add3_u32 v2, v2, v3, v0
	v_add_nc_u32_e32 v0, s20, v5
	s_waitcnt lgkmcnt(0)
	v_cmp_gt_i32_e32 vcc_lo, s5, v6
	v_lshlrev_b64 v[1:2], 2, v[1:2]
	s_delay_alu instid0(VALU_DEP_3) | instskip(NEXT) | instid1(VALU_DEP_1)
	v_cmp_le_i32_e64 s0, v0, v6
	s_and_b32 s0, vcc_lo, s0
	s_delay_alu instid0(VALU_DEP_2) | instskip(NEXT) | instid1(VALU_DEP_1)
	v_add_co_u32 v5, s1, s2, v1
	v_add_co_ci_u32_e64 v10, s1, s3, v2, s1
	s_and_saveexec_b32 s1, s0
	s_cbranch_execz .LBB1417_5
; %bb.4:
	v_ashrrev_i32_e32 v1, 31, v0
	v_mul_f32_e32 v3, s4, v9
	s_delay_alu instid0(VALU_DEP_2) | instskip(NEXT) | instid1(VALU_DEP_1)
	v_lshlrev_b64 v[1:2], 2, v[0:1]
	v_add_co_u32 v1, s0, v5, v1
	s_delay_alu instid0(VALU_DEP_1)
	v_add_co_ci_u32_e64 v2, s0, v10, v2, s0
	global_store_b32 v[1:2], v3, off
.LBB1417_5:
	s_or_b32 exec_lo, exec_lo, s1
	v_add_nc_u32_e32 v2, 16, v0
	s_delay_alu instid0(VALU_DEP_1) | instskip(NEXT) | instid1(VALU_DEP_1)
	v_cmp_le_i32_e64 s0, v2, v6
	s_and_b32 s1, vcc_lo, s0
	s_delay_alu instid0(SALU_CYCLE_1)
	s_and_saveexec_b32 s0, s1
	s_cbranch_execz .LBB1417_7
; %bb.6:
	v_ashrrev_i32_e32 v3, 31, v2
	v_mul_f32_e32 v1, s4, v8
	s_delay_alu instid0(VALU_DEP_2) | instskip(NEXT) | instid1(VALU_DEP_1)
	v_lshlrev_b64 v[11:12], 2, v[2:3]
	v_add_co_u32 v8, vcc_lo, v5, v11
	s_delay_alu instid0(VALU_DEP_2)
	v_add_co_ci_u32_e32 v9, vcc_lo, v10, v12, vcc_lo
	global_store_b32 v[8:9], v1, off
.LBB1417_7:
	s_or_b32 exec_lo, exec_lo, s0
	v_add_nc_u32_e32 v3, 16, v6
	s_delay_alu instid0(VALU_DEP_1) | instskip(SKIP_3) | instid1(VALU_DEP_4)
	v_ashrrev_i32_e32 v1, 31, v3
	v_mul_lo_u32 v8, v3, s7
	v_mad_u64_u32 v[5:6], null, v3, s6, 0
	v_cmp_gt_i32_e32 vcc_lo, s5, v3
	v_mul_lo_u32 v1, v1, s6
	v_cmp_le_i32_e64 s0, v0, v3
	s_delay_alu instid0(VALU_DEP_1) | instskip(NEXT) | instid1(VALU_DEP_2)
	s_and_b32 s0, vcc_lo, s0
	v_add3_u32 v6, v6, v8, v1
	s_delay_alu instid0(VALU_DEP_1) | instskip(NEXT) | instid1(VALU_DEP_1)
	v_lshlrev_b64 v[5:6], 2, v[5:6]
	v_add_co_u32 v5, s1, s2, v5
	s_delay_alu instid0(VALU_DEP_1)
	v_add_co_ci_u32_e64 v6, s1, s3, v6, s1
	s_and_saveexec_b32 s1, s0
	s_cbranch_execz .LBB1417_9
; %bb.8:
	v_ashrrev_i32_e32 v1, 31, v0
	v_mul_f32_e32 v7, s4, v7
	s_delay_alu instid0(VALU_DEP_2) | instskip(NEXT) | instid1(VALU_DEP_1)
	v_lshlrev_b64 v[0:1], 2, v[0:1]
	v_add_co_u32 v0, s0, v5, v0
	s_delay_alu instid0(VALU_DEP_1)
	v_add_co_ci_u32_e64 v1, s0, v6, v1, s0
	global_store_b32 v[0:1], v7, off
.LBB1417_9:
	s_or_b32 exec_lo, exec_lo, s1
	v_cmp_le_i32_e64 s0, v2, v3
	s_delay_alu instid0(VALU_DEP_1) | instskip(NEXT) | instid1(SALU_CYCLE_1)
	s_and_b32 s0, vcc_lo, s0
	s_and_saveexec_b32 s1, s0
	s_cbranch_execz .LBB1417_11
; %bb.10:
	v_ashrrev_i32_e32 v3, 31, v2
	s_delay_alu instid0(VALU_DEP_1) | instskip(SKIP_1) | instid1(VALU_DEP_2)
	v_lshlrev_b64 v[0:1], 2, v[2:3]
	v_mul_f32_e32 v2, s4, v4
	v_add_co_u32 v0, vcc_lo, v5, v0
	s_delay_alu instid0(VALU_DEP_3)
	v_add_co_ci_u32_e32 v1, vcc_lo, v6, v1, vcc_lo
	global_store_b32 v[0:1], v2, off
.LBB1417_11:
	s_nop 0
	s_sendmsg sendmsg(MSG_DEALLOC_VGPRS)
	s_endpgm
	.section	.rodata,"a",@progbits
	.p2align	6, 0x0
	.amdhsa_kernel _ZL37rocblas_syrkx_herkx_restricted_kernelIlfLi16ELi32ELi8ELb1ELb0ELc78ELc85EKPKfKPfEviT_T0_PT8_S5_lS8_S5_lS6_PT9_S5_li
		.amdhsa_group_segment_fixed_size 2048
		.amdhsa_private_segment_fixed_size 0
		.amdhsa_kernarg_size 108
		.amdhsa_user_sgpr_count 13
		.amdhsa_user_sgpr_dispatch_ptr 0
		.amdhsa_user_sgpr_queue_ptr 0
		.amdhsa_user_sgpr_kernarg_segment_ptr 1
		.amdhsa_user_sgpr_dispatch_id 0
		.amdhsa_user_sgpr_private_segment_size 0
		.amdhsa_wavefront_size32 1
		.amdhsa_uses_dynamic_stack 0
		.amdhsa_enable_private_segment 0
		.amdhsa_system_sgpr_workgroup_id_x 1
		.amdhsa_system_sgpr_workgroup_id_y 1
		.amdhsa_system_sgpr_workgroup_id_z 1
		.amdhsa_system_sgpr_workgroup_info 0
		.amdhsa_system_vgpr_workitem_id 1
		.amdhsa_next_free_vgpr 46
		.amdhsa_next_free_sgpr 22
		.amdhsa_reserve_vcc 1
		.amdhsa_float_round_mode_32 0
		.amdhsa_float_round_mode_16_64 0
		.amdhsa_float_denorm_mode_32 3
		.amdhsa_float_denorm_mode_16_64 3
		.amdhsa_dx10_clamp 1
		.amdhsa_ieee_mode 1
		.amdhsa_fp16_overflow 0
		.amdhsa_workgroup_processor_mode 1
		.amdhsa_memory_ordered 1
		.amdhsa_forward_progress 0
		.amdhsa_shared_vgpr_count 0
		.amdhsa_exception_fp_ieee_invalid_op 0
		.amdhsa_exception_fp_denorm_src 0
		.amdhsa_exception_fp_ieee_div_zero 0
		.amdhsa_exception_fp_ieee_overflow 0
		.amdhsa_exception_fp_ieee_underflow 0
		.amdhsa_exception_fp_ieee_inexact 0
		.amdhsa_exception_int_div_zero 0
	.end_amdhsa_kernel
	.section	.text._ZL37rocblas_syrkx_herkx_restricted_kernelIlfLi16ELi32ELi8ELb1ELb0ELc78ELc85EKPKfKPfEviT_T0_PT8_S5_lS8_S5_lS6_PT9_S5_li,"axG",@progbits,_ZL37rocblas_syrkx_herkx_restricted_kernelIlfLi16ELi32ELi8ELb1ELb0ELc78ELc85EKPKfKPfEviT_T0_PT8_S5_lS8_S5_lS6_PT9_S5_li,comdat
.Lfunc_end1417:
	.size	_ZL37rocblas_syrkx_herkx_restricted_kernelIlfLi16ELi32ELi8ELb1ELb0ELc78ELc85EKPKfKPfEviT_T0_PT8_S5_lS8_S5_lS6_PT9_S5_li, .Lfunc_end1417-_ZL37rocblas_syrkx_herkx_restricted_kernelIlfLi16ELi32ELi8ELb1ELb0ELc78ELc85EKPKfKPfEviT_T0_PT8_S5_lS8_S5_lS6_PT9_S5_li
                                        ; -- End function
	.section	.AMDGPU.csdata,"",@progbits
; Kernel info:
; codeLenInByte = 1288
; NumSgprs: 24
; NumVgprs: 46
; ScratchSize: 0
; MemoryBound: 0
; FloatMode: 240
; IeeeMode: 1
; LDSByteSize: 2048 bytes/workgroup (compile time only)
; SGPRBlocks: 2
; VGPRBlocks: 5
; NumSGPRsForWavesPerEU: 24
; NumVGPRsForWavesPerEU: 46
; Occupancy: 16
; WaveLimiterHint : 1
; COMPUTE_PGM_RSRC2:SCRATCH_EN: 0
; COMPUTE_PGM_RSRC2:USER_SGPR: 13
; COMPUTE_PGM_RSRC2:TRAP_HANDLER: 0
; COMPUTE_PGM_RSRC2:TGID_X_EN: 1
; COMPUTE_PGM_RSRC2:TGID_Y_EN: 1
; COMPUTE_PGM_RSRC2:TGID_Z_EN: 1
; COMPUTE_PGM_RSRC2:TIDIG_COMP_CNT: 1
	.section	.text._ZL37rocblas_syrkx_herkx_restricted_kernelIlfLi16ELi32ELi8ELb0ELb0ELc84ELc76EKPKfKPfEviT_T0_PT8_S5_lS8_S5_lS6_PT9_S5_li,"axG",@progbits,_ZL37rocblas_syrkx_herkx_restricted_kernelIlfLi16ELi32ELi8ELb0ELb0ELc84ELc76EKPKfKPfEviT_T0_PT8_S5_lS8_S5_lS6_PT9_S5_li,comdat
	.globl	_ZL37rocblas_syrkx_herkx_restricted_kernelIlfLi16ELi32ELi8ELb0ELb0ELc84ELc76EKPKfKPfEviT_T0_PT8_S5_lS8_S5_lS6_PT9_S5_li ; -- Begin function _ZL37rocblas_syrkx_herkx_restricted_kernelIlfLi16ELi32ELi8ELb0ELb0ELc84ELc76EKPKfKPfEviT_T0_PT8_S5_lS8_S5_lS6_PT9_S5_li
	.p2align	8
	.type	_ZL37rocblas_syrkx_herkx_restricted_kernelIlfLi16ELi32ELi8ELb0ELb0ELc84ELc76EKPKfKPfEviT_T0_PT8_S5_lS8_S5_lS6_PT9_S5_li,@function
_ZL37rocblas_syrkx_herkx_restricted_kernelIlfLi16ELi32ELi8ELb0ELb0ELc84ELc76EKPKfKPfEviT_T0_PT8_S5_lS8_S5_lS6_PT9_S5_li: ; @_ZL37rocblas_syrkx_herkx_restricted_kernelIlfLi16ELi32ELi8ELb0ELb0ELc84ELc76EKPKfKPfEviT_T0_PT8_S5_lS8_S5_lS6_PT9_S5_li
; %bb.0:
	s_clause 0x1
	s_load_b128 s[4:7], s[0:1], 0x50
	s_load_b64 s[16:17], s[0:1], 0x8
	s_mov_b32 s2, s15
	s_mov_b32 s3, 0
	v_dual_mov_b32 v9, 0 :: v_dual_and_b32 v6, 0x3ff, v0
	s_lshl_b64 s[18:19], s[2:3], 3
	v_bfe_u32 v7, v0, 10, 10
	v_dual_mov_b32 v8, 0 :: v_dual_mov_b32 v1, 0
	v_mov_b32_e32 v0, 0
	s_waitcnt lgkmcnt(0)
	s_add_u32 s2, s4, s18
	s_addc_u32 s3, s5, s19
	v_cmp_lt_i64_e64 s4, s[16:17], 1
	s_load_b64 s[2:3], s[2:3], 0x0
	s_lshl_b32 s20, s13, 5
	s_lshl_b32 s21, s14, 5
	s_delay_alu instid0(VALU_DEP_1)
	s_and_b32 vcc_lo, exec_lo, s4
	s_cbranch_vccnz .LBB1418_3
; %bb.1:
	s_clause 0x1
	s_load_b128 s[12:15], s[0:1], 0x18
	s_load_b128 s[8:11], s[0:1], 0x30
	v_lshl_add_u32 v2, v7, 4, v6
	v_dual_mov_b32 v1, 0 :: v_dual_and_b32 v0, 7, v6
	s_delay_alu instid0(VALU_DEP_2) | instskip(SKIP_2) | instid1(VALU_DEP_3)
	v_lshrrev_b32_e32 v11, 3, v2
	v_and_b32_e32 v12, 31, v2
	v_lshrrev_b32_e32 v2, 5, v2
	v_dual_mov_b32 v3, v1 :: v_dual_add_nc_u32 v10, s21, v11
	s_delay_alu instid0(VALU_DEP_3) | instskip(SKIP_1) | instid1(VALU_DEP_3)
	v_add_nc_u32_e32 v8, s20, v12
	v_lshlrev_b32_e32 v12, 2, v12
	v_ashrrev_i32_e32 v4, 31, v10
	s_delay_alu instid0(VALU_DEP_3) | instskip(NEXT) | instid1(VALU_DEP_3)
	v_ashrrev_i32_e32 v5, 31, v8
	v_lshl_or_b32 v12, v2, 7, v12
	s_waitcnt lgkmcnt(0)
	s_add_u32 s4, s12, s18
	s_addc_u32 s5, s13, s19
	s_add_u32 s8, s8, s18
	s_load_b64 s[4:5], s[4:5], 0x0
	v_mul_lo_u32 v13, v4, s10
	v_mul_lo_u32 v14, s14, v5
	v_mad_u64_u32 v[4:5], null, s14, v8, v[2:3]
	v_mul_lo_u32 v3, s15, v8
	s_addc_u32 s9, s9, s19
	v_mul_lo_u32 v15, v10, s11
	s_load_b64 s[8:9], s[8:9], 0x0
	v_mad_u64_u32 v[8:9], null, v10, s10, v[0:1]
	v_lshlrev_b32_e32 v0, 2, v0
	v_lshlrev_b32_e32 v10, 2, v6
	v_add3_u32 v5, v3, v5, v14
	s_delay_alu instid0(VALU_DEP_3) | instskip(SKIP_1) | instid1(VALU_DEP_3)
	v_lshl_or_b32 v0, v11, 5, v0
	v_add3_u32 v9, v13, v9, v15
	v_lshlrev_b64 v[3:4], 2, v[4:5]
	v_lshl_add_u32 v11, v7, 5, 0x400
	s_delay_alu instid0(VALU_DEP_4) | instskip(NEXT) | instid1(VALU_DEP_4)
	v_dual_mov_b32 v0, v1 :: v_dual_add_nc_u32 v13, 0x400, v0
	v_lshlrev_b64 v[8:9], 2, v[8:9]
	s_waitcnt lgkmcnt(0)
	s_delay_alu instid0(VALU_DEP_4) | instskip(SKIP_2) | instid1(VALU_DEP_3)
	v_add_co_u32 v2, vcc_lo, s4, v3
	v_add_co_ci_u32_e32 v3, vcc_lo, s5, v4, vcc_lo
	s_mov_b64 s[4:5], 0
	v_add_co_u32 v4, vcc_lo, s8, v8
	v_add_co_ci_u32_e32 v5, vcc_lo, s9, v9, vcc_lo
	v_mov_b32_e32 v8, v1
	v_mov_b32_e32 v9, v1
.LBB1418_2:                             ; =>This Inner Loop Header: Depth=1
	global_load_b32 v14, v[2:3], off
	global_load_b32 v15, v[4:5], off
	s_add_u32 s4, s4, 8
	v_add_co_u32 v4, vcc_lo, v4, 32
	s_addc_u32 s5, s5, 0
	v_add_co_ci_u32_e32 v5, vcc_lo, 0, v5, vcc_lo
	v_cmp_ge_u64_e64 s8, s[4:5], s[16:17]
	v_add_co_u32 v2, vcc_lo, v2, 32
	v_add_co_ci_u32_e32 v3, vcc_lo, 0, v3, vcc_lo
	s_waitcnt vmcnt(1)
	ds_store_b32 v12, v14
	s_waitcnt vmcnt(0)
	ds_store_b32 v13, v15
	s_waitcnt lgkmcnt(0)
	s_barrier
	buffer_gl0_inv
	ds_load_2addr_b32 v[30:31], v10 offset1:16
	ds_load_b128 v[14:17], v11
	ds_load_b128 v[18:21], v11 offset:512
	ds_load_2addr_b32 v[32:33], v10 offset0:32 offset1:48
	ds_load_2addr_b32 v[34:35], v10 offset0:64 offset1:80
	ds_load_b128 v[22:25], v11 offset:16
	ds_load_2addr_b32 v[36:37], v10 offset0:96 offset1:112
	ds_load_2addr_b32 v[38:39], v10 offset0:128 offset1:144
	;; [unrolled: 3-line block ×3, first 2 shown]
	ds_load_2addr_b32 v[44:45], v10 offset0:224 offset1:240
	s_and_b32 vcc_lo, exec_lo, s8
	s_waitcnt lgkmcnt(0)
	s_barrier
	buffer_gl0_inv
	v_fmac_f32_e32 v8, v31, v14
	v_fmac_f32_e32 v9, v30, v14
	;; [unrolled: 1-line block ×4, first 2 shown]
	s_delay_alu instid0(VALU_DEP_4) | instskip(NEXT) | instid1(VALU_DEP_4)
	v_fmac_f32_e32 v8, v33, v15
	v_fmac_f32_e32 v9, v32, v15
	s_delay_alu instid0(VALU_DEP_4) | instskip(NEXT) | instid1(VALU_DEP_4)
	v_fmac_f32_e32 v1, v33, v19
	v_fmac_f32_e32 v0, v32, v19
	;; [unrolled: 3-line block ×14, first 2 shown]
	s_cbranch_vccz .LBB1418_2
.LBB1418_3:
	v_add_nc_u32_e32 v7, s21, v7
	s_clause 0x2
	s_load_b32 s8, s[0:1], 0x0
	s_load_b32 s4, s[0:1], 0x10
	s_load_b32 s5, s[0:1], 0x48
	v_ashrrev_i32_e32 v2, 31, v7
	v_mul_lo_u32 v5, v7, s7
	v_mad_u64_u32 v[3:4], null, v7, s6, 0
	s_delay_alu instid0(VALU_DEP_3) | instskip(NEXT) | instid1(VALU_DEP_1)
	v_mul_lo_u32 v2, v2, s6
	v_add3_u32 v4, v4, v5, v2
	v_add_nc_u32_e32 v2, s20, v6
	s_delay_alu instid0(VALU_DEP_2) | instskip(NEXT) | instid1(VALU_DEP_2)
	v_lshlrev_b64 v[3:4], 2, v[3:4]
	v_cmp_le_i32_e64 s0, v7, v2
	s_waitcnt lgkmcnt(0)
	v_cmp_gt_i32_e32 vcc_lo, s8, v2
	s_delay_alu instid0(VALU_DEP_3) | instskip(NEXT) | instid1(VALU_DEP_1)
	v_add_co_u32 v6, s1, s2, v3
	v_add_co_ci_u32_e64 v10, s1, s3, v4, s1
	s_and_b32 s0, s0, vcc_lo
	s_delay_alu instid0(SALU_CYCLE_1)
	s_and_saveexec_b32 s1, s0
	s_cbranch_execz .LBB1418_5
; %bb.4:
	v_ashrrev_i32_e32 v3, 31, v2
	s_delay_alu instid0(VALU_DEP_1) | instskip(NEXT) | instid1(VALU_DEP_1)
	v_lshlrev_b64 v[3:4], 2, v[2:3]
	v_add_co_u32 v3, s0, v6, v3
	s_delay_alu instid0(VALU_DEP_1) | instskip(SKIP_3) | instid1(VALU_DEP_1)
	v_add_co_ci_u32_e64 v4, s0, v10, v4, s0
	global_load_b32 v5, v[3:4], off
	s_waitcnt vmcnt(0)
	v_mul_f32_e32 v5, s5, v5
	v_fmac_f32_e32 v5, s4, v9
	global_store_b32 v[3:4], v5, off
.LBB1418_5:
	s_or_b32 exec_lo, exec_lo, s1
	v_add_nc_u32_e32 v4, 16, v2
	s_delay_alu instid0(VALU_DEP_1) | instskip(SKIP_1) | instid1(VALU_DEP_1)
	v_cmp_le_i32_e64 s1, v7, v4
	v_cmp_gt_i32_e64 s0, s8, v4
	s_and_b32 s1, s1, s0
	s_delay_alu instid0(SALU_CYCLE_1)
	s_and_saveexec_b32 s8, s1
	s_cbranch_execz .LBB1418_7
; %bb.6:
	v_ashrrev_i32_e32 v5, 31, v4
	s_delay_alu instid0(VALU_DEP_1) | instskip(NEXT) | instid1(VALU_DEP_1)
	v_lshlrev_b64 v[11:12], 2, v[4:5]
	v_add_co_u32 v5, s1, v6, v11
	s_delay_alu instid0(VALU_DEP_1) | instskip(SKIP_3) | instid1(VALU_DEP_1)
	v_add_co_ci_u32_e64 v6, s1, v10, v12, s1
	global_load_b32 v3, v[5:6], off
	s_waitcnt vmcnt(0)
	v_mul_f32_e32 v3, s5, v3
	v_fmac_f32_e32 v3, s4, v8
	global_store_b32 v[5:6], v3, off
.LBB1418_7:
	s_or_b32 exec_lo, exec_lo, s8
	v_add_nc_u32_e32 v5, 16, v7
	s_delay_alu instid0(VALU_DEP_1) | instskip(SKIP_3) | instid1(VALU_DEP_4)
	v_ashrrev_i32_e32 v3, 31, v5
	v_mul_lo_u32 v8, v5, s7
	v_mad_u64_u32 v[6:7], null, v5, s6, 0
	v_cmp_le_i32_e64 s1, v5, v2
	v_mul_lo_u32 v3, v3, s6
	s_delay_alu instid0(VALU_DEP_1) | instskip(NEXT) | instid1(VALU_DEP_1)
	v_add3_u32 v7, v7, v8, v3
	v_lshlrev_b64 v[6:7], 2, v[6:7]
	s_delay_alu instid0(VALU_DEP_1) | instskip(NEXT) | instid1(VALU_DEP_1)
	v_add_co_u32 v6, s2, s2, v6
	v_add_co_ci_u32_e64 v7, s2, s3, v7, s2
	s_and_b32 s2, s1, vcc_lo
	s_delay_alu instid0(SALU_CYCLE_1)
	s_and_saveexec_b32 s1, s2
	s_cbranch_execz .LBB1418_9
; %bb.8:
	v_ashrrev_i32_e32 v3, 31, v2
	s_delay_alu instid0(VALU_DEP_1) | instskip(NEXT) | instid1(VALU_DEP_1)
	v_lshlrev_b64 v[2:3], 2, v[2:3]
	v_add_co_u32 v2, vcc_lo, v6, v2
	s_delay_alu instid0(VALU_DEP_2) | instskip(SKIP_3) | instid1(VALU_DEP_1)
	v_add_co_ci_u32_e32 v3, vcc_lo, v7, v3, vcc_lo
	global_load_b32 v8, v[2:3], off
	s_waitcnt vmcnt(0)
	v_mul_f32_e32 v8, s5, v8
	v_fmac_f32_e32 v8, s4, v0
	global_store_b32 v[2:3], v8, off
.LBB1418_9:
	s_or_b32 exec_lo, exec_lo, s1
	v_cmp_le_i32_e32 vcc_lo, v5, v4
	s_and_b32 s0, vcc_lo, s0
	s_delay_alu instid0(SALU_CYCLE_1)
	s_and_saveexec_b32 s1, s0
	s_cbranch_execz .LBB1418_11
; %bb.10:
	v_ashrrev_i32_e32 v5, 31, v4
	s_delay_alu instid0(VALU_DEP_1) | instskip(NEXT) | instid1(VALU_DEP_1)
	v_lshlrev_b64 v[2:3], 2, v[4:5]
	v_add_co_u32 v2, vcc_lo, v6, v2
	s_delay_alu instid0(VALU_DEP_2) | instskip(SKIP_3) | instid1(VALU_DEP_1)
	v_add_co_ci_u32_e32 v3, vcc_lo, v7, v3, vcc_lo
	global_load_b32 v0, v[2:3], off
	s_waitcnt vmcnt(0)
	v_mul_f32_e32 v0, s5, v0
	v_fmac_f32_e32 v0, s4, v1
	global_store_b32 v[2:3], v0, off
.LBB1418_11:
	s_nop 0
	s_sendmsg sendmsg(MSG_DEALLOC_VGPRS)
	s_endpgm
	.section	.rodata,"a",@progbits
	.p2align	6, 0x0
	.amdhsa_kernel _ZL37rocblas_syrkx_herkx_restricted_kernelIlfLi16ELi32ELi8ELb0ELb0ELc84ELc76EKPKfKPfEviT_T0_PT8_S5_lS8_S5_lS6_PT9_S5_li
		.amdhsa_group_segment_fixed_size 2048
		.amdhsa_private_segment_fixed_size 0
		.amdhsa_kernarg_size 108
		.amdhsa_user_sgpr_count 13
		.amdhsa_user_sgpr_dispatch_ptr 0
		.amdhsa_user_sgpr_queue_ptr 0
		.amdhsa_user_sgpr_kernarg_segment_ptr 1
		.amdhsa_user_sgpr_dispatch_id 0
		.amdhsa_user_sgpr_private_segment_size 0
		.amdhsa_wavefront_size32 1
		.amdhsa_uses_dynamic_stack 0
		.amdhsa_enable_private_segment 0
		.amdhsa_system_sgpr_workgroup_id_x 1
		.amdhsa_system_sgpr_workgroup_id_y 1
		.amdhsa_system_sgpr_workgroup_id_z 1
		.amdhsa_system_sgpr_workgroup_info 0
		.amdhsa_system_vgpr_workitem_id 1
		.amdhsa_next_free_vgpr 46
		.amdhsa_next_free_sgpr 22
		.amdhsa_reserve_vcc 1
		.amdhsa_float_round_mode_32 0
		.amdhsa_float_round_mode_16_64 0
		.amdhsa_float_denorm_mode_32 3
		.amdhsa_float_denorm_mode_16_64 3
		.amdhsa_dx10_clamp 1
		.amdhsa_ieee_mode 1
		.amdhsa_fp16_overflow 0
		.amdhsa_workgroup_processor_mode 1
		.amdhsa_memory_ordered 1
		.amdhsa_forward_progress 0
		.amdhsa_shared_vgpr_count 0
		.amdhsa_exception_fp_ieee_invalid_op 0
		.amdhsa_exception_fp_denorm_src 0
		.amdhsa_exception_fp_ieee_div_zero 0
		.amdhsa_exception_fp_ieee_overflow 0
		.amdhsa_exception_fp_ieee_underflow 0
		.amdhsa_exception_fp_ieee_inexact 0
		.amdhsa_exception_int_div_zero 0
	.end_amdhsa_kernel
	.section	.text._ZL37rocblas_syrkx_herkx_restricted_kernelIlfLi16ELi32ELi8ELb0ELb0ELc84ELc76EKPKfKPfEviT_T0_PT8_S5_lS8_S5_lS6_PT9_S5_li,"axG",@progbits,_ZL37rocblas_syrkx_herkx_restricted_kernelIlfLi16ELi32ELi8ELb0ELb0ELc84ELc76EKPKfKPfEviT_T0_PT8_S5_lS8_S5_lS6_PT9_S5_li,comdat
.Lfunc_end1418:
	.size	_ZL37rocblas_syrkx_herkx_restricted_kernelIlfLi16ELi32ELi8ELb0ELb0ELc84ELc76EKPKfKPfEviT_T0_PT8_S5_lS8_S5_lS6_PT9_S5_li, .Lfunc_end1418-_ZL37rocblas_syrkx_herkx_restricted_kernelIlfLi16ELi32ELi8ELb0ELb0ELc84ELc76EKPKfKPfEviT_T0_PT8_S5_lS8_S5_lS6_PT9_S5_li
                                        ; -- End function
	.section	.AMDGPU.csdata,"",@progbits
; Kernel info:
; codeLenInByte = 1384
; NumSgprs: 24
; NumVgprs: 46
; ScratchSize: 0
; MemoryBound: 0
; FloatMode: 240
; IeeeMode: 1
; LDSByteSize: 2048 bytes/workgroup (compile time only)
; SGPRBlocks: 2
; VGPRBlocks: 5
; NumSGPRsForWavesPerEU: 24
; NumVGPRsForWavesPerEU: 46
; Occupancy: 16
; WaveLimiterHint : 1
; COMPUTE_PGM_RSRC2:SCRATCH_EN: 0
; COMPUTE_PGM_RSRC2:USER_SGPR: 13
; COMPUTE_PGM_RSRC2:TRAP_HANDLER: 0
; COMPUTE_PGM_RSRC2:TGID_X_EN: 1
; COMPUTE_PGM_RSRC2:TGID_Y_EN: 1
; COMPUTE_PGM_RSRC2:TGID_Z_EN: 1
; COMPUTE_PGM_RSRC2:TIDIG_COMP_CNT: 1
	.section	.text._ZL37rocblas_syrkx_herkx_restricted_kernelIlfLi16ELi32ELi8ELb0ELb0ELc67ELc76EKPKfKPfEviT_T0_PT8_S5_lS8_S5_lS6_PT9_S5_li,"axG",@progbits,_ZL37rocblas_syrkx_herkx_restricted_kernelIlfLi16ELi32ELi8ELb0ELb0ELc67ELc76EKPKfKPfEviT_T0_PT8_S5_lS8_S5_lS6_PT9_S5_li,comdat
	.globl	_ZL37rocblas_syrkx_herkx_restricted_kernelIlfLi16ELi32ELi8ELb0ELb0ELc67ELc76EKPKfKPfEviT_T0_PT8_S5_lS8_S5_lS6_PT9_S5_li ; -- Begin function _ZL37rocblas_syrkx_herkx_restricted_kernelIlfLi16ELi32ELi8ELb0ELb0ELc67ELc76EKPKfKPfEviT_T0_PT8_S5_lS8_S5_lS6_PT9_S5_li
	.p2align	8
	.type	_ZL37rocblas_syrkx_herkx_restricted_kernelIlfLi16ELi32ELi8ELb0ELb0ELc67ELc76EKPKfKPfEviT_T0_PT8_S5_lS8_S5_lS6_PT9_S5_li,@function
_ZL37rocblas_syrkx_herkx_restricted_kernelIlfLi16ELi32ELi8ELb0ELb0ELc67ELc76EKPKfKPfEviT_T0_PT8_S5_lS8_S5_lS6_PT9_S5_li: ; @_ZL37rocblas_syrkx_herkx_restricted_kernelIlfLi16ELi32ELi8ELb0ELb0ELc67ELc76EKPKfKPfEviT_T0_PT8_S5_lS8_S5_lS6_PT9_S5_li
; %bb.0:
	s_clause 0x1
	s_load_b128 s[4:7], s[0:1], 0x50
	s_load_b64 s[16:17], s[0:1], 0x8
	s_mov_b32 s2, s15
	s_mov_b32 s3, 0
	v_dual_mov_b32 v9, 0 :: v_dual_and_b32 v6, 0x3ff, v0
	s_lshl_b64 s[18:19], s[2:3], 3
	v_bfe_u32 v7, v0, 10, 10
	v_dual_mov_b32 v8, 0 :: v_dual_mov_b32 v1, 0
	v_mov_b32_e32 v0, 0
	s_waitcnt lgkmcnt(0)
	s_add_u32 s2, s4, s18
	s_addc_u32 s3, s5, s19
	v_cmp_lt_i64_e64 s4, s[16:17], 1
	s_load_b64 s[2:3], s[2:3], 0x0
	s_lshl_b32 s20, s13, 5
	s_lshl_b32 s21, s14, 5
	s_delay_alu instid0(VALU_DEP_1)
	s_and_b32 vcc_lo, exec_lo, s4
	s_cbranch_vccnz .LBB1419_3
; %bb.1:
	s_clause 0x1
	s_load_b128 s[12:15], s[0:1], 0x18
	s_load_b128 s[8:11], s[0:1], 0x30
	v_lshl_add_u32 v2, v7, 4, v6
	v_dual_mov_b32 v1, 0 :: v_dual_and_b32 v0, 7, v6
	s_delay_alu instid0(VALU_DEP_2) | instskip(SKIP_2) | instid1(VALU_DEP_3)
	v_lshrrev_b32_e32 v11, 3, v2
	v_and_b32_e32 v12, 31, v2
	v_lshrrev_b32_e32 v2, 5, v2
	v_dual_mov_b32 v3, v1 :: v_dual_add_nc_u32 v10, s21, v11
	s_delay_alu instid0(VALU_DEP_3) | instskip(SKIP_1) | instid1(VALU_DEP_3)
	v_add_nc_u32_e32 v8, s20, v12
	v_lshlrev_b32_e32 v12, 2, v12
	v_ashrrev_i32_e32 v4, 31, v10
	s_delay_alu instid0(VALU_DEP_3) | instskip(NEXT) | instid1(VALU_DEP_3)
	v_ashrrev_i32_e32 v5, 31, v8
	v_lshl_or_b32 v12, v2, 7, v12
	s_waitcnt lgkmcnt(0)
	s_add_u32 s4, s12, s18
	s_addc_u32 s5, s13, s19
	s_add_u32 s8, s8, s18
	s_load_b64 s[4:5], s[4:5], 0x0
	v_mul_lo_u32 v13, v4, s10
	v_mul_lo_u32 v14, s14, v5
	v_mad_u64_u32 v[4:5], null, s14, v8, v[2:3]
	v_mul_lo_u32 v3, s15, v8
	s_addc_u32 s9, s9, s19
	v_mul_lo_u32 v15, v10, s11
	s_load_b64 s[8:9], s[8:9], 0x0
	v_mad_u64_u32 v[8:9], null, v10, s10, v[0:1]
	v_lshlrev_b32_e32 v0, 2, v0
	v_lshlrev_b32_e32 v10, 2, v6
	v_add3_u32 v5, v3, v5, v14
	s_delay_alu instid0(VALU_DEP_3) | instskip(SKIP_1) | instid1(VALU_DEP_3)
	v_lshl_or_b32 v0, v11, 5, v0
	v_add3_u32 v9, v13, v9, v15
	v_lshlrev_b64 v[3:4], 2, v[4:5]
	v_lshl_add_u32 v11, v7, 5, 0x400
	s_delay_alu instid0(VALU_DEP_4) | instskip(NEXT) | instid1(VALU_DEP_4)
	v_dual_mov_b32 v0, v1 :: v_dual_add_nc_u32 v13, 0x400, v0
	v_lshlrev_b64 v[8:9], 2, v[8:9]
	s_waitcnt lgkmcnt(0)
	s_delay_alu instid0(VALU_DEP_4) | instskip(SKIP_2) | instid1(VALU_DEP_3)
	v_add_co_u32 v2, vcc_lo, s4, v3
	v_add_co_ci_u32_e32 v3, vcc_lo, s5, v4, vcc_lo
	s_mov_b64 s[4:5], 0
	v_add_co_u32 v4, vcc_lo, s8, v8
	v_add_co_ci_u32_e32 v5, vcc_lo, s9, v9, vcc_lo
	v_mov_b32_e32 v8, v1
	v_mov_b32_e32 v9, v1
.LBB1419_2:                             ; =>This Inner Loop Header: Depth=1
	global_load_b32 v14, v[2:3], off
	global_load_b32 v15, v[4:5], off
	s_add_u32 s4, s4, 8
	v_add_co_u32 v4, vcc_lo, v4, 32
	s_addc_u32 s5, s5, 0
	v_add_co_ci_u32_e32 v5, vcc_lo, 0, v5, vcc_lo
	v_cmp_ge_u64_e64 s8, s[4:5], s[16:17]
	v_add_co_u32 v2, vcc_lo, v2, 32
	v_add_co_ci_u32_e32 v3, vcc_lo, 0, v3, vcc_lo
	s_waitcnt vmcnt(1)
	ds_store_b32 v12, v14
	s_waitcnt vmcnt(0)
	ds_store_b32 v13, v15
	s_waitcnt lgkmcnt(0)
	s_barrier
	buffer_gl0_inv
	ds_load_2addr_b32 v[30:31], v10 offset1:16
	ds_load_b128 v[14:17], v11
	ds_load_b128 v[18:21], v11 offset:512
	ds_load_2addr_b32 v[32:33], v10 offset0:32 offset1:48
	ds_load_2addr_b32 v[34:35], v10 offset0:64 offset1:80
	ds_load_b128 v[22:25], v11 offset:16
	ds_load_2addr_b32 v[36:37], v10 offset0:96 offset1:112
	ds_load_2addr_b32 v[38:39], v10 offset0:128 offset1:144
	;; [unrolled: 3-line block ×3, first 2 shown]
	ds_load_2addr_b32 v[44:45], v10 offset0:224 offset1:240
	s_and_b32 vcc_lo, exec_lo, s8
	s_waitcnt lgkmcnt(0)
	s_barrier
	buffer_gl0_inv
	v_fmac_f32_e32 v8, v31, v14
	v_fmac_f32_e32 v9, v30, v14
	v_fmac_f32_e32 v1, v31, v18
	v_fmac_f32_e32 v0, v30, v18
	s_delay_alu instid0(VALU_DEP_4) | instskip(NEXT) | instid1(VALU_DEP_4)
	v_fmac_f32_e32 v8, v33, v15
	v_fmac_f32_e32 v9, v32, v15
	s_delay_alu instid0(VALU_DEP_4) | instskip(NEXT) | instid1(VALU_DEP_4)
	v_fmac_f32_e32 v1, v33, v19
	v_fmac_f32_e32 v0, v32, v19
	;; [unrolled: 3-line block ×14, first 2 shown]
	s_cbranch_vccz .LBB1419_2
.LBB1419_3:
	v_add_nc_u32_e32 v7, s21, v7
	s_clause 0x2
	s_load_b32 s8, s[0:1], 0x0
	s_load_b32 s4, s[0:1], 0x10
	;; [unrolled: 1-line block ×3, first 2 shown]
	v_ashrrev_i32_e32 v2, 31, v7
	v_mul_lo_u32 v5, v7, s7
	v_mad_u64_u32 v[3:4], null, v7, s6, 0
	s_delay_alu instid0(VALU_DEP_3) | instskip(NEXT) | instid1(VALU_DEP_1)
	v_mul_lo_u32 v2, v2, s6
	v_add3_u32 v4, v4, v5, v2
	v_add_nc_u32_e32 v2, s20, v6
	s_delay_alu instid0(VALU_DEP_2) | instskip(NEXT) | instid1(VALU_DEP_2)
	v_lshlrev_b64 v[3:4], 2, v[3:4]
	v_cmp_le_i32_e64 s0, v7, v2
	s_waitcnt lgkmcnt(0)
	v_cmp_gt_i32_e32 vcc_lo, s8, v2
	s_delay_alu instid0(VALU_DEP_3) | instskip(NEXT) | instid1(VALU_DEP_1)
	v_add_co_u32 v6, s1, s2, v3
	v_add_co_ci_u32_e64 v10, s1, s3, v4, s1
	s_and_b32 s0, s0, vcc_lo
	s_delay_alu instid0(SALU_CYCLE_1)
	s_and_saveexec_b32 s1, s0
	s_cbranch_execz .LBB1419_5
; %bb.4:
	v_ashrrev_i32_e32 v3, 31, v2
	s_delay_alu instid0(VALU_DEP_1) | instskip(NEXT) | instid1(VALU_DEP_1)
	v_lshlrev_b64 v[3:4], 2, v[2:3]
	v_add_co_u32 v3, s0, v6, v3
	s_delay_alu instid0(VALU_DEP_1) | instskip(SKIP_3) | instid1(VALU_DEP_1)
	v_add_co_ci_u32_e64 v4, s0, v10, v4, s0
	global_load_b32 v5, v[3:4], off
	s_waitcnt vmcnt(0)
	v_mul_f32_e32 v5, s5, v5
	v_fmac_f32_e32 v5, s4, v9
	global_store_b32 v[3:4], v5, off
.LBB1419_5:
	s_or_b32 exec_lo, exec_lo, s1
	v_add_nc_u32_e32 v4, 16, v2
	s_delay_alu instid0(VALU_DEP_1) | instskip(SKIP_1) | instid1(VALU_DEP_1)
	v_cmp_le_i32_e64 s1, v7, v4
	v_cmp_gt_i32_e64 s0, s8, v4
	s_and_b32 s1, s1, s0
	s_delay_alu instid0(SALU_CYCLE_1)
	s_and_saveexec_b32 s8, s1
	s_cbranch_execz .LBB1419_7
; %bb.6:
	v_ashrrev_i32_e32 v5, 31, v4
	s_delay_alu instid0(VALU_DEP_1) | instskip(NEXT) | instid1(VALU_DEP_1)
	v_lshlrev_b64 v[11:12], 2, v[4:5]
	v_add_co_u32 v5, s1, v6, v11
	s_delay_alu instid0(VALU_DEP_1) | instskip(SKIP_3) | instid1(VALU_DEP_1)
	v_add_co_ci_u32_e64 v6, s1, v10, v12, s1
	global_load_b32 v3, v[5:6], off
	s_waitcnt vmcnt(0)
	v_mul_f32_e32 v3, s5, v3
	v_fmac_f32_e32 v3, s4, v8
	global_store_b32 v[5:6], v3, off
.LBB1419_7:
	s_or_b32 exec_lo, exec_lo, s8
	v_add_nc_u32_e32 v5, 16, v7
	s_delay_alu instid0(VALU_DEP_1) | instskip(SKIP_3) | instid1(VALU_DEP_4)
	v_ashrrev_i32_e32 v3, 31, v5
	v_mul_lo_u32 v8, v5, s7
	v_mad_u64_u32 v[6:7], null, v5, s6, 0
	v_cmp_le_i32_e64 s1, v5, v2
	v_mul_lo_u32 v3, v3, s6
	s_delay_alu instid0(VALU_DEP_1) | instskip(NEXT) | instid1(VALU_DEP_1)
	v_add3_u32 v7, v7, v8, v3
	v_lshlrev_b64 v[6:7], 2, v[6:7]
	s_delay_alu instid0(VALU_DEP_1) | instskip(NEXT) | instid1(VALU_DEP_1)
	v_add_co_u32 v6, s2, s2, v6
	v_add_co_ci_u32_e64 v7, s2, s3, v7, s2
	s_and_b32 s2, s1, vcc_lo
	s_delay_alu instid0(SALU_CYCLE_1)
	s_and_saveexec_b32 s1, s2
	s_cbranch_execz .LBB1419_9
; %bb.8:
	v_ashrrev_i32_e32 v3, 31, v2
	s_delay_alu instid0(VALU_DEP_1) | instskip(NEXT) | instid1(VALU_DEP_1)
	v_lshlrev_b64 v[2:3], 2, v[2:3]
	v_add_co_u32 v2, vcc_lo, v6, v2
	s_delay_alu instid0(VALU_DEP_2) | instskip(SKIP_3) | instid1(VALU_DEP_1)
	v_add_co_ci_u32_e32 v3, vcc_lo, v7, v3, vcc_lo
	global_load_b32 v8, v[2:3], off
	s_waitcnt vmcnt(0)
	v_mul_f32_e32 v8, s5, v8
	v_fmac_f32_e32 v8, s4, v0
	global_store_b32 v[2:3], v8, off
.LBB1419_9:
	s_or_b32 exec_lo, exec_lo, s1
	v_cmp_le_i32_e32 vcc_lo, v5, v4
	s_and_b32 s0, vcc_lo, s0
	s_delay_alu instid0(SALU_CYCLE_1)
	s_and_saveexec_b32 s1, s0
	s_cbranch_execz .LBB1419_11
; %bb.10:
	v_ashrrev_i32_e32 v5, 31, v4
	s_delay_alu instid0(VALU_DEP_1) | instskip(NEXT) | instid1(VALU_DEP_1)
	v_lshlrev_b64 v[2:3], 2, v[4:5]
	v_add_co_u32 v2, vcc_lo, v6, v2
	s_delay_alu instid0(VALU_DEP_2) | instskip(SKIP_3) | instid1(VALU_DEP_1)
	v_add_co_ci_u32_e32 v3, vcc_lo, v7, v3, vcc_lo
	global_load_b32 v0, v[2:3], off
	s_waitcnt vmcnt(0)
	v_mul_f32_e32 v0, s5, v0
	v_fmac_f32_e32 v0, s4, v1
	global_store_b32 v[2:3], v0, off
.LBB1419_11:
	s_nop 0
	s_sendmsg sendmsg(MSG_DEALLOC_VGPRS)
	s_endpgm
	.section	.rodata,"a",@progbits
	.p2align	6, 0x0
	.amdhsa_kernel _ZL37rocblas_syrkx_herkx_restricted_kernelIlfLi16ELi32ELi8ELb0ELb0ELc67ELc76EKPKfKPfEviT_T0_PT8_S5_lS8_S5_lS6_PT9_S5_li
		.amdhsa_group_segment_fixed_size 2048
		.amdhsa_private_segment_fixed_size 0
		.amdhsa_kernarg_size 108
		.amdhsa_user_sgpr_count 13
		.amdhsa_user_sgpr_dispatch_ptr 0
		.amdhsa_user_sgpr_queue_ptr 0
		.amdhsa_user_sgpr_kernarg_segment_ptr 1
		.amdhsa_user_sgpr_dispatch_id 0
		.amdhsa_user_sgpr_private_segment_size 0
		.amdhsa_wavefront_size32 1
		.amdhsa_uses_dynamic_stack 0
		.amdhsa_enable_private_segment 0
		.amdhsa_system_sgpr_workgroup_id_x 1
		.amdhsa_system_sgpr_workgroup_id_y 1
		.amdhsa_system_sgpr_workgroup_id_z 1
		.amdhsa_system_sgpr_workgroup_info 0
		.amdhsa_system_vgpr_workitem_id 1
		.amdhsa_next_free_vgpr 46
		.amdhsa_next_free_sgpr 22
		.amdhsa_reserve_vcc 1
		.amdhsa_float_round_mode_32 0
		.amdhsa_float_round_mode_16_64 0
		.amdhsa_float_denorm_mode_32 3
		.amdhsa_float_denorm_mode_16_64 3
		.amdhsa_dx10_clamp 1
		.amdhsa_ieee_mode 1
		.amdhsa_fp16_overflow 0
		.amdhsa_workgroup_processor_mode 1
		.amdhsa_memory_ordered 1
		.amdhsa_forward_progress 0
		.amdhsa_shared_vgpr_count 0
		.amdhsa_exception_fp_ieee_invalid_op 0
		.amdhsa_exception_fp_denorm_src 0
		.amdhsa_exception_fp_ieee_div_zero 0
		.amdhsa_exception_fp_ieee_overflow 0
		.amdhsa_exception_fp_ieee_underflow 0
		.amdhsa_exception_fp_ieee_inexact 0
		.amdhsa_exception_int_div_zero 0
	.end_amdhsa_kernel
	.section	.text._ZL37rocblas_syrkx_herkx_restricted_kernelIlfLi16ELi32ELi8ELb0ELb0ELc67ELc76EKPKfKPfEviT_T0_PT8_S5_lS8_S5_lS6_PT9_S5_li,"axG",@progbits,_ZL37rocblas_syrkx_herkx_restricted_kernelIlfLi16ELi32ELi8ELb0ELb0ELc67ELc76EKPKfKPfEviT_T0_PT8_S5_lS8_S5_lS6_PT9_S5_li,comdat
.Lfunc_end1419:
	.size	_ZL37rocblas_syrkx_herkx_restricted_kernelIlfLi16ELi32ELi8ELb0ELb0ELc67ELc76EKPKfKPfEviT_T0_PT8_S5_lS8_S5_lS6_PT9_S5_li, .Lfunc_end1419-_ZL37rocblas_syrkx_herkx_restricted_kernelIlfLi16ELi32ELi8ELb0ELb0ELc67ELc76EKPKfKPfEviT_T0_PT8_S5_lS8_S5_lS6_PT9_S5_li
                                        ; -- End function
	.section	.AMDGPU.csdata,"",@progbits
; Kernel info:
; codeLenInByte = 1384
; NumSgprs: 24
; NumVgprs: 46
; ScratchSize: 0
; MemoryBound: 0
; FloatMode: 240
; IeeeMode: 1
; LDSByteSize: 2048 bytes/workgroup (compile time only)
; SGPRBlocks: 2
; VGPRBlocks: 5
; NumSGPRsForWavesPerEU: 24
; NumVGPRsForWavesPerEU: 46
; Occupancy: 16
; WaveLimiterHint : 1
; COMPUTE_PGM_RSRC2:SCRATCH_EN: 0
; COMPUTE_PGM_RSRC2:USER_SGPR: 13
; COMPUTE_PGM_RSRC2:TRAP_HANDLER: 0
; COMPUTE_PGM_RSRC2:TGID_X_EN: 1
; COMPUTE_PGM_RSRC2:TGID_Y_EN: 1
; COMPUTE_PGM_RSRC2:TGID_Z_EN: 1
; COMPUTE_PGM_RSRC2:TIDIG_COMP_CNT: 1
	.section	.text._ZL37rocblas_syrkx_herkx_restricted_kernelIlfLi16ELi32ELi8ELb0ELb0ELc78ELc76EKPKfKPfEviT_T0_PT8_S5_lS8_S5_lS6_PT9_S5_li,"axG",@progbits,_ZL37rocblas_syrkx_herkx_restricted_kernelIlfLi16ELi32ELi8ELb0ELb0ELc78ELc76EKPKfKPfEviT_T0_PT8_S5_lS8_S5_lS6_PT9_S5_li,comdat
	.globl	_ZL37rocblas_syrkx_herkx_restricted_kernelIlfLi16ELi32ELi8ELb0ELb0ELc78ELc76EKPKfKPfEviT_T0_PT8_S5_lS8_S5_lS6_PT9_S5_li ; -- Begin function _ZL37rocblas_syrkx_herkx_restricted_kernelIlfLi16ELi32ELi8ELb0ELb0ELc78ELc76EKPKfKPfEviT_T0_PT8_S5_lS8_S5_lS6_PT9_S5_li
	.p2align	8
	.type	_ZL37rocblas_syrkx_herkx_restricted_kernelIlfLi16ELi32ELi8ELb0ELb0ELc78ELc76EKPKfKPfEviT_T0_PT8_S5_lS8_S5_lS6_PT9_S5_li,@function
_ZL37rocblas_syrkx_herkx_restricted_kernelIlfLi16ELi32ELi8ELb0ELb0ELc78ELc76EKPKfKPfEviT_T0_PT8_S5_lS8_S5_lS6_PT9_S5_li: ; @_ZL37rocblas_syrkx_herkx_restricted_kernelIlfLi16ELi32ELi8ELb0ELb0ELc78ELc76EKPKfKPfEviT_T0_PT8_S5_lS8_S5_lS6_PT9_S5_li
; %bb.0:
	s_clause 0x1
	s_load_b128 s[4:7], s[0:1], 0x50
	s_load_b64 s[16:17], s[0:1], 0x8
	s_mov_b32 s2, s15
	s_mov_b32 s3, 0
	v_dual_mov_b32 v8, 0 :: v_dual_and_b32 v5, 0x3ff, v0
	s_lshl_b64 s[18:19], s[2:3], 3
	v_bfe_u32 v7, v0, 10, 10
	v_dual_mov_b32 v9, 0 :: v_dual_mov_b32 v6, 0
	v_mov_b32_e32 v4, 0
	s_waitcnt lgkmcnt(0)
	s_add_u32 s2, s4, s18
	s_addc_u32 s3, s5, s19
	v_cmp_lt_i64_e64 s4, s[16:17], 1
	s_load_b64 s[2:3], s[2:3], 0x0
	s_lshl_b32 s20, s13, 5
	s_lshl_b32 s21, s14, 5
	s_delay_alu instid0(VALU_DEP_1)
	s_and_b32 vcc_lo, exec_lo, s4
	s_cbranch_vccnz .LBB1420_3
; %bb.1:
	s_clause 0x1
	s_load_b128 s[8:11], s[0:1], 0x30
	s_load_b128 s[12:15], s[0:1], 0x18
	v_lshl_add_u32 v3, v7, 4, v5
	v_and_b32_e32 v6, 7, v5
	v_lshlrev_b32_e32 v10, 2, v5
	v_lshl_add_u32 v11, v7, 5, 0x400
	s_delay_alu instid0(VALU_DEP_4) | instskip(SKIP_1) | instid1(VALU_DEP_2)
	v_lshrrev_b32_e32 v14, 3, v3
	v_lshrrev_b32_e32 v16, 5, v3
	v_add_nc_u32_e32 v0, s21, v14
	s_delay_alu instid0(VALU_DEP_1) | instskip(SKIP_2) | instid1(VALU_DEP_1)
	v_ashrrev_i32_e32 v1, 31, v0
	s_waitcnt lgkmcnt(0)
	s_add_u32 s4, s12, s18
	v_mad_u64_u32 v[8:9], null, v6, s10, v[0:1]
	v_and_b32_e32 v15, 31, v3
	s_addc_u32 s5, s13, s19
	s_add_u32 s8, s8, s18
	s_addc_u32 s9, s9, s19
	s_load_b64 s[4:5], s[4:5], 0x0
	v_add_nc_u32_e32 v2, s20, v15
	s_load_b64 s[8:9], s[8:9], 0x0
	s_delay_alu instid0(VALU_DEP_1) | instskip(NEXT) | instid1(VALU_DEP_1)
	v_ashrrev_i32_e32 v3, 31, v2
	v_mad_u64_u32 v[0:1], null, v16, s14, v[2:3]
	v_mov_b32_e32 v2, v9
	s_delay_alu instid0(VALU_DEP_1) | instskip(NEXT) | instid1(VALU_DEP_3)
	v_mad_u64_u32 v[3:4], null, v6, s11, v[2:3]
	v_mad_u64_u32 v[12:13], null, v16, s15, v[1:2]
	v_dual_mov_b32 v4, 0 :: v_dual_lshlrev_b32 v13, 2, v15
	s_delay_alu instid0(VALU_DEP_3) | instskip(NEXT) | instid1(VALU_DEP_1)
	v_mov_b32_e32 v9, v3
	v_lshlrev_b64 v[2:3], 2, v[8:9]
	v_mov_b32_e32 v9, 0
	v_dual_mov_b32 v6, 0 :: v_dual_lshlrev_b32 v1, 2, v6
	s_delay_alu instid0(VALU_DEP_1) | instskip(SKIP_2) | instid1(VALU_DEP_3)
	v_lshl_or_b32 v14, v14, 5, v1
	v_dual_mov_b32 v1, v12 :: v_dual_mov_b32 v8, 0
	v_lshl_or_b32 v12, v16, 7, v13
	v_add_nc_u32_e32 v13, 0x400, v14
	s_delay_alu instid0(VALU_DEP_3) | instskip(SKIP_4) | instid1(VALU_DEP_3)
	v_lshlrev_b64 v[14:15], 2, v[0:1]
	s_waitcnt lgkmcnt(0)
	v_add_co_u32 v0, vcc_lo, s8, v2
	v_add_co_ci_u32_e32 v1, vcc_lo, s9, v3, vcc_lo
	s_lshl_b64 s[8:9], s[14:15], 5
	v_add_co_u32 v2, vcc_lo, s4, v14
	v_add_co_ci_u32_e32 v3, vcc_lo, s5, v15, vcc_lo
	s_lshl_b64 s[4:5], s[10:11], 5
	s_mov_b64 s[10:11], 0
.LBB1420_2:                             ; =>This Inner Loop Header: Depth=1
	global_load_b32 v14, v[2:3], off
	global_load_b32 v15, v[0:1], off
	s_add_u32 s10, s10, 8
	v_add_co_u32 v0, vcc_lo, v0, s4
	s_addc_u32 s11, s11, 0
	v_add_co_ci_u32_e32 v1, vcc_lo, s5, v1, vcc_lo
	v_cmp_ge_u64_e64 s12, s[10:11], s[16:17]
	v_add_co_u32 v2, vcc_lo, v2, s8
	v_add_co_ci_u32_e32 v3, vcc_lo, s9, v3, vcc_lo
	s_waitcnt vmcnt(1)
	ds_store_b32 v12, v14
	s_waitcnt vmcnt(0)
	ds_store_b32 v13, v15
	s_waitcnt lgkmcnt(0)
	s_barrier
	buffer_gl0_inv
	ds_load_2addr_b32 v[30:31], v10 offset1:16
	ds_load_b128 v[14:17], v11
	ds_load_b128 v[18:21], v11 offset:512
	ds_load_2addr_b32 v[32:33], v10 offset0:32 offset1:48
	ds_load_2addr_b32 v[34:35], v10 offset0:64 offset1:80
	ds_load_b128 v[22:25], v11 offset:16
	ds_load_2addr_b32 v[36:37], v10 offset0:96 offset1:112
	ds_load_2addr_b32 v[38:39], v10 offset0:128 offset1:144
	;; [unrolled: 3-line block ×3, first 2 shown]
	ds_load_2addr_b32 v[44:45], v10 offset0:224 offset1:240
	s_and_b32 vcc_lo, exec_lo, s12
	s_waitcnt lgkmcnt(0)
	s_barrier
	buffer_gl0_inv
	v_fmac_f32_e32 v8, v31, v14
	s_delay_alu instid0(VALU_DEP_1) | instskip(NEXT) | instid1(VALU_DEP_1)
	v_dual_fmac_f32 v9, v30, v14 :: v_dual_fmac_f32 v8, v33, v15
	v_dual_fmac_f32 v9, v32, v15 :: v_dual_fmac_f32 v4, v31, v18
	s_delay_alu instid0(VALU_DEP_1) | instskip(NEXT) | instid1(VALU_DEP_1)
	v_fmac_f32_e32 v9, v34, v16
	v_dual_fmac_f32 v6, v30, v18 :: v_dual_fmac_f32 v9, v36, v17
	s_delay_alu instid0(VALU_DEP_1) | instskip(NEXT) | instid1(VALU_DEP_1)
	v_dual_fmac_f32 v6, v32, v19 :: v_dual_fmac_f32 v9, v38, v22
	v_dual_fmac_f32 v8, v35, v16 :: v_dual_fmac_f32 v9, v40, v23
	v_fmac_f32_e32 v4, v33, v19
	s_delay_alu instid0(VALU_DEP_2) | instskip(NEXT) | instid1(VALU_DEP_4)
	v_dual_fmac_f32 v8, v37, v17 :: v_dual_fmac_f32 v9, v42, v24
	v_fmac_f32_e32 v6, v34, v20
	s_delay_alu instid0(VALU_DEP_3) | instskip(NEXT) | instid1(VALU_DEP_3)
	v_fmac_f32_e32 v4, v35, v20
	v_dual_fmac_f32 v8, v39, v22 :: v_dual_fmac_f32 v9, v44, v25
	s_delay_alu instid0(VALU_DEP_3) | instskip(NEXT) | instid1(VALU_DEP_3)
	v_fmac_f32_e32 v6, v36, v21
	v_fmac_f32_e32 v4, v37, v21
	s_delay_alu instid0(VALU_DEP_3) | instskip(NEXT) | instid1(VALU_DEP_3)
	v_fmac_f32_e32 v8, v41, v23
	v_fmac_f32_e32 v6, v38, v26
	;; [unrolled: 3-line block ×5, first 2 shown]
	s_delay_alu instid0(VALU_DEP_3) | instskip(NEXT) | instid1(VALU_DEP_2)
	v_fmac_f32_e32 v4, v43, v28
	v_fmac_f32_e32 v6, v44, v29
	s_delay_alu instid0(VALU_DEP_2)
	v_fmac_f32_e32 v4, v45, v29
	s_cbranch_vccz .LBB1420_2
.LBB1420_3:
	v_add_nc_u32_e32 v7, s21, v7
	s_clause 0x2
	s_load_b32 s8, s[0:1], 0x0
	s_load_b32 s4, s[0:1], 0x10
	;; [unrolled: 1-line block ×3, first 2 shown]
	v_ashrrev_i32_e32 v0, 31, v7
	v_mul_lo_u32 v3, v7, s7
	v_mad_u64_u32 v[1:2], null, v7, s6, 0
	s_delay_alu instid0(VALU_DEP_3) | instskip(NEXT) | instid1(VALU_DEP_1)
	v_mul_lo_u32 v0, v0, s6
	v_add3_u32 v2, v2, v3, v0
	v_add_nc_u32_e32 v0, s20, v5
	s_delay_alu instid0(VALU_DEP_2) | instskip(NEXT) | instid1(VALU_DEP_2)
	v_lshlrev_b64 v[1:2], 2, v[1:2]
	v_cmp_le_i32_e64 s0, v7, v0
	s_waitcnt lgkmcnt(0)
	v_cmp_gt_i32_e32 vcc_lo, s8, v0
	s_delay_alu instid0(VALU_DEP_3) | instskip(NEXT) | instid1(VALU_DEP_1)
	v_add_co_u32 v5, s1, s2, v1
	v_add_co_ci_u32_e64 v10, s1, s3, v2, s1
	s_and_b32 s0, s0, vcc_lo
	s_delay_alu instid0(SALU_CYCLE_1)
	s_and_saveexec_b32 s1, s0
	s_cbranch_execz .LBB1420_5
; %bb.4:
	v_ashrrev_i32_e32 v1, 31, v0
	s_delay_alu instid0(VALU_DEP_1) | instskip(NEXT) | instid1(VALU_DEP_1)
	v_lshlrev_b64 v[1:2], 2, v[0:1]
	v_add_co_u32 v1, s0, v5, v1
	s_delay_alu instid0(VALU_DEP_1) | instskip(SKIP_3) | instid1(VALU_DEP_1)
	v_add_co_ci_u32_e64 v2, s0, v10, v2, s0
	global_load_b32 v3, v[1:2], off
	s_waitcnt vmcnt(0)
	v_mul_f32_e32 v3, s5, v3
	v_fmac_f32_e32 v3, s4, v9
	global_store_b32 v[1:2], v3, off
.LBB1420_5:
	s_or_b32 exec_lo, exec_lo, s1
	v_add_nc_u32_e32 v2, 16, v0
	s_delay_alu instid0(VALU_DEP_1) | instskip(SKIP_1) | instid1(VALU_DEP_1)
	v_cmp_le_i32_e64 s1, v7, v2
	v_cmp_gt_i32_e64 s0, s8, v2
	s_and_b32 s1, s1, s0
	s_delay_alu instid0(SALU_CYCLE_1)
	s_and_saveexec_b32 s8, s1
	s_cbranch_execz .LBB1420_7
; %bb.6:
	v_ashrrev_i32_e32 v3, 31, v2
	s_delay_alu instid0(VALU_DEP_1) | instskip(NEXT) | instid1(VALU_DEP_1)
	v_lshlrev_b64 v[11:12], 2, v[2:3]
	v_add_co_u32 v9, s1, v5, v11
	s_delay_alu instid0(VALU_DEP_1) | instskip(SKIP_3) | instid1(VALU_DEP_1)
	v_add_co_ci_u32_e64 v10, s1, v10, v12, s1
	global_load_b32 v1, v[9:10], off
	s_waitcnt vmcnt(0)
	v_mul_f32_e32 v1, s5, v1
	v_fmac_f32_e32 v1, s4, v8
	global_store_b32 v[9:10], v1, off
.LBB1420_7:
	s_or_b32 exec_lo, exec_lo, s8
	v_add_nc_u32_e32 v3, 16, v7
	s_delay_alu instid0(VALU_DEP_1) | instskip(SKIP_3) | instid1(VALU_DEP_4)
	v_ashrrev_i32_e32 v1, 31, v3
	v_mul_lo_u32 v5, v3, s7
	v_mad_u64_u32 v[7:8], null, v3, s6, 0
	v_cmp_le_i32_e64 s1, v3, v0
	v_mul_lo_u32 v1, v1, s6
	s_delay_alu instid0(VALU_DEP_1) | instskip(NEXT) | instid1(VALU_DEP_1)
	v_add3_u32 v8, v8, v5, v1
	v_lshlrev_b64 v[7:8], 2, v[7:8]
	s_delay_alu instid0(VALU_DEP_1) | instskip(NEXT) | instid1(VALU_DEP_1)
	v_add_co_u32 v5, s2, s2, v7
	v_add_co_ci_u32_e64 v7, s2, s3, v8, s2
	s_and_b32 s2, s1, vcc_lo
	s_delay_alu instid0(SALU_CYCLE_1)
	s_and_saveexec_b32 s1, s2
	s_cbranch_execz .LBB1420_9
; %bb.8:
	v_ashrrev_i32_e32 v1, 31, v0
	s_delay_alu instid0(VALU_DEP_1) | instskip(NEXT) | instid1(VALU_DEP_1)
	v_lshlrev_b64 v[0:1], 2, v[0:1]
	v_add_co_u32 v0, vcc_lo, v5, v0
	s_delay_alu instid0(VALU_DEP_2) | instskip(SKIP_3) | instid1(VALU_DEP_1)
	v_add_co_ci_u32_e32 v1, vcc_lo, v7, v1, vcc_lo
	global_load_b32 v8, v[0:1], off
	s_waitcnt vmcnt(0)
	v_mul_f32_e32 v8, s5, v8
	v_fmac_f32_e32 v8, s4, v6
	global_store_b32 v[0:1], v8, off
.LBB1420_9:
	s_or_b32 exec_lo, exec_lo, s1
	v_cmp_le_i32_e32 vcc_lo, v3, v2
	s_and_b32 s0, vcc_lo, s0
	s_delay_alu instid0(SALU_CYCLE_1)
	s_and_saveexec_b32 s1, s0
	s_cbranch_execz .LBB1420_11
; %bb.10:
	v_ashrrev_i32_e32 v3, 31, v2
	s_delay_alu instid0(VALU_DEP_1) | instskip(NEXT) | instid1(VALU_DEP_1)
	v_lshlrev_b64 v[0:1], 2, v[2:3]
	v_add_co_u32 v0, vcc_lo, v5, v0
	s_delay_alu instid0(VALU_DEP_2) | instskip(SKIP_3) | instid1(VALU_DEP_1)
	v_add_co_ci_u32_e32 v1, vcc_lo, v7, v1, vcc_lo
	global_load_b32 v2, v[0:1], off
	s_waitcnt vmcnt(0)
	v_mul_f32_e32 v2, s5, v2
	v_fmac_f32_e32 v2, s4, v4
	global_store_b32 v[0:1], v2, off
.LBB1420_11:
	s_nop 0
	s_sendmsg sendmsg(MSG_DEALLOC_VGPRS)
	s_endpgm
	.section	.rodata,"a",@progbits
	.p2align	6, 0x0
	.amdhsa_kernel _ZL37rocblas_syrkx_herkx_restricted_kernelIlfLi16ELi32ELi8ELb0ELb0ELc78ELc76EKPKfKPfEviT_T0_PT8_S5_lS8_S5_lS6_PT9_S5_li
		.amdhsa_group_segment_fixed_size 2048
		.amdhsa_private_segment_fixed_size 0
		.amdhsa_kernarg_size 108
		.amdhsa_user_sgpr_count 13
		.amdhsa_user_sgpr_dispatch_ptr 0
		.amdhsa_user_sgpr_queue_ptr 0
		.amdhsa_user_sgpr_kernarg_segment_ptr 1
		.amdhsa_user_sgpr_dispatch_id 0
		.amdhsa_user_sgpr_private_segment_size 0
		.amdhsa_wavefront_size32 1
		.amdhsa_uses_dynamic_stack 0
		.amdhsa_enable_private_segment 0
		.amdhsa_system_sgpr_workgroup_id_x 1
		.amdhsa_system_sgpr_workgroup_id_y 1
		.amdhsa_system_sgpr_workgroup_id_z 1
		.amdhsa_system_sgpr_workgroup_info 0
		.amdhsa_system_vgpr_workitem_id 1
		.amdhsa_next_free_vgpr 46
		.amdhsa_next_free_sgpr 22
		.amdhsa_reserve_vcc 1
		.amdhsa_float_round_mode_32 0
		.amdhsa_float_round_mode_16_64 0
		.amdhsa_float_denorm_mode_32 3
		.amdhsa_float_denorm_mode_16_64 3
		.amdhsa_dx10_clamp 1
		.amdhsa_ieee_mode 1
		.amdhsa_fp16_overflow 0
		.amdhsa_workgroup_processor_mode 1
		.amdhsa_memory_ordered 1
		.amdhsa_forward_progress 0
		.amdhsa_shared_vgpr_count 0
		.amdhsa_exception_fp_ieee_invalid_op 0
		.amdhsa_exception_fp_denorm_src 0
		.amdhsa_exception_fp_ieee_div_zero 0
		.amdhsa_exception_fp_ieee_overflow 0
		.amdhsa_exception_fp_ieee_underflow 0
		.amdhsa_exception_fp_ieee_inexact 0
		.amdhsa_exception_int_div_zero 0
	.end_amdhsa_kernel
	.section	.text._ZL37rocblas_syrkx_herkx_restricted_kernelIlfLi16ELi32ELi8ELb0ELb0ELc78ELc76EKPKfKPfEviT_T0_PT8_S5_lS8_S5_lS6_PT9_S5_li,"axG",@progbits,_ZL37rocblas_syrkx_herkx_restricted_kernelIlfLi16ELi32ELi8ELb0ELb0ELc78ELc76EKPKfKPfEviT_T0_PT8_S5_lS8_S5_lS6_PT9_S5_li,comdat
.Lfunc_end1420:
	.size	_ZL37rocblas_syrkx_herkx_restricted_kernelIlfLi16ELi32ELi8ELb0ELb0ELc78ELc76EKPKfKPfEviT_T0_PT8_S5_lS8_S5_lS6_PT9_S5_li, .Lfunc_end1420-_ZL37rocblas_syrkx_herkx_restricted_kernelIlfLi16ELi32ELi8ELb0ELb0ELc78ELc76EKPKfKPfEviT_T0_PT8_S5_lS8_S5_lS6_PT9_S5_li
                                        ; -- End function
	.section	.AMDGPU.csdata,"",@progbits
; Kernel info:
; codeLenInByte = 1364
; NumSgprs: 24
; NumVgprs: 46
; ScratchSize: 0
; MemoryBound: 0
; FloatMode: 240
; IeeeMode: 1
; LDSByteSize: 2048 bytes/workgroup (compile time only)
; SGPRBlocks: 2
; VGPRBlocks: 5
; NumSGPRsForWavesPerEU: 24
; NumVGPRsForWavesPerEU: 46
; Occupancy: 16
; WaveLimiterHint : 1
; COMPUTE_PGM_RSRC2:SCRATCH_EN: 0
; COMPUTE_PGM_RSRC2:USER_SGPR: 13
; COMPUTE_PGM_RSRC2:TRAP_HANDLER: 0
; COMPUTE_PGM_RSRC2:TGID_X_EN: 1
; COMPUTE_PGM_RSRC2:TGID_Y_EN: 1
; COMPUTE_PGM_RSRC2:TGID_Z_EN: 1
; COMPUTE_PGM_RSRC2:TIDIG_COMP_CNT: 1
	.section	.text._ZL37rocblas_syrkx_herkx_restricted_kernelIlfLi16ELi32ELi8ELb0ELb0ELc84ELc85EKPKfKPfEviT_T0_PT8_S5_lS8_S5_lS6_PT9_S5_li,"axG",@progbits,_ZL37rocblas_syrkx_herkx_restricted_kernelIlfLi16ELi32ELi8ELb0ELb0ELc84ELc85EKPKfKPfEviT_T0_PT8_S5_lS8_S5_lS6_PT9_S5_li,comdat
	.globl	_ZL37rocblas_syrkx_herkx_restricted_kernelIlfLi16ELi32ELi8ELb0ELb0ELc84ELc85EKPKfKPfEviT_T0_PT8_S5_lS8_S5_lS6_PT9_S5_li ; -- Begin function _ZL37rocblas_syrkx_herkx_restricted_kernelIlfLi16ELi32ELi8ELb0ELb0ELc84ELc85EKPKfKPfEviT_T0_PT8_S5_lS8_S5_lS6_PT9_S5_li
	.p2align	8
	.type	_ZL37rocblas_syrkx_herkx_restricted_kernelIlfLi16ELi32ELi8ELb0ELb0ELc84ELc85EKPKfKPfEviT_T0_PT8_S5_lS8_S5_lS6_PT9_S5_li,@function
_ZL37rocblas_syrkx_herkx_restricted_kernelIlfLi16ELi32ELi8ELb0ELb0ELc84ELc85EKPKfKPfEviT_T0_PT8_S5_lS8_S5_lS6_PT9_S5_li: ; @_ZL37rocblas_syrkx_herkx_restricted_kernelIlfLi16ELi32ELi8ELb0ELb0ELc84ELc85EKPKfKPfEviT_T0_PT8_S5_lS8_S5_lS6_PT9_S5_li
; %bb.0:
	s_clause 0x1
	s_load_b128 s[4:7], s[0:1], 0x50
	s_load_b64 s[16:17], s[0:1], 0x8
	s_mov_b32 s2, s15
	s_mov_b32 s3, 0
	v_dual_mov_b32 v9, 0 :: v_dual_and_b32 v6, 0x3ff, v0
	s_lshl_b64 s[18:19], s[2:3], 3
	v_bfe_u32 v7, v0, 10, 10
	v_dual_mov_b32 v8, 0 :: v_dual_mov_b32 v1, 0
	v_mov_b32_e32 v0, 0
	s_waitcnt lgkmcnt(0)
	s_add_u32 s2, s4, s18
	s_addc_u32 s3, s5, s19
	v_cmp_lt_i64_e64 s4, s[16:17], 1
	s_load_b64 s[2:3], s[2:3], 0x0
	s_lshl_b32 s20, s13, 5
	s_lshl_b32 s21, s14, 5
	s_delay_alu instid0(VALU_DEP_1)
	s_and_b32 vcc_lo, exec_lo, s4
	s_cbranch_vccnz .LBB1421_3
; %bb.1:
	s_clause 0x1
	s_load_b128 s[12:15], s[0:1], 0x18
	s_load_b128 s[8:11], s[0:1], 0x30
	v_lshl_add_u32 v2, v7, 4, v6
	v_dual_mov_b32 v1, 0 :: v_dual_and_b32 v0, 7, v6
	s_delay_alu instid0(VALU_DEP_2) | instskip(SKIP_2) | instid1(VALU_DEP_3)
	v_lshrrev_b32_e32 v11, 3, v2
	v_and_b32_e32 v12, 31, v2
	v_lshrrev_b32_e32 v2, 5, v2
	v_dual_mov_b32 v3, v1 :: v_dual_add_nc_u32 v10, s21, v11
	s_delay_alu instid0(VALU_DEP_3) | instskip(SKIP_1) | instid1(VALU_DEP_3)
	v_add_nc_u32_e32 v8, s20, v12
	v_lshlrev_b32_e32 v12, 2, v12
	v_ashrrev_i32_e32 v4, 31, v10
	s_delay_alu instid0(VALU_DEP_3) | instskip(NEXT) | instid1(VALU_DEP_3)
	v_ashrrev_i32_e32 v5, 31, v8
	v_lshl_or_b32 v12, v2, 7, v12
	s_waitcnt lgkmcnt(0)
	s_add_u32 s4, s12, s18
	s_addc_u32 s5, s13, s19
	s_add_u32 s8, s8, s18
	s_load_b64 s[4:5], s[4:5], 0x0
	v_mul_lo_u32 v13, v4, s10
	v_mul_lo_u32 v14, s14, v5
	v_mad_u64_u32 v[4:5], null, s14, v8, v[2:3]
	v_mul_lo_u32 v3, s15, v8
	s_addc_u32 s9, s9, s19
	v_mul_lo_u32 v15, v10, s11
	s_load_b64 s[8:9], s[8:9], 0x0
	v_mad_u64_u32 v[8:9], null, v10, s10, v[0:1]
	v_lshlrev_b32_e32 v0, 2, v0
	v_lshlrev_b32_e32 v10, 2, v6
	v_add3_u32 v5, v3, v5, v14
	s_delay_alu instid0(VALU_DEP_3) | instskip(SKIP_1) | instid1(VALU_DEP_3)
	v_lshl_or_b32 v0, v11, 5, v0
	v_add3_u32 v9, v13, v9, v15
	v_lshlrev_b64 v[3:4], 2, v[4:5]
	v_lshl_add_u32 v11, v7, 5, 0x400
	s_delay_alu instid0(VALU_DEP_4) | instskip(NEXT) | instid1(VALU_DEP_4)
	v_dual_mov_b32 v0, v1 :: v_dual_add_nc_u32 v13, 0x400, v0
	v_lshlrev_b64 v[8:9], 2, v[8:9]
	s_waitcnt lgkmcnt(0)
	s_delay_alu instid0(VALU_DEP_4) | instskip(SKIP_2) | instid1(VALU_DEP_3)
	v_add_co_u32 v2, vcc_lo, s4, v3
	v_add_co_ci_u32_e32 v3, vcc_lo, s5, v4, vcc_lo
	s_mov_b64 s[4:5], 0
	v_add_co_u32 v4, vcc_lo, s8, v8
	v_add_co_ci_u32_e32 v5, vcc_lo, s9, v9, vcc_lo
	v_mov_b32_e32 v8, v1
	v_mov_b32_e32 v9, v1
.LBB1421_2:                             ; =>This Inner Loop Header: Depth=1
	global_load_b32 v14, v[2:3], off
	global_load_b32 v15, v[4:5], off
	s_add_u32 s4, s4, 8
	v_add_co_u32 v4, vcc_lo, v4, 32
	s_addc_u32 s5, s5, 0
	v_add_co_ci_u32_e32 v5, vcc_lo, 0, v5, vcc_lo
	v_cmp_ge_u64_e64 s8, s[4:5], s[16:17]
	v_add_co_u32 v2, vcc_lo, v2, 32
	v_add_co_ci_u32_e32 v3, vcc_lo, 0, v3, vcc_lo
	s_waitcnt vmcnt(1)
	ds_store_b32 v12, v14
	s_waitcnt vmcnt(0)
	ds_store_b32 v13, v15
	s_waitcnt lgkmcnt(0)
	s_barrier
	buffer_gl0_inv
	ds_load_2addr_b32 v[30:31], v10 offset1:16
	ds_load_b128 v[14:17], v11
	ds_load_b128 v[18:21], v11 offset:512
	ds_load_2addr_b32 v[32:33], v10 offset0:32 offset1:48
	ds_load_2addr_b32 v[34:35], v10 offset0:64 offset1:80
	ds_load_b128 v[22:25], v11 offset:16
	ds_load_2addr_b32 v[36:37], v10 offset0:96 offset1:112
	ds_load_2addr_b32 v[38:39], v10 offset0:128 offset1:144
	;; [unrolled: 3-line block ×3, first 2 shown]
	ds_load_2addr_b32 v[44:45], v10 offset0:224 offset1:240
	s_and_b32 vcc_lo, exec_lo, s8
	s_waitcnt lgkmcnt(0)
	s_barrier
	buffer_gl0_inv
	v_fmac_f32_e32 v8, v31, v14
	v_fmac_f32_e32 v9, v30, v14
	;; [unrolled: 1-line block ×4, first 2 shown]
	s_delay_alu instid0(VALU_DEP_4) | instskip(NEXT) | instid1(VALU_DEP_4)
	v_fmac_f32_e32 v8, v33, v15
	v_fmac_f32_e32 v9, v32, v15
	s_delay_alu instid0(VALU_DEP_4) | instskip(NEXT) | instid1(VALU_DEP_4)
	v_fmac_f32_e32 v1, v33, v19
	v_fmac_f32_e32 v0, v32, v19
	;; [unrolled: 3-line block ×14, first 2 shown]
	s_cbranch_vccz .LBB1421_2
.LBB1421_3:
	v_add_nc_u32_e32 v7, s21, v7
	s_clause 0x2
	s_load_b32 s8, s[0:1], 0x0
	s_load_b32 s4, s[0:1], 0x10
	;; [unrolled: 1-line block ×3, first 2 shown]
	v_ashrrev_i32_e32 v2, 31, v7
	v_mul_lo_u32 v5, v7, s7
	v_mad_u64_u32 v[3:4], null, v7, s6, 0
	s_delay_alu instid0(VALU_DEP_3) | instskip(NEXT) | instid1(VALU_DEP_1)
	v_mul_lo_u32 v2, v2, s6
	v_add3_u32 v4, v4, v5, v2
	v_add_nc_u32_e32 v2, s20, v6
	s_waitcnt lgkmcnt(0)
	v_cmp_gt_i32_e32 vcc_lo, s8, v7
	s_delay_alu instid0(VALU_DEP_3) | instskip(NEXT) | instid1(VALU_DEP_3)
	v_lshlrev_b64 v[3:4], 2, v[3:4]
	v_cmp_le_i32_e64 s0, v2, v7
	s_delay_alu instid0(VALU_DEP_1) | instskip(NEXT) | instid1(VALU_DEP_2)
	s_and_b32 s0, vcc_lo, s0
	v_add_co_u32 v6, s1, s2, v3
	s_delay_alu instid0(VALU_DEP_1)
	v_add_co_ci_u32_e64 v10, s1, s3, v4, s1
	s_and_saveexec_b32 s1, s0
	s_cbranch_execz .LBB1421_5
; %bb.4:
	v_ashrrev_i32_e32 v3, 31, v2
	s_delay_alu instid0(VALU_DEP_1) | instskip(NEXT) | instid1(VALU_DEP_1)
	v_lshlrev_b64 v[3:4], 2, v[2:3]
	v_add_co_u32 v3, s0, v6, v3
	s_delay_alu instid0(VALU_DEP_1) | instskip(SKIP_3) | instid1(VALU_DEP_1)
	v_add_co_ci_u32_e64 v4, s0, v10, v4, s0
	global_load_b32 v5, v[3:4], off
	s_waitcnt vmcnt(0)
	v_mul_f32_e32 v5, s5, v5
	v_fmac_f32_e32 v5, s4, v9
	global_store_b32 v[3:4], v5, off
.LBB1421_5:
	s_or_b32 exec_lo, exec_lo, s1
	v_add_nc_u32_e32 v4, 16, v2
	s_delay_alu instid0(VALU_DEP_1) | instskip(NEXT) | instid1(VALU_DEP_1)
	v_cmp_le_i32_e64 s0, v4, v7
	s_and_b32 s1, vcc_lo, s0
	s_delay_alu instid0(SALU_CYCLE_1)
	s_and_saveexec_b32 s0, s1
	s_cbranch_execz .LBB1421_7
; %bb.6:
	v_ashrrev_i32_e32 v5, 31, v4
	s_delay_alu instid0(VALU_DEP_1) | instskip(NEXT) | instid1(VALU_DEP_1)
	v_lshlrev_b64 v[11:12], 2, v[4:5]
	v_add_co_u32 v5, vcc_lo, v6, v11
	s_delay_alu instid0(VALU_DEP_2) | instskip(SKIP_3) | instid1(VALU_DEP_1)
	v_add_co_ci_u32_e32 v6, vcc_lo, v10, v12, vcc_lo
	global_load_b32 v3, v[5:6], off
	s_waitcnt vmcnt(0)
	v_mul_f32_e32 v3, s5, v3
	v_fmac_f32_e32 v3, s4, v8
	global_store_b32 v[5:6], v3, off
.LBB1421_7:
	s_or_b32 exec_lo, exec_lo, s0
	v_add_nc_u32_e32 v5, 16, v7
	s_delay_alu instid0(VALU_DEP_1) | instskip(SKIP_3) | instid1(VALU_DEP_4)
	v_ashrrev_i32_e32 v3, 31, v5
	v_mul_lo_u32 v8, v5, s7
	v_mad_u64_u32 v[6:7], null, v5, s6, 0
	v_cmp_gt_i32_e32 vcc_lo, s8, v5
	v_mul_lo_u32 v3, v3, s6
	v_cmp_le_i32_e64 s0, v2, v5
	s_delay_alu instid0(VALU_DEP_1) | instskip(NEXT) | instid1(VALU_DEP_2)
	s_and_b32 s0, vcc_lo, s0
	v_add3_u32 v7, v7, v8, v3
	s_delay_alu instid0(VALU_DEP_1) | instskip(NEXT) | instid1(VALU_DEP_1)
	v_lshlrev_b64 v[6:7], 2, v[6:7]
	v_add_co_u32 v6, s1, s2, v6
	s_delay_alu instid0(VALU_DEP_1)
	v_add_co_ci_u32_e64 v7, s1, s3, v7, s1
	s_and_saveexec_b32 s1, s0
	s_cbranch_execz .LBB1421_9
; %bb.8:
	v_ashrrev_i32_e32 v3, 31, v2
	s_delay_alu instid0(VALU_DEP_1) | instskip(NEXT) | instid1(VALU_DEP_1)
	v_lshlrev_b64 v[2:3], 2, v[2:3]
	v_add_co_u32 v2, s0, v6, v2
	s_delay_alu instid0(VALU_DEP_1) | instskip(SKIP_3) | instid1(VALU_DEP_1)
	v_add_co_ci_u32_e64 v3, s0, v7, v3, s0
	global_load_b32 v8, v[2:3], off
	s_waitcnt vmcnt(0)
	v_mul_f32_e32 v8, s5, v8
	v_fmac_f32_e32 v8, s4, v0
	global_store_b32 v[2:3], v8, off
.LBB1421_9:
	s_or_b32 exec_lo, exec_lo, s1
	v_cmp_le_i32_e64 s0, v4, v5
	s_delay_alu instid0(VALU_DEP_1) | instskip(NEXT) | instid1(SALU_CYCLE_1)
	s_and_b32 s0, vcc_lo, s0
	s_and_saveexec_b32 s1, s0
	s_cbranch_execz .LBB1421_11
; %bb.10:
	v_ashrrev_i32_e32 v5, 31, v4
	s_delay_alu instid0(VALU_DEP_1) | instskip(NEXT) | instid1(VALU_DEP_1)
	v_lshlrev_b64 v[2:3], 2, v[4:5]
	v_add_co_u32 v2, vcc_lo, v6, v2
	s_delay_alu instid0(VALU_DEP_2) | instskip(SKIP_3) | instid1(VALU_DEP_1)
	v_add_co_ci_u32_e32 v3, vcc_lo, v7, v3, vcc_lo
	global_load_b32 v0, v[2:3], off
	s_waitcnt vmcnt(0)
	v_mul_f32_e32 v0, s5, v0
	v_fmac_f32_e32 v0, s4, v1
	global_store_b32 v[2:3], v0, off
.LBB1421_11:
	s_nop 0
	s_sendmsg sendmsg(MSG_DEALLOC_VGPRS)
	s_endpgm
	.section	.rodata,"a",@progbits
	.p2align	6, 0x0
	.amdhsa_kernel _ZL37rocblas_syrkx_herkx_restricted_kernelIlfLi16ELi32ELi8ELb0ELb0ELc84ELc85EKPKfKPfEviT_T0_PT8_S5_lS8_S5_lS6_PT9_S5_li
		.amdhsa_group_segment_fixed_size 2048
		.amdhsa_private_segment_fixed_size 0
		.amdhsa_kernarg_size 108
		.amdhsa_user_sgpr_count 13
		.amdhsa_user_sgpr_dispatch_ptr 0
		.amdhsa_user_sgpr_queue_ptr 0
		.amdhsa_user_sgpr_kernarg_segment_ptr 1
		.amdhsa_user_sgpr_dispatch_id 0
		.amdhsa_user_sgpr_private_segment_size 0
		.amdhsa_wavefront_size32 1
		.amdhsa_uses_dynamic_stack 0
		.amdhsa_enable_private_segment 0
		.amdhsa_system_sgpr_workgroup_id_x 1
		.amdhsa_system_sgpr_workgroup_id_y 1
		.amdhsa_system_sgpr_workgroup_id_z 1
		.amdhsa_system_sgpr_workgroup_info 0
		.amdhsa_system_vgpr_workitem_id 1
		.amdhsa_next_free_vgpr 46
		.amdhsa_next_free_sgpr 22
		.amdhsa_reserve_vcc 1
		.amdhsa_float_round_mode_32 0
		.amdhsa_float_round_mode_16_64 0
		.amdhsa_float_denorm_mode_32 3
		.amdhsa_float_denorm_mode_16_64 3
		.amdhsa_dx10_clamp 1
		.amdhsa_ieee_mode 1
		.amdhsa_fp16_overflow 0
		.amdhsa_workgroup_processor_mode 1
		.amdhsa_memory_ordered 1
		.amdhsa_forward_progress 0
		.amdhsa_shared_vgpr_count 0
		.amdhsa_exception_fp_ieee_invalid_op 0
		.amdhsa_exception_fp_denorm_src 0
		.amdhsa_exception_fp_ieee_div_zero 0
		.amdhsa_exception_fp_ieee_overflow 0
		.amdhsa_exception_fp_ieee_underflow 0
		.amdhsa_exception_fp_ieee_inexact 0
		.amdhsa_exception_int_div_zero 0
	.end_amdhsa_kernel
	.section	.text._ZL37rocblas_syrkx_herkx_restricted_kernelIlfLi16ELi32ELi8ELb0ELb0ELc84ELc85EKPKfKPfEviT_T0_PT8_S5_lS8_S5_lS6_PT9_S5_li,"axG",@progbits,_ZL37rocblas_syrkx_herkx_restricted_kernelIlfLi16ELi32ELi8ELb0ELb0ELc84ELc85EKPKfKPfEviT_T0_PT8_S5_lS8_S5_lS6_PT9_S5_li,comdat
.Lfunc_end1421:
	.size	_ZL37rocblas_syrkx_herkx_restricted_kernelIlfLi16ELi32ELi8ELb0ELb0ELc84ELc85EKPKfKPfEviT_T0_PT8_S5_lS8_S5_lS6_PT9_S5_li, .Lfunc_end1421-_ZL37rocblas_syrkx_herkx_restricted_kernelIlfLi16ELi32ELi8ELb0ELb0ELc84ELc85EKPKfKPfEviT_T0_PT8_S5_lS8_S5_lS6_PT9_S5_li
                                        ; -- End function
	.section	.AMDGPU.csdata,"",@progbits
; Kernel info:
; codeLenInByte = 1384
; NumSgprs: 24
; NumVgprs: 46
; ScratchSize: 0
; MemoryBound: 0
; FloatMode: 240
; IeeeMode: 1
; LDSByteSize: 2048 bytes/workgroup (compile time only)
; SGPRBlocks: 2
; VGPRBlocks: 5
; NumSGPRsForWavesPerEU: 24
; NumVGPRsForWavesPerEU: 46
; Occupancy: 16
; WaveLimiterHint : 1
; COMPUTE_PGM_RSRC2:SCRATCH_EN: 0
; COMPUTE_PGM_RSRC2:USER_SGPR: 13
; COMPUTE_PGM_RSRC2:TRAP_HANDLER: 0
; COMPUTE_PGM_RSRC2:TGID_X_EN: 1
; COMPUTE_PGM_RSRC2:TGID_Y_EN: 1
; COMPUTE_PGM_RSRC2:TGID_Z_EN: 1
; COMPUTE_PGM_RSRC2:TIDIG_COMP_CNT: 1
	.section	.text._ZL37rocblas_syrkx_herkx_restricted_kernelIlfLi16ELi32ELi8ELb0ELb0ELc67ELc85EKPKfKPfEviT_T0_PT8_S5_lS8_S5_lS6_PT9_S5_li,"axG",@progbits,_ZL37rocblas_syrkx_herkx_restricted_kernelIlfLi16ELi32ELi8ELb0ELb0ELc67ELc85EKPKfKPfEviT_T0_PT8_S5_lS8_S5_lS6_PT9_S5_li,comdat
	.globl	_ZL37rocblas_syrkx_herkx_restricted_kernelIlfLi16ELi32ELi8ELb0ELb0ELc67ELc85EKPKfKPfEviT_T0_PT8_S5_lS8_S5_lS6_PT9_S5_li ; -- Begin function _ZL37rocblas_syrkx_herkx_restricted_kernelIlfLi16ELi32ELi8ELb0ELb0ELc67ELc85EKPKfKPfEviT_T0_PT8_S5_lS8_S5_lS6_PT9_S5_li
	.p2align	8
	.type	_ZL37rocblas_syrkx_herkx_restricted_kernelIlfLi16ELi32ELi8ELb0ELb0ELc67ELc85EKPKfKPfEviT_T0_PT8_S5_lS8_S5_lS6_PT9_S5_li,@function
_ZL37rocblas_syrkx_herkx_restricted_kernelIlfLi16ELi32ELi8ELb0ELb0ELc67ELc85EKPKfKPfEviT_T0_PT8_S5_lS8_S5_lS6_PT9_S5_li: ; @_ZL37rocblas_syrkx_herkx_restricted_kernelIlfLi16ELi32ELi8ELb0ELb0ELc67ELc85EKPKfKPfEviT_T0_PT8_S5_lS8_S5_lS6_PT9_S5_li
; %bb.0:
	s_clause 0x1
	s_load_b128 s[4:7], s[0:1], 0x50
	s_load_b64 s[16:17], s[0:1], 0x8
	s_mov_b32 s2, s15
	s_mov_b32 s3, 0
	v_dual_mov_b32 v9, 0 :: v_dual_and_b32 v6, 0x3ff, v0
	s_lshl_b64 s[18:19], s[2:3], 3
	v_bfe_u32 v7, v0, 10, 10
	v_dual_mov_b32 v8, 0 :: v_dual_mov_b32 v1, 0
	v_mov_b32_e32 v0, 0
	s_waitcnt lgkmcnt(0)
	s_add_u32 s2, s4, s18
	s_addc_u32 s3, s5, s19
	v_cmp_lt_i64_e64 s4, s[16:17], 1
	s_load_b64 s[2:3], s[2:3], 0x0
	s_lshl_b32 s20, s13, 5
	s_lshl_b32 s21, s14, 5
	s_delay_alu instid0(VALU_DEP_1)
	s_and_b32 vcc_lo, exec_lo, s4
	s_cbranch_vccnz .LBB1422_3
; %bb.1:
	s_clause 0x1
	s_load_b128 s[12:15], s[0:1], 0x18
	s_load_b128 s[8:11], s[0:1], 0x30
	v_lshl_add_u32 v2, v7, 4, v6
	v_dual_mov_b32 v1, 0 :: v_dual_and_b32 v0, 7, v6
	s_delay_alu instid0(VALU_DEP_2) | instskip(SKIP_2) | instid1(VALU_DEP_3)
	v_lshrrev_b32_e32 v11, 3, v2
	v_and_b32_e32 v12, 31, v2
	v_lshrrev_b32_e32 v2, 5, v2
	v_dual_mov_b32 v3, v1 :: v_dual_add_nc_u32 v10, s21, v11
	s_delay_alu instid0(VALU_DEP_3) | instskip(SKIP_1) | instid1(VALU_DEP_3)
	v_add_nc_u32_e32 v8, s20, v12
	v_lshlrev_b32_e32 v12, 2, v12
	v_ashrrev_i32_e32 v4, 31, v10
	s_delay_alu instid0(VALU_DEP_3) | instskip(NEXT) | instid1(VALU_DEP_3)
	v_ashrrev_i32_e32 v5, 31, v8
	v_lshl_or_b32 v12, v2, 7, v12
	s_waitcnt lgkmcnt(0)
	s_add_u32 s4, s12, s18
	s_addc_u32 s5, s13, s19
	s_add_u32 s8, s8, s18
	s_load_b64 s[4:5], s[4:5], 0x0
	v_mul_lo_u32 v13, v4, s10
	v_mul_lo_u32 v14, s14, v5
	v_mad_u64_u32 v[4:5], null, s14, v8, v[2:3]
	v_mul_lo_u32 v3, s15, v8
	s_addc_u32 s9, s9, s19
	v_mul_lo_u32 v15, v10, s11
	s_load_b64 s[8:9], s[8:9], 0x0
	v_mad_u64_u32 v[8:9], null, v10, s10, v[0:1]
	v_lshlrev_b32_e32 v0, 2, v0
	v_lshlrev_b32_e32 v10, 2, v6
	v_add3_u32 v5, v3, v5, v14
	s_delay_alu instid0(VALU_DEP_3) | instskip(SKIP_1) | instid1(VALU_DEP_3)
	v_lshl_or_b32 v0, v11, 5, v0
	v_add3_u32 v9, v13, v9, v15
	v_lshlrev_b64 v[3:4], 2, v[4:5]
	v_lshl_add_u32 v11, v7, 5, 0x400
	s_delay_alu instid0(VALU_DEP_4) | instskip(NEXT) | instid1(VALU_DEP_4)
	v_dual_mov_b32 v0, v1 :: v_dual_add_nc_u32 v13, 0x400, v0
	v_lshlrev_b64 v[8:9], 2, v[8:9]
	s_waitcnt lgkmcnt(0)
	s_delay_alu instid0(VALU_DEP_4) | instskip(SKIP_2) | instid1(VALU_DEP_3)
	v_add_co_u32 v2, vcc_lo, s4, v3
	v_add_co_ci_u32_e32 v3, vcc_lo, s5, v4, vcc_lo
	s_mov_b64 s[4:5], 0
	v_add_co_u32 v4, vcc_lo, s8, v8
	v_add_co_ci_u32_e32 v5, vcc_lo, s9, v9, vcc_lo
	v_mov_b32_e32 v8, v1
	v_mov_b32_e32 v9, v1
.LBB1422_2:                             ; =>This Inner Loop Header: Depth=1
	global_load_b32 v14, v[2:3], off
	global_load_b32 v15, v[4:5], off
	s_add_u32 s4, s4, 8
	v_add_co_u32 v4, vcc_lo, v4, 32
	s_addc_u32 s5, s5, 0
	v_add_co_ci_u32_e32 v5, vcc_lo, 0, v5, vcc_lo
	v_cmp_ge_u64_e64 s8, s[4:5], s[16:17]
	v_add_co_u32 v2, vcc_lo, v2, 32
	v_add_co_ci_u32_e32 v3, vcc_lo, 0, v3, vcc_lo
	s_waitcnt vmcnt(1)
	ds_store_b32 v12, v14
	s_waitcnt vmcnt(0)
	ds_store_b32 v13, v15
	s_waitcnt lgkmcnt(0)
	s_barrier
	buffer_gl0_inv
	ds_load_2addr_b32 v[30:31], v10 offset1:16
	ds_load_b128 v[14:17], v11
	ds_load_b128 v[18:21], v11 offset:512
	ds_load_2addr_b32 v[32:33], v10 offset0:32 offset1:48
	ds_load_2addr_b32 v[34:35], v10 offset0:64 offset1:80
	ds_load_b128 v[22:25], v11 offset:16
	ds_load_2addr_b32 v[36:37], v10 offset0:96 offset1:112
	ds_load_2addr_b32 v[38:39], v10 offset0:128 offset1:144
	;; [unrolled: 3-line block ×3, first 2 shown]
	ds_load_2addr_b32 v[44:45], v10 offset0:224 offset1:240
	s_and_b32 vcc_lo, exec_lo, s8
	s_waitcnt lgkmcnt(0)
	s_barrier
	buffer_gl0_inv
	v_fmac_f32_e32 v8, v31, v14
	v_fmac_f32_e32 v9, v30, v14
	;; [unrolled: 1-line block ×4, first 2 shown]
	s_delay_alu instid0(VALU_DEP_4) | instskip(NEXT) | instid1(VALU_DEP_4)
	v_fmac_f32_e32 v8, v33, v15
	v_fmac_f32_e32 v9, v32, v15
	s_delay_alu instid0(VALU_DEP_4) | instskip(NEXT) | instid1(VALU_DEP_4)
	v_fmac_f32_e32 v1, v33, v19
	v_fmac_f32_e32 v0, v32, v19
	;; [unrolled: 3-line block ×14, first 2 shown]
	s_cbranch_vccz .LBB1422_2
.LBB1422_3:
	v_add_nc_u32_e32 v7, s21, v7
	s_clause 0x2
	s_load_b32 s8, s[0:1], 0x0
	s_load_b32 s4, s[0:1], 0x10
	;; [unrolled: 1-line block ×3, first 2 shown]
	v_ashrrev_i32_e32 v2, 31, v7
	v_mul_lo_u32 v5, v7, s7
	v_mad_u64_u32 v[3:4], null, v7, s6, 0
	s_delay_alu instid0(VALU_DEP_3) | instskip(NEXT) | instid1(VALU_DEP_1)
	v_mul_lo_u32 v2, v2, s6
	v_add3_u32 v4, v4, v5, v2
	v_add_nc_u32_e32 v2, s20, v6
	s_waitcnt lgkmcnt(0)
	v_cmp_gt_i32_e32 vcc_lo, s8, v7
	s_delay_alu instid0(VALU_DEP_3) | instskip(NEXT) | instid1(VALU_DEP_3)
	v_lshlrev_b64 v[3:4], 2, v[3:4]
	v_cmp_le_i32_e64 s0, v2, v7
	s_delay_alu instid0(VALU_DEP_1) | instskip(NEXT) | instid1(VALU_DEP_2)
	s_and_b32 s0, vcc_lo, s0
	v_add_co_u32 v6, s1, s2, v3
	s_delay_alu instid0(VALU_DEP_1)
	v_add_co_ci_u32_e64 v10, s1, s3, v4, s1
	s_and_saveexec_b32 s1, s0
	s_cbranch_execz .LBB1422_5
; %bb.4:
	v_ashrrev_i32_e32 v3, 31, v2
	s_delay_alu instid0(VALU_DEP_1) | instskip(NEXT) | instid1(VALU_DEP_1)
	v_lshlrev_b64 v[3:4], 2, v[2:3]
	v_add_co_u32 v3, s0, v6, v3
	s_delay_alu instid0(VALU_DEP_1) | instskip(SKIP_3) | instid1(VALU_DEP_1)
	v_add_co_ci_u32_e64 v4, s0, v10, v4, s0
	global_load_b32 v5, v[3:4], off
	s_waitcnt vmcnt(0)
	v_mul_f32_e32 v5, s5, v5
	v_fmac_f32_e32 v5, s4, v9
	global_store_b32 v[3:4], v5, off
.LBB1422_5:
	s_or_b32 exec_lo, exec_lo, s1
	v_add_nc_u32_e32 v4, 16, v2
	s_delay_alu instid0(VALU_DEP_1) | instskip(NEXT) | instid1(VALU_DEP_1)
	v_cmp_le_i32_e64 s0, v4, v7
	s_and_b32 s1, vcc_lo, s0
	s_delay_alu instid0(SALU_CYCLE_1)
	s_and_saveexec_b32 s0, s1
	s_cbranch_execz .LBB1422_7
; %bb.6:
	v_ashrrev_i32_e32 v5, 31, v4
	s_delay_alu instid0(VALU_DEP_1) | instskip(NEXT) | instid1(VALU_DEP_1)
	v_lshlrev_b64 v[11:12], 2, v[4:5]
	v_add_co_u32 v5, vcc_lo, v6, v11
	s_delay_alu instid0(VALU_DEP_2) | instskip(SKIP_3) | instid1(VALU_DEP_1)
	v_add_co_ci_u32_e32 v6, vcc_lo, v10, v12, vcc_lo
	global_load_b32 v3, v[5:6], off
	s_waitcnt vmcnt(0)
	v_mul_f32_e32 v3, s5, v3
	v_fmac_f32_e32 v3, s4, v8
	global_store_b32 v[5:6], v3, off
.LBB1422_7:
	s_or_b32 exec_lo, exec_lo, s0
	v_add_nc_u32_e32 v5, 16, v7
	s_delay_alu instid0(VALU_DEP_1) | instskip(SKIP_3) | instid1(VALU_DEP_4)
	v_ashrrev_i32_e32 v3, 31, v5
	v_mul_lo_u32 v8, v5, s7
	v_mad_u64_u32 v[6:7], null, v5, s6, 0
	v_cmp_gt_i32_e32 vcc_lo, s8, v5
	v_mul_lo_u32 v3, v3, s6
	v_cmp_le_i32_e64 s0, v2, v5
	s_delay_alu instid0(VALU_DEP_1) | instskip(NEXT) | instid1(VALU_DEP_2)
	s_and_b32 s0, vcc_lo, s0
	v_add3_u32 v7, v7, v8, v3
	s_delay_alu instid0(VALU_DEP_1) | instskip(NEXT) | instid1(VALU_DEP_1)
	v_lshlrev_b64 v[6:7], 2, v[6:7]
	v_add_co_u32 v6, s1, s2, v6
	s_delay_alu instid0(VALU_DEP_1)
	v_add_co_ci_u32_e64 v7, s1, s3, v7, s1
	s_and_saveexec_b32 s1, s0
	s_cbranch_execz .LBB1422_9
; %bb.8:
	v_ashrrev_i32_e32 v3, 31, v2
	s_delay_alu instid0(VALU_DEP_1) | instskip(NEXT) | instid1(VALU_DEP_1)
	v_lshlrev_b64 v[2:3], 2, v[2:3]
	v_add_co_u32 v2, s0, v6, v2
	s_delay_alu instid0(VALU_DEP_1) | instskip(SKIP_3) | instid1(VALU_DEP_1)
	v_add_co_ci_u32_e64 v3, s0, v7, v3, s0
	global_load_b32 v8, v[2:3], off
	s_waitcnt vmcnt(0)
	v_mul_f32_e32 v8, s5, v8
	v_fmac_f32_e32 v8, s4, v0
	global_store_b32 v[2:3], v8, off
.LBB1422_9:
	s_or_b32 exec_lo, exec_lo, s1
	v_cmp_le_i32_e64 s0, v4, v5
	s_delay_alu instid0(VALU_DEP_1) | instskip(NEXT) | instid1(SALU_CYCLE_1)
	s_and_b32 s0, vcc_lo, s0
	s_and_saveexec_b32 s1, s0
	s_cbranch_execz .LBB1422_11
; %bb.10:
	v_ashrrev_i32_e32 v5, 31, v4
	s_delay_alu instid0(VALU_DEP_1) | instskip(NEXT) | instid1(VALU_DEP_1)
	v_lshlrev_b64 v[2:3], 2, v[4:5]
	v_add_co_u32 v2, vcc_lo, v6, v2
	s_delay_alu instid0(VALU_DEP_2) | instskip(SKIP_3) | instid1(VALU_DEP_1)
	v_add_co_ci_u32_e32 v3, vcc_lo, v7, v3, vcc_lo
	global_load_b32 v0, v[2:3], off
	s_waitcnt vmcnt(0)
	v_mul_f32_e32 v0, s5, v0
	v_fmac_f32_e32 v0, s4, v1
	global_store_b32 v[2:3], v0, off
.LBB1422_11:
	s_nop 0
	s_sendmsg sendmsg(MSG_DEALLOC_VGPRS)
	s_endpgm
	.section	.rodata,"a",@progbits
	.p2align	6, 0x0
	.amdhsa_kernel _ZL37rocblas_syrkx_herkx_restricted_kernelIlfLi16ELi32ELi8ELb0ELb0ELc67ELc85EKPKfKPfEviT_T0_PT8_S5_lS8_S5_lS6_PT9_S5_li
		.amdhsa_group_segment_fixed_size 2048
		.amdhsa_private_segment_fixed_size 0
		.amdhsa_kernarg_size 108
		.amdhsa_user_sgpr_count 13
		.amdhsa_user_sgpr_dispatch_ptr 0
		.amdhsa_user_sgpr_queue_ptr 0
		.amdhsa_user_sgpr_kernarg_segment_ptr 1
		.amdhsa_user_sgpr_dispatch_id 0
		.amdhsa_user_sgpr_private_segment_size 0
		.amdhsa_wavefront_size32 1
		.amdhsa_uses_dynamic_stack 0
		.amdhsa_enable_private_segment 0
		.amdhsa_system_sgpr_workgroup_id_x 1
		.amdhsa_system_sgpr_workgroup_id_y 1
		.amdhsa_system_sgpr_workgroup_id_z 1
		.amdhsa_system_sgpr_workgroup_info 0
		.amdhsa_system_vgpr_workitem_id 1
		.amdhsa_next_free_vgpr 46
		.amdhsa_next_free_sgpr 22
		.amdhsa_reserve_vcc 1
		.amdhsa_float_round_mode_32 0
		.amdhsa_float_round_mode_16_64 0
		.amdhsa_float_denorm_mode_32 3
		.amdhsa_float_denorm_mode_16_64 3
		.amdhsa_dx10_clamp 1
		.amdhsa_ieee_mode 1
		.amdhsa_fp16_overflow 0
		.amdhsa_workgroup_processor_mode 1
		.amdhsa_memory_ordered 1
		.amdhsa_forward_progress 0
		.amdhsa_shared_vgpr_count 0
		.amdhsa_exception_fp_ieee_invalid_op 0
		.amdhsa_exception_fp_denorm_src 0
		.amdhsa_exception_fp_ieee_div_zero 0
		.amdhsa_exception_fp_ieee_overflow 0
		.amdhsa_exception_fp_ieee_underflow 0
		.amdhsa_exception_fp_ieee_inexact 0
		.amdhsa_exception_int_div_zero 0
	.end_amdhsa_kernel
	.section	.text._ZL37rocblas_syrkx_herkx_restricted_kernelIlfLi16ELi32ELi8ELb0ELb0ELc67ELc85EKPKfKPfEviT_T0_PT8_S5_lS8_S5_lS6_PT9_S5_li,"axG",@progbits,_ZL37rocblas_syrkx_herkx_restricted_kernelIlfLi16ELi32ELi8ELb0ELb0ELc67ELc85EKPKfKPfEviT_T0_PT8_S5_lS8_S5_lS6_PT9_S5_li,comdat
.Lfunc_end1422:
	.size	_ZL37rocblas_syrkx_herkx_restricted_kernelIlfLi16ELi32ELi8ELb0ELb0ELc67ELc85EKPKfKPfEviT_T0_PT8_S5_lS8_S5_lS6_PT9_S5_li, .Lfunc_end1422-_ZL37rocblas_syrkx_herkx_restricted_kernelIlfLi16ELi32ELi8ELb0ELb0ELc67ELc85EKPKfKPfEviT_T0_PT8_S5_lS8_S5_lS6_PT9_S5_li
                                        ; -- End function
	.section	.AMDGPU.csdata,"",@progbits
; Kernel info:
; codeLenInByte = 1384
; NumSgprs: 24
; NumVgprs: 46
; ScratchSize: 0
; MemoryBound: 0
; FloatMode: 240
; IeeeMode: 1
; LDSByteSize: 2048 bytes/workgroup (compile time only)
; SGPRBlocks: 2
; VGPRBlocks: 5
; NumSGPRsForWavesPerEU: 24
; NumVGPRsForWavesPerEU: 46
; Occupancy: 16
; WaveLimiterHint : 1
; COMPUTE_PGM_RSRC2:SCRATCH_EN: 0
; COMPUTE_PGM_RSRC2:USER_SGPR: 13
; COMPUTE_PGM_RSRC2:TRAP_HANDLER: 0
; COMPUTE_PGM_RSRC2:TGID_X_EN: 1
; COMPUTE_PGM_RSRC2:TGID_Y_EN: 1
; COMPUTE_PGM_RSRC2:TGID_Z_EN: 1
; COMPUTE_PGM_RSRC2:TIDIG_COMP_CNT: 1
	.section	.text._ZL37rocblas_syrkx_herkx_restricted_kernelIlfLi16ELi32ELi8ELb0ELb0ELc78ELc85EKPKfKPfEviT_T0_PT8_S5_lS8_S5_lS6_PT9_S5_li,"axG",@progbits,_ZL37rocblas_syrkx_herkx_restricted_kernelIlfLi16ELi32ELi8ELb0ELb0ELc78ELc85EKPKfKPfEviT_T0_PT8_S5_lS8_S5_lS6_PT9_S5_li,comdat
	.globl	_ZL37rocblas_syrkx_herkx_restricted_kernelIlfLi16ELi32ELi8ELb0ELb0ELc78ELc85EKPKfKPfEviT_T0_PT8_S5_lS8_S5_lS6_PT9_S5_li ; -- Begin function _ZL37rocblas_syrkx_herkx_restricted_kernelIlfLi16ELi32ELi8ELb0ELb0ELc78ELc85EKPKfKPfEviT_T0_PT8_S5_lS8_S5_lS6_PT9_S5_li
	.p2align	8
	.type	_ZL37rocblas_syrkx_herkx_restricted_kernelIlfLi16ELi32ELi8ELb0ELb0ELc78ELc85EKPKfKPfEviT_T0_PT8_S5_lS8_S5_lS6_PT9_S5_li,@function
_ZL37rocblas_syrkx_herkx_restricted_kernelIlfLi16ELi32ELi8ELb0ELb0ELc78ELc85EKPKfKPfEviT_T0_PT8_S5_lS8_S5_lS6_PT9_S5_li: ; @_ZL37rocblas_syrkx_herkx_restricted_kernelIlfLi16ELi32ELi8ELb0ELb0ELc78ELc85EKPKfKPfEviT_T0_PT8_S5_lS8_S5_lS6_PT9_S5_li
; %bb.0:
	s_clause 0x1
	s_load_b128 s[4:7], s[0:1], 0x50
	s_load_b64 s[16:17], s[0:1], 0x8
	s_mov_b32 s2, s15
	s_mov_b32 s3, 0
	v_dual_mov_b32 v8, 0 :: v_dual_and_b32 v5, 0x3ff, v0
	s_lshl_b64 s[18:19], s[2:3], 3
	v_bfe_u32 v7, v0, 10, 10
	v_dual_mov_b32 v9, 0 :: v_dual_mov_b32 v6, 0
	v_mov_b32_e32 v4, 0
	s_waitcnt lgkmcnt(0)
	s_add_u32 s2, s4, s18
	s_addc_u32 s3, s5, s19
	v_cmp_lt_i64_e64 s4, s[16:17], 1
	s_load_b64 s[2:3], s[2:3], 0x0
	s_lshl_b32 s20, s13, 5
	s_lshl_b32 s21, s14, 5
	s_delay_alu instid0(VALU_DEP_1)
	s_and_b32 vcc_lo, exec_lo, s4
	s_cbranch_vccnz .LBB1423_3
; %bb.1:
	s_clause 0x1
	s_load_b128 s[8:11], s[0:1], 0x30
	s_load_b128 s[12:15], s[0:1], 0x18
	v_lshl_add_u32 v3, v7, 4, v5
	v_and_b32_e32 v6, 7, v5
	v_lshlrev_b32_e32 v10, 2, v5
	v_lshl_add_u32 v11, v7, 5, 0x400
	s_delay_alu instid0(VALU_DEP_4) | instskip(SKIP_1) | instid1(VALU_DEP_2)
	v_lshrrev_b32_e32 v14, 3, v3
	v_lshrrev_b32_e32 v16, 5, v3
	v_add_nc_u32_e32 v0, s21, v14
	s_delay_alu instid0(VALU_DEP_1) | instskip(SKIP_2) | instid1(VALU_DEP_1)
	v_ashrrev_i32_e32 v1, 31, v0
	s_waitcnt lgkmcnt(0)
	s_add_u32 s4, s12, s18
	v_mad_u64_u32 v[8:9], null, v6, s10, v[0:1]
	v_and_b32_e32 v15, 31, v3
	s_addc_u32 s5, s13, s19
	s_add_u32 s8, s8, s18
	s_addc_u32 s9, s9, s19
	s_load_b64 s[4:5], s[4:5], 0x0
	v_add_nc_u32_e32 v2, s20, v15
	s_load_b64 s[8:9], s[8:9], 0x0
	s_delay_alu instid0(VALU_DEP_1) | instskip(NEXT) | instid1(VALU_DEP_1)
	v_ashrrev_i32_e32 v3, 31, v2
	v_mad_u64_u32 v[0:1], null, v16, s14, v[2:3]
	v_mov_b32_e32 v2, v9
	s_delay_alu instid0(VALU_DEP_1) | instskip(NEXT) | instid1(VALU_DEP_3)
	v_mad_u64_u32 v[3:4], null, v6, s11, v[2:3]
	v_mad_u64_u32 v[12:13], null, v16, s15, v[1:2]
	v_dual_mov_b32 v4, 0 :: v_dual_lshlrev_b32 v13, 2, v15
	s_delay_alu instid0(VALU_DEP_3) | instskip(NEXT) | instid1(VALU_DEP_1)
	v_mov_b32_e32 v9, v3
	v_lshlrev_b64 v[2:3], 2, v[8:9]
	v_mov_b32_e32 v9, 0
	v_dual_mov_b32 v6, 0 :: v_dual_lshlrev_b32 v1, 2, v6
	s_delay_alu instid0(VALU_DEP_1) | instskip(SKIP_2) | instid1(VALU_DEP_3)
	v_lshl_or_b32 v14, v14, 5, v1
	v_dual_mov_b32 v1, v12 :: v_dual_mov_b32 v8, 0
	v_lshl_or_b32 v12, v16, 7, v13
	v_add_nc_u32_e32 v13, 0x400, v14
	s_delay_alu instid0(VALU_DEP_3) | instskip(SKIP_4) | instid1(VALU_DEP_3)
	v_lshlrev_b64 v[14:15], 2, v[0:1]
	s_waitcnt lgkmcnt(0)
	v_add_co_u32 v0, vcc_lo, s8, v2
	v_add_co_ci_u32_e32 v1, vcc_lo, s9, v3, vcc_lo
	s_lshl_b64 s[8:9], s[14:15], 5
	v_add_co_u32 v2, vcc_lo, s4, v14
	v_add_co_ci_u32_e32 v3, vcc_lo, s5, v15, vcc_lo
	s_lshl_b64 s[4:5], s[10:11], 5
	s_mov_b64 s[10:11], 0
.LBB1423_2:                             ; =>This Inner Loop Header: Depth=1
	global_load_b32 v14, v[2:3], off
	global_load_b32 v15, v[0:1], off
	s_add_u32 s10, s10, 8
	v_add_co_u32 v0, vcc_lo, v0, s4
	s_addc_u32 s11, s11, 0
	v_add_co_ci_u32_e32 v1, vcc_lo, s5, v1, vcc_lo
	v_cmp_ge_u64_e64 s12, s[10:11], s[16:17]
	v_add_co_u32 v2, vcc_lo, v2, s8
	v_add_co_ci_u32_e32 v3, vcc_lo, s9, v3, vcc_lo
	s_waitcnt vmcnt(1)
	ds_store_b32 v12, v14
	s_waitcnt vmcnt(0)
	ds_store_b32 v13, v15
	s_waitcnt lgkmcnt(0)
	s_barrier
	buffer_gl0_inv
	ds_load_2addr_b32 v[30:31], v10 offset1:16
	ds_load_b128 v[14:17], v11
	ds_load_b128 v[18:21], v11 offset:512
	ds_load_2addr_b32 v[32:33], v10 offset0:32 offset1:48
	ds_load_2addr_b32 v[34:35], v10 offset0:64 offset1:80
	ds_load_b128 v[22:25], v11 offset:16
	ds_load_2addr_b32 v[36:37], v10 offset0:96 offset1:112
	ds_load_2addr_b32 v[38:39], v10 offset0:128 offset1:144
	;; [unrolled: 3-line block ×3, first 2 shown]
	ds_load_2addr_b32 v[44:45], v10 offset0:224 offset1:240
	s_and_b32 vcc_lo, exec_lo, s12
	s_waitcnt lgkmcnt(0)
	s_barrier
	buffer_gl0_inv
	v_fmac_f32_e32 v8, v31, v14
	s_delay_alu instid0(VALU_DEP_1) | instskip(NEXT) | instid1(VALU_DEP_1)
	v_dual_fmac_f32 v9, v30, v14 :: v_dual_fmac_f32 v8, v33, v15
	v_dual_fmac_f32 v9, v32, v15 :: v_dual_fmac_f32 v4, v31, v18
	s_delay_alu instid0(VALU_DEP_1) | instskip(NEXT) | instid1(VALU_DEP_1)
	v_fmac_f32_e32 v9, v34, v16
	v_dual_fmac_f32 v6, v30, v18 :: v_dual_fmac_f32 v9, v36, v17
	s_delay_alu instid0(VALU_DEP_1) | instskip(NEXT) | instid1(VALU_DEP_1)
	v_dual_fmac_f32 v6, v32, v19 :: v_dual_fmac_f32 v9, v38, v22
	v_dual_fmac_f32 v8, v35, v16 :: v_dual_fmac_f32 v9, v40, v23
	v_fmac_f32_e32 v4, v33, v19
	s_delay_alu instid0(VALU_DEP_2) | instskip(NEXT) | instid1(VALU_DEP_4)
	v_dual_fmac_f32 v8, v37, v17 :: v_dual_fmac_f32 v9, v42, v24
	v_fmac_f32_e32 v6, v34, v20
	s_delay_alu instid0(VALU_DEP_3) | instskip(NEXT) | instid1(VALU_DEP_3)
	v_fmac_f32_e32 v4, v35, v20
	v_dual_fmac_f32 v8, v39, v22 :: v_dual_fmac_f32 v9, v44, v25
	s_delay_alu instid0(VALU_DEP_3) | instskip(NEXT) | instid1(VALU_DEP_3)
	v_fmac_f32_e32 v6, v36, v21
	v_fmac_f32_e32 v4, v37, v21
	s_delay_alu instid0(VALU_DEP_3) | instskip(NEXT) | instid1(VALU_DEP_3)
	v_fmac_f32_e32 v8, v41, v23
	v_fmac_f32_e32 v6, v38, v26
	;; [unrolled: 3-line block ×5, first 2 shown]
	s_delay_alu instid0(VALU_DEP_3) | instskip(NEXT) | instid1(VALU_DEP_2)
	v_fmac_f32_e32 v4, v43, v28
	v_fmac_f32_e32 v6, v44, v29
	s_delay_alu instid0(VALU_DEP_2)
	v_fmac_f32_e32 v4, v45, v29
	s_cbranch_vccz .LBB1423_2
.LBB1423_3:
	v_add_nc_u32_e32 v7, s21, v7
	s_clause 0x2
	s_load_b32 s8, s[0:1], 0x0
	s_load_b32 s4, s[0:1], 0x10
	;; [unrolled: 1-line block ×3, first 2 shown]
	v_ashrrev_i32_e32 v0, 31, v7
	v_mul_lo_u32 v3, v7, s7
	v_mad_u64_u32 v[1:2], null, v7, s6, 0
	s_delay_alu instid0(VALU_DEP_3) | instskip(NEXT) | instid1(VALU_DEP_1)
	v_mul_lo_u32 v0, v0, s6
	v_add3_u32 v2, v2, v3, v0
	v_add_nc_u32_e32 v0, s20, v5
	s_waitcnt lgkmcnt(0)
	v_cmp_gt_i32_e32 vcc_lo, s8, v7
	s_delay_alu instid0(VALU_DEP_3) | instskip(NEXT) | instid1(VALU_DEP_3)
	v_lshlrev_b64 v[1:2], 2, v[1:2]
	v_cmp_le_i32_e64 s0, v0, v7
	s_delay_alu instid0(VALU_DEP_1) | instskip(NEXT) | instid1(VALU_DEP_2)
	s_and_b32 s0, vcc_lo, s0
	v_add_co_u32 v5, s1, s2, v1
	s_delay_alu instid0(VALU_DEP_1)
	v_add_co_ci_u32_e64 v10, s1, s3, v2, s1
	s_and_saveexec_b32 s1, s0
	s_cbranch_execz .LBB1423_5
; %bb.4:
	v_ashrrev_i32_e32 v1, 31, v0
	s_delay_alu instid0(VALU_DEP_1) | instskip(NEXT) | instid1(VALU_DEP_1)
	v_lshlrev_b64 v[1:2], 2, v[0:1]
	v_add_co_u32 v1, s0, v5, v1
	s_delay_alu instid0(VALU_DEP_1) | instskip(SKIP_3) | instid1(VALU_DEP_1)
	v_add_co_ci_u32_e64 v2, s0, v10, v2, s0
	global_load_b32 v3, v[1:2], off
	s_waitcnt vmcnt(0)
	v_mul_f32_e32 v3, s5, v3
	v_fmac_f32_e32 v3, s4, v9
	global_store_b32 v[1:2], v3, off
.LBB1423_5:
	s_or_b32 exec_lo, exec_lo, s1
	v_add_nc_u32_e32 v2, 16, v0
	s_delay_alu instid0(VALU_DEP_1) | instskip(NEXT) | instid1(VALU_DEP_1)
	v_cmp_le_i32_e64 s0, v2, v7
	s_and_b32 s1, vcc_lo, s0
	s_delay_alu instid0(SALU_CYCLE_1)
	s_and_saveexec_b32 s0, s1
	s_cbranch_execz .LBB1423_7
; %bb.6:
	v_ashrrev_i32_e32 v3, 31, v2
	s_delay_alu instid0(VALU_DEP_1) | instskip(NEXT) | instid1(VALU_DEP_1)
	v_lshlrev_b64 v[11:12], 2, v[2:3]
	v_add_co_u32 v9, vcc_lo, v5, v11
	s_delay_alu instid0(VALU_DEP_2) | instskip(SKIP_3) | instid1(VALU_DEP_1)
	v_add_co_ci_u32_e32 v10, vcc_lo, v10, v12, vcc_lo
	global_load_b32 v1, v[9:10], off
	s_waitcnt vmcnt(0)
	v_mul_f32_e32 v1, s5, v1
	v_fmac_f32_e32 v1, s4, v8
	global_store_b32 v[9:10], v1, off
.LBB1423_7:
	s_or_b32 exec_lo, exec_lo, s0
	v_add_nc_u32_e32 v3, 16, v7
	s_delay_alu instid0(VALU_DEP_1) | instskip(SKIP_3) | instid1(VALU_DEP_4)
	v_ashrrev_i32_e32 v1, 31, v3
	v_mul_lo_u32 v5, v3, s7
	v_mad_u64_u32 v[7:8], null, v3, s6, 0
	v_cmp_gt_i32_e32 vcc_lo, s8, v3
	v_mul_lo_u32 v1, v1, s6
	v_cmp_le_i32_e64 s0, v0, v3
	s_delay_alu instid0(VALU_DEP_1) | instskip(NEXT) | instid1(VALU_DEP_2)
	s_and_b32 s0, vcc_lo, s0
	v_add3_u32 v8, v8, v5, v1
	s_delay_alu instid0(VALU_DEP_1) | instskip(NEXT) | instid1(VALU_DEP_1)
	v_lshlrev_b64 v[7:8], 2, v[7:8]
	v_add_co_u32 v5, s1, s2, v7
	s_delay_alu instid0(VALU_DEP_1)
	v_add_co_ci_u32_e64 v7, s1, s3, v8, s1
	s_and_saveexec_b32 s1, s0
	s_cbranch_execz .LBB1423_9
; %bb.8:
	v_ashrrev_i32_e32 v1, 31, v0
	s_delay_alu instid0(VALU_DEP_1) | instskip(NEXT) | instid1(VALU_DEP_1)
	v_lshlrev_b64 v[0:1], 2, v[0:1]
	v_add_co_u32 v0, s0, v5, v0
	s_delay_alu instid0(VALU_DEP_1) | instskip(SKIP_3) | instid1(VALU_DEP_1)
	v_add_co_ci_u32_e64 v1, s0, v7, v1, s0
	global_load_b32 v8, v[0:1], off
	s_waitcnt vmcnt(0)
	v_mul_f32_e32 v8, s5, v8
	v_fmac_f32_e32 v8, s4, v6
	global_store_b32 v[0:1], v8, off
.LBB1423_9:
	s_or_b32 exec_lo, exec_lo, s1
	v_cmp_le_i32_e64 s0, v2, v3
	s_delay_alu instid0(VALU_DEP_1) | instskip(NEXT) | instid1(SALU_CYCLE_1)
	s_and_b32 s0, vcc_lo, s0
	s_and_saveexec_b32 s1, s0
	s_cbranch_execz .LBB1423_11
; %bb.10:
	v_ashrrev_i32_e32 v3, 31, v2
	s_delay_alu instid0(VALU_DEP_1) | instskip(NEXT) | instid1(VALU_DEP_1)
	v_lshlrev_b64 v[0:1], 2, v[2:3]
	v_add_co_u32 v0, vcc_lo, v5, v0
	s_delay_alu instid0(VALU_DEP_2) | instskip(SKIP_3) | instid1(VALU_DEP_1)
	v_add_co_ci_u32_e32 v1, vcc_lo, v7, v1, vcc_lo
	global_load_b32 v2, v[0:1], off
	s_waitcnt vmcnt(0)
	v_mul_f32_e32 v2, s5, v2
	v_fmac_f32_e32 v2, s4, v4
	global_store_b32 v[0:1], v2, off
.LBB1423_11:
	s_nop 0
	s_sendmsg sendmsg(MSG_DEALLOC_VGPRS)
	s_endpgm
	.section	.rodata,"a",@progbits
	.p2align	6, 0x0
	.amdhsa_kernel _ZL37rocblas_syrkx_herkx_restricted_kernelIlfLi16ELi32ELi8ELb0ELb0ELc78ELc85EKPKfKPfEviT_T0_PT8_S5_lS8_S5_lS6_PT9_S5_li
		.amdhsa_group_segment_fixed_size 2048
		.amdhsa_private_segment_fixed_size 0
		.amdhsa_kernarg_size 108
		.amdhsa_user_sgpr_count 13
		.amdhsa_user_sgpr_dispatch_ptr 0
		.amdhsa_user_sgpr_queue_ptr 0
		.amdhsa_user_sgpr_kernarg_segment_ptr 1
		.amdhsa_user_sgpr_dispatch_id 0
		.amdhsa_user_sgpr_private_segment_size 0
		.amdhsa_wavefront_size32 1
		.amdhsa_uses_dynamic_stack 0
		.amdhsa_enable_private_segment 0
		.amdhsa_system_sgpr_workgroup_id_x 1
		.amdhsa_system_sgpr_workgroup_id_y 1
		.amdhsa_system_sgpr_workgroup_id_z 1
		.amdhsa_system_sgpr_workgroup_info 0
		.amdhsa_system_vgpr_workitem_id 1
		.amdhsa_next_free_vgpr 46
		.amdhsa_next_free_sgpr 22
		.amdhsa_reserve_vcc 1
		.amdhsa_float_round_mode_32 0
		.amdhsa_float_round_mode_16_64 0
		.amdhsa_float_denorm_mode_32 3
		.amdhsa_float_denorm_mode_16_64 3
		.amdhsa_dx10_clamp 1
		.amdhsa_ieee_mode 1
		.amdhsa_fp16_overflow 0
		.amdhsa_workgroup_processor_mode 1
		.amdhsa_memory_ordered 1
		.amdhsa_forward_progress 0
		.amdhsa_shared_vgpr_count 0
		.amdhsa_exception_fp_ieee_invalid_op 0
		.amdhsa_exception_fp_denorm_src 0
		.amdhsa_exception_fp_ieee_div_zero 0
		.amdhsa_exception_fp_ieee_overflow 0
		.amdhsa_exception_fp_ieee_underflow 0
		.amdhsa_exception_fp_ieee_inexact 0
		.amdhsa_exception_int_div_zero 0
	.end_amdhsa_kernel
	.section	.text._ZL37rocblas_syrkx_herkx_restricted_kernelIlfLi16ELi32ELi8ELb0ELb0ELc78ELc85EKPKfKPfEviT_T0_PT8_S5_lS8_S5_lS6_PT9_S5_li,"axG",@progbits,_ZL37rocblas_syrkx_herkx_restricted_kernelIlfLi16ELi32ELi8ELb0ELb0ELc78ELc85EKPKfKPfEviT_T0_PT8_S5_lS8_S5_lS6_PT9_S5_li,comdat
.Lfunc_end1423:
	.size	_ZL37rocblas_syrkx_herkx_restricted_kernelIlfLi16ELi32ELi8ELb0ELb0ELc78ELc85EKPKfKPfEviT_T0_PT8_S5_lS8_S5_lS6_PT9_S5_li, .Lfunc_end1423-_ZL37rocblas_syrkx_herkx_restricted_kernelIlfLi16ELi32ELi8ELb0ELb0ELc78ELc85EKPKfKPfEviT_T0_PT8_S5_lS8_S5_lS6_PT9_S5_li
                                        ; -- End function
	.section	.AMDGPU.csdata,"",@progbits
; Kernel info:
; codeLenInByte = 1364
; NumSgprs: 24
; NumVgprs: 46
; ScratchSize: 0
; MemoryBound: 0
; FloatMode: 240
; IeeeMode: 1
; LDSByteSize: 2048 bytes/workgroup (compile time only)
; SGPRBlocks: 2
; VGPRBlocks: 5
; NumSGPRsForWavesPerEU: 24
; NumVGPRsForWavesPerEU: 46
; Occupancy: 16
; WaveLimiterHint : 1
; COMPUTE_PGM_RSRC2:SCRATCH_EN: 0
; COMPUTE_PGM_RSRC2:USER_SGPR: 13
; COMPUTE_PGM_RSRC2:TRAP_HANDLER: 0
; COMPUTE_PGM_RSRC2:TGID_X_EN: 1
; COMPUTE_PGM_RSRC2:TGID_Y_EN: 1
; COMPUTE_PGM_RSRC2:TGID_Z_EN: 1
; COMPUTE_PGM_RSRC2:TIDIG_COMP_CNT: 1
	.section	.text._ZL41rocblas_syrkx_herkx_small_restrict_kernelIlfLi16ELb1ELb0ELc84ELc76EKPKfKPfEviT_T0_PT6_S5_lS8_S5_lS6_PT7_S5_li,"axG",@progbits,_ZL41rocblas_syrkx_herkx_small_restrict_kernelIlfLi16ELb1ELb0ELc84ELc76EKPKfKPfEviT_T0_PT6_S5_lS8_S5_lS6_PT7_S5_li,comdat
	.globl	_ZL41rocblas_syrkx_herkx_small_restrict_kernelIlfLi16ELb1ELb0ELc84ELc76EKPKfKPfEviT_T0_PT6_S5_lS8_S5_lS6_PT7_S5_li ; -- Begin function _ZL41rocblas_syrkx_herkx_small_restrict_kernelIlfLi16ELb1ELb0ELc84ELc76EKPKfKPfEviT_T0_PT6_S5_lS8_S5_lS6_PT7_S5_li
	.p2align	8
	.type	_ZL41rocblas_syrkx_herkx_small_restrict_kernelIlfLi16ELb1ELb0ELc84ELc76EKPKfKPfEviT_T0_PT6_S5_lS8_S5_lS6_PT7_S5_li,@function
_ZL41rocblas_syrkx_herkx_small_restrict_kernelIlfLi16ELb1ELb0ELc84ELc76EKPKfKPfEviT_T0_PT6_S5_lS8_S5_lS6_PT7_S5_li: ; @_ZL41rocblas_syrkx_herkx_small_restrict_kernelIlfLi16ELb1ELb0ELc84ELc76EKPKfKPfEviT_T0_PT6_S5_lS8_S5_lS6_PT7_S5_li
; %bb.0:
	s_clause 0x1
	s_load_b128 s[4:7], s[0:1], 0x50
	s_load_b64 s[8:9], s[0:1], 0x8
	s_mov_b32 s2, s15
	s_mov_b32 s3, 0
	v_and_b32_e32 v3, 0x3ff, v0
	s_lshl_b64 s[10:11], s[2:3], 3
	v_bfe_u32 v2, v0, 10, 10
	s_delay_alu instid0(VALU_DEP_2) | instskip(NEXT) | instid1(VALU_DEP_2)
	v_lshl_add_u32 v0, s13, 4, v3
	v_lshl_add_u32 v6, s14, 4, v2
	s_delay_alu instid0(VALU_DEP_2) | instskip(NEXT) | instid1(VALU_DEP_2)
	v_ashrrev_i32_e32 v1, 31, v0
	v_ashrrev_i32_e32 v7, 31, v6
	s_waitcnt lgkmcnt(0)
	s_add_u32 s2, s4, s10
	s_addc_u32 s3, s5, s11
	v_cmp_lt_i64_e64 s4, s[8:9], 1
	s_load_b64 s[2:3], s[2:3], 0x0
	s_delay_alu instid0(VALU_DEP_1)
	s_and_b32 vcc_lo, exec_lo, s4
	s_cbranch_vccnz .LBB1424_6
; %bb.1:
	s_clause 0x1
	s_load_b128 s[12:15], s[0:1], 0x30
	s_load_b128 s[16:19], s[0:1], 0x18
	v_lshlrev_b32_e32 v9, 2, v3
	v_lshlrev_b32_e32 v16, 6, v2
	s_delay_alu instid0(VALU_DEP_1)
	v_add_nc_u32_e32 v10, 0x400, v16
	s_waitcnt lgkmcnt(0)
	s_add_u32 s4, s12, s10
	s_addc_u32 s5, s13, s11
	s_add_u32 s10, s16, s10
	s_load_b64 s[4:5], s[4:5], 0x0
	s_addc_u32 s11, s17, s11
	v_mul_lo_u32 v12, v6, s15
	s_load_b64 s[10:11], s[10:11], 0x0
	v_mul_lo_u32 v15, v7, s14
	v_mad_u64_u32 v[13:14], null, v6, s14, 0
	v_mul_lo_u32 v8, v0, s19
	v_mul_lo_u32 v11, v1, s18
	v_mad_u64_u32 v[4:5], null, v0, s18, 0
	s_delay_alu instid0(VALU_DEP_4) | instskip(NEXT) | instid1(VALU_DEP_2)
	v_add3_u32 v14, v14, v12, v15
	v_add3_u32 v5, v5, v8, v11
	v_lshlrev_b32_e32 v8, 2, v2
	s_delay_alu instid0(VALU_DEP_3)
	v_lshlrev_b64 v[2:3], 2, v[13:14]
	s_waitcnt lgkmcnt(0)
	v_add_co_u32 v13, s4, s4, v9
	v_lshlrev_b64 v[4:5], 2, v[4:5]
	v_add_co_ci_u32_e64 v14, null, s5, 0, s4
	v_add_co_u32 v8, s4, s10, v8
	s_delay_alu instid0(VALU_DEP_1) | instskip(SKIP_1) | instid1(VALU_DEP_4)
	v_add_co_ci_u32_e64 v15, null, s11, 0, s4
	v_add_co_u32 v2, vcc_lo, v13, v2
	v_add_co_ci_u32_e32 v3, vcc_lo, v14, v3, vcc_lo
	s_delay_alu instid0(VALU_DEP_4)
	v_add_co_u32 v4, vcc_lo, v8, v4
	v_dual_mov_b32 v8, 0 :: v_dual_add_nc_u32 v11, v9, v16
	v_add_nc_u32_e32 v12, v10, v9
	v_add_co_ci_u32_e32 v5, vcc_lo, v15, v5, vcc_lo
	s_mov_b64 s[4:5], 0
.LBB1424_2:                             ; =>This Inner Loop Header: Depth=1
	global_load_b32 v13, v[4:5], off
	global_load_b32 v14, v[2:3], off
	s_add_u32 s4, s4, 16
	v_add_co_u32 v2, vcc_lo, v2, 64
	s_addc_u32 s5, s5, 0
	v_add_co_ci_u32_e32 v3, vcc_lo, 0, v3, vcc_lo
	v_cmp_lt_i64_e64 s10, s[4:5], s[8:9]
	v_add_co_u32 v4, vcc_lo, v4, 64
	v_add_co_ci_u32_e32 v5, vcc_lo, 0, v5, vcc_lo
	s_waitcnt vmcnt(1)
	ds_store_b32 v11, v13
	s_waitcnt vmcnt(0)
	ds_store_b32 v12, v14
	s_waitcnt lgkmcnt(0)
	s_barrier
	buffer_gl0_inv
	ds_load_2addr_b32 v[21:22], v9 offset1:16
	ds_load_b128 v[13:16], v10
	ds_load_2addr_b32 v[23:24], v9 offset0:32 offset1:48
	ds_load_b128 v[17:20], v10 offset:16
	ds_load_2addr_b32 v[25:26], v9 offset0:64 offset1:80
	s_and_b32 vcc_lo, exec_lo, s10
	s_waitcnt lgkmcnt(3)
	v_fmac_f32_e32 v8, v21, v13
	s_delay_alu instid0(VALU_DEP_1) | instskip(SKIP_3) | instid1(VALU_DEP_1)
	v_fmac_f32_e32 v8, v22, v14
	ds_load_2addr_b32 v[21:22], v9 offset0:96 offset1:112
	s_waitcnt lgkmcnt(3)
	v_fmac_f32_e32 v8, v23, v15
	v_fmac_f32_e32 v8, v24, v16
	ds_load_2addr_b32 v[23:24], v9 offset0:128 offset1:144
	ds_load_b128 v[13:16], v10 offset:32
	s_waitcnt lgkmcnt(3)
	v_fmac_f32_e32 v8, v25, v17
	s_delay_alu instid0(VALU_DEP_1) | instskip(SKIP_3) | instid1(VALU_DEP_1)
	v_fmac_f32_e32 v8, v26, v18
	ds_load_2addr_b32 v[25:26], v9 offset0:160 offset1:176
	s_waitcnt lgkmcnt(3)
	v_fmac_f32_e32 v8, v21, v19
	v_fmac_f32_e32 v8, v22, v20
	ds_load_b128 v[17:20], v10 offset:48
	ds_load_2addr_b32 v[21:22], v9 offset0:192 offset1:208
	s_waitcnt lgkmcnt(3)
	v_fmac_f32_e32 v8, v23, v13
	s_delay_alu instid0(VALU_DEP_1)
	v_fmac_f32_e32 v8, v24, v14
	ds_load_2addr_b32 v[13:14], v9 offset0:224 offset1:240
	s_waitcnt lgkmcnt(0)
	s_barrier
	buffer_gl0_inv
	v_fmac_f32_e32 v8, v25, v15
	s_delay_alu instid0(VALU_DEP_1) | instskip(NEXT) | instid1(VALU_DEP_1)
	v_fmac_f32_e32 v8, v26, v16
	v_fmac_f32_e32 v8, v21, v17
	s_delay_alu instid0(VALU_DEP_1) | instskip(NEXT) | instid1(VALU_DEP_1)
	v_fmac_f32_e32 v8, v22, v18
	v_fmac_f32_e32 v8, v13, v19
	s_delay_alu instid0(VALU_DEP_1)
	v_fmac_f32_e32 v8, v14, v20
	s_cbranch_vccnz .LBB1424_2
; %bb.3:
	s_mov_b32 s4, exec_lo
	v_cmpx_le_i32_e64 v6, v0
	s_cbranch_execz .LBB1424_5
.LBB1424_4:
	v_mul_lo_u32 v4, v6, s7
	v_mul_lo_u32 v5, v7, s6
	v_mad_u64_u32 v[2:3], null, v6, s6, 0
	s_load_b32 s0, s[0:1], 0x10
	v_lshlrev_b64 v[0:1], 2, v[0:1]
	s_delay_alu instid0(VALU_DEP_2) | instskip(NEXT) | instid1(VALU_DEP_1)
	v_add3_u32 v3, v3, v4, v5
	v_lshlrev_b64 v[2:3], 2, v[2:3]
	s_waitcnt lgkmcnt(0)
	s_delay_alu instid0(VALU_DEP_1) | instskip(NEXT) | instid1(VALU_DEP_2)
	v_add_co_u32 v2, vcc_lo, s2, v2
	v_add_co_ci_u32_e32 v3, vcc_lo, s3, v3, vcc_lo
	v_mul_f32_e32 v4, s0, v8
	s_delay_alu instid0(VALU_DEP_3) | instskip(NEXT) | instid1(VALU_DEP_3)
	v_add_co_u32 v0, vcc_lo, v2, v0
	v_add_co_ci_u32_e32 v1, vcc_lo, v3, v1, vcc_lo
	global_store_b32 v[0:1], v4, off
.LBB1424_5:
	s_nop 0
	s_sendmsg sendmsg(MSG_DEALLOC_VGPRS)
	s_endpgm
.LBB1424_6:
	v_mov_b32_e32 v8, 0
	s_mov_b32 s4, exec_lo
	v_cmpx_le_i32_e64 v6, v0
	s_cbranch_execnz .LBB1424_4
	s_branch .LBB1424_5
	.section	.rodata,"a",@progbits
	.p2align	6, 0x0
	.amdhsa_kernel _ZL41rocblas_syrkx_herkx_small_restrict_kernelIlfLi16ELb1ELb0ELc84ELc76EKPKfKPfEviT_T0_PT6_S5_lS8_S5_lS6_PT7_S5_li
		.amdhsa_group_segment_fixed_size 2048
		.amdhsa_private_segment_fixed_size 0
		.amdhsa_kernarg_size 108
		.amdhsa_user_sgpr_count 13
		.amdhsa_user_sgpr_dispatch_ptr 0
		.amdhsa_user_sgpr_queue_ptr 0
		.amdhsa_user_sgpr_kernarg_segment_ptr 1
		.amdhsa_user_sgpr_dispatch_id 0
		.amdhsa_user_sgpr_private_segment_size 0
		.amdhsa_wavefront_size32 1
		.amdhsa_uses_dynamic_stack 0
		.amdhsa_enable_private_segment 0
		.amdhsa_system_sgpr_workgroup_id_x 1
		.amdhsa_system_sgpr_workgroup_id_y 1
		.amdhsa_system_sgpr_workgroup_id_z 1
		.amdhsa_system_sgpr_workgroup_info 0
		.amdhsa_system_vgpr_workitem_id 1
		.amdhsa_next_free_vgpr 27
		.amdhsa_next_free_sgpr 20
		.amdhsa_reserve_vcc 1
		.amdhsa_float_round_mode_32 0
		.amdhsa_float_round_mode_16_64 0
		.amdhsa_float_denorm_mode_32 3
		.amdhsa_float_denorm_mode_16_64 3
		.amdhsa_dx10_clamp 1
		.amdhsa_ieee_mode 1
		.amdhsa_fp16_overflow 0
		.amdhsa_workgroup_processor_mode 1
		.amdhsa_memory_ordered 1
		.amdhsa_forward_progress 0
		.amdhsa_shared_vgpr_count 0
		.amdhsa_exception_fp_ieee_invalid_op 0
		.amdhsa_exception_fp_denorm_src 0
		.amdhsa_exception_fp_ieee_div_zero 0
		.amdhsa_exception_fp_ieee_overflow 0
		.amdhsa_exception_fp_ieee_underflow 0
		.amdhsa_exception_fp_ieee_inexact 0
		.amdhsa_exception_int_div_zero 0
	.end_amdhsa_kernel
	.section	.text._ZL41rocblas_syrkx_herkx_small_restrict_kernelIlfLi16ELb1ELb0ELc84ELc76EKPKfKPfEviT_T0_PT6_S5_lS8_S5_lS6_PT7_S5_li,"axG",@progbits,_ZL41rocblas_syrkx_herkx_small_restrict_kernelIlfLi16ELb1ELb0ELc84ELc76EKPKfKPfEviT_T0_PT6_S5_lS8_S5_lS6_PT7_S5_li,comdat
.Lfunc_end1424:
	.size	_ZL41rocblas_syrkx_herkx_small_restrict_kernelIlfLi16ELb1ELb0ELc84ELc76EKPKfKPfEviT_T0_PT6_S5_lS8_S5_lS6_PT7_S5_li, .Lfunc_end1424-_ZL41rocblas_syrkx_herkx_small_restrict_kernelIlfLi16ELb1ELb0ELc84ELc76EKPKfKPfEviT_T0_PT6_S5_lS8_S5_lS6_PT7_S5_li
                                        ; -- End function
	.section	.AMDGPU.csdata,"",@progbits
; Kernel info:
; codeLenInByte = 856
; NumSgprs: 22
; NumVgprs: 27
; ScratchSize: 0
; MemoryBound: 0
; FloatMode: 240
; IeeeMode: 1
; LDSByteSize: 2048 bytes/workgroup (compile time only)
; SGPRBlocks: 2
; VGPRBlocks: 3
; NumSGPRsForWavesPerEU: 22
; NumVGPRsForWavesPerEU: 27
; Occupancy: 16
; WaveLimiterHint : 1
; COMPUTE_PGM_RSRC2:SCRATCH_EN: 0
; COMPUTE_PGM_RSRC2:USER_SGPR: 13
; COMPUTE_PGM_RSRC2:TRAP_HANDLER: 0
; COMPUTE_PGM_RSRC2:TGID_X_EN: 1
; COMPUTE_PGM_RSRC2:TGID_Y_EN: 1
; COMPUTE_PGM_RSRC2:TGID_Z_EN: 1
; COMPUTE_PGM_RSRC2:TIDIG_COMP_CNT: 1
	.section	.text._ZL41rocblas_syrkx_herkx_small_restrict_kernelIlfLi16ELb1ELb0ELc67ELc76EKPKfKPfEviT_T0_PT6_S5_lS8_S5_lS6_PT7_S5_li,"axG",@progbits,_ZL41rocblas_syrkx_herkx_small_restrict_kernelIlfLi16ELb1ELb0ELc67ELc76EKPKfKPfEviT_T0_PT6_S5_lS8_S5_lS6_PT7_S5_li,comdat
	.globl	_ZL41rocblas_syrkx_herkx_small_restrict_kernelIlfLi16ELb1ELb0ELc67ELc76EKPKfKPfEviT_T0_PT6_S5_lS8_S5_lS6_PT7_S5_li ; -- Begin function _ZL41rocblas_syrkx_herkx_small_restrict_kernelIlfLi16ELb1ELb0ELc67ELc76EKPKfKPfEviT_T0_PT6_S5_lS8_S5_lS6_PT7_S5_li
	.p2align	8
	.type	_ZL41rocblas_syrkx_herkx_small_restrict_kernelIlfLi16ELb1ELb0ELc67ELc76EKPKfKPfEviT_T0_PT6_S5_lS8_S5_lS6_PT7_S5_li,@function
_ZL41rocblas_syrkx_herkx_small_restrict_kernelIlfLi16ELb1ELb0ELc67ELc76EKPKfKPfEviT_T0_PT6_S5_lS8_S5_lS6_PT7_S5_li: ; @_ZL41rocblas_syrkx_herkx_small_restrict_kernelIlfLi16ELb1ELb0ELc67ELc76EKPKfKPfEviT_T0_PT6_S5_lS8_S5_lS6_PT7_S5_li
; %bb.0:
	s_clause 0x1
	s_load_b128 s[4:7], s[0:1], 0x50
	s_load_b64 s[8:9], s[0:1], 0x8
	s_mov_b32 s2, s15
	s_mov_b32 s3, 0
	v_and_b32_e32 v3, 0x3ff, v0
	s_lshl_b64 s[10:11], s[2:3], 3
	v_bfe_u32 v2, v0, 10, 10
	s_delay_alu instid0(VALU_DEP_2) | instskip(NEXT) | instid1(VALU_DEP_2)
	v_lshl_add_u32 v0, s13, 4, v3
	v_lshl_add_u32 v6, s14, 4, v2
	s_delay_alu instid0(VALU_DEP_2) | instskip(NEXT) | instid1(VALU_DEP_2)
	v_ashrrev_i32_e32 v1, 31, v0
	v_ashrrev_i32_e32 v7, 31, v6
	s_waitcnt lgkmcnt(0)
	s_add_u32 s2, s4, s10
	s_addc_u32 s3, s5, s11
	v_cmp_lt_i64_e64 s4, s[8:9], 1
	s_load_b64 s[2:3], s[2:3], 0x0
	s_delay_alu instid0(VALU_DEP_1)
	s_and_b32 vcc_lo, exec_lo, s4
	s_cbranch_vccnz .LBB1425_6
; %bb.1:
	s_clause 0x1
	s_load_b128 s[12:15], s[0:1], 0x30
	s_load_b128 s[16:19], s[0:1], 0x18
	v_lshlrev_b32_e32 v9, 2, v3
	v_lshlrev_b32_e32 v16, 6, v2
	s_delay_alu instid0(VALU_DEP_1)
	v_add_nc_u32_e32 v10, 0x400, v16
	s_waitcnt lgkmcnt(0)
	s_add_u32 s4, s12, s10
	s_addc_u32 s5, s13, s11
	s_add_u32 s10, s16, s10
	s_load_b64 s[4:5], s[4:5], 0x0
	s_addc_u32 s11, s17, s11
	v_mul_lo_u32 v12, v6, s15
	s_load_b64 s[10:11], s[10:11], 0x0
	v_mul_lo_u32 v15, v7, s14
	v_mad_u64_u32 v[13:14], null, v6, s14, 0
	v_mul_lo_u32 v8, v0, s19
	v_mul_lo_u32 v11, v1, s18
	v_mad_u64_u32 v[4:5], null, v0, s18, 0
	s_delay_alu instid0(VALU_DEP_4) | instskip(NEXT) | instid1(VALU_DEP_2)
	v_add3_u32 v14, v14, v12, v15
	v_add3_u32 v5, v5, v8, v11
	v_lshlrev_b32_e32 v8, 2, v2
	s_delay_alu instid0(VALU_DEP_3)
	v_lshlrev_b64 v[2:3], 2, v[13:14]
	s_waitcnt lgkmcnt(0)
	v_add_co_u32 v13, s4, s4, v9
	v_lshlrev_b64 v[4:5], 2, v[4:5]
	v_add_co_ci_u32_e64 v14, null, s5, 0, s4
	v_add_co_u32 v8, s4, s10, v8
	s_delay_alu instid0(VALU_DEP_1) | instskip(SKIP_1) | instid1(VALU_DEP_4)
	v_add_co_ci_u32_e64 v15, null, s11, 0, s4
	v_add_co_u32 v2, vcc_lo, v13, v2
	v_add_co_ci_u32_e32 v3, vcc_lo, v14, v3, vcc_lo
	s_delay_alu instid0(VALU_DEP_4)
	v_add_co_u32 v4, vcc_lo, v8, v4
	v_dual_mov_b32 v8, 0 :: v_dual_add_nc_u32 v11, v9, v16
	v_add_nc_u32_e32 v12, v10, v9
	v_add_co_ci_u32_e32 v5, vcc_lo, v15, v5, vcc_lo
	s_mov_b64 s[4:5], 0
.LBB1425_2:                             ; =>This Inner Loop Header: Depth=1
	global_load_b32 v13, v[4:5], off
	global_load_b32 v14, v[2:3], off
	s_add_u32 s4, s4, 16
	v_add_co_u32 v2, vcc_lo, v2, 64
	s_addc_u32 s5, s5, 0
	v_add_co_ci_u32_e32 v3, vcc_lo, 0, v3, vcc_lo
	v_cmp_lt_i64_e64 s10, s[4:5], s[8:9]
	v_add_co_u32 v4, vcc_lo, v4, 64
	v_add_co_ci_u32_e32 v5, vcc_lo, 0, v5, vcc_lo
	s_waitcnt vmcnt(1)
	ds_store_b32 v11, v13
	s_waitcnt vmcnt(0)
	ds_store_b32 v12, v14
	s_waitcnt lgkmcnt(0)
	s_barrier
	buffer_gl0_inv
	ds_load_2addr_b32 v[21:22], v9 offset1:16
	ds_load_b128 v[13:16], v10
	ds_load_2addr_b32 v[23:24], v9 offset0:32 offset1:48
	ds_load_b128 v[17:20], v10 offset:16
	ds_load_2addr_b32 v[25:26], v9 offset0:64 offset1:80
	s_and_b32 vcc_lo, exec_lo, s10
	s_waitcnt lgkmcnt(3)
	v_fmac_f32_e32 v8, v21, v13
	s_delay_alu instid0(VALU_DEP_1) | instskip(SKIP_3) | instid1(VALU_DEP_1)
	v_fmac_f32_e32 v8, v22, v14
	ds_load_2addr_b32 v[21:22], v9 offset0:96 offset1:112
	s_waitcnt lgkmcnt(3)
	v_fmac_f32_e32 v8, v23, v15
	v_fmac_f32_e32 v8, v24, v16
	ds_load_2addr_b32 v[23:24], v9 offset0:128 offset1:144
	ds_load_b128 v[13:16], v10 offset:32
	s_waitcnt lgkmcnt(3)
	v_fmac_f32_e32 v8, v25, v17
	s_delay_alu instid0(VALU_DEP_1) | instskip(SKIP_3) | instid1(VALU_DEP_1)
	v_fmac_f32_e32 v8, v26, v18
	ds_load_2addr_b32 v[25:26], v9 offset0:160 offset1:176
	s_waitcnt lgkmcnt(3)
	v_fmac_f32_e32 v8, v21, v19
	v_fmac_f32_e32 v8, v22, v20
	ds_load_b128 v[17:20], v10 offset:48
	ds_load_2addr_b32 v[21:22], v9 offset0:192 offset1:208
	s_waitcnt lgkmcnt(3)
	v_fmac_f32_e32 v8, v23, v13
	s_delay_alu instid0(VALU_DEP_1)
	v_fmac_f32_e32 v8, v24, v14
	ds_load_2addr_b32 v[13:14], v9 offset0:224 offset1:240
	s_waitcnt lgkmcnt(0)
	s_barrier
	buffer_gl0_inv
	v_fmac_f32_e32 v8, v25, v15
	s_delay_alu instid0(VALU_DEP_1) | instskip(NEXT) | instid1(VALU_DEP_1)
	v_fmac_f32_e32 v8, v26, v16
	v_fmac_f32_e32 v8, v21, v17
	s_delay_alu instid0(VALU_DEP_1) | instskip(NEXT) | instid1(VALU_DEP_1)
	v_fmac_f32_e32 v8, v22, v18
	v_fmac_f32_e32 v8, v13, v19
	s_delay_alu instid0(VALU_DEP_1)
	v_fmac_f32_e32 v8, v14, v20
	s_cbranch_vccnz .LBB1425_2
; %bb.3:
	s_mov_b32 s4, exec_lo
	v_cmpx_le_i32_e64 v6, v0
	s_cbranch_execz .LBB1425_5
.LBB1425_4:
	v_mul_lo_u32 v4, v6, s7
	v_mul_lo_u32 v5, v7, s6
	v_mad_u64_u32 v[2:3], null, v6, s6, 0
	s_load_b32 s0, s[0:1], 0x10
	v_lshlrev_b64 v[0:1], 2, v[0:1]
	s_delay_alu instid0(VALU_DEP_2) | instskip(NEXT) | instid1(VALU_DEP_1)
	v_add3_u32 v3, v3, v4, v5
	v_lshlrev_b64 v[2:3], 2, v[2:3]
	s_waitcnt lgkmcnt(0)
	s_delay_alu instid0(VALU_DEP_1) | instskip(NEXT) | instid1(VALU_DEP_2)
	v_add_co_u32 v2, vcc_lo, s2, v2
	v_add_co_ci_u32_e32 v3, vcc_lo, s3, v3, vcc_lo
	v_mul_f32_e32 v4, s0, v8
	s_delay_alu instid0(VALU_DEP_3) | instskip(NEXT) | instid1(VALU_DEP_3)
	v_add_co_u32 v0, vcc_lo, v2, v0
	v_add_co_ci_u32_e32 v1, vcc_lo, v3, v1, vcc_lo
	global_store_b32 v[0:1], v4, off
.LBB1425_5:
	s_nop 0
	s_sendmsg sendmsg(MSG_DEALLOC_VGPRS)
	s_endpgm
.LBB1425_6:
	v_mov_b32_e32 v8, 0
	s_mov_b32 s4, exec_lo
	v_cmpx_le_i32_e64 v6, v0
	s_cbranch_execnz .LBB1425_4
	s_branch .LBB1425_5
	.section	.rodata,"a",@progbits
	.p2align	6, 0x0
	.amdhsa_kernel _ZL41rocblas_syrkx_herkx_small_restrict_kernelIlfLi16ELb1ELb0ELc67ELc76EKPKfKPfEviT_T0_PT6_S5_lS8_S5_lS6_PT7_S5_li
		.amdhsa_group_segment_fixed_size 2048
		.amdhsa_private_segment_fixed_size 0
		.amdhsa_kernarg_size 108
		.amdhsa_user_sgpr_count 13
		.amdhsa_user_sgpr_dispatch_ptr 0
		.amdhsa_user_sgpr_queue_ptr 0
		.amdhsa_user_sgpr_kernarg_segment_ptr 1
		.amdhsa_user_sgpr_dispatch_id 0
		.amdhsa_user_sgpr_private_segment_size 0
		.amdhsa_wavefront_size32 1
		.amdhsa_uses_dynamic_stack 0
		.amdhsa_enable_private_segment 0
		.amdhsa_system_sgpr_workgroup_id_x 1
		.amdhsa_system_sgpr_workgroup_id_y 1
		.amdhsa_system_sgpr_workgroup_id_z 1
		.amdhsa_system_sgpr_workgroup_info 0
		.amdhsa_system_vgpr_workitem_id 1
		.amdhsa_next_free_vgpr 27
		.amdhsa_next_free_sgpr 20
		.amdhsa_reserve_vcc 1
		.amdhsa_float_round_mode_32 0
		.amdhsa_float_round_mode_16_64 0
		.amdhsa_float_denorm_mode_32 3
		.amdhsa_float_denorm_mode_16_64 3
		.amdhsa_dx10_clamp 1
		.amdhsa_ieee_mode 1
		.amdhsa_fp16_overflow 0
		.amdhsa_workgroup_processor_mode 1
		.amdhsa_memory_ordered 1
		.amdhsa_forward_progress 0
		.amdhsa_shared_vgpr_count 0
		.amdhsa_exception_fp_ieee_invalid_op 0
		.amdhsa_exception_fp_denorm_src 0
		.amdhsa_exception_fp_ieee_div_zero 0
		.amdhsa_exception_fp_ieee_overflow 0
		.amdhsa_exception_fp_ieee_underflow 0
		.amdhsa_exception_fp_ieee_inexact 0
		.amdhsa_exception_int_div_zero 0
	.end_amdhsa_kernel
	.section	.text._ZL41rocblas_syrkx_herkx_small_restrict_kernelIlfLi16ELb1ELb0ELc67ELc76EKPKfKPfEviT_T0_PT6_S5_lS8_S5_lS6_PT7_S5_li,"axG",@progbits,_ZL41rocblas_syrkx_herkx_small_restrict_kernelIlfLi16ELb1ELb0ELc67ELc76EKPKfKPfEviT_T0_PT6_S5_lS8_S5_lS6_PT7_S5_li,comdat
.Lfunc_end1425:
	.size	_ZL41rocblas_syrkx_herkx_small_restrict_kernelIlfLi16ELb1ELb0ELc67ELc76EKPKfKPfEviT_T0_PT6_S5_lS8_S5_lS6_PT7_S5_li, .Lfunc_end1425-_ZL41rocblas_syrkx_herkx_small_restrict_kernelIlfLi16ELb1ELb0ELc67ELc76EKPKfKPfEviT_T0_PT6_S5_lS8_S5_lS6_PT7_S5_li
                                        ; -- End function
	.section	.AMDGPU.csdata,"",@progbits
; Kernel info:
; codeLenInByte = 856
; NumSgprs: 22
; NumVgprs: 27
; ScratchSize: 0
; MemoryBound: 0
; FloatMode: 240
; IeeeMode: 1
; LDSByteSize: 2048 bytes/workgroup (compile time only)
; SGPRBlocks: 2
; VGPRBlocks: 3
; NumSGPRsForWavesPerEU: 22
; NumVGPRsForWavesPerEU: 27
; Occupancy: 16
; WaveLimiterHint : 1
; COMPUTE_PGM_RSRC2:SCRATCH_EN: 0
; COMPUTE_PGM_RSRC2:USER_SGPR: 13
; COMPUTE_PGM_RSRC2:TRAP_HANDLER: 0
; COMPUTE_PGM_RSRC2:TGID_X_EN: 1
; COMPUTE_PGM_RSRC2:TGID_Y_EN: 1
; COMPUTE_PGM_RSRC2:TGID_Z_EN: 1
; COMPUTE_PGM_RSRC2:TIDIG_COMP_CNT: 1
	.section	.text._ZL41rocblas_syrkx_herkx_small_restrict_kernelIlfLi16ELb1ELb0ELc78ELc76EKPKfKPfEviT_T0_PT6_S5_lS8_S5_lS6_PT7_S5_li,"axG",@progbits,_ZL41rocblas_syrkx_herkx_small_restrict_kernelIlfLi16ELb1ELb0ELc78ELc76EKPKfKPfEviT_T0_PT6_S5_lS8_S5_lS6_PT7_S5_li,comdat
	.globl	_ZL41rocblas_syrkx_herkx_small_restrict_kernelIlfLi16ELb1ELb0ELc78ELc76EKPKfKPfEviT_T0_PT6_S5_lS8_S5_lS6_PT7_S5_li ; -- Begin function _ZL41rocblas_syrkx_herkx_small_restrict_kernelIlfLi16ELb1ELb0ELc78ELc76EKPKfKPfEviT_T0_PT6_S5_lS8_S5_lS6_PT7_S5_li
	.p2align	8
	.type	_ZL41rocblas_syrkx_herkx_small_restrict_kernelIlfLi16ELb1ELb0ELc78ELc76EKPKfKPfEviT_T0_PT6_S5_lS8_S5_lS6_PT7_S5_li,@function
_ZL41rocblas_syrkx_herkx_small_restrict_kernelIlfLi16ELb1ELb0ELc78ELc76EKPKfKPfEviT_T0_PT6_S5_lS8_S5_lS6_PT7_S5_li: ; @_ZL41rocblas_syrkx_herkx_small_restrict_kernelIlfLi16ELb1ELb0ELc78ELc76EKPKfKPfEviT_T0_PT6_S5_lS8_S5_lS6_PT7_S5_li
; %bb.0:
	s_clause 0x1
	s_load_b128 s[4:7], s[0:1], 0x50
	s_load_b64 s[16:17], s[0:1], 0x8
	s_mov_b32 s2, s15
	s_mov_b32 s3, 0
	v_and_b32_e32 v5, 0x3ff, v0
	s_lshl_b64 s[18:19], s[2:3], 3
	v_bfe_u32 v4, v0, 10, 10
	s_delay_alu instid0(VALU_DEP_2) | instskip(NEXT) | instid1(VALU_DEP_2)
	v_lshl_add_u32 v0, s13, 4, v5
	v_lshl_add_u32 v2, s14, 4, v4
	s_delay_alu instid0(VALU_DEP_2) | instskip(NEXT) | instid1(VALU_DEP_2)
	v_ashrrev_i32_e32 v1, 31, v0
	v_ashrrev_i32_e32 v3, 31, v2
	s_waitcnt lgkmcnt(0)
	s_add_u32 s2, s4, s18
	s_addc_u32 s3, s5, s19
	v_cmp_lt_i64_e64 s4, s[16:17], 1
	s_load_b64 s[2:3], s[2:3], 0x0
	s_delay_alu instid0(VALU_DEP_1)
	s_and_b32 vcc_lo, exec_lo, s4
	s_cbranch_vccnz .LBB1426_6
; %bb.1:
	s_clause 0x1
	s_load_b128 s[12:15], s[0:1], 0x30
	s_load_b128 s[8:11], s[0:1], 0x18
	v_lshlrev_b32_e32 v9, 2, v5
	v_lshlrev_b64 v[15:16], 2, v[2:3]
	s_waitcnt lgkmcnt(0)
	v_mad_u64_u32 v[6:7], null, s14, v5, 0
	v_mad_u64_u32 v[13:14], null, s10, v4, 0
	v_lshlrev_b32_e32 v17, 6, v4
	s_add_u32 s4, s12, s18
	s_addc_u32 s5, s13, s19
	s_add_u32 s8, s8, s18
	s_load_b64 s[4:5], s[4:5], 0x0
	s_addc_u32 s9, s9, s19
	s_delay_alu instid0(VALU_DEP_2) | instskip(SKIP_1) | instid1(VALU_DEP_1)
	v_mov_b32_e32 v8, v14
	s_load_b64 s[8:9], s[8:9], 0x0
	v_mad_u64_u32 v[10:11], null, s15, v5, v[7:8]
	v_mad_u64_u32 v[11:12], null, s11, v4, v[8:9]
	s_delay_alu instid0(VALU_DEP_2) | instskip(SKIP_1) | instid1(VALU_DEP_3)
	v_dual_mov_b32 v8, 0 :: v_dual_mov_b32 v7, v10
	v_add_nc_u32_e32 v10, 0x400, v17
	v_dual_mov_b32 v14, v11 :: v_dual_add_nc_u32 v11, v9, v17
	s_delay_alu instid0(VALU_DEP_3) | instskip(SKIP_1) | instid1(VALU_DEP_3)
	v_lshlrev_b64 v[4:5], 2, v[6:7]
	v_lshlrev_b64 v[6:7], 2, v[0:1]
	v_lshlrev_b64 v[13:14], 2, v[13:14]
	v_add_nc_u32_e32 v12, v10, v9
	s_delay_alu instid0(VALU_DEP_4) | instskip(SKIP_1) | instid1(VALU_DEP_4)
	v_add_co_u32 v4, vcc_lo, v4, v15
	v_add_co_ci_u32_e32 v5, vcc_lo, v5, v16, vcc_lo
	v_add_co_u32 v6, vcc_lo, v13, v6
	v_add_co_ci_u32_e32 v7, vcc_lo, v14, v7, vcc_lo
	s_waitcnt lgkmcnt(0)
	v_add_co_u32 v4, vcc_lo, s4, v4
	v_add_co_ci_u32_e32 v5, vcc_lo, s5, v5, vcc_lo
	v_add_co_u32 v6, vcc_lo, s8, v6
	v_add_co_ci_u32_e32 v7, vcc_lo, s9, v7, vcc_lo
	s_lshl_b64 s[4:5], s[14:15], 6
	s_lshl_b64 s[8:9], s[10:11], 6
	s_mov_b64 s[10:11], 0
.LBB1426_2:                             ; =>This Inner Loop Header: Depth=1
	global_load_b32 v13, v[6:7], off
	global_load_b32 v14, v[4:5], off
	s_add_u32 s10, s10, 16
	v_add_co_u32 v4, vcc_lo, v4, s4
	s_addc_u32 s11, s11, 0
	v_add_co_ci_u32_e32 v5, vcc_lo, s5, v5, vcc_lo
	v_cmp_lt_i64_e64 s12, s[10:11], s[16:17]
	v_add_co_u32 v6, vcc_lo, v6, s8
	v_add_co_ci_u32_e32 v7, vcc_lo, s9, v7, vcc_lo
	s_waitcnt vmcnt(1)
	ds_store_b32 v11, v13
	s_waitcnt vmcnt(0)
	ds_store_b32 v12, v14
	s_waitcnt lgkmcnt(0)
	s_barrier
	buffer_gl0_inv
	ds_load_2addr_b32 v[21:22], v9 offset1:16
	ds_load_b128 v[13:16], v10
	ds_load_2addr_b32 v[23:24], v9 offset0:32 offset1:48
	ds_load_b128 v[17:20], v10 offset:16
	ds_load_2addr_b32 v[25:26], v9 offset0:64 offset1:80
	s_and_b32 vcc_lo, exec_lo, s12
	s_waitcnt lgkmcnt(3)
	v_fmac_f32_e32 v8, v21, v13
	s_delay_alu instid0(VALU_DEP_1) | instskip(SKIP_3) | instid1(VALU_DEP_1)
	v_fmac_f32_e32 v8, v22, v14
	ds_load_2addr_b32 v[21:22], v9 offset0:96 offset1:112
	s_waitcnt lgkmcnt(3)
	v_fmac_f32_e32 v8, v23, v15
	v_fmac_f32_e32 v8, v24, v16
	ds_load_2addr_b32 v[23:24], v9 offset0:128 offset1:144
	ds_load_b128 v[13:16], v10 offset:32
	s_waitcnt lgkmcnt(3)
	v_fmac_f32_e32 v8, v25, v17
	s_delay_alu instid0(VALU_DEP_1) | instskip(SKIP_3) | instid1(VALU_DEP_1)
	v_fmac_f32_e32 v8, v26, v18
	ds_load_2addr_b32 v[25:26], v9 offset0:160 offset1:176
	s_waitcnt lgkmcnt(3)
	v_fmac_f32_e32 v8, v21, v19
	v_fmac_f32_e32 v8, v22, v20
	ds_load_b128 v[17:20], v10 offset:48
	ds_load_2addr_b32 v[21:22], v9 offset0:192 offset1:208
	s_waitcnt lgkmcnt(3)
	v_fmac_f32_e32 v8, v23, v13
	s_delay_alu instid0(VALU_DEP_1)
	v_fmac_f32_e32 v8, v24, v14
	ds_load_2addr_b32 v[13:14], v9 offset0:224 offset1:240
	s_waitcnt lgkmcnt(0)
	s_barrier
	buffer_gl0_inv
	v_fmac_f32_e32 v8, v25, v15
	s_delay_alu instid0(VALU_DEP_1) | instskip(NEXT) | instid1(VALU_DEP_1)
	v_fmac_f32_e32 v8, v26, v16
	v_fmac_f32_e32 v8, v21, v17
	s_delay_alu instid0(VALU_DEP_1) | instskip(NEXT) | instid1(VALU_DEP_1)
	v_fmac_f32_e32 v8, v22, v18
	v_fmac_f32_e32 v8, v13, v19
	s_delay_alu instid0(VALU_DEP_1)
	v_fmac_f32_e32 v8, v14, v20
	s_cbranch_vccnz .LBB1426_2
; %bb.3:
	s_mov_b32 s4, exec_lo
	v_cmpx_le_i32_e64 v2, v0
	s_cbranch_execz .LBB1426_5
.LBB1426_4:
	v_mul_lo_u32 v5, v2, s7
	v_mul_lo_u32 v6, v3, s6
	v_mad_u64_u32 v[3:4], null, v2, s6, 0
	s_load_b32 s0, s[0:1], 0x10
	v_lshlrev_b64 v[0:1], 2, v[0:1]
	s_delay_alu instid0(VALU_DEP_2) | instskip(NEXT) | instid1(VALU_DEP_1)
	v_add3_u32 v4, v4, v5, v6
	v_lshlrev_b64 v[2:3], 2, v[3:4]
	s_waitcnt lgkmcnt(0)
	s_delay_alu instid0(VALU_DEP_1) | instskip(NEXT) | instid1(VALU_DEP_2)
	v_add_co_u32 v2, vcc_lo, s2, v2
	v_add_co_ci_u32_e32 v3, vcc_lo, s3, v3, vcc_lo
	v_mul_f32_e32 v4, s0, v8
	s_delay_alu instid0(VALU_DEP_3) | instskip(NEXT) | instid1(VALU_DEP_3)
	v_add_co_u32 v0, vcc_lo, v2, v0
	v_add_co_ci_u32_e32 v1, vcc_lo, v3, v1, vcc_lo
	global_store_b32 v[0:1], v4, off
.LBB1426_5:
	s_nop 0
	s_sendmsg sendmsg(MSG_DEALLOC_VGPRS)
	s_endpgm
.LBB1426_6:
	v_mov_b32_e32 v8, 0
	s_mov_b32 s4, exec_lo
	v_cmpx_le_i32_e64 v2, v0
	s_cbranch_execnz .LBB1426_4
	s_branch .LBB1426_5
	.section	.rodata,"a",@progbits
	.p2align	6, 0x0
	.amdhsa_kernel _ZL41rocblas_syrkx_herkx_small_restrict_kernelIlfLi16ELb1ELb0ELc78ELc76EKPKfKPfEviT_T0_PT6_S5_lS8_S5_lS6_PT7_S5_li
		.amdhsa_group_segment_fixed_size 2048
		.amdhsa_private_segment_fixed_size 0
		.amdhsa_kernarg_size 108
		.amdhsa_user_sgpr_count 13
		.amdhsa_user_sgpr_dispatch_ptr 0
		.amdhsa_user_sgpr_queue_ptr 0
		.amdhsa_user_sgpr_kernarg_segment_ptr 1
		.amdhsa_user_sgpr_dispatch_id 0
		.amdhsa_user_sgpr_private_segment_size 0
		.amdhsa_wavefront_size32 1
		.amdhsa_uses_dynamic_stack 0
		.amdhsa_enable_private_segment 0
		.amdhsa_system_sgpr_workgroup_id_x 1
		.amdhsa_system_sgpr_workgroup_id_y 1
		.amdhsa_system_sgpr_workgroup_id_z 1
		.amdhsa_system_sgpr_workgroup_info 0
		.amdhsa_system_vgpr_workitem_id 1
		.amdhsa_next_free_vgpr 27
		.amdhsa_next_free_sgpr 20
		.amdhsa_reserve_vcc 1
		.amdhsa_float_round_mode_32 0
		.amdhsa_float_round_mode_16_64 0
		.amdhsa_float_denorm_mode_32 3
		.amdhsa_float_denorm_mode_16_64 3
		.amdhsa_dx10_clamp 1
		.amdhsa_ieee_mode 1
		.amdhsa_fp16_overflow 0
		.amdhsa_workgroup_processor_mode 1
		.amdhsa_memory_ordered 1
		.amdhsa_forward_progress 0
		.amdhsa_shared_vgpr_count 0
		.amdhsa_exception_fp_ieee_invalid_op 0
		.amdhsa_exception_fp_denorm_src 0
		.amdhsa_exception_fp_ieee_div_zero 0
		.amdhsa_exception_fp_ieee_overflow 0
		.amdhsa_exception_fp_ieee_underflow 0
		.amdhsa_exception_fp_ieee_inexact 0
		.amdhsa_exception_int_div_zero 0
	.end_amdhsa_kernel
	.section	.text._ZL41rocblas_syrkx_herkx_small_restrict_kernelIlfLi16ELb1ELb0ELc78ELc76EKPKfKPfEviT_T0_PT6_S5_lS8_S5_lS6_PT7_S5_li,"axG",@progbits,_ZL41rocblas_syrkx_herkx_small_restrict_kernelIlfLi16ELb1ELb0ELc78ELc76EKPKfKPfEviT_T0_PT6_S5_lS8_S5_lS6_PT7_S5_li,comdat
.Lfunc_end1426:
	.size	_ZL41rocblas_syrkx_herkx_small_restrict_kernelIlfLi16ELb1ELb0ELc78ELc76EKPKfKPfEviT_T0_PT6_S5_lS8_S5_lS6_PT7_S5_li, .Lfunc_end1426-_ZL41rocblas_syrkx_herkx_small_restrict_kernelIlfLi16ELb1ELb0ELc78ELc76EKPKfKPfEviT_T0_PT6_S5_lS8_S5_lS6_PT7_S5_li
                                        ; -- End function
	.section	.AMDGPU.csdata,"",@progbits
; Kernel info:
; codeLenInByte = 844
; NumSgprs: 22
; NumVgprs: 27
; ScratchSize: 0
; MemoryBound: 0
; FloatMode: 240
; IeeeMode: 1
; LDSByteSize: 2048 bytes/workgroup (compile time only)
; SGPRBlocks: 2
; VGPRBlocks: 3
; NumSGPRsForWavesPerEU: 22
; NumVGPRsForWavesPerEU: 27
; Occupancy: 16
; WaveLimiterHint : 1
; COMPUTE_PGM_RSRC2:SCRATCH_EN: 0
; COMPUTE_PGM_RSRC2:USER_SGPR: 13
; COMPUTE_PGM_RSRC2:TRAP_HANDLER: 0
; COMPUTE_PGM_RSRC2:TGID_X_EN: 1
; COMPUTE_PGM_RSRC2:TGID_Y_EN: 1
; COMPUTE_PGM_RSRC2:TGID_Z_EN: 1
; COMPUTE_PGM_RSRC2:TIDIG_COMP_CNT: 1
	.section	.text._ZL41rocblas_syrkx_herkx_small_restrict_kernelIlfLi16ELb1ELb0ELc84ELc85EKPKfKPfEviT_T0_PT6_S5_lS8_S5_lS6_PT7_S5_li,"axG",@progbits,_ZL41rocblas_syrkx_herkx_small_restrict_kernelIlfLi16ELb1ELb0ELc84ELc85EKPKfKPfEviT_T0_PT6_S5_lS8_S5_lS6_PT7_S5_li,comdat
	.globl	_ZL41rocblas_syrkx_herkx_small_restrict_kernelIlfLi16ELb1ELb0ELc84ELc85EKPKfKPfEviT_T0_PT6_S5_lS8_S5_lS6_PT7_S5_li ; -- Begin function _ZL41rocblas_syrkx_herkx_small_restrict_kernelIlfLi16ELb1ELb0ELc84ELc85EKPKfKPfEviT_T0_PT6_S5_lS8_S5_lS6_PT7_S5_li
	.p2align	8
	.type	_ZL41rocblas_syrkx_herkx_small_restrict_kernelIlfLi16ELb1ELb0ELc84ELc85EKPKfKPfEviT_T0_PT6_S5_lS8_S5_lS6_PT7_S5_li,@function
_ZL41rocblas_syrkx_herkx_small_restrict_kernelIlfLi16ELb1ELb0ELc84ELc85EKPKfKPfEviT_T0_PT6_S5_lS8_S5_lS6_PT7_S5_li: ; @_ZL41rocblas_syrkx_herkx_small_restrict_kernelIlfLi16ELb1ELb0ELc84ELc85EKPKfKPfEviT_T0_PT6_S5_lS8_S5_lS6_PT7_S5_li
; %bb.0:
	s_clause 0x1
	s_load_b128 s[4:7], s[0:1], 0x50
	s_load_b64 s[8:9], s[0:1], 0x8
	s_mov_b32 s2, s15
	s_mov_b32 s3, 0
	v_and_b32_e32 v3, 0x3ff, v0
	s_lshl_b64 s[10:11], s[2:3], 3
	v_bfe_u32 v2, v0, 10, 10
	s_delay_alu instid0(VALU_DEP_2) | instskip(NEXT) | instid1(VALU_DEP_2)
	v_lshl_add_u32 v0, s13, 4, v3
	v_lshl_add_u32 v6, s14, 4, v2
	s_delay_alu instid0(VALU_DEP_2) | instskip(NEXT) | instid1(VALU_DEP_2)
	v_ashrrev_i32_e32 v1, 31, v0
	v_ashrrev_i32_e32 v7, 31, v6
	s_waitcnt lgkmcnt(0)
	s_add_u32 s2, s4, s10
	s_addc_u32 s3, s5, s11
	v_cmp_lt_i64_e64 s4, s[8:9], 1
	s_load_b64 s[2:3], s[2:3], 0x0
	s_delay_alu instid0(VALU_DEP_1)
	s_and_b32 vcc_lo, exec_lo, s4
	s_cbranch_vccnz .LBB1427_6
; %bb.1:
	s_clause 0x1
	s_load_b128 s[12:15], s[0:1], 0x30
	s_load_b128 s[16:19], s[0:1], 0x18
	v_lshlrev_b32_e32 v9, 2, v3
	v_lshlrev_b32_e32 v16, 6, v2
	s_delay_alu instid0(VALU_DEP_1)
	v_add_nc_u32_e32 v10, 0x400, v16
	s_waitcnt lgkmcnt(0)
	s_add_u32 s4, s12, s10
	s_addc_u32 s5, s13, s11
	s_add_u32 s10, s16, s10
	s_load_b64 s[4:5], s[4:5], 0x0
	s_addc_u32 s11, s17, s11
	v_mul_lo_u32 v12, v6, s15
	s_load_b64 s[10:11], s[10:11], 0x0
	v_mul_lo_u32 v15, v7, s14
	v_mad_u64_u32 v[13:14], null, v6, s14, 0
	v_mul_lo_u32 v8, v0, s19
	v_mul_lo_u32 v11, v1, s18
	v_mad_u64_u32 v[4:5], null, v0, s18, 0
	s_delay_alu instid0(VALU_DEP_4) | instskip(NEXT) | instid1(VALU_DEP_2)
	v_add3_u32 v14, v14, v12, v15
	v_add3_u32 v5, v5, v8, v11
	v_lshlrev_b32_e32 v8, 2, v2
	s_delay_alu instid0(VALU_DEP_3)
	v_lshlrev_b64 v[2:3], 2, v[13:14]
	s_waitcnt lgkmcnt(0)
	v_add_co_u32 v13, s4, s4, v9
	v_lshlrev_b64 v[4:5], 2, v[4:5]
	v_add_co_ci_u32_e64 v14, null, s5, 0, s4
	v_add_co_u32 v8, s4, s10, v8
	s_delay_alu instid0(VALU_DEP_1) | instskip(SKIP_1) | instid1(VALU_DEP_4)
	v_add_co_ci_u32_e64 v15, null, s11, 0, s4
	v_add_co_u32 v2, vcc_lo, v13, v2
	v_add_co_ci_u32_e32 v3, vcc_lo, v14, v3, vcc_lo
	s_delay_alu instid0(VALU_DEP_4)
	v_add_co_u32 v4, vcc_lo, v8, v4
	v_dual_mov_b32 v8, 0 :: v_dual_add_nc_u32 v11, v9, v16
	v_add_nc_u32_e32 v12, v10, v9
	v_add_co_ci_u32_e32 v5, vcc_lo, v15, v5, vcc_lo
	s_mov_b64 s[4:5], 0
.LBB1427_2:                             ; =>This Inner Loop Header: Depth=1
	global_load_b32 v13, v[4:5], off
	global_load_b32 v14, v[2:3], off
	s_add_u32 s4, s4, 16
	v_add_co_u32 v2, vcc_lo, v2, 64
	s_addc_u32 s5, s5, 0
	v_add_co_ci_u32_e32 v3, vcc_lo, 0, v3, vcc_lo
	v_cmp_lt_i64_e64 s10, s[4:5], s[8:9]
	v_add_co_u32 v4, vcc_lo, v4, 64
	v_add_co_ci_u32_e32 v5, vcc_lo, 0, v5, vcc_lo
	s_waitcnt vmcnt(1)
	ds_store_b32 v11, v13
	s_waitcnt vmcnt(0)
	ds_store_b32 v12, v14
	s_waitcnt lgkmcnt(0)
	s_barrier
	buffer_gl0_inv
	ds_load_2addr_b32 v[21:22], v9 offset1:16
	ds_load_b128 v[13:16], v10
	ds_load_2addr_b32 v[23:24], v9 offset0:32 offset1:48
	ds_load_b128 v[17:20], v10 offset:16
	ds_load_2addr_b32 v[25:26], v9 offset0:64 offset1:80
	s_and_b32 vcc_lo, exec_lo, s10
	s_waitcnt lgkmcnt(3)
	v_fmac_f32_e32 v8, v21, v13
	s_delay_alu instid0(VALU_DEP_1) | instskip(SKIP_3) | instid1(VALU_DEP_1)
	v_fmac_f32_e32 v8, v22, v14
	ds_load_2addr_b32 v[21:22], v9 offset0:96 offset1:112
	s_waitcnt lgkmcnt(3)
	v_fmac_f32_e32 v8, v23, v15
	v_fmac_f32_e32 v8, v24, v16
	ds_load_2addr_b32 v[23:24], v9 offset0:128 offset1:144
	ds_load_b128 v[13:16], v10 offset:32
	s_waitcnt lgkmcnt(3)
	v_fmac_f32_e32 v8, v25, v17
	s_delay_alu instid0(VALU_DEP_1) | instskip(SKIP_3) | instid1(VALU_DEP_1)
	v_fmac_f32_e32 v8, v26, v18
	ds_load_2addr_b32 v[25:26], v9 offset0:160 offset1:176
	s_waitcnt lgkmcnt(3)
	v_fmac_f32_e32 v8, v21, v19
	v_fmac_f32_e32 v8, v22, v20
	ds_load_b128 v[17:20], v10 offset:48
	ds_load_2addr_b32 v[21:22], v9 offset0:192 offset1:208
	s_waitcnt lgkmcnt(3)
	v_fmac_f32_e32 v8, v23, v13
	s_delay_alu instid0(VALU_DEP_1)
	v_fmac_f32_e32 v8, v24, v14
	ds_load_2addr_b32 v[13:14], v9 offset0:224 offset1:240
	s_waitcnt lgkmcnt(0)
	s_barrier
	buffer_gl0_inv
	v_fmac_f32_e32 v8, v25, v15
	s_delay_alu instid0(VALU_DEP_1) | instskip(NEXT) | instid1(VALU_DEP_1)
	v_fmac_f32_e32 v8, v26, v16
	v_fmac_f32_e32 v8, v21, v17
	s_delay_alu instid0(VALU_DEP_1) | instskip(NEXT) | instid1(VALU_DEP_1)
	v_fmac_f32_e32 v8, v22, v18
	v_fmac_f32_e32 v8, v13, v19
	s_delay_alu instid0(VALU_DEP_1)
	v_fmac_f32_e32 v8, v14, v20
	s_cbranch_vccnz .LBB1427_2
; %bb.3:
	s_mov_b32 s4, exec_lo
	v_cmpx_le_i32_e64 v0, v6
	s_cbranch_execz .LBB1427_5
.LBB1427_4:
	v_mul_lo_u32 v4, v6, s7
	v_mul_lo_u32 v5, v7, s6
	v_mad_u64_u32 v[2:3], null, v6, s6, 0
	s_load_b32 s0, s[0:1], 0x10
	v_lshlrev_b64 v[0:1], 2, v[0:1]
	s_delay_alu instid0(VALU_DEP_2) | instskip(NEXT) | instid1(VALU_DEP_1)
	v_add3_u32 v3, v3, v4, v5
	v_lshlrev_b64 v[2:3], 2, v[2:3]
	s_waitcnt lgkmcnt(0)
	s_delay_alu instid0(VALU_DEP_1) | instskip(NEXT) | instid1(VALU_DEP_2)
	v_add_co_u32 v2, vcc_lo, s2, v2
	v_add_co_ci_u32_e32 v3, vcc_lo, s3, v3, vcc_lo
	v_mul_f32_e32 v4, s0, v8
	s_delay_alu instid0(VALU_DEP_3) | instskip(NEXT) | instid1(VALU_DEP_3)
	v_add_co_u32 v0, vcc_lo, v2, v0
	v_add_co_ci_u32_e32 v1, vcc_lo, v3, v1, vcc_lo
	global_store_b32 v[0:1], v4, off
.LBB1427_5:
	s_nop 0
	s_sendmsg sendmsg(MSG_DEALLOC_VGPRS)
	s_endpgm
.LBB1427_6:
	v_mov_b32_e32 v8, 0
	s_mov_b32 s4, exec_lo
	v_cmpx_le_i32_e64 v0, v6
	s_cbranch_execnz .LBB1427_4
	s_branch .LBB1427_5
	.section	.rodata,"a",@progbits
	.p2align	6, 0x0
	.amdhsa_kernel _ZL41rocblas_syrkx_herkx_small_restrict_kernelIlfLi16ELb1ELb0ELc84ELc85EKPKfKPfEviT_T0_PT6_S5_lS8_S5_lS6_PT7_S5_li
		.amdhsa_group_segment_fixed_size 2048
		.amdhsa_private_segment_fixed_size 0
		.amdhsa_kernarg_size 108
		.amdhsa_user_sgpr_count 13
		.amdhsa_user_sgpr_dispatch_ptr 0
		.amdhsa_user_sgpr_queue_ptr 0
		.amdhsa_user_sgpr_kernarg_segment_ptr 1
		.amdhsa_user_sgpr_dispatch_id 0
		.amdhsa_user_sgpr_private_segment_size 0
		.amdhsa_wavefront_size32 1
		.amdhsa_uses_dynamic_stack 0
		.amdhsa_enable_private_segment 0
		.amdhsa_system_sgpr_workgroup_id_x 1
		.amdhsa_system_sgpr_workgroup_id_y 1
		.amdhsa_system_sgpr_workgroup_id_z 1
		.amdhsa_system_sgpr_workgroup_info 0
		.amdhsa_system_vgpr_workitem_id 1
		.amdhsa_next_free_vgpr 27
		.amdhsa_next_free_sgpr 20
		.amdhsa_reserve_vcc 1
		.amdhsa_float_round_mode_32 0
		.amdhsa_float_round_mode_16_64 0
		.amdhsa_float_denorm_mode_32 3
		.amdhsa_float_denorm_mode_16_64 3
		.amdhsa_dx10_clamp 1
		.amdhsa_ieee_mode 1
		.amdhsa_fp16_overflow 0
		.amdhsa_workgroup_processor_mode 1
		.amdhsa_memory_ordered 1
		.amdhsa_forward_progress 0
		.amdhsa_shared_vgpr_count 0
		.amdhsa_exception_fp_ieee_invalid_op 0
		.amdhsa_exception_fp_denorm_src 0
		.amdhsa_exception_fp_ieee_div_zero 0
		.amdhsa_exception_fp_ieee_overflow 0
		.amdhsa_exception_fp_ieee_underflow 0
		.amdhsa_exception_fp_ieee_inexact 0
		.amdhsa_exception_int_div_zero 0
	.end_amdhsa_kernel
	.section	.text._ZL41rocblas_syrkx_herkx_small_restrict_kernelIlfLi16ELb1ELb0ELc84ELc85EKPKfKPfEviT_T0_PT6_S5_lS8_S5_lS6_PT7_S5_li,"axG",@progbits,_ZL41rocblas_syrkx_herkx_small_restrict_kernelIlfLi16ELb1ELb0ELc84ELc85EKPKfKPfEviT_T0_PT6_S5_lS8_S5_lS6_PT7_S5_li,comdat
.Lfunc_end1427:
	.size	_ZL41rocblas_syrkx_herkx_small_restrict_kernelIlfLi16ELb1ELb0ELc84ELc85EKPKfKPfEviT_T0_PT6_S5_lS8_S5_lS6_PT7_S5_li, .Lfunc_end1427-_ZL41rocblas_syrkx_herkx_small_restrict_kernelIlfLi16ELb1ELb0ELc84ELc85EKPKfKPfEviT_T0_PT6_S5_lS8_S5_lS6_PT7_S5_li
                                        ; -- End function
	.section	.AMDGPU.csdata,"",@progbits
; Kernel info:
; codeLenInByte = 856
; NumSgprs: 22
; NumVgprs: 27
; ScratchSize: 0
; MemoryBound: 0
; FloatMode: 240
; IeeeMode: 1
; LDSByteSize: 2048 bytes/workgroup (compile time only)
; SGPRBlocks: 2
; VGPRBlocks: 3
; NumSGPRsForWavesPerEU: 22
; NumVGPRsForWavesPerEU: 27
; Occupancy: 16
; WaveLimiterHint : 1
; COMPUTE_PGM_RSRC2:SCRATCH_EN: 0
; COMPUTE_PGM_RSRC2:USER_SGPR: 13
; COMPUTE_PGM_RSRC2:TRAP_HANDLER: 0
; COMPUTE_PGM_RSRC2:TGID_X_EN: 1
; COMPUTE_PGM_RSRC2:TGID_Y_EN: 1
; COMPUTE_PGM_RSRC2:TGID_Z_EN: 1
; COMPUTE_PGM_RSRC2:TIDIG_COMP_CNT: 1
	.section	.text._ZL41rocblas_syrkx_herkx_small_restrict_kernelIlfLi16ELb1ELb0ELc67ELc85EKPKfKPfEviT_T0_PT6_S5_lS8_S5_lS6_PT7_S5_li,"axG",@progbits,_ZL41rocblas_syrkx_herkx_small_restrict_kernelIlfLi16ELb1ELb0ELc67ELc85EKPKfKPfEviT_T0_PT6_S5_lS8_S5_lS6_PT7_S5_li,comdat
	.globl	_ZL41rocblas_syrkx_herkx_small_restrict_kernelIlfLi16ELb1ELb0ELc67ELc85EKPKfKPfEviT_T0_PT6_S5_lS8_S5_lS6_PT7_S5_li ; -- Begin function _ZL41rocblas_syrkx_herkx_small_restrict_kernelIlfLi16ELb1ELb0ELc67ELc85EKPKfKPfEviT_T0_PT6_S5_lS8_S5_lS6_PT7_S5_li
	.p2align	8
	.type	_ZL41rocblas_syrkx_herkx_small_restrict_kernelIlfLi16ELb1ELb0ELc67ELc85EKPKfKPfEviT_T0_PT6_S5_lS8_S5_lS6_PT7_S5_li,@function
_ZL41rocblas_syrkx_herkx_small_restrict_kernelIlfLi16ELb1ELb0ELc67ELc85EKPKfKPfEviT_T0_PT6_S5_lS8_S5_lS6_PT7_S5_li: ; @_ZL41rocblas_syrkx_herkx_small_restrict_kernelIlfLi16ELb1ELb0ELc67ELc85EKPKfKPfEviT_T0_PT6_S5_lS8_S5_lS6_PT7_S5_li
; %bb.0:
	s_clause 0x1
	s_load_b128 s[4:7], s[0:1], 0x50
	s_load_b64 s[8:9], s[0:1], 0x8
	s_mov_b32 s2, s15
	s_mov_b32 s3, 0
	v_and_b32_e32 v3, 0x3ff, v0
	s_lshl_b64 s[10:11], s[2:3], 3
	v_bfe_u32 v2, v0, 10, 10
	s_delay_alu instid0(VALU_DEP_2) | instskip(NEXT) | instid1(VALU_DEP_2)
	v_lshl_add_u32 v0, s13, 4, v3
	v_lshl_add_u32 v6, s14, 4, v2
	s_delay_alu instid0(VALU_DEP_2) | instskip(NEXT) | instid1(VALU_DEP_2)
	v_ashrrev_i32_e32 v1, 31, v0
	v_ashrrev_i32_e32 v7, 31, v6
	s_waitcnt lgkmcnt(0)
	s_add_u32 s2, s4, s10
	s_addc_u32 s3, s5, s11
	v_cmp_lt_i64_e64 s4, s[8:9], 1
	s_load_b64 s[2:3], s[2:3], 0x0
	s_delay_alu instid0(VALU_DEP_1)
	s_and_b32 vcc_lo, exec_lo, s4
	s_cbranch_vccnz .LBB1428_6
; %bb.1:
	s_clause 0x1
	s_load_b128 s[12:15], s[0:1], 0x30
	s_load_b128 s[16:19], s[0:1], 0x18
	v_lshlrev_b32_e32 v9, 2, v3
	v_lshlrev_b32_e32 v16, 6, v2
	s_delay_alu instid0(VALU_DEP_1)
	v_add_nc_u32_e32 v10, 0x400, v16
	s_waitcnt lgkmcnt(0)
	s_add_u32 s4, s12, s10
	s_addc_u32 s5, s13, s11
	s_add_u32 s10, s16, s10
	s_load_b64 s[4:5], s[4:5], 0x0
	s_addc_u32 s11, s17, s11
	v_mul_lo_u32 v12, v6, s15
	s_load_b64 s[10:11], s[10:11], 0x0
	v_mul_lo_u32 v15, v7, s14
	v_mad_u64_u32 v[13:14], null, v6, s14, 0
	v_mul_lo_u32 v8, v0, s19
	v_mul_lo_u32 v11, v1, s18
	v_mad_u64_u32 v[4:5], null, v0, s18, 0
	s_delay_alu instid0(VALU_DEP_4) | instskip(NEXT) | instid1(VALU_DEP_2)
	v_add3_u32 v14, v14, v12, v15
	v_add3_u32 v5, v5, v8, v11
	v_lshlrev_b32_e32 v8, 2, v2
	s_delay_alu instid0(VALU_DEP_3)
	v_lshlrev_b64 v[2:3], 2, v[13:14]
	s_waitcnt lgkmcnt(0)
	v_add_co_u32 v13, s4, s4, v9
	v_lshlrev_b64 v[4:5], 2, v[4:5]
	v_add_co_ci_u32_e64 v14, null, s5, 0, s4
	v_add_co_u32 v8, s4, s10, v8
	s_delay_alu instid0(VALU_DEP_1) | instskip(SKIP_1) | instid1(VALU_DEP_4)
	v_add_co_ci_u32_e64 v15, null, s11, 0, s4
	v_add_co_u32 v2, vcc_lo, v13, v2
	v_add_co_ci_u32_e32 v3, vcc_lo, v14, v3, vcc_lo
	s_delay_alu instid0(VALU_DEP_4)
	v_add_co_u32 v4, vcc_lo, v8, v4
	v_dual_mov_b32 v8, 0 :: v_dual_add_nc_u32 v11, v9, v16
	v_add_nc_u32_e32 v12, v10, v9
	v_add_co_ci_u32_e32 v5, vcc_lo, v15, v5, vcc_lo
	s_mov_b64 s[4:5], 0
.LBB1428_2:                             ; =>This Inner Loop Header: Depth=1
	global_load_b32 v13, v[4:5], off
	global_load_b32 v14, v[2:3], off
	s_add_u32 s4, s4, 16
	v_add_co_u32 v2, vcc_lo, v2, 64
	s_addc_u32 s5, s5, 0
	v_add_co_ci_u32_e32 v3, vcc_lo, 0, v3, vcc_lo
	v_cmp_lt_i64_e64 s10, s[4:5], s[8:9]
	v_add_co_u32 v4, vcc_lo, v4, 64
	v_add_co_ci_u32_e32 v5, vcc_lo, 0, v5, vcc_lo
	s_waitcnt vmcnt(1)
	ds_store_b32 v11, v13
	s_waitcnt vmcnt(0)
	ds_store_b32 v12, v14
	s_waitcnt lgkmcnt(0)
	s_barrier
	buffer_gl0_inv
	ds_load_2addr_b32 v[21:22], v9 offset1:16
	ds_load_b128 v[13:16], v10
	ds_load_2addr_b32 v[23:24], v9 offset0:32 offset1:48
	ds_load_b128 v[17:20], v10 offset:16
	ds_load_2addr_b32 v[25:26], v9 offset0:64 offset1:80
	s_and_b32 vcc_lo, exec_lo, s10
	s_waitcnt lgkmcnt(3)
	v_fmac_f32_e32 v8, v21, v13
	s_delay_alu instid0(VALU_DEP_1) | instskip(SKIP_3) | instid1(VALU_DEP_1)
	v_fmac_f32_e32 v8, v22, v14
	ds_load_2addr_b32 v[21:22], v9 offset0:96 offset1:112
	s_waitcnt lgkmcnt(3)
	v_fmac_f32_e32 v8, v23, v15
	v_fmac_f32_e32 v8, v24, v16
	ds_load_2addr_b32 v[23:24], v9 offset0:128 offset1:144
	ds_load_b128 v[13:16], v10 offset:32
	s_waitcnt lgkmcnt(3)
	v_fmac_f32_e32 v8, v25, v17
	s_delay_alu instid0(VALU_DEP_1) | instskip(SKIP_3) | instid1(VALU_DEP_1)
	v_fmac_f32_e32 v8, v26, v18
	ds_load_2addr_b32 v[25:26], v9 offset0:160 offset1:176
	s_waitcnt lgkmcnt(3)
	v_fmac_f32_e32 v8, v21, v19
	v_fmac_f32_e32 v8, v22, v20
	ds_load_b128 v[17:20], v10 offset:48
	ds_load_2addr_b32 v[21:22], v9 offset0:192 offset1:208
	s_waitcnt lgkmcnt(3)
	v_fmac_f32_e32 v8, v23, v13
	s_delay_alu instid0(VALU_DEP_1)
	v_fmac_f32_e32 v8, v24, v14
	ds_load_2addr_b32 v[13:14], v9 offset0:224 offset1:240
	s_waitcnt lgkmcnt(0)
	s_barrier
	buffer_gl0_inv
	v_fmac_f32_e32 v8, v25, v15
	s_delay_alu instid0(VALU_DEP_1) | instskip(NEXT) | instid1(VALU_DEP_1)
	v_fmac_f32_e32 v8, v26, v16
	v_fmac_f32_e32 v8, v21, v17
	s_delay_alu instid0(VALU_DEP_1) | instskip(NEXT) | instid1(VALU_DEP_1)
	v_fmac_f32_e32 v8, v22, v18
	v_fmac_f32_e32 v8, v13, v19
	s_delay_alu instid0(VALU_DEP_1)
	v_fmac_f32_e32 v8, v14, v20
	s_cbranch_vccnz .LBB1428_2
; %bb.3:
	s_mov_b32 s4, exec_lo
	v_cmpx_le_i32_e64 v0, v6
	s_cbranch_execz .LBB1428_5
.LBB1428_4:
	v_mul_lo_u32 v4, v6, s7
	v_mul_lo_u32 v5, v7, s6
	v_mad_u64_u32 v[2:3], null, v6, s6, 0
	s_load_b32 s0, s[0:1], 0x10
	v_lshlrev_b64 v[0:1], 2, v[0:1]
	s_delay_alu instid0(VALU_DEP_2) | instskip(NEXT) | instid1(VALU_DEP_1)
	v_add3_u32 v3, v3, v4, v5
	v_lshlrev_b64 v[2:3], 2, v[2:3]
	s_waitcnt lgkmcnt(0)
	s_delay_alu instid0(VALU_DEP_1) | instskip(NEXT) | instid1(VALU_DEP_2)
	v_add_co_u32 v2, vcc_lo, s2, v2
	v_add_co_ci_u32_e32 v3, vcc_lo, s3, v3, vcc_lo
	v_mul_f32_e32 v4, s0, v8
	s_delay_alu instid0(VALU_DEP_3) | instskip(NEXT) | instid1(VALU_DEP_3)
	v_add_co_u32 v0, vcc_lo, v2, v0
	v_add_co_ci_u32_e32 v1, vcc_lo, v3, v1, vcc_lo
	global_store_b32 v[0:1], v4, off
.LBB1428_5:
	s_nop 0
	s_sendmsg sendmsg(MSG_DEALLOC_VGPRS)
	s_endpgm
.LBB1428_6:
	v_mov_b32_e32 v8, 0
	s_mov_b32 s4, exec_lo
	v_cmpx_le_i32_e64 v0, v6
	s_cbranch_execnz .LBB1428_4
	s_branch .LBB1428_5
	.section	.rodata,"a",@progbits
	.p2align	6, 0x0
	.amdhsa_kernel _ZL41rocblas_syrkx_herkx_small_restrict_kernelIlfLi16ELb1ELb0ELc67ELc85EKPKfKPfEviT_T0_PT6_S5_lS8_S5_lS6_PT7_S5_li
		.amdhsa_group_segment_fixed_size 2048
		.amdhsa_private_segment_fixed_size 0
		.amdhsa_kernarg_size 108
		.amdhsa_user_sgpr_count 13
		.amdhsa_user_sgpr_dispatch_ptr 0
		.amdhsa_user_sgpr_queue_ptr 0
		.amdhsa_user_sgpr_kernarg_segment_ptr 1
		.amdhsa_user_sgpr_dispatch_id 0
		.amdhsa_user_sgpr_private_segment_size 0
		.amdhsa_wavefront_size32 1
		.amdhsa_uses_dynamic_stack 0
		.amdhsa_enable_private_segment 0
		.amdhsa_system_sgpr_workgroup_id_x 1
		.amdhsa_system_sgpr_workgroup_id_y 1
		.amdhsa_system_sgpr_workgroup_id_z 1
		.amdhsa_system_sgpr_workgroup_info 0
		.amdhsa_system_vgpr_workitem_id 1
		.amdhsa_next_free_vgpr 27
		.amdhsa_next_free_sgpr 20
		.amdhsa_reserve_vcc 1
		.amdhsa_float_round_mode_32 0
		.amdhsa_float_round_mode_16_64 0
		.amdhsa_float_denorm_mode_32 3
		.amdhsa_float_denorm_mode_16_64 3
		.amdhsa_dx10_clamp 1
		.amdhsa_ieee_mode 1
		.amdhsa_fp16_overflow 0
		.amdhsa_workgroup_processor_mode 1
		.amdhsa_memory_ordered 1
		.amdhsa_forward_progress 0
		.amdhsa_shared_vgpr_count 0
		.amdhsa_exception_fp_ieee_invalid_op 0
		.amdhsa_exception_fp_denorm_src 0
		.amdhsa_exception_fp_ieee_div_zero 0
		.amdhsa_exception_fp_ieee_overflow 0
		.amdhsa_exception_fp_ieee_underflow 0
		.amdhsa_exception_fp_ieee_inexact 0
		.amdhsa_exception_int_div_zero 0
	.end_amdhsa_kernel
	.section	.text._ZL41rocblas_syrkx_herkx_small_restrict_kernelIlfLi16ELb1ELb0ELc67ELc85EKPKfKPfEviT_T0_PT6_S5_lS8_S5_lS6_PT7_S5_li,"axG",@progbits,_ZL41rocblas_syrkx_herkx_small_restrict_kernelIlfLi16ELb1ELb0ELc67ELc85EKPKfKPfEviT_T0_PT6_S5_lS8_S5_lS6_PT7_S5_li,comdat
.Lfunc_end1428:
	.size	_ZL41rocblas_syrkx_herkx_small_restrict_kernelIlfLi16ELb1ELb0ELc67ELc85EKPKfKPfEviT_T0_PT6_S5_lS8_S5_lS6_PT7_S5_li, .Lfunc_end1428-_ZL41rocblas_syrkx_herkx_small_restrict_kernelIlfLi16ELb1ELb0ELc67ELc85EKPKfKPfEviT_T0_PT6_S5_lS8_S5_lS6_PT7_S5_li
                                        ; -- End function
	.section	.AMDGPU.csdata,"",@progbits
; Kernel info:
; codeLenInByte = 856
; NumSgprs: 22
; NumVgprs: 27
; ScratchSize: 0
; MemoryBound: 0
; FloatMode: 240
; IeeeMode: 1
; LDSByteSize: 2048 bytes/workgroup (compile time only)
; SGPRBlocks: 2
; VGPRBlocks: 3
; NumSGPRsForWavesPerEU: 22
; NumVGPRsForWavesPerEU: 27
; Occupancy: 16
; WaveLimiterHint : 1
; COMPUTE_PGM_RSRC2:SCRATCH_EN: 0
; COMPUTE_PGM_RSRC2:USER_SGPR: 13
; COMPUTE_PGM_RSRC2:TRAP_HANDLER: 0
; COMPUTE_PGM_RSRC2:TGID_X_EN: 1
; COMPUTE_PGM_RSRC2:TGID_Y_EN: 1
; COMPUTE_PGM_RSRC2:TGID_Z_EN: 1
; COMPUTE_PGM_RSRC2:TIDIG_COMP_CNT: 1
	.section	.text._ZL41rocblas_syrkx_herkx_small_restrict_kernelIlfLi16ELb1ELb0ELc78ELc85EKPKfKPfEviT_T0_PT6_S5_lS8_S5_lS6_PT7_S5_li,"axG",@progbits,_ZL41rocblas_syrkx_herkx_small_restrict_kernelIlfLi16ELb1ELb0ELc78ELc85EKPKfKPfEviT_T0_PT6_S5_lS8_S5_lS6_PT7_S5_li,comdat
	.globl	_ZL41rocblas_syrkx_herkx_small_restrict_kernelIlfLi16ELb1ELb0ELc78ELc85EKPKfKPfEviT_T0_PT6_S5_lS8_S5_lS6_PT7_S5_li ; -- Begin function _ZL41rocblas_syrkx_herkx_small_restrict_kernelIlfLi16ELb1ELb0ELc78ELc85EKPKfKPfEviT_T0_PT6_S5_lS8_S5_lS6_PT7_S5_li
	.p2align	8
	.type	_ZL41rocblas_syrkx_herkx_small_restrict_kernelIlfLi16ELb1ELb0ELc78ELc85EKPKfKPfEviT_T0_PT6_S5_lS8_S5_lS6_PT7_S5_li,@function
_ZL41rocblas_syrkx_herkx_small_restrict_kernelIlfLi16ELb1ELb0ELc78ELc85EKPKfKPfEviT_T0_PT6_S5_lS8_S5_lS6_PT7_S5_li: ; @_ZL41rocblas_syrkx_herkx_small_restrict_kernelIlfLi16ELb1ELb0ELc78ELc85EKPKfKPfEviT_T0_PT6_S5_lS8_S5_lS6_PT7_S5_li
; %bb.0:
	s_clause 0x1
	s_load_b128 s[4:7], s[0:1], 0x50
	s_load_b64 s[16:17], s[0:1], 0x8
	s_mov_b32 s2, s15
	s_mov_b32 s3, 0
	v_and_b32_e32 v5, 0x3ff, v0
	s_lshl_b64 s[18:19], s[2:3], 3
	v_bfe_u32 v4, v0, 10, 10
	s_delay_alu instid0(VALU_DEP_2) | instskip(NEXT) | instid1(VALU_DEP_2)
	v_lshl_add_u32 v0, s13, 4, v5
	v_lshl_add_u32 v2, s14, 4, v4
	s_delay_alu instid0(VALU_DEP_2) | instskip(NEXT) | instid1(VALU_DEP_2)
	v_ashrrev_i32_e32 v1, 31, v0
	v_ashrrev_i32_e32 v3, 31, v2
	s_waitcnt lgkmcnt(0)
	s_add_u32 s2, s4, s18
	s_addc_u32 s3, s5, s19
	v_cmp_lt_i64_e64 s4, s[16:17], 1
	s_load_b64 s[2:3], s[2:3], 0x0
	s_delay_alu instid0(VALU_DEP_1)
	s_and_b32 vcc_lo, exec_lo, s4
	s_cbranch_vccnz .LBB1429_6
; %bb.1:
	s_clause 0x1
	s_load_b128 s[12:15], s[0:1], 0x30
	s_load_b128 s[8:11], s[0:1], 0x18
	v_lshlrev_b32_e32 v9, 2, v5
	v_lshlrev_b64 v[15:16], 2, v[2:3]
	s_waitcnt lgkmcnt(0)
	v_mad_u64_u32 v[6:7], null, s14, v5, 0
	v_mad_u64_u32 v[13:14], null, s10, v4, 0
	v_lshlrev_b32_e32 v17, 6, v4
	s_add_u32 s4, s12, s18
	s_addc_u32 s5, s13, s19
	s_add_u32 s8, s8, s18
	s_load_b64 s[4:5], s[4:5], 0x0
	s_addc_u32 s9, s9, s19
	s_delay_alu instid0(VALU_DEP_2) | instskip(SKIP_1) | instid1(VALU_DEP_1)
	v_mov_b32_e32 v8, v14
	s_load_b64 s[8:9], s[8:9], 0x0
	v_mad_u64_u32 v[10:11], null, s15, v5, v[7:8]
	v_mad_u64_u32 v[11:12], null, s11, v4, v[8:9]
	s_delay_alu instid0(VALU_DEP_2) | instskip(SKIP_1) | instid1(VALU_DEP_3)
	v_dual_mov_b32 v8, 0 :: v_dual_mov_b32 v7, v10
	v_add_nc_u32_e32 v10, 0x400, v17
	v_dual_mov_b32 v14, v11 :: v_dual_add_nc_u32 v11, v9, v17
	s_delay_alu instid0(VALU_DEP_3) | instskip(SKIP_1) | instid1(VALU_DEP_3)
	v_lshlrev_b64 v[4:5], 2, v[6:7]
	v_lshlrev_b64 v[6:7], 2, v[0:1]
	;; [unrolled: 1-line block ×3, first 2 shown]
	v_add_nc_u32_e32 v12, v10, v9
	s_delay_alu instid0(VALU_DEP_4) | instskip(SKIP_1) | instid1(VALU_DEP_4)
	v_add_co_u32 v4, vcc_lo, v4, v15
	v_add_co_ci_u32_e32 v5, vcc_lo, v5, v16, vcc_lo
	v_add_co_u32 v6, vcc_lo, v13, v6
	v_add_co_ci_u32_e32 v7, vcc_lo, v14, v7, vcc_lo
	s_waitcnt lgkmcnt(0)
	v_add_co_u32 v4, vcc_lo, s4, v4
	v_add_co_ci_u32_e32 v5, vcc_lo, s5, v5, vcc_lo
	v_add_co_u32 v6, vcc_lo, s8, v6
	v_add_co_ci_u32_e32 v7, vcc_lo, s9, v7, vcc_lo
	s_lshl_b64 s[4:5], s[14:15], 6
	s_lshl_b64 s[8:9], s[10:11], 6
	s_mov_b64 s[10:11], 0
.LBB1429_2:                             ; =>This Inner Loop Header: Depth=1
	global_load_b32 v13, v[6:7], off
	global_load_b32 v14, v[4:5], off
	s_add_u32 s10, s10, 16
	v_add_co_u32 v4, vcc_lo, v4, s4
	s_addc_u32 s11, s11, 0
	v_add_co_ci_u32_e32 v5, vcc_lo, s5, v5, vcc_lo
	v_cmp_lt_i64_e64 s12, s[10:11], s[16:17]
	v_add_co_u32 v6, vcc_lo, v6, s8
	v_add_co_ci_u32_e32 v7, vcc_lo, s9, v7, vcc_lo
	s_waitcnt vmcnt(1)
	ds_store_b32 v11, v13
	s_waitcnt vmcnt(0)
	ds_store_b32 v12, v14
	s_waitcnt lgkmcnt(0)
	s_barrier
	buffer_gl0_inv
	ds_load_2addr_b32 v[21:22], v9 offset1:16
	ds_load_b128 v[13:16], v10
	ds_load_2addr_b32 v[23:24], v9 offset0:32 offset1:48
	ds_load_b128 v[17:20], v10 offset:16
	ds_load_2addr_b32 v[25:26], v9 offset0:64 offset1:80
	s_and_b32 vcc_lo, exec_lo, s12
	s_waitcnt lgkmcnt(3)
	v_fmac_f32_e32 v8, v21, v13
	s_delay_alu instid0(VALU_DEP_1) | instskip(SKIP_3) | instid1(VALU_DEP_1)
	v_fmac_f32_e32 v8, v22, v14
	ds_load_2addr_b32 v[21:22], v9 offset0:96 offset1:112
	s_waitcnt lgkmcnt(3)
	v_fmac_f32_e32 v8, v23, v15
	v_fmac_f32_e32 v8, v24, v16
	ds_load_2addr_b32 v[23:24], v9 offset0:128 offset1:144
	ds_load_b128 v[13:16], v10 offset:32
	s_waitcnt lgkmcnt(3)
	v_fmac_f32_e32 v8, v25, v17
	s_delay_alu instid0(VALU_DEP_1) | instskip(SKIP_3) | instid1(VALU_DEP_1)
	v_fmac_f32_e32 v8, v26, v18
	ds_load_2addr_b32 v[25:26], v9 offset0:160 offset1:176
	s_waitcnt lgkmcnt(3)
	v_fmac_f32_e32 v8, v21, v19
	v_fmac_f32_e32 v8, v22, v20
	ds_load_b128 v[17:20], v10 offset:48
	ds_load_2addr_b32 v[21:22], v9 offset0:192 offset1:208
	s_waitcnt lgkmcnt(3)
	v_fmac_f32_e32 v8, v23, v13
	s_delay_alu instid0(VALU_DEP_1)
	v_fmac_f32_e32 v8, v24, v14
	ds_load_2addr_b32 v[13:14], v9 offset0:224 offset1:240
	s_waitcnt lgkmcnt(0)
	s_barrier
	buffer_gl0_inv
	v_fmac_f32_e32 v8, v25, v15
	s_delay_alu instid0(VALU_DEP_1) | instskip(NEXT) | instid1(VALU_DEP_1)
	v_fmac_f32_e32 v8, v26, v16
	v_fmac_f32_e32 v8, v21, v17
	s_delay_alu instid0(VALU_DEP_1) | instskip(NEXT) | instid1(VALU_DEP_1)
	v_fmac_f32_e32 v8, v22, v18
	v_fmac_f32_e32 v8, v13, v19
	s_delay_alu instid0(VALU_DEP_1)
	v_fmac_f32_e32 v8, v14, v20
	s_cbranch_vccnz .LBB1429_2
; %bb.3:
	s_mov_b32 s4, exec_lo
	v_cmpx_le_i32_e64 v0, v2
	s_cbranch_execz .LBB1429_5
.LBB1429_4:
	v_mul_lo_u32 v5, v2, s7
	v_mul_lo_u32 v6, v3, s6
	v_mad_u64_u32 v[3:4], null, v2, s6, 0
	s_load_b32 s0, s[0:1], 0x10
	v_lshlrev_b64 v[0:1], 2, v[0:1]
	s_delay_alu instid0(VALU_DEP_2) | instskip(NEXT) | instid1(VALU_DEP_1)
	v_add3_u32 v4, v4, v5, v6
	v_lshlrev_b64 v[2:3], 2, v[3:4]
	s_waitcnt lgkmcnt(0)
	s_delay_alu instid0(VALU_DEP_1) | instskip(NEXT) | instid1(VALU_DEP_2)
	v_add_co_u32 v2, vcc_lo, s2, v2
	v_add_co_ci_u32_e32 v3, vcc_lo, s3, v3, vcc_lo
	v_mul_f32_e32 v4, s0, v8
	s_delay_alu instid0(VALU_DEP_3) | instskip(NEXT) | instid1(VALU_DEP_3)
	v_add_co_u32 v0, vcc_lo, v2, v0
	v_add_co_ci_u32_e32 v1, vcc_lo, v3, v1, vcc_lo
	global_store_b32 v[0:1], v4, off
.LBB1429_5:
	s_nop 0
	s_sendmsg sendmsg(MSG_DEALLOC_VGPRS)
	s_endpgm
.LBB1429_6:
	v_mov_b32_e32 v8, 0
	s_mov_b32 s4, exec_lo
	v_cmpx_le_i32_e64 v0, v2
	s_cbranch_execnz .LBB1429_4
	s_branch .LBB1429_5
	.section	.rodata,"a",@progbits
	.p2align	6, 0x0
	.amdhsa_kernel _ZL41rocblas_syrkx_herkx_small_restrict_kernelIlfLi16ELb1ELb0ELc78ELc85EKPKfKPfEviT_T0_PT6_S5_lS8_S5_lS6_PT7_S5_li
		.amdhsa_group_segment_fixed_size 2048
		.amdhsa_private_segment_fixed_size 0
		.amdhsa_kernarg_size 108
		.amdhsa_user_sgpr_count 13
		.amdhsa_user_sgpr_dispatch_ptr 0
		.amdhsa_user_sgpr_queue_ptr 0
		.amdhsa_user_sgpr_kernarg_segment_ptr 1
		.amdhsa_user_sgpr_dispatch_id 0
		.amdhsa_user_sgpr_private_segment_size 0
		.amdhsa_wavefront_size32 1
		.amdhsa_uses_dynamic_stack 0
		.amdhsa_enable_private_segment 0
		.amdhsa_system_sgpr_workgroup_id_x 1
		.amdhsa_system_sgpr_workgroup_id_y 1
		.amdhsa_system_sgpr_workgroup_id_z 1
		.amdhsa_system_sgpr_workgroup_info 0
		.amdhsa_system_vgpr_workitem_id 1
		.amdhsa_next_free_vgpr 27
		.amdhsa_next_free_sgpr 20
		.amdhsa_reserve_vcc 1
		.amdhsa_float_round_mode_32 0
		.amdhsa_float_round_mode_16_64 0
		.amdhsa_float_denorm_mode_32 3
		.amdhsa_float_denorm_mode_16_64 3
		.amdhsa_dx10_clamp 1
		.amdhsa_ieee_mode 1
		.amdhsa_fp16_overflow 0
		.amdhsa_workgroup_processor_mode 1
		.amdhsa_memory_ordered 1
		.amdhsa_forward_progress 0
		.amdhsa_shared_vgpr_count 0
		.amdhsa_exception_fp_ieee_invalid_op 0
		.amdhsa_exception_fp_denorm_src 0
		.amdhsa_exception_fp_ieee_div_zero 0
		.amdhsa_exception_fp_ieee_overflow 0
		.amdhsa_exception_fp_ieee_underflow 0
		.amdhsa_exception_fp_ieee_inexact 0
		.amdhsa_exception_int_div_zero 0
	.end_amdhsa_kernel
	.section	.text._ZL41rocblas_syrkx_herkx_small_restrict_kernelIlfLi16ELb1ELb0ELc78ELc85EKPKfKPfEviT_T0_PT6_S5_lS8_S5_lS6_PT7_S5_li,"axG",@progbits,_ZL41rocblas_syrkx_herkx_small_restrict_kernelIlfLi16ELb1ELb0ELc78ELc85EKPKfKPfEviT_T0_PT6_S5_lS8_S5_lS6_PT7_S5_li,comdat
.Lfunc_end1429:
	.size	_ZL41rocblas_syrkx_herkx_small_restrict_kernelIlfLi16ELb1ELb0ELc78ELc85EKPKfKPfEviT_T0_PT6_S5_lS8_S5_lS6_PT7_S5_li, .Lfunc_end1429-_ZL41rocblas_syrkx_herkx_small_restrict_kernelIlfLi16ELb1ELb0ELc78ELc85EKPKfKPfEviT_T0_PT6_S5_lS8_S5_lS6_PT7_S5_li
                                        ; -- End function
	.section	.AMDGPU.csdata,"",@progbits
; Kernel info:
; codeLenInByte = 844
; NumSgprs: 22
; NumVgprs: 27
; ScratchSize: 0
; MemoryBound: 0
; FloatMode: 240
; IeeeMode: 1
; LDSByteSize: 2048 bytes/workgroup (compile time only)
; SGPRBlocks: 2
; VGPRBlocks: 3
; NumSGPRsForWavesPerEU: 22
; NumVGPRsForWavesPerEU: 27
; Occupancy: 16
; WaveLimiterHint : 1
; COMPUTE_PGM_RSRC2:SCRATCH_EN: 0
; COMPUTE_PGM_RSRC2:USER_SGPR: 13
; COMPUTE_PGM_RSRC2:TRAP_HANDLER: 0
; COMPUTE_PGM_RSRC2:TGID_X_EN: 1
; COMPUTE_PGM_RSRC2:TGID_Y_EN: 1
; COMPUTE_PGM_RSRC2:TGID_Z_EN: 1
; COMPUTE_PGM_RSRC2:TIDIG_COMP_CNT: 1
	.section	.text._ZL41rocblas_syrkx_herkx_small_restrict_kernelIlfLi16ELb0ELb0ELc84ELc76EKPKfKPfEviT_T0_PT6_S5_lS8_S5_lS6_PT7_S5_li,"axG",@progbits,_ZL41rocblas_syrkx_herkx_small_restrict_kernelIlfLi16ELb0ELb0ELc84ELc76EKPKfKPfEviT_T0_PT6_S5_lS8_S5_lS6_PT7_S5_li,comdat
	.globl	_ZL41rocblas_syrkx_herkx_small_restrict_kernelIlfLi16ELb0ELb0ELc84ELc76EKPKfKPfEviT_T0_PT6_S5_lS8_S5_lS6_PT7_S5_li ; -- Begin function _ZL41rocblas_syrkx_herkx_small_restrict_kernelIlfLi16ELb0ELb0ELc84ELc76EKPKfKPfEviT_T0_PT6_S5_lS8_S5_lS6_PT7_S5_li
	.p2align	8
	.type	_ZL41rocblas_syrkx_herkx_small_restrict_kernelIlfLi16ELb0ELb0ELc84ELc76EKPKfKPfEviT_T0_PT6_S5_lS8_S5_lS6_PT7_S5_li,@function
_ZL41rocblas_syrkx_herkx_small_restrict_kernelIlfLi16ELb0ELb0ELc84ELc76EKPKfKPfEviT_T0_PT6_S5_lS8_S5_lS6_PT7_S5_li: ; @_ZL41rocblas_syrkx_herkx_small_restrict_kernelIlfLi16ELb0ELb0ELc84ELc76EKPKfKPfEviT_T0_PT6_S5_lS8_S5_lS6_PT7_S5_li
; %bb.0:
	s_clause 0x1
	s_load_b128 s[4:7], s[0:1], 0x50
	s_load_b64 s[8:9], s[0:1], 0x8
	s_mov_b32 s2, s15
	s_mov_b32 s3, 0
	v_and_b32_e32 v3, 0x3ff, v0
	s_lshl_b64 s[10:11], s[2:3], 3
	v_bfe_u32 v2, v0, 10, 10
	s_delay_alu instid0(VALU_DEP_2) | instskip(NEXT) | instid1(VALU_DEP_2)
	v_lshl_add_u32 v0, s13, 4, v3
	v_lshl_add_u32 v6, s14, 4, v2
	s_delay_alu instid0(VALU_DEP_2) | instskip(NEXT) | instid1(VALU_DEP_2)
	v_ashrrev_i32_e32 v1, 31, v0
	v_ashrrev_i32_e32 v7, 31, v6
	s_waitcnt lgkmcnt(0)
	s_add_u32 s2, s4, s10
	s_addc_u32 s3, s5, s11
	v_cmp_lt_i64_e64 s4, s[8:9], 1
	s_load_b64 s[2:3], s[2:3], 0x0
	s_delay_alu instid0(VALU_DEP_1)
	s_and_b32 vcc_lo, exec_lo, s4
	s_cbranch_vccnz .LBB1430_6
; %bb.1:
	s_clause 0x1
	s_load_b128 s[12:15], s[0:1], 0x30
	s_load_b128 s[16:19], s[0:1], 0x18
	v_lshlrev_b32_e32 v9, 2, v3
	v_lshlrev_b32_e32 v16, 6, v2
	s_delay_alu instid0(VALU_DEP_1)
	v_add_nc_u32_e32 v10, 0x400, v16
	s_waitcnt lgkmcnt(0)
	s_add_u32 s4, s12, s10
	s_addc_u32 s5, s13, s11
	s_add_u32 s10, s16, s10
	s_load_b64 s[4:5], s[4:5], 0x0
	s_addc_u32 s11, s17, s11
	v_mul_lo_u32 v12, v6, s15
	s_load_b64 s[10:11], s[10:11], 0x0
	v_mul_lo_u32 v15, v7, s14
	v_mad_u64_u32 v[13:14], null, v6, s14, 0
	v_mul_lo_u32 v8, v0, s19
	v_mul_lo_u32 v11, v1, s18
	v_mad_u64_u32 v[4:5], null, v0, s18, 0
	s_delay_alu instid0(VALU_DEP_4) | instskip(NEXT) | instid1(VALU_DEP_2)
	v_add3_u32 v14, v14, v12, v15
	v_add3_u32 v5, v5, v8, v11
	v_lshlrev_b32_e32 v8, 2, v2
	s_delay_alu instid0(VALU_DEP_3)
	v_lshlrev_b64 v[2:3], 2, v[13:14]
	s_waitcnt lgkmcnt(0)
	v_add_co_u32 v13, s4, s4, v9
	v_lshlrev_b64 v[4:5], 2, v[4:5]
	v_add_co_ci_u32_e64 v14, null, s5, 0, s4
	v_add_co_u32 v8, s4, s10, v8
	s_delay_alu instid0(VALU_DEP_1) | instskip(SKIP_1) | instid1(VALU_DEP_4)
	v_add_co_ci_u32_e64 v15, null, s11, 0, s4
	v_add_co_u32 v2, vcc_lo, v13, v2
	v_add_co_ci_u32_e32 v3, vcc_lo, v14, v3, vcc_lo
	s_delay_alu instid0(VALU_DEP_4)
	v_add_co_u32 v4, vcc_lo, v8, v4
	v_dual_mov_b32 v8, 0 :: v_dual_add_nc_u32 v11, v9, v16
	v_add_nc_u32_e32 v12, v10, v9
	v_add_co_ci_u32_e32 v5, vcc_lo, v15, v5, vcc_lo
	s_mov_b64 s[4:5], 0
.LBB1430_2:                             ; =>This Inner Loop Header: Depth=1
	global_load_b32 v13, v[4:5], off
	global_load_b32 v14, v[2:3], off
	s_add_u32 s4, s4, 16
	v_add_co_u32 v2, vcc_lo, v2, 64
	s_addc_u32 s5, s5, 0
	v_add_co_ci_u32_e32 v3, vcc_lo, 0, v3, vcc_lo
	v_cmp_lt_i64_e64 s10, s[4:5], s[8:9]
	v_add_co_u32 v4, vcc_lo, v4, 64
	v_add_co_ci_u32_e32 v5, vcc_lo, 0, v5, vcc_lo
	s_waitcnt vmcnt(1)
	ds_store_b32 v11, v13
	s_waitcnt vmcnt(0)
	ds_store_b32 v12, v14
	s_waitcnt lgkmcnt(0)
	s_barrier
	buffer_gl0_inv
	ds_load_2addr_b32 v[21:22], v9 offset1:16
	ds_load_b128 v[13:16], v10
	ds_load_2addr_b32 v[23:24], v9 offset0:32 offset1:48
	ds_load_b128 v[17:20], v10 offset:16
	ds_load_2addr_b32 v[25:26], v9 offset0:64 offset1:80
	s_and_b32 vcc_lo, exec_lo, s10
	s_waitcnt lgkmcnt(3)
	v_fmac_f32_e32 v8, v21, v13
	s_delay_alu instid0(VALU_DEP_1) | instskip(SKIP_3) | instid1(VALU_DEP_1)
	v_fmac_f32_e32 v8, v22, v14
	ds_load_2addr_b32 v[21:22], v9 offset0:96 offset1:112
	s_waitcnt lgkmcnt(3)
	v_fmac_f32_e32 v8, v23, v15
	v_fmac_f32_e32 v8, v24, v16
	ds_load_2addr_b32 v[23:24], v9 offset0:128 offset1:144
	ds_load_b128 v[13:16], v10 offset:32
	s_waitcnt lgkmcnt(3)
	v_fmac_f32_e32 v8, v25, v17
	s_delay_alu instid0(VALU_DEP_1) | instskip(SKIP_3) | instid1(VALU_DEP_1)
	v_fmac_f32_e32 v8, v26, v18
	ds_load_2addr_b32 v[25:26], v9 offset0:160 offset1:176
	s_waitcnt lgkmcnt(3)
	v_fmac_f32_e32 v8, v21, v19
	v_fmac_f32_e32 v8, v22, v20
	ds_load_b128 v[17:20], v10 offset:48
	ds_load_2addr_b32 v[21:22], v9 offset0:192 offset1:208
	s_waitcnt lgkmcnt(3)
	v_fmac_f32_e32 v8, v23, v13
	s_delay_alu instid0(VALU_DEP_1)
	v_fmac_f32_e32 v8, v24, v14
	ds_load_2addr_b32 v[13:14], v9 offset0:224 offset1:240
	s_waitcnt lgkmcnt(0)
	s_barrier
	buffer_gl0_inv
	v_fmac_f32_e32 v8, v25, v15
	s_delay_alu instid0(VALU_DEP_1) | instskip(NEXT) | instid1(VALU_DEP_1)
	v_fmac_f32_e32 v8, v26, v16
	v_fmac_f32_e32 v8, v21, v17
	s_delay_alu instid0(VALU_DEP_1) | instskip(NEXT) | instid1(VALU_DEP_1)
	v_fmac_f32_e32 v8, v22, v18
	v_fmac_f32_e32 v8, v13, v19
	s_delay_alu instid0(VALU_DEP_1)
	v_fmac_f32_e32 v8, v14, v20
	s_cbranch_vccnz .LBB1430_2
; %bb.3:
	s_mov_b32 s4, exec_lo
	v_cmpx_le_i32_e64 v6, v0
	s_cbranch_execz .LBB1430_5
.LBB1430_4:
	v_mul_lo_u32 v4, v6, s7
	v_mul_lo_u32 v5, v7, s6
	v_mad_u64_u32 v[2:3], null, v6, s6, 0
	v_lshlrev_b64 v[0:1], 2, v[0:1]
	s_delay_alu instid0(VALU_DEP_2) | instskip(NEXT) | instid1(VALU_DEP_1)
	v_add3_u32 v3, v3, v4, v5
	v_lshlrev_b64 v[2:3], 2, v[2:3]
	s_waitcnt lgkmcnt(0)
	s_delay_alu instid0(VALU_DEP_1) | instskip(NEXT) | instid1(VALU_DEP_2)
	v_add_co_u32 v2, vcc_lo, s2, v2
	v_add_co_ci_u32_e32 v3, vcc_lo, s3, v3, vcc_lo
	s_delay_alu instid0(VALU_DEP_2) | instskip(NEXT) | instid1(VALU_DEP_2)
	v_add_co_u32 v0, vcc_lo, v2, v0
	v_add_co_ci_u32_e32 v1, vcc_lo, v3, v1, vcc_lo
	global_load_b32 v2, v[0:1], off
	s_clause 0x1
	s_load_b32 s2, s[0:1], 0x48
	s_load_b32 s0, s[0:1], 0x10
	s_waitcnt vmcnt(0) lgkmcnt(0)
	v_mul_f32_e32 v2, s2, v2
	s_delay_alu instid0(VALU_DEP_1)
	v_fmac_f32_e32 v2, s0, v8
	global_store_b32 v[0:1], v2, off
.LBB1430_5:
	s_nop 0
	s_sendmsg sendmsg(MSG_DEALLOC_VGPRS)
	s_endpgm
.LBB1430_6:
	v_mov_b32_e32 v8, 0
	s_mov_b32 s4, exec_lo
	v_cmpx_le_i32_e64 v6, v0
	s_cbranch_execnz .LBB1430_4
	s_branch .LBB1430_5
	.section	.rodata,"a",@progbits
	.p2align	6, 0x0
	.amdhsa_kernel _ZL41rocblas_syrkx_herkx_small_restrict_kernelIlfLi16ELb0ELb0ELc84ELc76EKPKfKPfEviT_T0_PT6_S5_lS8_S5_lS6_PT7_S5_li
		.amdhsa_group_segment_fixed_size 2048
		.amdhsa_private_segment_fixed_size 0
		.amdhsa_kernarg_size 108
		.amdhsa_user_sgpr_count 13
		.amdhsa_user_sgpr_dispatch_ptr 0
		.amdhsa_user_sgpr_queue_ptr 0
		.amdhsa_user_sgpr_kernarg_segment_ptr 1
		.amdhsa_user_sgpr_dispatch_id 0
		.amdhsa_user_sgpr_private_segment_size 0
		.amdhsa_wavefront_size32 1
		.amdhsa_uses_dynamic_stack 0
		.amdhsa_enable_private_segment 0
		.amdhsa_system_sgpr_workgroup_id_x 1
		.amdhsa_system_sgpr_workgroup_id_y 1
		.amdhsa_system_sgpr_workgroup_id_z 1
		.amdhsa_system_sgpr_workgroup_info 0
		.amdhsa_system_vgpr_workitem_id 1
		.amdhsa_next_free_vgpr 27
		.amdhsa_next_free_sgpr 20
		.amdhsa_reserve_vcc 1
		.amdhsa_float_round_mode_32 0
		.amdhsa_float_round_mode_16_64 0
		.amdhsa_float_denorm_mode_32 3
		.amdhsa_float_denorm_mode_16_64 3
		.amdhsa_dx10_clamp 1
		.amdhsa_ieee_mode 1
		.amdhsa_fp16_overflow 0
		.amdhsa_workgroup_processor_mode 1
		.amdhsa_memory_ordered 1
		.amdhsa_forward_progress 0
		.amdhsa_shared_vgpr_count 0
		.amdhsa_exception_fp_ieee_invalid_op 0
		.amdhsa_exception_fp_denorm_src 0
		.amdhsa_exception_fp_ieee_div_zero 0
		.amdhsa_exception_fp_ieee_overflow 0
		.amdhsa_exception_fp_ieee_underflow 0
		.amdhsa_exception_fp_ieee_inexact 0
		.amdhsa_exception_int_div_zero 0
	.end_amdhsa_kernel
	.section	.text._ZL41rocblas_syrkx_herkx_small_restrict_kernelIlfLi16ELb0ELb0ELc84ELc76EKPKfKPfEviT_T0_PT6_S5_lS8_S5_lS6_PT7_S5_li,"axG",@progbits,_ZL41rocblas_syrkx_herkx_small_restrict_kernelIlfLi16ELb0ELb0ELc84ELc76EKPKfKPfEviT_T0_PT6_S5_lS8_S5_lS6_PT7_S5_li,comdat
.Lfunc_end1430:
	.size	_ZL41rocblas_syrkx_herkx_small_restrict_kernelIlfLi16ELb0ELb0ELc84ELc76EKPKfKPfEviT_T0_PT6_S5_lS8_S5_lS6_PT7_S5_li, .Lfunc_end1430-_ZL41rocblas_syrkx_herkx_small_restrict_kernelIlfLi16ELb0ELb0ELc84ELc76EKPKfKPfEviT_T0_PT6_S5_lS8_S5_lS6_PT7_S5_li
                                        ; -- End function
	.section	.AMDGPU.csdata,"",@progbits
; Kernel info:
; codeLenInByte = 888
; NumSgprs: 22
; NumVgprs: 27
; ScratchSize: 0
; MemoryBound: 0
; FloatMode: 240
; IeeeMode: 1
; LDSByteSize: 2048 bytes/workgroup (compile time only)
; SGPRBlocks: 2
; VGPRBlocks: 3
; NumSGPRsForWavesPerEU: 22
; NumVGPRsForWavesPerEU: 27
; Occupancy: 16
; WaveLimiterHint : 1
; COMPUTE_PGM_RSRC2:SCRATCH_EN: 0
; COMPUTE_PGM_RSRC2:USER_SGPR: 13
; COMPUTE_PGM_RSRC2:TRAP_HANDLER: 0
; COMPUTE_PGM_RSRC2:TGID_X_EN: 1
; COMPUTE_PGM_RSRC2:TGID_Y_EN: 1
; COMPUTE_PGM_RSRC2:TGID_Z_EN: 1
; COMPUTE_PGM_RSRC2:TIDIG_COMP_CNT: 1
	.section	.text._ZL41rocblas_syrkx_herkx_small_restrict_kernelIlfLi16ELb0ELb0ELc67ELc76EKPKfKPfEviT_T0_PT6_S5_lS8_S5_lS6_PT7_S5_li,"axG",@progbits,_ZL41rocblas_syrkx_herkx_small_restrict_kernelIlfLi16ELb0ELb0ELc67ELc76EKPKfKPfEviT_T0_PT6_S5_lS8_S5_lS6_PT7_S5_li,comdat
	.globl	_ZL41rocblas_syrkx_herkx_small_restrict_kernelIlfLi16ELb0ELb0ELc67ELc76EKPKfKPfEviT_T0_PT6_S5_lS8_S5_lS6_PT7_S5_li ; -- Begin function _ZL41rocblas_syrkx_herkx_small_restrict_kernelIlfLi16ELb0ELb0ELc67ELc76EKPKfKPfEviT_T0_PT6_S5_lS8_S5_lS6_PT7_S5_li
	.p2align	8
	.type	_ZL41rocblas_syrkx_herkx_small_restrict_kernelIlfLi16ELb0ELb0ELc67ELc76EKPKfKPfEviT_T0_PT6_S5_lS8_S5_lS6_PT7_S5_li,@function
_ZL41rocblas_syrkx_herkx_small_restrict_kernelIlfLi16ELb0ELb0ELc67ELc76EKPKfKPfEviT_T0_PT6_S5_lS8_S5_lS6_PT7_S5_li: ; @_ZL41rocblas_syrkx_herkx_small_restrict_kernelIlfLi16ELb0ELb0ELc67ELc76EKPKfKPfEviT_T0_PT6_S5_lS8_S5_lS6_PT7_S5_li
; %bb.0:
	s_clause 0x1
	s_load_b128 s[4:7], s[0:1], 0x50
	s_load_b64 s[8:9], s[0:1], 0x8
	s_mov_b32 s2, s15
	s_mov_b32 s3, 0
	v_and_b32_e32 v3, 0x3ff, v0
	s_lshl_b64 s[10:11], s[2:3], 3
	v_bfe_u32 v2, v0, 10, 10
	s_delay_alu instid0(VALU_DEP_2) | instskip(NEXT) | instid1(VALU_DEP_2)
	v_lshl_add_u32 v0, s13, 4, v3
	v_lshl_add_u32 v6, s14, 4, v2
	s_delay_alu instid0(VALU_DEP_2) | instskip(NEXT) | instid1(VALU_DEP_2)
	v_ashrrev_i32_e32 v1, 31, v0
	v_ashrrev_i32_e32 v7, 31, v6
	s_waitcnt lgkmcnt(0)
	s_add_u32 s2, s4, s10
	s_addc_u32 s3, s5, s11
	v_cmp_lt_i64_e64 s4, s[8:9], 1
	s_load_b64 s[2:3], s[2:3], 0x0
	s_delay_alu instid0(VALU_DEP_1)
	s_and_b32 vcc_lo, exec_lo, s4
	s_cbranch_vccnz .LBB1431_6
; %bb.1:
	s_clause 0x1
	s_load_b128 s[12:15], s[0:1], 0x30
	s_load_b128 s[16:19], s[0:1], 0x18
	v_lshlrev_b32_e32 v9, 2, v3
	v_lshlrev_b32_e32 v16, 6, v2
	s_delay_alu instid0(VALU_DEP_1)
	v_add_nc_u32_e32 v10, 0x400, v16
	s_waitcnt lgkmcnt(0)
	s_add_u32 s4, s12, s10
	s_addc_u32 s5, s13, s11
	s_add_u32 s10, s16, s10
	s_load_b64 s[4:5], s[4:5], 0x0
	s_addc_u32 s11, s17, s11
	v_mul_lo_u32 v12, v6, s15
	s_load_b64 s[10:11], s[10:11], 0x0
	v_mul_lo_u32 v15, v7, s14
	v_mad_u64_u32 v[13:14], null, v6, s14, 0
	v_mul_lo_u32 v8, v0, s19
	v_mul_lo_u32 v11, v1, s18
	v_mad_u64_u32 v[4:5], null, v0, s18, 0
	s_delay_alu instid0(VALU_DEP_4) | instskip(NEXT) | instid1(VALU_DEP_2)
	v_add3_u32 v14, v14, v12, v15
	v_add3_u32 v5, v5, v8, v11
	v_lshlrev_b32_e32 v8, 2, v2
	s_delay_alu instid0(VALU_DEP_3)
	v_lshlrev_b64 v[2:3], 2, v[13:14]
	s_waitcnt lgkmcnt(0)
	v_add_co_u32 v13, s4, s4, v9
	v_lshlrev_b64 v[4:5], 2, v[4:5]
	v_add_co_ci_u32_e64 v14, null, s5, 0, s4
	v_add_co_u32 v8, s4, s10, v8
	s_delay_alu instid0(VALU_DEP_1) | instskip(SKIP_1) | instid1(VALU_DEP_4)
	v_add_co_ci_u32_e64 v15, null, s11, 0, s4
	v_add_co_u32 v2, vcc_lo, v13, v2
	v_add_co_ci_u32_e32 v3, vcc_lo, v14, v3, vcc_lo
	s_delay_alu instid0(VALU_DEP_4)
	v_add_co_u32 v4, vcc_lo, v8, v4
	v_dual_mov_b32 v8, 0 :: v_dual_add_nc_u32 v11, v9, v16
	v_add_nc_u32_e32 v12, v10, v9
	v_add_co_ci_u32_e32 v5, vcc_lo, v15, v5, vcc_lo
	s_mov_b64 s[4:5], 0
.LBB1431_2:                             ; =>This Inner Loop Header: Depth=1
	global_load_b32 v13, v[4:5], off
	global_load_b32 v14, v[2:3], off
	s_add_u32 s4, s4, 16
	v_add_co_u32 v2, vcc_lo, v2, 64
	s_addc_u32 s5, s5, 0
	v_add_co_ci_u32_e32 v3, vcc_lo, 0, v3, vcc_lo
	v_cmp_lt_i64_e64 s10, s[4:5], s[8:9]
	v_add_co_u32 v4, vcc_lo, v4, 64
	v_add_co_ci_u32_e32 v5, vcc_lo, 0, v5, vcc_lo
	s_waitcnt vmcnt(1)
	ds_store_b32 v11, v13
	s_waitcnt vmcnt(0)
	ds_store_b32 v12, v14
	s_waitcnt lgkmcnt(0)
	s_barrier
	buffer_gl0_inv
	ds_load_2addr_b32 v[21:22], v9 offset1:16
	ds_load_b128 v[13:16], v10
	ds_load_2addr_b32 v[23:24], v9 offset0:32 offset1:48
	ds_load_b128 v[17:20], v10 offset:16
	ds_load_2addr_b32 v[25:26], v9 offset0:64 offset1:80
	s_and_b32 vcc_lo, exec_lo, s10
	s_waitcnt lgkmcnt(3)
	v_fmac_f32_e32 v8, v21, v13
	s_delay_alu instid0(VALU_DEP_1) | instskip(SKIP_3) | instid1(VALU_DEP_1)
	v_fmac_f32_e32 v8, v22, v14
	ds_load_2addr_b32 v[21:22], v9 offset0:96 offset1:112
	s_waitcnt lgkmcnt(3)
	v_fmac_f32_e32 v8, v23, v15
	v_fmac_f32_e32 v8, v24, v16
	ds_load_2addr_b32 v[23:24], v9 offset0:128 offset1:144
	ds_load_b128 v[13:16], v10 offset:32
	s_waitcnt lgkmcnt(3)
	v_fmac_f32_e32 v8, v25, v17
	s_delay_alu instid0(VALU_DEP_1) | instskip(SKIP_3) | instid1(VALU_DEP_1)
	v_fmac_f32_e32 v8, v26, v18
	ds_load_2addr_b32 v[25:26], v9 offset0:160 offset1:176
	s_waitcnt lgkmcnt(3)
	v_fmac_f32_e32 v8, v21, v19
	v_fmac_f32_e32 v8, v22, v20
	ds_load_b128 v[17:20], v10 offset:48
	ds_load_2addr_b32 v[21:22], v9 offset0:192 offset1:208
	s_waitcnt lgkmcnt(3)
	v_fmac_f32_e32 v8, v23, v13
	s_delay_alu instid0(VALU_DEP_1)
	v_fmac_f32_e32 v8, v24, v14
	ds_load_2addr_b32 v[13:14], v9 offset0:224 offset1:240
	s_waitcnt lgkmcnt(0)
	s_barrier
	buffer_gl0_inv
	v_fmac_f32_e32 v8, v25, v15
	s_delay_alu instid0(VALU_DEP_1) | instskip(NEXT) | instid1(VALU_DEP_1)
	v_fmac_f32_e32 v8, v26, v16
	v_fmac_f32_e32 v8, v21, v17
	s_delay_alu instid0(VALU_DEP_1) | instskip(NEXT) | instid1(VALU_DEP_1)
	v_fmac_f32_e32 v8, v22, v18
	v_fmac_f32_e32 v8, v13, v19
	s_delay_alu instid0(VALU_DEP_1)
	v_fmac_f32_e32 v8, v14, v20
	s_cbranch_vccnz .LBB1431_2
; %bb.3:
	s_mov_b32 s4, exec_lo
	v_cmpx_le_i32_e64 v6, v0
	s_cbranch_execz .LBB1431_5
.LBB1431_4:
	v_mul_lo_u32 v4, v6, s7
	v_mul_lo_u32 v5, v7, s6
	v_mad_u64_u32 v[2:3], null, v6, s6, 0
	v_lshlrev_b64 v[0:1], 2, v[0:1]
	s_delay_alu instid0(VALU_DEP_2) | instskip(NEXT) | instid1(VALU_DEP_1)
	v_add3_u32 v3, v3, v4, v5
	v_lshlrev_b64 v[2:3], 2, v[2:3]
	s_waitcnt lgkmcnt(0)
	s_delay_alu instid0(VALU_DEP_1) | instskip(NEXT) | instid1(VALU_DEP_2)
	v_add_co_u32 v2, vcc_lo, s2, v2
	v_add_co_ci_u32_e32 v3, vcc_lo, s3, v3, vcc_lo
	s_delay_alu instid0(VALU_DEP_2) | instskip(NEXT) | instid1(VALU_DEP_2)
	v_add_co_u32 v0, vcc_lo, v2, v0
	v_add_co_ci_u32_e32 v1, vcc_lo, v3, v1, vcc_lo
	global_load_b32 v2, v[0:1], off
	s_clause 0x1
	s_load_b32 s2, s[0:1], 0x48
	s_load_b32 s0, s[0:1], 0x10
	s_waitcnt vmcnt(0) lgkmcnt(0)
	v_mul_f32_e32 v2, s2, v2
	s_delay_alu instid0(VALU_DEP_1)
	v_fmac_f32_e32 v2, s0, v8
	global_store_b32 v[0:1], v2, off
.LBB1431_5:
	s_nop 0
	s_sendmsg sendmsg(MSG_DEALLOC_VGPRS)
	s_endpgm
.LBB1431_6:
	v_mov_b32_e32 v8, 0
	s_mov_b32 s4, exec_lo
	v_cmpx_le_i32_e64 v6, v0
	s_cbranch_execnz .LBB1431_4
	s_branch .LBB1431_5
	.section	.rodata,"a",@progbits
	.p2align	6, 0x0
	.amdhsa_kernel _ZL41rocblas_syrkx_herkx_small_restrict_kernelIlfLi16ELb0ELb0ELc67ELc76EKPKfKPfEviT_T0_PT6_S5_lS8_S5_lS6_PT7_S5_li
		.amdhsa_group_segment_fixed_size 2048
		.amdhsa_private_segment_fixed_size 0
		.amdhsa_kernarg_size 108
		.amdhsa_user_sgpr_count 13
		.amdhsa_user_sgpr_dispatch_ptr 0
		.amdhsa_user_sgpr_queue_ptr 0
		.amdhsa_user_sgpr_kernarg_segment_ptr 1
		.amdhsa_user_sgpr_dispatch_id 0
		.amdhsa_user_sgpr_private_segment_size 0
		.amdhsa_wavefront_size32 1
		.amdhsa_uses_dynamic_stack 0
		.amdhsa_enable_private_segment 0
		.amdhsa_system_sgpr_workgroup_id_x 1
		.amdhsa_system_sgpr_workgroup_id_y 1
		.amdhsa_system_sgpr_workgroup_id_z 1
		.amdhsa_system_sgpr_workgroup_info 0
		.amdhsa_system_vgpr_workitem_id 1
		.amdhsa_next_free_vgpr 27
		.amdhsa_next_free_sgpr 20
		.amdhsa_reserve_vcc 1
		.amdhsa_float_round_mode_32 0
		.amdhsa_float_round_mode_16_64 0
		.amdhsa_float_denorm_mode_32 3
		.amdhsa_float_denorm_mode_16_64 3
		.amdhsa_dx10_clamp 1
		.amdhsa_ieee_mode 1
		.amdhsa_fp16_overflow 0
		.amdhsa_workgroup_processor_mode 1
		.amdhsa_memory_ordered 1
		.amdhsa_forward_progress 0
		.amdhsa_shared_vgpr_count 0
		.amdhsa_exception_fp_ieee_invalid_op 0
		.amdhsa_exception_fp_denorm_src 0
		.amdhsa_exception_fp_ieee_div_zero 0
		.amdhsa_exception_fp_ieee_overflow 0
		.amdhsa_exception_fp_ieee_underflow 0
		.amdhsa_exception_fp_ieee_inexact 0
		.amdhsa_exception_int_div_zero 0
	.end_amdhsa_kernel
	.section	.text._ZL41rocblas_syrkx_herkx_small_restrict_kernelIlfLi16ELb0ELb0ELc67ELc76EKPKfKPfEviT_T0_PT6_S5_lS8_S5_lS6_PT7_S5_li,"axG",@progbits,_ZL41rocblas_syrkx_herkx_small_restrict_kernelIlfLi16ELb0ELb0ELc67ELc76EKPKfKPfEviT_T0_PT6_S5_lS8_S5_lS6_PT7_S5_li,comdat
.Lfunc_end1431:
	.size	_ZL41rocblas_syrkx_herkx_small_restrict_kernelIlfLi16ELb0ELb0ELc67ELc76EKPKfKPfEviT_T0_PT6_S5_lS8_S5_lS6_PT7_S5_li, .Lfunc_end1431-_ZL41rocblas_syrkx_herkx_small_restrict_kernelIlfLi16ELb0ELb0ELc67ELc76EKPKfKPfEviT_T0_PT6_S5_lS8_S5_lS6_PT7_S5_li
                                        ; -- End function
	.section	.AMDGPU.csdata,"",@progbits
; Kernel info:
; codeLenInByte = 888
; NumSgprs: 22
; NumVgprs: 27
; ScratchSize: 0
; MemoryBound: 0
; FloatMode: 240
; IeeeMode: 1
; LDSByteSize: 2048 bytes/workgroup (compile time only)
; SGPRBlocks: 2
; VGPRBlocks: 3
; NumSGPRsForWavesPerEU: 22
; NumVGPRsForWavesPerEU: 27
; Occupancy: 16
; WaveLimiterHint : 1
; COMPUTE_PGM_RSRC2:SCRATCH_EN: 0
; COMPUTE_PGM_RSRC2:USER_SGPR: 13
; COMPUTE_PGM_RSRC2:TRAP_HANDLER: 0
; COMPUTE_PGM_RSRC2:TGID_X_EN: 1
; COMPUTE_PGM_RSRC2:TGID_Y_EN: 1
; COMPUTE_PGM_RSRC2:TGID_Z_EN: 1
; COMPUTE_PGM_RSRC2:TIDIG_COMP_CNT: 1
	.section	.text._ZL41rocblas_syrkx_herkx_small_restrict_kernelIlfLi16ELb0ELb0ELc78ELc76EKPKfKPfEviT_T0_PT6_S5_lS8_S5_lS6_PT7_S5_li,"axG",@progbits,_ZL41rocblas_syrkx_herkx_small_restrict_kernelIlfLi16ELb0ELb0ELc78ELc76EKPKfKPfEviT_T0_PT6_S5_lS8_S5_lS6_PT7_S5_li,comdat
	.globl	_ZL41rocblas_syrkx_herkx_small_restrict_kernelIlfLi16ELb0ELb0ELc78ELc76EKPKfKPfEviT_T0_PT6_S5_lS8_S5_lS6_PT7_S5_li ; -- Begin function _ZL41rocblas_syrkx_herkx_small_restrict_kernelIlfLi16ELb0ELb0ELc78ELc76EKPKfKPfEviT_T0_PT6_S5_lS8_S5_lS6_PT7_S5_li
	.p2align	8
	.type	_ZL41rocblas_syrkx_herkx_small_restrict_kernelIlfLi16ELb0ELb0ELc78ELc76EKPKfKPfEviT_T0_PT6_S5_lS8_S5_lS6_PT7_S5_li,@function
_ZL41rocblas_syrkx_herkx_small_restrict_kernelIlfLi16ELb0ELb0ELc78ELc76EKPKfKPfEviT_T0_PT6_S5_lS8_S5_lS6_PT7_S5_li: ; @_ZL41rocblas_syrkx_herkx_small_restrict_kernelIlfLi16ELb0ELb0ELc78ELc76EKPKfKPfEviT_T0_PT6_S5_lS8_S5_lS6_PT7_S5_li
; %bb.0:
	s_clause 0x1
	s_load_b128 s[4:7], s[0:1], 0x50
	s_load_b64 s[16:17], s[0:1], 0x8
	s_mov_b32 s2, s15
	s_mov_b32 s3, 0
	v_and_b32_e32 v5, 0x3ff, v0
	s_lshl_b64 s[18:19], s[2:3], 3
	v_bfe_u32 v4, v0, 10, 10
	s_delay_alu instid0(VALU_DEP_2) | instskip(NEXT) | instid1(VALU_DEP_2)
	v_lshl_add_u32 v0, s13, 4, v5
	v_lshl_add_u32 v2, s14, 4, v4
	s_delay_alu instid0(VALU_DEP_2) | instskip(NEXT) | instid1(VALU_DEP_2)
	v_ashrrev_i32_e32 v1, 31, v0
	v_ashrrev_i32_e32 v3, 31, v2
	s_waitcnt lgkmcnt(0)
	s_add_u32 s2, s4, s18
	s_addc_u32 s3, s5, s19
	v_cmp_lt_i64_e64 s4, s[16:17], 1
	s_load_b64 s[2:3], s[2:3], 0x0
	s_delay_alu instid0(VALU_DEP_1)
	s_and_b32 vcc_lo, exec_lo, s4
	s_cbranch_vccnz .LBB1432_6
; %bb.1:
	s_clause 0x1
	s_load_b128 s[12:15], s[0:1], 0x30
	s_load_b128 s[8:11], s[0:1], 0x18
	v_lshlrev_b32_e32 v9, 2, v5
	v_lshlrev_b64 v[15:16], 2, v[2:3]
	s_waitcnt lgkmcnt(0)
	v_mad_u64_u32 v[6:7], null, s14, v5, 0
	v_mad_u64_u32 v[13:14], null, s10, v4, 0
	v_lshlrev_b32_e32 v17, 6, v4
	s_add_u32 s4, s12, s18
	s_addc_u32 s5, s13, s19
	s_add_u32 s8, s8, s18
	s_load_b64 s[4:5], s[4:5], 0x0
	s_addc_u32 s9, s9, s19
	s_delay_alu instid0(VALU_DEP_2) | instskip(SKIP_1) | instid1(VALU_DEP_1)
	v_mov_b32_e32 v8, v14
	s_load_b64 s[8:9], s[8:9], 0x0
	v_mad_u64_u32 v[10:11], null, s15, v5, v[7:8]
	v_mad_u64_u32 v[11:12], null, s11, v4, v[8:9]
	s_delay_alu instid0(VALU_DEP_2) | instskip(SKIP_1) | instid1(VALU_DEP_3)
	v_dual_mov_b32 v8, 0 :: v_dual_mov_b32 v7, v10
	v_add_nc_u32_e32 v10, 0x400, v17
	v_dual_mov_b32 v14, v11 :: v_dual_add_nc_u32 v11, v9, v17
	s_delay_alu instid0(VALU_DEP_3) | instskip(SKIP_1) | instid1(VALU_DEP_3)
	v_lshlrev_b64 v[4:5], 2, v[6:7]
	v_lshlrev_b64 v[6:7], 2, v[0:1]
	;; [unrolled: 1-line block ×3, first 2 shown]
	v_add_nc_u32_e32 v12, v10, v9
	s_delay_alu instid0(VALU_DEP_4) | instskip(SKIP_1) | instid1(VALU_DEP_4)
	v_add_co_u32 v4, vcc_lo, v4, v15
	v_add_co_ci_u32_e32 v5, vcc_lo, v5, v16, vcc_lo
	v_add_co_u32 v6, vcc_lo, v13, v6
	v_add_co_ci_u32_e32 v7, vcc_lo, v14, v7, vcc_lo
	s_waitcnt lgkmcnt(0)
	v_add_co_u32 v4, vcc_lo, s4, v4
	v_add_co_ci_u32_e32 v5, vcc_lo, s5, v5, vcc_lo
	v_add_co_u32 v6, vcc_lo, s8, v6
	v_add_co_ci_u32_e32 v7, vcc_lo, s9, v7, vcc_lo
	s_lshl_b64 s[4:5], s[14:15], 6
	s_lshl_b64 s[8:9], s[10:11], 6
	s_mov_b64 s[10:11], 0
.LBB1432_2:                             ; =>This Inner Loop Header: Depth=1
	global_load_b32 v13, v[6:7], off
	global_load_b32 v14, v[4:5], off
	s_add_u32 s10, s10, 16
	v_add_co_u32 v4, vcc_lo, v4, s4
	s_addc_u32 s11, s11, 0
	v_add_co_ci_u32_e32 v5, vcc_lo, s5, v5, vcc_lo
	v_cmp_lt_i64_e64 s12, s[10:11], s[16:17]
	v_add_co_u32 v6, vcc_lo, v6, s8
	v_add_co_ci_u32_e32 v7, vcc_lo, s9, v7, vcc_lo
	s_waitcnt vmcnt(1)
	ds_store_b32 v11, v13
	s_waitcnt vmcnt(0)
	ds_store_b32 v12, v14
	s_waitcnt lgkmcnt(0)
	s_barrier
	buffer_gl0_inv
	ds_load_2addr_b32 v[21:22], v9 offset1:16
	ds_load_b128 v[13:16], v10
	ds_load_2addr_b32 v[23:24], v9 offset0:32 offset1:48
	ds_load_b128 v[17:20], v10 offset:16
	ds_load_2addr_b32 v[25:26], v9 offset0:64 offset1:80
	s_and_b32 vcc_lo, exec_lo, s12
	s_waitcnt lgkmcnt(3)
	v_fmac_f32_e32 v8, v21, v13
	s_delay_alu instid0(VALU_DEP_1) | instskip(SKIP_3) | instid1(VALU_DEP_1)
	v_fmac_f32_e32 v8, v22, v14
	ds_load_2addr_b32 v[21:22], v9 offset0:96 offset1:112
	s_waitcnt lgkmcnt(3)
	v_fmac_f32_e32 v8, v23, v15
	v_fmac_f32_e32 v8, v24, v16
	ds_load_2addr_b32 v[23:24], v9 offset0:128 offset1:144
	ds_load_b128 v[13:16], v10 offset:32
	s_waitcnt lgkmcnt(3)
	v_fmac_f32_e32 v8, v25, v17
	s_delay_alu instid0(VALU_DEP_1) | instskip(SKIP_3) | instid1(VALU_DEP_1)
	v_fmac_f32_e32 v8, v26, v18
	ds_load_2addr_b32 v[25:26], v9 offset0:160 offset1:176
	s_waitcnt lgkmcnt(3)
	v_fmac_f32_e32 v8, v21, v19
	v_fmac_f32_e32 v8, v22, v20
	ds_load_b128 v[17:20], v10 offset:48
	ds_load_2addr_b32 v[21:22], v9 offset0:192 offset1:208
	s_waitcnt lgkmcnt(3)
	v_fmac_f32_e32 v8, v23, v13
	s_delay_alu instid0(VALU_DEP_1)
	v_fmac_f32_e32 v8, v24, v14
	ds_load_2addr_b32 v[13:14], v9 offset0:224 offset1:240
	s_waitcnt lgkmcnt(0)
	s_barrier
	buffer_gl0_inv
	v_fmac_f32_e32 v8, v25, v15
	s_delay_alu instid0(VALU_DEP_1) | instskip(NEXT) | instid1(VALU_DEP_1)
	v_fmac_f32_e32 v8, v26, v16
	v_fmac_f32_e32 v8, v21, v17
	s_delay_alu instid0(VALU_DEP_1) | instskip(NEXT) | instid1(VALU_DEP_1)
	v_fmac_f32_e32 v8, v22, v18
	v_fmac_f32_e32 v8, v13, v19
	s_delay_alu instid0(VALU_DEP_1)
	v_fmac_f32_e32 v8, v14, v20
	s_cbranch_vccnz .LBB1432_2
; %bb.3:
	s_mov_b32 s4, exec_lo
	v_cmpx_le_i32_e64 v2, v0
	s_cbranch_execz .LBB1432_5
.LBB1432_4:
	v_mul_lo_u32 v5, v2, s7
	v_mul_lo_u32 v6, v3, s6
	v_mad_u64_u32 v[3:4], null, v2, s6, 0
	v_lshlrev_b64 v[0:1], 2, v[0:1]
	s_delay_alu instid0(VALU_DEP_2) | instskip(NEXT) | instid1(VALU_DEP_1)
	v_add3_u32 v4, v4, v5, v6
	v_lshlrev_b64 v[2:3], 2, v[3:4]
	s_waitcnt lgkmcnt(0)
	s_delay_alu instid0(VALU_DEP_1) | instskip(NEXT) | instid1(VALU_DEP_2)
	v_add_co_u32 v2, vcc_lo, s2, v2
	v_add_co_ci_u32_e32 v3, vcc_lo, s3, v3, vcc_lo
	s_delay_alu instid0(VALU_DEP_2) | instskip(NEXT) | instid1(VALU_DEP_2)
	v_add_co_u32 v0, vcc_lo, v2, v0
	v_add_co_ci_u32_e32 v1, vcc_lo, v3, v1, vcc_lo
	global_load_b32 v2, v[0:1], off
	s_clause 0x1
	s_load_b32 s2, s[0:1], 0x48
	s_load_b32 s0, s[0:1], 0x10
	s_waitcnt vmcnt(0) lgkmcnt(0)
	v_mul_f32_e32 v2, s2, v2
	s_delay_alu instid0(VALU_DEP_1)
	v_fmac_f32_e32 v2, s0, v8
	global_store_b32 v[0:1], v2, off
.LBB1432_5:
	s_nop 0
	s_sendmsg sendmsg(MSG_DEALLOC_VGPRS)
	s_endpgm
.LBB1432_6:
	v_mov_b32_e32 v8, 0
	s_mov_b32 s4, exec_lo
	v_cmpx_le_i32_e64 v2, v0
	s_cbranch_execnz .LBB1432_4
	s_branch .LBB1432_5
	.section	.rodata,"a",@progbits
	.p2align	6, 0x0
	.amdhsa_kernel _ZL41rocblas_syrkx_herkx_small_restrict_kernelIlfLi16ELb0ELb0ELc78ELc76EKPKfKPfEviT_T0_PT6_S5_lS8_S5_lS6_PT7_S5_li
		.amdhsa_group_segment_fixed_size 2048
		.amdhsa_private_segment_fixed_size 0
		.amdhsa_kernarg_size 108
		.amdhsa_user_sgpr_count 13
		.amdhsa_user_sgpr_dispatch_ptr 0
		.amdhsa_user_sgpr_queue_ptr 0
		.amdhsa_user_sgpr_kernarg_segment_ptr 1
		.amdhsa_user_sgpr_dispatch_id 0
		.amdhsa_user_sgpr_private_segment_size 0
		.amdhsa_wavefront_size32 1
		.amdhsa_uses_dynamic_stack 0
		.amdhsa_enable_private_segment 0
		.amdhsa_system_sgpr_workgroup_id_x 1
		.amdhsa_system_sgpr_workgroup_id_y 1
		.amdhsa_system_sgpr_workgroup_id_z 1
		.amdhsa_system_sgpr_workgroup_info 0
		.amdhsa_system_vgpr_workitem_id 1
		.amdhsa_next_free_vgpr 27
		.amdhsa_next_free_sgpr 20
		.amdhsa_reserve_vcc 1
		.amdhsa_float_round_mode_32 0
		.amdhsa_float_round_mode_16_64 0
		.amdhsa_float_denorm_mode_32 3
		.amdhsa_float_denorm_mode_16_64 3
		.amdhsa_dx10_clamp 1
		.amdhsa_ieee_mode 1
		.amdhsa_fp16_overflow 0
		.amdhsa_workgroup_processor_mode 1
		.amdhsa_memory_ordered 1
		.amdhsa_forward_progress 0
		.amdhsa_shared_vgpr_count 0
		.amdhsa_exception_fp_ieee_invalid_op 0
		.amdhsa_exception_fp_denorm_src 0
		.amdhsa_exception_fp_ieee_div_zero 0
		.amdhsa_exception_fp_ieee_overflow 0
		.amdhsa_exception_fp_ieee_underflow 0
		.amdhsa_exception_fp_ieee_inexact 0
		.amdhsa_exception_int_div_zero 0
	.end_amdhsa_kernel
	.section	.text._ZL41rocblas_syrkx_herkx_small_restrict_kernelIlfLi16ELb0ELb0ELc78ELc76EKPKfKPfEviT_T0_PT6_S5_lS8_S5_lS6_PT7_S5_li,"axG",@progbits,_ZL41rocblas_syrkx_herkx_small_restrict_kernelIlfLi16ELb0ELb0ELc78ELc76EKPKfKPfEviT_T0_PT6_S5_lS8_S5_lS6_PT7_S5_li,comdat
.Lfunc_end1432:
	.size	_ZL41rocblas_syrkx_herkx_small_restrict_kernelIlfLi16ELb0ELb0ELc78ELc76EKPKfKPfEviT_T0_PT6_S5_lS8_S5_lS6_PT7_S5_li, .Lfunc_end1432-_ZL41rocblas_syrkx_herkx_small_restrict_kernelIlfLi16ELb0ELb0ELc78ELc76EKPKfKPfEviT_T0_PT6_S5_lS8_S5_lS6_PT7_S5_li
                                        ; -- End function
	.section	.AMDGPU.csdata,"",@progbits
; Kernel info:
; codeLenInByte = 876
; NumSgprs: 22
; NumVgprs: 27
; ScratchSize: 0
; MemoryBound: 0
; FloatMode: 240
; IeeeMode: 1
; LDSByteSize: 2048 bytes/workgroup (compile time only)
; SGPRBlocks: 2
; VGPRBlocks: 3
; NumSGPRsForWavesPerEU: 22
; NumVGPRsForWavesPerEU: 27
; Occupancy: 16
; WaveLimiterHint : 1
; COMPUTE_PGM_RSRC2:SCRATCH_EN: 0
; COMPUTE_PGM_RSRC2:USER_SGPR: 13
; COMPUTE_PGM_RSRC2:TRAP_HANDLER: 0
; COMPUTE_PGM_RSRC2:TGID_X_EN: 1
; COMPUTE_PGM_RSRC2:TGID_Y_EN: 1
; COMPUTE_PGM_RSRC2:TGID_Z_EN: 1
; COMPUTE_PGM_RSRC2:TIDIG_COMP_CNT: 1
	.section	.text._ZL41rocblas_syrkx_herkx_small_restrict_kernelIlfLi16ELb0ELb0ELc84ELc85EKPKfKPfEviT_T0_PT6_S5_lS8_S5_lS6_PT7_S5_li,"axG",@progbits,_ZL41rocblas_syrkx_herkx_small_restrict_kernelIlfLi16ELb0ELb0ELc84ELc85EKPKfKPfEviT_T0_PT6_S5_lS8_S5_lS6_PT7_S5_li,comdat
	.globl	_ZL41rocblas_syrkx_herkx_small_restrict_kernelIlfLi16ELb0ELb0ELc84ELc85EKPKfKPfEviT_T0_PT6_S5_lS8_S5_lS6_PT7_S5_li ; -- Begin function _ZL41rocblas_syrkx_herkx_small_restrict_kernelIlfLi16ELb0ELb0ELc84ELc85EKPKfKPfEviT_T0_PT6_S5_lS8_S5_lS6_PT7_S5_li
	.p2align	8
	.type	_ZL41rocblas_syrkx_herkx_small_restrict_kernelIlfLi16ELb0ELb0ELc84ELc85EKPKfKPfEviT_T0_PT6_S5_lS8_S5_lS6_PT7_S5_li,@function
_ZL41rocblas_syrkx_herkx_small_restrict_kernelIlfLi16ELb0ELb0ELc84ELc85EKPKfKPfEviT_T0_PT6_S5_lS8_S5_lS6_PT7_S5_li: ; @_ZL41rocblas_syrkx_herkx_small_restrict_kernelIlfLi16ELb0ELb0ELc84ELc85EKPKfKPfEviT_T0_PT6_S5_lS8_S5_lS6_PT7_S5_li
; %bb.0:
	s_clause 0x1
	s_load_b128 s[4:7], s[0:1], 0x50
	s_load_b64 s[8:9], s[0:1], 0x8
	s_mov_b32 s2, s15
	s_mov_b32 s3, 0
	v_and_b32_e32 v3, 0x3ff, v0
	s_lshl_b64 s[10:11], s[2:3], 3
	v_bfe_u32 v2, v0, 10, 10
	s_delay_alu instid0(VALU_DEP_2) | instskip(NEXT) | instid1(VALU_DEP_2)
	v_lshl_add_u32 v0, s13, 4, v3
	v_lshl_add_u32 v6, s14, 4, v2
	s_delay_alu instid0(VALU_DEP_2) | instskip(NEXT) | instid1(VALU_DEP_2)
	v_ashrrev_i32_e32 v1, 31, v0
	v_ashrrev_i32_e32 v7, 31, v6
	s_waitcnt lgkmcnt(0)
	s_add_u32 s2, s4, s10
	s_addc_u32 s3, s5, s11
	v_cmp_lt_i64_e64 s4, s[8:9], 1
	s_load_b64 s[2:3], s[2:3], 0x0
	s_delay_alu instid0(VALU_DEP_1)
	s_and_b32 vcc_lo, exec_lo, s4
	s_cbranch_vccnz .LBB1433_6
; %bb.1:
	s_clause 0x1
	s_load_b128 s[12:15], s[0:1], 0x30
	s_load_b128 s[16:19], s[0:1], 0x18
	v_lshlrev_b32_e32 v9, 2, v3
	v_lshlrev_b32_e32 v16, 6, v2
	s_delay_alu instid0(VALU_DEP_1)
	v_add_nc_u32_e32 v10, 0x400, v16
	s_waitcnt lgkmcnt(0)
	s_add_u32 s4, s12, s10
	s_addc_u32 s5, s13, s11
	s_add_u32 s10, s16, s10
	s_load_b64 s[4:5], s[4:5], 0x0
	s_addc_u32 s11, s17, s11
	v_mul_lo_u32 v12, v6, s15
	s_load_b64 s[10:11], s[10:11], 0x0
	v_mul_lo_u32 v15, v7, s14
	v_mad_u64_u32 v[13:14], null, v6, s14, 0
	v_mul_lo_u32 v8, v0, s19
	v_mul_lo_u32 v11, v1, s18
	v_mad_u64_u32 v[4:5], null, v0, s18, 0
	s_delay_alu instid0(VALU_DEP_4) | instskip(NEXT) | instid1(VALU_DEP_2)
	v_add3_u32 v14, v14, v12, v15
	v_add3_u32 v5, v5, v8, v11
	v_lshlrev_b32_e32 v8, 2, v2
	s_delay_alu instid0(VALU_DEP_3)
	v_lshlrev_b64 v[2:3], 2, v[13:14]
	s_waitcnt lgkmcnt(0)
	v_add_co_u32 v13, s4, s4, v9
	v_lshlrev_b64 v[4:5], 2, v[4:5]
	v_add_co_ci_u32_e64 v14, null, s5, 0, s4
	v_add_co_u32 v8, s4, s10, v8
	s_delay_alu instid0(VALU_DEP_1) | instskip(SKIP_1) | instid1(VALU_DEP_4)
	v_add_co_ci_u32_e64 v15, null, s11, 0, s4
	v_add_co_u32 v2, vcc_lo, v13, v2
	v_add_co_ci_u32_e32 v3, vcc_lo, v14, v3, vcc_lo
	s_delay_alu instid0(VALU_DEP_4)
	v_add_co_u32 v4, vcc_lo, v8, v4
	v_dual_mov_b32 v8, 0 :: v_dual_add_nc_u32 v11, v9, v16
	v_add_nc_u32_e32 v12, v10, v9
	v_add_co_ci_u32_e32 v5, vcc_lo, v15, v5, vcc_lo
	s_mov_b64 s[4:5], 0
.LBB1433_2:                             ; =>This Inner Loop Header: Depth=1
	global_load_b32 v13, v[4:5], off
	global_load_b32 v14, v[2:3], off
	s_add_u32 s4, s4, 16
	v_add_co_u32 v2, vcc_lo, v2, 64
	s_addc_u32 s5, s5, 0
	v_add_co_ci_u32_e32 v3, vcc_lo, 0, v3, vcc_lo
	v_cmp_lt_i64_e64 s10, s[4:5], s[8:9]
	v_add_co_u32 v4, vcc_lo, v4, 64
	v_add_co_ci_u32_e32 v5, vcc_lo, 0, v5, vcc_lo
	s_waitcnt vmcnt(1)
	ds_store_b32 v11, v13
	s_waitcnt vmcnt(0)
	ds_store_b32 v12, v14
	s_waitcnt lgkmcnt(0)
	s_barrier
	buffer_gl0_inv
	ds_load_2addr_b32 v[21:22], v9 offset1:16
	ds_load_b128 v[13:16], v10
	ds_load_2addr_b32 v[23:24], v9 offset0:32 offset1:48
	ds_load_b128 v[17:20], v10 offset:16
	ds_load_2addr_b32 v[25:26], v9 offset0:64 offset1:80
	s_and_b32 vcc_lo, exec_lo, s10
	s_waitcnt lgkmcnt(3)
	v_fmac_f32_e32 v8, v21, v13
	s_delay_alu instid0(VALU_DEP_1) | instskip(SKIP_3) | instid1(VALU_DEP_1)
	v_fmac_f32_e32 v8, v22, v14
	ds_load_2addr_b32 v[21:22], v9 offset0:96 offset1:112
	s_waitcnt lgkmcnt(3)
	v_fmac_f32_e32 v8, v23, v15
	v_fmac_f32_e32 v8, v24, v16
	ds_load_2addr_b32 v[23:24], v9 offset0:128 offset1:144
	ds_load_b128 v[13:16], v10 offset:32
	s_waitcnt lgkmcnt(3)
	v_fmac_f32_e32 v8, v25, v17
	s_delay_alu instid0(VALU_DEP_1) | instskip(SKIP_3) | instid1(VALU_DEP_1)
	v_fmac_f32_e32 v8, v26, v18
	ds_load_2addr_b32 v[25:26], v9 offset0:160 offset1:176
	s_waitcnt lgkmcnt(3)
	v_fmac_f32_e32 v8, v21, v19
	v_fmac_f32_e32 v8, v22, v20
	ds_load_b128 v[17:20], v10 offset:48
	ds_load_2addr_b32 v[21:22], v9 offset0:192 offset1:208
	s_waitcnt lgkmcnt(3)
	v_fmac_f32_e32 v8, v23, v13
	s_delay_alu instid0(VALU_DEP_1)
	v_fmac_f32_e32 v8, v24, v14
	ds_load_2addr_b32 v[13:14], v9 offset0:224 offset1:240
	s_waitcnt lgkmcnt(0)
	s_barrier
	buffer_gl0_inv
	v_fmac_f32_e32 v8, v25, v15
	s_delay_alu instid0(VALU_DEP_1) | instskip(NEXT) | instid1(VALU_DEP_1)
	v_fmac_f32_e32 v8, v26, v16
	v_fmac_f32_e32 v8, v21, v17
	s_delay_alu instid0(VALU_DEP_1) | instskip(NEXT) | instid1(VALU_DEP_1)
	v_fmac_f32_e32 v8, v22, v18
	v_fmac_f32_e32 v8, v13, v19
	s_delay_alu instid0(VALU_DEP_1)
	v_fmac_f32_e32 v8, v14, v20
	s_cbranch_vccnz .LBB1433_2
; %bb.3:
	s_mov_b32 s4, exec_lo
	v_cmpx_le_i32_e64 v0, v6
	s_cbranch_execz .LBB1433_5
.LBB1433_4:
	v_mul_lo_u32 v4, v6, s7
	v_mul_lo_u32 v5, v7, s6
	v_mad_u64_u32 v[2:3], null, v6, s6, 0
	v_lshlrev_b64 v[0:1], 2, v[0:1]
	s_delay_alu instid0(VALU_DEP_2) | instskip(NEXT) | instid1(VALU_DEP_1)
	v_add3_u32 v3, v3, v4, v5
	v_lshlrev_b64 v[2:3], 2, v[2:3]
	s_waitcnt lgkmcnt(0)
	s_delay_alu instid0(VALU_DEP_1) | instskip(NEXT) | instid1(VALU_DEP_2)
	v_add_co_u32 v2, vcc_lo, s2, v2
	v_add_co_ci_u32_e32 v3, vcc_lo, s3, v3, vcc_lo
	s_delay_alu instid0(VALU_DEP_2) | instskip(NEXT) | instid1(VALU_DEP_2)
	v_add_co_u32 v0, vcc_lo, v2, v0
	v_add_co_ci_u32_e32 v1, vcc_lo, v3, v1, vcc_lo
	global_load_b32 v2, v[0:1], off
	s_clause 0x1
	s_load_b32 s2, s[0:1], 0x48
	s_load_b32 s0, s[0:1], 0x10
	s_waitcnt vmcnt(0) lgkmcnt(0)
	v_mul_f32_e32 v2, s2, v2
	s_delay_alu instid0(VALU_DEP_1)
	v_fmac_f32_e32 v2, s0, v8
	global_store_b32 v[0:1], v2, off
.LBB1433_5:
	s_nop 0
	s_sendmsg sendmsg(MSG_DEALLOC_VGPRS)
	s_endpgm
.LBB1433_6:
	v_mov_b32_e32 v8, 0
	s_mov_b32 s4, exec_lo
	v_cmpx_le_i32_e64 v0, v6
	s_cbranch_execnz .LBB1433_4
	s_branch .LBB1433_5
	.section	.rodata,"a",@progbits
	.p2align	6, 0x0
	.amdhsa_kernel _ZL41rocblas_syrkx_herkx_small_restrict_kernelIlfLi16ELb0ELb0ELc84ELc85EKPKfKPfEviT_T0_PT6_S5_lS8_S5_lS6_PT7_S5_li
		.amdhsa_group_segment_fixed_size 2048
		.amdhsa_private_segment_fixed_size 0
		.amdhsa_kernarg_size 108
		.amdhsa_user_sgpr_count 13
		.amdhsa_user_sgpr_dispatch_ptr 0
		.amdhsa_user_sgpr_queue_ptr 0
		.amdhsa_user_sgpr_kernarg_segment_ptr 1
		.amdhsa_user_sgpr_dispatch_id 0
		.amdhsa_user_sgpr_private_segment_size 0
		.amdhsa_wavefront_size32 1
		.amdhsa_uses_dynamic_stack 0
		.amdhsa_enable_private_segment 0
		.amdhsa_system_sgpr_workgroup_id_x 1
		.amdhsa_system_sgpr_workgroup_id_y 1
		.amdhsa_system_sgpr_workgroup_id_z 1
		.amdhsa_system_sgpr_workgroup_info 0
		.amdhsa_system_vgpr_workitem_id 1
		.amdhsa_next_free_vgpr 27
		.amdhsa_next_free_sgpr 20
		.amdhsa_reserve_vcc 1
		.amdhsa_float_round_mode_32 0
		.amdhsa_float_round_mode_16_64 0
		.amdhsa_float_denorm_mode_32 3
		.amdhsa_float_denorm_mode_16_64 3
		.amdhsa_dx10_clamp 1
		.amdhsa_ieee_mode 1
		.amdhsa_fp16_overflow 0
		.amdhsa_workgroup_processor_mode 1
		.amdhsa_memory_ordered 1
		.amdhsa_forward_progress 0
		.amdhsa_shared_vgpr_count 0
		.amdhsa_exception_fp_ieee_invalid_op 0
		.amdhsa_exception_fp_denorm_src 0
		.amdhsa_exception_fp_ieee_div_zero 0
		.amdhsa_exception_fp_ieee_overflow 0
		.amdhsa_exception_fp_ieee_underflow 0
		.amdhsa_exception_fp_ieee_inexact 0
		.amdhsa_exception_int_div_zero 0
	.end_amdhsa_kernel
	.section	.text._ZL41rocblas_syrkx_herkx_small_restrict_kernelIlfLi16ELb0ELb0ELc84ELc85EKPKfKPfEviT_T0_PT6_S5_lS8_S5_lS6_PT7_S5_li,"axG",@progbits,_ZL41rocblas_syrkx_herkx_small_restrict_kernelIlfLi16ELb0ELb0ELc84ELc85EKPKfKPfEviT_T0_PT6_S5_lS8_S5_lS6_PT7_S5_li,comdat
.Lfunc_end1433:
	.size	_ZL41rocblas_syrkx_herkx_small_restrict_kernelIlfLi16ELb0ELb0ELc84ELc85EKPKfKPfEviT_T0_PT6_S5_lS8_S5_lS6_PT7_S5_li, .Lfunc_end1433-_ZL41rocblas_syrkx_herkx_small_restrict_kernelIlfLi16ELb0ELb0ELc84ELc85EKPKfKPfEviT_T0_PT6_S5_lS8_S5_lS6_PT7_S5_li
                                        ; -- End function
	.section	.AMDGPU.csdata,"",@progbits
; Kernel info:
; codeLenInByte = 888
; NumSgprs: 22
; NumVgprs: 27
; ScratchSize: 0
; MemoryBound: 0
; FloatMode: 240
; IeeeMode: 1
; LDSByteSize: 2048 bytes/workgroup (compile time only)
; SGPRBlocks: 2
; VGPRBlocks: 3
; NumSGPRsForWavesPerEU: 22
; NumVGPRsForWavesPerEU: 27
; Occupancy: 16
; WaveLimiterHint : 1
; COMPUTE_PGM_RSRC2:SCRATCH_EN: 0
; COMPUTE_PGM_RSRC2:USER_SGPR: 13
; COMPUTE_PGM_RSRC2:TRAP_HANDLER: 0
; COMPUTE_PGM_RSRC2:TGID_X_EN: 1
; COMPUTE_PGM_RSRC2:TGID_Y_EN: 1
; COMPUTE_PGM_RSRC2:TGID_Z_EN: 1
; COMPUTE_PGM_RSRC2:TIDIG_COMP_CNT: 1
	.section	.text._ZL41rocblas_syrkx_herkx_small_restrict_kernelIlfLi16ELb0ELb0ELc67ELc85EKPKfKPfEviT_T0_PT6_S5_lS8_S5_lS6_PT7_S5_li,"axG",@progbits,_ZL41rocblas_syrkx_herkx_small_restrict_kernelIlfLi16ELb0ELb0ELc67ELc85EKPKfKPfEviT_T0_PT6_S5_lS8_S5_lS6_PT7_S5_li,comdat
	.globl	_ZL41rocblas_syrkx_herkx_small_restrict_kernelIlfLi16ELb0ELb0ELc67ELc85EKPKfKPfEviT_T0_PT6_S5_lS8_S5_lS6_PT7_S5_li ; -- Begin function _ZL41rocblas_syrkx_herkx_small_restrict_kernelIlfLi16ELb0ELb0ELc67ELc85EKPKfKPfEviT_T0_PT6_S5_lS8_S5_lS6_PT7_S5_li
	.p2align	8
	.type	_ZL41rocblas_syrkx_herkx_small_restrict_kernelIlfLi16ELb0ELb0ELc67ELc85EKPKfKPfEviT_T0_PT6_S5_lS8_S5_lS6_PT7_S5_li,@function
_ZL41rocblas_syrkx_herkx_small_restrict_kernelIlfLi16ELb0ELb0ELc67ELc85EKPKfKPfEviT_T0_PT6_S5_lS8_S5_lS6_PT7_S5_li: ; @_ZL41rocblas_syrkx_herkx_small_restrict_kernelIlfLi16ELb0ELb0ELc67ELc85EKPKfKPfEviT_T0_PT6_S5_lS8_S5_lS6_PT7_S5_li
; %bb.0:
	s_clause 0x1
	s_load_b128 s[4:7], s[0:1], 0x50
	s_load_b64 s[8:9], s[0:1], 0x8
	s_mov_b32 s2, s15
	s_mov_b32 s3, 0
	v_and_b32_e32 v3, 0x3ff, v0
	s_lshl_b64 s[10:11], s[2:3], 3
	v_bfe_u32 v2, v0, 10, 10
	s_delay_alu instid0(VALU_DEP_2) | instskip(NEXT) | instid1(VALU_DEP_2)
	v_lshl_add_u32 v0, s13, 4, v3
	v_lshl_add_u32 v6, s14, 4, v2
	s_delay_alu instid0(VALU_DEP_2) | instskip(NEXT) | instid1(VALU_DEP_2)
	v_ashrrev_i32_e32 v1, 31, v0
	v_ashrrev_i32_e32 v7, 31, v6
	s_waitcnt lgkmcnt(0)
	s_add_u32 s2, s4, s10
	s_addc_u32 s3, s5, s11
	v_cmp_lt_i64_e64 s4, s[8:9], 1
	s_load_b64 s[2:3], s[2:3], 0x0
	s_delay_alu instid0(VALU_DEP_1)
	s_and_b32 vcc_lo, exec_lo, s4
	s_cbranch_vccnz .LBB1434_6
; %bb.1:
	s_clause 0x1
	s_load_b128 s[12:15], s[0:1], 0x30
	s_load_b128 s[16:19], s[0:1], 0x18
	v_lshlrev_b32_e32 v9, 2, v3
	v_lshlrev_b32_e32 v16, 6, v2
	s_delay_alu instid0(VALU_DEP_1)
	v_add_nc_u32_e32 v10, 0x400, v16
	s_waitcnt lgkmcnt(0)
	s_add_u32 s4, s12, s10
	s_addc_u32 s5, s13, s11
	s_add_u32 s10, s16, s10
	s_load_b64 s[4:5], s[4:5], 0x0
	s_addc_u32 s11, s17, s11
	v_mul_lo_u32 v12, v6, s15
	s_load_b64 s[10:11], s[10:11], 0x0
	v_mul_lo_u32 v15, v7, s14
	v_mad_u64_u32 v[13:14], null, v6, s14, 0
	v_mul_lo_u32 v8, v0, s19
	v_mul_lo_u32 v11, v1, s18
	v_mad_u64_u32 v[4:5], null, v0, s18, 0
	s_delay_alu instid0(VALU_DEP_4) | instskip(NEXT) | instid1(VALU_DEP_2)
	v_add3_u32 v14, v14, v12, v15
	v_add3_u32 v5, v5, v8, v11
	v_lshlrev_b32_e32 v8, 2, v2
	s_delay_alu instid0(VALU_DEP_3)
	v_lshlrev_b64 v[2:3], 2, v[13:14]
	s_waitcnt lgkmcnt(0)
	v_add_co_u32 v13, s4, s4, v9
	v_lshlrev_b64 v[4:5], 2, v[4:5]
	v_add_co_ci_u32_e64 v14, null, s5, 0, s4
	v_add_co_u32 v8, s4, s10, v8
	s_delay_alu instid0(VALU_DEP_1) | instskip(SKIP_1) | instid1(VALU_DEP_4)
	v_add_co_ci_u32_e64 v15, null, s11, 0, s4
	v_add_co_u32 v2, vcc_lo, v13, v2
	v_add_co_ci_u32_e32 v3, vcc_lo, v14, v3, vcc_lo
	s_delay_alu instid0(VALU_DEP_4)
	v_add_co_u32 v4, vcc_lo, v8, v4
	v_dual_mov_b32 v8, 0 :: v_dual_add_nc_u32 v11, v9, v16
	v_add_nc_u32_e32 v12, v10, v9
	v_add_co_ci_u32_e32 v5, vcc_lo, v15, v5, vcc_lo
	s_mov_b64 s[4:5], 0
.LBB1434_2:                             ; =>This Inner Loop Header: Depth=1
	global_load_b32 v13, v[4:5], off
	global_load_b32 v14, v[2:3], off
	s_add_u32 s4, s4, 16
	v_add_co_u32 v2, vcc_lo, v2, 64
	s_addc_u32 s5, s5, 0
	v_add_co_ci_u32_e32 v3, vcc_lo, 0, v3, vcc_lo
	v_cmp_lt_i64_e64 s10, s[4:5], s[8:9]
	v_add_co_u32 v4, vcc_lo, v4, 64
	v_add_co_ci_u32_e32 v5, vcc_lo, 0, v5, vcc_lo
	s_waitcnt vmcnt(1)
	ds_store_b32 v11, v13
	s_waitcnt vmcnt(0)
	ds_store_b32 v12, v14
	s_waitcnt lgkmcnt(0)
	s_barrier
	buffer_gl0_inv
	ds_load_2addr_b32 v[21:22], v9 offset1:16
	ds_load_b128 v[13:16], v10
	ds_load_2addr_b32 v[23:24], v9 offset0:32 offset1:48
	ds_load_b128 v[17:20], v10 offset:16
	ds_load_2addr_b32 v[25:26], v9 offset0:64 offset1:80
	s_and_b32 vcc_lo, exec_lo, s10
	s_waitcnt lgkmcnt(3)
	v_fmac_f32_e32 v8, v21, v13
	s_delay_alu instid0(VALU_DEP_1) | instskip(SKIP_3) | instid1(VALU_DEP_1)
	v_fmac_f32_e32 v8, v22, v14
	ds_load_2addr_b32 v[21:22], v9 offset0:96 offset1:112
	s_waitcnt lgkmcnt(3)
	v_fmac_f32_e32 v8, v23, v15
	v_fmac_f32_e32 v8, v24, v16
	ds_load_2addr_b32 v[23:24], v9 offset0:128 offset1:144
	ds_load_b128 v[13:16], v10 offset:32
	s_waitcnt lgkmcnt(3)
	v_fmac_f32_e32 v8, v25, v17
	s_delay_alu instid0(VALU_DEP_1) | instskip(SKIP_3) | instid1(VALU_DEP_1)
	v_fmac_f32_e32 v8, v26, v18
	ds_load_2addr_b32 v[25:26], v9 offset0:160 offset1:176
	s_waitcnt lgkmcnt(3)
	v_fmac_f32_e32 v8, v21, v19
	v_fmac_f32_e32 v8, v22, v20
	ds_load_b128 v[17:20], v10 offset:48
	ds_load_2addr_b32 v[21:22], v9 offset0:192 offset1:208
	s_waitcnt lgkmcnt(3)
	v_fmac_f32_e32 v8, v23, v13
	s_delay_alu instid0(VALU_DEP_1)
	v_fmac_f32_e32 v8, v24, v14
	ds_load_2addr_b32 v[13:14], v9 offset0:224 offset1:240
	s_waitcnt lgkmcnt(0)
	s_barrier
	buffer_gl0_inv
	v_fmac_f32_e32 v8, v25, v15
	s_delay_alu instid0(VALU_DEP_1) | instskip(NEXT) | instid1(VALU_DEP_1)
	v_fmac_f32_e32 v8, v26, v16
	v_fmac_f32_e32 v8, v21, v17
	s_delay_alu instid0(VALU_DEP_1) | instskip(NEXT) | instid1(VALU_DEP_1)
	v_fmac_f32_e32 v8, v22, v18
	v_fmac_f32_e32 v8, v13, v19
	s_delay_alu instid0(VALU_DEP_1)
	v_fmac_f32_e32 v8, v14, v20
	s_cbranch_vccnz .LBB1434_2
; %bb.3:
	s_mov_b32 s4, exec_lo
	v_cmpx_le_i32_e64 v0, v6
	s_cbranch_execz .LBB1434_5
.LBB1434_4:
	v_mul_lo_u32 v4, v6, s7
	v_mul_lo_u32 v5, v7, s6
	v_mad_u64_u32 v[2:3], null, v6, s6, 0
	v_lshlrev_b64 v[0:1], 2, v[0:1]
	s_delay_alu instid0(VALU_DEP_2) | instskip(NEXT) | instid1(VALU_DEP_1)
	v_add3_u32 v3, v3, v4, v5
	v_lshlrev_b64 v[2:3], 2, v[2:3]
	s_waitcnt lgkmcnt(0)
	s_delay_alu instid0(VALU_DEP_1) | instskip(NEXT) | instid1(VALU_DEP_2)
	v_add_co_u32 v2, vcc_lo, s2, v2
	v_add_co_ci_u32_e32 v3, vcc_lo, s3, v3, vcc_lo
	s_delay_alu instid0(VALU_DEP_2) | instskip(NEXT) | instid1(VALU_DEP_2)
	v_add_co_u32 v0, vcc_lo, v2, v0
	v_add_co_ci_u32_e32 v1, vcc_lo, v3, v1, vcc_lo
	global_load_b32 v2, v[0:1], off
	s_clause 0x1
	s_load_b32 s2, s[0:1], 0x48
	s_load_b32 s0, s[0:1], 0x10
	s_waitcnt vmcnt(0) lgkmcnt(0)
	v_mul_f32_e32 v2, s2, v2
	s_delay_alu instid0(VALU_DEP_1)
	v_fmac_f32_e32 v2, s0, v8
	global_store_b32 v[0:1], v2, off
.LBB1434_5:
	s_nop 0
	s_sendmsg sendmsg(MSG_DEALLOC_VGPRS)
	s_endpgm
.LBB1434_6:
	v_mov_b32_e32 v8, 0
	s_mov_b32 s4, exec_lo
	v_cmpx_le_i32_e64 v0, v6
	s_cbranch_execnz .LBB1434_4
	s_branch .LBB1434_5
	.section	.rodata,"a",@progbits
	.p2align	6, 0x0
	.amdhsa_kernel _ZL41rocblas_syrkx_herkx_small_restrict_kernelIlfLi16ELb0ELb0ELc67ELc85EKPKfKPfEviT_T0_PT6_S5_lS8_S5_lS6_PT7_S5_li
		.amdhsa_group_segment_fixed_size 2048
		.amdhsa_private_segment_fixed_size 0
		.amdhsa_kernarg_size 108
		.amdhsa_user_sgpr_count 13
		.amdhsa_user_sgpr_dispatch_ptr 0
		.amdhsa_user_sgpr_queue_ptr 0
		.amdhsa_user_sgpr_kernarg_segment_ptr 1
		.amdhsa_user_sgpr_dispatch_id 0
		.amdhsa_user_sgpr_private_segment_size 0
		.amdhsa_wavefront_size32 1
		.amdhsa_uses_dynamic_stack 0
		.amdhsa_enable_private_segment 0
		.amdhsa_system_sgpr_workgroup_id_x 1
		.amdhsa_system_sgpr_workgroup_id_y 1
		.amdhsa_system_sgpr_workgroup_id_z 1
		.amdhsa_system_sgpr_workgroup_info 0
		.amdhsa_system_vgpr_workitem_id 1
		.amdhsa_next_free_vgpr 27
		.amdhsa_next_free_sgpr 20
		.amdhsa_reserve_vcc 1
		.amdhsa_float_round_mode_32 0
		.amdhsa_float_round_mode_16_64 0
		.amdhsa_float_denorm_mode_32 3
		.amdhsa_float_denorm_mode_16_64 3
		.amdhsa_dx10_clamp 1
		.amdhsa_ieee_mode 1
		.amdhsa_fp16_overflow 0
		.amdhsa_workgroup_processor_mode 1
		.amdhsa_memory_ordered 1
		.amdhsa_forward_progress 0
		.amdhsa_shared_vgpr_count 0
		.amdhsa_exception_fp_ieee_invalid_op 0
		.amdhsa_exception_fp_denorm_src 0
		.amdhsa_exception_fp_ieee_div_zero 0
		.amdhsa_exception_fp_ieee_overflow 0
		.amdhsa_exception_fp_ieee_underflow 0
		.amdhsa_exception_fp_ieee_inexact 0
		.amdhsa_exception_int_div_zero 0
	.end_amdhsa_kernel
	.section	.text._ZL41rocblas_syrkx_herkx_small_restrict_kernelIlfLi16ELb0ELb0ELc67ELc85EKPKfKPfEviT_T0_PT6_S5_lS8_S5_lS6_PT7_S5_li,"axG",@progbits,_ZL41rocblas_syrkx_herkx_small_restrict_kernelIlfLi16ELb0ELb0ELc67ELc85EKPKfKPfEviT_T0_PT6_S5_lS8_S5_lS6_PT7_S5_li,comdat
.Lfunc_end1434:
	.size	_ZL41rocblas_syrkx_herkx_small_restrict_kernelIlfLi16ELb0ELb0ELc67ELc85EKPKfKPfEviT_T0_PT6_S5_lS8_S5_lS6_PT7_S5_li, .Lfunc_end1434-_ZL41rocblas_syrkx_herkx_small_restrict_kernelIlfLi16ELb0ELb0ELc67ELc85EKPKfKPfEviT_T0_PT6_S5_lS8_S5_lS6_PT7_S5_li
                                        ; -- End function
	.section	.AMDGPU.csdata,"",@progbits
; Kernel info:
; codeLenInByte = 888
; NumSgprs: 22
; NumVgprs: 27
; ScratchSize: 0
; MemoryBound: 0
; FloatMode: 240
; IeeeMode: 1
; LDSByteSize: 2048 bytes/workgroup (compile time only)
; SGPRBlocks: 2
; VGPRBlocks: 3
; NumSGPRsForWavesPerEU: 22
; NumVGPRsForWavesPerEU: 27
; Occupancy: 16
; WaveLimiterHint : 1
; COMPUTE_PGM_RSRC2:SCRATCH_EN: 0
; COMPUTE_PGM_RSRC2:USER_SGPR: 13
; COMPUTE_PGM_RSRC2:TRAP_HANDLER: 0
; COMPUTE_PGM_RSRC2:TGID_X_EN: 1
; COMPUTE_PGM_RSRC2:TGID_Y_EN: 1
; COMPUTE_PGM_RSRC2:TGID_Z_EN: 1
; COMPUTE_PGM_RSRC2:TIDIG_COMP_CNT: 1
	.section	.text._ZL41rocblas_syrkx_herkx_small_restrict_kernelIlfLi16ELb0ELb0ELc78ELc85EKPKfKPfEviT_T0_PT6_S5_lS8_S5_lS6_PT7_S5_li,"axG",@progbits,_ZL41rocblas_syrkx_herkx_small_restrict_kernelIlfLi16ELb0ELb0ELc78ELc85EKPKfKPfEviT_T0_PT6_S5_lS8_S5_lS6_PT7_S5_li,comdat
	.globl	_ZL41rocblas_syrkx_herkx_small_restrict_kernelIlfLi16ELb0ELb0ELc78ELc85EKPKfKPfEviT_T0_PT6_S5_lS8_S5_lS6_PT7_S5_li ; -- Begin function _ZL41rocblas_syrkx_herkx_small_restrict_kernelIlfLi16ELb0ELb0ELc78ELc85EKPKfKPfEviT_T0_PT6_S5_lS8_S5_lS6_PT7_S5_li
	.p2align	8
	.type	_ZL41rocblas_syrkx_herkx_small_restrict_kernelIlfLi16ELb0ELb0ELc78ELc85EKPKfKPfEviT_T0_PT6_S5_lS8_S5_lS6_PT7_S5_li,@function
_ZL41rocblas_syrkx_herkx_small_restrict_kernelIlfLi16ELb0ELb0ELc78ELc85EKPKfKPfEviT_T0_PT6_S5_lS8_S5_lS6_PT7_S5_li: ; @_ZL41rocblas_syrkx_herkx_small_restrict_kernelIlfLi16ELb0ELb0ELc78ELc85EKPKfKPfEviT_T0_PT6_S5_lS8_S5_lS6_PT7_S5_li
; %bb.0:
	s_clause 0x1
	s_load_b128 s[4:7], s[0:1], 0x50
	s_load_b64 s[16:17], s[0:1], 0x8
	s_mov_b32 s2, s15
	s_mov_b32 s3, 0
	v_and_b32_e32 v5, 0x3ff, v0
	s_lshl_b64 s[18:19], s[2:3], 3
	v_bfe_u32 v4, v0, 10, 10
	s_delay_alu instid0(VALU_DEP_2) | instskip(NEXT) | instid1(VALU_DEP_2)
	v_lshl_add_u32 v0, s13, 4, v5
	v_lshl_add_u32 v2, s14, 4, v4
	s_delay_alu instid0(VALU_DEP_2) | instskip(NEXT) | instid1(VALU_DEP_2)
	v_ashrrev_i32_e32 v1, 31, v0
	v_ashrrev_i32_e32 v3, 31, v2
	s_waitcnt lgkmcnt(0)
	s_add_u32 s2, s4, s18
	s_addc_u32 s3, s5, s19
	v_cmp_lt_i64_e64 s4, s[16:17], 1
	s_load_b64 s[2:3], s[2:3], 0x0
	s_delay_alu instid0(VALU_DEP_1)
	s_and_b32 vcc_lo, exec_lo, s4
	s_cbranch_vccnz .LBB1435_6
; %bb.1:
	s_clause 0x1
	s_load_b128 s[12:15], s[0:1], 0x30
	s_load_b128 s[8:11], s[0:1], 0x18
	v_lshlrev_b32_e32 v9, 2, v5
	v_lshlrev_b64 v[15:16], 2, v[2:3]
	s_waitcnt lgkmcnt(0)
	v_mad_u64_u32 v[6:7], null, s14, v5, 0
	v_mad_u64_u32 v[13:14], null, s10, v4, 0
	v_lshlrev_b32_e32 v17, 6, v4
	s_add_u32 s4, s12, s18
	s_addc_u32 s5, s13, s19
	s_add_u32 s8, s8, s18
	s_load_b64 s[4:5], s[4:5], 0x0
	s_addc_u32 s9, s9, s19
	s_delay_alu instid0(VALU_DEP_2) | instskip(SKIP_1) | instid1(VALU_DEP_1)
	v_mov_b32_e32 v8, v14
	s_load_b64 s[8:9], s[8:9], 0x0
	v_mad_u64_u32 v[10:11], null, s15, v5, v[7:8]
	v_mad_u64_u32 v[11:12], null, s11, v4, v[8:9]
	s_delay_alu instid0(VALU_DEP_2) | instskip(SKIP_1) | instid1(VALU_DEP_3)
	v_dual_mov_b32 v8, 0 :: v_dual_mov_b32 v7, v10
	v_add_nc_u32_e32 v10, 0x400, v17
	v_dual_mov_b32 v14, v11 :: v_dual_add_nc_u32 v11, v9, v17
	s_delay_alu instid0(VALU_DEP_3) | instskip(SKIP_1) | instid1(VALU_DEP_3)
	v_lshlrev_b64 v[4:5], 2, v[6:7]
	v_lshlrev_b64 v[6:7], 2, v[0:1]
	;; [unrolled: 1-line block ×3, first 2 shown]
	v_add_nc_u32_e32 v12, v10, v9
	s_delay_alu instid0(VALU_DEP_4) | instskip(SKIP_1) | instid1(VALU_DEP_4)
	v_add_co_u32 v4, vcc_lo, v4, v15
	v_add_co_ci_u32_e32 v5, vcc_lo, v5, v16, vcc_lo
	v_add_co_u32 v6, vcc_lo, v13, v6
	v_add_co_ci_u32_e32 v7, vcc_lo, v14, v7, vcc_lo
	s_waitcnt lgkmcnt(0)
	v_add_co_u32 v4, vcc_lo, s4, v4
	v_add_co_ci_u32_e32 v5, vcc_lo, s5, v5, vcc_lo
	v_add_co_u32 v6, vcc_lo, s8, v6
	v_add_co_ci_u32_e32 v7, vcc_lo, s9, v7, vcc_lo
	s_lshl_b64 s[4:5], s[14:15], 6
	s_lshl_b64 s[8:9], s[10:11], 6
	s_mov_b64 s[10:11], 0
.LBB1435_2:                             ; =>This Inner Loop Header: Depth=1
	global_load_b32 v13, v[6:7], off
	global_load_b32 v14, v[4:5], off
	s_add_u32 s10, s10, 16
	v_add_co_u32 v4, vcc_lo, v4, s4
	s_addc_u32 s11, s11, 0
	v_add_co_ci_u32_e32 v5, vcc_lo, s5, v5, vcc_lo
	v_cmp_lt_i64_e64 s12, s[10:11], s[16:17]
	v_add_co_u32 v6, vcc_lo, v6, s8
	v_add_co_ci_u32_e32 v7, vcc_lo, s9, v7, vcc_lo
	s_waitcnt vmcnt(1)
	ds_store_b32 v11, v13
	s_waitcnt vmcnt(0)
	ds_store_b32 v12, v14
	s_waitcnt lgkmcnt(0)
	s_barrier
	buffer_gl0_inv
	ds_load_2addr_b32 v[21:22], v9 offset1:16
	ds_load_b128 v[13:16], v10
	ds_load_2addr_b32 v[23:24], v9 offset0:32 offset1:48
	ds_load_b128 v[17:20], v10 offset:16
	ds_load_2addr_b32 v[25:26], v9 offset0:64 offset1:80
	s_and_b32 vcc_lo, exec_lo, s12
	s_waitcnt lgkmcnt(3)
	v_fmac_f32_e32 v8, v21, v13
	s_delay_alu instid0(VALU_DEP_1) | instskip(SKIP_3) | instid1(VALU_DEP_1)
	v_fmac_f32_e32 v8, v22, v14
	ds_load_2addr_b32 v[21:22], v9 offset0:96 offset1:112
	s_waitcnt lgkmcnt(3)
	v_fmac_f32_e32 v8, v23, v15
	v_fmac_f32_e32 v8, v24, v16
	ds_load_2addr_b32 v[23:24], v9 offset0:128 offset1:144
	ds_load_b128 v[13:16], v10 offset:32
	s_waitcnt lgkmcnt(3)
	v_fmac_f32_e32 v8, v25, v17
	s_delay_alu instid0(VALU_DEP_1) | instskip(SKIP_3) | instid1(VALU_DEP_1)
	v_fmac_f32_e32 v8, v26, v18
	ds_load_2addr_b32 v[25:26], v9 offset0:160 offset1:176
	s_waitcnt lgkmcnt(3)
	v_fmac_f32_e32 v8, v21, v19
	v_fmac_f32_e32 v8, v22, v20
	ds_load_b128 v[17:20], v10 offset:48
	ds_load_2addr_b32 v[21:22], v9 offset0:192 offset1:208
	s_waitcnt lgkmcnt(3)
	v_fmac_f32_e32 v8, v23, v13
	s_delay_alu instid0(VALU_DEP_1)
	v_fmac_f32_e32 v8, v24, v14
	ds_load_2addr_b32 v[13:14], v9 offset0:224 offset1:240
	s_waitcnt lgkmcnt(0)
	s_barrier
	buffer_gl0_inv
	v_fmac_f32_e32 v8, v25, v15
	s_delay_alu instid0(VALU_DEP_1) | instskip(NEXT) | instid1(VALU_DEP_1)
	v_fmac_f32_e32 v8, v26, v16
	v_fmac_f32_e32 v8, v21, v17
	s_delay_alu instid0(VALU_DEP_1) | instskip(NEXT) | instid1(VALU_DEP_1)
	v_fmac_f32_e32 v8, v22, v18
	v_fmac_f32_e32 v8, v13, v19
	s_delay_alu instid0(VALU_DEP_1)
	v_fmac_f32_e32 v8, v14, v20
	s_cbranch_vccnz .LBB1435_2
; %bb.3:
	s_mov_b32 s4, exec_lo
	v_cmpx_le_i32_e64 v0, v2
	s_cbranch_execz .LBB1435_5
.LBB1435_4:
	v_mul_lo_u32 v5, v2, s7
	v_mul_lo_u32 v6, v3, s6
	v_mad_u64_u32 v[3:4], null, v2, s6, 0
	v_lshlrev_b64 v[0:1], 2, v[0:1]
	s_delay_alu instid0(VALU_DEP_2) | instskip(NEXT) | instid1(VALU_DEP_1)
	v_add3_u32 v4, v4, v5, v6
	v_lshlrev_b64 v[2:3], 2, v[3:4]
	s_waitcnt lgkmcnt(0)
	s_delay_alu instid0(VALU_DEP_1) | instskip(NEXT) | instid1(VALU_DEP_2)
	v_add_co_u32 v2, vcc_lo, s2, v2
	v_add_co_ci_u32_e32 v3, vcc_lo, s3, v3, vcc_lo
	s_delay_alu instid0(VALU_DEP_2) | instskip(NEXT) | instid1(VALU_DEP_2)
	v_add_co_u32 v0, vcc_lo, v2, v0
	v_add_co_ci_u32_e32 v1, vcc_lo, v3, v1, vcc_lo
	global_load_b32 v2, v[0:1], off
	s_clause 0x1
	s_load_b32 s2, s[0:1], 0x48
	s_load_b32 s0, s[0:1], 0x10
	s_waitcnt vmcnt(0) lgkmcnt(0)
	v_mul_f32_e32 v2, s2, v2
	s_delay_alu instid0(VALU_DEP_1)
	v_fmac_f32_e32 v2, s0, v8
	global_store_b32 v[0:1], v2, off
.LBB1435_5:
	s_nop 0
	s_sendmsg sendmsg(MSG_DEALLOC_VGPRS)
	s_endpgm
.LBB1435_6:
	v_mov_b32_e32 v8, 0
	s_mov_b32 s4, exec_lo
	v_cmpx_le_i32_e64 v0, v2
	s_cbranch_execnz .LBB1435_4
	s_branch .LBB1435_5
	.section	.rodata,"a",@progbits
	.p2align	6, 0x0
	.amdhsa_kernel _ZL41rocblas_syrkx_herkx_small_restrict_kernelIlfLi16ELb0ELb0ELc78ELc85EKPKfKPfEviT_T0_PT6_S5_lS8_S5_lS6_PT7_S5_li
		.amdhsa_group_segment_fixed_size 2048
		.amdhsa_private_segment_fixed_size 0
		.amdhsa_kernarg_size 108
		.amdhsa_user_sgpr_count 13
		.amdhsa_user_sgpr_dispatch_ptr 0
		.amdhsa_user_sgpr_queue_ptr 0
		.amdhsa_user_sgpr_kernarg_segment_ptr 1
		.amdhsa_user_sgpr_dispatch_id 0
		.amdhsa_user_sgpr_private_segment_size 0
		.amdhsa_wavefront_size32 1
		.amdhsa_uses_dynamic_stack 0
		.amdhsa_enable_private_segment 0
		.amdhsa_system_sgpr_workgroup_id_x 1
		.amdhsa_system_sgpr_workgroup_id_y 1
		.amdhsa_system_sgpr_workgroup_id_z 1
		.amdhsa_system_sgpr_workgroup_info 0
		.amdhsa_system_vgpr_workitem_id 1
		.amdhsa_next_free_vgpr 27
		.amdhsa_next_free_sgpr 20
		.amdhsa_reserve_vcc 1
		.amdhsa_float_round_mode_32 0
		.amdhsa_float_round_mode_16_64 0
		.amdhsa_float_denorm_mode_32 3
		.amdhsa_float_denorm_mode_16_64 3
		.amdhsa_dx10_clamp 1
		.amdhsa_ieee_mode 1
		.amdhsa_fp16_overflow 0
		.amdhsa_workgroup_processor_mode 1
		.amdhsa_memory_ordered 1
		.amdhsa_forward_progress 0
		.amdhsa_shared_vgpr_count 0
		.amdhsa_exception_fp_ieee_invalid_op 0
		.amdhsa_exception_fp_denorm_src 0
		.amdhsa_exception_fp_ieee_div_zero 0
		.amdhsa_exception_fp_ieee_overflow 0
		.amdhsa_exception_fp_ieee_underflow 0
		.amdhsa_exception_fp_ieee_inexact 0
		.amdhsa_exception_int_div_zero 0
	.end_amdhsa_kernel
	.section	.text._ZL41rocblas_syrkx_herkx_small_restrict_kernelIlfLi16ELb0ELb0ELc78ELc85EKPKfKPfEviT_T0_PT6_S5_lS8_S5_lS6_PT7_S5_li,"axG",@progbits,_ZL41rocblas_syrkx_herkx_small_restrict_kernelIlfLi16ELb0ELb0ELc78ELc85EKPKfKPfEviT_T0_PT6_S5_lS8_S5_lS6_PT7_S5_li,comdat
.Lfunc_end1435:
	.size	_ZL41rocblas_syrkx_herkx_small_restrict_kernelIlfLi16ELb0ELb0ELc78ELc85EKPKfKPfEviT_T0_PT6_S5_lS8_S5_lS6_PT7_S5_li, .Lfunc_end1435-_ZL41rocblas_syrkx_herkx_small_restrict_kernelIlfLi16ELb0ELb0ELc78ELc85EKPKfKPfEviT_T0_PT6_S5_lS8_S5_lS6_PT7_S5_li
                                        ; -- End function
	.section	.AMDGPU.csdata,"",@progbits
; Kernel info:
; codeLenInByte = 876
; NumSgprs: 22
; NumVgprs: 27
; ScratchSize: 0
; MemoryBound: 0
; FloatMode: 240
; IeeeMode: 1
; LDSByteSize: 2048 bytes/workgroup (compile time only)
; SGPRBlocks: 2
; VGPRBlocks: 3
; NumSGPRsForWavesPerEU: 22
; NumVGPRsForWavesPerEU: 27
; Occupancy: 16
; WaveLimiterHint : 1
; COMPUTE_PGM_RSRC2:SCRATCH_EN: 0
; COMPUTE_PGM_RSRC2:USER_SGPR: 13
; COMPUTE_PGM_RSRC2:TRAP_HANDLER: 0
; COMPUTE_PGM_RSRC2:TGID_X_EN: 1
; COMPUTE_PGM_RSRC2:TGID_Y_EN: 1
; COMPUTE_PGM_RSRC2:TGID_Z_EN: 1
; COMPUTE_PGM_RSRC2:TIDIG_COMP_CNT: 1
	.section	.text._ZL32rocblas_syrkx_herkx_small_kernelIlfLi16ELb1ELb0ELc84ELc76EKPKfKPfEviT_T0_PT6_S5_lS8_S5_lS6_PT7_S5_li,"axG",@progbits,_ZL32rocblas_syrkx_herkx_small_kernelIlfLi16ELb1ELb0ELc84ELc76EKPKfKPfEviT_T0_PT6_S5_lS8_S5_lS6_PT7_S5_li,comdat
	.globl	_ZL32rocblas_syrkx_herkx_small_kernelIlfLi16ELb1ELb0ELc84ELc76EKPKfKPfEviT_T0_PT6_S5_lS8_S5_lS6_PT7_S5_li ; -- Begin function _ZL32rocblas_syrkx_herkx_small_kernelIlfLi16ELb1ELb0ELc84ELc76EKPKfKPfEviT_T0_PT6_S5_lS8_S5_lS6_PT7_S5_li
	.p2align	8
	.type	_ZL32rocblas_syrkx_herkx_small_kernelIlfLi16ELb1ELb0ELc84ELc76EKPKfKPfEviT_T0_PT6_S5_lS8_S5_lS6_PT7_S5_li,@function
_ZL32rocblas_syrkx_herkx_small_kernelIlfLi16ELb1ELb0ELc84ELc76EKPKfKPfEviT_T0_PT6_S5_lS8_S5_lS6_PT7_S5_li: ; @_ZL32rocblas_syrkx_herkx_small_kernelIlfLi16ELb1ELb0ELc84ELc76EKPKfKPfEviT_T0_PT6_S5_lS8_S5_lS6_PT7_S5_li
; %bb.0:
	s_clause 0x2
	s_load_b128 s[4:7], s[0:1], 0x50
	s_load_b64 s[8:9], s[0:1], 0x8
	s_load_b32 s12, s[0:1], 0x0
	s_mov_b32 s2, s15
	s_mov_b32 s3, 0
	v_and_b32_e32 v9, 0x3ff, v0
	s_lshl_b64 s[10:11], s[2:3], 3
	v_bfe_u32 v10, v0, 10, 10
	s_delay_alu instid0(VALU_DEP_2) | instskip(NEXT) | instid1(VALU_DEP_2)
	v_lshl_add_u32 v0, s13, 4, v9
	v_lshl_add_u32 v6, s14, 4, v10
	s_delay_alu instid0(VALU_DEP_2) | instskip(NEXT) | instid1(VALU_DEP_2)
	v_ashrrev_i32_e32 v1, 31, v0
	v_ashrrev_i32_e32 v7, 31, v6
	s_waitcnt lgkmcnt(0)
	s_add_u32 s2, s4, s10
	s_addc_u32 s3, s5, s11
	s_load_b64 s[4:5], s[2:3], 0x0
	v_cmp_lt_i64_e64 s2, s[8:9], 1
	s_delay_alu instid0(VALU_DEP_1)
	s_and_b32 vcc_lo, exec_lo, s2
	v_cmp_gt_i32_e64 s2, s12, v0
	s_cbranch_vccnz .LBB1436_7
; %bb.1:
	s_clause 0x1
	s_load_b128 s[16:19], s[0:1], 0x30
	s_load_b128 s[20:23], s[0:1], 0x18
	v_dual_mov_b32 v8, 0 :: v_dual_lshlrev_b32 v11, 2, v9
	v_lshlrev_b32_e32 v13, 6, v10
	v_cmp_gt_i32_e64 s3, s12, v6
	s_waitcnt lgkmcnt(0)
	v_mul_lo_u32 v12, s19, v6
	v_mul_lo_u32 v14, s18, v7
	v_mad_u64_u32 v[2:3], null, s18, v6, 0
	s_add_u32 s14, s16, s10
	v_mul_lo_u32 v15, s23, v0
	v_mul_lo_u32 v16, s22, v1
	v_mad_u64_u32 v[4:5], null, s22, v0, 0
	s_addc_u32 s15, s17, s11
	s_add_u32 s10, s20, s10
	s_load_b64 s[14:15], s[14:15], 0x0
	s_addc_u32 s11, s21, s11
	v_add3_u32 v3, v3, v14, v12
	s_load_b64 s[10:11], s[10:11], 0x0
	s_delay_alu instid0(VALU_DEP_2)
	v_add3_u32 v5, v5, v16, v15
	v_lshlrev_b32_e32 v15, 2, v10
	v_add_nc_u32_e32 v12, 0x400, v13
	v_lshlrev_b64 v[2:3], 2, v[2:3]
	v_add_nc_u32_e32 v13, v11, v13
	v_lshlrev_b64 v[4:5], 2, v[4:5]
	s_delay_alu instid0(VALU_DEP_4) | instskip(NEXT) | instid1(VALU_DEP_4)
	v_add_nc_u32_e32 v14, v12, v11
	v_add_co_u32 v2, vcc_lo, v2, v11
	v_add_co_ci_u32_e32 v3, vcc_lo, 0, v3, vcc_lo
	s_delay_alu instid0(VALU_DEP_4)
	v_add_co_u32 v4, vcc_lo, v4, v15
	v_add_co_ci_u32_e32 v5, vcc_lo, 0, v5, vcc_lo
	s_waitcnt lgkmcnt(0)
	v_add_co_u32 v2, vcc_lo, s14, v2
	v_add_co_ci_u32_e32 v3, vcc_lo, s15, v3, vcc_lo
	v_add_co_u32 v4, vcc_lo, s10, v4
	v_add_co_ci_u32_e32 v5, vcc_lo, s11, v5, vcc_lo
	s_mov_b64 s[10:11], 0
	s_branch .LBB1436_3
.LBB1436_2:                             ;   in Loop: Header=BB1436_3 Depth=1
	s_or_b32 exec_lo, exec_lo, s13
	s_waitcnt vmcnt(0)
	ds_store_b32 v14, v16
	s_waitcnt lgkmcnt(0)
	s_barrier
	buffer_gl0_inv
	ds_load_2addr_b32 v[23:24], v11 offset1:16
	ds_load_b128 v[15:18], v12
	ds_load_2addr_b32 v[25:26], v11 offset0:32 offset1:48
	ds_load_b128 v[19:22], v12 offset:16
	ds_load_2addr_b32 v[27:28], v11 offset0:64 offset1:80
	s_add_u32 s10, s10, 16
	s_addc_u32 s11, s11, 0
	v_add_co_u32 v2, vcc_lo, v2, 64
	v_add_co_ci_u32_e32 v3, vcc_lo, 0, v3, vcc_lo
	v_cmp_ge_i64_e64 s13, s[10:11], s[8:9]
	v_add_co_u32 v4, vcc_lo, v4, 64
	v_add_co_ci_u32_e32 v5, vcc_lo, 0, v5, vcc_lo
	s_delay_alu instid0(VALU_DEP_3) | instskip(SKIP_2) | instid1(VALU_DEP_1)
	s_and_b32 vcc_lo, exec_lo, s13
	s_waitcnt lgkmcnt(3)
	v_fmac_f32_e32 v8, v23, v15
	v_fmac_f32_e32 v8, v24, v16
	ds_load_2addr_b32 v[23:24], v11 offset0:96 offset1:112
	s_waitcnt lgkmcnt(3)
	v_fmac_f32_e32 v8, v25, v17
	s_delay_alu instid0(VALU_DEP_1) | instskip(SKIP_4) | instid1(VALU_DEP_1)
	v_fmac_f32_e32 v8, v26, v18
	ds_load_2addr_b32 v[25:26], v11 offset0:128 offset1:144
	ds_load_b128 v[15:18], v12 offset:32
	s_waitcnt lgkmcnt(3)
	v_fmac_f32_e32 v8, v27, v19
	v_fmac_f32_e32 v8, v28, v20
	ds_load_2addr_b32 v[27:28], v11 offset0:160 offset1:176
	s_waitcnt lgkmcnt(3)
	v_fmac_f32_e32 v8, v23, v21
	s_delay_alu instid0(VALU_DEP_1) | instskip(SKIP_4) | instid1(VALU_DEP_1)
	v_fmac_f32_e32 v8, v24, v22
	ds_load_b128 v[19:22], v12 offset:48
	ds_load_2addr_b32 v[23:24], v11 offset0:192 offset1:208
	s_waitcnt lgkmcnt(3)
	v_fmac_f32_e32 v8, v25, v15
	v_fmac_f32_e32 v8, v26, v16
	ds_load_2addr_b32 v[15:16], v11 offset0:224 offset1:240
	s_waitcnt lgkmcnt(0)
	s_barrier
	buffer_gl0_inv
	v_fmac_f32_e32 v8, v27, v17
	s_delay_alu instid0(VALU_DEP_1) | instskip(NEXT) | instid1(VALU_DEP_1)
	v_fmac_f32_e32 v8, v28, v18
	v_fmac_f32_e32 v8, v23, v19
	s_delay_alu instid0(VALU_DEP_1) | instskip(NEXT) | instid1(VALU_DEP_1)
	v_fmac_f32_e32 v8, v24, v20
	v_fmac_f32_e32 v8, v15, v21
	s_delay_alu instid0(VALU_DEP_1)
	v_fmac_f32_e32 v8, v16, v22
	s_cbranch_vccnz .LBB1436_8
.LBB1436_3:                             ; =>This Inner Loop Header: Depth=1
	v_add_co_u32 v15, s13, v10, s10
	s_delay_alu instid0(VALU_DEP_1) | instskip(NEXT) | instid1(VALU_DEP_1)
	v_add_co_ci_u32_e64 v16, null, 0, s11, s13
	v_cmp_gt_i64_e32 vcc_lo, s[8:9], v[15:16]
	v_mov_b32_e32 v15, 0
	s_and_b32 s14, s2, vcc_lo
	s_delay_alu instid0(SALU_CYCLE_1)
	s_and_saveexec_b32 s13, s14
	s_cbranch_execz .LBB1436_5
; %bb.4:                                ;   in Loop: Header=BB1436_3 Depth=1
	global_load_b32 v15, v[4:5], off
.LBB1436_5:                             ;   in Loop: Header=BB1436_3 Depth=1
	s_or_b32 exec_lo, exec_lo, s13
	v_add_co_u32 v16, s13, v9, s10
	s_delay_alu instid0(VALU_DEP_1)
	v_add_co_ci_u32_e64 v17, null, 0, s11, s13
	s_waitcnt vmcnt(0)
	ds_store_b32 v13, v15
	v_cmp_gt_i64_e32 vcc_lo, s[8:9], v[16:17]
	v_mov_b32_e32 v16, 0
	s_and_b32 s14, s3, vcc_lo
	s_delay_alu instid0(SALU_CYCLE_1)
	s_and_saveexec_b32 s13, s14
	s_cbranch_execz .LBB1436_2
; %bb.6:                                ;   in Loop: Header=BB1436_3 Depth=1
	global_load_b32 v16, v[2:3], off
	s_branch .LBB1436_2
.LBB1436_7:
	v_mov_b32_e32 v8, 0
.LBB1436_8:
	v_cmp_le_i32_e32 vcc_lo, v6, v0
	v_cmp_gt_i32_e64 s2, s12, v0
	s_delay_alu instid0(VALU_DEP_1) | instskip(NEXT) | instid1(SALU_CYCLE_1)
	s_and_b32 s2, vcc_lo, s2
	s_and_saveexec_b32 s3, s2
	s_cbranch_execz .LBB1436_10
; %bb.9:
	v_mul_lo_u32 v4, v6, s7
	v_mul_lo_u32 v5, v7, s6
	v_mad_u64_u32 v[2:3], null, v6, s6, 0
	s_load_b32 s0, s[0:1], 0x10
	v_lshlrev_b64 v[0:1], 2, v[0:1]
	s_delay_alu instid0(VALU_DEP_2) | instskip(NEXT) | instid1(VALU_DEP_1)
	v_add3_u32 v3, v3, v4, v5
	v_lshlrev_b64 v[2:3], 2, v[2:3]
	s_waitcnt lgkmcnt(0)
	s_delay_alu instid0(VALU_DEP_1) | instskip(NEXT) | instid1(VALU_DEP_2)
	v_add_co_u32 v2, vcc_lo, s4, v2
	v_add_co_ci_u32_e32 v3, vcc_lo, s5, v3, vcc_lo
	v_mul_f32_e32 v4, s0, v8
	s_delay_alu instid0(VALU_DEP_3) | instskip(NEXT) | instid1(VALU_DEP_3)
	v_add_co_u32 v0, vcc_lo, v2, v0
	v_add_co_ci_u32_e32 v1, vcc_lo, v3, v1, vcc_lo
	global_store_b32 v[0:1], v4, off
.LBB1436_10:
	s_nop 0
	s_sendmsg sendmsg(MSG_DEALLOC_VGPRS)
	s_endpgm
	.section	.rodata,"a",@progbits
	.p2align	6, 0x0
	.amdhsa_kernel _ZL32rocblas_syrkx_herkx_small_kernelIlfLi16ELb1ELb0ELc84ELc76EKPKfKPfEviT_T0_PT6_S5_lS8_S5_lS6_PT7_S5_li
		.amdhsa_group_segment_fixed_size 2048
		.amdhsa_private_segment_fixed_size 0
		.amdhsa_kernarg_size 108
		.amdhsa_user_sgpr_count 13
		.amdhsa_user_sgpr_dispatch_ptr 0
		.amdhsa_user_sgpr_queue_ptr 0
		.amdhsa_user_sgpr_kernarg_segment_ptr 1
		.amdhsa_user_sgpr_dispatch_id 0
		.amdhsa_user_sgpr_private_segment_size 0
		.amdhsa_wavefront_size32 1
		.amdhsa_uses_dynamic_stack 0
		.amdhsa_enable_private_segment 0
		.amdhsa_system_sgpr_workgroup_id_x 1
		.amdhsa_system_sgpr_workgroup_id_y 1
		.amdhsa_system_sgpr_workgroup_id_z 1
		.amdhsa_system_sgpr_workgroup_info 0
		.amdhsa_system_vgpr_workitem_id 1
		.amdhsa_next_free_vgpr 29
		.amdhsa_next_free_sgpr 24
		.amdhsa_reserve_vcc 1
		.amdhsa_float_round_mode_32 0
		.amdhsa_float_round_mode_16_64 0
		.amdhsa_float_denorm_mode_32 3
		.amdhsa_float_denorm_mode_16_64 3
		.amdhsa_dx10_clamp 1
		.amdhsa_ieee_mode 1
		.amdhsa_fp16_overflow 0
		.amdhsa_workgroup_processor_mode 1
		.amdhsa_memory_ordered 1
		.amdhsa_forward_progress 0
		.amdhsa_shared_vgpr_count 0
		.amdhsa_exception_fp_ieee_invalid_op 0
		.amdhsa_exception_fp_denorm_src 0
		.amdhsa_exception_fp_ieee_div_zero 0
		.amdhsa_exception_fp_ieee_overflow 0
		.amdhsa_exception_fp_ieee_underflow 0
		.amdhsa_exception_fp_ieee_inexact 0
		.amdhsa_exception_int_div_zero 0
	.end_amdhsa_kernel
	.section	.text._ZL32rocblas_syrkx_herkx_small_kernelIlfLi16ELb1ELb0ELc84ELc76EKPKfKPfEviT_T0_PT6_S5_lS8_S5_lS6_PT7_S5_li,"axG",@progbits,_ZL32rocblas_syrkx_herkx_small_kernelIlfLi16ELb1ELb0ELc84ELc76EKPKfKPfEviT_T0_PT6_S5_lS8_S5_lS6_PT7_S5_li,comdat
.Lfunc_end1436:
	.size	_ZL32rocblas_syrkx_herkx_small_kernelIlfLi16ELb1ELb0ELc84ELc76EKPKfKPfEviT_T0_PT6_S5_lS8_S5_lS6_PT7_S5_li, .Lfunc_end1436-_ZL32rocblas_syrkx_herkx_small_kernelIlfLi16ELb1ELb0ELc84ELc76EKPKfKPfEviT_T0_PT6_S5_lS8_S5_lS6_PT7_S5_li
                                        ; -- End function
	.section	.AMDGPU.csdata,"",@progbits
; Kernel info:
; codeLenInByte = 960
; NumSgprs: 26
; NumVgprs: 29
; ScratchSize: 0
; MemoryBound: 0
; FloatMode: 240
; IeeeMode: 1
; LDSByteSize: 2048 bytes/workgroup (compile time only)
; SGPRBlocks: 3
; VGPRBlocks: 3
; NumSGPRsForWavesPerEU: 26
; NumVGPRsForWavesPerEU: 29
; Occupancy: 16
; WaveLimiterHint : 1
; COMPUTE_PGM_RSRC2:SCRATCH_EN: 0
; COMPUTE_PGM_RSRC2:USER_SGPR: 13
; COMPUTE_PGM_RSRC2:TRAP_HANDLER: 0
; COMPUTE_PGM_RSRC2:TGID_X_EN: 1
; COMPUTE_PGM_RSRC2:TGID_Y_EN: 1
; COMPUTE_PGM_RSRC2:TGID_Z_EN: 1
; COMPUTE_PGM_RSRC2:TIDIG_COMP_CNT: 1
	.section	.text._ZL32rocblas_syrkx_herkx_small_kernelIlfLi16ELb1ELb0ELc67ELc76EKPKfKPfEviT_T0_PT6_S5_lS8_S5_lS6_PT7_S5_li,"axG",@progbits,_ZL32rocblas_syrkx_herkx_small_kernelIlfLi16ELb1ELb0ELc67ELc76EKPKfKPfEviT_T0_PT6_S5_lS8_S5_lS6_PT7_S5_li,comdat
	.globl	_ZL32rocblas_syrkx_herkx_small_kernelIlfLi16ELb1ELb0ELc67ELc76EKPKfKPfEviT_T0_PT6_S5_lS8_S5_lS6_PT7_S5_li ; -- Begin function _ZL32rocblas_syrkx_herkx_small_kernelIlfLi16ELb1ELb0ELc67ELc76EKPKfKPfEviT_T0_PT6_S5_lS8_S5_lS6_PT7_S5_li
	.p2align	8
	.type	_ZL32rocblas_syrkx_herkx_small_kernelIlfLi16ELb1ELb0ELc67ELc76EKPKfKPfEviT_T0_PT6_S5_lS8_S5_lS6_PT7_S5_li,@function
_ZL32rocblas_syrkx_herkx_small_kernelIlfLi16ELb1ELb0ELc67ELc76EKPKfKPfEviT_T0_PT6_S5_lS8_S5_lS6_PT7_S5_li: ; @_ZL32rocblas_syrkx_herkx_small_kernelIlfLi16ELb1ELb0ELc67ELc76EKPKfKPfEviT_T0_PT6_S5_lS8_S5_lS6_PT7_S5_li
; %bb.0:
	s_clause 0x2
	s_load_b128 s[4:7], s[0:1], 0x50
	s_load_b64 s[8:9], s[0:1], 0x8
	s_load_b32 s12, s[0:1], 0x0
	s_mov_b32 s2, s15
	s_mov_b32 s3, 0
	v_and_b32_e32 v9, 0x3ff, v0
	s_lshl_b64 s[10:11], s[2:3], 3
	v_bfe_u32 v10, v0, 10, 10
	s_delay_alu instid0(VALU_DEP_2) | instskip(NEXT) | instid1(VALU_DEP_2)
	v_lshl_add_u32 v0, s13, 4, v9
	v_lshl_add_u32 v6, s14, 4, v10
	s_delay_alu instid0(VALU_DEP_2) | instskip(NEXT) | instid1(VALU_DEP_2)
	v_ashrrev_i32_e32 v1, 31, v0
	v_ashrrev_i32_e32 v7, 31, v6
	s_waitcnt lgkmcnt(0)
	s_add_u32 s2, s4, s10
	s_addc_u32 s3, s5, s11
	s_load_b64 s[4:5], s[2:3], 0x0
	v_cmp_lt_i64_e64 s2, s[8:9], 1
	s_delay_alu instid0(VALU_DEP_1)
	s_and_b32 vcc_lo, exec_lo, s2
	v_cmp_gt_i32_e64 s2, s12, v0
	s_cbranch_vccnz .LBB1437_7
; %bb.1:
	s_clause 0x1
	s_load_b128 s[16:19], s[0:1], 0x30
	s_load_b128 s[20:23], s[0:1], 0x18
	v_dual_mov_b32 v8, 0 :: v_dual_lshlrev_b32 v11, 2, v9
	v_lshlrev_b32_e32 v13, 6, v10
	v_cmp_gt_i32_e64 s3, s12, v6
	s_waitcnt lgkmcnt(0)
	v_mul_lo_u32 v12, s19, v6
	v_mul_lo_u32 v14, s18, v7
	v_mad_u64_u32 v[2:3], null, s18, v6, 0
	s_add_u32 s14, s16, s10
	v_mul_lo_u32 v15, s23, v0
	v_mul_lo_u32 v16, s22, v1
	v_mad_u64_u32 v[4:5], null, s22, v0, 0
	s_addc_u32 s15, s17, s11
	s_add_u32 s10, s20, s10
	s_load_b64 s[14:15], s[14:15], 0x0
	s_addc_u32 s11, s21, s11
	v_add3_u32 v3, v3, v14, v12
	s_load_b64 s[10:11], s[10:11], 0x0
	s_delay_alu instid0(VALU_DEP_2)
	v_add3_u32 v5, v5, v16, v15
	v_lshlrev_b32_e32 v15, 2, v10
	v_add_nc_u32_e32 v12, 0x400, v13
	v_lshlrev_b64 v[2:3], 2, v[2:3]
	v_add_nc_u32_e32 v13, v11, v13
	v_lshlrev_b64 v[4:5], 2, v[4:5]
	s_delay_alu instid0(VALU_DEP_4) | instskip(NEXT) | instid1(VALU_DEP_4)
	v_add_nc_u32_e32 v14, v12, v11
	v_add_co_u32 v2, vcc_lo, v2, v11
	v_add_co_ci_u32_e32 v3, vcc_lo, 0, v3, vcc_lo
	s_delay_alu instid0(VALU_DEP_4)
	v_add_co_u32 v4, vcc_lo, v4, v15
	v_add_co_ci_u32_e32 v5, vcc_lo, 0, v5, vcc_lo
	s_waitcnt lgkmcnt(0)
	v_add_co_u32 v2, vcc_lo, s14, v2
	v_add_co_ci_u32_e32 v3, vcc_lo, s15, v3, vcc_lo
	v_add_co_u32 v4, vcc_lo, s10, v4
	v_add_co_ci_u32_e32 v5, vcc_lo, s11, v5, vcc_lo
	s_mov_b64 s[10:11], 0
	s_branch .LBB1437_3
.LBB1437_2:                             ;   in Loop: Header=BB1437_3 Depth=1
	s_or_b32 exec_lo, exec_lo, s13
	s_waitcnt vmcnt(0)
	ds_store_b32 v14, v16
	s_waitcnt lgkmcnt(0)
	s_barrier
	buffer_gl0_inv
	ds_load_2addr_b32 v[23:24], v11 offset1:16
	ds_load_b128 v[15:18], v12
	ds_load_2addr_b32 v[25:26], v11 offset0:32 offset1:48
	ds_load_b128 v[19:22], v12 offset:16
	ds_load_2addr_b32 v[27:28], v11 offset0:64 offset1:80
	s_add_u32 s10, s10, 16
	s_addc_u32 s11, s11, 0
	v_add_co_u32 v2, vcc_lo, v2, 64
	v_add_co_ci_u32_e32 v3, vcc_lo, 0, v3, vcc_lo
	v_cmp_ge_i64_e64 s13, s[10:11], s[8:9]
	v_add_co_u32 v4, vcc_lo, v4, 64
	v_add_co_ci_u32_e32 v5, vcc_lo, 0, v5, vcc_lo
	s_delay_alu instid0(VALU_DEP_3) | instskip(SKIP_2) | instid1(VALU_DEP_1)
	s_and_b32 vcc_lo, exec_lo, s13
	s_waitcnt lgkmcnt(3)
	v_fmac_f32_e32 v8, v23, v15
	v_fmac_f32_e32 v8, v24, v16
	ds_load_2addr_b32 v[23:24], v11 offset0:96 offset1:112
	s_waitcnt lgkmcnt(3)
	v_fmac_f32_e32 v8, v25, v17
	s_delay_alu instid0(VALU_DEP_1) | instskip(SKIP_4) | instid1(VALU_DEP_1)
	v_fmac_f32_e32 v8, v26, v18
	ds_load_2addr_b32 v[25:26], v11 offset0:128 offset1:144
	ds_load_b128 v[15:18], v12 offset:32
	s_waitcnt lgkmcnt(3)
	v_fmac_f32_e32 v8, v27, v19
	v_fmac_f32_e32 v8, v28, v20
	ds_load_2addr_b32 v[27:28], v11 offset0:160 offset1:176
	s_waitcnt lgkmcnt(3)
	v_fmac_f32_e32 v8, v23, v21
	s_delay_alu instid0(VALU_DEP_1) | instskip(SKIP_4) | instid1(VALU_DEP_1)
	v_fmac_f32_e32 v8, v24, v22
	ds_load_b128 v[19:22], v12 offset:48
	ds_load_2addr_b32 v[23:24], v11 offset0:192 offset1:208
	s_waitcnt lgkmcnt(3)
	v_fmac_f32_e32 v8, v25, v15
	v_fmac_f32_e32 v8, v26, v16
	ds_load_2addr_b32 v[15:16], v11 offset0:224 offset1:240
	s_waitcnt lgkmcnt(0)
	s_barrier
	buffer_gl0_inv
	v_fmac_f32_e32 v8, v27, v17
	s_delay_alu instid0(VALU_DEP_1) | instskip(NEXT) | instid1(VALU_DEP_1)
	v_fmac_f32_e32 v8, v28, v18
	v_fmac_f32_e32 v8, v23, v19
	s_delay_alu instid0(VALU_DEP_1) | instskip(NEXT) | instid1(VALU_DEP_1)
	v_fmac_f32_e32 v8, v24, v20
	v_fmac_f32_e32 v8, v15, v21
	s_delay_alu instid0(VALU_DEP_1)
	v_fmac_f32_e32 v8, v16, v22
	s_cbranch_vccnz .LBB1437_8
.LBB1437_3:                             ; =>This Inner Loop Header: Depth=1
	v_add_co_u32 v15, s13, v10, s10
	s_delay_alu instid0(VALU_DEP_1) | instskip(NEXT) | instid1(VALU_DEP_1)
	v_add_co_ci_u32_e64 v16, null, 0, s11, s13
	v_cmp_gt_i64_e32 vcc_lo, s[8:9], v[15:16]
	v_mov_b32_e32 v15, 0
	s_and_b32 s14, s2, vcc_lo
	s_delay_alu instid0(SALU_CYCLE_1)
	s_and_saveexec_b32 s13, s14
	s_cbranch_execz .LBB1437_5
; %bb.4:                                ;   in Loop: Header=BB1437_3 Depth=1
	global_load_b32 v15, v[4:5], off
.LBB1437_5:                             ;   in Loop: Header=BB1437_3 Depth=1
	s_or_b32 exec_lo, exec_lo, s13
	v_add_co_u32 v16, s13, v9, s10
	s_delay_alu instid0(VALU_DEP_1)
	v_add_co_ci_u32_e64 v17, null, 0, s11, s13
	s_waitcnt vmcnt(0)
	ds_store_b32 v13, v15
	v_cmp_gt_i64_e32 vcc_lo, s[8:9], v[16:17]
	v_mov_b32_e32 v16, 0
	s_and_b32 s14, s3, vcc_lo
	s_delay_alu instid0(SALU_CYCLE_1)
	s_and_saveexec_b32 s13, s14
	s_cbranch_execz .LBB1437_2
; %bb.6:                                ;   in Loop: Header=BB1437_3 Depth=1
	global_load_b32 v16, v[2:3], off
	s_branch .LBB1437_2
.LBB1437_7:
	v_mov_b32_e32 v8, 0
.LBB1437_8:
	v_cmp_le_i32_e32 vcc_lo, v6, v0
	v_cmp_gt_i32_e64 s2, s12, v0
	s_delay_alu instid0(VALU_DEP_1) | instskip(NEXT) | instid1(SALU_CYCLE_1)
	s_and_b32 s2, vcc_lo, s2
	s_and_saveexec_b32 s3, s2
	s_cbranch_execz .LBB1437_10
; %bb.9:
	v_mul_lo_u32 v4, v6, s7
	v_mul_lo_u32 v5, v7, s6
	v_mad_u64_u32 v[2:3], null, v6, s6, 0
	s_load_b32 s0, s[0:1], 0x10
	v_lshlrev_b64 v[0:1], 2, v[0:1]
	s_delay_alu instid0(VALU_DEP_2) | instskip(NEXT) | instid1(VALU_DEP_1)
	v_add3_u32 v3, v3, v4, v5
	v_lshlrev_b64 v[2:3], 2, v[2:3]
	s_waitcnt lgkmcnt(0)
	s_delay_alu instid0(VALU_DEP_1) | instskip(NEXT) | instid1(VALU_DEP_2)
	v_add_co_u32 v2, vcc_lo, s4, v2
	v_add_co_ci_u32_e32 v3, vcc_lo, s5, v3, vcc_lo
	v_mul_f32_e32 v4, s0, v8
	s_delay_alu instid0(VALU_DEP_3) | instskip(NEXT) | instid1(VALU_DEP_3)
	v_add_co_u32 v0, vcc_lo, v2, v0
	v_add_co_ci_u32_e32 v1, vcc_lo, v3, v1, vcc_lo
	global_store_b32 v[0:1], v4, off
.LBB1437_10:
	s_nop 0
	s_sendmsg sendmsg(MSG_DEALLOC_VGPRS)
	s_endpgm
	.section	.rodata,"a",@progbits
	.p2align	6, 0x0
	.amdhsa_kernel _ZL32rocblas_syrkx_herkx_small_kernelIlfLi16ELb1ELb0ELc67ELc76EKPKfKPfEviT_T0_PT6_S5_lS8_S5_lS6_PT7_S5_li
		.amdhsa_group_segment_fixed_size 2048
		.amdhsa_private_segment_fixed_size 0
		.amdhsa_kernarg_size 108
		.amdhsa_user_sgpr_count 13
		.amdhsa_user_sgpr_dispatch_ptr 0
		.amdhsa_user_sgpr_queue_ptr 0
		.amdhsa_user_sgpr_kernarg_segment_ptr 1
		.amdhsa_user_sgpr_dispatch_id 0
		.amdhsa_user_sgpr_private_segment_size 0
		.amdhsa_wavefront_size32 1
		.amdhsa_uses_dynamic_stack 0
		.amdhsa_enable_private_segment 0
		.amdhsa_system_sgpr_workgroup_id_x 1
		.amdhsa_system_sgpr_workgroup_id_y 1
		.amdhsa_system_sgpr_workgroup_id_z 1
		.amdhsa_system_sgpr_workgroup_info 0
		.amdhsa_system_vgpr_workitem_id 1
		.amdhsa_next_free_vgpr 29
		.amdhsa_next_free_sgpr 24
		.amdhsa_reserve_vcc 1
		.amdhsa_float_round_mode_32 0
		.amdhsa_float_round_mode_16_64 0
		.amdhsa_float_denorm_mode_32 3
		.amdhsa_float_denorm_mode_16_64 3
		.amdhsa_dx10_clamp 1
		.amdhsa_ieee_mode 1
		.amdhsa_fp16_overflow 0
		.amdhsa_workgroup_processor_mode 1
		.amdhsa_memory_ordered 1
		.amdhsa_forward_progress 0
		.amdhsa_shared_vgpr_count 0
		.amdhsa_exception_fp_ieee_invalid_op 0
		.amdhsa_exception_fp_denorm_src 0
		.amdhsa_exception_fp_ieee_div_zero 0
		.amdhsa_exception_fp_ieee_overflow 0
		.amdhsa_exception_fp_ieee_underflow 0
		.amdhsa_exception_fp_ieee_inexact 0
		.amdhsa_exception_int_div_zero 0
	.end_amdhsa_kernel
	.section	.text._ZL32rocblas_syrkx_herkx_small_kernelIlfLi16ELb1ELb0ELc67ELc76EKPKfKPfEviT_T0_PT6_S5_lS8_S5_lS6_PT7_S5_li,"axG",@progbits,_ZL32rocblas_syrkx_herkx_small_kernelIlfLi16ELb1ELb0ELc67ELc76EKPKfKPfEviT_T0_PT6_S5_lS8_S5_lS6_PT7_S5_li,comdat
.Lfunc_end1437:
	.size	_ZL32rocblas_syrkx_herkx_small_kernelIlfLi16ELb1ELb0ELc67ELc76EKPKfKPfEviT_T0_PT6_S5_lS8_S5_lS6_PT7_S5_li, .Lfunc_end1437-_ZL32rocblas_syrkx_herkx_small_kernelIlfLi16ELb1ELb0ELc67ELc76EKPKfKPfEviT_T0_PT6_S5_lS8_S5_lS6_PT7_S5_li
                                        ; -- End function
	.section	.AMDGPU.csdata,"",@progbits
; Kernel info:
; codeLenInByte = 960
; NumSgprs: 26
; NumVgprs: 29
; ScratchSize: 0
; MemoryBound: 0
; FloatMode: 240
; IeeeMode: 1
; LDSByteSize: 2048 bytes/workgroup (compile time only)
; SGPRBlocks: 3
; VGPRBlocks: 3
; NumSGPRsForWavesPerEU: 26
; NumVGPRsForWavesPerEU: 29
; Occupancy: 16
; WaveLimiterHint : 1
; COMPUTE_PGM_RSRC2:SCRATCH_EN: 0
; COMPUTE_PGM_RSRC2:USER_SGPR: 13
; COMPUTE_PGM_RSRC2:TRAP_HANDLER: 0
; COMPUTE_PGM_RSRC2:TGID_X_EN: 1
; COMPUTE_PGM_RSRC2:TGID_Y_EN: 1
; COMPUTE_PGM_RSRC2:TGID_Z_EN: 1
; COMPUTE_PGM_RSRC2:TIDIG_COMP_CNT: 1
	.section	.text._ZL32rocblas_syrkx_herkx_small_kernelIlfLi16ELb1ELb0ELc78ELc76EKPKfKPfEviT_T0_PT6_S5_lS8_S5_lS6_PT7_S5_li,"axG",@progbits,_ZL32rocblas_syrkx_herkx_small_kernelIlfLi16ELb1ELb0ELc78ELc76EKPKfKPfEviT_T0_PT6_S5_lS8_S5_lS6_PT7_S5_li,comdat
	.globl	_ZL32rocblas_syrkx_herkx_small_kernelIlfLi16ELb1ELb0ELc78ELc76EKPKfKPfEviT_T0_PT6_S5_lS8_S5_lS6_PT7_S5_li ; -- Begin function _ZL32rocblas_syrkx_herkx_small_kernelIlfLi16ELb1ELb0ELc78ELc76EKPKfKPfEviT_T0_PT6_S5_lS8_S5_lS6_PT7_S5_li
	.p2align	8
	.type	_ZL32rocblas_syrkx_herkx_small_kernelIlfLi16ELb1ELb0ELc78ELc76EKPKfKPfEviT_T0_PT6_S5_lS8_S5_lS6_PT7_S5_li,@function
_ZL32rocblas_syrkx_herkx_small_kernelIlfLi16ELb1ELb0ELc78ELc76EKPKfKPfEviT_T0_PT6_S5_lS8_S5_lS6_PT7_S5_li: ; @_ZL32rocblas_syrkx_herkx_small_kernelIlfLi16ELb1ELb0ELc78ELc76EKPKfKPfEviT_T0_PT6_S5_lS8_S5_lS6_PT7_S5_li
; %bb.0:
	s_clause 0x2
	s_load_b128 s[4:7], s[0:1], 0x50
	s_load_b64 s[16:17], s[0:1], 0x8
	s_load_b32 s20, s[0:1], 0x0
	s_mov_b32 s2, s15
	s_mov_b32 s3, 0
	v_and_b32_e32 v8, 0x3ff, v0
	s_lshl_b64 s[18:19], s[2:3], 3
	v_bfe_u32 v9, v0, 10, 10
	s_delay_alu instid0(VALU_DEP_2) | instskip(NEXT) | instid1(VALU_DEP_2)
	v_lshl_add_u32 v0, s13, 4, v8
	v_lshl_add_u32 v2, s14, 4, v9
	s_delay_alu instid0(VALU_DEP_2) | instskip(NEXT) | instid1(VALU_DEP_2)
	v_ashrrev_i32_e32 v1, 31, v0
	v_ashrrev_i32_e32 v3, 31, v2
	s_waitcnt lgkmcnt(0)
	s_add_u32 s2, s4, s18
	s_addc_u32 s3, s5, s19
	s_load_b64 s[4:5], s[2:3], 0x0
	v_cmp_lt_i64_e64 s2, s[16:17], 1
	s_delay_alu instid0(VALU_DEP_1)
	s_and_b32 vcc_lo, exec_lo, s2
	v_cmp_gt_i32_e64 s2, s20, v0
	s_cbranch_vccnz .LBB1438_7
; %bb.1:
	s_clause 0x1
	s_load_b128 s[12:15], s[0:1], 0x30
	s_load_b128 s[8:11], s[0:1], 0x18
	v_dual_mov_b32 v10, 0 :: v_dual_lshlrev_b32 v19, 6, v9
	v_lshlrev_b32_e32 v11, 2, v8
	v_lshlrev_b64 v[15:16], 2, v[2:3]
	v_lshlrev_b64 v[17:18], 2, v[0:1]
	v_cmp_gt_i32_e64 s3, s20, v2
	s_waitcnt lgkmcnt(0)
	v_mad_u64_u32 v[4:5], null, s14, v8, 0
	v_mad_u64_u32 v[6:7], null, s10, v9, 0
	s_add_u32 s12, s12, s18
	s_addc_u32 s13, s13, s19
	s_add_u32 s8, s8, s18
	s_load_b64 s[12:13], s[12:13], 0x0
	s_addc_u32 s9, s9, s19
	s_delay_alu instid0(VALU_DEP_1) | instskip(NEXT) | instid1(VALU_DEP_2)
	v_mad_u64_u32 v[12:13], null, s15, v8, v[5:6]
	v_mad_u64_u32 v[13:14], null, s11, v9, v[7:8]
	s_load_b64 s[8:9], s[8:9], 0x0
	s_lshl_b64 s[10:11], s[10:11], 6
	s_delay_alu instid0(VALU_DEP_2) | instskip(NEXT) | instid1(VALU_DEP_2)
	v_dual_mov_b32 v5, v12 :: v_dual_add_nc_u32 v12, 0x400, v19
	v_mov_b32_e32 v7, v13
	v_add_nc_u32_e32 v13, v11, v19
	s_delay_alu instid0(VALU_DEP_3) | instskip(NEXT) | instid1(VALU_DEP_4)
	v_lshlrev_b64 v[4:5], 2, v[4:5]
	v_add_nc_u32_e32 v14, v12, v11
	s_delay_alu instid0(VALU_DEP_4) | instskip(NEXT) | instid1(VALU_DEP_3)
	v_lshlrev_b64 v[6:7], 2, v[6:7]
	v_add_co_u32 v4, vcc_lo, v4, v15
	s_delay_alu instid0(VALU_DEP_4) | instskip(NEXT) | instid1(VALU_DEP_3)
	v_add_co_ci_u32_e32 v5, vcc_lo, v5, v16, vcc_lo
	v_add_co_u32 v6, vcc_lo, v6, v17
	s_delay_alu instid0(VALU_DEP_4)
	v_add_co_ci_u32_e32 v7, vcc_lo, v7, v18, vcc_lo
	s_waitcnt lgkmcnt(0)
	v_add_co_u32 v4, vcc_lo, s12, v4
	v_add_co_ci_u32_e32 v5, vcc_lo, s13, v5, vcc_lo
	v_add_co_u32 v6, vcc_lo, s8, v6
	v_add_co_ci_u32_e32 v7, vcc_lo, s9, v7, vcc_lo
	s_lshl_b64 s[8:9], s[14:15], 6
	s_mov_b64 s[12:13], 0
	s_branch .LBB1438_3
.LBB1438_2:                             ;   in Loop: Header=BB1438_3 Depth=1
	s_or_b32 exec_lo, exec_lo, s14
	s_waitcnt vmcnt(0)
	ds_store_b32 v14, v16
	s_waitcnt lgkmcnt(0)
	s_barrier
	buffer_gl0_inv
	ds_load_2addr_b32 v[23:24], v11 offset1:16
	ds_load_b128 v[15:18], v12
	ds_load_2addr_b32 v[25:26], v11 offset0:32 offset1:48
	ds_load_b128 v[19:22], v12 offset:16
	ds_load_2addr_b32 v[27:28], v11 offset0:64 offset1:80
	s_add_u32 s12, s12, 16
	s_addc_u32 s13, s13, 0
	v_add_co_u32 v4, vcc_lo, v4, s8
	v_add_co_ci_u32_e32 v5, vcc_lo, s9, v5, vcc_lo
	v_cmp_ge_i64_e64 s14, s[12:13], s[16:17]
	v_add_co_u32 v6, vcc_lo, v6, s10
	v_add_co_ci_u32_e32 v7, vcc_lo, s11, v7, vcc_lo
	s_delay_alu instid0(VALU_DEP_3) | instskip(SKIP_2) | instid1(VALU_DEP_1)
	s_and_b32 vcc_lo, exec_lo, s14
	s_waitcnt lgkmcnt(3)
	v_fmac_f32_e32 v10, v23, v15
	v_fmac_f32_e32 v10, v24, v16
	ds_load_2addr_b32 v[23:24], v11 offset0:96 offset1:112
	s_waitcnt lgkmcnt(3)
	v_fmac_f32_e32 v10, v25, v17
	s_delay_alu instid0(VALU_DEP_1) | instskip(SKIP_4) | instid1(VALU_DEP_1)
	v_fmac_f32_e32 v10, v26, v18
	ds_load_2addr_b32 v[25:26], v11 offset0:128 offset1:144
	ds_load_b128 v[15:18], v12 offset:32
	s_waitcnt lgkmcnt(3)
	v_fmac_f32_e32 v10, v27, v19
	v_fmac_f32_e32 v10, v28, v20
	ds_load_2addr_b32 v[27:28], v11 offset0:160 offset1:176
	s_waitcnt lgkmcnt(3)
	v_fmac_f32_e32 v10, v23, v21
	s_delay_alu instid0(VALU_DEP_1) | instskip(SKIP_4) | instid1(VALU_DEP_1)
	v_fmac_f32_e32 v10, v24, v22
	ds_load_b128 v[19:22], v12 offset:48
	ds_load_2addr_b32 v[23:24], v11 offset0:192 offset1:208
	s_waitcnt lgkmcnt(3)
	v_fmac_f32_e32 v10, v25, v15
	v_fmac_f32_e32 v10, v26, v16
	ds_load_2addr_b32 v[15:16], v11 offset0:224 offset1:240
	s_waitcnt lgkmcnt(0)
	s_barrier
	buffer_gl0_inv
	v_fmac_f32_e32 v10, v27, v17
	s_delay_alu instid0(VALU_DEP_1) | instskip(NEXT) | instid1(VALU_DEP_1)
	v_fmac_f32_e32 v10, v28, v18
	v_fmac_f32_e32 v10, v23, v19
	s_delay_alu instid0(VALU_DEP_1) | instskip(NEXT) | instid1(VALU_DEP_1)
	v_fmac_f32_e32 v10, v24, v20
	v_fmac_f32_e32 v10, v15, v21
	s_delay_alu instid0(VALU_DEP_1)
	v_fmac_f32_e32 v10, v16, v22
	s_cbranch_vccnz .LBB1438_8
.LBB1438_3:                             ; =>This Inner Loop Header: Depth=1
	v_add_co_u32 v15, s14, v9, s12
	s_delay_alu instid0(VALU_DEP_1) | instskip(NEXT) | instid1(VALU_DEP_1)
	v_add_co_ci_u32_e64 v16, null, 0, s13, s14
	v_cmp_gt_i64_e32 vcc_lo, s[16:17], v[15:16]
	v_mov_b32_e32 v15, 0
	s_and_b32 s15, s2, vcc_lo
	s_delay_alu instid0(SALU_CYCLE_1)
	s_and_saveexec_b32 s14, s15
	s_cbranch_execz .LBB1438_5
; %bb.4:                                ;   in Loop: Header=BB1438_3 Depth=1
	global_load_b32 v15, v[6:7], off
.LBB1438_5:                             ;   in Loop: Header=BB1438_3 Depth=1
	s_or_b32 exec_lo, exec_lo, s14
	v_add_co_u32 v16, s14, v8, s12
	s_delay_alu instid0(VALU_DEP_1)
	v_add_co_ci_u32_e64 v17, null, 0, s13, s14
	s_waitcnt vmcnt(0)
	ds_store_b32 v13, v15
	v_cmp_gt_i64_e32 vcc_lo, s[16:17], v[16:17]
	v_mov_b32_e32 v16, 0
	s_and_b32 s15, s3, vcc_lo
	s_delay_alu instid0(SALU_CYCLE_1)
	s_and_saveexec_b32 s14, s15
	s_cbranch_execz .LBB1438_2
; %bb.6:                                ;   in Loop: Header=BB1438_3 Depth=1
	global_load_b32 v16, v[4:5], off
	s_branch .LBB1438_2
.LBB1438_7:
	v_mov_b32_e32 v10, 0
.LBB1438_8:
	v_cmp_le_i32_e32 vcc_lo, v2, v0
	v_cmp_gt_i32_e64 s2, s20, v0
	s_delay_alu instid0(VALU_DEP_1) | instskip(NEXT) | instid1(SALU_CYCLE_1)
	s_and_b32 s2, vcc_lo, s2
	s_and_saveexec_b32 s3, s2
	s_cbranch_execz .LBB1438_10
; %bb.9:
	v_mul_lo_u32 v5, v2, s7
	v_mul_lo_u32 v6, v3, s6
	v_mad_u64_u32 v[3:4], null, v2, s6, 0
	s_load_b32 s0, s[0:1], 0x10
	v_lshlrev_b64 v[0:1], 2, v[0:1]
	s_delay_alu instid0(VALU_DEP_2) | instskip(NEXT) | instid1(VALU_DEP_1)
	v_add3_u32 v4, v4, v5, v6
	v_lshlrev_b64 v[2:3], 2, v[3:4]
	s_waitcnt lgkmcnt(0)
	s_delay_alu instid0(VALU_DEP_1) | instskip(NEXT) | instid1(VALU_DEP_2)
	v_add_co_u32 v2, vcc_lo, s4, v2
	v_add_co_ci_u32_e32 v3, vcc_lo, s5, v3, vcc_lo
	v_mul_f32_e32 v4, s0, v10
	s_delay_alu instid0(VALU_DEP_3) | instskip(NEXT) | instid1(VALU_DEP_3)
	v_add_co_u32 v0, vcc_lo, v2, v0
	v_add_co_ci_u32_e32 v1, vcc_lo, v3, v1, vcc_lo
	global_store_b32 v[0:1], v4, off
.LBB1438_10:
	s_nop 0
	s_sendmsg sendmsg(MSG_DEALLOC_VGPRS)
	s_endpgm
	.section	.rodata,"a",@progbits
	.p2align	6, 0x0
	.amdhsa_kernel _ZL32rocblas_syrkx_herkx_small_kernelIlfLi16ELb1ELb0ELc78ELc76EKPKfKPfEviT_T0_PT6_S5_lS8_S5_lS6_PT7_S5_li
		.amdhsa_group_segment_fixed_size 2048
		.amdhsa_private_segment_fixed_size 0
		.amdhsa_kernarg_size 108
		.amdhsa_user_sgpr_count 13
		.amdhsa_user_sgpr_dispatch_ptr 0
		.amdhsa_user_sgpr_queue_ptr 0
		.amdhsa_user_sgpr_kernarg_segment_ptr 1
		.amdhsa_user_sgpr_dispatch_id 0
		.amdhsa_user_sgpr_private_segment_size 0
		.amdhsa_wavefront_size32 1
		.amdhsa_uses_dynamic_stack 0
		.amdhsa_enable_private_segment 0
		.amdhsa_system_sgpr_workgroup_id_x 1
		.amdhsa_system_sgpr_workgroup_id_y 1
		.amdhsa_system_sgpr_workgroup_id_z 1
		.amdhsa_system_sgpr_workgroup_info 0
		.amdhsa_system_vgpr_workitem_id 1
		.amdhsa_next_free_vgpr 29
		.amdhsa_next_free_sgpr 21
		.amdhsa_reserve_vcc 1
		.amdhsa_float_round_mode_32 0
		.amdhsa_float_round_mode_16_64 0
		.amdhsa_float_denorm_mode_32 3
		.amdhsa_float_denorm_mode_16_64 3
		.amdhsa_dx10_clamp 1
		.amdhsa_ieee_mode 1
		.amdhsa_fp16_overflow 0
		.amdhsa_workgroup_processor_mode 1
		.amdhsa_memory_ordered 1
		.amdhsa_forward_progress 0
		.amdhsa_shared_vgpr_count 0
		.amdhsa_exception_fp_ieee_invalid_op 0
		.amdhsa_exception_fp_denorm_src 0
		.amdhsa_exception_fp_ieee_div_zero 0
		.amdhsa_exception_fp_ieee_overflow 0
		.amdhsa_exception_fp_ieee_underflow 0
		.amdhsa_exception_fp_ieee_inexact 0
		.amdhsa_exception_int_div_zero 0
	.end_amdhsa_kernel
	.section	.text._ZL32rocblas_syrkx_herkx_small_kernelIlfLi16ELb1ELb0ELc78ELc76EKPKfKPfEviT_T0_PT6_S5_lS8_S5_lS6_PT7_S5_li,"axG",@progbits,_ZL32rocblas_syrkx_herkx_small_kernelIlfLi16ELb1ELb0ELc78ELc76EKPKfKPfEviT_T0_PT6_S5_lS8_S5_lS6_PT7_S5_li,comdat
.Lfunc_end1438:
	.size	_ZL32rocblas_syrkx_herkx_small_kernelIlfLi16ELb1ELb0ELc78ELc76EKPKfKPfEviT_T0_PT6_S5_lS8_S5_lS6_PT7_S5_li, .Lfunc_end1438-_ZL32rocblas_syrkx_herkx_small_kernelIlfLi16ELb1ELb0ELc78ELc76EKPKfKPfEviT_T0_PT6_S5_lS8_S5_lS6_PT7_S5_li
                                        ; -- End function
	.section	.AMDGPU.csdata,"",@progbits
; Kernel info:
; codeLenInByte = 968
; NumSgprs: 23
; NumVgprs: 29
; ScratchSize: 0
; MemoryBound: 0
; FloatMode: 240
; IeeeMode: 1
; LDSByteSize: 2048 bytes/workgroup (compile time only)
; SGPRBlocks: 2
; VGPRBlocks: 3
; NumSGPRsForWavesPerEU: 23
; NumVGPRsForWavesPerEU: 29
; Occupancy: 16
; WaveLimiterHint : 1
; COMPUTE_PGM_RSRC2:SCRATCH_EN: 0
; COMPUTE_PGM_RSRC2:USER_SGPR: 13
; COMPUTE_PGM_RSRC2:TRAP_HANDLER: 0
; COMPUTE_PGM_RSRC2:TGID_X_EN: 1
; COMPUTE_PGM_RSRC2:TGID_Y_EN: 1
; COMPUTE_PGM_RSRC2:TGID_Z_EN: 1
; COMPUTE_PGM_RSRC2:TIDIG_COMP_CNT: 1
	.section	.text._ZL32rocblas_syrkx_herkx_small_kernelIlfLi16ELb1ELb0ELc84ELc85EKPKfKPfEviT_T0_PT6_S5_lS8_S5_lS6_PT7_S5_li,"axG",@progbits,_ZL32rocblas_syrkx_herkx_small_kernelIlfLi16ELb1ELb0ELc84ELc85EKPKfKPfEviT_T0_PT6_S5_lS8_S5_lS6_PT7_S5_li,comdat
	.globl	_ZL32rocblas_syrkx_herkx_small_kernelIlfLi16ELb1ELb0ELc84ELc85EKPKfKPfEviT_T0_PT6_S5_lS8_S5_lS6_PT7_S5_li ; -- Begin function _ZL32rocblas_syrkx_herkx_small_kernelIlfLi16ELb1ELb0ELc84ELc85EKPKfKPfEviT_T0_PT6_S5_lS8_S5_lS6_PT7_S5_li
	.p2align	8
	.type	_ZL32rocblas_syrkx_herkx_small_kernelIlfLi16ELb1ELb0ELc84ELc85EKPKfKPfEviT_T0_PT6_S5_lS8_S5_lS6_PT7_S5_li,@function
_ZL32rocblas_syrkx_herkx_small_kernelIlfLi16ELb1ELb0ELc84ELc85EKPKfKPfEviT_T0_PT6_S5_lS8_S5_lS6_PT7_S5_li: ; @_ZL32rocblas_syrkx_herkx_small_kernelIlfLi16ELb1ELb0ELc84ELc85EKPKfKPfEviT_T0_PT6_S5_lS8_S5_lS6_PT7_S5_li
; %bb.0:
	s_clause 0x1
	s_load_b128 s[4:7], s[0:1], 0x50
	s_load_b64 s[8:9], s[0:1], 0x8
	s_mov_b32 s2, s15
	s_mov_b32 s3, 0
	s_load_b32 s12, s[0:1], 0x0
	s_lshl_b64 s[10:11], s[2:3], 3
	v_and_b32_e32 v9, 0x3ff, v0
	v_bfe_u32 v10, v0, 10, 10
	s_delay_alu instid0(VALU_DEP_2) | instskip(NEXT) | instid1(VALU_DEP_2)
	v_lshl_add_u32 v0, s13, 4, v9
	v_lshl_add_u32 v6, s14, 4, v10
	s_delay_alu instid0(VALU_DEP_2) | instskip(NEXT) | instid1(VALU_DEP_2)
	v_ashrrev_i32_e32 v1, 31, v0
	v_ashrrev_i32_e32 v7, 31, v6
	s_waitcnt lgkmcnt(0)
	s_add_u32 s2, s4, s10
	s_addc_u32 s3, s5, s11
	s_load_b64 s[4:5], s[2:3], 0x0
	v_cmp_lt_i64_e64 s2, s[8:9], 1
	s_delay_alu instid0(VALU_DEP_1)
	s_and_b32 vcc_lo, exec_lo, s2
	v_cmp_gt_i32_e64 s2, s12, v6
	s_cbranch_vccnz .LBB1439_7
; %bb.1:
	s_clause 0x1
	s_load_b128 s[16:19], s[0:1], 0x30
	s_load_b128 s[20:23], s[0:1], 0x18
	v_dual_mov_b32 v8, 0 :: v_dual_lshlrev_b32 v11, 2, v9
	v_lshlrev_b32_e32 v13, 6, v10
	v_cmp_gt_i32_e64 s3, s12, v0
	s_waitcnt lgkmcnt(0)
	v_mul_lo_u32 v12, s19, v6
	v_mul_lo_u32 v14, s18, v7
	v_mad_u64_u32 v[2:3], null, s18, v6, 0
	s_add_u32 s14, s16, s10
	v_mul_lo_u32 v15, s23, v0
	v_mul_lo_u32 v16, s22, v1
	v_mad_u64_u32 v[4:5], null, s22, v0, 0
	s_addc_u32 s15, s17, s11
	s_add_u32 s10, s20, s10
	s_load_b64 s[14:15], s[14:15], 0x0
	s_addc_u32 s11, s21, s11
	v_add3_u32 v3, v3, v14, v12
	s_load_b64 s[10:11], s[10:11], 0x0
	s_delay_alu instid0(VALU_DEP_2)
	v_add3_u32 v5, v5, v16, v15
	v_lshlrev_b32_e32 v15, 2, v10
	v_add_nc_u32_e32 v12, 0x400, v13
	v_lshlrev_b64 v[2:3], 2, v[2:3]
	v_add_nc_u32_e32 v13, v11, v13
	v_lshlrev_b64 v[4:5], 2, v[4:5]
	s_delay_alu instid0(VALU_DEP_4) | instskip(NEXT) | instid1(VALU_DEP_4)
	v_add_nc_u32_e32 v14, v12, v11
	v_add_co_u32 v2, vcc_lo, v2, v11
	v_add_co_ci_u32_e32 v3, vcc_lo, 0, v3, vcc_lo
	s_delay_alu instid0(VALU_DEP_4)
	v_add_co_u32 v4, vcc_lo, v4, v15
	v_add_co_ci_u32_e32 v5, vcc_lo, 0, v5, vcc_lo
	s_waitcnt lgkmcnt(0)
	v_add_co_u32 v2, vcc_lo, s14, v2
	v_add_co_ci_u32_e32 v3, vcc_lo, s15, v3, vcc_lo
	v_add_co_u32 v4, vcc_lo, s10, v4
	v_add_co_ci_u32_e32 v5, vcc_lo, s11, v5, vcc_lo
	s_mov_b64 s[10:11], 0
	s_branch .LBB1439_3
.LBB1439_2:                             ;   in Loop: Header=BB1439_3 Depth=1
	s_or_b32 exec_lo, exec_lo, s13
	s_waitcnt vmcnt(0)
	ds_store_b32 v14, v16
	s_waitcnt lgkmcnt(0)
	s_barrier
	buffer_gl0_inv
	ds_load_2addr_b32 v[23:24], v11 offset1:16
	ds_load_b128 v[15:18], v12
	ds_load_2addr_b32 v[25:26], v11 offset0:32 offset1:48
	ds_load_b128 v[19:22], v12 offset:16
	ds_load_2addr_b32 v[27:28], v11 offset0:64 offset1:80
	s_add_u32 s10, s10, 16
	s_addc_u32 s11, s11, 0
	v_add_co_u32 v2, vcc_lo, v2, 64
	v_add_co_ci_u32_e32 v3, vcc_lo, 0, v3, vcc_lo
	v_cmp_ge_i64_e64 s13, s[10:11], s[8:9]
	v_add_co_u32 v4, vcc_lo, v4, 64
	v_add_co_ci_u32_e32 v5, vcc_lo, 0, v5, vcc_lo
	s_delay_alu instid0(VALU_DEP_3) | instskip(SKIP_2) | instid1(VALU_DEP_1)
	s_and_b32 vcc_lo, exec_lo, s13
	s_waitcnt lgkmcnt(3)
	v_fmac_f32_e32 v8, v23, v15
	v_fmac_f32_e32 v8, v24, v16
	ds_load_2addr_b32 v[23:24], v11 offset0:96 offset1:112
	s_waitcnt lgkmcnt(3)
	v_fmac_f32_e32 v8, v25, v17
	s_delay_alu instid0(VALU_DEP_1) | instskip(SKIP_4) | instid1(VALU_DEP_1)
	v_fmac_f32_e32 v8, v26, v18
	ds_load_2addr_b32 v[25:26], v11 offset0:128 offset1:144
	ds_load_b128 v[15:18], v12 offset:32
	s_waitcnt lgkmcnt(3)
	v_fmac_f32_e32 v8, v27, v19
	v_fmac_f32_e32 v8, v28, v20
	ds_load_2addr_b32 v[27:28], v11 offset0:160 offset1:176
	s_waitcnt lgkmcnt(3)
	v_fmac_f32_e32 v8, v23, v21
	s_delay_alu instid0(VALU_DEP_1) | instskip(SKIP_4) | instid1(VALU_DEP_1)
	v_fmac_f32_e32 v8, v24, v22
	ds_load_b128 v[19:22], v12 offset:48
	ds_load_2addr_b32 v[23:24], v11 offset0:192 offset1:208
	s_waitcnt lgkmcnt(3)
	v_fmac_f32_e32 v8, v25, v15
	v_fmac_f32_e32 v8, v26, v16
	ds_load_2addr_b32 v[15:16], v11 offset0:224 offset1:240
	s_waitcnt lgkmcnt(0)
	s_barrier
	buffer_gl0_inv
	v_fmac_f32_e32 v8, v27, v17
	s_delay_alu instid0(VALU_DEP_1) | instskip(NEXT) | instid1(VALU_DEP_1)
	v_fmac_f32_e32 v8, v28, v18
	v_fmac_f32_e32 v8, v23, v19
	s_delay_alu instid0(VALU_DEP_1) | instskip(NEXT) | instid1(VALU_DEP_1)
	v_fmac_f32_e32 v8, v24, v20
	v_fmac_f32_e32 v8, v15, v21
	s_delay_alu instid0(VALU_DEP_1)
	v_fmac_f32_e32 v8, v16, v22
	s_cbranch_vccnz .LBB1439_8
.LBB1439_3:                             ; =>This Inner Loop Header: Depth=1
	v_add_co_u32 v15, s13, v10, s10
	s_delay_alu instid0(VALU_DEP_1) | instskip(NEXT) | instid1(VALU_DEP_1)
	v_add_co_ci_u32_e64 v16, null, 0, s11, s13
	v_cmp_gt_i64_e32 vcc_lo, s[8:9], v[15:16]
	v_mov_b32_e32 v15, 0
	s_and_b32 s14, s3, vcc_lo
	s_delay_alu instid0(SALU_CYCLE_1)
	s_and_saveexec_b32 s13, s14
	s_cbranch_execz .LBB1439_5
; %bb.4:                                ;   in Loop: Header=BB1439_3 Depth=1
	global_load_b32 v15, v[4:5], off
.LBB1439_5:                             ;   in Loop: Header=BB1439_3 Depth=1
	s_or_b32 exec_lo, exec_lo, s13
	v_add_co_u32 v16, s13, v9, s10
	s_delay_alu instid0(VALU_DEP_1)
	v_add_co_ci_u32_e64 v17, null, 0, s11, s13
	s_waitcnt vmcnt(0)
	ds_store_b32 v13, v15
	v_cmp_gt_i64_e32 vcc_lo, s[8:9], v[16:17]
	v_mov_b32_e32 v16, 0
	s_and_b32 s14, s2, vcc_lo
	s_delay_alu instid0(SALU_CYCLE_1)
	s_and_saveexec_b32 s13, s14
	s_cbranch_execz .LBB1439_2
; %bb.6:                                ;   in Loop: Header=BB1439_3 Depth=1
	global_load_b32 v16, v[2:3], off
	s_branch .LBB1439_2
.LBB1439_7:
	v_mov_b32_e32 v8, 0
.LBB1439_8:
	v_cmp_le_i32_e32 vcc_lo, v0, v6
	v_cmp_gt_i32_e64 s2, s12, v6
	s_delay_alu instid0(VALU_DEP_1) | instskip(NEXT) | instid1(SALU_CYCLE_1)
	s_and_b32 s2, vcc_lo, s2
	s_and_saveexec_b32 s3, s2
	s_cbranch_execz .LBB1439_10
; %bb.9:
	v_mul_lo_u32 v4, v6, s7
	v_mul_lo_u32 v5, v7, s6
	v_mad_u64_u32 v[2:3], null, v6, s6, 0
	s_load_b32 s0, s[0:1], 0x10
	v_lshlrev_b64 v[0:1], 2, v[0:1]
	s_delay_alu instid0(VALU_DEP_2) | instskip(NEXT) | instid1(VALU_DEP_1)
	v_add3_u32 v3, v3, v4, v5
	v_lshlrev_b64 v[2:3], 2, v[2:3]
	s_waitcnt lgkmcnt(0)
	s_delay_alu instid0(VALU_DEP_1) | instskip(NEXT) | instid1(VALU_DEP_2)
	v_add_co_u32 v2, vcc_lo, s4, v2
	v_add_co_ci_u32_e32 v3, vcc_lo, s5, v3, vcc_lo
	v_mul_f32_e32 v4, s0, v8
	s_delay_alu instid0(VALU_DEP_3) | instskip(NEXT) | instid1(VALU_DEP_3)
	v_add_co_u32 v0, vcc_lo, v2, v0
	v_add_co_ci_u32_e32 v1, vcc_lo, v3, v1, vcc_lo
	global_store_b32 v[0:1], v4, off
.LBB1439_10:
	s_nop 0
	s_sendmsg sendmsg(MSG_DEALLOC_VGPRS)
	s_endpgm
	.section	.rodata,"a",@progbits
	.p2align	6, 0x0
	.amdhsa_kernel _ZL32rocblas_syrkx_herkx_small_kernelIlfLi16ELb1ELb0ELc84ELc85EKPKfKPfEviT_T0_PT6_S5_lS8_S5_lS6_PT7_S5_li
		.amdhsa_group_segment_fixed_size 2048
		.amdhsa_private_segment_fixed_size 0
		.amdhsa_kernarg_size 108
		.amdhsa_user_sgpr_count 13
		.amdhsa_user_sgpr_dispatch_ptr 0
		.amdhsa_user_sgpr_queue_ptr 0
		.amdhsa_user_sgpr_kernarg_segment_ptr 1
		.amdhsa_user_sgpr_dispatch_id 0
		.amdhsa_user_sgpr_private_segment_size 0
		.amdhsa_wavefront_size32 1
		.amdhsa_uses_dynamic_stack 0
		.amdhsa_enable_private_segment 0
		.amdhsa_system_sgpr_workgroup_id_x 1
		.amdhsa_system_sgpr_workgroup_id_y 1
		.amdhsa_system_sgpr_workgroup_id_z 1
		.amdhsa_system_sgpr_workgroup_info 0
		.amdhsa_system_vgpr_workitem_id 1
		.amdhsa_next_free_vgpr 29
		.amdhsa_next_free_sgpr 24
		.amdhsa_reserve_vcc 1
		.amdhsa_float_round_mode_32 0
		.amdhsa_float_round_mode_16_64 0
		.amdhsa_float_denorm_mode_32 3
		.amdhsa_float_denorm_mode_16_64 3
		.amdhsa_dx10_clamp 1
		.amdhsa_ieee_mode 1
		.amdhsa_fp16_overflow 0
		.amdhsa_workgroup_processor_mode 1
		.amdhsa_memory_ordered 1
		.amdhsa_forward_progress 0
		.amdhsa_shared_vgpr_count 0
		.amdhsa_exception_fp_ieee_invalid_op 0
		.amdhsa_exception_fp_denorm_src 0
		.amdhsa_exception_fp_ieee_div_zero 0
		.amdhsa_exception_fp_ieee_overflow 0
		.amdhsa_exception_fp_ieee_underflow 0
		.amdhsa_exception_fp_ieee_inexact 0
		.amdhsa_exception_int_div_zero 0
	.end_amdhsa_kernel
	.section	.text._ZL32rocblas_syrkx_herkx_small_kernelIlfLi16ELb1ELb0ELc84ELc85EKPKfKPfEviT_T0_PT6_S5_lS8_S5_lS6_PT7_S5_li,"axG",@progbits,_ZL32rocblas_syrkx_herkx_small_kernelIlfLi16ELb1ELb0ELc84ELc85EKPKfKPfEviT_T0_PT6_S5_lS8_S5_lS6_PT7_S5_li,comdat
.Lfunc_end1439:
	.size	_ZL32rocblas_syrkx_herkx_small_kernelIlfLi16ELb1ELb0ELc84ELc85EKPKfKPfEviT_T0_PT6_S5_lS8_S5_lS6_PT7_S5_li, .Lfunc_end1439-_ZL32rocblas_syrkx_herkx_small_kernelIlfLi16ELb1ELb0ELc84ELc85EKPKfKPfEviT_T0_PT6_S5_lS8_S5_lS6_PT7_S5_li
                                        ; -- End function
	.section	.AMDGPU.csdata,"",@progbits
; Kernel info:
; codeLenInByte = 960
; NumSgprs: 26
; NumVgprs: 29
; ScratchSize: 0
; MemoryBound: 0
; FloatMode: 240
; IeeeMode: 1
; LDSByteSize: 2048 bytes/workgroup (compile time only)
; SGPRBlocks: 3
; VGPRBlocks: 3
; NumSGPRsForWavesPerEU: 26
; NumVGPRsForWavesPerEU: 29
; Occupancy: 16
; WaveLimiterHint : 1
; COMPUTE_PGM_RSRC2:SCRATCH_EN: 0
; COMPUTE_PGM_RSRC2:USER_SGPR: 13
; COMPUTE_PGM_RSRC2:TRAP_HANDLER: 0
; COMPUTE_PGM_RSRC2:TGID_X_EN: 1
; COMPUTE_PGM_RSRC2:TGID_Y_EN: 1
; COMPUTE_PGM_RSRC2:TGID_Z_EN: 1
; COMPUTE_PGM_RSRC2:TIDIG_COMP_CNT: 1
	.section	.text._ZL32rocblas_syrkx_herkx_small_kernelIlfLi16ELb1ELb0ELc67ELc85EKPKfKPfEviT_T0_PT6_S5_lS8_S5_lS6_PT7_S5_li,"axG",@progbits,_ZL32rocblas_syrkx_herkx_small_kernelIlfLi16ELb1ELb0ELc67ELc85EKPKfKPfEviT_T0_PT6_S5_lS8_S5_lS6_PT7_S5_li,comdat
	.globl	_ZL32rocblas_syrkx_herkx_small_kernelIlfLi16ELb1ELb0ELc67ELc85EKPKfKPfEviT_T0_PT6_S5_lS8_S5_lS6_PT7_S5_li ; -- Begin function _ZL32rocblas_syrkx_herkx_small_kernelIlfLi16ELb1ELb0ELc67ELc85EKPKfKPfEviT_T0_PT6_S5_lS8_S5_lS6_PT7_S5_li
	.p2align	8
	.type	_ZL32rocblas_syrkx_herkx_small_kernelIlfLi16ELb1ELb0ELc67ELc85EKPKfKPfEviT_T0_PT6_S5_lS8_S5_lS6_PT7_S5_li,@function
_ZL32rocblas_syrkx_herkx_small_kernelIlfLi16ELb1ELb0ELc67ELc85EKPKfKPfEviT_T0_PT6_S5_lS8_S5_lS6_PT7_S5_li: ; @_ZL32rocblas_syrkx_herkx_small_kernelIlfLi16ELb1ELb0ELc67ELc85EKPKfKPfEviT_T0_PT6_S5_lS8_S5_lS6_PT7_S5_li
; %bb.0:
	s_clause 0x1
	s_load_b128 s[4:7], s[0:1], 0x50
	s_load_b64 s[8:9], s[0:1], 0x8
	s_mov_b32 s2, s15
	s_mov_b32 s3, 0
	s_load_b32 s12, s[0:1], 0x0
	s_lshl_b64 s[10:11], s[2:3], 3
	v_and_b32_e32 v9, 0x3ff, v0
	v_bfe_u32 v10, v0, 10, 10
	s_delay_alu instid0(VALU_DEP_2) | instskip(NEXT) | instid1(VALU_DEP_2)
	v_lshl_add_u32 v0, s13, 4, v9
	v_lshl_add_u32 v6, s14, 4, v10
	s_delay_alu instid0(VALU_DEP_2) | instskip(NEXT) | instid1(VALU_DEP_2)
	v_ashrrev_i32_e32 v1, 31, v0
	v_ashrrev_i32_e32 v7, 31, v6
	s_waitcnt lgkmcnt(0)
	s_add_u32 s2, s4, s10
	s_addc_u32 s3, s5, s11
	s_load_b64 s[4:5], s[2:3], 0x0
	v_cmp_lt_i64_e64 s2, s[8:9], 1
	s_delay_alu instid0(VALU_DEP_1)
	s_and_b32 vcc_lo, exec_lo, s2
	v_cmp_gt_i32_e64 s2, s12, v6
	s_cbranch_vccnz .LBB1440_7
; %bb.1:
	s_clause 0x1
	s_load_b128 s[16:19], s[0:1], 0x30
	s_load_b128 s[20:23], s[0:1], 0x18
	v_dual_mov_b32 v8, 0 :: v_dual_lshlrev_b32 v11, 2, v9
	v_lshlrev_b32_e32 v13, 6, v10
	v_cmp_gt_i32_e64 s3, s12, v0
	s_waitcnt lgkmcnt(0)
	v_mul_lo_u32 v12, s19, v6
	v_mul_lo_u32 v14, s18, v7
	v_mad_u64_u32 v[2:3], null, s18, v6, 0
	s_add_u32 s14, s16, s10
	v_mul_lo_u32 v15, s23, v0
	v_mul_lo_u32 v16, s22, v1
	v_mad_u64_u32 v[4:5], null, s22, v0, 0
	s_addc_u32 s15, s17, s11
	s_add_u32 s10, s20, s10
	s_load_b64 s[14:15], s[14:15], 0x0
	s_addc_u32 s11, s21, s11
	v_add3_u32 v3, v3, v14, v12
	s_load_b64 s[10:11], s[10:11], 0x0
	s_delay_alu instid0(VALU_DEP_2)
	v_add3_u32 v5, v5, v16, v15
	v_lshlrev_b32_e32 v15, 2, v10
	v_add_nc_u32_e32 v12, 0x400, v13
	v_lshlrev_b64 v[2:3], 2, v[2:3]
	v_add_nc_u32_e32 v13, v11, v13
	v_lshlrev_b64 v[4:5], 2, v[4:5]
	s_delay_alu instid0(VALU_DEP_4) | instskip(NEXT) | instid1(VALU_DEP_4)
	v_add_nc_u32_e32 v14, v12, v11
	v_add_co_u32 v2, vcc_lo, v2, v11
	v_add_co_ci_u32_e32 v3, vcc_lo, 0, v3, vcc_lo
	s_delay_alu instid0(VALU_DEP_4)
	v_add_co_u32 v4, vcc_lo, v4, v15
	v_add_co_ci_u32_e32 v5, vcc_lo, 0, v5, vcc_lo
	s_waitcnt lgkmcnt(0)
	v_add_co_u32 v2, vcc_lo, s14, v2
	v_add_co_ci_u32_e32 v3, vcc_lo, s15, v3, vcc_lo
	v_add_co_u32 v4, vcc_lo, s10, v4
	v_add_co_ci_u32_e32 v5, vcc_lo, s11, v5, vcc_lo
	s_mov_b64 s[10:11], 0
	s_branch .LBB1440_3
.LBB1440_2:                             ;   in Loop: Header=BB1440_3 Depth=1
	s_or_b32 exec_lo, exec_lo, s13
	s_waitcnt vmcnt(0)
	ds_store_b32 v14, v16
	s_waitcnt lgkmcnt(0)
	s_barrier
	buffer_gl0_inv
	ds_load_2addr_b32 v[23:24], v11 offset1:16
	ds_load_b128 v[15:18], v12
	ds_load_2addr_b32 v[25:26], v11 offset0:32 offset1:48
	ds_load_b128 v[19:22], v12 offset:16
	ds_load_2addr_b32 v[27:28], v11 offset0:64 offset1:80
	s_add_u32 s10, s10, 16
	s_addc_u32 s11, s11, 0
	v_add_co_u32 v2, vcc_lo, v2, 64
	v_add_co_ci_u32_e32 v3, vcc_lo, 0, v3, vcc_lo
	v_cmp_ge_i64_e64 s13, s[10:11], s[8:9]
	v_add_co_u32 v4, vcc_lo, v4, 64
	v_add_co_ci_u32_e32 v5, vcc_lo, 0, v5, vcc_lo
	s_delay_alu instid0(VALU_DEP_3) | instskip(SKIP_2) | instid1(VALU_DEP_1)
	s_and_b32 vcc_lo, exec_lo, s13
	s_waitcnt lgkmcnt(3)
	v_fmac_f32_e32 v8, v23, v15
	v_fmac_f32_e32 v8, v24, v16
	ds_load_2addr_b32 v[23:24], v11 offset0:96 offset1:112
	s_waitcnt lgkmcnt(3)
	v_fmac_f32_e32 v8, v25, v17
	s_delay_alu instid0(VALU_DEP_1) | instskip(SKIP_4) | instid1(VALU_DEP_1)
	v_fmac_f32_e32 v8, v26, v18
	ds_load_2addr_b32 v[25:26], v11 offset0:128 offset1:144
	ds_load_b128 v[15:18], v12 offset:32
	s_waitcnt lgkmcnt(3)
	v_fmac_f32_e32 v8, v27, v19
	v_fmac_f32_e32 v8, v28, v20
	ds_load_2addr_b32 v[27:28], v11 offset0:160 offset1:176
	s_waitcnt lgkmcnt(3)
	v_fmac_f32_e32 v8, v23, v21
	s_delay_alu instid0(VALU_DEP_1) | instskip(SKIP_4) | instid1(VALU_DEP_1)
	v_fmac_f32_e32 v8, v24, v22
	ds_load_b128 v[19:22], v12 offset:48
	ds_load_2addr_b32 v[23:24], v11 offset0:192 offset1:208
	s_waitcnt lgkmcnt(3)
	v_fmac_f32_e32 v8, v25, v15
	v_fmac_f32_e32 v8, v26, v16
	ds_load_2addr_b32 v[15:16], v11 offset0:224 offset1:240
	s_waitcnt lgkmcnt(0)
	s_barrier
	buffer_gl0_inv
	v_fmac_f32_e32 v8, v27, v17
	s_delay_alu instid0(VALU_DEP_1) | instskip(NEXT) | instid1(VALU_DEP_1)
	v_fmac_f32_e32 v8, v28, v18
	v_fmac_f32_e32 v8, v23, v19
	s_delay_alu instid0(VALU_DEP_1) | instskip(NEXT) | instid1(VALU_DEP_1)
	v_fmac_f32_e32 v8, v24, v20
	v_fmac_f32_e32 v8, v15, v21
	s_delay_alu instid0(VALU_DEP_1)
	v_fmac_f32_e32 v8, v16, v22
	s_cbranch_vccnz .LBB1440_8
.LBB1440_3:                             ; =>This Inner Loop Header: Depth=1
	v_add_co_u32 v15, s13, v10, s10
	s_delay_alu instid0(VALU_DEP_1) | instskip(NEXT) | instid1(VALU_DEP_1)
	v_add_co_ci_u32_e64 v16, null, 0, s11, s13
	v_cmp_gt_i64_e32 vcc_lo, s[8:9], v[15:16]
	v_mov_b32_e32 v15, 0
	s_and_b32 s14, s3, vcc_lo
	s_delay_alu instid0(SALU_CYCLE_1)
	s_and_saveexec_b32 s13, s14
	s_cbranch_execz .LBB1440_5
; %bb.4:                                ;   in Loop: Header=BB1440_3 Depth=1
	global_load_b32 v15, v[4:5], off
.LBB1440_5:                             ;   in Loop: Header=BB1440_3 Depth=1
	s_or_b32 exec_lo, exec_lo, s13
	v_add_co_u32 v16, s13, v9, s10
	s_delay_alu instid0(VALU_DEP_1)
	v_add_co_ci_u32_e64 v17, null, 0, s11, s13
	s_waitcnt vmcnt(0)
	ds_store_b32 v13, v15
	v_cmp_gt_i64_e32 vcc_lo, s[8:9], v[16:17]
	v_mov_b32_e32 v16, 0
	s_and_b32 s14, s2, vcc_lo
	s_delay_alu instid0(SALU_CYCLE_1)
	s_and_saveexec_b32 s13, s14
	s_cbranch_execz .LBB1440_2
; %bb.6:                                ;   in Loop: Header=BB1440_3 Depth=1
	global_load_b32 v16, v[2:3], off
	s_branch .LBB1440_2
.LBB1440_7:
	v_mov_b32_e32 v8, 0
.LBB1440_8:
	v_cmp_le_i32_e32 vcc_lo, v0, v6
	v_cmp_gt_i32_e64 s2, s12, v6
	s_delay_alu instid0(VALU_DEP_1) | instskip(NEXT) | instid1(SALU_CYCLE_1)
	s_and_b32 s2, vcc_lo, s2
	s_and_saveexec_b32 s3, s2
	s_cbranch_execz .LBB1440_10
; %bb.9:
	v_mul_lo_u32 v4, v6, s7
	v_mul_lo_u32 v5, v7, s6
	v_mad_u64_u32 v[2:3], null, v6, s6, 0
	s_load_b32 s0, s[0:1], 0x10
	v_lshlrev_b64 v[0:1], 2, v[0:1]
	s_delay_alu instid0(VALU_DEP_2) | instskip(NEXT) | instid1(VALU_DEP_1)
	v_add3_u32 v3, v3, v4, v5
	v_lshlrev_b64 v[2:3], 2, v[2:3]
	s_waitcnt lgkmcnt(0)
	s_delay_alu instid0(VALU_DEP_1) | instskip(NEXT) | instid1(VALU_DEP_2)
	v_add_co_u32 v2, vcc_lo, s4, v2
	v_add_co_ci_u32_e32 v3, vcc_lo, s5, v3, vcc_lo
	v_mul_f32_e32 v4, s0, v8
	s_delay_alu instid0(VALU_DEP_3) | instskip(NEXT) | instid1(VALU_DEP_3)
	v_add_co_u32 v0, vcc_lo, v2, v0
	v_add_co_ci_u32_e32 v1, vcc_lo, v3, v1, vcc_lo
	global_store_b32 v[0:1], v4, off
.LBB1440_10:
	s_nop 0
	s_sendmsg sendmsg(MSG_DEALLOC_VGPRS)
	s_endpgm
	.section	.rodata,"a",@progbits
	.p2align	6, 0x0
	.amdhsa_kernel _ZL32rocblas_syrkx_herkx_small_kernelIlfLi16ELb1ELb0ELc67ELc85EKPKfKPfEviT_T0_PT6_S5_lS8_S5_lS6_PT7_S5_li
		.amdhsa_group_segment_fixed_size 2048
		.amdhsa_private_segment_fixed_size 0
		.amdhsa_kernarg_size 108
		.amdhsa_user_sgpr_count 13
		.amdhsa_user_sgpr_dispatch_ptr 0
		.amdhsa_user_sgpr_queue_ptr 0
		.amdhsa_user_sgpr_kernarg_segment_ptr 1
		.amdhsa_user_sgpr_dispatch_id 0
		.amdhsa_user_sgpr_private_segment_size 0
		.amdhsa_wavefront_size32 1
		.amdhsa_uses_dynamic_stack 0
		.amdhsa_enable_private_segment 0
		.amdhsa_system_sgpr_workgroup_id_x 1
		.amdhsa_system_sgpr_workgroup_id_y 1
		.amdhsa_system_sgpr_workgroup_id_z 1
		.amdhsa_system_sgpr_workgroup_info 0
		.amdhsa_system_vgpr_workitem_id 1
		.amdhsa_next_free_vgpr 29
		.amdhsa_next_free_sgpr 24
		.amdhsa_reserve_vcc 1
		.amdhsa_float_round_mode_32 0
		.amdhsa_float_round_mode_16_64 0
		.amdhsa_float_denorm_mode_32 3
		.amdhsa_float_denorm_mode_16_64 3
		.amdhsa_dx10_clamp 1
		.amdhsa_ieee_mode 1
		.amdhsa_fp16_overflow 0
		.amdhsa_workgroup_processor_mode 1
		.amdhsa_memory_ordered 1
		.amdhsa_forward_progress 0
		.amdhsa_shared_vgpr_count 0
		.amdhsa_exception_fp_ieee_invalid_op 0
		.amdhsa_exception_fp_denorm_src 0
		.amdhsa_exception_fp_ieee_div_zero 0
		.amdhsa_exception_fp_ieee_overflow 0
		.amdhsa_exception_fp_ieee_underflow 0
		.amdhsa_exception_fp_ieee_inexact 0
		.amdhsa_exception_int_div_zero 0
	.end_amdhsa_kernel
	.section	.text._ZL32rocblas_syrkx_herkx_small_kernelIlfLi16ELb1ELb0ELc67ELc85EKPKfKPfEviT_T0_PT6_S5_lS8_S5_lS6_PT7_S5_li,"axG",@progbits,_ZL32rocblas_syrkx_herkx_small_kernelIlfLi16ELb1ELb0ELc67ELc85EKPKfKPfEviT_T0_PT6_S5_lS8_S5_lS6_PT7_S5_li,comdat
.Lfunc_end1440:
	.size	_ZL32rocblas_syrkx_herkx_small_kernelIlfLi16ELb1ELb0ELc67ELc85EKPKfKPfEviT_T0_PT6_S5_lS8_S5_lS6_PT7_S5_li, .Lfunc_end1440-_ZL32rocblas_syrkx_herkx_small_kernelIlfLi16ELb1ELb0ELc67ELc85EKPKfKPfEviT_T0_PT6_S5_lS8_S5_lS6_PT7_S5_li
                                        ; -- End function
	.section	.AMDGPU.csdata,"",@progbits
; Kernel info:
; codeLenInByte = 960
; NumSgprs: 26
; NumVgprs: 29
; ScratchSize: 0
; MemoryBound: 0
; FloatMode: 240
; IeeeMode: 1
; LDSByteSize: 2048 bytes/workgroup (compile time only)
; SGPRBlocks: 3
; VGPRBlocks: 3
; NumSGPRsForWavesPerEU: 26
; NumVGPRsForWavesPerEU: 29
; Occupancy: 16
; WaveLimiterHint : 1
; COMPUTE_PGM_RSRC2:SCRATCH_EN: 0
; COMPUTE_PGM_RSRC2:USER_SGPR: 13
; COMPUTE_PGM_RSRC2:TRAP_HANDLER: 0
; COMPUTE_PGM_RSRC2:TGID_X_EN: 1
; COMPUTE_PGM_RSRC2:TGID_Y_EN: 1
; COMPUTE_PGM_RSRC2:TGID_Z_EN: 1
; COMPUTE_PGM_RSRC2:TIDIG_COMP_CNT: 1
	.section	.text._ZL32rocblas_syrkx_herkx_small_kernelIlfLi16ELb1ELb0ELc78ELc85EKPKfKPfEviT_T0_PT6_S5_lS8_S5_lS6_PT7_S5_li,"axG",@progbits,_ZL32rocblas_syrkx_herkx_small_kernelIlfLi16ELb1ELb0ELc78ELc85EKPKfKPfEviT_T0_PT6_S5_lS8_S5_lS6_PT7_S5_li,comdat
	.globl	_ZL32rocblas_syrkx_herkx_small_kernelIlfLi16ELb1ELb0ELc78ELc85EKPKfKPfEviT_T0_PT6_S5_lS8_S5_lS6_PT7_S5_li ; -- Begin function _ZL32rocblas_syrkx_herkx_small_kernelIlfLi16ELb1ELb0ELc78ELc85EKPKfKPfEviT_T0_PT6_S5_lS8_S5_lS6_PT7_S5_li
	.p2align	8
	.type	_ZL32rocblas_syrkx_herkx_small_kernelIlfLi16ELb1ELb0ELc78ELc85EKPKfKPfEviT_T0_PT6_S5_lS8_S5_lS6_PT7_S5_li,@function
_ZL32rocblas_syrkx_herkx_small_kernelIlfLi16ELb1ELb0ELc78ELc85EKPKfKPfEviT_T0_PT6_S5_lS8_S5_lS6_PT7_S5_li: ; @_ZL32rocblas_syrkx_herkx_small_kernelIlfLi16ELb1ELb0ELc78ELc85EKPKfKPfEviT_T0_PT6_S5_lS8_S5_lS6_PT7_S5_li
; %bb.0:
	s_clause 0x1
	s_load_b128 s[4:7], s[0:1], 0x50
	s_load_b64 s[16:17], s[0:1], 0x8
	s_mov_b32 s2, s15
	s_mov_b32 s3, 0
	s_load_b32 s20, s[0:1], 0x0
	s_lshl_b64 s[18:19], s[2:3], 3
	v_and_b32_e32 v8, 0x3ff, v0
	v_bfe_u32 v9, v0, 10, 10
	s_delay_alu instid0(VALU_DEP_2) | instskip(NEXT) | instid1(VALU_DEP_2)
	v_lshl_add_u32 v0, s13, 4, v8
	v_lshl_add_u32 v2, s14, 4, v9
	s_delay_alu instid0(VALU_DEP_2) | instskip(NEXT) | instid1(VALU_DEP_2)
	v_ashrrev_i32_e32 v1, 31, v0
	v_ashrrev_i32_e32 v3, 31, v2
	s_waitcnt lgkmcnt(0)
	s_add_u32 s2, s4, s18
	s_addc_u32 s3, s5, s19
	s_load_b64 s[4:5], s[2:3], 0x0
	v_cmp_lt_i64_e64 s2, s[16:17], 1
	s_delay_alu instid0(VALU_DEP_1)
	s_and_b32 vcc_lo, exec_lo, s2
	v_cmp_gt_i32_e64 s2, s20, v2
	s_cbranch_vccnz .LBB1441_7
; %bb.1:
	s_clause 0x1
	s_load_b128 s[12:15], s[0:1], 0x30
	s_load_b128 s[8:11], s[0:1], 0x18
	v_dual_mov_b32 v10, 0 :: v_dual_lshlrev_b32 v19, 6, v9
	v_lshlrev_b32_e32 v11, 2, v8
	v_lshlrev_b64 v[15:16], 2, v[2:3]
	v_lshlrev_b64 v[17:18], 2, v[0:1]
	v_cmp_gt_i32_e64 s3, s20, v0
	s_waitcnt lgkmcnt(0)
	v_mad_u64_u32 v[4:5], null, s14, v8, 0
	v_mad_u64_u32 v[6:7], null, s10, v9, 0
	s_add_u32 s12, s12, s18
	s_addc_u32 s13, s13, s19
	s_add_u32 s8, s8, s18
	s_load_b64 s[12:13], s[12:13], 0x0
	s_addc_u32 s9, s9, s19
	s_delay_alu instid0(VALU_DEP_1) | instskip(NEXT) | instid1(VALU_DEP_2)
	v_mad_u64_u32 v[12:13], null, s15, v8, v[5:6]
	v_mad_u64_u32 v[13:14], null, s11, v9, v[7:8]
	s_load_b64 s[8:9], s[8:9], 0x0
	s_lshl_b64 s[10:11], s[10:11], 6
	s_delay_alu instid0(VALU_DEP_2) | instskip(NEXT) | instid1(VALU_DEP_2)
	v_dual_mov_b32 v5, v12 :: v_dual_add_nc_u32 v12, 0x400, v19
	v_mov_b32_e32 v7, v13
	v_add_nc_u32_e32 v13, v11, v19
	s_delay_alu instid0(VALU_DEP_3) | instskip(NEXT) | instid1(VALU_DEP_4)
	v_lshlrev_b64 v[4:5], 2, v[4:5]
	v_add_nc_u32_e32 v14, v12, v11
	s_delay_alu instid0(VALU_DEP_4) | instskip(NEXT) | instid1(VALU_DEP_3)
	v_lshlrev_b64 v[6:7], 2, v[6:7]
	v_add_co_u32 v4, vcc_lo, v4, v15
	s_delay_alu instid0(VALU_DEP_4) | instskip(NEXT) | instid1(VALU_DEP_3)
	v_add_co_ci_u32_e32 v5, vcc_lo, v5, v16, vcc_lo
	v_add_co_u32 v6, vcc_lo, v6, v17
	s_delay_alu instid0(VALU_DEP_4)
	v_add_co_ci_u32_e32 v7, vcc_lo, v7, v18, vcc_lo
	s_waitcnt lgkmcnt(0)
	v_add_co_u32 v4, vcc_lo, s12, v4
	v_add_co_ci_u32_e32 v5, vcc_lo, s13, v5, vcc_lo
	v_add_co_u32 v6, vcc_lo, s8, v6
	v_add_co_ci_u32_e32 v7, vcc_lo, s9, v7, vcc_lo
	s_lshl_b64 s[8:9], s[14:15], 6
	s_mov_b64 s[12:13], 0
	s_branch .LBB1441_3
.LBB1441_2:                             ;   in Loop: Header=BB1441_3 Depth=1
	s_or_b32 exec_lo, exec_lo, s14
	s_waitcnt vmcnt(0)
	ds_store_b32 v14, v16
	s_waitcnt lgkmcnt(0)
	s_barrier
	buffer_gl0_inv
	ds_load_2addr_b32 v[23:24], v11 offset1:16
	ds_load_b128 v[15:18], v12
	ds_load_2addr_b32 v[25:26], v11 offset0:32 offset1:48
	ds_load_b128 v[19:22], v12 offset:16
	ds_load_2addr_b32 v[27:28], v11 offset0:64 offset1:80
	s_add_u32 s12, s12, 16
	s_addc_u32 s13, s13, 0
	v_add_co_u32 v4, vcc_lo, v4, s8
	v_add_co_ci_u32_e32 v5, vcc_lo, s9, v5, vcc_lo
	v_cmp_ge_i64_e64 s14, s[12:13], s[16:17]
	v_add_co_u32 v6, vcc_lo, v6, s10
	v_add_co_ci_u32_e32 v7, vcc_lo, s11, v7, vcc_lo
	s_delay_alu instid0(VALU_DEP_3) | instskip(SKIP_2) | instid1(VALU_DEP_1)
	s_and_b32 vcc_lo, exec_lo, s14
	s_waitcnt lgkmcnt(3)
	v_fmac_f32_e32 v10, v23, v15
	v_fmac_f32_e32 v10, v24, v16
	ds_load_2addr_b32 v[23:24], v11 offset0:96 offset1:112
	s_waitcnt lgkmcnt(3)
	v_fmac_f32_e32 v10, v25, v17
	s_delay_alu instid0(VALU_DEP_1) | instskip(SKIP_4) | instid1(VALU_DEP_1)
	v_fmac_f32_e32 v10, v26, v18
	ds_load_2addr_b32 v[25:26], v11 offset0:128 offset1:144
	ds_load_b128 v[15:18], v12 offset:32
	s_waitcnt lgkmcnt(3)
	v_fmac_f32_e32 v10, v27, v19
	v_fmac_f32_e32 v10, v28, v20
	ds_load_2addr_b32 v[27:28], v11 offset0:160 offset1:176
	s_waitcnt lgkmcnt(3)
	v_fmac_f32_e32 v10, v23, v21
	s_delay_alu instid0(VALU_DEP_1) | instskip(SKIP_4) | instid1(VALU_DEP_1)
	v_fmac_f32_e32 v10, v24, v22
	ds_load_b128 v[19:22], v12 offset:48
	ds_load_2addr_b32 v[23:24], v11 offset0:192 offset1:208
	s_waitcnt lgkmcnt(3)
	v_fmac_f32_e32 v10, v25, v15
	v_fmac_f32_e32 v10, v26, v16
	ds_load_2addr_b32 v[15:16], v11 offset0:224 offset1:240
	s_waitcnt lgkmcnt(0)
	s_barrier
	buffer_gl0_inv
	v_fmac_f32_e32 v10, v27, v17
	s_delay_alu instid0(VALU_DEP_1) | instskip(NEXT) | instid1(VALU_DEP_1)
	v_fmac_f32_e32 v10, v28, v18
	v_fmac_f32_e32 v10, v23, v19
	s_delay_alu instid0(VALU_DEP_1) | instskip(NEXT) | instid1(VALU_DEP_1)
	v_fmac_f32_e32 v10, v24, v20
	v_fmac_f32_e32 v10, v15, v21
	s_delay_alu instid0(VALU_DEP_1)
	v_fmac_f32_e32 v10, v16, v22
	s_cbranch_vccnz .LBB1441_8
.LBB1441_3:                             ; =>This Inner Loop Header: Depth=1
	v_add_co_u32 v15, s14, v9, s12
	s_delay_alu instid0(VALU_DEP_1) | instskip(NEXT) | instid1(VALU_DEP_1)
	v_add_co_ci_u32_e64 v16, null, 0, s13, s14
	v_cmp_gt_i64_e32 vcc_lo, s[16:17], v[15:16]
	v_mov_b32_e32 v15, 0
	s_and_b32 s15, s3, vcc_lo
	s_delay_alu instid0(SALU_CYCLE_1)
	s_and_saveexec_b32 s14, s15
	s_cbranch_execz .LBB1441_5
; %bb.4:                                ;   in Loop: Header=BB1441_3 Depth=1
	global_load_b32 v15, v[6:7], off
.LBB1441_5:                             ;   in Loop: Header=BB1441_3 Depth=1
	s_or_b32 exec_lo, exec_lo, s14
	v_add_co_u32 v16, s14, v8, s12
	s_delay_alu instid0(VALU_DEP_1)
	v_add_co_ci_u32_e64 v17, null, 0, s13, s14
	s_waitcnt vmcnt(0)
	ds_store_b32 v13, v15
	v_cmp_gt_i64_e32 vcc_lo, s[16:17], v[16:17]
	v_mov_b32_e32 v16, 0
	s_and_b32 s15, s2, vcc_lo
	s_delay_alu instid0(SALU_CYCLE_1)
	s_and_saveexec_b32 s14, s15
	s_cbranch_execz .LBB1441_2
; %bb.6:                                ;   in Loop: Header=BB1441_3 Depth=1
	global_load_b32 v16, v[4:5], off
	s_branch .LBB1441_2
.LBB1441_7:
	v_mov_b32_e32 v10, 0
.LBB1441_8:
	v_cmp_le_i32_e32 vcc_lo, v0, v2
	v_cmp_gt_i32_e64 s2, s20, v2
	s_delay_alu instid0(VALU_DEP_1) | instskip(NEXT) | instid1(SALU_CYCLE_1)
	s_and_b32 s2, vcc_lo, s2
	s_and_saveexec_b32 s3, s2
	s_cbranch_execz .LBB1441_10
; %bb.9:
	v_mul_lo_u32 v5, v2, s7
	v_mul_lo_u32 v6, v3, s6
	v_mad_u64_u32 v[3:4], null, v2, s6, 0
	s_load_b32 s0, s[0:1], 0x10
	v_lshlrev_b64 v[0:1], 2, v[0:1]
	s_delay_alu instid0(VALU_DEP_2) | instskip(NEXT) | instid1(VALU_DEP_1)
	v_add3_u32 v4, v4, v5, v6
	v_lshlrev_b64 v[2:3], 2, v[3:4]
	s_waitcnt lgkmcnt(0)
	s_delay_alu instid0(VALU_DEP_1) | instskip(NEXT) | instid1(VALU_DEP_2)
	v_add_co_u32 v2, vcc_lo, s4, v2
	v_add_co_ci_u32_e32 v3, vcc_lo, s5, v3, vcc_lo
	v_mul_f32_e32 v4, s0, v10
	s_delay_alu instid0(VALU_DEP_3) | instskip(NEXT) | instid1(VALU_DEP_3)
	v_add_co_u32 v0, vcc_lo, v2, v0
	v_add_co_ci_u32_e32 v1, vcc_lo, v3, v1, vcc_lo
	global_store_b32 v[0:1], v4, off
.LBB1441_10:
	s_nop 0
	s_sendmsg sendmsg(MSG_DEALLOC_VGPRS)
	s_endpgm
	.section	.rodata,"a",@progbits
	.p2align	6, 0x0
	.amdhsa_kernel _ZL32rocblas_syrkx_herkx_small_kernelIlfLi16ELb1ELb0ELc78ELc85EKPKfKPfEviT_T0_PT6_S5_lS8_S5_lS6_PT7_S5_li
		.amdhsa_group_segment_fixed_size 2048
		.amdhsa_private_segment_fixed_size 0
		.amdhsa_kernarg_size 108
		.amdhsa_user_sgpr_count 13
		.amdhsa_user_sgpr_dispatch_ptr 0
		.amdhsa_user_sgpr_queue_ptr 0
		.amdhsa_user_sgpr_kernarg_segment_ptr 1
		.amdhsa_user_sgpr_dispatch_id 0
		.amdhsa_user_sgpr_private_segment_size 0
		.amdhsa_wavefront_size32 1
		.amdhsa_uses_dynamic_stack 0
		.amdhsa_enable_private_segment 0
		.amdhsa_system_sgpr_workgroup_id_x 1
		.amdhsa_system_sgpr_workgroup_id_y 1
		.amdhsa_system_sgpr_workgroup_id_z 1
		.amdhsa_system_sgpr_workgroup_info 0
		.amdhsa_system_vgpr_workitem_id 1
		.amdhsa_next_free_vgpr 29
		.amdhsa_next_free_sgpr 21
		.amdhsa_reserve_vcc 1
		.amdhsa_float_round_mode_32 0
		.amdhsa_float_round_mode_16_64 0
		.amdhsa_float_denorm_mode_32 3
		.amdhsa_float_denorm_mode_16_64 3
		.amdhsa_dx10_clamp 1
		.amdhsa_ieee_mode 1
		.amdhsa_fp16_overflow 0
		.amdhsa_workgroup_processor_mode 1
		.amdhsa_memory_ordered 1
		.amdhsa_forward_progress 0
		.amdhsa_shared_vgpr_count 0
		.amdhsa_exception_fp_ieee_invalid_op 0
		.amdhsa_exception_fp_denorm_src 0
		.amdhsa_exception_fp_ieee_div_zero 0
		.amdhsa_exception_fp_ieee_overflow 0
		.amdhsa_exception_fp_ieee_underflow 0
		.amdhsa_exception_fp_ieee_inexact 0
		.amdhsa_exception_int_div_zero 0
	.end_amdhsa_kernel
	.section	.text._ZL32rocblas_syrkx_herkx_small_kernelIlfLi16ELb1ELb0ELc78ELc85EKPKfKPfEviT_T0_PT6_S5_lS8_S5_lS6_PT7_S5_li,"axG",@progbits,_ZL32rocblas_syrkx_herkx_small_kernelIlfLi16ELb1ELb0ELc78ELc85EKPKfKPfEviT_T0_PT6_S5_lS8_S5_lS6_PT7_S5_li,comdat
.Lfunc_end1441:
	.size	_ZL32rocblas_syrkx_herkx_small_kernelIlfLi16ELb1ELb0ELc78ELc85EKPKfKPfEviT_T0_PT6_S5_lS8_S5_lS6_PT7_S5_li, .Lfunc_end1441-_ZL32rocblas_syrkx_herkx_small_kernelIlfLi16ELb1ELb0ELc78ELc85EKPKfKPfEviT_T0_PT6_S5_lS8_S5_lS6_PT7_S5_li
                                        ; -- End function
	.section	.AMDGPU.csdata,"",@progbits
; Kernel info:
; codeLenInByte = 968
; NumSgprs: 23
; NumVgprs: 29
; ScratchSize: 0
; MemoryBound: 0
; FloatMode: 240
; IeeeMode: 1
; LDSByteSize: 2048 bytes/workgroup (compile time only)
; SGPRBlocks: 2
; VGPRBlocks: 3
; NumSGPRsForWavesPerEU: 23
; NumVGPRsForWavesPerEU: 29
; Occupancy: 16
; WaveLimiterHint : 1
; COMPUTE_PGM_RSRC2:SCRATCH_EN: 0
; COMPUTE_PGM_RSRC2:USER_SGPR: 13
; COMPUTE_PGM_RSRC2:TRAP_HANDLER: 0
; COMPUTE_PGM_RSRC2:TGID_X_EN: 1
; COMPUTE_PGM_RSRC2:TGID_Y_EN: 1
; COMPUTE_PGM_RSRC2:TGID_Z_EN: 1
; COMPUTE_PGM_RSRC2:TIDIG_COMP_CNT: 1
	.section	.text._ZL32rocblas_syrkx_herkx_small_kernelIlfLi16ELb0ELb0ELc84ELc76EKPKfKPfEviT_T0_PT6_S5_lS8_S5_lS6_PT7_S5_li,"axG",@progbits,_ZL32rocblas_syrkx_herkx_small_kernelIlfLi16ELb0ELb0ELc84ELc76EKPKfKPfEviT_T0_PT6_S5_lS8_S5_lS6_PT7_S5_li,comdat
	.globl	_ZL32rocblas_syrkx_herkx_small_kernelIlfLi16ELb0ELb0ELc84ELc76EKPKfKPfEviT_T0_PT6_S5_lS8_S5_lS6_PT7_S5_li ; -- Begin function _ZL32rocblas_syrkx_herkx_small_kernelIlfLi16ELb0ELb0ELc84ELc76EKPKfKPfEviT_T0_PT6_S5_lS8_S5_lS6_PT7_S5_li
	.p2align	8
	.type	_ZL32rocblas_syrkx_herkx_small_kernelIlfLi16ELb0ELb0ELc84ELc76EKPKfKPfEviT_T0_PT6_S5_lS8_S5_lS6_PT7_S5_li,@function
_ZL32rocblas_syrkx_herkx_small_kernelIlfLi16ELb0ELb0ELc84ELc76EKPKfKPfEviT_T0_PT6_S5_lS8_S5_lS6_PT7_S5_li: ; @_ZL32rocblas_syrkx_herkx_small_kernelIlfLi16ELb0ELb0ELc84ELc76EKPKfKPfEviT_T0_PT6_S5_lS8_S5_lS6_PT7_S5_li
; %bb.0:
	s_clause 0x2
	s_load_b128 s[4:7], s[0:1], 0x50
	s_load_b64 s[8:9], s[0:1], 0x8
	s_load_b32 s12, s[0:1], 0x0
	s_mov_b32 s2, s15
	s_mov_b32 s3, 0
	v_and_b32_e32 v9, 0x3ff, v0
	s_lshl_b64 s[10:11], s[2:3], 3
	v_bfe_u32 v10, v0, 10, 10
	s_delay_alu instid0(VALU_DEP_2) | instskip(NEXT) | instid1(VALU_DEP_2)
	v_lshl_add_u32 v0, s13, 4, v9
	v_lshl_add_u32 v6, s14, 4, v10
	s_delay_alu instid0(VALU_DEP_2) | instskip(NEXT) | instid1(VALU_DEP_2)
	v_ashrrev_i32_e32 v1, 31, v0
	v_ashrrev_i32_e32 v8, 31, v6
	s_waitcnt lgkmcnt(0)
	s_add_u32 s2, s4, s10
	s_addc_u32 s3, s5, s11
	s_load_b64 s[4:5], s[2:3], 0x0
	v_cmp_lt_i64_e64 s2, s[8:9], 1
	s_delay_alu instid0(VALU_DEP_1)
	s_and_b32 vcc_lo, exec_lo, s2
	v_cmp_gt_i32_e64 s2, s12, v0
	s_cbranch_vccnz .LBB1442_7
; %bb.1:
	s_clause 0x1
	s_load_b128 s[16:19], s[0:1], 0x30
	s_load_b128 s[20:23], s[0:1], 0x18
	v_lshlrev_b32_e32 v11, 2, v9
	v_lshlrev_b32_e32 v13, 6, v10
	v_mov_b32_e32 v7, 0
	v_cmp_gt_i32_e64 s3, s12, v6
	s_waitcnt lgkmcnt(0)
	v_mul_lo_u32 v12, s19, v6
	v_mul_lo_u32 v14, s18, v8
	v_mad_u64_u32 v[2:3], null, s18, v6, 0
	s_add_u32 s14, s16, s10
	v_mul_lo_u32 v15, s23, v0
	v_mul_lo_u32 v16, s22, v1
	v_mad_u64_u32 v[4:5], null, s22, v0, 0
	s_addc_u32 s15, s17, s11
	s_add_u32 s10, s20, s10
	s_load_b64 s[14:15], s[14:15], 0x0
	s_addc_u32 s11, s21, s11
	v_add3_u32 v3, v3, v14, v12
	v_add_nc_u32_e32 v12, 0x400, v13
	s_load_b64 s[10:11], s[10:11], 0x0
	v_add3_u32 v5, v5, v16, v15
	v_lshlrev_b32_e32 v15, 2, v10
	v_lshlrev_b64 v[2:3], 2, v[2:3]
	v_add_nc_u32_e32 v13, v11, v13
	v_add_nc_u32_e32 v14, v12, v11
	v_lshlrev_b64 v[4:5], 2, v[4:5]
	s_delay_alu instid0(VALU_DEP_4) | instskip(SKIP_1) | instid1(VALU_DEP_3)
	v_add_co_u32 v2, vcc_lo, v2, v11
	v_add_co_ci_u32_e32 v3, vcc_lo, 0, v3, vcc_lo
	v_add_co_u32 v4, vcc_lo, v4, v15
	s_delay_alu instid0(VALU_DEP_4)
	v_add_co_ci_u32_e32 v5, vcc_lo, 0, v5, vcc_lo
	s_waitcnt lgkmcnt(0)
	v_add_co_u32 v2, vcc_lo, s14, v2
	v_add_co_ci_u32_e32 v3, vcc_lo, s15, v3, vcc_lo
	v_add_co_u32 v4, vcc_lo, s10, v4
	v_add_co_ci_u32_e32 v5, vcc_lo, s11, v5, vcc_lo
	s_mov_b64 s[10:11], 0
	s_branch .LBB1442_3
.LBB1442_2:                             ;   in Loop: Header=BB1442_3 Depth=1
	s_or_b32 exec_lo, exec_lo, s13
	s_waitcnt vmcnt(0)
	ds_store_b32 v14, v16
	s_waitcnt lgkmcnt(0)
	s_barrier
	buffer_gl0_inv
	ds_load_2addr_b32 v[23:24], v11 offset1:16
	ds_load_b128 v[15:18], v12
	ds_load_2addr_b32 v[25:26], v11 offset0:32 offset1:48
	ds_load_b128 v[19:22], v12 offset:16
	ds_load_2addr_b32 v[27:28], v11 offset0:64 offset1:80
	s_add_u32 s10, s10, 16
	s_addc_u32 s11, s11, 0
	v_add_co_u32 v2, vcc_lo, v2, 64
	v_add_co_ci_u32_e32 v3, vcc_lo, 0, v3, vcc_lo
	v_cmp_ge_i64_e64 s13, s[10:11], s[8:9]
	v_add_co_u32 v4, vcc_lo, v4, 64
	v_add_co_ci_u32_e32 v5, vcc_lo, 0, v5, vcc_lo
	s_delay_alu instid0(VALU_DEP_3) | instskip(SKIP_2) | instid1(VALU_DEP_1)
	s_and_b32 vcc_lo, exec_lo, s13
	s_waitcnt lgkmcnt(3)
	v_fmac_f32_e32 v7, v23, v15
	v_fmac_f32_e32 v7, v24, v16
	ds_load_2addr_b32 v[23:24], v11 offset0:96 offset1:112
	s_waitcnt lgkmcnt(3)
	v_fmac_f32_e32 v7, v25, v17
	s_delay_alu instid0(VALU_DEP_1) | instskip(SKIP_4) | instid1(VALU_DEP_1)
	v_fmac_f32_e32 v7, v26, v18
	ds_load_2addr_b32 v[25:26], v11 offset0:128 offset1:144
	ds_load_b128 v[15:18], v12 offset:32
	s_waitcnt lgkmcnt(3)
	v_fmac_f32_e32 v7, v27, v19
	v_fmac_f32_e32 v7, v28, v20
	ds_load_2addr_b32 v[27:28], v11 offset0:160 offset1:176
	s_waitcnt lgkmcnt(3)
	v_fmac_f32_e32 v7, v23, v21
	s_delay_alu instid0(VALU_DEP_1) | instskip(SKIP_4) | instid1(VALU_DEP_1)
	v_fmac_f32_e32 v7, v24, v22
	ds_load_b128 v[19:22], v12 offset:48
	ds_load_2addr_b32 v[23:24], v11 offset0:192 offset1:208
	s_waitcnt lgkmcnt(3)
	v_fmac_f32_e32 v7, v25, v15
	v_fmac_f32_e32 v7, v26, v16
	ds_load_2addr_b32 v[15:16], v11 offset0:224 offset1:240
	s_waitcnt lgkmcnt(0)
	s_barrier
	buffer_gl0_inv
	v_fmac_f32_e32 v7, v27, v17
	s_delay_alu instid0(VALU_DEP_1) | instskip(NEXT) | instid1(VALU_DEP_1)
	v_fmac_f32_e32 v7, v28, v18
	v_fmac_f32_e32 v7, v23, v19
	s_delay_alu instid0(VALU_DEP_1) | instskip(NEXT) | instid1(VALU_DEP_1)
	v_fmac_f32_e32 v7, v24, v20
	v_fmac_f32_e32 v7, v15, v21
	s_delay_alu instid0(VALU_DEP_1)
	v_fmac_f32_e32 v7, v16, v22
	s_cbranch_vccnz .LBB1442_8
.LBB1442_3:                             ; =>This Inner Loop Header: Depth=1
	v_add_co_u32 v15, s13, v10, s10
	s_delay_alu instid0(VALU_DEP_1) | instskip(NEXT) | instid1(VALU_DEP_1)
	v_add_co_ci_u32_e64 v16, null, 0, s11, s13
	v_cmp_gt_i64_e32 vcc_lo, s[8:9], v[15:16]
	v_mov_b32_e32 v15, 0
	s_and_b32 s14, s2, vcc_lo
	s_delay_alu instid0(SALU_CYCLE_1)
	s_and_saveexec_b32 s13, s14
	s_cbranch_execz .LBB1442_5
; %bb.4:                                ;   in Loop: Header=BB1442_3 Depth=1
	global_load_b32 v15, v[4:5], off
.LBB1442_5:                             ;   in Loop: Header=BB1442_3 Depth=1
	s_or_b32 exec_lo, exec_lo, s13
	v_add_co_u32 v16, s13, v9, s10
	s_delay_alu instid0(VALU_DEP_1)
	v_add_co_ci_u32_e64 v17, null, 0, s11, s13
	s_waitcnt vmcnt(0)
	ds_store_b32 v13, v15
	v_cmp_gt_i64_e32 vcc_lo, s[8:9], v[16:17]
	v_mov_b32_e32 v16, 0
	s_and_b32 s14, s3, vcc_lo
	s_delay_alu instid0(SALU_CYCLE_1)
	s_and_saveexec_b32 s13, s14
	s_cbranch_execz .LBB1442_2
; %bb.6:                                ;   in Loop: Header=BB1442_3 Depth=1
	global_load_b32 v16, v[2:3], off
	s_branch .LBB1442_2
.LBB1442_7:
	v_mov_b32_e32 v7, 0
.LBB1442_8:
	v_cmp_le_i32_e32 vcc_lo, v6, v0
	v_cmp_gt_i32_e64 s2, s12, v0
	s_delay_alu instid0(VALU_DEP_1) | instskip(NEXT) | instid1(SALU_CYCLE_1)
	s_and_b32 s2, vcc_lo, s2
	s_and_saveexec_b32 s3, s2
	s_cbranch_execz .LBB1442_10
; %bb.9:
	v_mul_lo_u32 v4, v6, s7
	v_mul_lo_u32 v5, v8, s6
	v_mad_u64_u32 v[2:3], null, v6, s6, 0
	v_lshlrev_b64 v[0:1], 2, v[0:1]
	s_delay_alu instid0(VALU_DEP_2) | instskip(NEXT) | instid1(VALU_DEP_1)
	v_add3_u32 v3, v3, v4, v5
	v_lshlrev_b64 v[2:3], 2, v[2:3]
	s_waitcnt lgkmcnt(0)
	s_delay_alu instid0(VALU_DEP_1) | instskip(NEXT) | instid1(VALU_DEP_2)
	v_add_co_u32 v2, vcc_lo, s4, v2
	v_add_co_ci_u32_e32 v3, vcc_lo, s5, v3, vcc_lo
	s_delay_alu instid0(VALU_DEP_2) | instskip(NEXT) | instid1(VALU_DEP_2)
	v_add_co_u32 v0, vcc_lo, v2, v0
	v_add_co_ci_u32_e32 v1, vcc_lo, v3, v1, vcc_lo
	global_load_b32 v2, v[0:1], off
	s_clause 0x1
	s_load_b32 s2, s[0:1], 0x48
	s_load_b32 s0, s[0:1], 0x10
	s_waitcnt vmcnt(0) lgkmcnt(0)
	v_mul_f32_e32 v2, s2, v2
	s_delay_alu instid0(VALU_DEP_1)
	v_fmac_f32_e32 v2, s0, v7
	global_store_b32 v[0:1], v2, off
.LBB1442_10:
	s_nop 0
	s_sendmsg sendmsg(MSG_DEALLOC_VGPRS)
	s_endpgm
	.section	.rodata,"a",@progbits
	.p2align	6, 0x0
	.amdhsa_kernel _ZL32rocblas_syrkx_herkx_small_kernelIlfLi16ELb0ELb0ELc84ELc76EKPKfKPfEviT_T0_PT6_S5_lS8_S5_lS6_PT7_S5_li
		.amdhsa_group_segment_fixed_size 2048
		.amdhsa_private_segment_fixed_size 0
		.amdhsa_kernarg_size 108
		.amdhsa_user_sgpr_count 13
		.amdhsa_user_sgpr_dispatch_ptr 0
		.amdhsa_user_sgpr_queue_ptr 0
		.amdhsa_user_sgpr_kernarg_segment_ptr 1
		.amdhsa_user_sgpr_dispatch_id 0
		.amdhsa_user_sgpr_private_segment_size 0
		.amdhsa_wavefront_size32 1
		.amdhsa_uses_dynamic_stack 0
		.amdhsa_enable_private_segment 0
		.amdhsa_system_sgpr_workgroup_id_x 1
		.amdhsa_system_sgpr_workgroup_id_y 1
		.amdhsa_system_sgpr_workgroup_id_z 1
		.amdhsa_system_sgpr_workgroup_info 0
		.amdhsa_system_vgpr_workitem_id 1
		.amdhsa_next_free_vgpr 29
		.amdhsa_next_free_sgpr 24
		.amdhsa_reserve_vcc 1
		.amdhsa_float_round_mode_32 0
		.amdhsa_float_round_mode_16_64 0
		.amdhsa_float_denorm_mode_32 3
		.amdhsa_float_denorm_mode_16_64 3
		.amdhsa_dx10_clamp 1
		.amdhsa_ieee_mode 1
		.amdhsa_fp16_overflow 0
		.amdhsa_workgroup_processor_mode 1
		.amdhsa_memory_ordered 1
		.amdhsa_forward_progress 0
		.amdhsa_shared_vgpr_count 0
		.amdhsa_exception_fp_ieee_invalid_op 0
		.amdhsa_exception_fp_denorm_src 0
		.amdhsa_exception_fp_ieee_div_zero 0
		.amdhsa_exception_fp_ieee_overflow 0
		.amdhsa_exception_fp_ieee_underflow 0
		.amdhsa_exception_fp_ieee_inexact 0
		.amdhsa_exception_int_div_zero 0
	.end_amdhsa_kernel
	.section	.text._ZL32rocblas_syrkx_herkx_small_kernelIlfLi16ELb0ELb0ELc84ELc76EKPKfKPfEviT_T0_PT6_S5_lS8_S5_lS6_PT7_S5_li,"axG",@progbits,_ZL32rocblas_syrkx_herkx_small_kernelIlfLi16ELb0ELb0ELc84ELc76EKPKfKPfEviT_T0_PT6_S5_lS8_S5_lS6_PT7_S5_li,comdat
.Lfunc_end1442:
	.size	_ZL32rocblas_syrkx_herkx_small_kernelIlfLi16ELb0ELb0ELc84ELc76EKPKfKPfEviT_T0_PT6_S5_lS8_S5_lS6_PT7_S5_li, .Lfunc_end1442-_ZL32rocblas_syrkx_herkx_small_kernelIlfLi16ELb0ELb0ELc84ELc76EKPKfKPfEviT_T0_PT6_S5_lS8_S5_lS6_PT7_S5_li
                                        ; -- End function
	.section	.AMDGPU.csdata,"",@progbits
; Kernel info:
; codeLenInByte = 988
; NumSgprs: 26
; NumVgprs: 29
; ScratchSize: 0
; MemoryBound: 0
; FloatMode: 240
; IeeeMode: 1
; LDSByteSize: 2048 bytes/workgroup (compile time only)
; SGPRBlocks: 3
; VGPRBlocks: 3
; NumSGPRsForWavesPerEU: 26
; NumVGPRsForWavesPerEU: 29
; Occupancy: 16
; WaveLimiterHint : 1
; COMPUTE_PGM_RSRC2:SCRATCH_EN: 0
; COMPUTE_PGM_RSRC2:USER_SGPR: 13
; COMPUTE_PGM_RSRC2:TRAP_HANDLER: 0
; COMPUTE_PGM_RSRC2:TGID_X_EN: 1
; COMPUTE_PGM_RSRC2:TGID_Y_EN: 1
; COMPUTE_PGM_RSRC2:TGID_Z_EN: 1
; COMPUTE_PGM_RSRC2:TIDIG_COMP_CNT: 1
	.section	.text._ZL32rocblas_syrkx_herkx_small_kernelIlfLi16ELb0ELb0ELc67ELc76EKPKfKPfEviT_T0_PT6_S5_lS8_S5_lS6_PT7_S5_li,"axG",@progbits,_ZL32rocblas_syrkx_herkx_small_kernelIlfLi16ELb0ELb0ELc67ELc76EKPKfKPfEviT_T0_PT6_S5_lS8_S5_lS6_PT7_S5_li,comdat
	.globl	_ZL32rocblas_syrkx_herkx_small_kernelIlfLi16ELb0ELb0ELc67ELc76EKPKfKPfEviT_T0_PT6_S5_lS8_S5_lS6_PT7_S5_li ; -- Begin function _ZL32rocblas_syrkx_herkx_small_kernelIlfLi16ELb0ELb0ELc67ELc76EKPKfKPfEviT_T0_PT6_S5_lS8_S5_lS6_PT7_S5_li
	.p2align	8
	.type	_ZL32rocblas_syrkx_herkx_small_kernelIlfLi16ELb0ELb0ELc67ELc76EKPKfKPfEviT_T0_PT6_S5_lS8_S5_lS6_PT7_S5_li,@function
_ZL32rocblas_syrkx_herkx_small_kernelIlfLi16ELb0ELb0ELc67ELc76EKPKfKPfEviT_T0_PT6_S5_lS8_S5_lS6_PT7_S5_li: ; @_ZL32rocblas_syrkx_herkx_small_kernelIlfLi16ELb0ELb0ELc67ELc76EKPKfKPfEviT_T0_PT6_S5_lS8_S5_lS6_PT7_S5_li
; %bb.0:
	s_clause 0x2
	s_load_b128 s[4:7], s[0:1], 0x50
	s_load_b64 s[8:9], s[0:1], 0x8
	s_load_b32 s12, s[0:1], 0x0
	s_mov_b32 s2, s15
	s_mov_b32 s3, 0
	v_and_b32_e32 v9, 0x3ff, v0
	s_lshl_b64 s[10:11], s[2:3], 3
	v_bfe_u32 v10, v0, 10, 10
	s_delay_alu instid0(VALU_DEP_2) | instskip(NEXT) | instid1(VALU_DEP_2)
	v_lshl_add_u32 v0, s13, 4, v9
	v_lshl_add_u32 v6, s14, 4, v10
	s_delay_alu instid0(VALU_DEP_2) | instskip(NEXT) | instid1(VALU_DEP_2)
	v_ashrrev_i32_e32 v1, 31, v0
	v_ashrrev_i32_e32 v8, 31, v6
	s_waitcnt lgkmcnt(0)
	s_add_u32 s2, s4, s10
	s_addc_u32 s3, s5, s11
	s_load_b64 s[4:5], s[2:3], 0x0
	v_cmp_lt_i64_e64 s2, s[8:9], 1
	s_delay_alu instid0(VALU_DEP_1)
	s_and_b32 vcc_lo, exec_lo, s2
	v_cmp_gt_i32_e64 s2, s12, v0
	s_cbranch_vccnz .LBB1443_7
; %bb.1:
	s_clause 0x1
	s_load_b128 s[16:19], s[0:1], 0x30
	s_load_b128 s[20:23], s[0:1], 0x18
	v_lshlrev_b32_e32 v11, 2, v9
	v_lshlrev_b32_e32 v13, 6, v10
	v_mov_b32_e32 v7, 0
	v_cmp_gt_i32_e64 s3, s12, v6
	s_waitcnt lgkmcnt(0)
	v_mul_lo_u32 v12, s19, v6
	v_mul_lo_u32 v14, s18, v8
	v_mad_u64_u32 v[2:3], null, s18, v6, 0
	s_add_u32 s14, s16, s10
	v_mul_lo_u32 v15, s23, v0
	v_mul_lo_u32 v16, s22, v1
	v_mad_u64_u32 v[4:5], null, s22, v0, 0
	s_addc_u32 s15, s17, s11
	s_add_u32 s10, s20, s10
	s_load_b64 s[14:15], s[14:15], 0x0
	s_addc_u32 s11, s21, s11
	v_add3_u32 v3, v3, v14, v12
	v_add_nc_u32_e32 v12, 0x400, v13
	s_load_b64 s[10:11], s[10:11], 0x0
	v_add3_u32 v5, v5, v16, v15
	v_lshlrev_b32_e32 v15, 2, v10
	v_lshlrev_b64 v[2:3], 2, v[2:3]
	v_add_nc_u32_e32 v13, v11, v13
	v_add_nc_u32_e32 v14, v12, v11
	v_lshlrev_b64 v[4:5], 2, v[4:5]
	s_delay_alu instid0(VALU_DEP_4) | instskip(SKIP_1) | instid1(VALU_DEP_3)
	v_add_co_u32 v2, vcc_lo, v2, v11
	v_add_co_ci_u32_e32 v3, vcc_lo, 0, v3, vcc_lo
	v_add_co_u32 v4, vcc_lo, v4, v15
	s_delay_alu instid0(VALU_DEP_4)
	v_add_co_ci_u32_e32 v5, vcc_lo, 0, v5, vcc_lo
	s_waitcnt lgkmcnt(0)
	v_add_co_u32 v2, vcc_lo, s14, v2
	v_add_co_ci_u32_e32 v3, vcc_lo, s15, v3, vcc_lo
	v_add_co_u32 v4, vcc_lo, s10, v4
	v_add_co_ci_u32_e32 v5, vcc_lo, s11, v5, vcc_lo
	s_mov_b64 s[10:11], 0
	s_branch .LBB1443_3
.LBB1443_2:                             ;   in Loop: Header=BB1443_3 Depth=1
	s_or_b32 exec_lo, exec_lo, s13
	s_waitcnt vmcnt(0)
	ds_store_b32 v14, v16
	s_waitcnt lgkmcnt(0)
	s_barrier
	buffer_gl0_inv
	ds_load_2addr_b32 v[23:24], v11 offset1:16
	ds_load_b128 v[15:18], v12
	ds_load_2addr_b32 v[25:26], v11 offset0:32 offset1:48
	ds_load_b128 v[19:22], v12 offset:16
	ds_load_2addr_b32 v[27:28], v11 offset0:64 offset1:80
	s_add_u32 s10, s10, 16
	s_addc_u32 s11, s11, 0
	v_add_co_u32 v2, vcc_lo, v2, 64
	v_add_co_ci_u32_e32 v3, vcc_lo, 0, v3, vcc_lo
	v_cmp_ge_i64_e64 s13, s[10:11], s[8:9]
	v_add_co_u32 v4, vcc_lo, v4, 64
	v_add_co_ci_u32_e32 v5, vcc_lo, 0, v5, vcc_lo
	s_delay_alu instid0(VALU_DEP_3) | instskip(SKIP_2) | instid1(VALU_DEP_1)
	s_and_b32 vcc_lo, exec_lo, s13
	s_waitcnt lgkmcnt(3)
	v_fmac_f32_e32 v7, v23, v15
	v_fmac_f32_e32 v7, v24, v16
	ds_load_2addr_b32 v[23:24], v11 offset0:96 offset1:112
	s_waitcnt lgkmcnt(3)
	v_fmac_f32_e32 v7, v25, v17
	s_delay_alu instid0(VALU_DEP_1) | instskip(SKIP_4) | instid1(VALU_DEP_1)
	v_fmac_f32_e32 v7, v26, v18
	ds_load_2addr_b32 v[25:26], v11 offset0:128 offset1:144
	ds_load_b128 v[15:18], v12 offset:32
	s_waitcnt lgkmcnt(3)
	v_fmac_f32_e32 v7, v27, v19
	v_fmac_f32_e32 v7, v28, v20
	ds_load_2addr_b32 v[27:28], v11 offset0:160 offset1:176
	s_waitcnt lgkmcnt(3)
	v_fmac_f32_e32 v7, v23, v21
	s_delay_alu instid0(VALU_DEP_1) | instskip(SKIP_4) | instid1(VALU_DEP_1)
	v_fmac_f32_e32 v7, v24, v22
	ds_load_b128 v[19:22], v12 offset:48
	ds_load_2addr_b32 v[23:24], v11 offset0:192 offset1:208
	s_waitcnt lgkmcnt(3)
	v_fmac_f32_e32 v7, v25, v15
	v_fmac_f32_e32 v7, v26, v16
	ds_load_2addr_b32 v[15:16], v11 offset0:224 offset1:240
	s_waitcnt lgkmcnt(0)
	s_barrier
	buffer_gl0_inv
	v_fmac_f32_e32 v7, v27, v17
	s_delay_alu instid0(VALU_DEP_1) | instskip(NEXT) | instid1(VALU_DEP_1)
	v_fmac_f32_e32 v7, v28, v18
	v_fmac_f32_e32 v7, v23, v19
	s_delay_alu instid0(VALU_DEP_1) | instskip(NEXT) | instid1(VALU_DEP_1)
	v_fmac_f32_e32 v7, v24, v20
	v_fmac_f32_e32 v7, v15, v21
	s_delay_alu instid0(VALU_DEP_1)
	v_fmac_f32_e32 v7, v16, v22
	s_cbranch_vccnz .LBB1443_8
.LBB1443_3:                             ; =>This Inner Loop Header: Depth=1
	v_add_co_u32 v15, s13, v10, s10
	s_delay_alu instid0(VALU_DEP_1) | instskip(NEXT) | instid1(VALU_DEP_1)
	v_add_co_ci_u32_e64 v16, null, 0, s11, s13
	v_cmp_gt_i64_e32 vcc_lo, s[8:9], v[15:16]
	v_mov_b32_e32 v15, 0
	s_and_b32 s14, s2, vcc_lo
	s_delay_alu instid0(SALU_CYCLE_1)
	s_and_saveexec_b32 s13, s14
	s_cbranch_execz .LBB1443_5
; %bb.4:                                ;   in Loop: Header=BB1443_3 Depth=1
	global_load_b32 v15, v[4:5], off
.LBB1443_5:                             ;   in Loop: Header=BB1443_3 Depth=1
	s_or_b32 exec_lo, exec_lo, s13
	v_add_co_u32 v16, s13, v9, s10
	s_delay_alu instid0(VALU_DEP_1)
	v_add_co_ci_u32_e64 v17, null, 0, s11, s13
	s_waitcnt vmcnt(0)
	ds_store_b32 v13, v15
	v_cmp_gt_i64_e32 vcc_lo, s[8:9], v[16:17]
	v_mov_b32_e32 v16, 0
	s_and_b32 s14, s3, vcc_lo
	s_delay_alu instid0(SALU_CYCLE_1)
	s_and_saveexec_b32 s13, s14
	s_cbranch_execz .LBB1443_2
; %bb.6:                                ;   in Loop: Header=BB1443_3 Depth=1
	global_load_b32 v16, v[2:3], off
	s_branch .LBB1443_2
.LBB1443_7:
	v_mov_b32_e32 v7, 0
.LBB1443_8:
	v_cmp_le_i32_e32 vcc_lo, v6, v0
	v_cmp_gt_i32_e64 s2, s12, v0
	s_delay_alu instid0(VALU_DEP_1) | instskip(NEXT) | instid1(SALU_CYCLE_1)
	s_and_b32 s2, vcc_lo, s2
	s_and_saveexec_b32 s3, s2
	s_cbranch_execz .LBB1443_10
; %bb.9:
	v_mul_lo_u32 v4, v6, s7
	v_mul_lo_u32 v5, v8, s6
	v_mad_u64_u32 v[2:3], null, v6, s6, 0
	v_lshlrev_b64 v[0:1], 2, v[0:1]
	s_delay_alu instid0(VALU_DEP_2) | instskip(NEXT) | instid1(VALU_DEP_1)
	v_add3_u32 v3, v3, v4, v5
	v_lshlrev_b64 v[2:3], 2, v[2:3]
	s_waitcnt lgkmcnt(0)
	s_delay_alu instid0(VALU_DEP_1) | instskip(NEXT) | instid1(VALU_DEP_2)
	v_add_co_u32 v2, vcc_lo, s4, v2
	v_add_co_ci_u32_e32 v3, vcc_lo, s5, v3, vcc_lo
	s_delay_alu instid0(VALU_DEP_2) | instskip(NEXT) | instid1(VALU_DEP_2)
	v_add_co_u32 v0, vcc_lo, v2, v0
	v_add_co_ci_u32_e32 v1, vcc_lo, v3, v1, vcc_lo
	global_load_b32 v2, v[0:1], off
	s_clause 0x1
	s_load_b32 s2, s[0:1], 0x48
	s_load_b32 s0, s[0:1], 0x10
	s_waitcnt vmcnt(0) lgkmcnt(0)
	v_mul_f32_e32 v2, s2, v2
	s_delay_alu instid0(VALU_DEP_1)
	v_fmac_f32_e32 v2, s0, v7
	global_store_b32 v[0:1], v2, off
.LBB1443_10:
	s_nop 0
	s_sendmsg sendmsg(MSG_DEALLOC_VGPRS)
	s_endpgm
	.section	.rodata,"a",@progbits
	.p2align	6, 0x0
	.amdhsa_kernel _ZL32rocblas_syrkx_herkx_small_kernelIlfLi16ELb0ELb0ELc67ELc76EKPKfKPfEviT_T0_PT6_S5_lS8_S5_lS6_PT7_S5_li
		.amdhsa_group_segment_fixed_size 2048
		.amdhsa_private_segment_fixed_size 0
		.amdhsa_kernarg_size 108
		.amdhsa_user_sgpr_count 13
		.amdhsa_user_sgpr_dispatch_ptr 0
		.amdhsa_user_sgpr_queue_ptr 0
		.amdhsa_user_sgpr_kernarg_segment_ptr 1
		.amdhsa_user_sgpr_dispatch_id 0
		.amdhsa_user_sgpr_private_segment_size 0
		.amdhsa_wavefront_size32 1
		.amdhsa_uses_dynamic_stack 0
		.amdhsa_enable_private_segment 0
		.amdhsa_system_sgpr_workgroup_id_x 1
		.amdhsa_system_sgpr_workgroup_id_y 1
		.amdhsa_system_sgpr_workgroup_id_z 1
		.amdhsa_system_sgpr_workgroup_info 0
		.amdhsa_system_vgpr_workitem_id 1
		.amdhsa_next_free_vgpr 29
		.amdhsa_next_free_sgpr 24
		.amdhsa_reserve_vcc 1
		.amdhsa_float_round_mode_32 0
		.amdhsa_float_round_mode_16_64 0
		.amdhsa_float_denorm_mode_32 3
		.amdhsa_float_denorm_mode_16_64 3
		.amdhsa_dx10_clamp 1
		.amdhsa_ieee_mode 1
		.amdhsa_fp16_overflow 0
		.amdhsa_workgroup_processor_mode 1
		.amdhsa_memory_ordered 1
		.amdhsa_forward_progress 0
		.amdhsa_shared_vgpr_count 0
		.amdhsa_exception_fp_ieee_invalid_op 0
		.amdhsa_exception_fp_denorm_src 0
		.amdhsa_exception_fp_ieee_div_zero 0
		.amdhsa_exception_fp_ieee_overflow 0
		.amdhsa_exception_fp_ieee_underflow 0
		.amdhsa_exception_fp_ieee_inexact 0
		.amdhsa_exception_int_div_zero 0
	.end_amdhsa_kernel
	.section	.text._ZL32rocblas_syrkx_herkx_small_kernelIlfLi16ELb0ELb0ELc67ELc76EKPKfKPfEviT_T0_PT6_S5_lS8_S5_lS6_PT7_S5_li,"axG",@progbits,_ZL32rocblas_syrkx_herkx_small_kernelIlfLi16ELb0ELb0ELc67ELc76EKPKfKPfEviT_T0_PT6_S5_lS8_S5_lS6_PT7_S5_li,comdat
.Lfunc_end1443:
	.size	_ZL32rocblas_syrkx_herkx_small_kernelIlfLi16ELb0ELb0ELc67ELc76EKPKfKPfEviT_T0_PT6_S5_lS8_S5_lS6_PT7_S5_li, .Lfunc_end1443-_ZL32rocblas_syrkx_herkx_small_kernelIlfLi16ELb0ELb0ELc67ELc76EKPKfKPfEviT_T0_PT6_S5_lS8_S5_lS6_PT7_S5_li
                                        ; -- End function
	.section	.AMDGPU.csdata,"",@progbits
; Kernel info:
; codeLenInByte = 988
; NumSgprs: 26
; NumVgprs: 29
; ScratchSize: 0
; MemoryBound: 0
; FloatMode: 240
; IeeeMode: 1
; LDSByteSize: 2048 bytes/workgroup (compile time only)
; SGPRBlocks: 3
; VGPRBlocks: 3
; NumSGPRsForWavesPerEU: 26
; NumVGPRsForWavesPerEU: 29
; Occupancy: 16
; WaveLimiterHint : 1
; COMPUTE_PGM_RSRC2:SCRATCH_EN: 0
; COMPUTE_PGM_RSRC2:USER_SGPR: 13
; COMPUTE_PGM_RSRC2:TRAP_HANDLER: 0
; COMPUTE_PGM_RSRC2:TGID_X_EN: 1
; COMPUTE_PGM_RSRC2:TGID_Y_EN: 1
; COMPUTE_PGM_RSRC2:TGID_Z_EN: 1
; COMPUTE_PGM_RSRC2:TIDIG_COMP_CNT: 1
	.section	.text._ZL32rocblas_syrkx_herkx_small_kernelIlfLi16ELb0ELb0ELc78ELc76EKPKfKPfEviT_T0_PT6_S5_lS8_S5_lS6_PT7_S5_li,"axG",@progbits,_ZL32rocblas_syrkx_herkx_small_kernelIlfLi16ELb0ELb0ELc78ELc76EKPKfKPfEviT_T0_PT6_S5_lS8_S5_lS6_PT7_S5_li,comdat
	.globl	_ZL32rocblas_syrkx_herkx_small_kernelIlfLi16ELb0ELb0ELc78ELc76EKPKfKPfEviT_T0_PT6_S5_lS8_S5_lS6_PT7_S5_li ; -- Begin function _ZL32rocblas_syrkx_herkx_small_kernelIlfLi16ELb0ELb0ELc78ELc76EKPKfKPfEviT_T0_PT6_S5_lS8_S5_lS6_PT7_S5_li
	.p2align	8
	.type	_ZL32rocblas_syrkx_herkx_small_kernelIlfLi16ELb0ELb0ELc78ELc76EKPKfKPfEviT_T0_PT6_S5_lS8_S5_lS6_PT7_S5_li,@function
_ZL32rocblas_syrkx_herkx_small_kernelIlfLi16ELb0ELb0ELc78ELc76EKPKfKPfEviT_T0_PT6_S5_lS8_S5_lS6_PT7_S5_li: ; @_ZL32rocblas_syrkx_herkx_small_kernelIlfLi16ELb0ELb0ELc78ELc76EKPKfKPfEviT_T0_PT6_S5_lS8_S5_lS6_PT7_S5_li
; %bb.0:
	s_clause 0x2
	s_load_b128 s[4:7], s[0:1], 0x50
	s_load_b64 s[16:17], s[0:1], 0x8
	s_load_b32 s20, s[0:1], 0x0
	s_mov_b32 s2, s15
	s_mov_b32 s3, 0
	v_and_b32_e32 v8, 0x3ff, v0
	s_lshl_b64 s[18:19], s[2:3], 3
	v_bfe_u32 v9, v0, 10, 10
	s_delay_alu instid0(VALU_DEP_2) | instskip(NEXT) | instid1(VALU_DEP_2)
	v_lshl_add_u32 v0, s13, 4, v8
	v_lshl_add_u32 v2, s14, 4, v9
	s_delay_alu instid0(VALU_DEP_2) | instskip(NEXT) | instid1(VALU_DEP_2)
	v_ashrrev_i32_e32 v1, 31, v0
	v_ashrrev_i32_e32 v3, 31, v2
	s_waitcnt lgkmcnt(0)
	s_add_u32 s2, s4, s18
	s_addc_u32 s3, s5, s19
	s_load_b64 s[4:5], s[2:3], 0x0
	v_cmp_lt_i64_e64 s2, s[16:17], 1
	s_delay_alu instid0(VALU_DEP_1)
	s_and_b32 vcc_lo, exec_lo, s2
	v_cmp_gt_i32_e64 s2, s20, v0
	s_cbranch_vccnz .LBB1444_7
; %bb.1:
	s_clause 0x1
	s_load_b128 s[12:15], s[0:1], 0x30
	s_load_b128 s[8:11], s[0:1], 0x18
	v_dual_mov_b32 v10, 0 :: v_dual_lshlrev_b32 v19, 6, v9
	v_lshlrev_b32_e32 v11, 2, v8
	v_lshlrev_b64 v[15:16], 2, v[2:3]
	v_lshlrev_b64 v[17:18], 2, v[0:1]
	v_cmp_gt_i32_e64 s3, s20, v2
	s_waitcnt lgkmcnt(0)
	v_mad_u64_u32 v[4:5], null, s14, v8, 0
	v_mad_u64_u32 v[6:7], null, s10, v9, 0
	s_add_u32 s12, s12, s18
	s_addc_u32 s13, s13, s19
	s_add_u32 s8, s8, s18
	s_load_b64 s[12:13], s[12:13], 0x0
	s_addc_u32 s9, s9, s19
	s_delay_alu instid0(VALU_DEP_1) | instskip(NEXT) | instid1(VALU_DEP_2)
	v_mad_u64_u32 v[12:13], null, s15, v8, v[5:6]
	v_mad_u64_u32 v[13:14], null, s11, v9, v[7:8]
	s_load_b64 s[8:9], s[8:9], 0x0
	s_lshl_b64 s[10:11], s[10:11], 6
	s_delay_alu instid0(VALU_DEP_2) | instskip(NEXT) | instid1(VALU_DEP_2)
	v_dual_mov_b32 v5, v12 :: v_dual_add_nc_u32 v12, 0x400, v19
	v_mov_b32_e32 v7, v13
	v_add_nc_u32_e32 v13, v11, v19
	s_delay_alu instid0(VALU_DEP_3) | instskip(NEXT) | instid1(VALU_DEP_4)
	v_lshlrev_b64 v[4:5], 2, v[4:5]
	v_add_nc_u32_e32 v14, v12, v11
	s_delay_alu instid0(VALU_DEP_4) | instskip(NEXT) | instid1(VALU_DEP_3)
	v_lshlrev_b64 v[6:7], 2, v[6:7]
	v_add_co_u32 v4, vcc_lo, v4, v15
	s_delay_alu instid0(VALU_DEP_4) | instskip(NEXT) | instid1(VALU_DEP_3)
	v_add_co_ci_u32_e32 v5, vcc_lo, v5, v16, vcc_lo
	v_add_co_u32 v6, vcc_lo, v6, v17
	s_delay_alu instid0(VALU_DEP_4)
	v_add_co_ci_u32_e32 v7, vcc_lo, v7, v18, vcc_lo
	s_waitcnt lgkmcnt(0)
	v_add_co_u32 v4, vcc_lo, s12, v4
	v_add_co_ci_u32_e32 v5, vcc_lo, s13, v5, vcc_lo
	v_add_co_u32 v6, vcc_lo, s8, v6
	v_add_co_ci_u32_e32 v7, vcc_lo, s9, v7, vcc_lo
	s_lshl_b64 s[8:9], s[14:15], 6
	s_mov_b64 s[12:13], 0
	s_branch .LBB1444_3
.LBB1444_2:                             ;   in Loop: Header=BB1444_3 Depth=1
	s_or_b32 exec_lo, exec_lo, s14
	s_waitcnt vmcnt(0)
	ds_store_b32 v14, v16
	s_waitcnt lgkmcnt(0)
	s_barrier
	buffer_gl0_inv
	ds_load_2addr_b32 v[23:24], v11 offset1:16
	ds_load_b128 v[15:18], v12
	ds_load_2addr_b32 v[25:26], v11 offset0:32 offset1:48
	ds_load_b128 v[19:22], v12 offset:16
	ds_load_2addr_b32 v[27:28], v11 offset0:64 offset1:80
	s_add_u32 s12, s12, 16
	s_addc_u32 s13, s13, 0
	v_add_co_u32 v4, vcc_lo, v4, s8
	v_add_co_ci_u32_e32 v5, vcc_lo, s9, v5, vcc_lo
	v_cmp_ge_i64_e64 s14, s[12:13], s[16:17]
	v_add_co_u32 v6, vcc_lo, v6, s10
	v_add_co_ci_u32_e32 v7, vcc_lo, s11, v7, vcc_lo
	s_delay_alu instid0(VALU_DEP_3) | instskip(SKIP_2) | instid1(VALU_DEP_1)
	s_and_b32 vcc_lo, exec_lo, s14
	s_waitcnt lgkmcnt(3)
	v_fmac_f32_e32 v10, v23, v15
	v_fmac_f32_e32 v10, v24, v16
	ds_load_2addr_b32 v[23:24], v11 offset0:96 offset1:112
	s_waitcnt lgkmcnt(3)
	v_fmac_f32_e32 v10, v25, v17
	s_delay_alu instid0(VALU_DEP_1) | instskip(SKIP_4) | instid1(VALU_DEP_1)
	v_fmac_f32_e32 v10, v26, v18
	ds_load_2addr_b32 v[25:26], v11 offset0:128 offset1:144
	ds_load_b128 v[15:18], v12 offset:32
	s_waitcnt lgkmcnt(3)
	v_fmac_f32_e32 v10, v27, v19
	v_fmac_f32_e32 v10, v28, v20
	ds_load_2addr_b32 v[27:28], v11 offset0:160 offset1:176
	s_waitcnt lgkmcnt(3)
	v_fmac_f32_e32 v10, v23, v21
	s_delay_alu instid0(VALU_DEP_1) | instskip(SKIP_4) | instid1(VALU_DEP_1)
	v_fmac_f32_e32 v10, v24, v22
	ds_load_b128 v[19:22], v12 offset:48
	ds_load_2addr_b32 v[23:24], v11 offset0:192 offset1:208
	s_waitcnt lgkmcnt(3)
	v_fmac_f32_e32 v10, v25, v15
	v_fmac_f32_e32 v10, v26, v16
	ds_load_2addr_b32 v[15:16], v11 offset0:224 offset1:240
	s_waitcnt lgkmcnt(0)
	s_barrier
	buffer_gl0_inv
	v_fmac_f32_e32 v10, v27, v17
	s_delay_alu instid0(VALU_DEP_1) | instskip(NEXT) | instid1(VALU_DEP_1)
	v_fmac_f32_e32 v10, v28, v18
	v_fmac_f32_e32 v10, v23, v19
	s_delay_alu instid0(VALU_DEP_1) | instskip(NEXT) | instid1(VALU_DEP_1)
	v_fmac_f32_e32 v10, v24, v20
	v_fmac_f32_e32 v10, v15, v21
	s_delay_alu instid0(VALU_DEP_1)
	v_fmac_f32_e32 v10, v16, v22
	s_cbranch_vccnz .LBB1444_8
.LBB1444_3:                             ; =>This Inner Loop Header: Depth=1
	v_add_co_u32 v15, s14, v9, s12
	s_delay_alu instid0(VALU_DEP_1) | instskip(NEXT) | instid1(VALU_DEP_1)
	v_add_co_ci_u32_e64 v16, null, 0, s13, s14
	v_cmp_gt_i64_e32 vcc_lo, s[16:17], v[15:16]
	v_mov_b32_e32 v15, 0
	s_and_b32 s15, s2, vcc_lo
	s_delay_alu instid0(SALU_CYCLE_1)
	s_and_saveexec_b32 s14, s15
	s_cbranch_execz .LBB1444_5
; %bb.4:                                ;   in Loop: Header=BB1444_3 Depth=1
	global_load_b32 v15, v[6:7], off
.LBB1444_5:                             ;   in Loop: Header=BB1444_3 Depth=1
	s_or_b32 exec_lo, exec_lo, s14
	v_add_co_u32 v16, s14, v8, s12
	s_delay_alu instid0(VALU_DEP_1)
	v_add_co_ci_u32_e64 v17, null, 0, s13, s14
	s_waitcnt vmcnt(0)
	ds_store_b32 v13, v15
	v_cmp_gt_i64_e32 vcc_lo, s[16:17], v[16:17]
	v_mov_b32_e32 v16, 0
	s_and_b32 s15, s3, vcc_lo
	s_delay_alu instid0(SALU_CYCLE_1)
	s_and_saveexec_b32 s14, s15
	s_cbranch_execz .LBB1444_2
; %bb.6:                                ;   in Loop: Header=BB1444_3 Depth=1
	global_load_b32 v16, v[4:5], off
	s_branch .LBB1444_2
.LBB1444_7:
	v_mov_b32_e32 v10, 0
.LBB1444_8:
	v_cmp_le_i32_e32 vcc_lo, v2, v0
	v_cmp_gt_i32_e64 s2, s20, v0
	s_delay_alu instid0(VALU_DEP_1) | instskip(NEXT) | instid1(SALU_CYCLE_1)
	s_and_b32 s2, vcc_lo, s2
	s_and_saveexec_b32 s3, s2
	s_cbranch_execz .LBB1444_10
; %bb.9:
	v_mul_lo_u32 v5, v2, s7
	v_mul_lo_u32 v6, v3, s6
	v_mad_u64_u32 v[3:4], null, v2, s6, 0
	v_lshlrev_b64 v[0:1], 2, v[0:1]
	s_delay_alu instid0(VALU_DEP_2) | instskip(NEXT) | instid1(VALU_DEP_1)
	v_add3_u32 v4, v4, v5, v6
	v_lshlrev_b64 v[2:3], 2, v[3:4]
	s_waitcnt lgkmcnt(0)
	s_delay_alu instid0(VALU_DEP_1) | instskip(NEXT) | instid1(VALU_DEP_2)
	v_add_co_u32 v2, vcc_lo, s4, v2
	v_add_co_ci_u32_e32 v3, vcc_lo, s5, v3, vcc_lo
	s_delay_alu instid0(VALU_DEP_2) | instskip(NEXT) | instid1(VALU_DEP_2)
	v_add_co_u32 v0, vcc_lo, v2, v0
	v_add_co_ci_u32_e32 v1, vcc_lo, v3, v1, vcc_lo
	global_load_b32 v2, v[0:1], off
	s_clause 0x1
	s_load_b32 s2, s[0:1], 0x48
	s_load_b32 s0, s[0:1], 0x10
	s_waitcnt vmcnt(0) lgkmcnt(0)
	v_mul_f32_e32 v2, s2, v2
	s_delay_alu instid0(VALU_DEP_1)
	v_fmac_f32_e32 v2, s0, v10
	global_store_b32 v[0:1], v2, off
.LBB1444_10:
	s_nop 0
	s_sendmsg sendmsg(MSG_DEALLOC_VGPRS)
	s_endpgm
	.section	.rodata,"a",@progbits
	.p2align	6, 0x0
	.amdhsa_kernel _ZL32rocblas_syrkx_herkx_small_kernelIlfLi16ELb0ELb0ELc78ELc76EKPKfKPfEviT_T0_PT6_S5_lS8_S5_lS6_PT7_S5_li
		.amdhsa_group_segment_fixed_size 2048
		.amdhsa_private_segment_fixed_size 0
		.amdhsa_kernarg_size 108
		.amdhsa_user_sgpr_count 13
		.amdhsa_user_sgpr_dispatch_ptr 0
		.amdhsa_user_sgpr_queue_ptr 0
		.amdhsa_user_sgpr_kernarg_segment_ptr 1
		.amdhsa_user_sgpr_dispatch_id 0
		.amdhsa_user_sgpr_private_segment_size 0
		.amdhsa_wavefront_size32 1
		.amdhsa_uses_dynamic_stack 0
		.amdhsa_enable_private_segment 0
		.amdhsa_system_sgpr_workgroup_id_x 1
		.amdhsa_system_sgpr_workgroup_id_y 1
		.amdhsa_system_sgpr_workgroup_id_z 1
		.amdhsa_system_sgpr_workgroup_info 0
		.amdhsa_system_vgpr_workitem_id 1
		.amdhsa_next_free_vgpr 29
		.amdhsa_next_free_sgpr 21
		.amdhsa_reserve_vcc 1
		.amdhsa_float_round_mode_32 0
		.amdhsa_float_round_mode_16_64 0
		.amdhsa_float_denorm_mode_32 3
		.amdhsa_float_denorm_mode_16_64 3
		.amdhsa_dx10_clamp 1
		.amdhsa_ieee_mode 1
		.amdhsa_fp16_overflow 0
		.amdhsa_workgroup_processor_mode 1
		.amdhsa_memory_ordered 1
		.amdhsa_forward_progress 0
		.amdhsa_shared_vgpr_count 0
		.amdhsa_exception_fp_ieee_invalid_op 0
		.amdhsa_exception_fp_denorm_src 0
		.amdhsa_exception_fp_ieee_div_zero 0
		.amdhsa_exception_fp_ieee_overflow 0
		.amdhsa_exception_fp_ieee_underflow 0
		.amdhsa_exception_fp_ieee_inexact 0
		.amdhsa_exception_int_div_zero 0
	.end_amdhsa_kernel
	.section	.text._ZL32rocblas_syrkx_herkx_small_kernelIlfLi16ELb0ELb0ELc78ELc76EKPKfKPfEviT_T0_PT6_S5_lS8_S5_lS6_PT7_S5_li,"axG",@progbits,_ZL32rocblas_syrkx_herkx_small_kernelIlfLi16ELb0ELb0ELc78ELc76EKPKfKPfEviT_T0_PT6_S5_lS8_S5_lS6_PT7_S5_li,comdat
.Lfunc_end1444:
	.size	_ZL32rocblas_syrkx_herkx_small_kernelIlfLi16ELb0ELb0ELc78ELc76EKPKfKPfEviT_T0_PT6_S5_lS8_S5_lS6_PT7_S5_li, .Lfunc_end1444-_ZL32rocblas_syrkx_herkx_small_kernelIlfLi16ELb0ELb0ELc78ELc76EKPKfKPfEviT_T0_PT6_S5_lS8_S5_lS6_PT7_S5_li
                                        ; -- End function
	.section	.AMDGPU.csdata,"",@progbits
; Kernel info:
; codeLenInByte = 1000
; NumSgprs: 23
; NumVgprs: 29
; ScratchSize: 0
; MemoryBound: 0
; FloatMode: 240
; IeeeMode: 1
; LDSByteSize: 2048 bytes/workgroup (compile time only)
; SGPRBlocks: 2
; VGPRBlocks: 3
; NumSGPRsForWavesPerEU: 23
; NumVGPRsForWavesPerEU: 29
; Occupancy: 16
; WaveLimiterHint : 1
; COMPUTE_PGM_RSRC2:SCRATCH_EN: 0
; COMPUTE_PGM_RSRC2:USER_SGPR: 13
; COMPUTE_PGM_RSRC2:TRAP_HANDLER: 0
; COMPUTE_PGM_RSRC2:TGID_X_EN: 1
; COMPUTE_PGM_RSRC2:TGID_Y_EN: 1
; COMPUTE_PGM_RSRC2:TGID_Z_EN: 1
; COMPUTE_PGM_RSRC2:TIDIG_COMP_CNT: 1
	.section	.text._ZL32rocblas_syrkx_herkx_small_kernelIlfLi16ELb0ELb0ELc84ELc85EKPKfKPfEviT_T0_PT6_S5_lS8_S5_lS6_PT7_S5_li,"axG",@progbits,_ZL32rocblas_syrkx_herkx_small_kernelIlfLi16ELb0ELb0ELc84ELc85EKPKfKPfEviT_T0_PT6_S5_lS8_S5_lS6_PT7_S5_li,comdat
	.globl	_ZL32rocblas_syrkx_herkx_small_kernelIlfLi16ELb0ELb0ELc84ELc85EKPKfKPfEviT_T0_PT6_S5_lS8_S5_lS6_PT7_S5_li ; -- Begin function _ZL32rocblas_syrkx_herkx_small_kernelIlfLi16ELb0ELb0ELc84ELc85EKPKfKPfEviT_T0_PT6_S5_lS8_S5_lS6_PT7_S5_li
	.p2align	8
	.type	_ZL32rocblas_syrkx_herkx_small_kernelIlfLi16ELb0ELb0ELc84ELc85EKPKfKPfEviT_T0_PT6_S5_lS8_S5_lS6_PT7_S5_li,@function
_ZL32rocblas_syrkx_herkx_small_kernelIlfLi16ELb0ELb0ELc84ELc85EKPKfKPfEviT_T0_PT6_S5_lS8_S5_lS6_PT7_S5_li: ; @_ZL32rocblas_syrkx_herkx_small_kernelIlfLi16ELb0ELb0ELc84ELc85EKPKfKPfEviT_T0_PT6_S5_lS8_S5_lS6_PT7_S5_li
; %bb.0:
	s_clause 0x1
	s_load_b128 s[4:7], s[0:1], 0x50
	s_load_b64 s[8:9], s[0:1], 0x8
	s_mov_b32 s2, s15
	s_mov_b32 s3, 0
	s_load_b32 s12, s[0:1], 0x0
	s_lshl_b64 s[10:11], s[2:3], 3
	v_and_b32_e32 v9, 0x3ff, v0
	v_bfe_u32 v10, v0, 10, 10
	s_delay_alu instid0(VALU_DEP_2) | instskip(NEXT) | instid1(VALU_DEP_2)
	v_lshl_add_u32 v0, s13, 4, v9
	v_lshl_add_u32 v6, s14, 4, v10
	s_delay_alu instid0(VALU_DEP_2) | instskip(NEXT) | instid1(VALU_DEP_2)
	v_ashrrev_i32_e32 v1, 31, v0
	v_ashrrev_i32_e32 v8, 31, v6
	s_waitcnt lgkmcnt(0)
	s_add_u32 s2, s4, s10
	s_addc_u32 s3, s5, s11
	s_load_b64 s[4:5], s[2:3], 0x0
	v_cmp_lt_i64_e64 s2, s[8:9], 1
	s_delay_alu instid0(VALU_DEP_1)
	s_and_b32 vcc_lo, exec_lo, s2
	v_cmp_gt_i32_e64 s2, s12, v6
	s_cbranch_vccnz .LBB1445_7
; %bb.1:
	s_clause 0x1
	s_load_b128 s[16:19], s[0:1], 0x30
	s_load_b128 s[20:23], s[0:1], 0x18
	v_lshlrev_b32_e32 v11, 2, v9
	v_lshlrev_b32_e32 v13, 6, v10
	v_mov_b32_e32 v7, 0
	v_cmp_gt_i32_e64 s3, s12, v0
	s_waitcnt lgkmcnt(0)
	v_mul_lo_u32 v12, s19, v6
	v_mul_lo_u32 v14, s18, v8
	v_mad_u64_u32 v[2:3], null, s18, v6, 0
	s_add_u32 s14, s16, s10
	v_mul_lo_u32 v15, s23, v0
	v_mul_lo_u32 v16, s22, v1
	v_mad_u64_u32 v[4:5], null, s22, v0, 0
	s_addc_u32 s15, s17, s11
	s_add_u32 s10, s20, s10
	s_load_b64 s[14:15], s[14:15], 0x0
	s_addc_u32 s11, s21, s11
	v_add3_u32 v3, v3, v14, v12
	v_add_nc_u32_e32 v12, 0x400, v13
	s_load_b64 s[10:11], s[10:11], 0x0
	v_add3_u32 v5, v5, v16, v15
	v_lshlrev_b32_e32 v15, 2, v10
	v_lshlrev_b64 v[2:3], 2, v[2:3]
	v_add_nc_u32_e32 v13, v11, v13
	v_add_nc_u32_e32 v14, v12, v11
	v_lshlrev_b64 v[4:5], 2, v[4:5]
	s_delay_alu instid0(VALU_DEP_4) | instskip(SKIP_1) | instid1(VALU_DEP_3)
	v_add_co_u32 v2, vcc_lo, v2, v11
	v_add_co_ci_u32_e32 v3, vcc_lo, 0, v3, vcc_lo
	v_add_co_u32 v4, vcc_lo, v4, v15
	s_delay_alu instid0(VALU_DEP_4)
	v_add_co_ci_u32_e32 v5, vcc_lo, 0, v5, vcc_lo
	s_waitcnt lgkmcnt(0)
	v_add_co_u32 v2, vcc_lo, s14, v2
	v_add_co_ci_u32_e32 v3, vcc_lo, s15, v3, vcc_lo
	v_add_co_u32 v4, vcc_lo, s10, v4
	v_add_co_ci_u32_e32 v5, vcc_lo, s11, v5, vcc_lo
	s_mov_b64 s[10:11], 0
	s_branch .LBB1445_3
.LBB1445_2:                             ;   in Loop: Header=BB1445_3 Depth=1
	s_or_b32 exec_lo, exec_lo, s13
	s_waitcnt vmcnt(0)
	ds_store_b32 v14, v16
	s_waitcnt lgkmcnt(0)
	s_barrier
	buffer_gl0_inv
	ds_load_2addr_b32 v[23:24], v11 offset1:16
	ds_load_b128 v[15:18], v12
	ds_load_2addr_b32 v[25:26], v11 offset0:32 offset1:48
	ds_load_b128 v[19:22], v12 offset:16
	ds_load_2addr_b32 v[27:28], v11 offset0:64 offset1:80
	s_add_u32 s10, s10, 16
	s_addc_u32 s11, s11, 0
	v_add_co_u32 v2, vcc_lo, v2, 64
	v_add_co_ci_u32_e32 v3, vcc_lo, 0, v3, vcc_lo
	v_cmp_ge_i64_e64 s13, s[10:11], s[8:9]
	v_add_co_u32 v4, vcc_lo, v4, 64
	v_add_co_ci_u32_e32 v5, vcc_lo, 0, v5, vcc_lo
	s_delay_alu instid0(VALU_DEP_3) | instskip(SKIP_2) | instid1(VALU_DEP_1)
	s_and_b32 vcc_lo, exec_lo, s13
	s_waitcnt lgkmcnt(3)
	v_fmac_f32_e32 v7, v23, v15
	v_fmac_f32_e32 v7, v24, v16
	ds_load_2addr_b32 v[23:24], v11 offset0:96 offset1:112
	s_waitcnt lgkmcnt(3)
	v_fmac_f32_e32 v7, v25, v17
	s_delay_alu instid0(VALU_DEP_1) | instskip(SKIP_4) | instid1(VALU_DEP_1)
	v_fmac_f32_e32 v7, v26, v18
	ds_load_2addr_b32 v[25:26], v11 offset0:128 offset1:144
	ds_load_b128 v[15:18], v12 offset:32
	s_waitcnt lgkmcnt(3)
	v_fmac_f32_e32 v7, v27, v19
	v_fmac_f32_e32 v7, v28, v20
	ds_load_2addr_b32 v[27:28], v11 offset0:160 offset1:176
	s_waitcnt lgkmcnt(3)
	v_fmac_f32_e32 v7, v23, v21
	s_delay_alu instid0(VALU_DEP_1) | instskip(SKIP_4) | instid1(VALU_DEP_1)
	v_fmac_f32_e32 v7, v24, v22
	ds_load_b128 v[19:22], v12 offset:48
	ds_load_2addr_b32 v[23:24], v11 offset0:192 offset1:208
	s_waitcnt lgkmcnt(3)
	v_fmac_f32_e32 v7, v25, v15
	v_fmac_f32_e32 v7, v26, v16
	ds_load_2addr_b32 v[15:16], v11 offset0:224 offset1:240
	s_waitcnt lgkmcnt(0)
	s_barrier
	buffer_gl0_inv
	v_fmac_f32_e32 v7, v27, v17
	s_delay_alu instid0(VALU_DEP_1) | instskip(NEXT) | instid1(VALU_DEP_1)
	v_fmac_f32_e32 v7, v28, v18
	v_fmac_f32_e32 v7, v23, v19
	s_delay_alu instid0(VALU_DEP_1) | instskip(NEXT) | instid1(VALU_DEP_1)
	v_fmac_f32_e32 v7, v24, v20
	v_fmac_f32_e32 v7, v15, v21
	s_delay_alu instid0(VALU_DEP_1)
	v_fmac_f32_e32 v7, v16, v22
	s_cbranch_vccnz .LBB1445_8
.LBB1445_3:                             ; =>This Inner Loop Header: Depth=1
	v_add_co_u32 v15, s13, v10, s10
	s_delay_alu instid0(VALU_DEP_1) | instskip(NEXT) | instid1(VALU_DEP_1)
	v_add_co_ci_u32_e64 v16, null, 0, s11, s13
	v_cmp_gt_i64_e32 vcc_lo, s[8:9], v[15:16]
	v_mov_b32_e32 v15, 0
	s_and_b32 s14, s3, vcc_lo
	s_delay_alu instid0(SALU_CYCLE_1)
	s_and_saveexec_b32 s13, s14
	s_cbranch_execz .LBB1445_5
; %bb.4:                                ;   in Loop: Header=BB1445_3 Depth=1
	global_load_b32 v15, v[4:5], off
.LBB1445_5:                             ;   in Loop: Header=BB1445_3 Depth=1
	s_or_b32 exec_lo, exec_lo, s13
	v_add_co_u32 v16, s13, v9, s10
	s_delay_alu instid0(VALU_DEP_1)
	v_add_co_ci_u32_e64 v17, null, 0, s11, s13
	s_waitcnt vmcnt(0)
	ds_store_b32 v13, v15
	v_cmp_gt_i64_e32 vcc_lo, s[8:9], v[16:17]
	v_mov_b32_e32 v16, 0
	s_and_b32 s14, s2, vcc_lo
	s_delay_alu instid0(SALU_CYCLE_1)
	s_and_saveexec_b32 s13, s14
	s_cbranch_execz .LBB1445_2
; %bb.6:                                ;   in Loop: Header=BB1445_3 Depth=1
	global_load_b32 v16, v[2:3], off
	s_branch .LBB1445_2
.LBB1445_7:
	v_mov_b32_e32 v7, 0
.LBB1445_8:
	v_cmp_le_i32_e32 vcc_lo, v0, v6
	v_cmp_gt_i32_e64 s2, s12, v6
	s_delay_alu instid0(VALU_DEP_1) | instskip(NEXT) | instid1(SALU_CYCLE_1)
	s_and_b32 s2, vcc_lo, s2
	s_and_saveexec_b32 s3, s2
	s_cbranch_execz .LBB1445_10
; %bb.9:
	v_mul_lo_u32 v4, v6, s7
	v_mul_lo_u32 v5, v8, s6
	v_mad_u64_u32 v[2:3], null, v6, s6, 0
	v_lshlrev_b64 v[0:1], 2, v[0:1]
	s_delay_alu instid0(VALU_DEP_2) | instskip(NEXT) | instid1(VALU_DEP_1)
	v_add3_u32 v3, v3, v4, v5
	v_lshlrev_b64 v[2:3], 2, v[2:3]
	s_waitcnt lgkmcnt(0)
	s_delay_alu instid0(VALU_DEP_1) | instskip(NEXT) | instid1(VALU_DEP_2)
	v_add_co_u32 v2, vcc_lo, s4, v2
	v_add_co_ci_u32_e32 v3, vcc_lo, s5, v3, vcc_lo
	s_delay_alu instid0(VALU_DEP_2) | instskip(NEXT) | instid1(VALU_DEP_2)
	v_add_co_u32 v0, vcc_lo, v2, v0
	v_add_co_ci_u32_e32 v1, vcc_lo, v3, v1, vcc_lo
	global_load_b32 v2, v[0:1], off
	s_clause 0x1
	s_load_b32 s2, s[0:1], 0x48
	s_load_b32 s0, s[0:1], 0x10
	s_waitcnt vmcnt(0) lgkmcnt(0)
	v_mul_f32_e32 v2, s2, v2
	s_delay_alu instid0(VALU_DEP_1)
	v_fmac_f32_e32 v2, s0, v7
	global_store_b32 v[0:1], v2, off
.LBB1445_10:
	s_nop 0
	s_sendmsg sendmsg(MSG_DEALLOC_VGPRS)
	s_endpgm
	.section	.rodata,"a",@progbits
	.p2align	6, 0x0
	.amdhsa_kernel _ZL32rocblas_syrkx_herkx_small_kernelIlfLi16ELb0ELb0ELc84ELc85EKPKfKPfEviT_T0_PT6_S5_lS8_S5_lS6_PT7_S5_li
		.amdhsa_group_segment_fixed_size 2048
		.amdhsa_private_segment_fixed_size 0
		.amdhsa_kernarg_size 108
		.amdhsa_user_sgpr_count 13
		.amdhsa_user_sgpr_dispatch_ptr 0
		.amdhsa_user_sgpr_queue_ptr 0
		.amdhsa_user_sgpr_kernarg_segment_ptr 1
		.amdhsa_user_sgpr_dispatch_id 0
		.amdhsa_user_sgpr_private_segment_size 0
		.amdhsa_wavefront_size32 1
		.amdhsa_uses_dynamic_stack 0
		.amdhsa_enable_private_segment 0
		.amdhsa_system_sgpr_workgroup_id_x 1
		.amdhsa_system_sgpr_workgroup_id_y 1
		.amdhsa_system_sgpr_workgroup_id_z 1
		.amdhsa_system_sgpr_workgroup_info 0
		.amdhsa_system_vgpr_workitem_id 1
		.amdhsa_next_free_vgpr 29
		.amdhsa_next_free_sgpr 24
		.amdhsa_reserve_vcc 1
		.amdhsa_float_round_mode_32 0
		.amdhsa_float_round_mode_16_64 0
		.amdhsa_float_denorm_mode_32 3
		.amdhsa_float_denorm_mode_16_64 3
		.amdhsa_dx10_clamp 1
		.amdhsa_ieee_mode 1
		.amdhsa_fp16_overflow 0
		.amdhsa_workgroup_processor_mode 1
		.amdhsa_memory_ordered 1
		.amdhsa_forward_progress 0
		.amdhsa_shared_vgpr_count 0
		.amdhsa_exception_fp_ieee_invalid_op 0
		.amdhsa_exception_fp_denorm_src 0
		.amdhsa_exception_fp_ieee_div_zero 0
		.amdhsa_exception_fp_ieee_overflow 0
		.amdhsa_exception_fp_ieee_underflow 0
		.amdhsa_exception_fp_ieee_inexact 0
		.amdhsa_exception_int_div_zero 0
	.end_amdhsa_kernel
	.section	.text._ZL32rocblas_syrkx_herkx_small_kernelIlfLi16ELb0ELb0ELc84ELc85EKPKfKPfEviT_T0_PT6_S5_lS8_S5_lS6_PT7_S5_li,"axG",@progbits,_ZL32rocblas_syrkx_herkx_small_kernelIlfLi16ELb0ELb0ELc84ELc85EKPKfKPfEviT_T0_PT6_S5_lS8_S5_lS6_PT7_S5_li,comdat
.Lfunc_end1445:
	.size	_ZL32rocblas_syrkx_herkx_small_kernelIlfLi16ELb0ELb0ELc84ELc85EKPKfKPfEviT_T0_PT6_S5_lS8_S5_lS6_PT7_S5_li, .Lfunc_end1445-_ZL32rocblas_syrkx_herkx_small_kernelIlfLi16ELb0ELb0ELc84ELc85EKPKfKPfEviT_T0_PT6_S5_lS8_S5_lS6_PT7_S5_li
                                        ; -- End function
	.section	.AMDGPU.csdata,"",@progbits
; Kernel info:
; codeLenInByte = 988
; NumSgprs: 26
; NumVgprs: 29
; ScratchSize: 0
; MemoryBound: 0
; FloatMode: 240
; IeeeMode: 1
; LDSByteSize: 2048 bytes/workgroup (compile time only)
; SGPRBlocks: 3
; VGPRBlocks: 3
; NumSGPRsForWavesPerEU: 26
; NumVGPRsForWavesPerEU: 29
; Occupancy: 16
; WaveLimiterHint : 1
; COMPUTE_PGM_RSRC2:SCRATCH_EN: 0
; COMPUTE_PGM_RSRC2:USER_SGPR: 13
; COMPUTE_PGM_RSRC2:TRAP_HANDLER: 0
; COMPUTE_PGM_RSRC2:TGID_X_EN: 1
; COMPUTE_PGM_RSRC2:TGID_Y_EN: 1
; COMPUTE_PGM_RSRC2:TGID_Z_EN: 1
; COMPUTE_PGM_RSRC2:TIDIG_COMP_CNT: 1
	.section	.text._ZL32rocblas_syrkx_herkx_small_kernelIlfLi16ELb0ELb0ELc67ELc85EKPKfKPfEviT_T0_PT6_S5_lS8_S5_lS6_PT7_S5_li,"axG",@progbits,_ZL32rocblas_syrkx_herkx_small_kernelIlfLi16ELb0ELb0ELc67ELc85EKPKfKPfEviT_T0_PT6_S5_lS8_S5_lS6_PT7_S5_li,comdat
	.globl	_ZL32rocblas_syrkx_herkx_small_kernelIlfLi16ELb0ELb0ELc67ELc85EKPKfKPfEviT_T0_PT6_S5_lS8_S5_lS6_PT7_S5_li ; -- Begin function _ZL32rocblas_syrkx_herkx_small_kernelIlfLi16ELb0ELb0ELc67ELc85EKPKfKPfEviT_T0_PT6_S5_lS8_S5_lS6_PT7_S5_li
	.p2align	8
	.type	_ZL32rocblas_syrkx_herkx_small_kernelIlfLi16ELb0ELb0ELc67ELc85EKPKfKPfEviT_T0_PT6_S5_lS8_S5_lS6_PT7_S5_li,@function
_ZL32rocblas_syrkx_herkx_small_kernelIlfLi16ELb0ELb0ELc67ELc85EKPKfKPfEviT_T0_PT6_S5_lS8_S5_lS6_PT7_S5_li: ; @_ZL32rocblas_syrkx_herkx_small_kernelIlfLi16ELb0ELb0ELc67ELc85EKPKfKPfEviT_T0_PT6_S5_lS8_S5_lS6_PT7_S5_li
; %bb.0:
	s_clause 0x1
	s_load_b128 s[4:7], s[0:1], 0x50
	s_load_b64 s[8:9], s[0:1], 0x8
	s_mov_b32 s2, s15
	s_mov_b32 s3, 0
	s_load_b32 s12, s[0:1], 0x0
	s_lshl_b64 s[10:11], s[2:3], 3
	v_and_b32_e32 v9, 0x3ff, v0
	v_bfe_u32 v10, v0, 10, 10
	s_delay_alu instid0(VALU_DEP_2) | instskip(NEXT) | instid1(VALU_DEP_2)
	v_lshl_add_u32 v0, s13, 4, v9
	v_lshl_add_u32 v6, s14, 4, v10
	s_delay_alu instid0(VALU_DEP_2) | instskip(NEXT) | instid1(VALU_DEP_2)
	v_ashrrev_i32_e32 v1, 31, v0
	v_ashrrev_i32_e32 v8, 31, v6
	s_waitcnt lgkmcnt(0)
	s_add_u32 s2, s4, s10
	s_addc_u32 s3, s5, s11
	s_load_b64 s[4:5], s[2:3], 0x0
	v_cmp_lt_i64_e64 s2, s[8:9], 1
	s_delay_alu instid0(VALU_DEP_1)
	s_and_b32 vcc_lo, exec_lo, s2
	v_cmp_gt_i32_e64 s2, s12, v6
	s_cbranch_vccnz .LBB1446_7
; %bb.1:
	s_clause 0x1
	s_load_b128 s[16:19], s[0:1], 0x30
	s_load_b128 s[20:23], s[0:1], 0x18
	v_lshlrev_b32_e32 v11, 2, v9
	v_lshlrev_b32_e32 v13, 6, v10
	v_mov_b32_e32 v7, 0
	v_cmp_gt_i32_e64 s3, s12, v0
	s_waitcnt lgkmcnt(0)
	v_mul_lo_u32 v12, s19, v6
	v_mul_lo_u32 v14, s18, v8
	v_mad_u64_u32 v[2:3], null, s18, v6, 0
	s_add_u32 s14, s16, s10
	v_mul_lo_u32 v15, s23, v0
	v_mul_lo_u32 v16, s22, v1
	v_mad_u64_u32 v[4:5], null, s22, v0, 0
	s_addc_u32 s15, s17, s11
	s_add_u32 s10, s20, s10
	s_load_b64 s[14:15], s[14:15], 0x0
	s_addc_u32 s11, s21, s11
	v_add3_u32 v3, v3, v14, v12
	v_add_nc_u32_e32 v12, 0x400, v13
	s_load_b64 s[10:11], s[10:11], 0x0
	v_add3_u32 v5, v5, v16, v15
	v_lshlrev_b32_e32 v15, 2, v10
	v_lshlrev_b64 v[2:3], 2, v[2:3]
	v_add_nc_u32_e32 v13, v11, v13
	v_add_nc_u32_e32 v14, v12, v11
	v_lshlrev_b64 v[4:5], 2, v[4:5]
	s_delay_alu instid0(VALU_DEP_4) | instskip(SKIP_1) | instid1(VALU_DEP_3)
	v_add_co_u32 v2, vcc_lo, v2, v11
	v_add_co_ci_u32_e32 v3, vcc_lo, 0, v3, vcc_lo
	v_add_co_u32 v4, vcc_lo, v4, v15
	s_delay_alu instid0(VALU_DEP_4)
	v_add_co_ci_u32_e32 v5, vcc_lo, 0, v5, vcc_lo
	s_waitcnt lgkmcnt(0)
	v_add_co_u32 v2, vcc_lo, s14, v2
	v_add_co_ci_u32_e32 v3, vcc_lo, s15, v3, vcc_lo
	v_add_co_u32 v4, vcc_lo, s10, v4
	v_add_co_ci_u32_e32 v5, vcc_lo, s11, v5, vcc_lo
	s_mov_b64 s[10:11], 0
	s_branch .LBB1446_3
.LBB1446_2:                             ;   in Loop: Header=BB1446_3 Depth=1
	s_or_b32 exec_lo, exec_lo, s13
	s_waitcnt vmcnt(0)
	ds_store_b32 v14, v16
	s_waitcnt lgkmcnt(0)
	s_barrier
	buffer_gl0_inv
	ds_load_2addr_b32 v[23:24], v11 offset1:16
	ds_load_b128 v[15:18], v12
	ds_load_2addr_b32 v[25:26], v11 offset0:32 offset1:48
	ds_load_b128 v[19:22], v12 offset:16
	ds_load_2addr_b32 v[27:28], v11 offset0:64 offset1:80
	s_add_u32 s10, s10, 16
	s_addc_u32 s11, s11, 0
	v_add_co_u32 v2, vcc_lo, v2, 64
	v_add_co_ci_u32_e32 v3, vcc_lo, 0, v3, vcc_lo
	v_cmp_ge_i64_e64 s13, s[10:11], s[8:9]
	v_add_co_u32 v4, vcc_lo, v4, 64
	v_add_co_ci_u32_e32 v5, vcc_lo, 0, v5, vcc_lo
	s_delay_alu instid0(VALU_DEP_3) | instskip(SKIP_2) | instid1(VALU_DEP_1)
	s_and_b32 vcc_lo, exec_lo, s13
	s_waitcnt lgkmcnt(3)
	v_fmac_f32_e32 v7, v23, v15
	v_fmac_f32_e32 v7, v24, v16
	ds_load_2addr_b32 v[23:24], v11 offset0:96 offset1:112
	s_waitcnt lgkmcnt(3)
	v_fmac_f32_e32 v7, v25, v17
	s_delay_alu instid0(VALU_DEP_1) | instskip(SKIP_4) | instid1(VALU_DEP_1)
	v_fmac_f32_e32 v7, v26, v18
	ds_load_2addr_b32 v[25:26], v11 offset0:128 offset1:144
	ds_load_b128 v[15:18], v12 offset:32
	s_waitcnt lgkmcnt(3)
	v_fmac_f32_e32 v7, v27, v19
	v_fmac_f32_e32 v7, v28, v20
	ds_load_2addr_b32 v[27:28], v11 offset0:160 offset1:176
	s_waitcnt lgkmcnt(3)
	v_fmac_f32_e32 v7, v23, v21
	s_delay_alu instid0(VALU_DEP_1) | instskip(SKIP_4) | instid1(VALU_DEP_1)
	v_fmac_f32_e32 v7, v24, v22
	ds_load_b128 v[19:22], v12 offset:48
	ds_load_2addr_b32 v[23:24], v11 offset0:192 offset1:208
	s_waitcnt lgkmcnt(3)
	v_fmac_f32_e32 v7, v25, v15
	v_fmac_f32_e32 v7, v26, v16
	ds_load_2addr_b32 v[15:16], v11 offset0:224 offset1:240
	s_waitcnt lgkmcnt(0)
	s_barrier
	buffer_gl0_inv
	v_fmac_f32_e32 v7, v27, v17
	s_delay_alu instid0(VALU_DEP_1) | instskip(NEXT) | instid1(VALU_DEP_1)
	v_fmac_f32_e32 v7, v28, v18
	v_fmac_f32_e32 v7, v23, v19
	s_delay_alu instid0(VALU_DEP_1) | instskip(NEXT) | instid1(VALU_DEP_1)
	v_fmac_f32_e32 v7, v24, v20
	v_fmac_f32_e32 v7, v15, v21
	s_delay_alu instid0(VALU_DEP_1)
	v_fmac_f32_e32 v7, v16, v22
	s_cbranch_vccnz .LBB1446_8
.LBB1446_3:                             ; =>This Inner Loop Header: Depth=1
	v_add_co_u32 v15, s13, v10, s10
	s_delay_alu instid0(VALU_DEP_1) | instskip(NEXT) | instid1(VALU_DEP_1)
	v_add_co_ci_u32_e64 v16, null, 0, s11, s13
	v_cmp_gt_i64_e32 vcc_lo, s[8:9], v[15:16]
	v_mov_b32_e32 v15, 0
	s_and_b32 s14, s3, vcc_lo
	s_delay_alu instid0(SALU_CYCLE_1)
	s_and_saveexec_b32 s13, s14
	s_cbranch_execz .LBB1446_5
; %bb.4:                                ;   in Loop: Header=BB1446_3 Depth=1
	global_load_b32 v15, v[4:5], off
.LBB1446_5:                             ;   in Loop: Header=BB1446_3 Depth=1
	s_or_b32 exec_lo, exec_lo, s13
	v_add_co_u32 v16, s13, v9, s10
	s_delay_alu instid0(VALU_DEP_1)
	v_add_co_ci_u32_e64 v17, null, 0, s11, s13
	s_waitcnt vmcnt(0)
	ds_store_b32 v13, v15
	v_cmp_gt_i64_e32 vcc_lo, s[8:9], v[16:17]
	v_mov_b32_e32 v16, 0
	s_and_b32 s14, s2, vcc_lo
	s_delay_alu instid0(SALU_CYCLE_1)
	s_and_saveexec_b32 s13, s14
	s_cbranch_execz .LBB1446_2
; %bb.6:                                ;   in Loop: Header=BB1446_3 Depth=1
	global_load_b32 v16, v[2:3], off
	s_branch .LBB1446_2
.LBB1446_7:
	v_mov_b32_e32 v7, 0
.LBB1446_8:
	v_cmp_le_i32_e32 vcc_lo, v0, v6
	v_cmp_gt_i32_e64 s2, s12, v6
	s_delay_alu instid0(VALU_DEP_1) | instskip(NEXT) | instid1(SALU_CYCLE_1)
	s_and_b32 s2, vcc_lo, s2
	s_and_saveexec_b32 s3, s2
	s_cbranch_execz .LBB1446_10
; %bb.9:
	v_mul_lo_u32 v4, v6, s7
	v_mul_lo_u32 v5, v8, s6
	v_mad_u64_u32 v[2:3], null, v6, s6, 0
	v_lshlrev_b64 v[0:1], 2, v[0:1]
	s_delay_alu instid0(VALU_DEP_2) | instskip(NEXT) | instid1(VALU_DEP_1)
	v_add3_u32 v3, v3, v4, v5
	v_lshlrev_b64 v[2:3], 2, v[2:3]
	s_waitcnt lgkmcnt(0)
	s_delay_alu instid0(VALU_DEP_1) | instskip(NEXT) | instid1(VALU_DEP_2)
	v_add_co_u32 v2, vcc_lo, s4, v2
	v_add_co_ci_u32_e32 v3, vcc_lo, s5, v3, vcc_lo
	s_delay_alu instid0(VALU_DEP_2) | instskip(NEXT) | instid1(VALU_DEP_2)
	v_add_co_u32 v0, vcc_lo, v2, v0
	v_add_co_ci_u32_e32 v1, vcc_lo, v3, v1, vcc_lo
	global_load_b32 v2, v[0:1], off
	s_clause 0x1
	s_load_b32 s2, s[0:1], 0x48
	s_load_b32 s0, s[0:1], 0x10
	s_waitcnt vmcnt(0) lgkmcnt(0)
	v_mul_f32_e32 v2, s2, v2
	s_delay_alu instid0(VALU_DEP_1)
	v_fmac_f32_e32 v2, s0, v7
	global_store_b32 v[0:1], v2, off
.LBB1446_10:
	s_nop 0
	s_sendmsg sendmsg(MSG_DEALLOC_VGPRS)
	s_endpgm
	.section	.rodata,"a",@progbits
	.p2align	6, 0x0
	.amdhsa_kernel _ZL32rocblas_syrkx_herkx_small_kernelIlfLi16ELb0ELb0ELc67ELc85EKPKfKPfEviT_T0_PT6_S5_lS8_S5_lS6_PT7_S5_li
		.amdhsa_group_segment_fixed_size 2048
		.amdhsa_private_segment_fixed_size 0
		.amdhsa_kernarg_size 108
		.amdhsa_user_sgpr_count 13
		.amdhsa_user_sgpr_dispatch_ptr 0
		.amdhsa_user_sgpr_queue_ptr 0
		.amdhsa_user_sgpr_kernarg_segment_ptr 1
		.amdhsa_user_sgpr_dispatch_id 0
		.amdhsa_user_sgpr_private_segment_size 0
		.amdhsa_wavefront_size32 1
		.amdhsa_uses_dynamic_stack 0
		.amdhsa_enable_private_segment 0
		.amdhsa_system_sgpr_workgroup_id_x 1
		.amdhsa_system_sgpr_workgroup_id_y 1
		.amdhsa_system_sgpr_workgroup_id_z 1
		.amdhsa_system_sgpr_workgroup_info 0
		.amdhsa_system_vgpr_workitem_id 1
		.amdhsa_next_free_vgpr 29
		.amdhsa_next_free_sgpr 24
		.amdhsa_reserve_vcc 1
		.amdhsa_float_round_mode_32 0
		.amdhsa_float_round_mode_16_64 0
		.amdhsa_float_denorm_mode_32 3
		.amdhsa_float_denorm_mode_16_64 3
		.amdhsa_dx10_clamp 1
		.amdhsa_ieee_mode 1
		.amdhsa_fp16_overflow 0
		.amdhsa_workgroup_processor_mode 1
		.amdhsa_memory_ordered 1
		.amdhsa_forward_progress 0
		.amdhsa_shared_vgpr_count 0
		.amdhsa_exception_fp_ieee_invalid_op 0
		.amdhsa_exception_fp_denorm_src 0
		.amdhsa_exception_fp_ieee_div_zero 0
		.amdhsa_exception_fp_ieee_overflow 0
		.amdhsa_exception_fp_ieee_underflow 0
		.amdhsa_exception_fp_ieee_inexact 0
		.amdhsa_exception_int_div_zero 0
	.end_amdhsa_kernel
	.section	.text._ZL32rocblas_syrkx_herkx_small_kernelIlfLi16ELb0ELb0ELc67ELc85EKPKfKPfEviT_T0_PT6_S5_lS8_S5_lS6_PT7_S5_li,"axG",@progbits,_ZL32rocblas_syrkx_herkx_small_kernelIlfLi16ELb0ELb0ELc67ELc85EKPKfKPfEviT_T0_PT6_S5_lS8_S5_lS6_PT7_S5_li,comdat
.Lfunc_end1446:
	.size	_ZL32rocblas_syrkx_herkx_small_kernelIlfLi16ELb0ELb0ELc67ELc85EKPKfKPfEviT_T0_PT6_S5_lS8_S5_lS6_PT7_S5_li, .Lfunc_end1446-_ZL32rocblas_syrkx_herkx_small_kernelIlfLi16ELb0ELb0ELc67ELc85EKPKfKPfEviT_T0_PT6_S5_lS8_S5_lS6_PT7_S5_li
                                        ; -- End function
	.section	.AMDGPU.csdata,"",@progbits
; Kernel info:
; codeLenInByte = 988
; NumSgprs: 26
; NumVgprs: 29
; ScratchSize: 0
; MemoryBound: 0
; FloatMode: 240
; IeeeMode: 1
; LDSByteSize: 2048 bytes/workgroup (compile time only)
; SGPRBlocks: 3
; VGPRBlocks: 3
; NumSGPRsForWavesPerEU: 26
; NumVGPRsForWavesPerEU: 29
; Occupancy: 16
; WaveLimiterHint : 1
; COMPUTE_PGM_RSRC2:SCRATCH_EN: 0
; COMPUTE_PGM_RSRC2:USER_SGPR: 13
; COMPUTE_PGM_RSRC2:TRAP_HANDLER: 0
; COMPUTE_PGM_RSRC2:TGID_X_EN: 1
; COMPUTE_PGM_RSRC2:TGID_Y_EN: 1
; COMPUTE_PGM_RSRC2:TGID_Z_EN: 1
; COMPUTE_PGM_RSRC2:TIDIG_COMP_CNT: 1
	.section	.text._ZL32rocblas_syrkx_herkx_small_kernelIlfLi16ELb0ELb0ELc78ELc85EKPKfKPfEviT_T0_PT6_S5_lS8_S5_lS6_PT7_S5_li,"axG",@progbits,_ZL32rocblas_syrkx_herkx_small_kernelIlfLi16ELb0ELb0ELc78ELc85EKPKfKPfEviT_T0_PT6_S5_lS8_S5_lS6_PT7_S5_li,comdat
	.globl	_ZL32rocblas_syrkx_herkx_small_kernelIlfLi16ELb0ELb0ELc78ELc85EKPKfKPfEviT_T0_PT6_S5_lS8_S5_lS6_PT7_S5_li ; -- Begin function _ZL32rocblas_syrkx_herkx_small_kernelIlfLi16ELb0ELb0ELc78ELc85EKPKfKPfEviT_T0_PT6_S5_lS8_S5_lS6_PT7_S5_li
	.p2align	8
	.type	_ZL32rocblas_syrkx_herkx_small_kernelIlfLi16ELb0ELb0ELc78ELc85EKPKfKPfEviT_T0_PT6_S5_lS8_S5_lS6_PT7_S5_li,@function
_ZL32rocblas_syrkx_herkx_small_kernelIlfLi16ELb0ELb0ELc78ELc85EKPKfKPfEviT_T0_PT6_S5_lS8_S5_lS6_PT7_S5_li: ; @_ZL32rocblas_syrkx_herkx_small_kernelIlfLi16ELb0ELb0ELc78ELc85EKPKfKPfEviT_T0_PT6_S5_lS8_S5_lS6_PT7_S5_li
; %bb.0:
	s_clause 0x1
	s_load_b128 s[4:7], s[0:1], 0x50
	s_load_b64 s[16:17], s[0:1], 0x8
	s_mov_b32 s2, s15
	s_mov_b32 s3, 0
	s_load_b32 s20, s[0:1], 0x0
	s_lshl_b64 s[18:19], s[2:3], 3
	v_and_b32_e32 v8, 0x3ff, v0
	v_bfe_u32 v9, v0, 10, 10
	s_delay_alu instid0(VALU_DEP_2) | instskip(NEXT) | instid1(VALU_DEP_2)
	v_lshl_add_u32 v0, s13, 4, v8
	v_lshl_add_u32 v2, s14, 4, v9
	s_delay_alu instid0(VALU_DEP_2) | instskip(NEXT) | instid1(VALU_DEP_2)
	v_ashrrev_i32_e32 v1, 31, v0
	v_ashrrev_i32_e32 v3, 31, v2
	s_waitcnt lgkmcnt(0)
	s_add_u32 s2, s4, s18
	s_addc_u32 s3, s5, s19
	s_load_b64 s[4:5], s[2:3], 0x0
	v_cmp_lt_i64_e64 s2, s[16:17], 1
	s_delay_alu instid0(VALU_DEP_1)
	s_and_b32 vcc_lo, exec_lo, s2
	v_cmp_gt_i32_e64 s2, s20, v2
	s_cbranch_vccnz .LBB1447_7
; %bb.1:
	s_clause 0x1
	s_load_b128 s[12:15], s[0:1], 0x30
	s_load_b128 s[8:11], s[0:1], 0x18
	v_dual_mov_b32 v10, 0 :: v_dual_lshlrev_b32 v19, 6, v9
	v_lshlrev_b32_e32 v11, 2, v8
	v_lshlrev_b64 v[15:16], 2, v[2:3]
	v_lshlrev_b64 v[17:18], 2, v[0:1]
	v_cmp_gt_i32_e64 s3, s20, v0
	s_waitcnt lgkmcnt(0)
	v_mad_u64_u32 v[4:5], null, s14, v8, 0
	v_mad_u64_u32 v[6:7], null, s10, v9, 0
	s_add_u32 s12, s12, s18
	s_addc_u32 s13, s13, s19
	s_add_u32 s8, s8, s18
	s_load_b64 s[12:13], s[12:13], 0x0
	s_addc_u32 s9, s9, s19
	s_delay_alu instid0(VALU_DEP_1) | instskip(NEXT) | instid1(VALU_DEP_2)
	v_mad_u64_u32 v[12:13], null, s15, v8, v[5:6]
	v_mad_u64_u32 v[13:14], null, s11, v9, v[7:8]
	s_load_b64 s[8:9], s[8:9], 0x0
	s_lshl_b64 s[10:11], s[10:11], 6
	s_delay_alu instid0(VALU_DEP_2) | instskip(NEXT) | instid1(VALU_DEP_2)
	v_dual_mov_b32 v5, v12 :: v_dual_add_nc_u32 v12, 0x400, v19
	v_mov_b32_e32 v7, v13
	v_add_nc_u32_e32 v13, v11, v19
	s_delay_alu instid0(VALU_DEP_3) | instskip(NEXT) | instid1(VALU_DEP_4)
	v_lshlrev_b64 v[4:5], 2, v[4:5]
	v_add_nc_u32_e32 v14, v12, v11
	s_delay_alu instid0(VALU_DEP_4) | instskip(NEXT) | instid1(VALU_DEP_3)
	v_lshlrev_b64 v[6:7], 2, v[6:7]
	v_add_co_u32 v4, vcc_lo, v4, v15
	s_delay_alu instid0(VALU_DEP_4) | instskip(NEXT) | instid1(VALU_DEP_3)
	v_add_co_ci_u32_e32 v5, vcc_lo, v5, v16, vcc_lo
	v_add_co_u32 v6, vcc_lo, v6, v17
	s_delay_alu instid0(VALU_DEP_4)
	v_add_co_ci_u32_e32 v7, vcc_lo, v7, v18, vcc_lo
	s_waitcnt lgkmcnt(0)
	v_add_co_u32 v4, vcc_lo, s12, v4
	v_add_co_ci_u32_e32 v5, vcc_lo, s13, v5, vcc_lo
	v_add_co_u32 v6, vcc_lo, s8, v6
	v_add_co_ci_u32_e32 v7, vcc_lo, s9, v7, vcc_lo
	s_lshl_b64 s[8:9], s[14:15], 6
	s_mov_b64 s[12:13], 0
	s_branch .LBB1447_3
.LBB1447_2:                             ;   in Loop: Header=BB1447_3 Depth=1
	s_or_b32 exec_lo, exec_lo, s14
	s_waitcnt vmcnt(0)
	ds_store_b32 v14, v16
	s_waitcnt lgkmcnt(0)
	s_barrier
	buffer_gl0_inv
	ds_load_2addr_b32 v[23:24], v11 offset1:16
	ds_load_b128 v[15:18], v12
	ds_load_2addr_b32 v[25:26], v11 offset0:32 offset1:48
	ds_load_b128 v[19:22], v12 offset:16
	ds_load_2addr_b32 v[27:28], v11 offset0:64 offset1:80
	s_add_u32 s12, s12, 16
	s_addc_u32 s13, s13, 0
	v_add_co_u32 v4, vcc_lo, v4, s8
	v_add_co_ci_u32_e32 v5, vcc_lo, s9, v5, vcc_lo
	v_cmp_ge_i64_e64 s14, s[12:13], s[16:17]
	v_add_co_u32 v6, vcc_lo, v6, s10
	v_add_co_ci_u32_e32 v7, vcc_lo, s11, v7, vcc_lo
	s_delay_alu instid0(VALU_DEP_3) | instskip(SKIP_2) | instid1(VALU_DEP_1)
	s_and_b32 vcc_lo, exec_lo, s14
	s_waitcnt lgkmcnt(3)
	v_fmac_f32_e32 v10, v23, v15
	v_fmac_f32_e32 v10, v24, v16
	ds_load_2addr_b32 v[23:24], v11 offset0:96 offset1:112
	s_waitcnt lgkmcnt(3)
	v_fmac_f32_e32 v10, v25, v17
	s_delay_alu instid0(VALU_DEP_1) | instskip(SKIP_4) | instid1(VALU_DEP_1)
	v_fmac_f32_e32 v10, v26, v18
	ds_load_2addr_b32 v[25:26], v11 offset0:128 offset1:144
	ds_load_b128 v[15:18], v12 offset:32
	s_waitcnt lgkmcnt(3)
	v_fmac_f32_e32 v10, v27, v19
	v_fmac_f32_e32 v10, v28, v20
	ds_load_2addr_b32 v[27:28], v11 offset0:160 offset1:176
	s_waitcnt lgkmcnt(3)
	v_fmac_f32_e32 v10, v23, v21
	s_delay_alu instid0(VALU_DEP_1) | instskip(SKIP_4) | instid1(VALU_DEP_1)
	v_fmac_f32_e32 v10, v24, v22
	ds_load_b128 v[19:22], v12 offset:48
	ds_load_2addr_b32 v[23:24], v11 offset0:192 offset1:208
	s_waitcnt lgkmcnt(3)
	v_fmac_f32_e32 v10, v25, v15
	v_fmac_f32_e32 v10, v26, v16
	ds_load_2addr_b32 v[15:16], v11 offset0:224 offset1:240
	s_waitcnt lgkmcnt(0)
	s_barrier
	buffer_gl0_inv
	v_fmac_f32_e32 v10, v27, v17
	s_delay_alu instid0(VALU_DEP_1) | instskip(NEXT) | instid1(VALU_DEP_1)
	v_fmac_f32_e32 v10, v28, v18
	v_fmac_f32_e32 v10, v23, v19
	s_delay_alu instid0(VALU_DEP_1) | instskip(NEXT) | instid1(VALU_DEP_1)
	v_fmac_f32_e32 v10, v24, v20
	v_fmac_f32_e32 v10, v15, v21
	s_delay_alu instid0(VALU_DEP_1)
	v_fmac_f32_e32 v10, v16, v22
	s_cbranch_vccnz .LBB1447_8
.LBB1447_3:                             ; =>This Inner Loop Header: Depth=1
	v_add_co_u32 v15, s14, v9, s12
	s_delay_alu instid0(VALU_DEP_1) | instskip(NEXT) | instid1(VALU_DEP_1)
	v_add_co_ci_u32_e64 v16, null, 0, s13, s14
	v_cmp_gt_i64_e32 vcc_lo, s[16:17], v[15:16]
	v_mov_b32_e32 v15, 0
	s_and_b32 s15, s3, vcc_lo
	s_delay_alu instid0(SALU_CYCLE_1)
	s_and_saveexec_b32 s14, s15
	s_cbranch_execz .LBB1447_5
; %bb.4:                                ;   in Loop: Header=BB1447_3 Depth=1
	global_load_b32 v15, v[6:7], off
.LBB1447_5:                             ;   in Loop: Header=BB1447_3 Depth=1
	s_or_b32 exec_lo, exec_lo, s14
	v_add_co_u32 v16, s14, v8, s12
	s_delay_alu instid0(VALU_DEP_1)
	v_add_co_ci_u32_e64 v17, null, 0, s13, s14
	s_waitcnt vmcnt(0)
	ds_store_b32 v13, v15
	v_cmp_gt_i64_e32 vcc_lo, s[16:17], v[16:17]
	v_mov_b32_e32 v16, 0
	s_and_b32 s15, s2, vcc_lo
	s_delay_alu instid0(SALU_CYCLE_1)
	s_and_saveexec_b32 s14, s15
	s_cbranch_execz .LBB1447_2
; %bb.6:                                ;   in Loop: Header=BB1447_3 Depth=1
	global_load_b32 v16, v[4:5], off
	s_branch .LBB1447_2
.LBB1447_7:
	v_mov_b32_e32 v10, 0
.LBB1447_8:
	v_cmp_le_i32_e32 vcc_lo, v0, v2
	v_cmp_gt_i32_e64 s2, s20, v2
	s_delay_alu instid0(VALU_DEP_1) | instskip(NEXT) | instid1(SALU_CYCLE_1)
	s_and_b32 s2, vcc_lo, s2
	s_and_saveexec_b32 s3, s2
	s_cbranch_execz .LBB1447_10
; %bb.9:
	v_mul_lo_u32 v5, v2, s7
	v_mul_lo_u32 v6, v3, s6
	v_mad_u64_u32 v[3:4], null, v2, s6, 0
	v_lshlrev_b64 v[0:1], 2, v[0:1]
	s_delay_alu instid0(VALU_DEP_2) | instskip(NEXT) | instid1(VALU_DEP_1)
	v_add3_u32 v4, v4, v5, v6
	v_lshlrev_b64 v[2:3], 2, v[3:4]
	s_waitcnt lgkmcnt(0)
	s_delay_alu instid0(VALU_DEP_1) | instskip(NEXT) | instid1(VALU_DEP_2)
	v_add_co_u32 v2, vcc_lo, s4, v2
	v_add_co_ci_u32_e32 v3, vcc_lo, s5, v3, vcc_lo
	s_delay_alu instid0(VALU_DEP_2) | instskip(NEXT) | instid1(VALU_DEP_2)
	v_add_co_u32 v0, vcc_lo, v2, v0
	v_add_co_ci_u32_e32 v1, vcc_lo, v3, v1, vcc_lo
	global_load_b32 v2, v[0:1], off
	s_clause 0x1
	s_load_b32 s2, s[0:1], 0x48
	s_load_b32 s0, s[0:1], 0x10
	s_waitcnt vmcnt(0) lgkmcnt(0)
	v_mul_f32_e32 v2, s2, v2
	s_delay_alu instid0(VALU_DEP_1)
	v_fmac_f32_e32 v2, s0, v10
	global_store_b32 v[0:1], v2, off
.LBB1447_10:
	s_nop 0
	s_sendmsg sendmsg(MSG_DEALLOC_VGPRS)
	s_endpgm
	.section	.rodata,"a",@progbits
	.p2align	6, 0x0
	.amdhsa_kernel _ZL32rocblas_syrkx_herkx_small_kernelIlfLi16ELb0ELb0ELc78ELc85EKPKfKPfEviT_T0_PT6_S5_lS8_S5_lS6_PT7_S5_li
		.amdhsa_group_segment_fixed_size 2048
		.amdhsa_private_segment_fixed_size 0
		.amdhsa_kernarg_size 108
		.amdhsa_user_sgpr_count 13
		.amdhsa_user_sgpr_dispatch_ptr 0
		.amdhsa_user_sgpr_queue_ptr 0
		.amdhsa_user_sgpr_kernarg_segment_ptr 1
		.amdhsa_user_sgpr_dispatch_id 0
		.amdhsa_user_sgpr_private_segment_size 0
		.amdhsa_wavefront_size32 1
		.amdhsa_uses_dynamic_stack 0
		.amdhsa_enable_private_segment 0
		.amdhsa_system_sgpr_workgroup_id_x 1
		.amdhsa_system_sgpr_workgroup_id_y 1
		.amdhsa_system_sgpr_workgroup_id_z 1
		.amdhsa_system_sgpr_workgroup_info 0
		.amdhsa_system_vgpr_workitem_id 1
		.amdhsa_next_free_vgpr 29
		.amdhsa_next_free_sgpr 21
		.amdhsa_reserve_vcc 1
		.amdhsa_float_round_mode_32 0
		.amdhsa_float_round_mode_16_64 0
		.amdhsa_float_denorm_mode_32 3
		.amdhsa_float_denorm_mode_16_64 3
		.amdhsa_dx10_clamp 1
		.amdhsa_ieee_mode 1
		.amdhsa_fp16_overflow 0
		.amdhsa_workgroup_processor_mode 1
		.amdhsa_memory_ordered 1
		.amdhsa_forward_progress 0
		.amdhsa_shared_vgpr_count 0
		.amdhsa_exception_fp_ieee_invalid_op 0
		.amdhsa_exception_fp_denorm_src 0
		.amdhsa_exception_fp_ieee_div_zero 0
		.amdhsa_exception_fp_ieee_overflow 0
		.amdhsa_exception_fp_ieee_underflow 0
		.amdhsa_exception_fp_ieee_inexact 0
		.amdhsa_exception_int_div_zero 0
	.end_amdhsa_kernel
	.section	.text._ZL32rocblas_syrkx_herkx_small_kernelIlfLi16ELb0ELb0ELc78ELc85EKPKfKPfEviT_T0_PT6_S5_lS8_S5_lS6_PT7_S5_li,"axG",@progbits,_ZL32rocblas_syrkx_herkx_small_kernelIlfLi16ELb0ELb0ELc78ELc85EKPKfKPfEviT_T0_PT6_S5_lS8_S5_lS6_PT7_S5_li,comdat
.Lfunc_end1447:
	.size	_ZL32rocblas_syrkx_herkx_small_kernelIlfLi16ELb0ELb0ELc78ELc85EKPKfKPfEviT_T0_PT6_S5_lS8_S5_lS6_PT7_S5_li, .Lfunc_end1447-_ZL32rocblas_syrkx_herkx_small_kernelIlfLi16ELb0ELb0ELc78ELc85EKPKfKPfEviT_T0_PT6_S5_lS8_S5_lS6_PT7_S5_li
                                        ; -- End function
	.section	.AMDGPU.csdata,"",@progbits
; Kernel info:
; codeLenInByte = 1000
; NumSgprs: 23
; NumVgprs: 29
; ScratchSize: 0
; MemoryBound: 0
; FloatMode: 240
; IeeeMode: 1
; LDSByteSize: 2048 bytes/workgroup (compile time only)
; SGPRBlocks: 2
; VGPRBlocks: 3
; NumSGPRsForWavesPerEU: 23
; NumVGPRsForWavesPerEU: 29
; Occupancy: 16
; WaveLimiterHint : 1
; COMPUTE_PGM_RSRC2:SCRATCH_EN: 0
; COMPUTE_PGM_RSRC2:USER_SGPR: 13
; COMPUTE_PGM_RSRC2:TRAP_HANDLER: 0
; COMPUTE_PGM_RSRC2:TGID_X_EN: 1
; COMPUTE_PGM_RSRC2:TGID_Y_EN: 1
; COMPUTE_PGM_RSRC2:TGID_Z_EN: 1
; COMPUTE_PGM_RSRC2:TIDIG_COMP_CNT: 1
	.section	.text._ZL34rocblas_syrkx_herkx_general_kernelIlfLi16ELi32ELi8ELb1ELb0ELc84ELc76EKPKfKPfEviT_T0_PT8_S5_lS8_S5_lS6_PT9_S5_li,"axG",@progbits,_ZL34rocblas_syrkx_herkx_general_kernelIlfLi16ELi32ELi8ELb1ELb0ELc84ELc76EKPKfKPfEviT_T0_PT8_S5_lS8_S5_lS6_PT9_S5_li,comdat
	.globl	_ZL34rocblas_syrkx_herkx_general_kernelIlfLi16ELi32ELi8ELb1ELb0ELc84ELc76EKPKfKPfEviT_T0_PT8_S5_lS8_S5_lS6_PT9_S5_li ; -- Begin function _ZL34rocblas_syrkx_herkx_general_kernelIlfLi16ELi32ELi8ELb1ELb0ELc84ELc76EKPKfKPfEviT_T0_PT8_S5_lS8_S5_lS6_PT9_S5_li
	.p2align	8
	.type	_ZL34rocblas_syrkx_herkx_general_kernelIlfLi16ELi32ELi8ELb1ELb0ELc84ELc76EKPKfKPfEviT_T0_PT8_S5_lS8_S5_lS6_PT9_S5_li,@function
_ZL34rocblas_syrkx_herkx_general_kernelIlfLi16ELi32ELi8ELb1ELb0ELc84ELc76EKPKfKPfEviT_T0_PT8_S5_lS8_S5_lS6_PT9_S5_li: ; @_ZL34rocblas_syrkx_herkx_general_kernelIlfLi16ELi32ELi8ELb1ELb0ELc84ELc76EKPKfKPfEviT_T0_PT8_S5_lS8_S5_lS6_PT9_S5_li
; %bb.0:
	s_clause 0x1
	s_load_b128 s[4:7], s[0:1], 0x50
	s_load_b64 s[16:17], s[0:1], 0x8
	s_mov_b32 s2, s15
	s_mov_b32 s3, 0
	v_dual_mov_b32 v8, 0 :: v_dual_and_b32 v5, 0x3ff, v0
	s_lshl_b64 s[2:3], s[2:3], 3
	v_bfe_u32 v6, v0, 10, 10
	v_dual_mov_b32 v11, 0 :: v_dual_mov_b32 v4, 0
	v_mov_b32_e32 v7, 0
	s_waitcnt lgkmcnt(0)
	s_add_u32 s4, s4, s2
	s_addc_u32 s5, s5, s3
	s_load_b32 s18, s[0:1], 0x0
	s_load_b64 s[4:5], s[4:5], 0x0
	v_cmp_lt_i64_e64 s8, s[16:17], 1
	s_lshl_b32 s19, s13, 5
	s_lshl_b32 s20, s14, 5
	s_delay_alu instid0(VALU_DEP_1)
	s_and_b32 vcc_lo, exec_lo, s8
	s_cbranch_vccnz .LBB1448_7
; %bb.1:
	s_clause 0x1
	s_load_b128 s[12:15], s[0:1], 0x18
	s_load_b128 s[8:11], s[0:1], 0x30
	v_lshl_add_u32 v0, v6, 4, v5
	v_dual_mov_b32 v4, 0 :: v_dual_and_b32 v9, 7, v5
	s_delay_alu instid0(VALU_DEP_2) | instskip(SKIP_2) | instid1(VALU_DEP_3)
	v_and_b32_e32 v1, 31, v0
	v_lshrrev_b32_e32 v7, 3, v0
	v_lshrrev_b32_e32 v10, 5, v0
	v_add_nc_u32_e32 v2, s19, v1
	s_delay_alu instid0(VALU_DEP_3) | instskip(SKIP_2) | instid1(VALU_DEP_4)
	v_add_nc_u32_e32 v8, s20, v7
	v_or_b32_e32 v12, s19, v1
	v_lshlrev_b32_e32 v13, 2, v1
	v_ashrrev_i32_e32 v0, 31, v2
	s_delay_alu instid0(VALU_DEP_4)
	v_ashrrev_i32_e32 v3, 31, v8
	s_waitcnt lgkmcnt(0)
	v_mul_lo_u32 v15, s15, v2
	s_add_u32 s8, s8, s2
	v_mul_lo_u32 v14, s14, v0
	v_mad_u64_u32 v[0:1], null, s14, v2, 0
	s_addc_u32 s9, s9, s3
	s_add_u32 s2, s12, s2
	v_mul_lo_u32 v16, s10, v3
	v_mul_lo_u32 v17, s11, v8
	s_addc_u32 s3, s13, s3
	v_mad_u64_u32 v[2:3], null, s10, v8, 0
	s_load_b64 s[8:9], s[8:9], 0x0
	s_load_b64 s[12:13], s[2:3], 0x0
	v_cmp_gt_i32_e64 s3, s18, v8
	v_dual_mov_b32 v8, 0 :: v_dual_lshlrev_b32 v11, 2, v9
	v_add3_u32 v1, v1, v14, v15
	v_cmp_gt_i32_e64 s2, s18, v12
	v_add3_u32 v3, v3, v16, v17
	v_lshl_or_b32 v12, v10, 7, v13
	v_lshl_or_b32 v7, v7, 5, v11
	v_lshlrev_b64 v[0:1], 2, v[0:1]
	v_lshlrev_b32_e32 v14, 2, v5
	v_lshlrev_b64 v[2:3], 2, v[2:3]
	v_lshl_add_u32 v15, v6, 5, 0x400
	v_add_nc_u32_e32 v13, 0x400, v7
	v_lshlrev_b32_e32 v7, 2, v10
	s_delay_alu instid0(VALU_DEP_1)
	v_add_co_u32 v0, vcc_lo, v0, v7
	v_add_co_ci_u32_e32 v1, vcc_lo, 0, v1, vcc_lo
	v_add_co_u32 v2, vcc_lo, v2, v11
	v_mov_b32_e32 v11, 0
	v_add_co_ci_u32_e32 v3, vcc_lo, 0, v3, vcc_lo
	s_waitcnt lgkmcnt(0)
	v_add_co_u32 v0, vcc_lo, s12, v0
	v_add_co_ci_u32_e32 v1, vcc_lo, s13, v1, vcc_lo
	v_add_co_u32 v2, vcc_lo, s8, v2
	v_add_co_ci_u32_e32 v3, vcc_lo, s9, v3, vcc_lo
	v_mov_b32_e32 v7, 0
	s_mov_b64 s[8:9], 0
	s_branch .LBB1448_3
.LBB1448_2:                             ;   in Loop: Header=BB1448_3 Depth=1
	s_or_b32 exec_lo, exec_lo, s10
	s_waitcnt vmcnt(0)
	ds_store_b32 v13, v17
	s_waitcnt lgkmcnt(0)
	s_barrier
	buffer_gl0_inv
	ds_load_2addr_b32 v[32:33], v14 offset1:16
	ds_load_b128 v[16:19], v15
	ds_load_b128 v[20:23], v15 offset:512
	ds_load_2addr_b32 v[34:35], v14 offset0:32 offset1:48
	ds_load_2addr_b32 v[36:37], v14 offset0:64 offset1:80
	;; [unrolled: 1-line block ×3, first 2 shown]
	ds_load_b128 v[24:27], v15 offset:16
	ds_load_2addr_b32 v[40:41], v14 offset0:128 offset1:144
	ds_load_b128 v[28:31], v15 offset:528
	ds_load_2addr_b32 v[42:43], v14 offset0:160 offset1:176
	s_add_u32 s8, s8, 8
	s_addc_u32 s9, s9, 0
	v_add_co_u32 v0, vcc_lo, v0, 32
	v_cmp_ge_i64_e64 s10, s[8:9], s[16:17]
	v_add_co_ci_u32_e32 v1, vcc_lo, 0, v1, vcc_lo
	v_add_co_u32 v2, vcc_lo, v2, 32
	v_add_co_ci_u32_e32 v3, vcc_lo, 0, v3, vcc_lo
	s_waitcnt lgkmcnt(8)
	v_fmac_f32_e32 v8, v33, v16
	v_fmac_f32_e32 v11, v32, v16
	s_waitcnt lgkmcnt(7)
	v_fmac_f32_e32 v4, v33, v20
	v_fmac_f32_e32 v7, v32, v20
	ds_load_2addr_b32 v[32:33], v14 offset0:192 offset1:208
	s_waitcnt lgkmcnt(7)
	v_fmac_f32_e32 v8, v35, v17
	v_fmac_f32_e32 v11, v34, v17
	;; [unrolled: 1-line block ×4, first 2 shown]
	ds_load_2addr_b32 v[16:17], v14 offset0:224 offset1:240
	s_waitcnt lgkmcnt(7)
	v_fmac_f32_e32 v8, v37, v18
	v_fmac_f32_e32 v11, v36, v18
	;; [unrolled: 1-line block ×4, first 2 shown]
	s_and_b32 vcc_lo, exec_lo, s10
	s_waitcnt lgkmcnt(6)
	v_fmac_f32_e32 v8, v39, v19
	v_fmac_f32_e32 v11, v38, v19
	;; [unrolled: 1-line block ×4, first 2 shown]
	s_waitcnt lgkmcnt(0)
	v_fmac_f32_e32 v8, v41, v24
	v_fmac_f32_e32 v11, v40, v24
	;; [unrolled: 1-line block ×4, first 2 shown]
	s_barrier
	v_fmac_f32_e32 v8, v43, v25
	v_fmac_f32_e32 v11, v42, v25
	;; [unrolled: 1-line block ×4, first 2 shown]
	buffer_gl0_inv
	v_fmac_f32_e32 v8, v33, v26
	v_fmac_f32_e32 v11, v32, v26
	;; [unrolled: 1-line block ×3, first 2 shown]
	s_delay_alu instid0(VALU_DEP_3) | instskip(NEXT) | instid1(VALU_DEP_3)
	v_dual_fmac_f32 v7, v32, v30 :: v_dual_fmac_f32 v8, v17, v27
	v_fmac_f32_e32 v11, v16, v27
	s_delay_alu instid0(VALU_DEP_3) | instskip(NEXT) | instid1(VALU_DEP_3)
	v_fmac_f32_e32 v4, v17, v31
	v_fmac_f32_e32 v7, v16, v31
	s_cbranch_vccnz .LBB1448_7
.LBB1448_3:                             ; =>This Inner Loop Header: Depth=1
	v_add_co_u32 v16, s10, v10, s8
	s_delay_alu instid0(VALU_DEP_1) | instskip(NEXT) | instid1(VALU_DEP_1)
	v_add_co_ci_u32_e64 v17, null, 0, s9, s10
	v_cmp_gt_i64_e32 vcc_lo, s[16:17], v[16:17]
	v_mov_b32_e32 v16, 0
	s_and_b32 s11, s2, vcc_lo
	s_delay_alu instid0(SALU_CYCLE_1)
	s_and_saveexec_b32 s10, s11
	s_cbranch_execz .LBB1448_5
; %bb.4:                                ;   in Loop: Header=BB1448_3 Depth=1
	global_load_b32 v16, v[0:1], off
.LBB1448_5:                             ;   in Loop: Header=BB1448_3 Depth=1
	s_or_b32 exec_lo, exec_lo, s10
	v_add_co_u32 v17, s10, v9, s8
	s_delay_alu instid0(VALU_DEP_1)
	v_add_co_ci_u32_e64 v18, null, 0, s9, s10
	s_waitcnt vmcnt(0)
	ds_store_b32 v12, v16
	v_cmp_gt_i64_e32 vcc_lo, s[16:17], v[17:18]
	v_mov_b32_e32 v17, 0
	s_and_b32 s11, vcc_lo, s3
	s_delay_alu instid0(SALU_CYCLE_1)
	s_and_saveexec_b32 s10, s11
	s_cbranch_execz .LBB1448_2
; %bb.6:                                ;   in Loop: Header=BB1448_3 Depth=1
	global_load_b32 v17, v[2:3], off
	s_branch .LBB1448_2
.LBB1448_7:
	v_add_nc_u32_e32 v6, s20, v6
	s_load_b32 s3, s[0:1], 0x10
	s_delay_alu instid0(VALU_DEP_1) | instskip(SKIP_2) | instid1(VALU_DEP_3)
	v_ashrrev_i32_e32 v0, 31, v6
	v_mul_lo_u32 v3, v6, s7
	v_mad_u64_u32 v[1:2], null, v6, s6, 0
	v_mul_lo_u32 v0, v0, s6
	s_delay_alu instid0(VALU_DEP_1) | instskip(SKIP_1) | instid1(VALU_DEP_2)
	v_add3_u32 v2, v2, v3, v0
	v_add_nc_u32_e32 v0, s19, v5
	v_lshlrev_b64 v[1:2], 2, v[1:2]
	s_delay_alu instid0(VALU_DEP_2) | instskip(SKIP_2) | instid1(VALU_DEP_3)
	v_cmp_le_i32_e64 s0, v6, v0
	s_waitcnt lgkmcnt(0)
	v_cmp_gt_i32_e32 vcc_lo, s18, v0
	v_add_co_u32 v5, s1, s4, v1
	s_delay_alu instid0(VALU_DEP_1) | instskip(SKIP_1) | instid1(SALU_CYCLE_1)
	v_add_co_ci_u32_e64 v9, s1, s5, v2, s1
	s_and_b32 s0, s0, vcc_lo
	s_and_saveexec_b32 s1, s0
	s_cbranch_execz .LBB1448_9
; %bb.8:
	v_ashrrev_i32_e32 v1, 31, v0
	v_mul_f32_e32 v3, s3, v11
	s_delay_alu instid0(VALU_DEP_2) | instskip(NEXT) | instid1(VALU_DEP_1)
	v_lshlrev_b64 v[1:2], 2, v[0:1]
	v_add_co_u32 v1, s0, v5, v1
	s_delay_alu instid0(VALU_DEP_1)
	v_add_co_ci_u32_e64 v2, s0, v9, v2, s0
	global_store_b32 v[1:2], v3, off
.LBB1448_9:
	s_or_b32 exec_lo, exec_lo, s1
	v_add_nc_u32_e32 v2, 16, v0
	s_delay_alu instid0(VALU_DEP_1) | instskip(SKIP_1) | instid1(VALU_DEP_1)
	v_cmp_le_i32_e64 s1, v6, v2
	v_cmp_gt_i32_e64 s0, s18, v2
	s_and_b32 s1, s1, s0
	s_delay_alu instid0(SALU_CYCLE_1)
	s_and_saveexec_b32 s2, s1
	s_cbranch_execz .LBB1448_11
; %bb.10:
	v_ashrrev_i32_e32 v3, 31, v2
	v_mul_f32_e32 v1, s3, v8
	s_delay_alu instid0(VALU_DEP_2) | instskip(NEXT) | instid1(VALU_DEP_1)
	v_lshlrev_b64 v[10:11], 2, v[2:3]
	v_add_co_u32 v8, s1, v5, v10
	s_delay_alu instid0(VALU_DEP_1)
	v_add_co_ci_u32_e64 v9, s1, v9, v11, s1
	global_store_b32 v[8:9], v1, off
.LBB1448_11:
	s_or_b32 exec_lo, exec_lo, s2
	v_add_nc_u32_e32 v3, 16, v6
	s_delay_alu instid0(VALU_DEP_1) | instskip(SKIP_3) | instid1(VALU_DEP_4)
	v_ashrrev_i32_e32 v1, 31, v3
	v_mul_lo_u32 v8, v3, s7
	v_mad_u64_u32 v[5:6], null, v3, s6, 0
	v_cmp_le_i32_e64 s1, v3, v0
	v_mul_lo_u32 v1, v1, s6
	s_delay_alu instid0(VALU_DEP_1) | instskip(NEXT) | instid1(VALU_DEP_1)
	v_add3_u32 v6, v6, v8, v1
	v_lshlrev_b64 v[5:6], 2, v[5:6]
	s_delay_alu instid0(VALU_DEP_1) | instskip(NEXT) | instid1(VALU_DEP_1)
	v_add_co_u32 v5, s2, s4, v5
	v_add_co_ci_u32_e64 v6, s2, s5, v6, s2
	s_and_b32 s2, s1, vcc_lo
	s_delay_alu instid0(SALU_CYCLE_1)
	s_and_saveexec_b32 s1, s2
	s_cbranch_execz .LBB1448_13
; %bb.12:
	v_ashrrev_i32_e32 v1, 31, v0
	v_mul_f32_e32 v7, s3, v7
	s_delay_alu instid0(VALU_DEP_2) | instskip(NEXT) | instid1(VALU_DEP_1)
	v_lshlrev_b64 v[0:1], 2, v[0:1]
	v_add_co_u32 v0, vcc_lo, v5, v0
	s_delay_alu instid0(VALU_DEP_2)
	v_add_co_ci_u32_e32 v1, vcc_lo, v6, v1, vcc_lo
	global_store_b32 v[0:1], v7, off
.LBB1448_13:
	s_or_b32 exec_lo, exec_lo, s1
	v_cmp_le_i32_e32 vcc_lo, v3, v2
	s_and_b32 s0, vcc_lo, s0
	s_delay_alu instid0(SALU_CYCLE_1)
	s_and_saveexec_b32 s1, s0
	s_cbranch_execz .LBB1448_15
; %bb.14:
	v_ashrrev_i32_e32 v3, 31, v2
	s_delay_alu instid0(VALU_DEP_1) | instskip(SKIP_1) | instid1(VALU_DEP_2)
	v_lshlrev_b64 v[0:1], 2, v[2:3]
	v_mul_f32_e32 v2, s3, v4
	v_add_co_u32 v0, vcc_lo, v5, v0
	s_delay_alu instid0(VALU_DEP_3)
	v_add_co_ci_u32_e32 v1, vcc_lo, v6, v1, vcc_lo
	global_store_b32 v[0:1], v2, off
.LBB1448_15:
	s_nop 0
	s_sendmsg sendmsg(MSG_DEALLOC_VGPRS)
	s_endpgm
	.section	.rodata,"a",@progbits
	.p2align	6, 0x0
	.amdhsa_kernel _ZL34rocblas_syrkx_herkx_general_kernelIlfLi16ELi32ELi8ELb1ELb0ELc84ELc76EKPKfKPfEviT_T0_PT8_S5_lS8_S5_lS6_PT9_S5_li
		.amdhsa_group_segment_fixed_size 2048
		.amdhsa_private_segment_fixed_size 0
		.amdhsa_kernarg_size 108
		.amdhsa_user_sgpr_count 13
		.amdhsa_user_sgpr_dispatch_ptr 0
		.amdhsa_user_sgpr_queue_ptr 0
		.amdhsa_user_sgpr_kernarg_segment_ptr 1
		.amdhsa_user_sgpr_dispatch_id 0
		.amdhsa_user_sgpr_private_segment_size 0
		.amdhsa_wavefront_size32 1
		.amdhsa_uses_dynamic_stack 0
		.amdhsa_enable_private_segment 0
		.amdhsa_system_sgpr_workgroup_id_x 1
		.amdhsa_system_sgpr_workgroup_id_y 1
		.amdhsa_system_sgpr_workgroup_id_z 1
		.amdhsa_system_sgpr_workgroup_info 0
		.amdhsa_system_vgpr_workitem_id 1
		.amdhsa_next_free_vgpr 44
		.amdhsa_next_free_sgpr 21
		.amdhsa_reserve_vcc 1
		.amdhsa_float_round_mode_32 0
		.amdhsa_float_round_mode_16_64 0
		.amdhsa_float_denorm_mode_32 3
		.amdhsa_float_denorm_mode_16_64 3
		.amdhsa_dx10_clamp 1
		.amdhsa_ieee_mode 1
		.amdhsa_fp16_overflow 0
		.amdhsa_workgroup_processor_mode 1
		.amdhsa_memory_ordered 1
		.amdhsa_forward_progress 0
		.amdhsa_shared_vgpr_count 0
		.amdhsa_exception_fp_ieee_invalid_op 0
		.amdhsa_exception_fp_denorm_src 0
		.amdhsa_exception_fp_ieee_div_zero 0
		.amdhsa_exception_fp_ieee_overflow 0
		.amdhsa_exception_fp_ieee_underflow 0
		.amdhsa_exception_fp_ieee_inexact 0
		.amdhsa_exception_int_div_zero 0
	.end_amdhsa_kernel
	.section	.text._ZL34rocblas_syrkx_herkx_general_kernelIlfLi16ELi32ELi8ELb1ELb0ELc84ELc76EKPKfKPfEviT_T0_PT8_S5_lS8_S5_lS6_PT9_S5_li,"axG",@progbits,_ZL34rocblas_syrkx_herkx_general_kernelIlfLi16ELi32ELi8ELb1ELb0ELc84ELc76EKPKfKPfEviT_T0_PT8_S5_lS8_S5_lS6_PT9_S5_li,comdat
.Lfunc_end1448:
	.size	_ZL34rocblas_syrkx_herkx_general_kernelIlfLi16ELi32ELi8ELb1ELb0ELc84ELc76EKPKfKPfEviT_T0_PT8_S5_lS8_S5_lS6_PT9_S5_li, .Lfunc_end1448-_ZL34rocblas_syrkx_herkx_general_kernelIlfLi16ELi32ELi8ELb1ELb0ELc84ELc76EKPKfKPfEviT_T0_PT8_S5_lS8_S5_lS6_PT9_S5_li
                                        ; -- End function
	.section	.AMDGPU.csdata,"",@progbits
; Kernel info:
; codeLenInByte = 1420
; NumSgprs: 23
; NumVgprs: 44
; ScratchSize: 0
; MemoryBound: 0
; FloatMode: 240
; IeeeMode: 1
; LDSByteSize: 2048 bytes/workgroup (compile time only)
; SGPRBlocks: 2
; VGPRBlocks: 5
; NumSGPRsForWavesPerEU: 23
; NumVGPRsForWavesPerEU: 44
; Occupancy: 16
; WaveLimiterHint : 1
; COMPUTE_PGM_RSRC2:SCRATCH_EN: 0
; COMPUTE_PGM_RSRC2:USER_SGPR: 13
; COMPUTE_PGM_RSRC2:TRAP_HANDLER: 0
; COMPUTE_PGM_RSRC2:TGID_X_EN: 1
; COMPUTE_PGM_RSRC2:TGID_Y_EN: 1
; COMPUTE_PGM_RSRC2:TGID_Z_EN: 1
; COMPUTE_PGM_RSRC2:TIDIG_COMP_CNT: 1
	.section	.text._ZL34rocblas_syrkx_herkx_general_kernelIlfLi16ELi32ELi8ELb1ELb0ELc67ELc76EKPKfKPfEviT_T0_PT8_S5_lS8_S5_lS6_PT9_S5_li,"axG",@progbits,_ZL34rocblas_syrkx_herkx_general_kernelIlfLi16ELi32ELi8ELb1ELb0ELc67ELc76EKPKfKPfEviT_T0_PT8_S5_lS8_S5_lS6_PT9_S5_li,comdat
	.globl	_ZL34rocblas_syrkx_herkx_general_kernelIlfLi16ELi32ELi8ELb1ELb0ELc67ELc76EKPKfKPfEviT_T0_PT8_S5_lS8_S5_lS6_PT9_S5_li ; -- Begin function _ZL34rocblas_syrkx_herkx_general_kernelIlfLi16ELi32ELi8ELb1ELb0ELc67ELc76EKPKfKPfEviT_T0_PT8_S5_lS8_S5_lS6_PT9_S5_li
	.p2align	8
	.type	_ZL34rocblas_syrkx_herkx_general_kernelIlfLi16ELi32ELi8ELb1ELb0ELc67ELc76EKPKfKPfEviT_T0_PT8_S5_lS8_S5_lS6_PT9_S5_li,@function
_ZL34rocblas_syrkx_herkx_general_kernelIlfLi16ELi32ELi8ELb1ELb0ELc67ELc76EKPKfKPfEviT_T0_PT8_S5_lS8_S5_lS6_PT9_S5_li: ; @_ZL34rocblas_syrkx_herkx_general_kernelIlfLi16ELi32ELi8ELb1ELb0ELc67ELc76EKPKfKPfEviT_T0_PT8_S5_lS8_S5_lS6_PT9_S5_li
; %bb.0:
	s_clause 0x1
	s_load_b128 s[4:7], s[0:1], 0x50
	s_load_b64 s[16:17], s[0:1], 0x8
	s_mov_b32 s2, s15
	s_mov_b32 s3, 0
	v_dual_mov_b32 v8, 0 :: v_dual_and_b32 v5, 0x3ff, v0
	s_lshl_b64 s[2:3], s[2:3], 3
	v_bfe_u32 v6, v0, 10, 10
	v_dual_mov_b32 v11, 0 :: v_dual_mov_b32 v4, 0
	v_mov_b32_e32 v7, 0
	s_waitcnt lgkmcnt(0)
	s_add_u32 s4, s4, s2
	s_addc_u32 s5, s5, s3
	s_load_b32 s18, s[0:1], 0x0
	s_load_b64 s[4:5], s[4:5], 0x0
	v_cmp_lt_i64_e64 s8, s[16:17], 1
	s_lshl_b32 s19, s13, 5
	s_lshl_b32 s20, s14, 5
	s_delay_alu instid0(VALU_DEP_1)
	s_and_b32 vcc_lo, exec_lo, s8
	s_cbranch_vccnz .LBB1449_7
; %bb.1:
	s_clause 0x1
	s_load_b128 s[12:15], s[0:1], 0x18
	s_load_b128 s[8:11], s[0:1], 0x30
	v_lshl_add_u32 v0, v6, 4, v5
	v_dual_mov_b32 v4, 0 :: v_dual_and_b32 v9, 7, v5
	s_delay_alu instid0(VALU_DEP_2) | instskip(SKIP_2) | instid1(VALU_DEP_3)
	v_and_b32_e32 v1, 31, v0
	v_lshrrev_b32_e32 v7, 3, v0
	v_lshrrev_b32_e32 v10, 5, v0
	v_add_nc_u32_e32 v2, s19, v1
	s_delay_alu instid0(VALU_DEP_3) | instskip(SKIP_2) | instid1(VALU_DEP_4)
	v_add_nc_u32_e32 v8, s20, v7
	v_or_b32_e32 v12, s19, v1
	v_lshlrev_b32_e32 v13, 2, v1
	v_ashrrev_i32_e32 v0, 31, v2
	s_delay_alu instid0(VALU_DEP_4)
	v_ashrrev_i32_e32 v3, 31, v8
	s_waitcnt lgkmcnt(0)
	v_mul_lo_u32 v15, s15, v2
	s_add_u32 s8, s8, s2
	v_mul_lo_u32 v14, s14, v0
	v_mad_u64_u32 v[0:1], null, s14, v2, 0
	s_addc_u32 s9, s9, s3
	s_add_u32 s2, s12, s2
	v_mul_lo_u32 v16, s10, v3
	v_mul_lo_u32 v17, s11, v8
	s_addc_u32 s3, s13, s3
	v_mad_u64_u32 v[2:3], null, s10, v8, 0
	s_load_b64 s[8:9], s[8:9], 0x0
	s_load_b64 s[12:13], s[2:3], 0x0
	v_cmp_gt_i32_e64 s3, s18, v8
	v_dual_mov_b32 v8, 0 :: v_dual_lshlrev_b32 v11, 2, v9
	v_add3_u32 v1, v1, v14, v15
	v_cmp_gt_i32_e64 s2, s18, v12
	v_add3_u32 v3, v3, v16, v17
	v_lshl_or_b32 v12, v10, 7, v13
	v_lshl_or_b32 v7, v7, 5, v11
	v_lshlrev_b64 v[0:1], 2, v[0:1]
	v_lshlrev_b32_e32 v14, 2, v5
	v_lshlrev_b64 v[2:3], 2, v[2:3]
	v_lshl_add_u32 v15, v6, 5, 0x400
	v_add_nc_u32_e32 v13, 0x400, v7
	v_lshlrev_b32_e32 v7, 2, v10
	s_delay_alu instid0(VALU_DEP_1)
	v_add_co_u32 v0, vcc_lo, v0, v7
	v_add_co_ci_u32_e32 v1, vcc_lo, 0, v1, vcc_lo
	v_add_co_u32 v2, vcc_lo, v2, v11
	v_mov_b32_e32 v11, 0
	v_add_co_ci_u32_e32 v3, vcc_lo, 0, v3, vcc_lo
	s_waitcnt lgkmcnt(0)
	v_add_co_u32 v0, vcc_lo, s12, v0
	v_add_co_ci_u32_e32 v1, vcc_lo, s13, v1, vcc_lo
	v_add_co_u32 v2, vcc_lo, s8, v2
	v_add_co_ci_u32_e32 v3, vcc_lo, s9, v3, vcc_lo
	v_mov_b32_e32 v7, 0
	s_mov_b64 s[8:9], 0
	s_branch .LBB1449_3
.LBB1449_2:                             ;   in Loop: Header=BB1449_3 Depth=1
	s_or_b32 exec_lo, exec_lo, s10
	s_waitcnt vmcnt(0)
	ds_store_b32 v13, v17
	s_waitcnt lgkmcnt(0)
	s_barrier
	buffer_gl0_inv
	ds_load_2addr_b32 v[32:33], v14 offset1:16
	ds_load_b128 v[16:19], v15
	ds_load_b128 v[20:23], v15 offset:512
	ds_load_2addr_b32 v[34:35], v14 offset0:32 offset1:48
	ds_load_2addr_b32 v[36:37], v14 offset0:64 offset1:80
	;; [unrolled: 1-line block ×3, first 2 shown]
	ds_load_b128 v[24:27], v15 offset:16
	ds_load_2addr_b32 v[40:41], v14 offset0:128 offset1:144
	ds_load_b128 v[28:31], v15 offset:528
	ds_load_2addr_b32 v[42:43], v14 offset0:160 offset1:176
	s_add_u32 s8, s8, 8
	s_addc_u32 s9, s9, 0
	v_add_co_u32 v0, vcc_lo, v0, 32
	v_cmp_ge_i64_e64 s10, s[8:9], s[16:17]
	v_add_co_ci_u32_e32 v1, vcc_lo, 0, v1, vcc_lo
	v_add_co_u32 v2, vcc_lo, v2, 32
	v_add_co_ci_u32_e32 v3, vcc_lo, 0, v3, vcc_lo
	s_waitcnt lgkmcnt(8)
	v_fmac_f32_e32 v8, v33, v16
	v_fmac_f32_e32 v11, v32, v16
	s_waitcnt lgkmcnt(7)
	v_fmac_f32_e32 v4, v33, v20
	v_fmac_f32_e32 v7, v32, v20
	ds_load_2addr_b32 v[32:33], v14 offset0:192 offset1:208
	s_waitcnt lgkmcnt(7)
	v_fmac_f32_e32 v8, v35, v17
	v_fmac_f32_e32 v11, v34, v17
	;; [unrolled: 1-line block ×4, first 2 shown]
	ds_load_2addr_b32 v[16:17], v14 offset0:224 offset1:240
	s_waitcnt lgkmcnt(7)
	v_fmac_f32_e32 v8, v37, v18
	v_fmac_f32_e32 v11, v36, v18
	;; [unrolled: 1-line block ×4, first 2 shown]
	s_and_b32 vcc_lo, exec_lo, s10
	s_waitcnt lgkmcnt(6)
	v_fmac_f32_e32 v8, v39, v19
	v_fmac_f32_e32 v11, v38, v19
	;; [unrolled: 1-line block ×4, first 2 shown]
	s_waitcnt lgkmcnt(0)
	v_fmac_f32_e32 v8, v41, v24
	v_fmac_f32_e32 v11, v40, v24
	;; [unrolled: 1-line block ×4, first 2 shown]
	s_barrier
	v_fmac_f32_e32 v8, v43, v25
	v_fmac_f32_e32 v11, v42, v25
	;; [unrolled: 1-line block ×4, first 2 shown]
	buffer_gl0_inv
	v_fmac_f32_e32 v8, v33, v26
	v_fmac_f32_e32 v11, v32, v26
	;; [unrolled: 1-line block ×3, first 2 shown]
	s_delay_alu instid0(VALU_DEP_3) | instskip(NEXT) | instid1(VALU_DEP_3)
	v_dual_fmac_f32 v7, v32, v30 :: v_dual_fmac_f32 v8, v17, v27
	v_fmac_f32_e32 v11, v16, v27
	s_delay_alu instid0(VALU_DEP_3) | instskip(NEXT) | instid1(VALU_DEP_3)
	v_fmac_f32_e32 v4, v17, v31
	v_fmac_f32_e32 v7, v16, v31
	s_cbranch_vccnz .LBB1449_7
.LBB1449_3:                             ; =>This Inner Loop Header: Depth=1
	v_add_co_u32 v16, s10, v10, s8
	s_delay_alu instid0(VALU_DEP_1) | instskip(NEXT) | instid1(VALU_DEP_1)
	v_add_co_ci_u32_e64 v17, null, 0, s9, s10
	v_cmp_gt_i64_e32 vcc_lo, s[16:17], v[16:17]
	v_mov_b32_e32 v16, 0
	s_and_b32 s11, s2, vcc_lo
	s_delay_alu instid0(SALU_CYCLE_1)
	s_and_saveexec_b32 s10, s11
	s_cbranch_execz .LBB1449_5
; %bb.4:                                ;   in Loop: Header=BB1449_3 Depth=1
	global_load_b32 v16, v[0:1], off
.LBB1449_5:                             ;   in Loop: Header=BB1449_3 Depth=1
	s_or_b32 exec_lo, exec_lo, s10
	v_add_co_u32 v17, s10, v9, s8
	s_delay_alu instid0(VALU_DEP_1)
	v_add_co_ci_u32_e64 v18, null, 0, s9, s10
	s_waitcnt vmcnt(0)
	ds_store_b32 v12, v16
	v_cmp_gt_i64_e32 vcc_lo, s[16:17], v[17:18]
	v_mov_b32_e32 v17, 0
	s_and_b32 s11, vcc_lo, s3
	s_delay_alu instid0(SALU_CYCLE_1)
	s_and_saveexec_b32 s10, s11
	s_cbranch_execz .LBB1449_2
; %bb.6:                                ;   in Loop: Header=BB1449_3 Depth=1
	global_load_b32 v17, v[2:3], off
	s_branch .LBB1449_2
.LBB1449_7:
	v_add_nc_u32_e32 v6, s20, v6
	s_load_b32 s3, s[0:1], 0x10
	s_delay_alu instid0(VALU_DEP_1) | instskip(SKIP_2) | instid1(VALU_DEP_3)
	v_ashrrev_i32_e32 v0, 31, v6
	v_mul_lo_u32 v3, v6, s7
	v_mad_u64_u32 v[1:2], null, v6, s6, 0
	v_mul_lo_u32 v0, v0, s6
	s_delay_alu instid0(VALU_DEP_1) | instskip(SKIP_1) | instid1(VALU_DEP_2)
	v_add3_u32 v2, v2, v3, v0
	v_add_nc_u32_e32 v0, s19, v5
	v_lshlrev_b64 v[1:2], 2, v[1:2]
	s_delay_alu instid0(VALU_DEP_2) | instskip(SKIP_2) | instid1(VALU_DEP_3)
	v_cmp_le_i32_e64 s0, v6, v0
	s_waitcnt lgkmcnt(0)
	v_cmp_gt_i32_e32 vcc_lo, s18, v0
	v_add_co_u32 v5, s1, s4, v1
	s_delay_alu instid0(VALU_DEP_1) | instskip(SKIP_1) | instid1(SALU_CYCLE_1)
	v_add_co_ci_u32_e64 v9, s1, s5, v2, s1
	s_and_b32 s0, s0, vcc_lo
	s_and_saveexec_b32 s1, s0
	s_cbranch_execz .LBB1449_9
; %bb.8:
	v_ashrrev_i32_e32 v1, 31, v0
	v_mul_f32_e32 v3, s3, v11
	s_delay_alu instid0(VALU_DEP_2) | instskip(NEXT) | instid1(VALU_DEP_1)
	v_lshlrev_b64 v[1:2], 2, v[0:1]
	v_add_co_u32 v1, s0, v5, v1
	s_delay_alu instid0(VALU_DEP_1)
	v_add_co_ci_u32_e64 v2, s0, v9, v2, s0
	global_store_b32 v[1:2], v3, off
.LBB1449_9:
	s_or_b32 exec_lo, exec_lo, s1
	v_add_nc_u32_e32 v2, 16, v0
	s_delay_alu instid0(VALU_DEP_1) | instskip(SKIP_1) | instid1(VALU_DEP_1)
	v_cmp_le_i32_e64 s1, v6, v2
	v_cmp_gt_i32_e64 s0, s18, v2
	s_and_b32 s1, s1, s0
	s_delay_alu instid0(SALU_CYCLE_1)
	s_and_saveexec_b32 s2, s1
	s_cbranch_execz .LBB1449_11
; %bb.10:
	v_ashrrev_i32_e32 v3, 31, v2
	v_mul_f32_e32 v1, s3, v8
	s_delay_alu instid0(VALU_DEP_2) | instskip(NEXT) | instid1(VALU_DEP_1)
	v_lshlrev_b64 v[10:11], 2, v[2:3]
	v_add_co_u32 v8, s1, v5, v10
	s_delay_alu instid0(VALU_DEP_1)
	v_add_co_ci_u32_e64 v9, s1, v9, v11, s1
	global_store_b32 v[8:9], v1, off
.LBB1449_11:
	s_or_b32 exec_lo, exec_lo, s2
	v_add_nc_u32_e32 v3, 16, v6
	s_delay_alu instid0(VALU_DEP_1) | instskip(SKIP_3) | instid1(VALU_DEP_4)
	v_ashrrev_i32_e32 v1, 31, v3
	v_mul_lo_u32 v8, v3, s7
	v_mad_u64_u32 v[5:6], null, v3, s6, 0
	v_cmp_le_i32_e64 s1, v3, v0
	v_mul_lo_u32 v1, v1, s6
	s_delay_alu instid0(VALU_DEP_1) | instskip(NEXT) | instid1(VALU_DEP_1)
	v_add3_u32 v6, v6, v8, v1
	v_lshlrev_b64 v[5:6], 2, v[5:6]
	s_delay_alu instid0(VALU_DEP_1) | instskip(NEXT) | instid1(VALU_DEP_1)
	v_add_co_u32 v5, s2, s4, v5
	v_add_co_ci_u32_e64 v6, s2, s5, v6, s2
	s_and_b32 s2, s1, vcc_lo
	s_delay_alu instid0(SALU_CYCLE_1)
	s_and_saveexec_b32 s1, s2
	s_cbranch_execz .LBB1449_13
; %bb.12:
	v_ashrrev_i32_e32 v1, 31, v0
	v_mul_f32_e32 v7, s3, v7
	s_delay_alu instid0(VALU_DEP_2) | instskip(NEXT) | instid1(VALU_DEP_1)
	v_lshlrev_b64 v[0:1], 2, v[0:1]
	v_add_co_u32 v0, vcc_lo, v5, v0
	s_delay_alu instid0(VALU_DEP_2)
	v_add_co_ci_u32_e32 v1, vcc_lo, v6, v1, vcc_lo
	global_store_b32 v[0:1], v7, off
.LBB1449_13:
	s_or_b32 exec_lo, exec_lo, s1
	v_cmp_le_i32_e32 vcc_lo, v3, v2
	s_and_b32 s0, vcc_lo, s0
	s_delay_alu instid0(SALU_CYCLE_1)
	s_and_saveexec_b32 s1, s0
	s_cbranch_execz .LBB1449_15
; %bb.14:
	v_ashrrev_i32_e32 v3, 31, v2
	s_delay_alu instid0(VALU_DEP_1) | instskip(SKIP_1) | instid1(VALU_DEP_2)
	v_lshlrev_b64 v[0:1], 2, v[2:3]
	v_mul_f32_e32 v2, s3, v4
	v_add_co_u32 v0, vcc_lo, v5, v0
	s_delay_alu instid0(VALU_DEP_3)
	v_add_co_ci_u32_e32 v1, vcc_lo, v6, v1, vcc_lo
	global_store_b32 v[0:1], v2, off
.LBB1449_15:
	s_nop 0
	s_sendmsg sendmsg(MSG_DEALLOC_VGPRS)
	s_endpgm
	.section	.rodata,"a",@progbits
	.p2align	6, 0x0
	.amdhsa_kernel _ZL34rocblas_syrkx_herkx_general_kernelIlfLi16ELi32ELi8ELb1ELb0ELc67ELc76EKPKfKPfEviT_T0_PT8_S5_lS8_S5_lS6_PT9_S5_li
		.amdhsa_group_segment_fixed_size 2048
		.amdhsa_private_segment_fixed_size 0
		.amdhsa_kernarg_size 108
		.amdhsa_user_sgpr_count 13
		.amdhsa_user_sgpr_dispatch_ptr 0
		.amdhsa_user_sgpr_queue_ptr 0
		.amdhsa_user_sgpr_kernarg_segment_ptr 1
		.amdhsa_user_sgpr_dispatch_id 0
		.amdhsa_user_sgpr_private_segment_size 0
		.amdhsa_wavefront_size32 1
		.amdhsa_uses_dynamic_stack 0
		.amdhsa_enable_private_segment 0
		.amdhsa_system_sgpr_workgroup_id_x 1
		.amdhsa_system_sgpr_workgroup_id_y 1
		.amdhsa_system_sgpr_workgroup_id_z 1
		.amdhsa_system_sgpr_workgroup_info 0
		.amdhsa_system_vgpr_workitem_id 1
		.amdhsa_next_free_vgpr 44
		.amdhsa_next_free_sgpr 21
		.amdhsa_reserve_vcc 1
		.amdhsa_float_round_mode_32 0
		.amdhsa_float_round_mode_16_64 0
		.amdhsa_float_denorm_mode_32 3
		.amdhsa_float_denorm_mode_16_64 3
		.amdhsa_dx10_clamp 1
		.amdhsa_ieee_mode 1
		.amdhsa_fp16_overflow 0
		.amdhsa_workgroup_processor_mode 1
		.amdhsa_memory_ordered 1
		.amdhsa_forward_progress 0
		.amdhsa_shared_vgpr_count 0
		.amdhsa_exception_fp_ieee_invalid_op 0
		.amdhsa_exception_fp_denorm_src 0
		.amdhsa_exception_fp_ieee_div_zero 0
		.amdhsa_exception_fp_ieee_overflow 0
		.amdhsa_exception_fp_ieee_underflow 0
		.amdhsa_exception_fp_ieee_inexact 0
		.amdhsa_exception_int_div_zero 0
	.end_amdhsa_kernel
	.section	.text._ZL34rocblas_syrkx_herkx_general_kernelIlfLi16ELi32ELi8ELb1ELb0ELc67ELc76EKPKfKPfEviT_T0_PT8_S5_lS8_S5_lS6_PT9_S5_li,"axG",@progbits,_ZL34rocblas_syrkx_herkx_general_kernelIlfLi16ELi32ELi8ELb1ELb0ELc67ELc76EKPKfKPfEviT_T0_PT8_S5_lS8_S5_lS6_PT9_S5_li,comdat
.Lfunc_end1449:
	.size	_ZL34rocblas_syrkx_herkx_general_kernelIlfLi16ELi32ELi8ELb1ELb0ELc67ELc76EKPKfKPfEviT_T0_PT8_S5_lS8_S5_lS6_PT9_S5_li, .Lfunc_end1449-_ZL34rocblas_syrkx_herkx_general_kernelIlfLi16ELi32ELi8ELb1ELb0ELc67ELc76EKPKfKPfEviT_T0_PT8_S5_lS8_S5_lS6_PT9_S5_li
                                        ; -- End function
	.section	.AMDGPU.csdata,"",@progbits
; Kernel info:
; codeLenInByte = 1420
; NumSgprs: 23
; NumVgprs: 44
; ScratchSize: 0
; MemoryBound: 0
; FloatMode: 240
; IeeeMode: 1
; LDSByteSize: 2048 bytes/workgroup (compile time only)
; SGPRBlocks: 2
; VGPRBlocks: 5
; NumSGPRsForWavesPerEU: 23
; NumVGPRsForWavesPerEU: 44
; Occupancy: 16
; WaveLimiterHint : 1
; COMPUTE_PGM_RSRC2:SCRATCH_EN: 0
; COMPUTE_PGM_RSRC2:USER_SGPR: 13
; COMPUTE_PGM_RSRC2:TRAP_HANDLER: 0
; COMPUTE_PGM_RSRC2:TGID_X_EN: 1
; COMPUTE_PGM_RSRC2:TGID_Y_EN: 1
; COMPUTE_PGM_RSRC2:TGID_Z_EN: 1
; COMPUTE_PGM_RSRC2:TIDIG_COMP_CNT: 1
	.section	.text._ZL34rocblas_syrkx_herkx_general_kernelIlfLi16ELi32ELi8ELb1ELb0ELc78ELc76EKPKfKPfEviT_T0_PT8_S5_lS8_S5_lS6_PT9_S5_li,"axG",@progbits,_ZL34rocblas_syrkx_herkx_general_kernelIlfLi16ELi32ELi8ELb1ELb0ELc78ELc76EKPKfKPfEviT_T0_PT8_S5_lS8_S5_lS6_PT9_S5_li,comdat
	.globl	_ZL34rocblas_syrkx_herkx_general_kernelIlfLi16ELi32ELi8ELb1ELb0ELc78ELc76EKPKfKPfEviT_T0_PT8_S5_lS8_S5_lS6_PT9_S5_li ; -- Begin function _ZL34rocblas_syrkx_herkx_general_kernelIlfLi16ELi32ELi8ELb1ELb0ELc78ELc76EKPKfKPfEviT_T0_PT8_S5_lS8_S5_lS6_PT9_S5_li
	.p2align	8
	.type	_ZL34rocblas_syrkx_herkx_general_kernelIlfLi16ELi32ELi8ELb1ELb0ELc78ELc76EKPKfKPfEviT_T0_PT8_S5_lS8_S5_lS6_PT9_S5_li,@function
_ZL34rocblas_syrkx_herkx_general_kernelIlfLi16ELi32ELi8ELb1ELb0ELc78ELc76EKPKfKPfEviT_T0_PT8_S5_lS8_S5_lS6_PT9_S5_li: ; @_ZL34rocblas_syrkx_herkx_general_kernelIlfLi16ELi32ELi8ELb1ELb0ELc78ELc76EKPKfKPfEviT_T0_PT8_S5_lS8_S5_lS6_PT9_S5_li
; %bb.0:
	s_clause 0x1
	s_load_b128 s[4:7], s[0:1], 0x50
	s_load_b64 s[16:17], s[0:1], 0x8
	s_mov_b32 s2, s15
	s_mov_b32 s3, 0
	v_dual_mov_b32 v4, 0 :: v_dual_and_b32 v5, 0x3ff, v0
	s_lshl_b64 s[18:19], s[2:3], 3
	v_bfe_u32 v6, v0, 10, 10
	v_mov_b32_e32 v13, 0
	v_mov_b32_e32 v9, 0
	;; [unrolled: 1-line block ×3, first 2 shown]
	s_waitcnt lgkmcnt(0)
	s_add_u32 s2, s4, s18
	s_addc_u32 s3, s5, s19
	s_load_b32 s20, s[0:1], 0x0
	s_load_b64 s[4:5], s[2:3], 0x0
	v_cmp_lt_i64_e64 s2, s[16:17], 1
	s_lshl_b32 s21, s13, 5
	s_lshl_b32 s22, s14, 5
	s_delay_alu instid0(VALU_DEP_1)
	s_and_b32 vcc_lo, exec_lo, s2
	s_cbranch_vccnz .LBB1450_7
; %bb.1:
	s_clause 0x1
	s_load_b128 s[8:11], s[0:1], 0x18
	s_load_b128 s[12:15], s[0:1], 0x30
	v_lshl_add_u32 v0, v6, 4, v5
	v_mov_b32_e32 v4, 0
	v_lshl_add_u32 v11, v6, 5, 0x400
	s_delay_alu instid0(VALU_DEP_3) | instskip(SKIP_2) | instid1(VALU_DEP_3)
	v_and_b32_e32 v7, 31, v0
	v_lshrrev_b32_e32 v12, 5, v0
	v_lshrrev_b32_e32 v1, 3, v0
	v_or_b32_e32 v13, s21, v7
	s_delay_alu instid0(VALU_DEP_2) | instskip(SKIP_1) | instid1(VALU_DEP_2)
	v_add_nc_u32_e32 v0, s22, v1
	s_waitcnt lgkmcnt(0)
	v_cmp_gt_i32_e64 s2, s20, v13
	v_mad_u64_u32 v[2:3], null, s10, v12, 0
	v_and_b32_e32 v8, 7, v5
	s_add_u32 s12, s12, s18
	s_addc_u32 s13, s13, s19
	s_add_u32 s8, s8, s18
	s_addc_u32 s9, s9, s19
	v_lshlrev_b32_e32 v9, 2, v8
	s_load_b64 s[8:9], s[8:9], 0x0
	s_load_b64 s[12:13], s[12:13], 0x0
	s_delay_alu instid0(VALU_DEP_1) | instskip(SKIP_3) | instid1(VALU_DEP_4)
	v_lshl_or_b32 v9, v1, 5, v9
	v_mov_b32_e32 v1, v3
	v_mad_u64_u32 v[16:17], null, s14, v8, 0
	v_lshlrev_b32_e32 v10, 2, v5
	v_add_nc_u32_e32 v15, 0x400, v9
	s_delay_alu instid0(VALU_DEP_4) | instskip(NEXT) | instid1(VALU_DEP_4)
	v_mad_u64_u32 v[13:14], null, s11, v12, v[1:2]
	v_mov_b32_e32 v3, v17
	s_delay_alu instid0(VALU_DEP_1) | instskip(NEXT) | instid1(VALU_DEP_3)
	v_mad_u64_u32 v[20:21], null, s15, v8, v[3:4]
	v_dual_mov_b32 v3, v13 :: v_dual_add_nc_u32 v18, s21, v7
	v_ashrrev_i32_e32 v1, 31, v0
	v_cmp_gt_i32_e64 s3, s20, v0
	v_lshlrev_b32_e32 v7, 2, v7
	v_mov_b32_e32 v13, 0
	v_mov_b32_e32 v17, v20
	v_ashrrev_i32_e32 v19, 31, v18
	v_lshlrev_b64 v[2:3], 2, v[2:3]
	v_lshlrev_b64 v[0:1], 2, v[0:1]
	v_lshl_or_b32 v14, v12, 7, v7
	v_lshlrev_b64 v[16:17], 2, v[16:17]
	v_lshlrev_b64 v[18:19], 2, v[18:19]
	s_delay_alu instid0(VALU_DEP_1) | instskip(NEXT) | instid1(VALU_DEP_2)
	v_add_co_u32 v2, vcc_lo, v2, v18
	v_add_co_ci_u32_e32 v3, vcc_lo, v3, v19, vcc_lo
	s_delay_alu instid0(VALU_DEP_4)
	v_add_co_u32 v7, vcc_lo, v16, v0
	v_add_co_ci_u32_e32 v9, vcc_lo, v17, v1, vcc_lo
	s_waitcnt lgkmcnt(0)
	v_add_co_u32 v0, vcc_lo, s8, v2
	v_add_co_ci_u32_e32 v1, vcc_lo, s9, v3, vcc_lo
	v_add_co_u32 v2, vcc_lo, s12, v7
	v_add_co_ci_u32_e32 v3, vcc_lo, s13, v9, vcc_lo
	v_mov_b32_e32 v7, 0
	v_mov_b32_e32 v9, 0
	s_lshl_b64 s[8:9], s[10:11], 5
	s_lshl_b64 s[10:11], s[14:15], 5
	s_mov_b64 s[12:13], 0
	s_branch .LBB1450_3
.LBB1450_2:                             ;   in Loop: Header=BB1450_3 Depth=1
	s_or_b32 exec_lo, exec_lo, s14
	s_waitcnt vmcnt(0)
	ds_store_b32 v15, v17
	s_waitcnt lgkmcnt(0)
	s_barrier
	buffer_gl0_inv
	ds_load_2addr_b32 v[32:33], v10 offset1:16
	ds_load_b128 v[16:19], v11
	ds_load_b128 v[20:23], v11 offset:512
	ds_load_2addr_b32 v[34:35], v10 offset0:32 offset1:48
	ds_load_2addr_b32 v[36:37], v10 offset0:64 offset1:80
	ds_load_2addr_b32 v[38:39], v10 offset0:96 offset1:112
	ds_load_b128 v[24:27], v11 offset:16
	ds_load_2addr_b32 v[40:41], v10 offset0:128 offset1:144
	ds_load_b128 v[28:31], v11 offset:528
	ds_load_2addr_b32 v[42:43], v10 offset0:160 offset1:176
	s_add_u32 s12, s12, 8
	s_addc_u32 s13, s13, 0
	v_add_co_u32 v0, vcc_lo, v0, s8
	v_cmp_ge_i64_e64 s14, s[12:13], s[16:17]
	v_add_co_ci_u32_e32 v1, vcc_lo, s9, v1, vcc_lo
	v_add_co_u32 v2, vcc_lo, v2, s10
	v_add_co_ci_u32_e32 v3, vcc_lo, s11, v3, vcc_lo
	s_delay_alu instid0(VALU_DEP_4) | instskip(SKIP_3) | instid1(VALU_DEP_1)
	s_and_b32 vcc_lo, exec_lo, s14
	s_waitcnt lgkmcnt(7)
	v_fmac_f32_e32 v4, v33, v20
	s_waitcnt lgkmcnt(6)
	v_dual_fmac_f32 v13, v32, v16 :: v_dual_fmac_f32 v4, v35, v21
	v_fmac_f32_e32 v7, v32, v20
	s_waitcnt lgkmcnt(5)
	s_delay_alu instid0(VALU_DEP_2)
	v_dual_fmac_f32 v13, v34, v17 :: v_dual_fmac_f32 v4, v37, v22
	v_fmac_f32_e32 v9, v33, v16
	ds_load_2addr_b32 v[32:33], v10 offset0:192 offset1:208
	s_waitcnt lgkmcnt(5)
	v_fmac_f32_e32 v4, v39, v23
	v_fmac_f32_e32 v9, v35, v17
	ds_load_2addr_b32 v[16:17], v10 offset0:224 offset1:240
	s_waitcnt lgkmcnt(0)
	s_barrier
	v_dual_fmac_f32 v4, v41, v28 :: v_dual_fmac_f32 v13, v36, v18
	v_fmac_f32_e32 v9, v37, v18
	buffer_gl0_inv
	v_fmac_f32_e32 v4, v43, v29
	v_fmac_f32_e32 v7, v34, v21
	;; [unrolled: 1-line block ×3, first 2 shown]
	s_delay_alu instid0(VALU_DEP_3) | instskip(NEXT) | instid1(VALU_DEP_3)
	v_dual_fmac_f32 v9, v39, v19 :: v_dual_fmac_f32 v4, v33, v30
	v_fmac_f32_e32 v7, v36, v22
	s_delay_alu instid0(VALU_DEP_3) | instskip(NEXT) | instid1(VALU_DEP_3)
	v_fmac_f32_e32 v13, v40, v24
	v_fmac_f32_e32 v9, v41, v24
	s_delay_alu instid0(VALU_DEP_4) | instskip(NEXT) | instid1(VALU_DEP_4)
	v_fmac_f32_e32 v4, v17, v31
	v_fmac_f32_e32 v7, v38, v23
	s_delay_alu instid0(VALU_DEP_4) | instskip(NEXT) | instid1(VALU_DEP_4)
	v_fmac_f32_e32 v13, v42, v25
	v_fmac_f32_e32 v9, v43, v25
	s_delay_alu instid0(VALU_DEP_3) | instskip(NEXT) | instid1(VALU_DEP_3)
	v_fmac_f32_e32 v7, v40, v28
	v_fmac_f32_e32 v13, v32, v26
	s_delay_alu instid0(VALU_DEP_3) | instskip(NEXT) | instid1(VALU_DEP_3)
	v_fmac_f32_e32 v9, v33, v26
	v_fmac_f32_e32 v7, v42, v29
	s_delay_alu instid0(VALU_DEP_3) | instskip(NEXT) | instid1(VALU_DEP_3)
	v_fmac_f32_e32 v13, v16, v27
	v_fmac_f32_e32 v9, v17, v27
	s_delay_alu instid0(VALU_DEP_3) | instskip(NEXT) | instid1(VALU_DEP_1)
	v_fmac_f32_e32 v7, v32, v30
	v_fmac_f32_e32 v7, v16, v31
	s_cbranch_vccnz .LBB1450_7
.LBB1450_3:                             ; =>This Inner Loop Header: Depth=1
	v_add_co_u32 v16, s14, v12, s12
	s_delay_alu instid0(VALU_DEP_1) | instskip(NEXT) | instid1(VALU_DEP_1)
	v_add_co_ci_u32_e64 v17, null, 0, s13, s14
	v_cmp_gt_i64_e32 vcc_lo, s[16:17], v[16:17]
	v_mov_b32_e32 v16, 0
	s_and_b32 s15, s2, vcc_lo
	s_delay_alu instid0(SALU_CYCLE_1)
	s_and_saveexec_b32 s14, s15
	s_cbranch_execz .LBB1450_5
; %bb.4:                                ;   in Loop: Header=BB1450_3 Depth=1
	global_load_b32 v16, v[0:1], off
.LBB1450_5:                             ;   in Loop: Header=BB1450_3 Depth=1
	s_or_b32 exec_lo, exec_lo, s14
	v_add_co_u32 v17, s14, v8, s12
	s_delay_alu instid0(VALU_DEP_1)
	v_add_co_ci_u32_e64 v18, null, 0, s13, s14
	s_waitcnt vmcnt(0)
	ds_store_b32 v14, v16
	v_cmp_gt_i64_e32 vcc_lo, s[16:17], v[17:18]
	v_mov_b32_e32 v17, 0
	s_and_b32 s15, vcc_lo, s3
	s_delay_alu instid0(SALU_CYCLE_1)
	s_and_saveexec_b32 s14, s15
	s_cbranch_execz .LBB1450_2
; %bb.6:                                ;   in Loop: Header=BB1450_3 Depth=1
	global_load_b32 v17, v[2:3], off
	s_branch .LBB1450_2
.LBB1450_7:
	v_add_nc_u32_e32 v6, s22, v6
	s_load_b32 s3, s[0:1], 0x10
	s_delay_alu instid0(VALU_DEP_1) | instskip(SKIP_2) | instid1(VALU_DEP_3)
	v_ashrrev_i32_e32 v0, 31, v6
	v_mul_lo_u32 v3, v6, s7
	v_mad_u64_u32 v[1:2], null, v6, s6, 0
	v_mul_lo_u32 v0, v0, s6
	s_delay_alu instid0(VALU_DEP_1) | instskip(SKIP_1) | instid1(VALU_DEP_2)
	v_add3_u32 v2, v2, v3, v0
	v_add_nc_u32_e32 v0, s21, v5
	v_lshlrev_b64 v[1:2], 2, v[1:2]
	s_delay_alu instid0(VALU_DEP_2) | instskip(SKIP_2) | instid1(VALU_DEP_3)
	v_cmp_le_i32_e64 s0, v6, v0
	s_waitcnt lgkmcnt(0)
	v_cmp_gt_i32_e32 vcc_lo, s20, v0
	v_add_co_u32 v5, s1, s4, v1
	s_delay_alu instid0(VALU_DEP_1) | instskip(SKIP_1) | instid1(SALU_CYCLE_1)
	v_add_co_ci_u32_e64 v8, s1, s5, v2, s1
	s_and_b32 s0, s0, vcc_lo
	s_and_saveexec_b32 s1, s0
	s_cbranch_execz .LBB1450_9
; %bb.8:
	v_ashrrev_i32_e32 v1, 31, v0
	v_mul_f32_e32 v3, s3, v13
	s_delay_alu instid0(VALU_DEP_2) | instskip(NEXT) | instid1(VALU_DEP_1)
	v_lshlrev_b64 v[1:2], 2, v[0:1]
	v_add_co_u32 v1, s0, v5, v1
	s_delay_alu instid0(VALU_DEP_1)
	v_add_co_ci_u32_e64 v2, s0, v8, v2, s0
	global_store_b32 v[1:2], v3, off
.LBB1450_9:
	s_or_b32 exec_lo, exec_lo, s1
	v_add_nc_u32_e32 v2, 16, v0
	s_delay_alu instid0(VALU_DEP_1) | instskip(SKIP_1) | instid1(VALU_DEP_1)
	v_cmp_le_i32_e64 s1, v6, v2
	v_cmp_gt_i32_e64 s0, s20, v2
	s_and_b32 s1, s1, s0
	s_delay_alu instid0(SALU_CYCLE_1)
	s_and_saveexec_b32 s2, s1
	s_cbranch_execz .LBB1450_11
; %bb.10:
	v_ashrrev_i32_e32 v3, 31, v2
	v_mul_f32_e32 v1, s3, v9
	s_delay_alu instid0(VALU_DEP_2) | instskip(NEXT) | instid1(VALU_DEP_1)
	v_lshlrev_b64 v[10:11], 2, v[2:3]
	v_add_co_u32 v9, s1, v5, v10
	s_delay_alu instid0(VALU_DEP_1)
	v_add_co_ci_u32_e64 v10, s1, v8, v11, s1
	global_store_b32 v[9:10], v1, off
.LBB1450_11:
	s_or_b32 exec_lo, exec_lo, s2
	v_add_nc_u32_e32 v3, 16, v6
	s_delay_alu instid0(VALU_DEP_1) | instskip(SKIP_3) | instid1(VALU_DEP_4)
	v_ashrrev_i32_e32 v1, 31, v3
	v_mul_lo_u32 v8, v3, s7
	v_mad_u64_u32 v[5:6], null, v3, s6, 0
	v_cmp_le_i32_e64 s1, v3, v0
	v_mul_lo_u32 v1, v1, s6
	s_delay_alu instid0(VALU_DEP_1) | instskip(NEXT) | instid1(VALU_DEP_1)
	v_add3_u32 v6, v6, v8, v1
	v_lshlrev_b64 v[5:6], 2, v[5:6]
	s_delay_alu instid0(VALU_DEP_1) | instskip(NEXT) | instid1(VALU_DEP_1)
	v_add_co_u32 v5, s2, s4, v5
	v_add_co_ci_u32_e64 v6, s2, s5, v6, s2
	s_and_b32 s2, s1, vcc_lo
	s_delay_alu instid0(SALU_CYCLE_1)
	s_and_saveexec_b32 s1, s2
	s_cbranch_execz .LBB1450_13
; %bb.12:
	v_ashrrev_i32_e32 v1, 31, v0
	v_mul_f32_e32 v7, s3, v7
	s_delay_alu instid0(VALU_DEP_2) | instskip(NEXT) | instid1(VALU_DEP_1)
	v_lshlrev_b64 v[0:1], 2, v[0:1]
	v_add_co_u32 v0, vcc_lo, v5, v0
	s_delay_alu instid0(VALU_DEP_2)
	v_add_co_ci_u32_e32 v1, vcc_lo, v6, v1, vcc_lo
	global_store_b32 v[0:1], v7, off
.LBB1450_13:
	s_or_b32 exec_lo, exec_lo, s1
	v_cmp_le_i32_e32 vcc_lo, v3, v2
	s_and_b32 s0, vcc_lo, s0
	s_delay_alu instid0(SALU_CYCLE_1)
	s_and_saveexec_b32 s1, s0
	s_cbranch_execz .LBB1450_15
; %bb.14:
	v_ashrrev_i32_e32 v3, 31, v2
	s_delay_alu instid0(VALU_DEP_1) | instskip(SKIP_1) | instid1(VALU_DEP_2)
	v_lshlrev_b64 v[0:1], 2, v[2:3]
	v_mul_f32_e32 v2, s3, v4
	v_add_co_u32 v0, vcc_lo, v5, v0
	s_delay_alu instid0(VALU_DEP_3)
	v_add_co_ci_u32_e32 v1, vcc_lo, v6, v1, vcc_lo
	global_store_b32 v[0:1], v2, off
.LBB1450_15:
	s_nop 0
	s_sendmsg sendmsg(MSG_DEALLOC_VGPRS)
	s_endpgm
	.section	.rodata,"a",@progbits
	.p2align	6, 0x0
	.amdhsa_kernel _ZL34rocblas_syrkx_herkx_general_kernelIlfLi16ELi32ELi8ELb1ELb0ELc78ELc76EKPKfKPfEviT_T0_PT8_S5_lS8_S5_lS6_PT9_S5_li
		.amdhsa_group_segment_fixed_size 2048
		.amdhsa_private_segment_fixed_size 0
		.amdhsa_kernarg_size 108
		.amdhsa_user_sgpr_count 13
		.amdhsa_user_sgpr_dispatch_ptr 0
		.amdhsa_user_sgpr_queue_ptr 0
		.amdhsa_user_sgpr_kernarg_segment_ptr 1
		.amdhsa_user_sgpr_dispatch_id 0
		.amdhsa_user_sgpr_private_segment_size 0
		.amdhsa_wavefront_size32 1
		.amdhsa_uses_dynamic_stack 0
		.amdhsa_enable_private_segment 0
		.amdhsa_system_sgpr_workgroup_id_x 1
		.amdhsa_system_sgpr_workgroup_id_y 1
		.amdhsa_system_sgpr_workgroup_id_z 1
		.amdhsa_system_sgpr_workgroup_info 0
		.amdhsa_system_vgpr_workitem_id 1
		.amdhsa_next_free_vgpr 44
		.amdhsa_next_free_sgpr 23
		.amdhsa_reserve_vcc 1
		.amdhsa_float_round_mode_32 0
		.amdhsa_float_round_mode_16_64 0
		.amdhsa_float_denorm_mode_32 3
		.amdhsa_float_denorm_mode_16_64 3
		.amdhsa_dx10_clamp 1
		.amdhsa_ieee_mode 1
		.amdhsa_fp16_overflow 0
		.amdhsa_workgroup_processor_mode 1
		.amdhsa_memory_ordered 1
		.amdhsa_forward_progress 0
		.amdhsa_shared_vgpr_count 0
		.amdhsa_exception_fp_ieee_invalid_op 0
		.amdhsa_exception_fp_denorm_src 0
		.amdhsa_exception_fp_ieee_div_zero 0
		.amdhsa_exception_fp_ieee_overflow 0
		.amdhsa_exception_fp_ieee_underflow 0
		.amdhsa_exception_fp_ieee_inexact 0
		.amdhsa_exception_int_div_zero 0
	.end_amdhsa_kernel
	.section	.text._ZL34rocblas_syrkx_herkx_general_kernelIlfLi16ELi32ELi8ELb1ELb0ELc78ELc76EKPKfKPfEviT_T0_PT8_S5_lS8_S5_lS6_PT9_S5_li,"axG",@progbits,_ZL34rocblas_syrkx_herkx_general_kernelIlfLi16ELi32ELi8ELb1ELb0ELc78ELc76EKPKfKPfEviT_T0_PT8_S5_lS8_S5_lS6_PT9_S5_li,comdat
.Lfunc_end1450:
	.size	_ZL34rocblas_syrkx_herkx_general_kernelIlfLi16ELi32ELi8ELb1ELb0ELc78ELc76EKPKfKPfEviT_T0_PT8_S5_lS8_S5_lS6_PT9_S5_li, .Lfunc_end1450-_ZL34rocblas_syrkx_herkx_general_kernelIlfLi16ELi32ELi8ELb1ELb0ELc78ELc76EKPKfKPfEviT_T0_PT8_S5_lS8_S5_lS6_PT9_S5_li
                                        ; -- End function
	.section	.AMDGPU.csdata,"",@progbits
; Kernel info:
; codeLenInByte = 1464
; NumSgprs: 25
; NumVgprs: 44
; ScratchSize: 0
; MemoryBound: 0
; FloatMode: 240
; IeeeMode: 1
; LDSByteSize: 2048 bytes/workgroup (compile time only)
; SGPRBlocks: 3
; VGPRBlocks: 5
; NumSGPRsForWavesPerEU: 25
; NumVGPRsForWavesPerEU: 44
; Occupancy: 16
; WaveLimiterHint : 1
; COMPUTE_PGM_RSRC2:SCRATCH_EN: 0
; COMPUTE_PGM_RSRC2:USER_SGPR: 13
; COMPUTE_PGM_RSRC2:TRAP_HANDLER: 0
; COMPUTE_PGM_RSRC2:TGID_X_EN: 1
; COMPUTE_PGM_RSRC2:TGID_Y_EN: 1
; COMPUTE_PGM_RSRC2:TGID_Z_EN: 1
; COMPUTE_PGM_RSRC2:TIDIG_COMP_CNT: 1
	.section	.text._ZL34rocblas_syrkx_herkx_general_kernelIlfLi16ELi32ELi8ELb1ELb0ELc84ELc85EKPKfKPfEviT_T0_PT8_S5_lS8_S5_lS6_PT9_S5_li,"axG",@progbits,_ZL34rocblas_syrkx_herkx_general_kernelIlfLi16ELi32ELi8ELb1ELb0ELc84ELc85EKPKfKPfEviT_T0_PT8_S5_lS8_S5_lS6_PT9_S5_li,comdat
	.globl	_ZL34rocblas_syrkx_herkx_general_kernelIlfLi16ELi32ELi8ELb1ELb0ELc84ELc85EKPKfKPfEviT_T0_PT8_S5_lS8_S5_lS6_PT9_S5_li ; -- Begin function _ZL34rocblas_syrkx_herkx_general_kernelIlfLi16ELi32ELi8ELb1ELb0ELc84ELc85EKPKfKPfEviT_T0_PT8_S5_lS8_S5_lS6_PT9_S5_li
	.p2align	8
	.type	_ZL34rocblas_syrkx_herkx_general_kernelIlfLi16ELi32ELi8ELb1ELb0ELc84ELc85EKPKfKPfEviT_T0_PT8_S5_lS8_S5_lS6_PT9_S5_li,@function
_ZL34rocblas_syrkx_herkx_general_kernelIlfLi16ELi32ELi8ELb1ELb0ELc84ELc85EKPKfKPfEviT_T0_PT8_S5_lS8_S5_lS6_PT9_S5_li: ; @_ZL34rocblas_syrkx_herkx_general_kernelIlfLi16ELi32ELi8ELb1ELb0ELc84ELc85EKPKfKPfEviT_T0_PT8_S5_lS8_S5_lS6_PT9_S5_li
; %bb.0:
	s_clause 0x1
	s_load_b128 s[4:7], s[0:1], 0x50
	s_load_b64 s[16:17], s[0:1], 0x8
	s_mov_b32 s2, s15
	s_mov_b32 s3, 0
	v_dual_mov_b32 v8, 0 :: v_dual_and_b32 v5, 0x3ff, v0
	s_lshl_b64 s[2:3], s[2:3], 3
	v_bfe_u32 v6, v0, 10, 10
	v_dual_mov_b32 v11, 0 :: v_dual_mov_b32 v4, 0
	v_mov_b32_e32 v7, 0
	s_waitcnt lgkmcnt(0)
	s_add_u32 s4, s4, s2
	s_addc_u32 s5, s5, s3
	s_load_b32 s18, s[0:1], 0x0
	s_load_b64 s[4:5], s[4:5], 0x0
	v_cmp_lt_i64_e64 s8, s[16:17], 1
	s_lshl_b32 s19, s13, 5
	s_lshl_b32 s20, s14, 5
	s_delay_alu instid0(VALU_DEP_1)
	s_and_b32 vcc_lo, exec_lo, s8
	s_cbranch_vccnz .LBB1451_7
; %bb.1:
	s_clause 0x1
	s_load_b128 s[12:15], s[0:1], 0x18
	s_load_b128 s[8:11], s[0:1], 0x30
	v_lshl_add_u32 v0, v6, 4, v5
	v_dual_mov_b32 v4, 0 :: v_dual_and_b32 v9, 7, v5
	s_delay_alu instid0(VALU_DEP_2) | instskip(SKIP_2) | instid1(VALU_DEP_3)
	v_and_b32_e32 v1, 31, v0
	v_lshrrev_b32_e32 v7, 3, v0
	v_lshrrev_b32_e32 v10, 5, v0
	v_add_nc_u32_e32 v2, s19, v1
	s_delay_alu instid0(VALU_DEP_3) | instskip(SKIP_2) | instid1(VALU_DEP_4)
	v_add_nc_u32_e32 v8, s20, v7
	v_or_b32_e32 v12, s19, v1
	v_lshlrev_b32_e32 v13, 2, v1
	v_ashrrev_i32_e32 v0, 31, v2
	s_delay_alu instid0(VALU_DEP_4)
	v_ashrrev_i32_e32 v3, 31, v8
	s_waitcnt lgkmcnt(0)
	v_mul_lo_u32 v15, s15, v2
	s_add_u32 s8, s8, s2
	v_mul_lo_u32 v14, s14, v0
	v_mad_u64_u32 v[0:1], null, s14, v2, 0
	s_addc_u32 s9, s9, s3
	s_add_u32 s2, s12, s2
	v_mul_lo_u32 v16, s10, v3
	v_mul_lo_u32 v17, s11, v8
	s_addc_u32 s3, s13, s3
	v_mad_u64_u32 v[2:3], null, s10, v8, 0
	s_load_b64 s[8:9], s[8:9], 0x0
	s_load_b64 s[12:13], s[2:3], 0x0
	v_cmp_gt_i32_e64 s3, s18, v8
	v_dual_mov_b32 v8, 0 :: v_dual_lshlrev_b32 v11, 2, v9
	v_add3_u32 v1, v1, v14, v15
	v_cmp_gt_i32_e64 s2, s18, v12
	v_add3_u32 v3, v3, v16, v17
	v_lshl_or_b32 v12, v10, 7, v13
	v_lshl_or_b32 v7, v7, 5, v11
	v_lshlrev_b64 v[0:1], 2, v[0:1]
	v_lshlrev_b32_e32 v14, 2, v5
	v_lshlrev_b64 v[2:3], 2, v[2:3]
	v_lshl_add_u32 v15, v6, 5, 0x400
	v_add_nc_u32_e32 v13, 0x400, v7
	v_lshlrev_b32_e32 v7, 2, v10
	s_delay_alu instid0(VALU_DEP_1)
	v_add_co_u32 v0, vcc_lo, v0, v7
	v_add_co_ci_u32_e32 v1, vcc_lo, 0, v1, vcc_lo
	v_add_co_u32 v2, vcc_lo, v2, v11
	v_mov_b32_e32 v11, 0
	v_add_co_ci_u32_e32 v3, vcc_lo, 0, v3, vcc_lo
	s_waitcnt lgkmcnt(0)
	v_add_co_u32 v0, vcc_lo, s12, v0
	v_add_co_ci_u32_e32 v1, vcc_lo, s13, v1, vcc_lo
	v_add_co_u32 v2, vcc_lo, s8, v2
	v_add_co_ci_u32_e32 v3, vcc_lo, s9, v3, vcc_lo
	v_mov_b32_e32 v7, 0
	s_mov_b64 s[8:9], 0
	s_branch .LBB1451_3
.LBB1451_2:                             ;   in Loop: Header=BB1451_3 Depth=1
	s_or_b32 exec_lo, exec_lo, s10
	s_waitcnt vmcnt(0)
	ds_store_b32 v13, v17
	s_waitcnt lgkmcnt(0)
	s_barrier
	buffer_gl0_inv
	ds_load_2addr_b32 v[32:33], v14 offset1:16
	ds_load_b128 v[16:19], v15
	ds_load_b128 v[20:23], v15 offset:512
	ds_load_2addr_b32 v[34:35], v14 offset0:32 offset1:48
	ds_load_2addr_b32 v[36:37], v14 offset0:64 offset1:80
	;; [unrolled: 1-line block ×3, first 2 shown]
	ds_load_b128 v[24:27], v15 offset:16
	ds_load_2addr_b32 v[40:41], v14 offset0:128 offset1:144
	ds_load_b128 v[28:31], v15 offset:528
	ds_load_2addr_b32 v[42:43], v14 offset0:160 offset1:176
	s_add_u32 s8, s8, 8
	s_addc_u32 s9, s9, 0
	v_add_co_u32 v0, vcc_lo, v0, 32
	v_cmp_ge_i64_e64 s10, s[8:9], s[16:17]
	v_add_co_ci_u32_e32 v1, vcc_lo, 0, v1, vcc_lo
	v_add_co_u32 v2, vcc_lo, v2, 32
	v_add_co_ci_u32_e32 v3, vcc_lo, 0, v3, vcc_lo
	s_waitcnt lgkmcnt(8)
	v_fmac_f32_e32 v8, v33, v16
	v_fmac_f32_e32 v11, v32, v16
	s_waitcnt lgkmcnt(7)
	v_fmac_f32_e32 v4, v33, v20
	v_fmac_f32_e32 v7, v32, v20
	ds_load_2addr_b32 v[32:33], v14 offset0:192 offset1:208
	s_waitcnt lgkmcnt(7)
	v_fmac_f32_e32 v8, v35, v17
	v_fmac_f32_e32 v11, v34, v17
	v_fmac_f32_e32 v4, v35, v21
	v_fmac_f32_e32 v7, v34, v21
	ds_load_2addr_b32 v[16:17], v14 offset0:224 offset1:240
	s_waitcnt lgkmcnt(7)
	v_fmac_f32_e32 v8, v37, v18
	v_fmac_f32_e32 v11, v36, v18
	;; [unrolled: 1-line block ×4, first 2 shown]
	s_and_b32 vcc_lo, exec_lo, s10
	s_waitcnt lgkmcnt(6)
	v_fmac_f32_e32 v8, v39, v19
	v_fmac_f32_e32 v11, v38, v19
	;; [unrolled: 1-line block ×4, first 2 shown]
	s_waitcnt lgkmcnt(0)
	v_fmac_f32_e32 v8, v41, v24
	v_fmac_f32_e32 v11, v40, v24
	;; [unrolled: 1-line block ×4, first 2 shown]
	s_barrier
	v_fmac_f32_e32 v8, v43, v25
	v_fmac_f32_e32 v11, v42, v25
	;; [unrolled: 1-line block ×4, first 2 shown]
	buffer_gl0_inv
	v_fmac_f32_e32 v8, v33, v26
	v_fmac_f32_e32 v11, v32, v26
	;; [unrolled: 1-line block ×3, first 2 shown]
	s_delay_alu instid0(VALU_DEP_3) | instskip(NEXT) | instid1(VALU_DEP_3)
	v_dual_fmac_f32 v7, v32, v30 :: v_dual_fmac_f32 v8, v17, v27
	v_fmac_f32_e32 v11, v16, v27
	s_delay_alu instid0(VALU_DEP_3) | instskip(NEXT) | instid1(VALU_DEP_3)
	v_fmac_f32_e32 v4, v17, v31
	v_fmac_f32_e32 v7, v16, v31
	s_cbranch_vccnz .LBB1451_7
.LBB1451_3:                             ; =>This Inner Loop Header: Depth=1
	v_add_co_u32 v16, s10, v10, s8
	s_delay_alu instid0(VALU_DEP_1) | instskip(NEXT) | instid1(VALU_DEP_1)
	v_add_co_ci_u32_e64 v17, null, 0, s9, s10
	v_cmp_gt_i64_e32 vcc_lo, s[16:17], v[16:17]
	v_mov_b32_e32 v16, 0
	s_and_b32 s11, s2, vcc_lo
	s_delay_alu instid0(SALU_CYCLE_1)
	s_and_saveexec_b32 s10, s11
	s_cbranch_execz .LBB1451_5
; %bb.4:                                ;   in Loop: Header=BB1451_3 Depth=1
	global_load_b32 v16, v[0:1], off
.LBB1451_5:                             ;   in Loop: Header=BB1451_3 Depth=1
	s_or_b32 exec_lo, exec_lo, s10
	v_add_co_u32 v17, s10, v9, s8
	s_delay_alu instid0(VALU_DEP_1)
	v_add_co_ci_u32_e64 v18, null, 0, s9, s10
	s_waitcnt vmcnt(0)
	ds_store_b32 v12, v16
	v_cmp_gt_i64_e32 vcc_lo, s[16:17], v[17:18]
	v_mov_b32_e32 v17, 0
	s_and_b32 s11, vcc_lo, s3
	s_delay_alu instid0(SALU_CYCLE_1)
	s_and_saveexec_b32 s10, s11
	s_cbranch_execz .LBB1451_2
; %bb.6:                                ;   in Loop: Header=BB1451_3 Depth=1
	global_load_b32 v17, v[2:3], off
	s_branch .LBB1451_2
.LBB1451_7:
	v_add_nc_u32_e32 v6, s20, v6
	s_load_b32 s2, s[0:1], 0x10
	s_delay_alu instid0(VALU_DEP_1)
	v_ashrrev_i32_e32 v0, 31, v6
	v_mul_lo_u32 v3, v6, s7
	v_mad_u64_u32 v[1:2], null, v6, s6, 0
	s_waitcnt lgkmcnt(0)
	v_cmp_gt_i32_e32 vcc_lo, s18, v6
	v_mul_lo_u32 v0, v0, s6
	s_delay_alu instid0(VALU_DEP_1) | instskip(SKIP_1) | instid1(VALU_DEP_2)
	v_add3_u32 v2, v2, v3, v0
	v_add_nc_u32_e32 v0, s19, v5
	v_lshlrev_b64 v[1:2], 2, v[1:2]
	s_delay_alu instid0(VALU_DEP_2) | instskip(NEXT) | instid1(VALU_DEP_1)
	v_cmp_le_i32_e64 s0, v0, v6
	s_and_b32 s0, vcc_lo, s0
	s_delay_alu instid0(VALU_DEP_2) | instskip(NEXT) | instid1(VALU_DEP_1)
	v_add_co_u32 v5, s1, s4, v1
	v_add_co_ci_u32_e64 v9, s1, s5, v2, s1
	s_and_saveexec_b32 s1, s0
	s_cbranch_execz .LBB1451_9
; %bb.8:
	v_ashrrev_i32_e32 v1, 31, v0
	v_mul_f32_e32 v3, s2, v11
	s_delay_alu instid0(VALU_DEP_2) | instskip(NEXT) | instid1(VALU_DEP_1)
	v_lshlrev_b64 v[1:2], 2, v[0:1]
	v_add_co_u32 v1, s0, v5, v1
	s_delay_alu instid0(VALU_DEP_1)
	v_add_co_ci_u32_e64 v2, s0, v9, v2, s0
	global_store_b32 v[1:2], v3, off
.LBB1451_9:
	s_or_b32 exec_lo, exec_lo, s1
	v_add_nc_u32_e32 v2, 16, v0
	s_delay_alu instid0(VALU_DEP_1) | instskip(NEXT) | instid1(VALU_DEP_1)
	v_cmp_le_i32_e64 s0, v2, v6
	s_and_b32 s1, vcc_lo, s0
	s_delay_alu instid0(SALU_CYCLE_1)
	s_and_saveexec_b32 s0, s1
	s_cbranch_execz .LBB1451_11
; %bb.10:
	v_ashrrev_i32_e32 v3, 31, v2
	v_mul_f32_e32 v1, s2, v8
	s_delay_alu instid0(VALU_DEP_2) | instskip(NEXT) | instid1(VALU_DEP_1)
	v_lshlrev_b64 v[10:11], 2, v[2:3]
	v_add_co_u32 v8, vcc_lo, v5, v10
	s_delay_alu instid0(VALU_DEP_2)
	v_add_co_ci_u32_e32 v9, vcc_lo, v9, v11, vcc_lo
	global_store_b32 v[8:9], v1, off
.LBB1451_11:
	s_or_b32 exec_lo, exec_lo, s0
	v_add_nc_u32_e32 v3, 16, v6
	s_delay_alu instid0(VALU_DEP_1) | instskip(SKIP_3) | instid1(VALU_DEP_4)
	v_ashrrev_i32_e32 v1, 31, v3
	v_mul_lo_u32 v8, v3, s7
	v_mad_u64_u32 v[5:6], null, v3, s6, 0
	v_cmp_gt_i32_e32 vcc_lo, s18, v3
	v_mul_lo_u32 v1, v1, s6
	v_cmp_le_i32_e64 s0, v0, v3
	s_delay_alu instid0(VALU_DEP_1) | instskip(NEXT) | instid1(VALU_DEP_2)
	s_and_b32 s0, vcc_lo, s0
	v_add3_u32 v6, v6, v8, v1
	s_delay_alu instid0(VALU_DEP_1) | instskip(NEXT) | instid1(VALU_DEP_1)
	v_lshlrev_b64 v[5:6], 2, v[5:6]
	v_add_co_u32 v5, s1, s4, v5
	s_delay_alu instid0(VALU_DEP_1)
	v_add_co_ci_u32_e64 v6, s1, s5, v6, s1
	s_and_saveexec_b32 s1, s0
	s_cbranch_execz .LBB1451_13
; %bb.12:
	v_ashrrev_i32_e32 v1, 31, v0
	v_mul_f32_e32 v7, s2, v7
	s_delay_alu instid0(VALU_DEP_2) | instskip(NEXT) | instid1(VALU_DEP_1)
	v_lshlrev_b64 v[0:1], 2, v[0:1]
	v_add_co_u32 v0, s0, v5, v0
	s_delay_alu instid0(VALU_DEP_1)
	v_add_co_ci_u32_e64 v1, s0, v6, v1, s0
	global_store_b32 v[0:1], v7, off
.LBB1451_13:
	s_or_b32 exec_lo, exec_lo, s1
	v_cmp_le_i32_e64 s0, v2, v3
	s_delay_alu instid0(VALU_DEP_1) | instskip(NEXT) | instid1(SALU_CYCLE_1)
	s_and_b32 s0, vcc_lo, s0
	s_and_saveexec_b32 s1, s0
	s_cbranch_execz .LBB1451_15
; %bb.14:
	v_ashrrev_i32_e32 v3, 31, v2
	s_delay_alu instid0(VALU_DEP_1) | instskip(SKIP_1) | instid1(VALU_DEP_2)
	v_lshlrev_b64 v[0:1], 2, v[2:3]
	v_mul_f32_e32 v2, s2, v4
	v_add_co_u32 v0, vcc_lo, v5, v0
	s_delay_alu instid0(VALU_DEP_3)
	v_add_co_ci_u32_e32 v1, vcc_lo, v6, v1, vcc_lo
	global_store_b32 v[0:1], v2, off
.LBB1451_15:
	s_nop 0
	s_sendmsg sendmsg(MSG_DEALLOC_VGPRS)
	s_endpgm
	.section	.rodata,"a",@progbits
	.p2align	6, 0x0
	.amdhsa_kernel _ZL34rocblas_syrkx_herkx_general_kernelIlfLi16ELi32ELi8ELb1ELb0ELc84ELc85EKPKfKPfEviT_T0_PT8_S5_lS8_S5_lS6_PT9_S5_li
		.amdhsa_group_segment_fixed_size 2048
		.amdhsa_private_segment_fixed_size 0
		.amdhsa_kernarg_size 108
		.amdhsa_user_sgpr_count 13
		.amdhsa_user_sgpr_dispatch_ptr 0
		.amdhsa_user_sgpr_queue_ptr 0
		.amdhsa_user_sgpr_kernarg_segment_ptr 1
		.amdhsa_user_sgpr_dispatch_id 0
		.amdhsa_user_sgpr_private_segment_size 0
		.amdhsa_wavefront_size32 1
		.amdhsa_uses_dynamic_stack 0
		.amdhsa_enable_private_segment 0
		.amdhsa_system_sgpr_workgroup_id_x 1
		.amdhsa_system_sgpr_workgroup_id_y 1
		.amdhsa_system_sgpr_workgroup_id_z 1
		.amdhsa_system_sgpr_workgroup_info 0
		.amdhsa_system_vgpr_workitem_id 1
		.amdhsa_next_free_vgpr 44
		.amdhsa_next_free_sgpr 21
		.amdhsa_reserve_vcc 1
		.amdhsa_float_round_mode_32 0
		.amdhsa_float_round_mode_16_64 0
		.amdhsa_float_denorm_mode_32 3
		.amdhsa_float_denorm_mode_16_64 3
		.amdhsa_dx10_clamp 1
		.amdhsa_ieee_mode 1
		.amdhsa_fp16_overflow 0
		.amdhsa_workgroup_processor_mode 1
		.amdhsa_memory_ordered 1
		.amdhsa_forward_progress 0
		.amdhsa_shared_vgpr_count 0
		.amdhsa_exception_fp_ieee_invalid_op 0
		.amdhsa_exception_fp_denorm_src 0
		.amdhsa_exception_fp_ieee_div_zero 0
		.amdhsa_exception_fp_ieee_overflow 0
		.amdhsa_exception_fp_ieee_underflow 0
		.amdhsa_exception_fp_ieee_inexact 0
		.amdhsa_exception_int_div_zero 0
	.end_amdhsa_kernel
	.section	.text._ZL34rocblas_syrkx_herkx_general_kernelIlfLi16ELi32ELi8ELb1ELb0ELc84ELc85EKPKfKPfEviT_T0_PT8_S5_lS8_S5_lS6_PT9_S5_li,"axG",@progbits,_ZL34rocblas_syrkx_herkx_general_kernelIlfLi16ELi32ELi8ELb1ELb0ELc84ELc85EKPKfKPfEviT_T0_PT8_S5_lS8_S5_lS6_PT9_S5_li,comdat
.Lfunc_end1451:
	.size	_ZL34rocblas_syrkx_herkx_general_kernelIlfLi16ELi32ELi8ELb1ELb0ELc84ELc85EKPKfKPfEviT_T0_PT8_S5_lS8_S5_lS6_PT9_S5_li, .Lfunc_end1451-_ZL34rocblas_syrkx_herkx_general_kernelIlfLi16ELi32ELi8ELb1ELb0ELc84ELc85EKPKfKPfEviT_T0_PT8_S5_lS8_S5_lS6_PT9_S5_li
                                        ; -- End function
	.section	.AMDGPU.csdata,"",@progbits
; Kernel info:
; codeLenInByte = 1420
; NumSgprs: 23
; NumVgprs: 44
; ScratchSize: 0
; MemoryBound: 0
; FloatMode: 240
; IeeeMode: 1
; LDSByteSize: 2048 bytes/workgroup (compile time only)
; SGPRBlocks: 2
; VGPRBlocks: 5
; NumSGPRsForWavesPerEU: 23
; NumVGPRsForWavesPerEU: 44
; Occupancy: 16
; WaveLimiterHint : 1
; COMPUTE_PGM_RSRC2:SCRATCH_EN: 0
; COMPUTE_PGM_RSRC2:USER_SGPR: 13
; COMPUTE_PGM_RSRC2:TRAP_HANDLER: 0
; COMPUTE_PGM_RSRC2:TGID_X_EN: 1
; COMPUTE_PGM_RSRC2:TGID_Y_EN: 1
; COMPUTE_PGM_RSRC2:TGID_Z_EN: 1
; COMPUTE_PGM_RSRC2:TIDIG_COMP_CNT: 1
	.section	.text._ZL34rocblas_syrkx_herkx_general_kernelIlfLi16ELi32ELi8ELb1ELb0ELc67ELc85EKPKfKPfEviT_T0_PT8_S5_lS8_S5_lS6_PT9_S5_li,"axG",@progbits,_ZL34rocblas_syrkx_herkx_general_kernelIlfLi16ELi32ELi8ELb1ELb0ELc67ELc85EKPKfKPfEviT_T0_PT8_S5_lS8_S5_lS6_PT9_S5_li,comdat
	.globl	_ZL34rocblas_syrkx_herkx_general_kernelIlfLi16ELi32ELi8ELb1ELb0ELc67ELc85EKPKfKPfEviT_T0_PT8_S5_lS8_S5_lS6_PT9_S5_li ; -- Begin function _ZL34rocblas_syrkx_herkx_general_kernelIlfLi16ELi32ELi8ELb1ELb0ELc67ELc85EKPKfKPfEviT_T0_PT8_S5_lS8_S5_lS6_PT9_S5_li
	.p2align	8
	.type	_ZL34rocblas_syrkx_herkx_general_kernelIlfLi16ELi32ELi8ELb1ELb0ELc67ELc85EKPKfKPfEviT_T0_PT8_S5_lS8_S5_lS6_PT9_S5_li,@function
_ZL34rocblas_syrkx_herkx_general_kernelIlfLi16ELi32ELi8ELb1ELb0ELc67ELc85EKPKfKPfEviT_T0_PT8_S5_lS8_S5_lS6_PT9_S5_li: ; @_ZL34rocblas_syrkx_herkx_general_kernelIlfLi16ELi32ELi8ELb1ELb0ELc67ELc85EKPKfKPfEviT_T0_PT8_S5_lS8_S5_lS6_PT9_S5_li
; %bb.0:
	s_clause 0x1
	s_load_b128 s[4:7], s[0:1], 0x50
	s_load_b64 s[16:17], s[0:1], 0x8
	s_mov_b32 s2, s15
	s_mov_b32 s3, 0
	v_dual_mov_b32 v8, 0 :: v_dual_and_b32 v5, 0x3ff, v0
	s_lshl_b64 s[2:3], s[2:3], 3
	v_bfe_u32 v6, v0, 10, 10
	v_dual_mov_b32 v11, 0 :: v_dual_mov_b32 v4, 0
	v_mov_b32_e32 v7, 0
	s_waitcnt lgkmcnt(0)
	s_add_u32 s4, s4, s2
	s_addc_u32 s5, s5, s3
	s_load_b32 s18, s[0:1], 0x0
	s_load_b64 s[4:5], s[4:5], 0x0
	v_cmp_lt_i64_e64 s8, s[16:17], 1
	s_lshl_b32 s19, s13, 5
	s_lshl_b32 s20, s14, 5
	s_delay_alu instid0(VALU_DEP_1)
	s_and_b32 vcc_lo, exec_lo, s8
	s_cbranch_vccnz .LBB1452_7
; %bb.1:
	s_clause 0x1
	s_load_b128 s[12:15], s[0:1], 0x18
	s_load_b128 s[8:11], s[0:1], 0x30
	v_lshl_add_u32 v0, v6, 4, v5
	v_dual_mov_b32 v4, 0 :: v_dual_and_b32 v9, 7, v5
	s_delay_alu instid0(VALU_DEP_2) | instskip(SKIP_2) | instid1(VALU_DEP_3)
	v_and_b32_e32 v1, 31, v0
	v_lshrrev_b32_e32 v7, 3, v0
	v_lshrrev_b32_e32 v10, 5, v0
	v_add_nc_u32_e32 v2, s19, v1
	s_delay_alu instid0(VALU_DEP_3) | instskip(SKIP_2) | instid1(VALU_DEP_4)
	v_add_nc_u32_e32 v8, s20, v7
	v_or_b32_e32 v12, s19, v1
	v_lshlrev_b32_e32 v13, 2, v1
	v_ashrrev_i32_e32 v0, 31, v2
	s_delay_alu instid0(VALU_DEP_4)
	v_ashrrev_i32_e32 v3, 31, v8
	s_waitcnt lgkmcnt(0)
	v_mul_lo_u32 v15, s15, v2
	s_add_u32 s8, s8, s2
	v_mul_lo_u32 v14, s14, v0
	v_mad_u64_u32 v[0:1], null, s14, v2, 0
	s_addc_u32 s9, s9, s3
	s_add_u32 s2, s12, s2
	v_mul_lo_u32 v16, s10, v3
	v_mul_lo_u32 v17, s11, v8
	s_addc_u32 s3, s13, s3
	v_mad_u64_u32 v[2:3], null, s10, v8, 0
	s_load_b64 s[8:9], s[8:9], 0x0
	s_load_b64 s[12:13], s[2:3], 0x0
	v_cmp_gt_i32_e64 s3, s18, v8
	v_dual_mov_b32 v8, 0 :: v_dual_lshlrev_b32 v11, 2, v9
	v_add3_u32 v1, v1, v14, v15
	v_cmp_gt_i32_e64 s2, s18, v12
	v_add3_u32 v3, v3, v16, v17
	v_lshl_or_b32 v12, v10, 7, v13
	v_lshl_or_b32 v7, v7, 5, v11
	v_lshlrev_b64 v[0:1], 2, v[0:1]
	v_lshlrev_b32_e32 v14, 2, v5
	v_lshlrev_b64 v[2:3], 2, v[2:3]
	v_lshl_add_u32 v15, v6, 5, 0x400
	v_add_nc_u32_e32 v13, 0x400, v7
	v_lshlrev_b32_e32 v7, 2, v10
	s_delay_alu instid0(VALU_DEP_1)
	v_add_co_u32 v0, vcc_lo, v0, v7
	v_add_co_ci_u32_e32 v1, vcc_lo, 0, v1, vcc_lo
	v_add_co_u32 v2, vcc_lo, v2, v11
	v_mov_b32_e32 v11, 0
	v_add_co_ci_u32_e32 v3, vcc_lo, 0, v3, vcc_lo
	s_waitcnt lgkmcnt(0)
	v_add_co_u32 v0, vcc_lo, s12, v0
	v_add_co_ci_u32_e32 v1, vcc_lo, s13, v1, vcc_lo
	v_add_co_u32 v2, vcc_lo, s8, v2
	v_add_co_ci_u32_e32 v3, vcc_lo, s9, v3, vcc_lo
	v_mov_b32_e32 v7, 0
	s_mov_b64 s[8:9], 0
	s_branch .LBB1452_3
.LBB1452_2:                             ;   in Loop: Header=BB1452_3 Depth=1
	s_or_b32 exec_lo, exec_lo, s10
	s_waitcnt vmcnt(0)
	ds_store_b32 v13, v17
	s_waitcnt lgkmcnt(0)
	s_barrier
	buffer_gl0_inv
	ds_load_2addr_b32 v[32:33], v14 offset1:16
	ds_load_b128 v[16:19], v15
	ds_load_b128 v[20:23], v15 offset:512
	ds_load_2addr_b32 v[34:35], v14 offset0:32 offset1:48
	ds_load_2addr_b32 v[36:37], v14 offset0:64 offset1:80
	;; [unrolled: 1-line block ×3, first 2 shown]
	ds_load_b128 v[24:27], v15 offset:16
	ds_load_2addr_b32 v[40:41], v14 offset0:128 offset1:144
	ds_load_b128 v[28:31], v15 offset:528
	ds_load_2addr_b32 v[42:43], v14 offset0:160 offset1:176
	s_add_u32 s8, s8, 8
	s_addc_u32 s9, s9, 0
	v_add_co_u32 v0, vcc_lo, v0, 32
	v_cmp_ge_i64_e64 s10, s[8:9], s[16:17]
	v_add_co_ci_u32_e32 v1, vcc_lo, 0, v1, vcc_lo
	v_add_co_u32 v2, vcc_lo, v2, 32
	v_add_co_ci_u32_e32 v3, vcc_lo, 0, v3, vcc_lo
	s_waitcnt lgkmcnt(8)
	v_fmac_f32_e32 v8, v33, v16
	v_fmac_f32_e32 v11, v32, v16
	s_waitcnt lgkmcnt(7)
	v_fmac_f32_e32 v4, v33, v20
	v_fmac_f32_e32 v7, v32, v20
	ds_load_2addr_b32 v[32:33], v14 offset0:192 offset1:208
	s_waitcnt lgkmcnt(7)
	v_fmac_f32_e32 v8, v35, v17
	v_fmac_f32_e32 v11, v34, v17
	;; [unrolled: 1-line block ×4, first 2 shown]
	ds_load_2addr_b32 v[16:17], v14 offset0:224 offset1:240
	s_waitcnt lgkmcnt(7)
	v_fmac_f32_e32 v8, v37, v18
	v_fmac_f32_e32 v11, v36, v18
	;; [unrolled: 1-line block ×4, first 2 shown]
	s_and_b32 vcc_lo, exec_lo, s10
	s_waitcnt lgkmcnt(6)
	v_fmac_f32_e32 v8, v39, v19
	v_fmac_f32_e32 v11, v38, v19
	v_fmac_f32_e32 v4, v39, v23
	v_fmac_f32_e32 v7, v38, v23
	s_waitcnt lgkmcnt(0)
	v_fmac_f32_e32 v8, v41, v24
	v_fmac_f32_e32 v11, v40, v24
	v_fmac_f32_e32 v4, v41, v28
	v_fmac_f32_e32 v7, v40, v28
	s_barrier
	v_fmac_f32_e32 v8, v43, v25
	v_fmac_f32_e32 v11, v42, v25
	;; [unrolled: 1-line block ×4, first 2 shown]
	buffer_gl0_inv
	v_fmac_f32_e32 v8, v33, v26
	v_fmac_f32_e32 v11, v32, v26
	;; [unrolled: 1-line block ×3, first 2 shown]
	s_delay_alu instid0(VALU_DEP_3) | instskip(NEXT) | instid1(VALU_DEP_3)
	v_dual_fmac_f32 v7, v32, v30 :: v_dual_fmac_f32 v8, v17, v27
	v_fmac_f32_e32 v11, v16, v27
	s_delay_alu instid0(VALU_DEP_3) | instskip(NEXT) | instid1(VALU_DEP_3)
	v_fmac_f32_e32 v4, v17, v31
	v_fmac_f32_e32 v7, v16, v31
	s_cbranch_vccnz .LBB1452_7
.LBB1452_3:                             ; =>This Inner Loop Header: Depth=1
	v_add_co_u32 v16, s10, v10, s8
	s_delay_alu instid0(VALU_DEP_1) | instskip(NEXT) | instid1(VALU_DEP_1)
	v_add_co_ci_u32_e64 v17, null, 0, s9, s10
	v_cmp_gt_i64_e32 vcc_lo, s[16:17], v[16:17]
	v_mov_b32_e32 v16, 0
	s_and_b32 s11, s2, vcc_lo
	s_delay_alu instid0(SALU_CYCLE_1)
	s_and_saveexec_b32 s10, s11
	s_cbranch_execz .LBB1452_5
; %bb.4:                                ;   in Loop: Header=BB1452_3 Depth=1
	global_load_b32 v16, v[0:1], off
.LBB1452_5:                             ;   in Loop: Header=BB1452_3 Depth=1
	s_or_b32 exec_lo, exec_lo, s10
	v_add_co_u32 v17, s10, v9, s8
	s_delay_alu instid0(VALU_DEP_1)
	v_add_co_ci_u32_e64 v18, null, 0, s9, s10
	s_waitcnt vmcnt(0)
	ds_store_b32 v12, v16
	v_cmp_gt_i64_e32 vcc_lo, s[16:17], v[17:18]
	v_mov_b32_e32 v17, 0
	s_and_b32 s11, vcc_lo, s3
	s_delay_alu instid0(SALU_CYCLE_1)
	s_and_saveexec_b32 s10, s11
	s_cbranch_execz .LBB1452_2
; %bb.6:                                ;   in Loop: Header=BB1452_3 Depth=1
	global_load_b32 v17, v[2:3], off
	s_branch .LBB1452_2
.LBB1452_7:
	v_add_nc_u32_e32 v6, s20, v6
	s_load_b32 s2, s[0:1], 0x10
	s_delay_alu instid0(VALU_DEP_1)
	v_ashrrev_i32_e32 v0, 31, v6
	v_mul_lo_u32 v3, v6, s7
	v_mad_u64_u32 v[1:2], null, v6, s6, 0
	s_waitcnt lgkmcnt(0)
	v_cmp_gt_i32_e32 vcc_lo, s18, v6
	v_mul_lo_u32 v0, v0, s6
	s_delay_alu instid0(VALU_DEP_1) | instskip(SKIP_1) | instid1(VALU_DEP_2)
	v_add3_u32 v2, v2, v3, v0
	v_add_nc_u32_e32 v0, s19, v5
	v_lshlrev_b64 v[1:2], 2, v[1:2]
	s_delay_alu instid0(VALU_DEP_2) | instskip(NEXT) | instid1(VALU_DEP_1)
	v_cmp_le_i32_e64 s0, v0, v6
	s_and_b32 s0, vcc_lo, s0
	s_delay_alu instid0(VALU_DEP_2) | instskip(NEXT) | instid1(VALU_DEP_1)
	v_add_co_u32 v5, s1, s4, v1
	v_add_co_ci_u32_e64 v9, s1, s5, v2, s1
	s_and_saveexec_b32 s1, s0
	s_cbranch_execz .LBB1452_9
; %bb.8:
	v_ashrrev_i32_e32 v1, 31, v0
	v_mul_f32_e32 v3, s2, v11
	s_delay_alu instid0(VALU_DEP_2) | instskip(NEXT) | instid1(VALU_DEP_1)
	v_lshlrev_b64 v[1:2], 2, v[0:1]
	v_add_co_u32 v1, s0, v5, v1
	s_delay_alu instid0(VALU_DEP_1)
	v_add_co_ci_u32_e64 v2, s0, v9, v2, s0
	global_store_b32 v[1:2], v3, off
.LBB1452_9:
	s_or_b32 exec_lo, exec_lo, s1
	v_add_nc_u32_e32 v2, 16, v0
	s_delay_alu instid0(VALU_DEP_1) | instskip(NEXT) | instid1(VALU_DEP_1)
	v_cmp_le_i32_e64 s0, v2, v6
	s_and_b32 s1, vcc_lo, s0
	s_delay_alu instid0(SALU_CYCLE_1)
	s_and_saveexec_b32 s0, s1
	s_cbranch_execz .LBB1452_11
; %bb.10:
	v_ashrrev_i32_e32 v3, 31, v2
	v_mul_f32_e32 v1, s2, v8
	s_delay_alu instid0(VALU_DEP_2) | instskip(NEXT) | instid1(VALU_DEP_1)
	v_lshlrev_b64 v[10:11], 2, v[2:3]
	v_add_co_u32 v8, vcc_lo, v5, v10
	s_delay_alu instid0(VALU_DEP_2)
	v_add_co_ci_u32_e32 v9, vcc_lo, v9, v11, vcc_lo
	global_store_b32 v[8:9], v1, off
.LBB1452_11:
	s_or_b32 exec_lo, exec_lo, s0
	v_add_nc_u32_e32 v3, 16, v6
	s_delay_alu instid0(VALU_DEP_1) | instskip(SKIP_3) | instid1(VALU_DEP_4)
	v_ashrrev_i32_e32 v1, 31, v3
	v_mul_lo_u32 v8, v3, s7
	v_mad_u64_u32 v[5:6], null, v3, s6, 0
	v_cmp_gt_i32_e32 vcc_lo, s18, v3
	v_mul_lo_u32 v1, v1, s6
	v_cmp_le_i32_e64 s0, v0, v3
	s_delay_alu instid0(VALU_DEP_1) | instskip(NEXT) | instid1(VALU_DEP_2)
	s_and_b32 s0, vcc_lo, s0
	v_add3_u32 v6, v6, v8, v1
	s_delay_alu instid0(VALU_DEP_1) | instskip(NEXT) | instid1(VALU_DEP_1)
	v_lshlrev_b64 v[5:6], 2, v[5:6]
	v_add_co_u32 v5, s1, s4, v5
	s_delay_alu instid0(VALU_DEP_1)
	v_add_co_ci_u32_e64 v6, s1, s5, v6, s1
	s_and_saveexec_b32 s1, s0
	s_cbranch_execz .LBB1452_13
; %bb.12:
	v_ashrrev_i32_e32 v1, 31, v0
	v_mul_f32_e32 v7, s2, v7
	s_delay_alu instid0(VALU_DEP_2) | instskip(NEXT) | instid1(VALU_DEP_1)
	v_lshlrev_b64 v[0:1], 2, v[0:1]
	v_add_co_u32 v0, s0, v5, v0
	s_delay_alu instid0(VALU_DEP_1)
	v_add_co_ci_u32_e64 v1, s0, v6, v1, s0
	global_store_b32 v[0:1], v7, off
.LBB1452_13:
	s_or_b32 exec_lo, exec_lo, s1
	v_cmp_le_i32_e64 s0, v2, v3
	s_delay_alu instid0(VALU_DEP_1) | instskip(NEXT) | instid1(SALU_CYCLE_1)
	s_and_b32 s0, vcc_lo, s0
	s_and_saveexec_b32 s1, s0
	s_cbranch_execz .LBB1452_15
; %bb.14:
	v_ashrrev_i32_e32 v3, 31, v2
	s_delay_alu instid0(VALU_DEP_1) | instskip(SKIP_1) | instid1(VALU_DEP_2)
	v_lshlrev_b64 v[0:1], 2, v[2:3]
	v_mul_f32_e32 v2, s2, v4
	v_add_co_u32 v0, vcc_lo, v5, v0
	s_delay_alu instid0(VALU_DEP_3)
	v_add_co_ci_u32_e32 v1, vcc_lo, v6, v1, vcc_lo
	global_store_b32 v[0:1], v2, off
.LBB1452_15:
	s_nop 0
	s_sendmsg sendmsg(MSG_DEALLOC_VGPRS)
	s_endpgm
	.section	.rodata,"a",@progbits
	.p2align	6, 0x0
	.amdhsa_kernel _ZL34rocblas_syrkx_herkx_general_kernelIlfLi16ELi32ELi8ELb1ELb0ELc67ELc85EKPKfKPfEviT_T0_PT8_S5_lS8_S5_lS6_PT9_S5_li
		.amdhsa_group_segment_fixed_size 2048
		.amdhsa_private_segment_fixed_size 0
		.amdhsa_kernarg_size 108
		.amdhsa_user_sgpr_count 13
		.amdhsa_user_sgpr_dispatch_ptr 0
		.amdhsa_user_sgpr_queue_ptr 0
		.amdhsa_user_sgpr_kernarg_segment_ptr 1
		.amdhsa_user_sgpr_dispatch_id 0
		.amdhsa_user_sgpr_private_segment_size 0
		.amdhsa_wavefront_size32 1
		.amdhsa_uses_dynamic_stack 0
		.amdhsa_enable_private_segment 0
		.amdhsa_system_sgpr_workgroup_id_x 1
		.amdhsa_system_sgpr_workgroup_id_y 1
		.amdhsa_system_sgpr_workgroup_id_z 1
		.amdhsa_system_sgpr_workgroup_info 0
		.amdhsa_system_vgpr_workitem_id 1
		.amdhsa_next_free_vgpr 44
		.amdhsa_next_free_sgpr 21
		.amdhsa_reserve_vcc 1
		.amdhsa_float_round_mode_32 0
		.amdhsa_float_round_mode_16_64 0
		.amdhsa_float_denorm_mode_32 3
		.amdhsa_float_denorm_mode_16_64 3
		.amdhsa_dx10_clamp 1
		.amdhsa_ieee_mode 1
		.amdhsa_fp16_overflow 0
		.amdhsa_workgroup_processor_mode 1
		.amdhsa_memory_ordered 1
		.amdhsa_forward_progress 0
		.amdhsa_shared_vgpr_count 0
		.amdhsa_exception_fp_ieee_invalid_op 0
		.amdhsa_exception_fp_denorm_src 0
		.amdhsa_exception_fp_ieee_div_zero 0
		.amdhsa_exception_fp_ieee_overflow 0
		.amdhsa_exception_fp_ieee_underflow 0
		.amdhsa_exception_fp_ieee_inexact 0
		.amdhsa_exception_int_div_zero 0
	.end_amdhsa_kernel
	.section	.text._ZL34rocblas_syrkx_herkx_general_kernelIlfLi16ELi32ELi8ELb1ELb0ELc67ELc85EKPKfKPfEviT_T0_PT8_S5_lS8_S5_lS6_PT9_S5_li,"axG",@progbits,_ZL34rocblas_syrkx_herkx_general_kernelIlfLi16ELi32ELi8ELb1ELb0ELc67ELc85EKPKfKPfEviT_T0_PT8_S5_lS8_S5_lS6_PT9_S5_li,comdat
.Lfunc_end1452:
	.size	_ZL34rocblas_syrkx_herkx_general_kernelIlfLi16ELi32ELi8ELb1ELb0ELc67ELc85EKPKfKPfEviT_T0_PT8_S5_lS8_S5_lS6_PT9_S5_li, .Lfunc_end1452-_ZL34rocblas_syrkx_herkx_general_kernelIlfLi16ELi32ELi8ELb1ELb0ELc67ELc85EKPKfKPfEviT_T0_PT8_S5_lS8_S5_lS6_PT9_S5_li
                                        ; -- End function
	.section	.AMDGPU.csdata,"",@progbits
; Kernel info:
; codeLenInByte = 1420
; NumSgprs: 23
; NumVgprs: 44
; ScratchSize: 0
; MemoryBound: 0
; FloatMode: 240
; IeeeMode: 1
; LDSByteSize: 2048 bytes/workgroup (compile time only)
; SGPRBlocks: 2
; VGPRBlocks: 5
; NumSGPRsForWavesPerEU: 23
; NumVGPRsForWavesPerEU: 44
; Occupancy: 16
; WaveLimiterHint : 1
; COMPUTE_PGM_RSRC2:SCRATCH_EN: 0
; COMPUTE_PGM_RSRC2:USER_SGPR: 13
; COMPUTE_PGM_RSRC2:TRAP_HANDLER: 0
; COMPUTE_PGM_RSRC2:TGID_X_EN: 1
; COMPUTE_PGM_RSRC2:TGID_Y_EN: 1
; COMPUTE_PGM_RSRC2:TGID_Z_EN: 1
; COMPUTE_PGM_RSRC2:TIDIG_COMP_CNT: 1
	.section	.text._ZL34rocblas_syrkx_herkx_general_kernelIlfLi16ELi32ELi8ELb1ELb0ELc78ELc85EKPKfKPfEviT_T0_PT8_S5_lS8_S5_lS6_PT9_S5_li,"axG",@progbits,_ZL34rocblas_syrkx_herkx_general_kernelIlfLi16ELi32ELi8ELb1ELb0ELc78ELc85EKPKfKPfEviT_T0_PT8_S5_lS8_S5_lS6_PT9_S5_li,comdat
	.globl	_ZL34rocblas_syrkx_herkx_general_kernelIlfLi16ELi32ELi8ELb1ELb0ELc78ELc85EKPKfKPfEviT_T0_PT8_S5_lS8_S5_lS6_PT9_S5_li ; -- Begin function _ZL34rocblas_syrkx_herkx_general_kernelIlfLi16ELi32ELi8ELb1ELb0ELc78ELc85EKPKfKPfEviT_T0_PT8_S5_lS8_S5_lS6_PT9_S5_li
	.p2align	8
	.type	_ZL34rocblas_syrkx_herkx_general_kernelIlfLi16ELi32ELi8ELb1ELb0ELc78ELc85EKPKfKPfEviT_T0_PT8_S5_lS8_S5_lS6_PT9_S5_li,@function
_ZL34rocblas_syrkx_herkx_general_kernelIlfLi16ELi32ELi8ELb1ELb0ELc78ELc85EKPKfKPfEviT_T0_PT8_S5_lS8_S5_lS6_PT9_S5_li: ; @_ZL34rocblas_syrkx_herkx_general_kernelIlfLi16ELi32ELi8ELb1ELb0ELc78ELc85EKPKfKPfEviT_T0_PT8_S5_lS8_S5_lS6_PT9_S5_li
; %bb.0:
	s_clause 0x1
	s_load_b128 s[4:7], s[0:1], 0x50
	s_load_b64 s[16:17], s[0:1], 0x8
	s_mov_b32 s2, s15
	s_mov_b32 s3, 0
	v_dual_mov_b32 v4, 0 :: v_dual_and_b32 v5, 0x3ff, v0
	s_lshl_b64 s[18:19], s[2:3], 3
	v_bfe_u32 v6, v0, 10, 10
	v_mov_b32_e32 v13, 0
	v_mov_b32_e32 v9, 0
	;; [unrolled: 1-line block ×3, first 2 shown]
	s_waitcnt lgkmcnt(0)
	s_add_u32 s2, s4, s18
	s_addc_u32 s3, s5, s19
	s_load_b32 s20, s[0:1], 0x0
	s_load_b64 s[4:5], s[2:3], 0x0
	v_cmp_lt_i64_e64 s2, s[16:17], 1
	s_lshl_b32 s21, s13, 5
	s_lshl_b32 s22, s14, 5
	s_delay_alu instid0(VALU_DEP_1)
	s_and_b32 vcc_lo, exec_lo, s2
	s_cbranch_vccnz .LBB1453_7
; %bb.1:
	s_clause 0x1
	s_load_b128 s[8:11], s[0:1], 0x18
	s_load_b128 s[12:15], s[0:1], 0x30
	v_lshl_add_u32 v0, v6, 4, v5
	v_mov_b32_e32 v4, 0
	v_lshl_add_u32 v11, v6, 5, 0x400
	s_delay_alu instid0(VALU_DEP_3) | instskip(SKIP_2) | instid1(VALU_DEP_3)
	v_and_b32_e32 v7, 31, v0
	v_lshrrev_b32_e32 v12, 5, v0
	v_lshrrev_b32_e32 v1, 3, v0
	v_or_b32_e32 v13, s21, v7
	s_delay_alu instid0(VALU_DEP_2) | instskip(SKIP_1) | instid1(VALU_DEP_2)
	v_add_nc_u32_e32 v0, s22, v1
	s_waitcnt lgkmcnt(0)
	v_cmp_gt_i32_e64 s2, s20, v13
	v_mad_u64_u32 v[2:3], null, s10, v12, 0
	v_and_b32_e32 v8, 7, v5
	s_add_u32 s12, s12, s18
	s_addc_u32 s13, s13, s19
	s_add_u32 s8, s8, s18
	s_addc_u32 s9, s9, s19
	v_lshlrev_b32_e32 v9, 2, v8
	s_load_b64 s[8:9], s[8:9], 0x0
	s_load_b64 s[12:13], s[12:13], 0x0
	s_delay_alu instid0(VALU_DEP_1) | instskip(SKIP_3) | instid1(VALU_DEP_4)
	v_lshl_or_b32 v9, v1, 5, v9
	v_mov_b32_e32 v1, v3
	v_mad_u64_u32 v[16:17], null, s14, v8, 0
	v_lshlrev_b32_e32 v10, 2, v5
	v_add_nc_u32_e32 v15, 0x400, v9
	s_delay_alu instid0(VALU_DEP_4) | instskip(NEXT) | instid1(VALU_DEP_4)
	v_mad_u64_u32 v[13:14], null, s11, v12, v[1:2]
	v_mov_b32_e32 v3, v17
	s_delay_alu instid0(VALU_DEP_1) | instskip(NEXT) | instid1(VALU_DEP_3)
	v_mad_u64_u32 v[20:21], null, s15, v8, v[3:4]
	v_dual_mov_b32 v3, v13 :: v_dual_add_nc_u32 v18, s21, v7
	v_ashrrev_i32_e32 v1, 31, v0
	v_cmp_gt_i32_e64 s3, s20, v0
	v_lshlrev_b32_e32 v7, 2, v7
	v_mov_b32_e32 v13, 0
	v_mov_b32_e32 v17, v20
	v_ashrrev_i32_e32 v19, 31, v18
	v_lshlrev_b64 v[2:3], 2, v[2:3]
	v_lshlrev_b64 v[0:1], 2, v[0:1]
	v_lshl_or_b32 v14, v12, 7, v7
	v_lshlrev_b64 v[16:17], 2, v[16:17]
	v_lshlrev_b64 v[18:19], 2, v[18:19]
	s_delay_alu instid0(VALU_DEP_1) | instskip(NEXT) | instid1(VALU_DEP_2)
	v_add_co_u32 v2, vcc_lo, v2, v18
	v_add_co_ci_u32_e32 v3, vcc_lo, v3, v19, vcc_lo
	s_delay_alu instid0(VALU_DEP_4)
	v_add_co_u32 v7, vcc_lo, v16, v0
	v_add_co_ci_u32_e32 v9, vcc_lo, v17, v1, vcc_lo
	s_waitcnt lgkmcnt(0)
	v_add_co_u32 v0, vcc_lo, s8, v2
	v_add_co_ci_u32_e32 v1, vcc_lo, s9, v3, vcc_lo
	v_add_co_u32 v2, vcc_lo, s12, v7
	v_add_co_ci_u32_e32 v3, vcc_lo, s13, v9, vcc_lo
	v_mov_b32_e32 v7, 0
	v_mov_b32_e32 v9, 0
	s_lshl_b64 s[8:9], s[10:11], 5
	s_lshl_b64 s[10:11], s[14:15], 5
	s_mov_b64 s[12:13], 0
	s_branch .LBB1453_3
.LBB1453_2:                             ;   in Loop: Header=BB1453_3 Depth=1
	s_or_b32 exec_lo, exec_lo, s14
	s_waitcnt vmcnt(0)
	ds_store_b32 v15, v17
	s_waitcnt lgkmcnt(0)
	s_barrier
	buffer_gl0_inv
	ds_load_2addr_b32 v[32:33], v10 offset1:16
	ds_load_b128 v[16:19], v11
	ds_load_b128 v[20:23], v11 offset:512
	ds_load_2addr_b32 v[34:35], v10 offset0:32 offset1:48
	ds_load_2addr_b32 v[36:37], v10 offset0:64 offset1:80
	;; [unrolled: 1-line block ×3, first 2 shown]
	ds_load_b128 v[24:27], v11 offset:16
	ds_load_2addr_b32 v[40:41], v10 offset0:128 offset1:144
	ds_load_b128 v[28:31], v11 offset:528
	ds_load_2addr_b32 v[42:43], v10 offset0:160 offset1:176
	s_add_u32 s12, s12, 8
	s_addc_u32 s13, s13, 0
	v_add_co_u32 v0, vcc_lo, v0, s8
	v_cmp_ge_i64_e64 s14, s[12:13], s[16:17]
	v_add_co_ci_u32_e32 v1, vcc_lo, s9, v1, vcc_lo
	v_add_co_u32 v2, vcc_lo, v2, s10
	v_add_co_ci_u32_e32 v3, vcc_lo, s11, v3, vcc_lo
	s_delay_alu instid0(VALU_DEP_4) | instskip(SKIP_3) | instid1(VALU_DEP_1)
	s_and_b32 vcc_lo, exec_lo, s14
	s_waitcnt lgkmcnt(7)
	v_fmac_f32_e32 v4, v33, v20
	s_waitcnt lgkmcnt(6)
	v_dual_fmac_f32 v13, v32, v16 :: v_dual_fmac_f32 v4, v35, v21
	v_fmac_f32_e32 v7, v32, v20
	s_waitcnt lgkmcnt(5)
	s_delay_alu instid0(VALU_DEP_2)
	v_dual_fmac_f32 v13, v34, v17 :: v_dual_fmac_f32 v4, v37, v22
	v_fmac_f32_e32 v9, v33, v16
	ds_load_2addr_b32 v[32:33], v10 offset0:192 offset1:208
	s_waitcnt lgkmcnt(5)
	v_fmac_f32_e32 v4, v39, v23
	v_fmac_f32_e32 v9, v35, v17
	ds_load_2addr_b32 v[16:17], v10 offset0:224 offset1:240
	s_waitcnt lgkmcnt(0)
	s_barrier
	v_dual_fmac_f32 v4, v41, v28 :: v_dual_fmac_f32 v13, v36, v18
	v_fmac_f32_e32 v9, v37, v18
	buffer_gl0_inv
	v_fmac_f32_e32 v4, v43, v29
	v_fmac_f32_e32 v7, v34, v21
	;; [unrolled: 1-line block ×3, first 2 shown]
	s_delay_alu instid0(VALU_DEP_3) | instskip(NEXT) | instid1(VALU_DEP_3)
	v_dual_fmac_f32 v9, v39, v19 :: v_dual_fmac_f32 v4, v33, v30
	v_fmac_f32_e32 v7, v36, v22
	s_delay_alu instid0(VALU_DEP_3) | instskip(NEXT) | instid1(VALU_DEP_3)
	v_fmac_f32_e32 v13, v40, v24
	v_fmac_f32_e32 v9, v41, v24
	s_delay_alu instid0(VALU_DEP_4) | instskip(NEXT) | instid1(VALU_DEP_4)
	v_fmac_f32_e32 v4, v17, v31
	v_fmac_f32_e32 v7, v38, v23
	s_delay_alu instid0(VALU_DEP_4) | instskip(NEXT) | instid1(VALU_DEP_4)
	v_fmac_f32_e32 v13, v42, v25
	v_fmac_f32_e32 v9, v43, v25
	s_delay_alu instid0(VALU_DEP_3) | instskip(NEXT) | instid1(VALU_DEP_3)
	v_fmac_f32_e32 v7, v40, v28
	v_fmac_f32_e32 v13, v32, v26
	s_delay_alu instid0(VALU_DEP_3) | instskip(NEXT) | instid1(VALU_DEP_3)
	;; [unrolled: 3-line block ×3, first 2 shown]
	v_fmac_f32_e32 v13, v16, v27
	v_fmac_f32_e32 v9, v17, v27
	s_delay_alu instid0(VALU_DEP_3) | instskip(NEXT) | instid1(VALU_DEP_1)
	v_fmac_f32_e32 v7, v32, v30
	v_fmac_f32_e32 v7, v16, v31
	s_cbranch_vccnz .LBB1453_7
.LBB1453_3:                             ; =>This Inner Loop Header: Depth=1
	v_add_co_u32 v16, s14, v12, s12
	s_delay_alu instid0(VALU_DEP_1) | instskip(NEXT) | instid1(VALU_DEP_1)
	v_add_co_ci_u32_e64 v17, null, 0, s13, s14
	v_cmp_gt_i64_e32 vcc_lo, s[16:17], v[16:17]
	v_mov_b32_e32 v16, 0
	s_and_b32 s15, s2, vcc_lo
	s_delay_alu instid0(SALU_CYCLE_1)
	s_and_saveexec_b32 s14, s15
	s_cbranch_execz .LBB1453_5
; %bb.4:                                ;   in Loop: Header=BB1453_3 Depth=1
	global_load_b32 v16, v[0:1], off
.LBB1453_5:                             ;   in Loop: Header=BB1453_3 Depth=1
	s_or_b32 exec_lo, exec_lo, s14
	v_add_co_u32 v17, s14, v8, s12
	s_delay_alu instid0(VALU_DEP_1)
	v_add_co_ci_u32_e64 v18, null, 0, s13, s14
	s_waitcnt vmcnt(0)
	ds_store_b32 v14, v16
	v_cmp_gt_i64_e32 vcc_lo, s[16:17], v[17:18]
	v_mov_b32_e32 v17, 0
	s_and_b32 s15, vcc_lo, s3
	s_delay_alu instid0(SALU_CYCLE_1)
	s_and_saveexec_b32 s14, s15
	s_cbranch_execz .LBB1453_2
; %bb.6:                                ;   in Loop: Header=BB1453_3 Depth=1
	global_load_b32 v17, v[2:3], off
	s_branch .LBB1453_2
.LBB1453_7:
	v_add_nc_u32_e32 v6, s22, v6
	s_load_b32 s2, s[0:1], 0x10
	s_delay_alu instid0(VALU_DEP_1)
	v_ashrrev_i32_e32 v0, 31, v6
	v_mul_lo_u32 v3, v6, s7
	v_mad_u64_u32 v[1:2], null, v6, s6, 0
	s_waitcnt lgkmcnt(0)
	v_cmp_gt_i32_e32 vcc_lo, s20, v6
	v_mul_lo_u32 v0, v0, s6
	s_delay_alu instid0(VALU_DEP_1) | instskip(SKIP_1) | instid1(VALU_DEP_2)
	v_add3_u32 v2, v2, v3, v0
	v_add_nc_u32_e32 v0, s21, v5
	v_lshlrev_b64 v[1:2], 2, v[1:2]
	s_delay_alu instid0(VALU_DEP_2) | instskip(NEXT) | instid1(VALU_DEP_1)
	v_cmp_le_i32_e64 s0, v0, v6
	s_and_b32 s0, vcc_lo, s0
	s_delay_alu instid0(VALU_DEP_2) | instskip(NEXT) | instid1(VALU_DEP_1)
	v_add_co_u32 v5, s1, s4, v1
	v_add_co_ci_u32_e64 v8, s1, s5, v2, s1
	s_and_saveexec_b32 s1, s0
	s_cbranch_execz .LBB1453_9
; %bb.8:
	v_ashrrev_i32_e32 v1, 31, v0
	v_mul_f32_e32 v3, s2, v13
	s_delay_alu instid0(VALU_DEP_2) | instskip(NEXT) | instid1(VALU_DEP_1)
	v_lshlrev_b64 v[1:2], 2, v[0:1]
	v_add_co_u32 v1, s0, v5, v1
	s_delay_alu instid0(VALU_DEP_1)
	v_add_co_ci_u32_e64 v2, s0, v8, v2, s0
	global_store_b32 v[1:2], v3, off
.LBB1453_9:
	s_or_b32 exec_lo, exec_lo, s1
	v_add_nc_u32_e32 v2, 16, v0
	s_delay_alu instid0(VALU_DEP_1) | instskip(NEXT) | instid1(VALU_DEP_1)
	v_cmp_le_i32_e64 s0, v2, v6
	s_and_b32 s1, vcc_lo, s0
	s_delay_alu instid0(SALU_CYCLE_1)
	s_and_saveexec_b32 s0, s1
	s_cbranch_execz .LBB1453_11
; %bb.10:
	v_ashrrev_i32_e32 v3, 31, v2
	v_mul_f32_e32 v1, s2, v9
	s_delay_alu instid0(VALU_DEP_2) | instskip(NEXT) | instid1(VALU_DEP_1)
	v_lshlrev_b64 v[10:11], 2, v[2:3]
	v_add_co_u32 v9, vcc_lo, v5, v10
	s_delay_alu instid0(VALU_DEP_2)
	v_add_co_ci_u32_e32 v10, vcc_lo, v8, v11, vcc_lo
	global_store_b32 v[9:10], v1, off
.LBB1453_11:
	s_or_b32 exec_lo, exec_lo, s0
	v_add_nc_u32_e32 v3, 16, v6
	s_delay_alu instid0(VALU_DEP_1) | instskip(SKIP_3) | instid1(VALU_DEP_4)
	v_ashrrev_i32_e32 v1, 31, v3
	v_mul_lo_u32 v8, v3, s7
	v_mad_u64_u32 v[5:6], null, v3, s6, 0
	v_cmp_gt_i32_e32 vcc_lo, s20, v3
	v_mul_lo_u32 v1, v1, s6
	v_cmp_le_i32_e64 s0, v0, v3
	s_delay_alu instid0(VALU_DEP_1) | instskip(NEXT) | instid1(VALU_DEP_2)
	s_and_b32 s0, vcc_lo, s0
	v_add3_u32 v6, v6, v8, v1
	s_delay_alu instid0(VALU_DEP_1) | instskip(NEXT) | instid1(VALU_DEP_1)
	v_lshlrev_b64 v[5:6], 2, v[5:6]
	v_add_co_u32 v5, s1, s4, v5
	s_delay_alu instid0(VALU_DEP_1)
	v_add_co_ci_u32_e64 v6, s1, s5, v6, s1
	s_and_saveexec_b32 s1, s0
	s_cbranch_execz .LBB1453_13
; %bb.12:
	v_ashrrev_i32_e32 v1, 31, v0
	v_mul_f32_e32 v7, s2, v7
	s_delay_alu instid0(VALU_DEP_2) | instskip(NEXT) | instid1(VALU_DEP_1)
	v_lshlrev_b64 v[0:1], 2, v[0:1]
	v_add_co_u32 v0, s0, v5, v0
	s_delay_alu instid0(VALU_DEP_1)
	v_add_co_ci_u32_e64 v1, s0, v6, v1, s0
	global_store_b32 v[0:1], v7, off
.LBB1453_13:
	s_or_b32 exec_lo, exec_lo, s1
	v_cmp_le_i32_e64 s0, v2, v3
	s_delay_alu instid0(VALU_DEP_1) | instskip(NEXT) | instid1(SALU_CYCLE_1)
	s_and_b32 s0, vcc_lo, s0
	s_and_saveexec_b32 s1, s0
	s_cbranch_execz .LBB1453_15
; %bb.14:
	v_ashrrev_i32_e32 v3, 31, v2
	s_delay_alu instid0(VALU_DEP_1) | instskip(SKIP_1) | instid1(VALU_DEP_2)
	v_lshlrev_b64 v[0:1], 2, v[2:3]
	v_mul_f32_e32 v2, s2, v4
	v_add_co_u32 v0, vcc_lo, v5, v0
	s_delay_alu instid0(VALU_DEP_3)
	v_add_co_ci_u32_e32 v1, vcc_lo, v6, v1, vcc_lo
	global_store_b32 v[0:1], v2, off
.LBB1453_15:
	s_nop 0
	s_sendmsg sendmsg(MSG_DEALLOC_VGPRS)
	s_endpgm
	.section	.rodata,"a",@progbits
	.p2align	6, 0x0
	.amdhsa_kernel _ZL34rocblas_syrkx_herkx_general_kernelIlfLi16ELi32ELi8ELb1ELb0ELc78ELc85EKPKfKPfEviT_T0_PT8_S5_lS8_S5_lS6_PT9_S5_li
		.amdhsa_group_segment_fixed_size 2048
		.amdhsa_private_segment_fixed_size 0
		.amdhsa_kernarg_size 108
		.amdhsa_user_sgpr_count 13
		.amdhsa_user_sgpr_dispatch_ptr 0
		.amdhsa_user_sgpr_queue_ptr 0
		.amdhsa_user_sgpr_kernarg_segment_ptr 1
		.amdhsa_user_sgpr_dispatch_id 0
		.amdhsa_user_sgpr_private_segment_size 0
		.amdhsa_wavefront_size32 1
		.amdhsa_uses_dynamic_stack 0
		.amdhsa_enable_private_segment 0
		.amdhsa_system_sgpr_workgroup_id_x 1
		.amdhsa_system_sgpr_workgroup_id_y 1
		.amdhsa_system_sgpr_workgroup_id_z 1
		.amdhsa_system_sgpr_workgroup_info 0
		.amdhsa_system_vgpr_workitem_id 1
		.amdhsa_next_free_vgpr 44
		.amdhsa_next_free_sgpr 23
		.amdhsa_reserve_vcc 1
		.amdhsa_float_round_mode_32 0
		.amdhsa_float_round_mode_16_64 0
		.amdhsa_float_denorm_mode_32 3
		.amdhsa_float_denorm_mode_16_64 3
		.amdhsa_dx10_clamp 1
		.amdhsa_ieee_mode 1
		.amdhsa_fp16_overflow 0
		.amdhsa_workgroup_processor_mode 1
		.amdhsa_memory_ordered 1
		.amdhsa_forward_progress 0
		.amdhsa_shared_vgpr_count 0
		.amdhsa_exception_fp_ieee_invalid_op 0
		.amdhsa_exception_fp_denorm_src 0
		.amdhsa_exception_fp_ieee_div_zero 0
		.amdhsa_exception_fp_ieee_overflow 0
		.amdhsa_exception_fp_ieee_underflow 0
		.amdhsa_exception_fp_ieee_inexact 0
		.amdhsa_exception_int_div_zero 0
	.end_amdhsa_kernel
	.section	.text._ZL34rocblas_syrkx_herkx_general_kernelIlfLi16ELi32ELi8ELb1ELb0ELc78ELc85EKPKfKPfEviT_T0_PT8_S5_lS8_S5_lS6_PT9_S5_li,"axG",@progbits,_ZL34rocblas_syrkx_herkx_general_kernelIlfLi16ELi32ELi8ELb1ELb0ELc78ELc85EKPKfKPfEviT_T0_PT8_S5_lS8_S5_lS6_PT9_S5_li,comdat
.Lfunc_end1453:
	.size	_ZL34rocblas_syrkx_herkx_general_kernelIlfLi16ELi32ELi8ELb1ELb0ELc78ELc85EKPKfKPfEviT_T0_PT8_S5_lS8_S5_lS6_PT9_S5_li, .Lfunc_end1453-_ZL34rocblas_syrkx_herkx_general_kernelIlfLi16ELi32ELi8ELb1ELb0ELc78ELc85EKPKfKPfEviT_T0_PT8_S5_lS8_S5_lS6_PT9_S5_li
                                        ; -- End function
	.section	.AMDGPU.csdata,"",@progbits
; Kernel info:
; codeLenInByte = 1464
; NumSgprs: 25
; NumVgprs: 44
; ScratchSize: 0
; MemoryBound: 0
; FloatMode: 240
; IeeeMode: 1
; LDSByteSize: 2048 bytes/workgroup (compile time only)
; SGPRBlocks: 3
; VGPRBlocks: 5
; NumSGPRsForWavesPerEU: 25
; NumVGPRsForWavesPerEU: 44
; Occupancy: 16
; WaveLimiterHint : 1
; COMPUTE_PGM_RSRC2:SCRATCH_EN: 0
; COMPUTE_PGM_RSRC2:USER_SGPR: 13
; COMPUTE_PGM_RSRC2:TRAP_HANDLER: 0
; COMPUTE_PGM_RSRC2:TGID_X_EN: 1
; COMPUTE_PGM_RSRC2:TGID_Y_EN: 1
; COMPUTE_PGM_RSRC2:TGID_Z_EN: 1
; COMPUTE_PGM_RSRC2:TIDIG_COMP_CNT: 1
	.section	.text._ZL34rocblas_syrkx_herkx_general_kernelIlfLi16ELi32ELi8ELb0ELb0ELc84ELc76EKPKfKPfEviT_T0_PT8_S5_lS8_S5_lS6_PT9_S5_li,"axG",@progbits,_ZL34rocblas_syrkx_herkx_general_kernelIlfLi16ELi32ELi8ELb0ELb0ELc84ELc76EKPKfKPfEviT_T0_PT8_S5_lS8_S5_lS6_PT9_S5_li,comdat
	.globl	_ZL34rocblas_syrkx_herkx_general_kernelIlfLi16ELi32ELi8ELb0ELb0ELc84ELc76EKPKfKPfEviT_T0_PT8_S5_lS8_S5_lS6_PT9_S5_li ; -- Begin function _ZL34rocblas_syrkx_herkx_general_kernelIlfLi16ELi32ELi8ELb0ELb0ELc84ELc76EKPKfKPfEviT_T0_PT8_S5_lS8_S5_lS6_PT9_S5_li
	.p2align	8
	.type	_ZL34rocblas_syrkx_herkx_general_kernelIlfLi16ELi32ELi8ELb0ELb0ELc84ELc76EKPKfKPfEviT_T0_PT8_S5_lS8_S5_lS6_PT9_S5_li,@function
_ZL34rocblas_syrkx_herkx_general_kernelIlfLi16ELi32ELi8ELb0ELb0ELc84ELc76EKPKfKPfEviT_T0_PT8_S5_lS8_S5_lS6_PT9_S5_li: ; @_ZL34rocblas_syrkx_herkx_general_kernelIlfLi16ELi32ELi8ELb0ELb0ELc84ELc76EKPKfKPfEviT_T0_PT8_S5_lS8_S5_lS6_PT9_S5_li
; %bb.0:
	s_clause 0x1
	s_load_b128 s[4:7], s[0:1], 0x50
	s_load_b64 s[16:17], s[0:1], 0x8
	s_mov_b32 s2, s15
	s_mov_b32 s3, 0
	v_dual_mov_b32 v10, 0 :: v_dual_and_b32 v5, 0x3ff, v0
	s_lshl_b64 s[2:3], s[2:3], 3
	v_bfe_u32 v6, v0, 10, 10
	v_dual_mov_b32 v8, 0 :: v_dual_mov_b32 v7, 0
	v_mov_b32_e32 v4, 0
	s_waitcnt lgkmcnt(0)
	s_add_u32 s4, s4, s2
	s_addc_u32 s5, s5, s3
	s_load_b32 s18, s[0:1], 0x0
	s_load_b64 s[4:5], s[4:5], 0x0
	v_cmp_lt_i64_e64 s8, s[16:17], 1
	s_lshl_b32 s19, s13, 5
	s_lshl_b32 s20, s14, 5
	s_delay_alu instid0(VALU_DEP_1)
	s_and_b32 vcc_lo, exec_lo, s8
	s_cbranch_vccnz .LBB1454_7
; %bb.1:
	s_clause 0x1
	s_load_b128 s[12:15], s[0:1], 0x18
	s_load_b128 s[8:11], s[0:1], 0x30
	v_lshl_add_u32 v0, v6, 4, v5
	v_dual_mov_b32 v4, 0 :: v_dual_and_b32 v9, 7, v5
	s_delay_alu instid0(VALU_DEP_2) | instskip(SKIP_2) | instid1(VALU_DEP_3)
	v_and_b32_e32 v1, 31, v0
	v_lshrrev_b32_e32 v7, 3, v0
	v_lshrrev_b32_e32 v11, 5, v0
	v_add_nc_u32_e32 v2, s19, v1
	s_delay_alu instid0(VALU_DEP_3) | instskip(SKIP_2) | instid1(VALU_DEP_4)
	v_add_nc_u32_e32 v8, s20, v7
	v_or_b32_e32 v12, s19, v1
	v_lshlrev_b32_e32 v13, 2, v1
	v_ashrrev_i32_e32 v0, 31, v2
	s_delay_alu instid0(VALU_DEP_4)
	v_ashrrev_i32_e32 v3, 31, v8
	s_waitcnt lgkmcnt(0)
	v_mul_lo_u32 v15, s15, v2
	s_add_u32 s8, s8, s2
	v_mul_lo_u32 v14, s14, v0
	v_mad_u64_u32 v[0:1], null, s14, v2, 0
	s_addc_u32 s9, s9, s3
	s_add_u32 s2, s12, s2
	v_mul_lo_u32 v16, s10, v3
	v_mul_lo_u32 v17, s11, v8
	s_addc_u32 s3, s13, s3
	v_mad_u64_u32 v[2:3], null, s10, v8, 0
	s_load_b64 s[8:9], s[8:9], 0x0
	s_load_b64 s[12:13], s[2:3], 0x0
	v_cmp_gt_i32_e64 s3, s18, v8
	v_mov_b32_e32 v8, 0
	v_lshlrev_b32_e32 v10, 2, v9
	v_add3_u32 v1, v1, v14, v15
	v_cmp_gt_i32_e64 s2, s18, v12
	v_add3_u32 v3, v3, v16, v17
	v_lshl_or_b32 v12, v11, 7, v13
	v_lshl_or_b32 v7, v7, 5, v10
	v_lshlrev_b64 v[0:1], 2, v[0:1]
	v_lshlrev_b32_e32 v14, 2, v5
	v_lshlrev_b64 v[2:3], 2, v[2:3]
	v_lshl_add_u32 v15, v6, 5, 0x400
	v_add_nc_u32_e32 v13, 0x400, v7
	v_lshlrev_b32_e32 v7, 2, v11
	s_delay_alu instid0(VALU_DEP_1)
	v_add_co_u32 v0, vcc_lo, v0, v7
	v_add_co_ci_u32_e32 v1, vcc_lo, 0, v1, vcc_lo
	v_add_co_u32 v2, vcc_lo, v2, v10
	v_mov_b32_e32 v10, 0
	v_add_co_ci_u32_e32 v3, vcc_lo, 0, v3, vcc_lo
	s_waitcnt lgkmcnt(0)
	v_add_co_u32 v0, vcc_lo, s12, v0
	v_add_co_ci_u32_e32 v1, vcc_lo, s13, v1, vcc_lo
	v_add_co_u32 v2, vcc_lo, s8, v2
	v_add_co_ci_u32_e32 v3, vcc_lo, s9, v3, vcc_lo
	v_mov_b32_e32 v7, 0
	s_mov_b64 s[8:9], 0
	s_branch .LBB1454_3
.LBB1454_2:                             ;   in Loop: Header=BB1454_3 Depth=1
	s_or_b32 exec_lo, exec_lo, s10
	s_waitcnt vmcnt(0)
	ds_store_b32 v13, v17
	s_waitcnt lgkmcnt(0)
	s_barrier
	buffer_gl0_inv
	ds_load_2addr_b32 v[32:33], v14 offset1:16
	ds_load_b128 v[16:19], v15
	ds_load_b128 v[20:23], v15 offset:512
	ds_load_2addr_b32 v[34:35], v14 offset0:32 offset1:48
	ds_load_2addr_b32 v[36:37], v14 offset0:64 offset1:80
	;; [unrolled: 1-line block ×3, first 2 shown]
	ds_load_b128 v[24:27], v15 offset:16
	ds_load_2addr_b32 v[40:41], v14 offset0:128 offset1:144
	ds_load_b128 v[28:31], v15 offset:528
	ds_load_2addr_b32 v[42:43], v14 offset0:160 offset1:176
	s_add_u32 s8, s8, 8
	s_addc_u32 s9, s9, 0
	v_add_co_u32 v0, vcc_lo, v0, 32
	v_cmp_ge_i64_e64 s10, s[8:9], s[16:17]
	v_add_co_ci_u32_e32 v1, vcc_lo, 0, v1, vcc_lo
	v_add_co_u32 v2, vcc_lo, v2, 32
	v_add_co_ci_u32_e32 v3, vcc_lo, 0, v3, vcc_lo
	s_delay_alu instid0(VALU_DEP_4) | instskip(SKIP_3) | instid1(VALU_DEP_1)
	s_and_b32 vcc_lo, exec_lo, s10
	s_waitcnt lgkmcnt(7)
	v_fmac_f32_e32 v7, v32, v20
	s_waitcnt lgkmcnt(6)
	v_dual_fmac_f32 v10, v32, v16 :: v_dual_fmac_f32 v7, v34, v21
	v_fmac_f32_e32 v8, v33, v16
	s_waitcnt lgkmcnt(5)
	s_delay_alu instid0(VALU_DEP_2)
	v_dual_fmac_f32 v10, v34, v17 :: v_dual_fmac_f32 v7, v36, v22
	v_fmac_f32_e32 v4, v33, v20
	ds_load_2addr_b32 v[32:33], v14 offset0:192 offset1:208
	s_waitcnt lgkmcnt(5)
	v_dual_fmac_f32 v7, v38, v23 :: v_dual_fmac_f32 v8, v35, v17
	ds_load_2addr_b32 v[16:17], v14 offset0:224 offset1:240
	s_waitcnt lgkmcnt(0)
	s_barrier
	v_fmac_f32_e32 v7, v40, v28
	v_fmac_f32_e32 v10, v36, v18
	buffer_gl0_inv
	v_fmac_f32_e32 v7, v42, v29
	v_fmac_f32_e32 v4, v35, v21
	s_delay_alu instid0(VALU_DEP_2) | instskip(SKIP_1) | instid1(VALU_DEP_3)
	v_dual_fmac_f32 v10, v38, v19 :: v_dual_fmac_f32 v7, v32, v30
	v_fmac_f32_e32 v8, v37, v18
	v_fmac_f32_e32 v4, v37, v22
	s_delay_alu instid0(VALU_DEP_3) | instskip(NEXT) | instid1(VALU_DEP_4)
	v_fmac_f32_e32 v10, v40, v24
	v_fmac_f32_e32 v7, v16, v31
	s_delay_alu instid0(VALU_DEP_4) | instskip(NEXT) | instid1(VALU_DEP_4)
	v_fmac_f32_e32 v8, v39, v19
	v_fmac_f32_e32 v4, v39, v23
	s_delay_alu instid0(VALU_DEP_4) | instskip(NEXT) | instid1(VALU_DEP_3)
	v_fmac_f32_e32 v10, v42, v25
	v_fmac_f32_e32 v8, v41, v24
	s_delay_alu instid0(VALU_DEP_3) | instskip(NEXT) | instid1(VALU_DEP_3)
	v_fmac_f32_e32 v4, v41, v28
	v_fmac_f32_e32 v10, v32, v26
	s_delay_alu instid0(VALU_DEP_3) | instskip(NEXT) | instid1(VALU_DEP_3)
	;; [unrolled: 3-line block ×3, first 2 shown]
	v_fmac_f32_e32 v10, v16, v27
	v_fmac_f32_e32 v8, v33, v26
	s_delay_alu instid0(VALU_DEP_3) | instskip(NEXT) | instid1(VALU_DEP_2)
	v_fmac_f32_e32 v4, v33, v30
	v_fmac_f32_e32 v8, v17, v27
	s_delay_alu instid0(VALU_DEP_2)
	v_fmac_f32_e32 v4, v17, v31
	s_cbranch_vccnz .LBB1454_7
.LBB1454_3:                             ; =>This Inner Loop Header: Depth=1
	v_add_co_u32 v16, s10, v11, s8
	s_delay_alu instid0(VALU_DEP_1) | instskip(NEXT) | instid1(VALU_DEP_1)
	v_add_co_ci_u32_e64 v17, null, 0, s9, s10
	v_cmp_gt_i64_e32 vcc_lo, s[16:17], v[16:17]
	v_mov_b32_e32 v16, 0
	s_and_b32 s11, s2, vcc_lo
	s_delay_alu instid0(SALU_CYCLE_1)
	s_and_saveexec_b32 s10, s11
	s_cbranch_execz .LBB1454_5
; %bb.4:                                ;   in Loop: Header=BB1454_3 Depth=1
	global_load_b32 v16, v[0:1], off
.LBB1454_5:                             ;   in Loop: Header=BB1454_3 Depth=1
	s_or_b32 exec_lo, exec_lo, s10
	v_add_co_u32 v17, s10, v9, s8
	s_delay_alu instid0(VALU_DEP_1)
	v_add_co_ci_u32_e64 v18, null, 0, s9, s10
	s_waitcnt vmcnt(0)
	ds_store_b32 v12, v16
	v_cmp_gt_i64_e32 vcc_lo, s[16:17], v[17:18]
	v_mov_b32_e32 v17, 0
	s_and_b32 s11, vcc_lo, s3
	s_delay_alu instid0(SALU_CYCLE_1)
	s_and_saveexec_b32 s10, s11
	s_cbranch_execz .LBB1454_2
; %bb.6:                                ;   in Loop: Header=BB1454_3 Depth=1
	global_load_b32 v17, v[2:3], off
	s_branch .LBB1454_2
.LBB1454_7:
	v_add_nc_u32_e32 v6, s20, v6
	s_clause 0x1
	s_load_b32 s3, s[0:1], 0x10
	s_load_b32 s8, s[0:1], 0x48
	s_delay_alu instid0(VALU_DEP_1) | instskip(SKIP_2) | instid1(VALU_DEP_3)
	v_ashrrev_i32_e32 v0, 31, v6
	v_mul_lo_u32 v3, v6, s7
	v_mad_u64_u32 v[1:2], null, v6, s6, 0
	v_mul_lo_u32 v0, v0, s6
	s_delay_alu instid0(VALU_DEP_1) | instskip(SKIP_1) | instid1(VALU_DEP_2)
	v_add3_u32 v2, v2, v3, v0
	v_add_nc_u32_e32 v0, s19, v5
	v_lshlrev_b64 v[1:2], 2, v[1:2]
	s_delay_alu instid0(VALU_DEP_2) | instskip(SKIP_2) | instid1(VALU_DEP_3)
	v_cmp_le_i32_e64 s0, v6, v0
	s_waitcnt lgkmcnt(0)
	v_cmp_gt_i32_e32 vcc_lo, s18, v0
	v_add_co_u32 v5, s1, s4, v1
	s_delay_alu instid0(VALU_DEP_1) | instskip(SKIP_1) | instid1(SALU_CYCLE_1)
	v_add_co_ci_u32_e64 v9, s1, s5, v2, s1
	s_and_b32 s0, s0, vcc_lo
	s_and_saveexec_b32 s1, s0
	s_cbranch_execz .LBB1454_9
; %bb.8:
	v_ashrrev_i32_e32 v1, 31, v0
	s_delay_alu instid0(VALU_DEP_1) | instskip(NEXT) | instid1(VALU_DEP_1)
	v_lshlrev_b64 v[1:2], 2, v[0:1]
	v_add_co_u32 v1, s0, v5, v1
	s_delay_alu instid0(VALU_DEP_1) | instskip(SKIP_3) | instid1(VALU_DEP_1)
	v_add_co_ci_u32_e64 v2, s0, v9, v2, s0
	global_load_b32 v3, v[1:2], off
	s_waitcnt vmcnt(0)
	v_mul_f32_e32 v3, s8, v3
	v_fmac_f32_e32 v3, s3, v10
	global_store_b32 v[1:2], v3, off
.LBB1454_9:
	s_or_b32 exec_lo, exec_lo, s1
	v_add_nc_u32_e32 v2, 16, v0
	s_delay_alu instid0(VALU_DEP_1) | instskip(SKIP_1) | instid1(VALU_DEP_1)
	v_cmp_le_i32_e64 s1, v6, v2
	v_cmp_gt_i32_e64 s0, s18, v2
	s_and_b32 s1, s1, s0
	s_delay_alu instid0(SALU_CYCLE_1)
	s_and_saveexec_b32 s2, s1
	s_cbranch_execz .LBB1454_11
; %bb.10:
	v_ashrrev_i32_e32 v3, 31, v2
	s_delay_alu instid0(VALU_DEP_1) | instskip(NEXT) | instid1(VALU_DEP_1)
	v_lshlrev_b64 v[10:11], 2, v[2:3]
	v_add_co_u32 v10, s1, v5, v10
	s_delay_alu instid0(VALU_DEP_1) | instskip(SKIP_3) | instid1(VALU_DEP_1)
	v_add_co_ci_u32_e64 v11, s1, v9, v11, s1
	global_load_b32 v1, v[10:11], off
	s_waitcnt vmcnt(0)
	v_mul_f32_e32 v1, s8, v1
	v_fmac_f32_e32 v1, s3, v8
	global_store_b32 v[10:11], v1, off
.LBB1454_11:
	s_or_b32 exec_lo, exec_lo, s2
	v_add_nc_u32_e32 v3, 16, v6
	s_delay_alu instid0(VALU_DEP_1) | instskip(SKIP_3) | instid1(VALU_DEP_4)
	v_ashrrev_i32_e32 v1, 31, v3
	v_mul_lo_u32 v8, v3, s7
	v_mad_u64_u32 v[5:6], null, v3, s6, 0
	v_cmp_le_i32_e64 s1, v3, v0
	v_mul_lo_u32 v1, v1, s6
	s_delay_alu instid0(VALU_DEP_1) | instskip(NEXT) | instid1(VALU_DEP_1)
	v_add3_u32 v6, v6, v8, v1
	v_lshlrev_b64 v[5:6], 2, v[5:6]
	s_delay_alu instid0(VALU_DEP_1) | instskip(NEXT) | instid1(VALU_DEP_1)
	v_add_co_u32 v5, s2, s4, v5
	v_add_co_ci_u32_e64 v6, s2, s5, v6, s2
	s_and_b32 s2, s1, vcc_lo
	s_delay_alu instid0(SALU_CYCLE_1)
	s_and_saveexec_b32 s1, s2
	s_cbranch_execz .LBB1454_13
; %bb.12:
	v_ashrrev_i32_e32 v1, 31, v0
	s_delay_alu instid0(VALU_DEP_1) | instskip(NEXT) | instid1(VALU_DEP_1)
	v_lshlrev_b64 v[0:1], 2, v[0:1]
	v_add_co_u32 v0, vcc_lo, v5, v0
	s_delay_alu instid0(VALU_DEP_2) | instskip(SKIP_3) | instid1(VALU_DEP_1)
	v_add_co_ci_u32_e32 v1, vcc_lo, v6, v1, vcc_lo
	global_load_b32 v8, v[0:1], off
	s_waitcnt vmcnt(0)
	v_mul_f32_e32 v8, s8, v8
	v_fmac_f32_e32 v8, s3, v7
	global_store_b32 v[0:1], v8, off
.LBB1454_13:
	s_or_b32 exec_lo, exec_lo, s1
	v_cmp_le_i32_e32 vcc_lo, v3, v2
	s_and_b32 s0, vcc_lo, s0
	s_delay_alu instid0(SALU_CYCLE_1)
	s_and_saveexec_b32 s1, s0
	s_cbranch_execz .LBB1454_15
; %bb.14:
	v_ashrrev_i32_e32 v3, 31, v2
	s_delay_alu instid0(VALU_DEP_1) | instskip(NEXT) | instid1(VALU_DEP_1)
	v_lshlrev_b64 v[0:1], 2, v[2:3]
	v_add_co_u32 v0, vcc_lo, v5, v0
	s_delay_alu instid0(VALU_DEP_2) | instskip(SKIP_3) | instid1(VALU_DEP_1)
	v_add_co_ci_u32_e32 v1, vcc_lo, v6, v1, vcc_lo
	global_load_b32 v2, v[0:1], off
	s_waitcnt vmcnt(0)
	v_mul_f32_e32 v2, s8, v2
	v_fmac_f32_e32 v2, s3, v4
	global_store_b32 v[0:1], v2, off
.LBB1454_15:
	s_nop 0
	s_sendmsg sendmsg(MSG_DEALLOC_VGPRS)
	s_endpgm
	.section	.rodata,"a",@progbits
	.p2align	6, 0x0
	.amdhsa_kernel _ZL34rocblas_syrkx_herkx_general_kernelIlfLi16ELi32ELi8ELb0ELb0ELc84ELc76EKPKfKPfEviT_T0_PT8_S5_lS8_S5_lS6_PT9_S5_li
		.amdhsa_group_segment_fixed_size 2048
		.amdhsa_private_segment_fixed_size 0
		.amdhsa_kernarg_size 108
		.amdhsa_user_sgpr_count 13
		.amdhsa_user_sgpr_dispatch_ptr 0
		.amdhsa_user_sgpr_queue_ptr 0
		.amdhsa_user_sgpr_kernarg_segment_ptr 1
		.amdhsa_user_sgpr_dispatch_id 0
		.amdhsa_user_sgpr_private_segment_size 0
		.amdhsa_wavefront_size32 1
		.amdhsa_uses_dynamic_stack 0
		.amdhsa_enable_private_segment 0
		.amdhsa_system_sgpr_workgroup_id_x 1
		.amdhsa_system_sgpr_workgroup_id_y 1
		.amdhsa_system_sgpr_workgroup_id_z 1
		.amdhsa_system_sgpr_workgroup_info 0
		.amdhsa_system_vgpr_workitem_id 1
		.amdhsa_next_free_vgpr 44
		.amdhsa_next_free_sgpr 21
		.amdhsa_reserve_vcc 1
		.amdhsa_float_round_mode_32 0
		.amdhsa_float_round_mode_16_64 0
		.amdhsa_float_denorm_mode_32 3
		.amdhsa_float_denorm_mode_16_64 3
		.amdhsa_dx10_clamp 1
		.amdhsa_ieee_mode 1
		.amdhsa_fp16_overflow 0
		.amdhsa_workgroup_processor_mode 1
		.amdhsa_memory_ordered 1
		.amdhsa_forward_progress 0
		.amdhsa_shared_vgpr_count 0
		.amdhsa_exception_fp_ieee_invalid_op 0
		.amdhsa_exception_fp_denorm_src 0
		.amdhsa_exception_fp_ieee_div_zero 0
		.amdhsa_exception_fp_ieee_overflow 0
		.amdhsa_exception_fp_ieee_underflow 0
		.amdhsa_exception_fp_ieee_inexact 0
		.amdhsa_exception_int_div_zero 0
	.end_amdhsa_kernel
	.section	.text._ZL34rocblas_syrkx_herkx_general_kernelIlfLi16ELi32ELi8ELb0ELb0ELc84ELc76EKPKfKPfEviT_T0_PT8_S5_lS8_S5_lS6_PT9_S5_li,"axG",@progbits,_ZL34rocblas_syrkx_herkx_general_kernelIlfLi16ELi32ELi8ELb0ELb0ELc84ELc76EKPKfKPfEviT_T0_PT8_S5_lS8_S5_lS6_PT9_S5_li,comdat
.Lfunc_end1454:
	.size	_ZL34rocblas_syrkx_herkx_general_kernelIlfLi16ELi32ELi8ELb0ELb0ELc84ELc76EKPKfKPfEviT_T0_PT8_S5_lS8_S5_lS6_PT9_S5_li, .Lfunc_end1454-_ZL34rocblas_syrkx_herkx_general_kernelIlfLi16ELi32ELi8ELb0ELb0ELc84ELc76EKPKfKPfEviT_T0_PT8_S5_lS8_S5_lS6_PT9_S5_li
                                        ; -- End function
	.section	.AMDGPU.csdata,"",@progbits
; Kernel info:
; codeLenInByte = 1528
; NumSgprs: 23
; NumVgprs: 44
; ScratchSize: 0
; MemoryBound: 0
; FloatMode: 240
; IeeeMode: 1
; LDSByteSize: 2048 bytes/workgroup (compile time only)
; SGPRBlocks: 2
; VGPRBlocks: 5
; NumSGPRsForWavesPerEU: 23
; NumVGPRsForWavesPerEU: 44
; Occupancy: 16
; WaveLimiterHint : 1
; COMPUTE_PGM_RSRC2:SCRATCH_EN: 0
; COMPUTE_PGM_RSRC2:USER_SGPR: 13
; COMPUTE_PGM_RSRC2:TRAP_HANDLER: 0
; COMPUTE_PGM_RSRC2:TGID_X_EN: 1
; COMPUTE_PGM_RSRC2:TGID_Y_EN: 1
; COMPUTE_PGM_RSRC2:TGID_Z_EN: 1
; COMPUTE_PGM_RSRC2:TIDIG_COMP_CNT: 1
	.section	.text._ZL34rocblas_syrkx_herkx_general_kernelIlfLi16ELi32ELi8ELb0ELb0ELc67ELc76EKPKfKPfEviT_T0_PT8_S5_lS8_S5_lS6_PT9_S5_li,"axG",@progbits,_ZL34rocblas_syrkx_herkx_general_kernelIlfLi16ELi32ELi8ELb0ELb0ELc67ELc76EKPKfKPfEviT_T0_PT8_S5_lS8_S5_lS6_PT9_S5_li,comdat
	.globl	_ZL34rocblas_syrkx_herkx_general_kernelIlfLi16ELi32ELi8ELb0ELb0ELc67ELc76EKPKfKPfEviT_T0_PT8_S5_lS8_S5_lS6_PT9_S5_li ; -- Begin function _ZL34rocblas_syrkx_herkx_general_kernelIlfLi16ELi32ELi8ELb0ELb0ELc67ELc76EKPKfKPfEviT_T0_PT8_S5_lS8_S5_lS6_PT9_S5_li
	.p2align	8
	.type	_ZL34rocblas_syrkx_herkx_general_kernelIlfLi16ELi32ELi8ELb0ELb0ELc67ELc76EKPKfKPfEviT_T0_PT8_S5_lS8_S5_lS6_PT9_S5_li,@function
_ZL34rocblas_syrkx_herkx_general_kernelIlfLi16ELi32ELi8ELb0ELb0ELc67ELc76EKPKfKPfEviT_T0_PT8_S5_lS8_S5_lS6_PT9_S5_li: ; @_ZL34rocblas_syrkx_herkx_general_kernelIlfLi16ELi32ELi8ELb0ELb0ELc67ELc76EKPKfKPfEviT_T0_PT8_S5_lS8_S5_lS6_PT9_S5_li
; %bb.0:
	s_clause 0x1
	s_load_b128 s[4:7], s[0:1], 0x50
	s_load_b64 s[16:17], s[0:1], 0x8
	s_mov_b32 s2, s15
	s_mov_b32 s3, 0
	v_dual_mov_b32 v10, 0 :: v_dual_and_b32 v5, 0x3ff, v0
	s_lshl_b64 s[2:3], s[2:3], 3
	v_bfe_u32 v6, v0, 10, 10
	v_dual_mov_b32 v8, 0 :: v_dual_mov_b32 v7, 0
	v_mov_b32_e32 v4, 0
	s_waitcnt lgkmcnt(0)
	s_add_u32 s4, s4, s2
	s_addc_u32 s5, s5, s3
	s_load_b32 s18, s[0:1], 0x0
	s_load_b64 s[4:5], s[4:5], 0x0
	v_cmp_lt_i64_e64 s8, s[16:17], 1
	s_lshl_b32 s19, s13, 5
	s_lshl_b32 s20, s14, 5
	s_delay_alu instid0(VALU_DEP_1)
	s_and_b32 vcc_lo, exec_lo, s8
	s_cbranch_vccnz .LBB1455_7
; %bb.1:
	s_clause 0x1
	s_load_b128 s[12:15], s[0:1], 0x18
	s_load_b128 s[8:11], s[0:1], 0x30
	v_lshl_add_u32 v0, v6, 4, v5
	v_dual_mov_b32 v4, 0 :: v_dual_and_b32 v9, 7, v5
	s_delay_alu instid0(VALU_DEP_2) | instskip(SKIP_2) | instid1(VALU_DEP_3)
	v_and_b32_e32 v1, 31, v0
	v_lshrrev_b32_e32 v7, 3, v0
	v_lshrrev_b32_e32 v11, 5, v0
	v_add_nc_u32_e32 v2, s19, v1
	s_delay_alu instid0(VALU_DEP_3) | instskip(SKIP_2) | instid1(VALU_DEP_4)
	v_add_nc_u32_e32 v8, s20, v7
	v_or_b32_e32 v12, s19, v1
	v_lshlrev_b32_e32 v13, 2, v1
	v_ashrrev_i32_e32 v0, 31, v2
	s_delay_alu instid0(VALU_DEP_4)
	v_ashrrev_i32_e32 v3, 31, v8
	s_waitcnt lgkmcnt(0)
	v_mul_lo_u32 v15, s15, v2
	s_add_u32 s8, s8, s2
	v_mul_lo_u32 v14, s14, v0
	v_mad_u64_u32 v[0:1], null, s14, v2, 0
	s_addc_u32 s9, s9, s3
	s_add_u32 s2, s12, s2
	v_mul_lo_u32 v16, s10, v3
	v_mul_lo_u32 v17, s11, v8
	s_addc_u32 s3, s13, s3
	v_mad_u64_u32 v[2:3], null, s10, v8, 0
	s_load_b64 s[8:9], s[8:9], 0x0
	s_load_b64 s[12:13], s[2:3], 0x0
	v_cmp_gt_i32_e64 s3, s18, v8
	v_mov_b32_e32 v8, 0
	v_lshlrev_b32_e32 v10, 2, v9
	v_add3_u32 v1, v1, v14, v15
	v_cmp_gt_i32_e64 s2, s18, v12
	v_add3_u32 v3, v3, v16, v17
	v_lshl_or_b32 v12, v11, 7, v13
	v_lshl_or_b32 v7, v7, 5, v10
	v_lshlrev_b64 v[0:1], 2, v[0:1]
	v_lshlrev_b32_e32 v14, 2, v5
	v_lshlrev_b64 v[2:3], 2, v[2:3]
	v_lshl_add_u32 v15, v6, 5, 0x400
	v_add_nc_u32_e32 v13, 0x400, v7
	v_lshlrev_b32_e32 v7, 2, v11
	s_delay_alu instid0(VALU_DEP_1)
	v_add_co_u32 v0, vcc_lo, v0, v7
	v_add_co_ci_u32_e32 v1, vcc_lo, 0, v1, vcc_lo
	v_add_co_u32 v2, vcc_lo, v2, v10
	v_mov_b32_e32 v10, 0
	v_add_co_ci_u32_e32 v3, vcc_lo, 0, v3, vcc_lo
	s_waitcnt lgkmcnt(0)
	v_add_co_u32 v0, vcc_lo, s12, v0
	v_add_co_ci_u32_e32 v1, vcc_lo, s13, v1, vcc_lo
	v_add_co_u32 v2, vcc_lo, s8, v2
	v_add_co_ci_u32_e32 v3, vcc_lo, s9, v3, vcc_lo
	v_mov_b32_e32 v7, 0
	s_mov_b64 s[8:9], 0
	s_branch .LBB1455_3
.LBB1455_2:                             ;   in Loop: Header=BB1455_3 Depth=1
	s_or_b32 exec_lo, exec_lo, s10
	s_waitcnt vmcnt(0)
	ds_store_b32 v13, v17
	s_waitcnt lgkmcnt(0)
	s_barrier
	buffer_gl0_inv
	ds_load_2addr_b32 v[32:33], v14 offset1:16
	ds_load_b128 v[16:19], v15
	ds_load_b128 v[20:23], v15 offset:512
	ds_load_2addr_b32 v[34:35], v14 offset0:32 offset1:48
	ds_load_2addr_b32 v[36:37], v14 offset0:64 offset1:80
	;; [unrolled: 1-line block ×3, first 2 shown]
	ds_load_b128 v[24:27], v15 offset:16
	ds_load_2addr_b32 v[40:41], v14 offset0:128 offset1:144
	ds_load_b128 v[28:31], v15 offset:528
	ds_load_2addr_b32 v[42:43], v14 offset0:160 offset1:176
	s_add_u32 s8, s8, 8
	s_addc_u32 s9, s9, 0
	v_add_co_u32 v0, vcc_lo, v0, 32
	v_cmp_ge_i64_e64 s10, s[8:9], s[16:17]
	v_add_co_ci_u32_e32 v1, vcc_lo, 0, v1, vcc_lo
	v_add_co_u32 v2, vcc_lo, v2, 32
	v_add_co_ci_u32_e32 v3, vcc_lo, 0, v3, vcc_lo
	s_delay_alu instid0(VALU_DEP_4) | instskip(SKIP_3) | instid1(VALU_DEP_1)
	s_and_b32 vcc_lo, exec_lo, s10
	s_waitcnt lgkmcnt(7)
	v_fmac_f32_e32 v7, v32, v20
	s_waitcnt lgkmcnt(6)
	v_dual_fmac_f32 v10, v32, v16 :: v_dual_fmac_f32 v7, v34, v21
	v_fmac_f32_e32 v8, v33, v16
	s_waitcnt lgkmcnt(5)
	s_delay_alu instid0(VALU_DEP_2)
	v_dual_fmac_f32 v10, v34, v17 :: v_dual_fmac_f32 v7, v36, v22
	v_fmac_f32_e32 v4, v33, v20
	ds_load_2addr_b32 v[32:33], v14 offset0:192 offset1:208
	s_waitcnt lgkmcnt(5)
	v_dual_fmac_f32 v7, v38, v23 :: v_dual_fmac_f32 v8, v35, v17
	ds_load_2addr_b32 v[16:17], v14 offset0:224 offset1:240
	s_waitcnt lgkmcnt(0)
	s_barrier
	v_fmac_f32_e32 v7, v40, v28
	v_fmac_f32_e32 v10, v36, v18
	buffer_gl0_inv
	v_fmac_f32_e32 v7, v42, v29
	v_fmac_f32_e32 v4, v35, v21
	s_delay_alu instid0(VALU_DEP_2) | instskip(SKIP_1) | instid1(VALU_DEP_3)
	v_dual_fmac_f32 v10, v38, v19 :: v_dual_fmac_f32 v7, v32, v30
	v_fmac_f32_e32 v8, v37, v18
	v_fmac_f32_e32 v4, v37, v22
	s_delay_alu instid0(VALU_DEP_3) | instskip(NEXT) | instid1(VALU_DEP_4)
	v_fmac_f32_e32 v10, v40, v24
	v_fmac_f32_e32 v7, v16, v31
	s_delay_alu instid0(VALU_DEP_4) | instskip(NEXT) | instid1(VALU_DEP_4)
	v_fmac_f32_e32 v8, v39, v19
	v_fmac_f32_e32 v4, v39, v23
	s_delay_alu instid0(VALU_DEP_4) | instskip(NEXT) | instid1(VALU_DEP_3)
	v_fmac_f32_e32 v10, v42, v25
	v_fmac_f32_e32 v8, v41, v24
	s_delay_alu instid0(VALU_DEP_3) | instskip(NEXT) | instid1(VALU_DEP_3)
	v_fmac_f32_e32 v4, v41, v28
	v_fmac_f32_e32 v10, v32, v26
	s_delay_alu instid0(VALU_DEP_3) | instskip(NEXT) | instid1(VALU_DEP_3)
	v_fmac_f32_e32 v8, v43, v25
	v_fmac_f32_e32 v4, v43, v29
	s_delay_alu instid0(VALU_DEP_3) | instskip(NEXT) | instid1(VALU_DEP_3)
	v_fmac_f32_e32 v10, v16, v27
	v_fmac_f32_e32 v8, v33, v26
	s_delay_alu instid0(VALU_DEP_3) | instskip(NEXT) | instid1(VALU_DEP_2)
	v_fmac_f32_e32 v4, v33, v30
	v_fmac_f32_e32 v8, v17, v27
	s_delay_alu instid0(VALU_DEP_2)
	v_fmac_f32_e32 v4, v17, v31
	s_cbranch_vccnz .LBB1455_7
.LBB1455_3:                             ; =>This Inner Loop Header: Depth=1
	v_add_co_u32 v16, s10, v11, s8
	s_delay_alu instid0(VALU_DEP_1) | instskip(NEXT) | instid1(VALU_DEP_1)
	v_add_co_ci_u32_e64 v17, null, 0, s9, s10
	v_cmp_gt_i64_e32 vcc_lo, s[16:17], v[16:17]
	v_mov_b32_e32 v16, 0
	s_and_b32 s11, s2, vcc_lo
	s_delay_alu instid0(SALU_CYCLE_1)
	s_and_saveexec_b32 s10, s11
	s_cbranch_execz .LBB1455_5
; %bb.4:                                ;   in Loop: Header=BB1455_3 Depth=1
	global_load_b32 v16, v[0:1], off
.LBB1455_5:                             ;   in Loop: Header=BB1455_3 Depth=1
	s_or_b32 exec_lo, exec_lo, s10
	v_add_co_u32 v17, s10, v9, s8
	s_delay_alu instid0(VALU_DEP_1)
	v_add_co_ci_u32_e64 v18, null, 0, s9, s10
	s_waitcnt vmcnt(0)
	ds_store_b32 v12, v16
	v_cmp_gt_i64_e32 vcc_lo, s[16:17], v[17:18]
	v_mov_b32_e32 v17, 0
	s_and_b32 s11, vcc_lo, s3
	s_delay_alu instid0(SALU_CYCLE_1)
	s_and_saveexec_b32 s10, s11
	s_cbranch_execz .LBB1455_2
; %bb.6:                                ;   in Loop: Header=BB1455_3 Depth=1
	global_load_b32 v17, v[2:3], off
	s_branch .LBB1455_2
.LBB1455_7:
	v_add_nc_u32_e32 v6, s20, v6
	s_clause 0x1
	s_load_b32 s3, s[0:1], 0x10
	s_load_b32 s8, s[0:1], 0x48
	s_delay_alu instid0(VALU_DEP_1) | instskip(SKIP_2) | instid1(VALU_DEP_3)
	v_ashrrev_i32_e32 v0, 31, v6
	v_mul_lo_u32 v3, v6, s7
	v_mad_u64_u32 v[1:2], null, v6, s6, 0
	v_mul_lo_u32 v0, v0, s6
	s_delay_alu instid0(VALU_DEP_1) | instskip(SKIP_1) | instid1(VALU_DEP_2)
	v_add3_u32 v2, v2, v3, v0
	v_add_nc_u32_e32 v0, s19, v5
	v_lshlrev_b64 v[1:2], 2, v[1:2]
	s_delay_alu instid0(VALU_DEP_2) | instskip(SKIP_2) | instid1(VALU_DEP_3)
	v_cmp_le_i32_e64 s0, v6, v0
	s_waitcnt lgkmcnt(0)
	v_cmp_gt_i32_e32 vcc_lo, s18, v0
	v_add_co_u32 v5, s1, s4, v1
	s_delay_alu instid0(VALU_DEP_1) | instskip(SKIP_1) | instid1(SALU_CYCLE_1)
	v_add_co_ci_u32_e64 v9, s1, s5, v2, s1
	s_and_b32 s0, s0, vcc_lo
	s_and_saveexec_b32 s1, s0
	s_cbranch_execz .LBB1455_9
; %bb.8:
	v_ashrrev_i32_e32 v1, 31, v0
	s_delay_alu instid0(VALU_DEP_1) | instskip(NEXT) | instid1(VALU_DEP_1)
	v_lshlrev_b64 v[1:2], 2, v[0:1]
	v_add_co_u32 v1, s0, v5, v1
	s_delay_alu instid0(VALU_DEP_1) | instskip(SKIP_3) | instid1(VALU_DEP_1)
	v_add_co_ci_u32_e64 v2, s0, v9, v2, s0
	global_load_b32 v3, v[1:2], off
	s_waitcnt vmcnt(0)
	v_mul_f32_e32 v3, s8, v3
	v_fmac_f32_e32 v3, s3, v10
	global_store_b32 v[1:2], v3, off
.LBB1455_9:
	s_or_b32 exec_lo, exec_lo, s1
	v_add_nc_u32_e32 v2, 16, v0
	s_delay_alu instid0(VALU_DEP_1) | instskip(SKIP_1) | instid1(VALU_DEP_1)
	v_cmp_le_i32_e64 s1, v6, v2
	v_cmp_gt_i32_e64 s0, s18, v2
	s_and_b32 s1, s1, s0
	s_delay_alu instid0(SALU_CYCLE_1)
	s_and_saveexec_b32 s2, s1
	s_cbranch_execz .LBB1455_11
; %bb.10:
	v_ashrrev_i32_e32 v3, 31, v2
	s_delay_alu instid0(VALU_DEP_1) | instskip(NEXT) | instid1(VALU_DEP_1)
	v_lshlrev_b64 v[10:11], 2, v[2:3]
	v_add_co_u32 v10, s1, v5, v10
	s_delay_alu instid0(VALU_DEP_1) | instskip(SKIP_3) | instid1(VALU_DEP_1)
	v_add_co_ci_u32_e64 v11, s1, v9, v11, s1
	global_load_b32 v1, v[10:11], off
	s_waitcnt vmcnt(0)
	v_mul_f32_e32 v1, s8, v1
	v_fmac_f32_e32 v1, s3, v8
	global_store_b32 v[10:11], v1, off
.LBB1455_11:
	s_or_b32 exec_lo, exec_lo, s2
	v_add_nc_u32_e32 v3, 16, v6
	s_delay_alu instid0(VALU_DEP_1) | instskip(SKIP_3) | instid1(VALU_DEP_4)
	v_ashrrev_i32_e32 v1, 31, v3
	v_mul_lo_u32 v8, v3, s7
	v_mad_u64_u32 v[5:6], null, v3, s6, 0
	v_cmp_le_i32_e64 s1, v3, v0
	v_mul_lo_u32 v1, v1, s6
	s_delay_alu instid0(VALU_DEP_1) | instskip(NEXT) | instid1(VALU_DEP_1)
	v_add3_u32 v6, v6, v8, v1
	v_lshlrev_b64 v[5:6], 2, v[5:6]
	s_delay_alu instid0(VALU_DEP_1) | instskip(NEXT) | instid1(VALU_DEP_1)
	v_add_co_u32 v5, s2, s4, v5
	v_add_co_ci_u32_e64 v6, s2, s5, v6, s2
	s_and_b32 s2, s1, vcc_lo
	s_delay_alu instid0(SALU_CYCLE_1)
	s_and_saveexec_b32 s1, s2
	s_cbranch_execz .LBB1455_13
; %bb.12:
	v_ashrrev_i32_e32 v1, 31, v0
	s_delay_alu instid0(VALU_DEP_1) | instskip(NEXT) | instid1(VALU_DEP_1)
	v_lshlrev_b64 v[0:1], 2, v[0:1]
	v_add_co_u32 v0, vcc_lo, v5, v0
	s_delay_alu instid0(VALU_DEP_2) | instskip(SKIP_3) | instid1(VALU_DEP_1)
	v_add_co_ci_u32_e32 v1, vcc_lo, v6, v1, vcc_lo
	global_load_b32 v8, v[0:1], off
	s_waitcnt vmcnt(0)
	v_mul_f32_e32 v8, s8, v8
	v_fmac_f32_e32 v8, s3, v7
	global_store_b32 v[0:1], v8, off
.LBB1455_13:
	s_or_b32 exec_lo, exec_lo, s1
	v_cmp_le_i32_e32 vcc_lo, v3, v2
	s_and_b32 s0, vcc_lo, s0
	s_delay_alu instid0(SALU_CYCLE_1)
	s_and_saveexec_b32 s1, s0
	s_cbranch_execz .LBB1455_15
; %bb.14:
	v_ashrrev_i32_e32 v3, 31, v2
	s_delay_alu instid0(VALU_DEP_1) | instskip(NEXT) | instid1(VALU_DEP_1)
	v_lshlrev_b64 v[0:1], 2, v[2:3]
	v_add_co_u32 v0, vcc_lo, v5, v0
	s_delay_alu instid0(VALU_DEP_2) | instskip(SKIP_3) | instid1(VALU_DEP_1)
	v_add_co_ci_u32_e32 v1, vcc_lo, v6, v1, vcc_lo
	global_load_b32 v2, v[0:1], off
	s_waitcnt vmcnt(0)
	v_mul_f32_e32 v2, s8, v2
	v_fmac_f32_e32 v2, s3, v4
	global_store_b32 v[0:1], v2, off
.LBB1455_15:
	s_nop 0
	s_sendmsg sendmsg(MSG_DEALLOC_VGPRS)
	s_endpgm
	.section	.rodata,"a",@progbits
	.p2align	6, 0x0
	.amdhsa_kernel _ZL34rocblas_syrkx_herkx_general_kernelIlfLi16ELi32ELi8ELb0ELb0ELc67ELc76EKPKfKPfEviT_T0_PT8_S5_lS8_S5_lS6_PT9_S5_li
		.amdhsa_group_segment_fixed_size 2048
		.amdhsa_private_segment_fixed_size 0
		.amdhsa_kernarg_size 108
		.amdhsa_user_sgpr_count 13
		.amdhsa_user_sgpr_dispatch_ptr 0
		.amdhsa_user_sgpr_queue_ptr 0
		.amdhsa_user_sgpr_kernarg_segment_ptr 1
		.amdhsa_user_sgpr_dispatch_id 0
		.amdhsa_user_sgpr_private_segment_size 0
		.amdhsa_wavefront_size32 1
		.amdhsa_uses_dynamic_stack 0
		.amdhsa_enable_private_segment 0
		.amdhsa_system_sgpr_workgroup_id_x 1
		.amdhsa_system_sgpr_workgroup_id_y 1
		.amdhsa_system_sgpr_workgroup_id_z 1
		.amdhsa_system_sgpr_workgroup_info 0
		.amdhsa_system_vgpr_workitem_id 1
		.amdhsa_next_free_vgpr 44
		.amdhsa_next_free_sgpr 21
		.amdhsa_reserve_vcc 1
		.amdhsa_float_round_mode_32 0
		.amdhsa_float_round_mode_16_64 0
		.amdhsa_float_denorm_mode_32 3
		.amdhsa_float_denorm_mode_16_64 3
		.amdhsa_dx10_clamp 1
		.amdhsa_ieee_mode 1
		.amdhsa_fp16_overflow 0
		.amdhsa_workgroup_processor_mode 1
		.amdhsa_memory_ordered 1
		.amdhsa_forward_progress 0
		.amdhsa_shared_vgpr_count 0
		.amdhsa_exception_fp_ieee_invalid_op 0
		.amdhsa_exception_fp_denorm_src 0
		.amdhsa_exception_fp_ieee_div_zero 0
		.amdhsa_exception_fp_ieee_overflow 0
		.amdhsa_exception_fp_ieee_underflow 0
		.amdhsa_exception_fp_ieee_inexact 0
		.amdhsa_exception_int_div_zero 0
	.end_amdhsa_kernel
	.section	.text._ZL34rocblas_syrkx_herkx_general_kernelIlfLi16ELi32ELi8ELb0ELb0ELc67ELc76EKPKfKPfEviT_T0_PT8_S5_lS8_S5_lS6_PT9_S5_li,"axG",@progbits,_ZL34rocblas_syrkx_herkx_general_kernelIlfLi16ELi32ELi8ELb0ELb0ELc67ELc76EKPKfKPfEviT_T0_PT8_S5_lS8_S5_lS6_PT9_S5_li,comdat
.Lfunc_end1455:
	.size	_ZL34rocblas_syrkx_herkx_general_kernelIlfLi16ELi32ELi8ELb0ELb0ELc67ELc76EKPKfKPfEviT_T0_PT8_S5_lS8_S5_lS6_PT9_S5_li, .Lfunc_end1455-_ZL34rocblas_syrkx_herkx_general_kernelIlfLi16ELi32ELi8ELb0ELb0ELc67ELc76EKPKfKPfEviT_T0_PT8_S5_lS8_S5_lS6_PT9_S5_li
                                        ; -- End function
	.section	.AMDGPU.csdata,"",@progbits
; Kernel info:
; codeLenInByte = 1528
; NumSgprs: 23
; NumVgprs: 44
; ScratchSize: 0
; MemoryBound: 0
; FloatMode: 240
; IeeeMode: 1
; LDSByteSize: 2048 bytes/workgroup (compile time only)
; SGPRBlocks: 2
; VGPRBlocks: 5
; NumSGPRsForWavesPerEU: 23
; NumVGPRsForWavesPerEU: 44
; Occupancy: 16
; WaveLimiterHint : 1
; COMPUTE_PGM_RSRC2:SCRATCH_EN: 0
; COMPUTE_PGM_RSRC2:USER_SGPR: 13
; COMPUTE_PGM_RSRC2:TRAP_HANDLER: 0
; COMPUTE_PGM_RSRC2:TGID_X_EN: 1
; COMPUTE_PGM_RSRC2:TGID_Y_EN: 1
; COMPUTE_PGM_RSRC2:TGID_Z_EN: 1
; COMPUTE_PGM_RSRC2:TIDIG_COMP_CNT: 1
	.section	.text._ZL34rocblas_syrkx_herkx_general_kernelIlfLi16ELi32ELi8ELb0ELb0ELc78ELc76EKPKfKPfEviT_T0_PT8_S5_lS8_S5_lS6_PT9_S5_li,"axG",@progbits,_ZL34rocblas_syrkx_herkx_general_kernelIlfLi16ELi32ELi8ELb0ELb0ELc78ELc76EKPKfKPfEviT_T0_PT8_S5_lS8_S5_lS6_PT9_S5_li,comdat
	.globl	_ZL34rocblas_syrkx_herkx_general_kernelIlfLi16ELi32ELi8ELb0ELb0ELc78ELc76EKPKfKPfEviT_T0_PT8_S5_lS8_S5_lS6_PT9_S5_li ; -- Begin function _ZL34rocblas_syrkx_herkx_general_kernelIlfLi16ELi32ELi8ELb0ELb0ELc78ELc76EKPKfKPfEviT_T0_PT8_S5_lS8_S5_lS6_PT9_S5_li
	.p2align	8
	.type	_ZL34rocblas_syrkx_herkx_general_kernelIlfLi16ELi32ELi8ELb0ELb0ELc78ELc76EKPKfKPfEviT_T0_PT8_S5_lS8_S5_lS6_PT9_S5_li,@function
_ZL34rocblas_syrkx_herkx_general_kernelIlfLi16ELi32ELi8ELb0ELb0ELc78ELc76EKPKfKPfEviT_T0_PT8_S5_lS8_S5_lS6_PT9_S5_li: ; @_ZL34rocblas_syrkx_herkx_general_kernelIlfLi16ELi32ELi8ELb0ELb0ELc78ELc76EKPKfKPfEviT_T0_PT8_S5_lS8_S5_lS6_PT9_S5_li
; %bb.0:
	s_clause 0x1
	s_load_b128 s[4:7], s[0:1], 0x50
	s_load_b64 s[16:17], s[0:1], 0x8
	s_mov_b32 s2, s15
	s_mov_b32 s3, 0
	v_dual_mov_b32 v8, 0 :: v_dual_and_b32 v5, 0x3ff, v0
	s_lshl_b64 s[18:19], s[2:3], 3
	v_bfe_u32 v6, v0, 10, 10
	v_dual_mov_b32 v13, 0 :: v_dual_mov_b32 v4, 0
	v_mov_b32_e32 v7, 0
	s_waitcnt lgkmcnt(0)
	s_add_u32 s2, s4, s18
	s_addc_u32 s3, s5, s19
	s_load_b32 s20, s[0:1], 0x0
	s_load_b64 s[4:5], s[2:3], 0x0
	v_cmp_lt_i64_e64 s2, s[16:17], 1
	s_lshl_b32 s21, s13, 5
	s_lshl_b32 s22, s14, 5
	s_delay_alu instid0(VALU_DEP_1)
	s_and_b32 vcc_lo, exec_lo, s2
	s_cbranch_vccnz .LBB1456_7
; %bb.1:
	s_clause 0x1
	s_load_b128 s[8:11], s[0:1], 0x18
	s_load_b128 s[12:15], s[0:1], 0x30
	v_lshl_add_u32 v0, v6, 4, v5
	v_dual_mov_b32 v4, 0 :: v_dual_and_b32 v9, 7, v5
	v_lshl_add_u32 v11, v6, 5, 0x400
	s_delay_alu instid0(VALU_DEP_3) | instskip(SKIP_2) | instid1(VALU_DEP_2)
	v_lshrrev_b32_e32 v12, 5, v0
	v_lshrrev_b32_e32 v1, 3, v0
	v_and_b32_e32 v13, 31, v0
	v_add_nc_u32_e32 v0, s22, v1
	s_waitcnt lgkmcnt(0)
	v_mad_u64_u32 v[2:3], null, s10, v12, 0
	v_mad_u64_u32 v[7:8], null, s14, v9, 0
	v_lshlrev_b32_e32 v14, 2, v9
	v_lshlrev_b32_e32 v10, 2, v5
	s_add_u32 s12, s12, s18
	s_addc_u32 s13, s13, s19
	s_add_u32 s8, s8, s18
	v_lshl_or_b32 v20, v1, 5, v14
	v_mov_b32_e32 v1, v3
	v_mov_b32_e32 v3, v8
	s_addc_u32 s9, s9, s19
	s_load_b64 s[12:13], s[12:13], 0x0
	s_load_b64 s[8:9], s[8:9], 0x0
	s_delay_alu instid0(VALU_DEP_1) | instskip(NEXT) | instid1(VALU_DEP_1)
	v_mad_u64_u32 v[17:18], null, s15, v9, v[3:4]
	v_mov_b32_e32 v8, v17
	v_or_b32_e32 v16, s21, v13
	v_add_nc_u32_e32 v15, s21, v13
	v_lshlrev_b32_e32 v19, 2, v13
	v_mad_u64_u32 v[13:14], null, s11, v12, v[1:2]
	s_delay_alu instid0(VALU_DEP_4) | instskip(NEXT) | instid1(VALU_DEP_4)
	v_cmp_gt_i32_e64 s2, s20, v16
	v_ashrrev_i32_e32 v16, 31, v15
	s_delay_alu instid0(VALU_DEP_4)
	v_lshl_or_b32 v14, v12, 7, v19
	v_lshlrev_b64 v[7:8], 2, v[7:8]
	v_mov_b32_e32 v3, v13
	v_ashrrev_i32_e32 v1, 31, v0
	v_lshlrev_b64 v[18:19], 2, v[15:16]
	v_cmp_gt_i32_e64 s3, s20, v0
	v_add_nc_u32_e32 v15, 0x400, v20
	v_lshlrev_b64 v[2:3], 2, v[2:3]
	v_lshlrev_b64 v[0:1], 2, v[0:1]
	v_mov_b32_e32 v13, 0
	s_delay_alu instid0(VALU_DEP_3) | instskip(NEXT) | instid1(VALU_DEP_4)
	v_add_co_u32 v2, vcc_lo, v2, v18
	v_add_co_ci_u32_e32 v3, vcc_lo, v3, v19, vcc_lo
	s_delay_alu instid0(VALU_DEP_4)
	v_add_co_u32 v7, vcc_lo, v7, v0
	v_add_co_ci_u32_e32 v8, vcc_lo, v8, v1, vcc_lo
	s_waitcnt lgkmcnt(0)
	v_add_co_u32 v0, vcc_lo, s8, v2
	v_add_co_ci_u32_e32 v1, vcc_lo, s9, v3, vcc_lo
	v_add_co_u32 v2, vcc_lo, s12, v7
	v_add_co_ci_u32_e32 v3, vcc_lo, s13, v8, vcc_lo
	v_dual_mov_b32 v8, 0 :: v_dual_mov_b32 v7, 0
	s_lshl_b64 s[8:9], s[10:11], 5
	s_lshl_b64 s[10:11], s[14:15], 5
	s_mov_b64 s[12:13], 0
	s_branch .LBB1456_3
.LBB1456_2:                             ;   in Loop: Header=BB1456_3 Depth=1
	s_or_b32 exec_lo, exec_lo, s14
	s_waitcnt vmcnt(0)
	ds_store_b32 v15, v17
	s_waitcnt lgkmcnt(0)
	s_barrier
	buffer_gl0_inv
	ds_load_2addr_b32 v[32:33], v10 offset1:16
	ds_load_b128 v[16:19], v11
	ds_load_b128 v[20:23], v11 offset:512
	ds_load_2addr_b32 v[34:35], v10 offset0:32 offset1:48
	ds_load_2addr_b32 v[36:37], v10 offset0:64 offset1:80
	;; [unrolled: 1-line block ×3, first 2 shown]
	ds_load_b128 v[24:27], v11 offset:16
	ds_load_2addr_b32 v[40:41], v10 offset0:128 offset1:144
	ds_load_b128 v[28:31], v11 offset:528
	ds_load_2addr_b32 v[42:43], v10 offset0:160 offset1:176
	s_add_u32 s12, s12, 8
	s_addc_u32 s13, s13, 0
	v_add_co_u32 v0, vcc_lo, v0, s8
	v_cmp_ge_i64_e64 s14, s[12:13], s[16:17]
	v_add_co_ci_u32_e32 v1, vcc_lo, s9, v1, vcc_lo
	v_add_co_u32 v2, vcc_lo, v2, s10
	v_add_co_ci_u32_e32 v3, vcc_lo, s11, v3, vcc_lo
	s_waitcnt lgkmcnt(8)
	v_fmac_f32_e32 v8, v33, v16
	v_fmac_f32_e32 v13, v32, v16
	s_waitcnt lgkmcnt(7)
	v_fmac_f32_e32 v4, v33, v20
	v_fmac_f32_e32 v7, v32, v20
	ds_load_2addr_b32 v[32:33], v10 offset0:192 offset1:208
	s_waitcnt lgkmcnt(7)
	v_fmac_f32_e32 v8, v35, v17
	v_fmac_f32_e32 v13, v34, v17
	;; [unrolled: 1-line block ×4, first 2 shown]
	ds_load_2addr_b32 v[16:17], v10 offset0:224 offset1:240
	s_waitcnt lgkmcnt(7)
	v_fmac_f32_e32 v8, v37, v18
	v_fmac_f32_e32 v13, v36, v18
	;; [unrolled: 1-line block ×4, first 2 shown]
	s_and_b32 vcc_lo, exec_lo, s14
	s_waitcnt lgkmcnt(6)
	v_fmac_f32_e32 v8, v39, v19
	v_fmac_f32_e32 v13, v38, v19
	;; [unrolled: 1-line block ×4, first 2 shown]
	s_waitcnt lgkmcnt(0)
	v_fmac_f32_e32 v8, v41, v24
	v_fmac_f32_e32 v13, v40, v24
	;; [unrolled: 1-line block ×4, first 2 shown]
	s_barrier
	v_fmac_f32_e32 v8, v43, v25
	v_fmac_f32_e32 v13, v42, v25
	;; [unrolled: 1-line block ×4, first 2 shown]
	buffer_gl0_inv
	v_fmac_f32_e32 v8, v33, v26
	v_fmac_f32_e32 v13, v32, v26
	v_fmac_f32_e32 v4, v33, v30
	s_delay_alu instid0(VALU_DEP_3) | instskip(NEXT) | instid1(VALU_DEP_3)
	v_dual_fmac_f32 v7, v32, v30 :: v_dual_fmac_f32 v8, v17, v27
	v_fmac_f32_e32 v13, v16, v27
	s_delay_alu instid0(VALU_DEP_3) | instskip(NEXT) | instid1(VALU_DEP_3)
	v_fmac_f32_e32 v4, v17, v31
	v_fmac_f32_e32 v7, v16, v31
	s_cbranch_vccnz .LBB1456_7
.LBB1456_3:                             ; =>This Inner Loop Header: Depth=1
	v_add_co_u32 v16, s14, v12, s12
	s_delay_alu instid0(VALU_DEP_1) | instskip(NEXT) | instid1(VALU_DEP_1)
	v_add_co_ci_u32_e64 v17, null, 0, s13, s14
	v_cmp_gt_i64_e32 vcc_lo, s[16:17], v[16:17]
	v_mov_b32_e32 v16, 0
	s_and_b32 s15, s2, vcc_lo
	s_delay_alu instid0(SALU_CYCLE_1)
	s_and_saveexec_b32 s14, s15
	s_cbranch_execz .LBB1456_5
; %bb.4:                                ;   in Loop: Header=BB1456_3 Depth=1
	global_load_b32 v16, v[0:1], off
.LBB1456_5:                             ;   in Loop: Header=BB1456_3 Depth=1
	s_or_b32 exec_lo, exec_lo, s14
	v_add_co_u32 v17, s14, v9, s12
	s_delay_alu instid0(VALU_DEP_1)
	v_add_co_ci_u32_e64 v18, null, 0, s13, s14
	s_waitcnt vmcnt(0)
	ds_store_b32 v14, v16
	v_cmp_gt_i64_e32 vcc_lo, s[16:17], v[17:18]
	v_mov_b32_e32 v17, 0
	s_and_b32 s15, vcc_lo, s3
	s_delay_alu instid0(SALU_CYCLE_1)
	s_and_saveexec_b32 s14, s15
	s_cbranch_execz .LBB1456_2
; %bb.6:                                ;   in Loop: Header=BB1456_3 Depth=1
	global_load_b32 v17, v[2:3], off
	s_branch .LBB1456_2
.LBB1456_7:
	v_add_nc_u32_e32 v6, s22, v6
	s_clause 0x1
	s_load_b32 s3, s[0:1], 0x10
	s_load_b32 s8, s[0:1], 0x48
	s_delay_alu instid0(VALU_DEP_1) | instskip(SKIP_2) | instid1(VALU_DEP_3)
	v_ashrrev_i32_e32 v0, 31, v6
	v_mul_lo_u32 v3, v6, s7
	v_mad_u64_u32 v[1:2], null, v6, s6, 0
	v_mul_lo_u32 v0, v0, s6
	s_delay_alu instid0(VALU_DEP_1) | instskip(SKIP_1) | instid1(VALU_DEP_2)
	v_add3_u32 v2, v2, v3, v0
	v_add_nc_u32_e32 v0, s21, v5
	v_lshlrev_b64 v[1:2], 2, v[1:2]
	s_delay_alu instid0(VALU_DEP_2) | instskip(SKIP_2) | instid1(VALU_DEP_3)
	v_cmp_le_i32_e64 s0, v6, v0
	s_waitcnt lgkmcnt(0)
	v_cmp_gt_i32_e32 vcc_lo, s20, v0
	v_add_co_u32 v5, s1, s4, v1
	s_delay_alu instid0(VALU_DEP_1) | instskip(SKIP_1) | instid1(SALU_CYCLE_1)
	v_add_co_ci_u32_e64 v9, s1, s5, v2, s1
	s_and_b32 s0, s0, vcc_lo
	s_and_saveexec_b32 s1, s0
	s_cbranch_execz .LBB1456_9
; %bb.8:
	v_ashrrev_i32_e32 v1, 31, v0
	s_delay_alu instid0(VALU_DEP_1) | instskip(NEXT) | instid1(VALU_DEP_1)
	v_lshlrev_b64 v[1:2], 2, v[0:1]
	v_add_co_u32 v1, s0, v5, v1
	s_delay_alu instid0(VALU_DEP_1) | instskip(SKIP_3) | instid1(VALU_DEP_1)
	v_add_co_ci_u32_e64 v2, s0, v9, v2, s0
	global_load_b32 v3, v[1:2], off
	s_waitcnt vmcnt(0)
	v_mul_f32_e32 v3, s8, v3
	v_fmac_f32_e32 v3, s3, v13
	global_store_b32 v[1:2], v3, off
.LBB1456_9:
	s_or_b32 exec_lo, exec_lo, s1
	v_add_nc_u32_e32 v2, 16, v0
	s_delay_alu instid0(VALU_DEP_1) | instskip(SKIP_1) | instid1(VALU_DEP_1)
	v_cmp_le_i32_e64 s1, v6, v2
	v_cmp_gt_i32_e64 s0, s20, v2
	s_and_b32 s1, s1, s0
	s_delay_alu instid0(SALU_CYCLE_1)
	s_and_saveexec_b32 s2, s1
	s_cbranch_execz .LBB1456_11
; %bb.10:
	v_ashrrev_i32_e32 v3, 31, v2
	s_delay_alu instid0(VALU_DEP_1) | instskip(NEXT) | instid1(VALU_DEP_1)
	v_lshlrev_b64 v[10:11], 2, v[2:3]
	v_add_co_u32 v10, s1, v5, v10
	s_delay_alu instid0(VALU_DEP_1) | instskip(SKIP_3) | instid1(VALU_DEP_1)
	v_add_co_ci_u32_e64 v11, s1, v9, v11, s1
	global_load_b32 v1, v[10:11], off
	s_waitcnt vmcnt(0)
	v_mul_f32_e32 v1, s8, v1
	v_fmac_f32_e32 v1, s3, v8
	global_store_b32 v[10:11], v1, off
.LBB1456_11:
	s_or_b32 exec_lo, exec_lo, s2
	v_add_nc_u32_e32 v3, 16, v6
	s_delay_alu instid0(VALU_DEP_1) | instskip(SKIP_3) | instid1(VALU_DEP_4)
	v_ashrrev_i32_e32 v1, 31, v3
	v_mul_lo_u32 v8, v3, s7
	v_mad_u64_u32 v[5:6], null, v3, s6, 0
	v_cmp_le_i32_e64 s1, v3, v0
	v_mul_lo_u32 v1, v1, s6
	s_delay_alu instid0(VALU_DEP_1) | instskip(NEXT) | instid1(VALU_DEP_1)
	v_add3_u32 v6, v6, v8, v1
	v_lshlrev_b64 v[5:6], 2, v[5:6]
	s_delay_alu instid0(VALU_DEP_1) | instskip(NEXT) | instid1(VALU_DEP_1)
	v_add_co_u32 v5, s2, s4, v5
	v_add_co_ci_u32_e64 v6, s2, s5, v6, s2
	s_and_b32 s2, s1, vcc_lo
	s_delay_alu instid0(SALU_CYCLE_1)
	s_and_saveexec_b32 s1, s2
	s_cbranch_execz .LBB1456_13
; %bb.12:
	v_ashrrev_i32_e32 v1, 31, v0
	s_delay_alu instid0(VALU_DEP_1) | instskip(NEXT) | instid1(VALU_DEP_1)
	v_lshlrev_b64 v[0:1], 2, v[0:1]
	v_add_co_u32 v0, vcc_lo, v5, v0
	s_delay_alu instid0(VALU_DEP_2) | instskip(SKIP_3) | instid1(VALU_DEP_1)
	v_add_co_ci_u32_e32 v1, vcc_lo, v6, v1, vcc_lo
	global_load_b32 v8, v[0:1], off
	s_waitcnt vmcnt(0)
	v_mul_f32_e32 v8, s8, v8
	v_fmac_f32_e32 v8, s3, v7
	global_store_b32 v[0:1], v8, off
.LBB1456_13:
	s_or_b32 exec_lo, exec_lo, s1
	v_cmp_le_i32_e32 vcc_lo, v3, v2
	s_and_b32 s0, vcc_lo, s0
	s_delay_alu instid0(SALU_CYCLE_1)
	s_and_saveexec_b32 s1, s0
	s_cbranch_execz .LBB1456_15
; %bb.14:
	v_ashrrev_i32_e32 v3, 31, v2
	s_delay_alu instid0(VALU_DEP_1) | instskip(NEXT) | instid1(VALU_DEP_1)
	v_lshlrev_b64 v[0:1], 2, v[2:3]
	v_add_co_u32 v0, vcc_lo, v5, v0
	s_delay_alu instid0(VALU_DEP_2) | instskip(SKIP_3) | instid1(VALU_DEP_1)
	v_add_co_ci_u32_e32 v1, vcc_lo, v6, v1, vcc_lo
	global_load_b32 v2, v[0:1], off
	s_waitcnt vmcnt(0)
	v_mul_f32_e32 v2, s8, v2
	v_fmac_f32_e32 v2, s3, v4
	global_store_b32 v[0:1], v2, off
.LBB1456_15:
	s_nop 0
	s_sendmsg sendmsg(MSG_DEALLOC_VGPRS)
	s_endpgm
	.section	.rodata,"a",@progbits
	.p2align	6, 0x0
	.amdhsa_kernel _ZL34rocblas_syrkx_herkx_general_kernelIlfLi16ELi32ELi8ELb0ELb0ELc78ELc76EKPKfKPfEviT_T0_PT8_S5_lS8_S5_lS6_PT9_S5_li
		.amdhsa_group_segment_fixed_size 2048
		.amdhsa_private_segment_fixed_size 0
		.amdhsa_kernarg_size 108
		.amdhsa_user_sgpr_count 13
		.amdhsa_user_sgpr_dispatch_ptr 0
		.amdhsa_user_sgpr_queue_ptr 0
		.amdhsa_user_sgpr_kernarg_segment_ptr 1
		.amdhsa_user_sgpr_dispatch_id 0
		.amdhsa_user_sgpr_private_segment_size 0
		.amdhsa_wavefront_size32 1
		.amdhsa_uses_dynamic_stack 0
		.amdhsa_enable_private_segment 0
		.amdhsa_system_sgpr_workgroup_id_x 1
		.amdhsa_system_sgpr_workgroup_id_y 1
		.amdhsa_system_sgpr_workgroup_id_z 1
		.amdhsa_system_sgpr_workgroup_info 0
		.amdhsa_system_vgpr_workitem_id 1
		.amdhsa_next_free_vgpr 44
		.amdhsa_next_free_sgpr 23
		.amdhsa_reserve_vcc 1
		.amdhsa_float_round_mode_32 0
		.amdhsa_float_round_mode_16_64 0
		.amdhsa_float_denorm_mode_32 3
		.amdhsa_float_denorm_mode_16_64 3
		.amdhsa_dx10_clamp 1
		.amdhsa_ieee_mode 1
		.amdhsa_fp16_overflow 0
		.amdhsa_workgroup_processor_mode 1
		.amdhsa_memory_ordered 1
		.amdhsa_forward_progress 0
		.amdhsa_shared_vgpr_count 0
		.amdhsa_exception_fp_ieee_invalid_op 0
		.amdhsa_exception_fp_denorm_src 0
		.amdhsa_exception_fp_ieee_div_zero 0
		.amdhsa_exception_fp_ieee_overflow 0
		.amdhsa_exception_fp_ieee_underflow 0
		.amdhsa_exception_fp_ieee_inexact 0
		.amdhsa_exception_int_div_zero 0
	.end_amdhsa_kernel
	.section	.text._ZL34rocblas_syrkx_herkx_general_kernelIlfLi16ELi32ELi8ELb0ELb0ELc78ELc76EKPKfKPfEviT_T0_PT8_S5_lS8_S5_lS6_PT9_S5_li,"axG",@progbits,_ZL34rocblas_syrkx_herkx_general_kernelIlfLi16ELi32ELi8ELb0ELb0ELc78ELc76EKPKfKPfEviT_T0_PT8_S5_lS8_S5_lS6_PT9_S5_li,comdat
.Lfunc_end1456:
	.size	_ZL34rocblas_syrkx_herkx_general_kernelIlfLi16ELi32ELi8ELb0ELb0ELc78ELc76EKPKfKPfEviT_T0_PT8_S5_lS8_S5_lS6_PT9_S5_li, .Lfunc_end1456-_ZL34rocblas_syrkx_herkx_general_kernelIlfLi16ELi32ELi8ELb0ELb0ELc78ELc76EKPKfKPfEviT_T0_PT8_S5_lS8_S5_lS6_PT9_S5_li
                                        ; -- End function
	.section	.AMDGPU.csdata,"",@progbits
; Kernel info:
; codeLenInByte = 1508
; NumSgprs: 25
; NumVgprs: 44
; ScratchSize: 0
; MemoryBound: 0
; FloatMode: 240
; IeeeMode: 1
; LDSByteSize: 2048 bytes/workgroup (compile time only)
; SGPRBlocks: 3
; VGPRBlocks: 5
; NumSGPRsForWavesPerEU: 25
; NumVGPRsForWavesPerEU: 44
; Occupancy: 16
; WaveLimiterHint : 1
; COMPUTE_PGM_RSRC2:SCRATCH_EN: 0
; COMPUTE_PGM_RSRC2:USER_SGPR: 13
; COMPUTE_PGM_RSRC2:TRAP_HANDLER: 0
; COMPUTE_PGM_RSRC2:TGID_X_EN: 1
; COMPUTE_PGM_RSRC2:TGID_Y_EN: 1
; COMPUTE_PGM_RSRC2:TGID_Z_EN: 1
; COMPUTE_PGM_RSRC2:TIDIG_COMP_CNT: 1
	.section	.text._ZL34rocblas_syrkx_herkx_general_kernelIlfLi16ELi32ELi8ELb0ELb0ELc84ELc85EKPKfKPfEviT_T0_PT8_S5_lS8_S5_lS6_PT9_S5_li,"axG",@progbits,_ZL34rocblas_syrkx_herkx_general_kernelIlfLi16ELi32ELi8ELb0ELb0ELc84ELc85EKPKfKPfEviT_T0_PT8_S5_lS8_S5_lS6_PT9_S5_li,comdat
	.globl	_ZL34rocblas_syrkx_herkx_general_kernelIlfLi16ELi32ELi8ELb0ELb0ELc84ELc85EKPKfKPfEviT_T0_PT8_S5_lS8_S5_lS6_PT9_S5_li ; -- Begin function _ZL34rocblas_syrkx_herkx_general_kernelIlfLi16ELi32ELi8ELb0ELb0ELc84ELc85EKPKfKPfEviT_T0_PT8_S5_lS8_S5_lS6_PT9_S5_li
	.p2align	8
	.type	_ZL34rocblas_syrkx_herkx_general_kernelIlfLi16ELi32ELi8ELb0ELb0ELc84ELc85EKPKfKPfEviT_T0_PT8_S5_lS8_S5_lS6_PT9_S5_li,@function
_ZL34rocblas_syrkx_herkx_general_kernelIlfLi16ELi32ELi8ELb0ELb0ELc84ELc85EKPKfKPfEviT_T0_PT8_S5_lS8_S5_lS6_PT9_S5_li: ; @_ZL34rocblas_syrkx_herkx_general_kernelIlfLi16ELi32ELi8ELb0ELb0ELc84ELc85EKPKfKPfEviT_T0_PT8_S5_lS8_S5_lS6_PT9_S5_li
; %bb.0:
	s_clause 0x1
	s_load_b128 s[4:7], s[0:1], 0x50
	s_load_b64 s[16:17], s[0:1], 0x8
	s_mov_b32 s2, s15
	s_mov_b32 s3, 0
	v_dual_mov_b32 v10, 0 :: v_dual_and_b32 v5, 0x3ff, v0
	s_lshl_b64 s[2:3], s[2:3], 3
	v_bfe_u32 v6, v0, 10, 10
	v_dual_mov_b32 v8, 0 :: v_dual_mov_b32 v7, 0
	v_mov_b32_e32 v4, 0
	s_waitcnt lgkmcnt(0)
	s_add_u32 s4, s4, s2
	s_addc_u32 s5, s5, s3
	s_load_b32 s18, s[0:1], 0x0
	s_load_b64 s[4:5], s[4:5], 0x0
	v_cmp_lt_i64_e64 s8, s[16:17], 1
	s_lshl_b32 s19, s13, 5
	s_lshl_b32 s20, s14, 5
	s_delay_alu instid0(VALU_DEP_1)
	s_and_b32 vcc_lo, exec_lo, s8
	s_cbranch_vccnz .LBB1457_7
; %bb.1:
	s_clause 0x1
	s_load_b128 s[12:15], s[0:1], 0x18
	s_load_b128 s[8:11], s[0:1], 0x30
	v_lshl_add_u32 v0, v6, 4, v5
	v_dual_mov_b32 v4, 0 :: v_dual_and_b32 v9, 7, v5
	s_delay_alu instid0(VALU_DEP_2) | instskip(SKIP_2) | instid1(VALU_DEP_3)
	v_and_b32_e32 v1, 31, v0
	v_lshrrev_b32_e32 v7, 3, v0
	v_lshrrev_b32_e32 v11, 5, v0
	v_add_nc_u32_e32 v2, s19, v1
	s_delay_alu instid0(VALU_DEP_3) | instskip(SKIP_2) | instid1(VALU_DEP_4)
	v_add_nc_u32_e32 v8, s20, v7
	v_or_b32_e32 v12, s19, v1
	v_lshlrev_b32_e32 v13, 2, v1
	v_ashrrev_i32_e32 v0, 31, v2
	s_delay_alu instid0(VALU_DEP_4)
	v_ashrrev_i32_e32 v3, 31, v8
	s_waitcnt lgkmcnt(0)
	v_mul_lo_u32 v15, s15, v2
	s_add_u32 s8, s8, s2
	v_mul_lo_u32 v14, s14, v0
	v_mad_u64_u32 v[0:1], null, s14, v2, 0
	s_addc_u32 s9, s9, s3
	s_add_u32 s2, s12, s2
	v_mul_lo_u32 v16, s10, v3
	v_mul_lo_u32 v17, s11, v8
	s_addc_u32 s3, s13, s3
	v_mad_u64_u32 v[2:3], null, s10, v8, 0
	s_load_b64 s[8:9], s[8:9], 0x0
	s_load_b64 s[12:13], s[2:3], 0x0
	v_cmp_gt_i32_e64 s3, s18, v8
	v_mov_b32_e32 v8, 0
	v_lshlrev_b32_e32 v10, 2, v9
	v_add3_u32 v1, v1, v14, v15
	v_cmp_gt_i32_e64 s2, s18, v12
	v_add3_u32 v3, v3, v16, v17
	v_lshl_or_b32 v12, v11, 7, v13
	v_lshl_or_b32 v7, v7, 5, v10
	v_lshlrev_b64 v[0:1], 2, v[0:1]
	v_lshlrev_b32_e32 v14, 2, v5
	v_lshlrev_b64 v[2:3], 2, v[2:3]
	v_lshl_add_u32 v15, v6, 5, 0x400
	v_add_nc_u32_e32 v13, 0x400, v7
	v_lshlrev_b32_e32 v7, 2, v11
	s_delay_alu instid0(VALU_DEP_1)
	v_add_co_u32 v0, vcc_lo, v0, v7
	v_add_co_ci_u32_e32 v1, vcc_lo, 0, v1, vcc_lo
	v_add_co_u32 v2, vcc_lo, v2, v10
	v_mov_b32_e32 v10, 0
	v_add_co_ci_u32_e32 v3, vcc_lo, 0, v3, vcc_lo
	s_waitcnt lgkmcnt(0)
	v_add_co_u32 v0, vcc_lo, s12, v0
	v_add_co_ci_u32_e32 v1, vcc_lo, s13, v1, vcc_lo
	v_add_co_u32 v2, vcc_lo, s8, v2
	v_add_co_ci_u32_e32 v3, vcc_lo, s9, v3, vcc_lo
	v_mov_b32_e32 v7, 0
	s_mov_b64 s[8:9], 0
	s_branch .LBB1457_3
.LBB1457_2:                             ;   in Loop: Header=BB1457_3 Depth=1
	s_or_b32 exec_lo, exec_lo, s10
	s_waitcnt vmcnt(0)
	ds_store_b32 v13, v17
	s_waitcnt lgkmcnt(0)
	s_barrier
	buffer_gl0_inv
	ds_load_2addr_b32 v[32:33], v14 offset1:16
	ds_load_b128 v[16:19], v15
	ds_load_b128 v[20:23], v15 offset:512
	ds_load_2addr_b32 v[34:35], v14 offset0:32 offset1:48
	ds_load_2addr_b32 v[36:37], v14 offset0:64 offset1:80
	;; [unrolled: 1-line block ×3, first 2 shown]
	ds_load_b128 v[24:27], v15 offset:16
	ds_load_2addr_b32 v[40:41], v14 offset0:128 offset1:144
	ds_load_b128 v[28:31], v15 offset:528
	ds_load_2addr_b32 v[42:43], v14 offset0:160 offset1:176
	s_add_u32 s8, s8, 8
	s_addc_u32 s9, s9, 0
	v_add_co_u32 v0, vcc_lo, v0, 32
	v_cmp_ge_i64_e64 s10, s[8:9], s[16:17]
	v_add_co_ci_u32_e32 v1, vcc_lo, 0, v1, vcc_lo
	v_add_co_u32 v2, vcc_lo, v2, 32
	v_add_co_ci_u32_e32 v3, vcc_lo, 0, v3, vcc_lo
	s_delay_alu instid0(VALU_DEP_4) | instskip(SKIP_3) | instid1(VALU_DEP_1)
	s_and_b32 vcc_lo, exec_lo, s10
	s_waitcnt lgkmcnt(7)
	v_fmac_f32_e32 v7, v32, v20
	s_waitcnt lgkmcnt(6)
	v_dual_fmac_f32 v10, v32, v16 :: v_dual_fmac_f32 v7, v34, v21
	v_fmac_f32_e32 v8, v33, v16
	s_waitcnt lgkmcnt(5)
	s_delay_alu instid0(VALU_DEP_2)
	v_dual_fmac_f32 v10, v34, v17 :: v_dual_fmac_f32 v7, v36, v22
	v_fmac_f32_e32 v4, v33, v20
	ds_load_2addr_b32 v[32:33], v14 offset0:192 offset1:208
	s_waitcnt lgkmcnt(5)
	v_dual_fmac_f32 v7, v38, v23 :: v_dual_fmac_f32 v8, v35, v17
	ds_load_2addr_b32 v[16:17], v14 offset0:224 offset1:240
	s_waitcnt lgkmcnt(0)
	s_barrier
	v_fmac_f32_e32 v7, v40, v28
	v_fmac_f32_e32 v10, v36, v18
	buffer_gl0_inv
	v_fmac_f32_e32 v7, v42, v29
	v_fmac_f32_e32 v4, v35, v21
	s_delay_alu instid0(VALU_DEP_2) | instskip(SKIP_1) | instid1(VALU_DEP_3)
	v_dual_fmac_f32 v10, v38, v19 :: v_dual_fmac_f32 v7, v32, v30
	v_fmac_f32_e32 v8, v37, v18
	v_fmac_f32_e32 v4, v37, v22
	s_delay_alu instid0(VALU_DEP_3) | instskip(NEXT) | instid1(VALU_DEP_4)
	v_fmac_f32_e32 v10, v40, v24
	v_fmac_f32_e32 v7, v16, v31
	s_delay_alu instid0(VALU_DEP_4) | instskip(NEXT) | instid1(VALU_DEP_4)
	v_fmac_f32_e32 v8, v39, v19
	v_fmac_f32_e32 v4, v39, v23
	s_delay_alu instid0(VALU_DEP_4) | instskip(NEXT) | instid1(VALU_DEP_3)
	v_fmac_f32_e32 v10, v42, v25
	v_fmac_f32_e32 v8, v41, v24
	s_delay_alu instid0(VALU_DEP_3) | instskip(NEXT) | instid1(VALU_DEP_3)
	v_fmac_f32_e32 v4, v41, v28
	v_fmac_f32_e32 v10, v32, v26
	s_delay_alu instid0(VALU_DEP_3) | instskip(NEXT) | instid1(VALU_DEP_3)
	;; [unrolled: 3-line block ×3, first 2 shown]
	v_fmac_f32_e32 v10, v16, v27
	v_fmac_f32_e32 v8, v33, v26
	s_delay_alu instid0(VALU_DEP_3) | instskip(NEXT) | instid1(VALU_DEP_2)
	v_fmac_f32_e32 v4, v33, v30
	v_fmac_f32_e32 v8, v17, v27
	s_delay_alu instid0(VALU_DEP_2)
	v_fmac_f32_e32 v4, v17, v31
	s_cbranch_vccnz .LBB1457_7
.LBB1457_3:                             ; =>This Inner Loop Header: Depth=1
	v_add_co_u32 v16, s10, v11, s8
	s_delay_alu instid0(VALU_DEP_1) | instskip(NEXT) | instid1(VALU_DEP_1)
	v_add_co_ci_u32_e64 v17, null, 0, s9, s10
	v_cmp_gt_i64_e32 vcc_lo, s[16:17], v[16:17]
	v_mov_b32_e32 v16, 0
	s_and_b32 s11, s2, vcc_lo
	s_delay_alu instid0(SALU_CYCLE_1)
	s_and_saveexec_b32 s10, s11
	s_cbranch_execz .LBB1457_5
; %bb.4:                                ;   in Loop: Header=BB1457_3 Depth=1
	global_load_b32 v16, v[0:1], off
.LBB1457_5:                             ;   in Loop: Header=BB1457_3 Depth=1
	s_or_b32 exec_lo, exec_lo, s10
	v_add_co_u32 v17, s10, v9, s8
	s_delay_alu instid0(VALU_DEP_1)
	v_add_co_ci_u32_e64 v18, null, 0, s9, s10
	s_waitcnt vmcnt(0)
	ds_store_b32 v12, v16
	v_cmp_gt_i64_e32 vcc_lo, s[16:17], v[17:18]
	v_mov_b32_e32 v17, 0
	s_and_b32 s11, vcc_lo, s3
	s_delay_alu instid0(SALU_CYCLE_1)
	s_and_saveexec_b32 s10, s11
	s_cbranch_execz .LBB1457_2
; %bb.6:                                ;   in Loop: Header=BB1457_3 Depth=1
	global_load_b32 v17, v[2:3], off
	s_branch .LBB1457_2
.LBB1457_7:
	v_add_nc_u32_e32 v6, s20, v6
	s_clause 0x1
	s_load_b32 s2, s[0:1], 0x10
	s_load_b32 s3, s[0:1], 0x48
	s_delay_alu instid0(VALU_DEP_1)
	v_ashrrev_i32_e32 v0, 31, v6
	v_mul_lo_u32 v3, v6, s7
	v_mad_u64_u32 v[1:2], null, v6, s6, 0
	s_waitcnt lgkmcnt(0)
	v_cmp_gt_i32_e32 vcc_lo, s18, v6
	v_mul_lo_u32 v0, v0, s6
	s_delay_alu instid0(VALU_DEP_1) | instskip(SKIP_1) | instid1(VALU_DEP_2)
	v_add3_u32 v2, v2, v3, v0
	v_add_nc_u32_e32 v0, s19, v5
	v_lshlrev_b64 v[1:2], 2, v[1:2]
	s_delay_alu instid0(VALU_DEP_2) | instskip(NEXT) | instid1(VALU_DEP_1)
	v_cmp_le_i32_e64 s0, v0, v6
	s_and_b32 s0, vcc_lo, s0
	s_delay_alu instid0(VALU_DEP_2) | instskip(NEXT) | instid1(VALU_DEP_1)
	v_add_co_u32 v5, s1, s4, v1
	v_add_co_ci_u32_e64 v9, s1, s5, v2, s1
	s_and_saveexec_b32 s1, s0
	s_cbranch_execz .LBB1457_9
; %bb.8:
	v_ashrrev_i32_e32 v1, 31, v0
	s_delay_alu instid0(VALU_DEP_1) | instskip(NEXT) | instid1(VALU_DEP_1)
	v_lshlrev_b64 v[1:2], 2, v[0:1]
	v_add_co_u32 v1, s0, v5, v1
	s_delay_alu instid0(VALU_DEP_1) | instskip(SKIP_3) | instid1(VALU_DEP_1)
	v_add_co_ci_u32_e64 v2, s0, v9, v2, s0
	global_load_b32 v3, v[1:2], off
	s_waitcnt vmcnt(0)
	v_mul_f32_e32 v3, s3, v3
	v_fmac_f32_e32 v3, s2, v10
	global_store_b32 v[1:2], v3, off
.LBB1457_9:
	s_or_b32 exec_lo, exec_lo, s1
	v_add_nc_u32_e32 v2, 16, v0
	s_delay_alu instid0(VALU_DEP_1) | instskip(NEXT) | instid1(VALU_DEP_1)
	v_cmp_le_i32_e64 s0, v2, v6
	s_and_b32 s1, vcc_lo, s0
	s_delay_alu instid0(SALU_CYCLE_1)
	s_and_saveexec_b32 s0, s1
	s_cbranch_execz .LBB1457_11
; %bb.10:
	v_ashrrev_i32_e32 v3, 31, v2
	s_delay_alu instid0(VALU_DEP_1) | instskip(NEXT) | instid1(VALU_DEP_1)
	v_lshlrev_b64 v[10:11], 2, v[2:3]
	v_add_co_u32 v10, vcc_lo, v5, v10
	s_delay_alu instid0(VALU_DEP_2) | instskip(SKIP_3) | instid1(VALU_DEP_1)
	v_add_co_ci_u32_e32 v11, vcc_lo, v9, v11, vcc_lo
	global_load_b32 v1, v[10:11], off
	s_waitcnt vmcnt(0)
	v_mul_f32_e32 v1, s3, v1
	v_fmac_f32_e32 v1, s2, v8
	global_store_b32 v[10:11], v1, off
.LBB1457_11:
	s_or_b32 exec_lo, exec_lo, s0
	v_add_nc_u32_e32 v3, 16, v6
	s_delay_alu instid0(VALU_DEP_1) | instskip(SKIP_3) | instid1(VALU_DEP_4)
	v_ashrrev_i32_e32 v1, 31, v3
	v_mul_lo_u32 v8, v3, s7
	v_mad_u64_u32 v[5:6], null, v3, s6, 0
	v_cmp_gt_i32_e32 vcc_lo, s18, v3
	v_mul_lo_u32 v1, v1, s6
	v_cmp_le_i32_e64 s0, v0, v3
	s_delay_alu instid0(VALU_DEP_1) | instskip(NEXT) | instid1(VALU_DEP_2)
	s_and_b32 s0, vcc_lo, s0
	v_add3_u32 v6, v6, v8, v1
	s_delay_alu instid0(VALU_DEP_1) | instskip(NEXT) | instid1(VALU_DEP_1)
	v_lshlrev_b64 v[5:6], 2, v[5:6]
	v_add_co_u32 v5, s1, s4, v5
	s_delay_alu instid0(VALU_DEP_1)
	v_add_co_ci_u32_e64 v6, s1, s5, v6, s1
	s_and_saveexec_b32 s1, s0
	s_cbranch_execz .LBB1457_13
; %bb.12:
	v_ashrrev_i32_e32 v1, 31, v0
	s_delay_alu instid0(VALU_DEP_1) | instskip(NEXT) | instid1(VALU_DEP_1)
	v_lshlrev_b64 v[0:1], 2, v[0:1]
	v_add_co_u32 v0, s0, v5, v0
	s_delay_alu instid0(VALU_DEP_1) | instskip(SKIP_3) | instid1(VALU_DEP_1)
	v_add_co_ci_u32_e64 v1, s0, v6, v1, s0
	global_load_b32 v8, v[0:1], off
	s_waitcnt vmcnt(0)
	v_mul_f32_e32 v8, s3, v8
	v_fmac_f32_e32 v8, s2, v7
	global_store_b32 v[0:1], v8, off
.LBB1457_13:
	s_or_b32 exec_lo, exec_lo, s1
	v_cmp_le_i32_e64 s0, v2, v3
	s_delay_alu instid0(VALU_DEP_1) | instskip(NEXT) | instid1(SALU_CYCLE_1)
	s_and_b32 s0, vcc_lo, s0
	s_and_saveexec_b32 s1, s0
	s_cbranch_execz .LBB1457_15
; %bb.14:
	v_ashrrev_i32_e32 v3, 31, v2
	s_delay_alu instid0(VALU_DEP_1) | instskip(NEXT) | instid1(VALU_DEP_1)
	v_lshlrev_b64 v[0:1], 2, v[2:3]
	v_add_co_u32 v0, vcc_lo, v5, v0
	s_delay_alu instid0(VALU_DEP_2) | instskip(SKIP_3) | instid1(VALU_DEP_1)
	v_add_co_ci_u32_e32 v1, vcc_lo, v6, v1, vcc_lo
	global_load_b32 v2, v[0:1], off
	s_waitcnt vmcnt(0)
	v_mul_f32_e32 v2, s3, v2
	v_fmac_f32_e32 v2, s2, v4
	global_store_b32 v[0:1], v2, off
.LBB1457_15:
	s_nop 0
	s_sendmsg sendmsg(MSG_DEALLOC_VGPRS)
	s_endpgm
	.section	.rodata,"a",@progbits
	.p2align	6, 0x0
	.amdhsa_kernel _ZL34rocblas_syrkx_herkx_general_kernelIlfLi16ELi32ELi8ELb0ELb0ELc84ELc85EKPKfKPfEviT_T0_PT8_S5_lS8_S5_lS6_PT9_S5_li
		.amdhsa_group_segment_fixed_size 2048
		.amdhsa_private_segment_fixed_size 0
		.amdhsa_kernarg_size 108
		.amdhsa_user_sgpr_count 13
		.amdhsa_user_sgpr_dispatch_ptr 0
		.amdhsa_user_sgpr_queue_ptr 0
		.amdhsa_user_sgpr_kernarg_segment_ptr 1
		.amdhsa_user_sgpr_dispatch_id 0
		.amdhsa_user_sgpr_private_segment_size 0
		.amdhsa_wavefront_size32 1
		.amdhsa_uses_dynamic_stack 0
		.amdhsa_enable_private_segment 0
		.amdhsa_system_sgpr_workgroup_id_x 1
		.amdhsa_system_sgpr_workgroup_id_y 1
		.amdhsa_system_sgpr_workgroup_id_z 1
		.amdhsa_system_sgpr_workgroup_info 0
		.amdhsa_system_vgpr_workitem_id 1
		.amdhsa_next_free_vgpr 44
		.amdhsa_next_free_sgpr 21
		.amdhsa_reserve_vcc 1
		.amdhsa_float_round_mode_32 0
		.amdhsa_float_round_mode_16_64 0
		.amdhsa_float_denorm_mode_32 3
		.amdhsa_float_denorm_mode_16_64 3
		.amdhsa_dx10_clamp 1
		.amdhsa_ieee_mode 1
		.amdhsa_fp16_overflow 0
		.amdhsa_workgroup_processor_mode 1
		.amdhsa_memory_ordered 1
		.amdhsa_forward_progress 0
		.amdhsa_shared_vgpr_count 0
		.amdhsa_exception_fp_ieee_invalid_op 0
		.amdhsa_exception_fp_denorm_src 0
		.amdhsa_exception_fp_ieee_div_zero 0
		.amdhsa_exception_fp_ieee_overflow 0
		.amdhsa_exception_fp_ieee_underflow 0
		.amdhsa_exception_fp_ieee_inexact 0
		.amdhsa_exception_int_div_zero 0
	.end_amdhsa_kernel
	.section	.text._ZL34rocblas_syrkx_herkx_general_kernelIlfLi16ELi32ELi8ELb0ELb0ELc84ELc85EKPKfKPfEviT_T0_PT8_S5_lS8_S5_lS6_PT9_S5_li,"axG",@progbits,_ZL34rocblas_syrkx_herkx_general_kernelIlfLi16ELi32ELi8ELb0ELb0ELc84ELc85EKPKfKPfEviT_T0_PT8_S5_lS8_S5_lS6_PT9_S5_li,comdat
.Lfunc_end1457:
	.size	_ZL34rocblas_syrkx_herkx_general_kernelIlfLi16ELi32ELi8ELb0ELb0ELc84ELc85EKPKfKPfEviT_T0_PT8_S5_lS8_S5_lS6_PT9_S5_li, .Lfunc_end1457-_ZL34rocblas_syrkx_herkx_general_kernelIlfLi16ELi32ELi8ELb0ELb0ELc84ELc85EKPKfKPfEviT_T0_PT8_S5_lS8_S5_lS6_PT9_S5_li
                                        ; -- End function
	.section	.AMDGPU.csdata,"",@progbits
; Kernel info:
; codeLenInByte = 1528
; NumSgprs: 23
; NumVgprs: 44
; ScratchSize: 0
; MemoryBound: 0
; FloatMode: 240
; IeeeMode: 1
; LDSByteSize: 2048 bytes/workgroup (compile time only)
; SGPRBlocks: 2
; VGPRBlocks: 5
; NumSGPRsForWavesPerEU: 23
; NumVGPRsForWavesPerEU: 44
; Occupancy: 16
; WaveLimiterHint : 1
; COMPUTE_PGM_RSRC2:SCRATCH_EN: 0
; COMPUTE_PGM_RSRC2:USER_SGPR: 13
; COMPUTE_PGM_RSRC2:TRAP_HANDLER: 0
; COMPUTE_PGM_RSRC2:TGID_X_EN: 1
; COMPUTE_PGM_RSRC2:TGID_Y_EN: 1
; COMPUTE_PGM_RSRC2:TGID_Z_EN: 1
; COMPUTE_PGM_RSRC2:TIDIG_COMP_CNT: 1
	.section	.text._ZL34rocblas_syrkx_herkx_general_kernelIlfLi16ELi32ELi8ELb0ELb0ELc67ELc85EKPKfKPfEviT_T0_PT8_S5_lS8_S5_lS6_PT9_S5_li,"axG",@progbits,_ZL34rocblas_syrkx_herkx_general_kernelIlfLi16ELi32ELi8ELb0ELb0ELc67ELc85EKPKfKPfEviT_T0_PT8_S5_lS8_S5_lS6_PT9_S5_li,comdat
	.globl	_ZL34rocblas_syrkx_herkx_general_kernelIlfLi16ELi32ELi8ELb0ELb0ELc67ELc85EKPKfKPfEviT_T0_PT8_S5_lS8_S5_lS6_PT9_S5_li ; -- Begin function _ZL34rocblas_syrkx_herkx_general_kernelIlfLi16ELi32ELi8ELb0ELb0ELc67ELc85EKPKfKPfEviT_T0_PT8_S5_lS8_S5_lS6_PT9_S5_li
	.p2align	8
	.type	_ZL34rocblas_syrkx_herkx_general_kernelIlfLi16ELi32ELi8ELb0ELb0ELc67ELc85EKPKfKPfEviT_T0_PT8_S5_lS8_S5_lS6_PT9_S5_li,@function
_ZL34rocblas_syrkx_herkx_general_kernelIlfLi16ELi32ELi8ELb0ELb0ELc67ELc85EKPKfKPfEviT_T0_PT8_S5_lS8_S5_lS6_PT9_S5_li: ; @_ZL34rocblas_syrkx_herkx_general_kernelIlfLi16ELi32ELi8ELb0ELb0ELc67ELc85EKPKfKPfEviT_T0_PT8_S5_lS8_S5_lS6_PT9_S5_li
; %bb.0:
	s_clause 0x1
	s_load_b128 s[4:7], s[0:1], 0x50
	s_load_b64 s[16:17], s[0:1], 0x8
	s_mov_b32 s2, s15
	s_mov_b32 s3, 0
	v_dual_mov_b32 v10, 0 :: v_dual_and_b32 v5, 0x3ff, v0
	s_lshl_b64 s[2:3], s[2:3], 3
	v_bfe_u32 v6, v0, 10, 10
	v_dual_mov_b32 v8, 0 :: v_dual_mov_b32 v7, 0
	v_mov_b32_e32 v4, 0
	s_waitcnt lgkmcnt(0)
	s_add_u32 s4, s4, s2
	s_addc_u32 s5, s5, s3
	s_load_b32 s18, s[0:1], 0x0
	s_load_b64 s[4:5], s[4:5], 0x0
	v_cmp_lt_i64_e64 s8, s[16:17], 1
	s_lshl_b32 s19, s13, 5
	s_lshl_b32 s20, s14, 5
	s_delay_alu instid0(VALU_DEP_1)
	s_and_b32 vcc_lo, exec_lo, s8
	s_cbranch_vccnz .LBB1458_7
; %bb.1:
	s_clause 0x1
	s_load_b128 s[12:15], s[0:1], 0x18
	s_load_b128 s[8:11], s[0:1], 0x30
	v_lshl_add_u32 v0, v6, 4, v5
	v_dual_mov_b32 v4, 0 :: v_dual_and_b32 v9, 7, v5
	s_delay_alu instid0(VALU_DEP_2) | instskip(SKIP_2) | instid1(VALU_DEP_3)
	v_and_b32_e32 v1, 31, v0
	v_lshrrev_b32_e32 v7, 3, v0
	v_lshrrev_b32_e32 v11, 5, v0
	v_add_nc_u32_e32 v2, s19, v1
	s_delay_alu instid0(VALU_DEP_3) | instskip(SKIP_2) | instid1(VALU_DEP_4)
	v_add_nc_u32_e32 v8, s20, v7
	v_or_b32_e32 v12, s19, v1
	v_lshlrev_b32_e32 v13, 2, v1
	v_ashrrev_i32_e32 v0, 31, v2
	s_delay_alu instid0(VALU_DEP_4)
	v_ashrrev_i32_e32 v3, 31, v8
	s_waitcnt lgkmcnt(0)
	v_mul_lo_u32 v15, s15, v2
	s_add_u32 s8, s8, s2
	v_mul_lo_u32 v14, s14, v0
	v_mad_u64_u32 v[0:1], null, s14, v2, 0
	s_addc_u32 s9, s9, s3
	s_add_u32 s2, s12, s2
	v_mul_lo_u32 v16, s10, v3
	v_mul_lo_u32 v17, s11, v8
	s_addc_u32 s3, s13, s3
	v_mad_u64_u32 v[2:3], null, s10, v8, 0
	s_load_b64 s[8:9], s[8:9], 0x0
	s_load_b64 s[12:13], s[2:3], 0x0
	v_cmp_gt_i32_e64 s3, s18, v8
	v_mov_b32_e32 v8, 0
	v_lshlrev_b32_e32 v10, 2, v9
	v_add3_u32 v1, v1, v14, v15
	v_cmp_gt_i32_e64 s2, s18, v12
	v_add3_u32 v3, v3, v16, v17
	v_lshl_or_b32 v12, v11, 7, v13
	v_lshl_or_b32 v7, v7, 5, v10
	v_lshlrev_b64 v[0:1], 2, v[0:1]
	v_lshlrev_b32_e32 v14, 2, v5
	v_lshlrev_b64 v[2:3], 2, v[2:3]
	v_lshl_add_u32 v15, v6, 5, 0x400
	v_add_nc_u32_e32 v13, 0x400, v7
	v_lshlrev_b32_e32 v7, 2, v11
	s_delay_alu instid0(VALU_DEP_1)
	v_add_co_u32 v0, vcc_lo, v0, v7
	v_add_co_ci_u32_e32 v1, vcc_lo, 0, v1, vcc_lo
	v_add_co_u32 v2, vcc_lo, v2, v10
	v_mov_b32_e32 v10, 0
	v_add_co_ci_u32_e32 v3, vcc_lo, 0, v3, vcc_lo
	s_waitcnt lgkmcnt(0)
	v_add_co_u32 v0, vcc_lo, s12, v0
	v_add_co_ci_u32_e32 v1, vcc_lo, s13, v1, vcc_lo
	v_add_co_u32 v2, vcc_lo, s8, v2
	v_add_co_ci_u32_e32 v3, vcc_lo, s9, v3, vcc_lo
	v_mov_b32_e32 v7, 0
	s_mov_b64 s[8:9], 0
	s_branch .LBB1458_3
.LBB1458_2:                             ;   in Loop: Header=BB1458_3 Depth=1
	s_or_b32 exec_lo, exec_lo, s10
	s_waitcnt vmcnt(0)
	ds_store_b32 v13, v17
	s_waitcnt lgkmcnt(0)
	s_barrier
	buffer_gl0_inv
	ds_load_2addr_b32 v[32:33], v14 offset1:16
	ds_load_b128 v[16:19], v15
	ds_load_b128 v[20:23], v15 offset:512
	ds_load_2addr_b32 v[34:35], v14 offset0:32 offset1:48
	ds_load_2addr_b32 v[36:37], v14 offset0:64 offset1:80
	ds_load_2addr_b32 v[38:39], v14 offset0:96 offset1:112
	ds_load_b128 v[24:27], v15 offset:16
	ds_load_2addr_b32 v[40:41], v14 offset0:128 offset1:144
	ds_load_b128 v[28:31], v15 offset:528
	ds_load_2addr_b32 v[42:43], v14 offset0:160 offset1:176
	s_add_u32 s8, s8, 8
	s_addc_u32 s9, s9, 0
	v_add_co_u32 v0, vcc_lo, v0, 32
	v_cmp_ge_i64_e64 s10, s[8:9], s[16:17]
	v_add_co_ci_u32_e32 v1, vcc_lo, 0, v1, vcc_lo
	v_add_co_u32 v2, vcc_lo, v2, 32
	v_add_co_ci_u32_e32 v3, vcc_lo, 0, v3, vcc_lo
	s_delay_alu instid0(VALU_DEP_4) | instskip(SKIP_3) | instid1(VALU_DEP_1)
	s_and_b32 vcc_lo, exec_lo, s10
	s_waitcnt lgkmcnt(7)
	v_fmac_f32_e32 v7, v32, v20
	s_waitcnt lgkmcnt(6)
	v_dual_fmac_f32 v10, v32, v16 :: v_dual_fmac_f32 v7, v34, v21
	v_fmac_f32_e32 v8, v33, v16
	s_waitcnt lgkmcnt(5)
	s_delay_alu instid0(VALU_DEP_2)
	v_dual_fmac_f32 v10, v34, v17 :: v_dual_fmac_f32 v7, v36, v22
	v_fmac_f32_e32 v4, v33, v20
	ds_load_2addr_b32 v[32:33], v14 offset0:192 offset1:208
	s_waitcnt lgkmcnt(5)
	v_dual_fmac_f32 v7, v38, v23 :: v_dual_fmac_f32 v8, v35, v17
	ds_load_2addr_b32 v[16:17], v14 offset0:224 offset1:240
	s_waitcnt lgkmcnt(0)
	s_barrier
	v_fmac_f32_e32 v7, v40, v28
	v_fmac_f32_e32 v10, v36, v18
	buffer_gl0_inv
	v_fmac_f32_e32 v7, v42, v29
	v_fmac_f32_e32 v4, v35, v21
	s_delay_alu instid0(VALU_DEP_2) | instskip(SKIP_1) | instid1(VALU_DEP_3)
	v_dual_fmac_f32 v10, v38, v19 :: v_dual_fmac_f32 v7, v32, v30
	v_fmac_f32_e32 v8, v37, v18
	v_fmac_f32_e32 v4, v37, v22
	s_delay_alu instid0(VALU_DEP_3) | instskip(NEXT) | instid1(VALU_DEP_4)
	v_fmac_f32_e32 v10, v40, v24
	v_fmac_f32_e32 v7, v16, v31
	s_delay_alu instid0(VALU_DEP_4) | instskip(NEXT) | instid1(VALU_DEP_4)
	v_fmac_f32_e32 v8, v39, v19
	v_fmac_f32_e32 v4, v39, v23
	s_delay_alu instid0(VALU_DEP_4) | instskip(NEXT) | instid1(VALU_DEP_3)
	v_fmac_f32_e32 v10, v42, v25
	v_fmac_f32_e32 v8, v41, v24
	s_delay_alu instid0(VALU_DEP_3) | instskip(NEXT) | instid1(VALU_DEP_3)
	v_fmac_f32_e32 v4, v41, v28
	v_fmac_f32_e32 v10, v32, v26
	s_delay_alu instid0(VALU_DEP_3) | instskip(NEXT) | instid1(VALU_DEP_3)
	;; [unrolled: 3-line block ×3, first 2 shown]
	v_fmac_f32_e32 v10, v16, v27
	v_fmac_f32_e32 v8, v33, v26
	s_delay_alu instid0(VALU_DEP_3) | instskip(NEXT) | instid1(VALU_DEP_2)
	v_fmac_f32_e32 v4, v33, v30
	v_fmac_f32_e32 v8, v17, v27
	s_delay_alu instid0(VALU_DEP_2)
	v_fmac_f32_e32 v4, v17, v31
	s_cbranch_vccnz .LBB1458_7
.LBB1458_3:                             ; =>This Inner Loop Header: Depth=1
	v_add_co_u32 v16, s10, v11, s8
	s_delay_alu instid0(VALU_DEP_1) | instskip(NEXT) | instid1(VALU_DEP_1)
	v_add_co_ci_u32_e64 v17, null, 0, s9, s10
	v_cmp_gt_i64_e32 vcc_lo, s[16:17], v[16:17]
	v_mov_b32_e32 v16, 0
	s_and_b32 s11, s2, vcc_lo
	s_delay_alu instid0(SALU_CYCLE_1)
	s_and_saveexec_b32 s10, s11
	s_cbranch_execz .LBB1458_5
; %bb.4:                                ;   in Loop: Header=BB1458_3 Depth=1
	global_load_b32 v16, v[0:1], off
.LBB1458_5:                             ;   in Loop: Header=BB1458_3 Depth=1
	s_or_b32 exec_lo, exec_lo, s10
	v_add_co_u32 v17, s10, v9, s8
	s_delay_alu instid0(VALU_DEP_1)
	v_add_co_ci_u32_e64 v18, null, 0, s9, s10
	s_waitcnt vmcnt(0)
	ds_store_b32 v12, v16
	v_cmp_gt_i64_e32 vcc_lo, s[16:17], v[17:18]
	v_mov_b32_e32 v17, 0
	s_and_b32 s11, vcc_lo, s3
	s_delay_alu instid0(SALU_CYCLE_1)
	s_and_saveexec_b32 s10, s11
	s_cbranch_execz .LBB1458_2
; %bb.6:                                ;   in Loop: Header=BB1458_3 Depth=1
	global_load_b32 v17, v[2:3], off
	s_branch .LBB1458_2
.LBB1458_7:
	v_add_nc_u32_e32 v6, s20, v6
	s_clause 0x1
	s_load_b32 s2, s[0:1], 0x10
	s_load_b32 s3, s[0:1], 0x48
	s_delay_alu instid0(VALU_DEP_1)
	v_ashrrev_i32_e32 v0, 31, v6
	v_mul_lo_u32 v3, v6, s7
	v_mad_u64_u32 v[1:2], null, v6, s6, 0
	s_waitcnt lgkmcnt(0)
	v_cmp_gt_i32_e32 vcc_lo, s18, v6
	v_mul_lo_u32 v0, v0, s6
	s_delay_alu instid0(VALU_DEP_1) | instskip(SKIP_1) | instid1(VALU_DEP_2)
	v_add3_u32 v2, v2, v3, v0
	v_add_nc_u32_e32 v0, s19, v5
	v_lshlrev_b64 v[1:2], 2, v[1:2]
	s_delay_alu instid0(VALU_DEP_2) | instskip(NEXT) | instid1(VALU_DEP_1)
	v_cmp_le_i32_e64 s0, v0, v6
	s_and_b32 s0, vcc_lo, s0
	s_delay_alu instid0(VALU_DEP_2) | instskip(NEXT) | instid1(VALU_DEP_1)
	v_add_co_u32 v5, s1, s4, v1
	v_add_co_ci_u32_e64 v9, s1, s5, v2, s1
	s_and_saveexec_b32 s1, s0
	s_cbranch_execz .LBB1458_9
; %bb.8:
	v_ashrrev_i32_e32 v1, 31, v0
	s_delay_alu instid0(VALU_DEP_1) | instskip(NEXT) | instid1(VALU_DEP_1)
	v_lshlrev_b64 v[1:2], 2, v[0:1]
	v_add_co_u32 v1, s0, v5, v1
	s_delay_alu instid0(VALU_DEP_1) | instskip(SKIP_3) | instid1(VALU_DEP_1)
	v_add_co_ci_u32_e64 v2, s0, v9, v2, s0
	global_load_b32 v3, v[1:2], off
	s_waitcnt vmcnt(0)
	v_mul_f32_e32 v3, s3, v3
	v_fmac_f32_e32 v3, s2, v10
	global_store_b32 v[1:2], v3, off
.LBB1458_9:
	s_or_b32 exec_lo, exec_lo, s1
	v_add_nc_u32_e32 v2, 16, v0
	s_delay_alu instid0(VALU_DEP_1) | instskip(NEXT) | instid1(VALU_DEP_1)
	v_cmp_le_i32_e64 s0, v2, v6
	s_and_b32 s1, vcc_lo, s0
	s_delay_alu instid0(SALU_CYCLE_1)
	s_and_saveexec_b32 s0, s1
	s_cbranch_execz .LBB1458_11
; %bb.10:
	v_ashrrev_i32_e32 v3, 31, v2
	s_delay_alu instid0(VALU_DEP_1) | instskip(NEXT) | instid1(VALU_DEP_1)
	v_lshlrev_b64 v[10:11], 2, v[2:3]
	v_add_co_u32 v10, vcc_lo, v5, v10
	s_delay_alu instid0(VALU_DEP_2) | instskip(SKIP_3) | instid1(VALU_DEP_1)
	v_add_co_ci_u32_e32 v11, vcc_lo, v9, v11, vcc_lo
	global_load_b32 v1, v[10:11], off
	s_waitcnt vmcnt(0)
	v_mul_f32_e32 v1, s3, v1
	v_fmac_f32_e32 v1, s2, v8
	global_store_b32 v[10:11], v1, off
.LBB1458_11:
	s_or_b32 exec_lo, exec_lo, s0
	v_add_nc_u32_e32 v3, 16, v6
	s_delay_alu instid0(VALU_DEP_1) | instskip(SKIP_3) | instid1(VALU_DEP_4)
	v_ashrrev_i32_e32 v1, 31, v3
	v_mul_lo_u32 v8, v3, s7
	v_mad_u64_u32 v[5:6], null, v3, s6, 0
	v_cmp_gt_i32_e32 vcc_lo, s18, v3
	v_mul_lo_u32 v1, v1, s6
	v_cmp_le_i32_e64 s0, v0, v3
	s_delay_alu instid0(VALU_DEP_1) | instskip(NEXT) | instid1(VALU_DEP_2)
	s_and_b32 s0, vcc_lo, s0
	v_add3_u32 v6, v6, v8, v1
	s_delay_alu instid0(VALU_DEP_1) | instskip(NEXT) | instid1(VALU_DEP_1)
	v_lshlrev_b64 v[5:6], 2, v[5:6]
	v_add_co_u32 v5, s1, s4, v5
	s_delay_alu instid0(VALU_DEP_1)
	v_add_co_ci_u32_e64 v6, s1, s5, v6, s1
	s_and_saveexec_b32 s1, s0
	s_cbranch_execz .LBB1458_13
; %bb.12:
	v_ashrrev_i32_e32 v1, 31, v0
	s_delay_alu instid0(VALU_DEP_1) | instskip(NEXT) | instid1(VALU_DEP_1)
	v_lshlrev_b64 v[0:1], 2, v[0:1]
	v_add_co_u32 v0, s0, v5, v0
	s_delay_alu instid0(VALU_DEP_1) | instskip(SKIP_3) | instid1(VALU_DEP_1)
	v_add_co_ci_u32_e64 v1, s0, v6, v1, s0
	global_load_b32 v8, v[0:1], off
	s_waitcnt vmcnt(0)
	v_mul_f32_e32 v8, s3, v8
	v_fmac_f32_e32 v8, s2, v7
	global_store_b32 v[0:1], v8, off
.LBB1458_13:
	s_or_b32 exec_lo, exec_lo, s1
	v_cmp_le_i32_e64 s0, v2, v3
	s_delay_alu instid0(VALU_DEP_1) | instskip(NEXT) | instid1(SALU_CYCLE_1)
	s_and_b32 s0, vcc_lo, s0
	s_and_saveexec_b32 s1, s0
	s_cbranch_execz .LBB1458_15
; %bb.14:
	v_ashrrev_i32_e32 v3, 31, v2
	s_delay_alu instid0(VALU_DEP_1) | instskip(NEXT) | instid1(VALU_DEP_1)
	v_lshlrev_b64 v[0:1], 2, v[2:3]
	v_add_co_u32 v0, vcc_lo, v5, v0
	s_delay_alu instid0(VALU_DEP_2) | instskip(SKIP_3) | instid1(VALU_DEP_1)
	v_add_co_ci_u32_e32 v1, vcc_lo, v6, v1, vcc_lo
	global_load_b32 v2, v[0:1], off
	s_waitcnt vmcnt(0)
	v_mul_f32_e32 v2, s3, v2
	v_fmac_f32_e32 v2, s2, v4
	global_store_b32 v[0:1], v2, off
.LBB1458_15:
	s_nop 0
	s_sendmsg sendmsg(MSG_DEALLOC_VGPRS)
	s_endpgm
	.section	.rodata,"a",@progbits
	.p2align	6, 0x0
	.amdhsa_kernel _ZL34rocblas_syrkx_herkx_general_kernelIlfLi16ELi32ELi8ELb0ELb0ELc67ELc85EKPKfKPfEviT_T0_PT8_S5_lS8_S5_lS6_PT9_S5_li
		.amdhsa_group_segment_fixed_size 2048
		.amdhsa_private_segment_fixed_size 0
		.amdhsa_kernarg_size 108
		.amdhsa_user_sgpr_count 13
		.amdhsa_user_sgpr_dispatch_ptr 0
		.amdhsa_user_sgpr_queue_ptr 0
		.amdhsa_user_sgpr_kernarg_segment_ptr 1
		.amdhsa_user_sgpr_dispatch_id 0
		.amdhsa_user_sgpr_private_segment_size 0
		.amdhsa_wavefront_size32 1
		.amdhsa_uses_dynamic_stack 0
		.amdhsa_enable_private_segment 0
		.amdhsa_system_sgpr_workgroup_id_x 1
		.amdhsa_system_sgpr_workgroup_id_y 1
		.amdhsa_system_sgpr_workgroup_id_z 1
		.amdhsa_system_sgpr_workgroup_info 0
		.amdhsa_system_vgpr_workitem_id 1
		.amdhsa_next_free_vgpr 44
		.amdhsa_next_free_sgpr 21
		.amdhsa_reserve_vcc 1
		.amdhsa_float_round_mode_32 0
		.amdhsa_float_round_mode_16_64 0
		.amdhsa_float_denorm_mode_32 3
		.amdhsa_float_denorm_mode_16_64 3
		.amdhsa_dx10_clamp 1
		.amdhsa_ieee_mode 1
		.amdhsa_fp16_overflow 0
		.amdhsa_workgroup_processor_mode 1
		.amdhsa_memory_ordered 1
		.amdhsa_forward_progress 0
		.amdhsa_shared_vgpr_count 0
		.amdhsa_exception_fp_ieee_invalid_op 0
		.amdhsa_exception_fp_denorm_src 0
		.amdhsa_exception_fp_ieee_div_zero 0
		.amdhsa_exception_fp_ieee_overflow 0
		.amdhsa_exception_fp_ieee_underflow 0
		.amdhsa_exception_fp_ieee_inexact 0
		.amdhsa_exception_int_div_zero 0
	.end_amdhsa_kernel
	.section	.text._ZL34rocblas_syrkx_herkx_general_kernelIlfLi16ELi32ELi8ELb0ELb0ELc67ELc85EKPKfKPfEviT_T0_PT8_S5_lS8_S5_lS6_PT9_S5_li,"axG",@progbits,_ZL34rocblas_syrkx_herkx_general_kernelIlfLi16ELi32ELi8ELb0ELb0ELc67ELc85EKPKfKPfEviT_T0_PT8_S5_lS8_S5_lS6_PT9_S5_li,comdat
.Lfunc_end1458:
	.size	_ZL34rocblas_syrkx_herkx_general_kernelIlfLi16ELi32ELi8ELb0ELb0ELc67ELc85EKPKfKPfEviT_T0_PT8_S5_lS8_S5_lS6_PT9_S5_li, .Lfunc_end1458-_ZL34rocblas_syrkx_herkx_general_kernelIlfLi16ELi32ELi8ELb0ELb0ELc67ELc85EKPKfKPfEviT_T0_PT8_S5_lS8_S5_lS6_PT9_S5_li
                                        ; -- End function
	.section	.AMDGPU.csdata,"",@progbits
; Kernel info:
; codeLenInByte = 1528
; NumSgprs: 23
; NumVgprs: 44
; ScratchSize: 0
; MemoryBound: 0
; FloatMode: 240
; IeeeMode: 1
; LDSByteSize: 2048 bytes/workgroup (compile time only)
; SGPRBlocks: 2
; VGPRBlocks: 5
; NumSGPRsForWavesPerEU: 23
; NumVGPRsForWavesPerEU: 44
; Occupancy: 16
; WaveLimiterHint : 1
; COMPUTE_PGM_RSRC2:SCRATCH_EN: 0
; COMPUTE_PGM_RSRC2:USER_SGPR: 13
; COMPUTE_PGM_RSRC2:TRAP_HANDLER: 0
; COMPUTE_PGM_RSRC2:TGID_X_EN: 1
; COMPUTE_PGM_RSRC2:TGID_Y_EN: 1
; COMPUTE_PGM_RSRC2:TGID_Z_EN: 1
; COMPUTE_PGM_RSRC2:TIDIG_COMP_CNT: 1
	.section	.text._ZL34rocblas_syrkx_herkx_general_kernelIlfLi16ELi32ELi8ELb0ELb0ELc78ELc85EKPKfKPfEviT_T0_PT8_S5_lS8_S5_lS6_PT9_S5_li,"axG",@progbits,_ZL34rocblas_syrkx_herkx_general_kernelIlfLi16ELi32ELi8ELb0ELb0ELc78ELc85EKPKfKPfEviT_T0_PT8_S5_lS8_S5_lS6_PT9_S5_li,comdat
	.globl	_ZL34rocblas_syrkx_herkx_general_kernelIlfLi16ELi32ELi8ELb0ELb0ELc78ELc85EKPKfKPfEviT_T0_PT8_S5_lS8_S5_lS6_PT9_S5_li ; -- Begin function _ZL34rocblas_syrkx_herkx_general_kernelIlfLi16ELi32ELi8ELb0ELb0ELc78ELc85EKPKfKPfEviT_T0_PT8_S5_lS8_S5_lS6_PT9_S5_li
	.p2align	8
	.type	_ZL34rocblas_syrkx_herkx_general_kernelIlfLi16ELi32ELi8ELb0ELb0ELc78ELc85EKPKfKPfEviT_T0_PT8_S5_lS8_S5_lS6_PT9_S5_li,@function
_ZL34rocblas_syrkx_herkx_general_kernelIlfLi16ELi32ELi8ELb0ELb0ELc78ELc85EKPKfKPfEviT_T0_PT8_S5_lS8_S5_lS6_PT9_S5_li: ; @_ZL34rocblas_syrkx_herkx_general_kernelIlfLi16ELi32ELi8ELb0ELb0ELc78ELc85EKPKfKPfEviT_T0_PT8_S5_lS8_S5_lS6_PT9_S5_li
; %bb.0:
	s_clause 0x1
	s_load_b128 s[4:7], s[0:1], 0x50
	s_load_b64 s[16:17], s[0:1], 0x8
	s_mov_b32 s2, s15
	s_mov_b32 s3, 0
	v_dual_mov_b32 v8, 0 :: v_dual_and_b32 v5, 0x3ff, v0
	s_lshl_b64 s[18:19], s[2:3], 3
	v_bfe_u32 v6, v0, 10, 10
	v_dual_mov_b32 v13, 0 :: v_dual_mov_b32 v4, 0
	v_mov_b32_e32 v7, 0
	s_waitcnt lgkmcnt(0)
	s_add_u32 s2, s4, s18
	s_addc_u32 s3, s5, s19
	s_load_b32 s20, s[0:1], 0x0
	s_load_b64 s[4:5], s[2:3], 0x0
	v_cmp_lt_i64_e64 s2, s[16:17], 1
	s_lshl_b32 s21, s13, 5
	s_lshl_b32 s22, s14, 5
	s_delay_alu instid0(VALU_DEP_1)
	s_and_b32 vcc_lo, exec_lo, s2
	s_cbranch_vccnz .LBB1459_7
; %bb.1:
	s_clause 0x1
	s_load_b128 s[8:11], s[0:1], 0x18
	s_load_b128 s[12:15], s[0:1], 0x30
	v_lshl_add_u32 v0, v6, 4, v5
	v_dual_mov_b32 v4, 0 :: v_dual_and_b32 v9, 7, v5
	v_lshl_add_u32 v11, v6, 5, 0x400
	s_delay_alu instid0(VALU_DEP_3) | instskip(SKIP_2) | instid1(VALU_DEP_2)
	v_lshrrev_b32_e32 v12, 5, v0
	v_lshrrev_b32_e32 v1, 3, v0
	v_and_b32_e32 v13, 31, v0
	v_add_nc_u32_e32 v0, s22, v1
	s_waitcnt lgkmcnt(0)
	v_mad_u64_u32 v[2:3], null, s10, v12, 0
	v_mad_u64_u32 v[7:8], null, s14, v9, 0
	v_lshlrev_b32_e32 v14, 2, v9
	v_lshlrev_b32_e32 v10, 2, v5
	s_add_u32 s12, s12, s18
	s_addc_u32 s13, s13, s19
	s_add_u32 s8, s8, s18
	v_lshl_or_b32 v20, v1, 5, v14
	v_mov_b32_e32 v1, v3
	v_mov_b32_e32 v3, v8
	s_addc_u32 s9, s9, s19
	s_load_b64 s[12:13], s[12:13], 0x0
	s_load_b64 s[8:9], s[8:9], 0x0
	s_delay_alu instid0(VALU_DEP_1) | instskip(NEXT) | instid1(VALU_DEP_1)
	v_mad_u64_u32 v[17:18], null, s15, v9, v[3:4]
	v_mov_b32_e32 v8, v17
	v_or_b32_e32 v16, s21, v13
	v_add_nc_u32_e32 v15, s21, v13
	v_lshlrev_b32_e32 v19, 2, v13
	v_mad_u64_u32 v[13:14], null, s11, v12, v[1:2]
	s_delay_alu instid0(VALU_DEP_4) | instskip(NEXT) | instid1(VALU_DEP_4)
	v_cmp_gt_i32_e64 s2, s20, v16
	v_ashrrev_i32_e32 v16, 31, v15
	s_delay_alu instid0(VALU_DEP_4)
	v_lshl_or_b32 v14, v12, 7, v19
	v_lshlrev_b64 v[7:8], 2, v[7:8]
	v_mov_b32_e32 v3, v13
	v_ashrrev_i32_e32 v1, 31, v0
	v_lshlrev_b64 v[18:19], 2, v[15:16]
	v_cmp_gt_i32_e64 s3, s20, v0
	v_add_nc_u32_e32 v15, 0x400, v20
	v_lshlrev_b64 v[2:3], 2, v[2:3]
	v_lshlrev_b64 v[0:1], 2, v[0:1]
	v_mov_b32_e32 v13, 0
	s_delay_alu instid0(VALU_DEP_3) | instskip(NEXT) | instid1(VALU_DEP_4)
	v_add_co_u32 v2, vcc_lo, v2, v18
	v_add_co_ci_u32_e32 v3, vcc_lo, v3, v19, vcc_lo
	s_delay_alu instid0(VALU_DEP_4)
	v_add_co_u32 v7, vcc_lo, v7, v0
	v_add_co_ci_u32_e32 v8, vcc_lo, v8, v1, vcc_lo
	s_waitcnt lgkmcnt(0)
	v_add_co_u32 v0, vcc_lo, s8, v2
	v_add_co_ci_u32_e32 v1, vcc_lo, s9, v3, vcc_lo
	v_add_co_u32 v2, vcc_lo, s12, v7
	v_add_co_ci_u32_e32 v3, vcc_lo, s13, v8, vcc_lo
	v_dual_mov_b32 v8, 0 :: v_dual_mov_b32 v7, 0
	s_lshl_b64 s[8:9], s[10:11], 5
	s_lshl_b64 s[10:11], s[14:15], 5
	s_mov_b64 s[12:13], 0
	s_branch .LBB1459_3
.LBB1459_2:                             ;   in Loop: Header=BB1459_3 Depth=1
	s_or_b32 exec_lo, exec_lo, s14
	s_waitcnt vmcnt(0)
	ds_store_b32 v15, v17
	s_waitcnt lgkmcnt(0)
	s_barrier
	buffer_gl0_inv
	ds_load_2addr_b32 v[32:33], v10 offset1:16
	ds_load_b128 v[16:19], v11
	ds_load_b128 v[20:23], v11 offset:512
	ds_load_2addr_b32 v[34:35], v10 offset0:32 offset1:48
	ds_load_2addr_b32 v[36:37], v10 offset0:64 offset1:80
	;; [unrolled: 1-line block ×3, first 2 shown]
	ds_load_b128 v[24:27], v11 offset:16
	ds_load_2addr_b32 v[40:41], v10 offset0:128 offset1:144
	ds_load_b128 v[28:31], v11 offset:528
	ds_load_2addr_b32 v[42:43], v10 offset0:160 offset1:176
	s_add_u32 s12, s12, 8
	s_addc_u32 s13, s13, 0
	v_add_co_u32 v0, vcc_lo, v0, s8
	v_cmp_ge_i64_e64 s14, s[12:13], s[16:17]
	v_add_co_ci_u32_e32 v1, vcc_lo, s9, v1, vcc_lo
	v_add_co_u32 v2, vcc_lo, v2, s10
	v_add_co_ci_u32_e32 v3, vcc_lo, s11, v3, vcc_lo
	s_waitcnt lgkmcnt(8)
	v_fmac_f32_e32 v8, v33, v16
	v_fmac_f32_e32 v13, v32, v16
	s_waitcnt lgkmcnt(7)
	v_fmac_f32_e32 v4, v33, v20
	v_fmac_f32_e32 v7, v32, v20
	ds_load_2addr_b32 v[32:33], v10 offset0:192 offset1:208
	s_waitcnt lgkmcnt(7)
	v_fmac_f32_e32 v8, v35, v17
	v_fmac_f32_e32 v13, v34, v17
	;; [unrolled: 1-line block ×4, first 2 shown]
	ds_load_2addr_b32 v[16:17], v10 offset0:224 offset1:240
	s_waitcnt lgkmcnt(7)
	v_fmac_f32_e32 v8, v37, v18
	v_fmac_f32_e32 v13, v36, v18
	;; [unrolled: 1-line block ×4, first 2 shown]
	s_and_b32 vcc_lo, exec_lo, s14
	s_waitcnt lgkmcnt(6)
	v_fmac_f32_e32 v8, v39, v19
	v_fmac_f32_e32 v13, v38, v19
	;; [unrolled: 1-line block ×4, first 2 shown]
	s_waitcnt lgkmcnt(0)
	v_fmac_f32_e32 v8, v41, v24
	v_fmac_f32_e32 v13, v40, v24
	v_fmac_f32_e32 v4, v41, v28
	v_fmac_f32_e32 v7, v40, v28
	s_barrier
	v_fmac_f32_e32 v8, v43, v25
	v_fmac_f32_e32 v13, v42, v25
	;; [unrolled: 1-line block ×4, first 2 shown]
	buffer_gl0_inv
	v_fmac_f32_e32 v8, v33, v26
	v_fmac_f32_e32 v13, v32, v26
	;; [unrolled: 1-line block ×3, first 2 shown]
	s_delay_alu instid0(VALU_DEP_3) | instskip(NEXT) | instid1(VALU_DEP_3)
	v_dual_fmac_f32 v7, v32, v30 :: v_dual_fmac_f32 v8, v17, v27
	v_fmac_f32_e32 v13, v16, v27
	s_delay_alu instid0(VALU_DEP_3) | instskip(NEXT) | instid1(VALU_DEP_3)
	v_fmac_f32_e32 v4, v17, v31
	v_fmac_f32_e32 v7, v16, v31
	s_cbranch_vccnz .LBB1459_7
.LBB1459_3:                             ; =>This Inner Loop Header: Depth=1
	v_add_co_u32 v16, s14, v12, s12
	s_delay_alu instid0(VALU_DEP_1) | instskip(NEXT) | instid1(VALU_DEP_1)
	v_add_co_ci_u32_e64 v17, null, 0, s13, s14
	v_cmp_gt_i64_e32 vcc_lo, s[16:17], v[16:17]
	v_mov_b32_e32 v16, 0
	s_and_b32 s15, s2, vcc_lo
	s_delay_alu instid0(SALU_CYCLE_1)
	s_and_saveexec_b32 s14, s15
	s_cbranch_execz .LBB1459_5
; %bb.4:                                ;   in Loop: Header=BB1459_3 Depth=1
	global_load_b32 v16, v[0:1], off
.LBB1459_5:                             ;   in Loop: Header=BB1459_3 Depth=1
	s_or_b32 exec_lo, exec_lo, s14
	v_add_co_u32 v17, s14, v9, s12
	s_delay_alu instid0(VALU_DEP_1)
	v_add_co_ci_u32_e64 v18, null, 0, s13, s14
	s_waitcnt vmcnt(0)
	ds_store_b32 v14, v16
	v_cmp_gt_i64_e32 vcc_lo, s[16:17], v[17:18]
	v_mov_b32_e32 v17, 0
	s_and_b32 s15, vcc_lo, s3
	s_delay_alu instid0(SALU_CYCLE_1)
	s_and_saveexec_b32 s14, s15
	s_cbranch_execz .LBB1459_2
; %bb.6:                                ;   in Loop: Header=BB1459_3 Depth=1
	global_load_b32 v17, v[2:3], off
	s_branch .LBB1459_2
.LBB1459_7:
	v_add_nc_u32_e32 v6, s22, v6
	s_clause 0x1
	s_load_b32 s2, s[0:1], 0x10
	s_load_b32 s3, s[0:1], 0x48
	s_delay_alu instid0(VALU_DEP_1)
	v_ashrrev_i32_e32 v0, 31, v6
	v_mul_lo_u32 v3, v6, s7
	v_mad_u64_u32 v[1:2], null, v6, s6, 0
	s_waitcnt lgkmcnt(0)
	v_cmp_gt_i32_e32 vcc_lo, s20, v6
	v_mul_lo_u32 v0, v0, s6
	s_delay_alu instid0(VALU_DEP_1) | instskip(SKIP_1) | instid1(VALU_DEP_2)
	v_add3_u32 v2, v2, v3, v0
	v_add_nc_u32_e32 v0, s21, v5
	v_lshlrev_b64 v[1:2], 2, v[1:2]
	s_delay_alu instid0(VALU_DEP_2) | instskip(NEXT) | instid1(VALU_DEP_1)
	v_cmp_le_i32_e64 s0, v0, v6
	s_and_b32 s0, vcc_lo, s0
	s_delay_alu instid0(VALU_DEP_2) | instskip(NEXT) | instid1(VALU_DEP_1)
	v_add_co_u32 v5, s1, s4, v1
	v_add_co_ci_u32_e64 v9, s1, s5, v2, s1
	s_and_saveexec_b32 s1, s0
	s_cbranch_execz .LBB1459_9
; %bb.8:
	v_ashrrev_i32_e32 v1, 31, v0
	s_delay_alu instid0(VALU_DEP_1) | instskip(NEXT) | instid1(VALU_DEP_1)
	v_lshlrev_b64 v[1:2], 2, v[0:1]
	v_add_co_u32 v1, s0, v5, v1
	s_delay_alu instid0(VALU_DEP_1) | instskip(SKIP_3) | instid1(VALU_DEP_1)
	v_add_co_ci_u32_e64 v2, s0, v9, v2, s0
	global_load_b32 v3, v[1:2], off
	s_waitcnt vmcnt(0)
	v_mul_f32_e32 v3, s3, v3
	v_fmac_f32_e32 v3, s2, v13
	global_store_b32 v[1:2], v3, off
.LBB1459_9:
	s_or_b32 exec_lo, exec_lo, s1
	v_add_nc_u32_e32 v2, 16, v0
	s_delay_alu instid0(VALU_DEP_1) | instskip(NEXT) | instid1(VALU_DEP_1)
	v_cmp_le_i32_e64 s0, v2, v6
	s_and_b32 s1, vcc_lo, s0
	s_delay_alu instid0(SALU_CYCLE_1)
	s_and_saveexec_b32 s0, s1
	s_cbranch_execz .LBB1459_11
; %bb.10:
	v_ashrrev_i32_e32 v3, 31, v2
	s_delay_alu instid0(VALU_DEP_1) | instskip(NEXT) | instid1(VALU_DEP_1)
	v_lshlrev_b64 v[10:11], 2, v[2:3]
	v_add_co_u32 v10, vcc_lo, v5, v10
	s_delay_alu instid0(VALU_DEP_2) | instskip(SKIP_3) | instid1(VALU_DEP_1)
	v_add_co_ci_u32_e32 v11, vcc_lo, v9, v11, vcc_lo
	global_load_b32 v1, v[10:11], off
	s_waitcnt vmcnt(0)
	v_mul_f32_e32 v1, s3, v1
	v_fmac_f32_e32 v1, s2, v8
	global_store_b32 v[10:11], v1, off
.LBB1459_11:
	s_or_b32 exec_lo, exec_lo, s0
	v_add_nc_u32_e32 v3, 16, v6
	s_delay_alu instid0(VALU_DEP_1) | instskip(SKIP_3) | instid1(VALU_DEP_4)
	v_ashrrev_i32_e32 v1, 31, v3
	v_mul_lo_u32 v8, v3, s7
	v_mad_u64_u32 v[5:6], null, v3, s6, 0
	v_cmp_gt_i32_e32 vcc_lo, s20, v3
	v_mul_lo_u32 v1, v1, s6
	v_cmp_le_i32_e64 s0, v0, v3
	s_delay_alu instid0(VALU_DEP_1) | instskip(NEXT) | instid1(VALU_DEP_2)
	s_and_b32 s0, vcc_lo, s0
	v_add3_u32 v6, v6, v8, v1
	s_delay_alu instid0(VALU_DEP_1) | instskip(NEXT) | instid1(VALU_DEP_1)
	v_lshlrev_b64 v[5:6], 2, v[5:6]
	v_add_co_u32 v5, s1, s4, v5
	s_delay_alu instid0(VALU_DEP_1)
	v_add_co_ci_u32_e64 v6, s1, s5, v6, s1
	s_and_saveexec_b32 s1, s0
	s_cbranch_execz .LBB1459_13
; %bb.12:
	v_ashrrev_i32_e32 v1, 31, v0
	s_delay_alu instid0(VALU_DEP_1) | instskip(NEXT) | instid1(VALU_DEP_1)
	v_lshlrev_b64 v[0:1], 2, v[0:1]
	v_add_co_u32 v0, s0, v5, v0
	s_delay_alu instid0(VALU_DEP_1) | instskip(SKIP_3) | instid1(VALU_DEP_1)
	v_add_co_ci_u32_e64 v1, s0, v6, v1, s0
	global_load_b32 v8, v[0:1], off
	s_waitcnt vmcnt(0)
	v_mul_f32_e32 v8, s3, v8
	v_fmac_f32_e32 v8, s2, v7
	global_store_b32 v[0:1], v8, off
.LBB1459_13:
	s_or_b32 exec_lo, exec_lo, s1
	v_cmp_le_i32_e64 s0, v2, v3
	s_delay_alu instid0(VALU_DEP_1) | instskip(NEXT) | instid1(SALU_CYCLE_1)
	s_and_b32 s0, vcc_lo, s0
	s_and_saveexec_b32 s1, s0
	s_cbranch_execz .LBB1459_15
; %bb.14:
	v_ashrrev_i32_e32 v3, 31, v2
	s_delay_alu instid0(VALU_DEP_1) | instskip(NEXT) | instid1(VALU_DEP_1)
	v_lshlrev_b64 v[0:1], 2, v[2:3]
	v_add_co_u32 v0, vcc_lo, v5, v0
	s_delay_alu instid0(VALU_DEP_2) | instskip(SKIP_3) | instid1(VALU_DEP_1)
	v_add_co_ci_u32_e32 v1, vcc_lo, v6, v1, vcc_lo
	global_load_b32 v2, v[0:1], off
	s_waitcnt vmcnt(0)
	v_mul_f32_e32 v2, s3, v2
	v_fmac_f32_e32 v2, s2, v4
	global_store_b32 v[0:1], v2, off
.LBB1459_15:
	s_nop 0
	s_sendmsg sendmsg(MSG_DEALLOC_VGPRS)
	s_endpgm
	.section	.rodata,"a",@progbits
	.p2align	6, 0x0
	.amdhsa_kernel _ZL34rocblas_syrkx_herkx_general_kernelIlfLi16ELi32ELi8ELb0ELb0ELc78ELc85EKPKfKPfEviT_T0_PT8_S5_lS8_S5_lS6_PT9_S5_li
		.amdhsa_group_segment_fixed_size 2048
		.amdhsa_private_segment_fixed_size 0
		.amdhsa_kernarg_size 108
		.amdhsa_user_sgpr_count 13
		.amdhsa_user_sgpr_dispatch_ptr 0
		.amdhsa_user_sgpr_queue_ptr 0
		.amdhsa_user_sgpr_kernarg_segment_ptr 1
		.amdhsa_user_sgpr_dispatch_id 0
		.amdhsa_user_sgpr_private_segment_size 0
		.amdhsa_wavefront_size32 1
		.amdhsa_uses_dynamic_stack 0
		.amdhsa_enable_private_segment 0
		.amdhsa_system_sgpr_workgroup_id_x 1
		.amdhsa_system_sgpr_workgroup_id_y 1
		.amdhsa_system_sgpr_workgroup_id_z 1
		.amdhsa_system_sgpr_workgroup_info 0
		.amdhsa_system_vgpr_workitem_id 1
		.amdhsa_next_free_vgpr 44
		.amdhsa_next_free_sgpr 23
		.amdhsa_reserve_vcc 1
		.amdhsa_float_round_mode_32 0
		.amdhsa_float_round_mode_16_64 0
		.amdhsa_float_denorm_mode_32 3
		.amdhsa_float_denorm_mode_16_64 3
		.amdhsa_dx10_clamp 1
		.amdhsa_ieee_mode 1
		.amdhsa_fp16_overflow 0
		.amdhsa_workgroup_processor_mode 1
		.amdhsa_memory_ordered 1
		.amdhsa_forward_progress 0
		.amdhsa_shared_vgpr_count 0
		.amdhsa_exception_fp_ieee_invalid_op 0
		.amdhsa_exception_fp_denorm_src 0
		.amdhsa_exception_fp_ieee_div_zero 0
		.amdhsa_exception_fp_ieee_overflow 0
		.amdhsa_exception_fp_ieee_underflow 0
		.amdhsa_exception_fp_ieee_inexact 0
		.amdhsa_exception_int_div_zero 0
	.end_amdhsa_kernel
	.section	.text._ZL34rocblas_syrkx_herkx_general_kernelIlfLi16ELi32ELi8ELb0ELb0ELc78ELc85EKPKfKPfEviT_T0_PT8_S5_lS8_S5_lS6_PT9_S5_li,"axG",@progbits,_ZL34rocblas_syrkx_herkx_general_kernelIlfLi16ELi32ELi8ELb0ELb0ELc78ELc85EKPKfKPfEviT_T0_PT8_S5_lS8_S5_lS6_PT9_S5_li,comdat
.Lfunc_end1459:
	.size	_ZL34rocblas_syrkx_herkx_general_kernelIlfLi16ELi32ELi8ELb0ELb0ELc78ELc85EKPKfKPfEviT_T0_PT8_S5_lS8_S5_lS6_PT9_S5_li, .Lfunc_end1459-_ZL34rocblas_syrkx_herkx_general_kernelIlfLi16ELi32ELi8ELb0ELb0ELc78ELc85EKPKfKPfEviT_T0_PT8_S5_lS8_S5_lS6_PT9_S5_li
                                        ; -- End function
	.section	.AMDGPU.csdata,"",@progbits
; Kernel info:
; codeLenInByte = 1508
; NumSgprs: 25
; NumVgprs: 44
; ScratchSize: 0
; MemoryBound: 0
; FloatMode: 240
; IeeeMode: 1
; LDSByteSize: 2048 bytes/workgroup (compile time only)
; SGPRBlocks: 3
; VGPRBlocks: 5
; NumSGPRsForWavesPerEU: 25
; NumVGPRsForWavesPerEU: 44
; Occupancy: 16
; WaveLimiterHint : 1
; COMPUTE_PGM_RSRC2:SCRATCH_EN: 0
; COMPUTE_PGM_RSRC2:USER_SGPR: 13
; COMPUTE_PGM_RSRC2:TRAP_HANDLER: 0
; COMPUTE_PGM_RSRC2:TGID_X_EN: 1
; COMPUTE_PGM_RSRC2:TGID_Y_EN: 1
; COMPUTE_PGM_RSRC2:TGID_Z_EN: 1
; COMPUTE_PGM_RSRC2:TIDIG_COMP_CNT: 1
	.section	.text._ZL26rocblas_syr2k_scale_kernelIlLi128ELi8ELb0EffPKPfEvbiT_T3_T4_T5_S3_li,"axG",@progbits,_ZL26rocblas_syr2k_scale_kernelIlLi128ELi8ELb0EffPKPfEvbiT_T3_T4_T5_S3_li,comdat
	.globl	_ZL26rocblas_syr2k_scale_kernelIlLi128ELi8ELb0EffPKPfEvbiT_T3_T4_T5_S3_li ; -- Begin function _ZL26rocblas_syr2k_scale_kernelIlLi128ELi8ELb0EffPKPfEvbiT_T3_T4_T5_S3_li
	.p2align	8
	.type	_ZL26rocblas_syr2k_scale_kernelIlLi128ELi8ELb0EffPKPfEvbiT_T3_T4_T5_S3_li,@function
_ZL26rocblas_syr2k_scale_kernelIlLi128ELi8ELb0EffPKPfEvbiT_T3_T4_T5_S3_li: ; @_ZL26rocblas_syr2k_scale_kernelIlLi128ELi8ELb0EffPKPfEvbiT_T3_T4_T5_S3_li
; %bb.0:
	s_load_b32 s3, s[0:1], 0x14
	s_waitcnt lgkmcnt(0)
	v_cmp_eq_f32_e64 s2, s3, 1.0
	s_delay_alu instid0(VALU_DEP_1)
	s_and_b32 vcc_lo, exec_lo, s2
	s_cbranch_vccnz .LBB1460_5
; %bb.1:
	s_clause 0x1
	s_load_b64 s[6:7], s[0:1], 0x0
	s_load_b32 s2, s[0:1], 0x44
	v_and_b32_e32 v2, 0x3ff, v0
	v_bfe_u32 v3, v0, 10, 10
	s_waitcnt lgkmcnt(0)
	s_bitcmp1_b32 s6, 0
	s_cselect_b32 vcc_lo, -1, 0
	s_lshr_b32 s5, s2, 16
	s_and_b32 s2, s2, 0xffff
	s_delay_alu instid0(SALU_CYCLE_1) | instskip(SKIP_1) | instid1(VALU_DEP_1)
	v_mad_u64_u32 v[0:1], null, s13, s2, v[2:3]
	v_mad_u64_u32 v[1:2], null, s14, s5, v[3:4]
	v_cndmask_b32_e32 v2, v1, v0, vcc_lo
	v_max_u32_e32 v3, v0, v1
	v_cndmask_b32_e32 v4, v0, v1, vcc_lo
	s_delay_alu instid0(VALU_DEP_2) | instskip(NEXT) | instid1(VALU_DEP_2)
	v_cmp_gt_u32_e32 vcc_lo, s7, v3
	v_cmp_le_i32_e64 s2, v2, v4
	s_delay_alu instid0(VALU_DEP_1) | instskip(NEXT) | instid1(SALU_CYCLE_1)
	s_and_b32 s2, vcc_lo, s2
	s_and_saveexec_b32 s5, s2
	s_cbranch_execz .LBB1460_5
; %bb.2:
	s_clause 0x1
	s_load_b128 s[8:11], s[0:1], 0x18
	s_load_b64 s[0:1], s[0:1], 0x28
	s_mov_b32 s4, s15
	s_mov_b32 s5, 0
	s_delay_alu instid0(SALU_CYCLE_1)
	s_lshl_b64 s[4:5], s[4:5], 3
	s_waitcnt lgkmcnt(0)
	v_mad_u64_u32 v[2:3], null, v1, s10, 0
	s_add_u32 s4, s8, s4
	s_addc_u32 s5, s9, s5
	s_lshl_b64 s[0:1], s[0:1], 2
	s_load_b64 s[4:5], s[4:5], 0x0
	s_delay_alu instid0(VALU_DEP_1) | instskip(SKIP_1) | instid1(VALU_DEP_2)
	v_mad_u64_u32 v[4:5], null, v1, s11, v[3:4]
	v_mov_b32_e32 v1, 0
	v_mov_b32_e32 v3, v4
	s_delay_alu instid0(VALU_DEP_2) | instskip(NEXT) | instid1(VALU_DEP_2)
	v_lshlrev_b64 v[4:5], 2, v[0:1]
	v_lshlrev_b64 v[2:3], 2, v[2:3]
	s_waitcnt lgkmcnt(0)
	s_add_u32 s0, s4, s0
	s_addc_u32 s1, s5, s1
	s_delay_alu instid0(VALU_DEP_1) | instskip(NEXT) | instid1(VALU_DEP_2)
	v_add_co_u32 v0, vcc_lo, s0, v2
	v_add_co_ci_u32_e32 v3, vcc_lo, s1, v3, vcc_lo
	v_cmp_eq_f32_e64 s0, s3, 0
	s_delay_alu instid0(VALU_DEP_3) | instskip(NEXT) | instid1(VALU_DEP_3)
	v_add_co_u32 v2, vcc_lo, v0, v4
	v_add_co_ci_u32_e32 v3, vcc_lo, v3, v5, vcc_lo
	s_delay_alu instid0(VALU_DEP_3)
	s_and_b32 vcc_lo, exec_lo, s0
	s_cbranch_vccnz .LBB1460_4
; %bb.3:
	global_load_b32 v0, v[2:3], off
	s_waitcnt vmcnt(0)
	v_mul_f32_e32 v1, s3, v0
.LBB1460_4:
	global_store_b32 v[2:3], v1, off
.LBB1460_5:
	s_nop 0
	s_sendmsg sendmsg(MSG_DEALLOC_VGPRS)
	s_endpgm
	.section	.rodata,"a",@progbits
	.p2align	6, 0x0
	.amdhsa_kernel _ZL26rocblas_syr2k_scale_kernelIlLi128ELi8ELb0EffPKPfEvbiT_T3_T4_T5_S3_li
		.amdhsa_group_segment_fixed_size 0
		.amdhsa_private_segment_fixed_size 0
		.amdhsa_kernarg_size 312
		.amdhsa_user_sgpr_count 13
		.amdhsa_user_sgpr_dispatch_ptr 0
		.amdhsa_user_sgpr_queue_ptr 0
		.amdhsa_user_sgpr_kernarg_segment_ptr 1
		.amdhsa_user_sgpr_dispatch_id 0
		.amdhsa_user_sgpr_private_segment_size 0
		.amdhsa_wavefront_size32 1
		.amdhsa_uses_dynamic_stack 0
		.amdhsa_enable_private_segment 0
		.amdhsa_system_sgpr_workgroup_id_x 1
		.amdhsa_system_sgpr_workgroup_id_y 1
		.amdhsa_system_sgpr_workgroup_id_z 1
		.amdhsa_system_sgpr_workgroup_info 0
		.amdhsa_system_vgpr_workitem_id 1
		.amdhsa_next_free_vgpr 6
		.amdhsa_next_free_sgpr 16
		.amdhsa_reserve_vcc 1
		.amdhsa_float_round_mode_32 0
		.amdhsa_float_round_mode_16_64 0
		.amdhsa_float_denorm_mode_32 3
		.amdhsa_float_denorm_mode_16_64 3
		.amdhsa_dx10_clamp 1
		.amdhsa_ieee_mode 1
		.amdhsa_fp16_overflow 0
		.amdhsa_workgroup_processor_mode 1
		.amdhsa_memory_ordered 1
		.amdhsa_forward_progress 0
		.amdhsa_shared_vgpr_count 0
		.amdhsa_exception_fp_ieee_invalid_op 0
		.amdhsa_exception_fp_denorm_src 0
		.amdhsa_exception_fp_ieee_div_zero 0
		.amdhsa_exception_fp_ieee_overflow 0
		.amdhsa_exception_fp_ieee_underflow 0
		.amdhsa_exception_fp_ieee_inexact 0
		.amdhsa_exception_int_div_zero 0
	.end_amdhsa_kernel
	.section	.text._ZL26rocblas_syr2k_scale_kernelIlLi128ELi8ELb0EffPKPfEvbiT_T3_T4_T5_S3_li,"axG",@progbits,_ZL26rocblas_syr2k_scale_kernelIlLi128ELi8ELb0EffPKPfEvbiT_T3_T4_T5_S3_li,comdat
.Lfunc_end1460:
	.size	_ZL26rocblas_syr2k_scale_kernelIlLi128ELi8ELb0EffPKPfEvbiT_T3_T4_T5_S3_li, .Lfunc_end1460-_ZL26rocblas_syr2k_scale_kernelIlLi128ELi8ELb0EffPKPfEvbiT_T3_T4_T5_S3_li
                                        ; -- End function
	.section	.AMDGPU.csdata,"",@progbits
; Kernel info:
; codeLenInByte = 364
; NumSgprs: 18
; NumVgprs: 6
; ScratchSize: 0
; MemoryBound: 0
; FloatMode: 240
; IeeeMode: 1
; LDSByteSize: 0 bytes/workgroup (compile time only)
; SGPRBlocks: 2
; VGPRBlocks: 0
; NumSGPRsForWavesPerEU: 18
; NumVGPRsForWavesPerEU: 6
; Occupancy: 16
; WaveLimiterHint : 1
; COMPUTE_PGM_RSRC2:SCRATCH_EN: 0
; COMPUTE_PGM_RSRC2:USER_SGPR: 13
; COMPUTE_PGM_RSRC2:TRAP_HANDLER: 0
; COMPUTE_PGM_RSRC2:TGID_X_EN: 1
; COMPUTE_PGM_RSRC2:TGID_Y_EN: 1
; COMPUTE_PGM_RSRC2:TGID_Z_EN: 1
; COMPUTE_PGM_RSRC2:TIDIG_COMP_CNT: 1
	.section	.text._ZL26rocblas_syr2k_her2k_kernelIlLb0ELb0ELb0ELi32EPKfPKS1_PKPfEvbiT_T4_T5_S7_lS9_S7_lT6_S7_li,"axG",@progbits,_ZL26rocblas_syr2k_her2k_kernelIlLb0ELb0ELb0ELi32EPKfPKS1_PKPfEvbiT_T4_T5_S7_lS9_S7_lT6_S7_li,comdat
	.globl	_ZL26rocblas_syr2k_her2k_kernelIlLb0ELb0ELb0ELi32EPKfPKS1_PKPfEvbiT_T4_T5_S7_lS9_S7_lT6_S7_li ; -- Begin function _ZL26rocblas_syr2k_her2k_kernelIlLb0ELb0ELb0ELi32EPKfPKS1_PKPfEvbiT_T4_T5_S7_lS9_S7_lT6_S7_li
	.p2align	8
	.type	_ZL26rocblas_syr2k_her2k_kernelIlLb0ELb0ELb0ELi32EPKfPKS1_PKPfEvbiT_T4_T5_S7_lS9_S7_lT6_S7_li,@function
_ZL26rocblas_syr2k_her2k_kernelIlLb0ELb0ELb0ELi32EPKfPKS1_PKPfEvbiT_T4_T5_S7_lS9_S7_lT6_S7_li: ; @_ZL26rocblas_syr2k_her2k_kernelIlLb0ELb0ELb0ELi32EPKfPKS1_PKPfEvbiT_T4_T5_S7_lS9_S7_lT6_S7_li
; %bb.0:
	s_load_b512 s[16:31], s[0:1], 0x8
	s_waitcnt lgkmcnt(0)
	s_load_b32 s10, s[18:19], 0x0
	s_waitcnt lgkmcnt(0)
	v_cmp_eq_f32_e64 s2, s10, 0
	s_delay_alu instid0(VALU_DEP_1)
	s_and_b32 vcc_lo, exec_lo, s2
	s_cbranch_vccnz .LBB1461_11
; %bb.1:
	s_load_b64 s[2:3], s[0:1], 0x0
	s_lshl_b32 s11, s14, 5
	s_lshl_b32 s12, s13, 5
	s_waitcnt lgkmcnt(0)
	s_and_b32 s2, 1, s2
	s_delay_alu instid0(SALU_CYCLE_1) | instskip(SKIP_1) | instid1(SALU_CYCLE_1)
	s_cmp_eq_u32 s2, 1
	s_cselect_b32 s2, -1, 0
	s_and_b32 s4, s2, exec_lo
	s_cselect_b32 s4, s12, s11
	s_cselect_b32 s5, s11, s12
	s_delay_alu instid0(SALU_CYCLE_1)
	s_cmp_gt_i32 s4, s5
	s_cbranch_scc1 .LBB1461_11
; %bb.2:
	v_cmp_lt_i64_e64 s4, s[16:17], 1
	s_delay_alu instid0(VALU_DEP_1)
	s_and_b32 vcc_lo, exec_lo, s4
	s_cbranch_vccnz .LBB1461_11
; %bb.3:
	s_clause 0x1
	s_load_b128 s[4:7], s[0:1], 0x48
	s_load_b64 s[0:1], s[0:1], 0x58
	v_bfe_u32 v6, v0, 10, 10
	v_and_b32_e32 v7, 0x3ff, v0
	s_mov_b32 s8, s15
	s_mov_b32 s9, 0
	s_delay_alu instid0(VALU_DEP_2) | instskip(SKIP_3) | instid1(VALU_DEP_2)
	v_dual_mov_b32 v3, 0 :: v_dual_add_nc_u32 v4, s11, v6
	s_lshl_b64 s[8:9], s[8:9], 3
	v_add_nc_u32_e32 v2, s12, v7
	s_add_u32 s18, s20, s8
	v_mov_b32_e32 v5, v3
	s_addc_u32 s19, s21, s9
	s_add_u32 s12, s26, s8
	s_addc_u32 s13, s27, s9
	v_cndmask_b32_e64 v16, v2, v4, s2
	v_cndmask_b32_e64 v17, v4, v2, s2
	v_ashrrev_i32_e32 v11, 31, v4
	v_mad_u64_u32 v[12:13], null, s22, v6, 0
	s_waitcnt lgkmcnt(0)
	s_add_u32 s4, s4, s8
	s_addc_u32 s5, s5, s9
	v_mul_lo_u32 v19, v11, s6
	s_load_b64 s[4:5], s[4:5], 0x0
	v_mul_lo_u32 v20, v4, s7
	v_mad_u64_u32 v[14:15], null, v4, s6, 0
	v_cmp_le_i32_e64 s2, v17, v16
	v_mov_b32_e32 v16, v2
	v_mad_u64_u32 v[0:1], null, s28, v7, 0
	v_max_i32_e32 v18, v2, v4
	v_lshlrev_b32_e32 v10, 2, v6
	v_add3_u32 v15, v15, v20, v19
	v_ashrrev_i32_e32 v17, 31, v2
	s_lshl_b64 s[0:1], s[0:1], 2
	v_cmp_gt_i32_e32 vcc_lo, s3, v18
	v_mad_u64_u32 v[18:19], null, s29, v7, v[1:2]
	v_mov_b32_e32 v1, v13
	v_lshlrev_b64 v[13:14], 2, v[14:15]
	v_lshlrev_b32_e32 v8, 7, v7
	v_lshlrev_b64 v[15:16], 2, v[16:17]
	s_waitcnt lgkmcnt(0)
	s_add_u32 s4, s4, s0
	v_mad_u64_u32 v[19:20], null, s23, v6, v[1:2]
	v_mov_b32_e32 v1, v18
	s_addc_u32 s5, s5, s1
	s_and_b32 s8, s2, vcc_lo
	v_add_co_u32 v20, vcc_lo, s4, v13
	s_load_b64 s[18:19], s[18:19], 0x0
	s_load_b64 s[12:13], s[12:13], 0x0
	v_add_nc_u32_e32 v9, v8, v10
	v_or_b32_e32 v10, 0x1000, v10
	v_mov_b32_e32 v13, v19
	v_add_co_ci_u32_e32 v14, vcc_lo, s5, v14, vcc_lo
	v_lshlrev_b64 v[17:18], 2, v[0:1]
	v_add_co_u32 v0, vcc_lo, v20, v15
	s_mov_b32 s14, s3
	s_ashr_i32 s15, s3, 31
	s_lshl_b64 s[2:3], s[30:31], 2
	v_lshlrev_b64 v[12:13], 2, v[12:13]
	v_add_co_ci_u32_e32 v1, vcc_lo, v14, v16, vcc_lo
	v_add_co_u32 v14, vcc_lo, v17, s2
	v_cmp_gt_i64_e64 s1, s[14:15], v[4:5]
	v_lshlrev_b64 v[4:5], 2, v[4:5]
	v_add_co_ci_u32_e32 v15, vcc_lo, s3, v18, vcc_lo
	s_lshl_b64 s[2:3], s[24:25], 2
	v_cmp_gt_i64_e64 s0, s[14:15], v[2:3]
	v_add_co_u32 v12, vcc_lo, v12, s2
	v_lshlrev_b64 v[2:3], 2, v[2:3]
	v_add_co_ci_u32_e32 v13, vcc_lo, s3, v13, vcc_lo
	v_add_co_u32 v4, vcc_lo, v14, v4
	v_add_co_ci_u32_e32 v5, vcc_lo, v15, v5, vcc_lo
	s_delay_alu instid0(VALU_DEP_4) | instskip(NEXT) | instid1(VALU_DEP_4)
	v_add_co_u32 v12, vcc_lo, v12, v2
	v_add_co_ci_u32_e32 v13, vcc_lo, v13, v3, vcc_lo
	s_waitcnt lgkmcnt(0)
	v_add_co_u32 v2, vcc_lo, s12, v4
	v_add_co_ci_u32_e32 v3, vcc_lo, s13, v5, vcc_lo
	v_add_co_u32 v4, vcc_lo, s18, v12
	v_add_nc_u32_e32 v12, 0x400, v10
	v_add_nc_u32_e32 v11, v10, v8
	v_add_co_ci_u32_e32 v5, vcc_lo, s19, v13, vcc_lo
	v_add_nc_u32_e32 v13, 0x800, v10
	v_add_nc_u32_e32 v14, 0xc00, v10
	s_lshl_b64 s[2:3], s[28:29], 7
	s_lshl_b64 s[4:5], s[22:23], 7
	s_mov_b64 s[6:7], 0
	s_branch .LBB1461_5
.LBB1461_4:                             ;   in Loop: Header=BB1461_5 Depth=1
	s_or_b32 exec_lo, exec_lo, s9
	s_add_u32 s6, s6, 32
	s_addc_u32 s7, s7, 0
	v_add_co_u32 v2, vcc_lo, v2, s2
	v_cmp_lt_i64_e64 s9, s[6:7], s[16:17]
	v_add_co_ci_u32_e32 v3, vcc_lo, s3, v3, vcc_lo
	v_add_co_u32 v4, vcc_lo, v4, s4
	v_add_co_ci_u32_e32 v5, vcc_lo, s5, v5, vcc_lo
	s_delay_alu instid0(VALU_DEP_4)
	s_and_b32 vcc_lo, exec_lo, s9
	s_waitcnt_vscnt null, 0x0
	s_barrier
	buffer_gl0_inv
	s_cbranch_vccz .LBB1461_11
.LBB1461_5:                             ; =>This Inner Loop Header: Depth=1
	v_add_co_u32 v15, s9, v6, s6
	s_delay_alu instid0(VALU_DEP_1) | instskip(NEXT) | instid1(VALU_DEP_1)
	v_add_co_ci_u32_e64 v16, null, 0, s7, s9
	v_cmp_gt_i64_e32 vcc_lo, s[16:17], v[15:16]
	v_mov_b32_e32 v15, 0
	s_and_b32 s11, s0, vcc_lo
	s_delay_alu instid0(SALU_CYCLE_1)
	s_and_saveexec_b32 s9, s11
	s_cbranch_execz .LBB1461_7
; %bb.6:                                ;   in Loop: Header=BB1461_5 Depth=1
	global_load_b32 v15, v[4:5], off
.LBB1461_7:                             ;   in Loop: Header=BB1461_5 Depth=1
	s_or_b32 exec_lo, exec_lo, s9
	v_add_co_u32 v16, s9, v7, s6
	s_delay_alu instid0(VALU_DEP_1)
	v_add_co_ci_u32_e64 v17, null, 0, s7, s9
	s_waitcnt vmcnt(0)
	ds_store_b32 v9, v15
	v_cmp_gt_i64_e32 vcc_lo, s[16:17], v[16:17]
	v_mov_b32_e32 v16, 0
	s_and_b32 s11, s1, vcc_lo
	s_delay_alu instid0(SALU_CYCLE_1)
	s_and_saveexec_b32 s9, s11
	s_cbranch_execz .LBB1461_9
; %bb.8:                                ;   in Loop: Header=BB1461_5 Depth=1
	global_load_b32 v16, v[2:3], off
.LBB1461_9:                             ;   in Loop: Header=BB1461_5 Depth=1
	s_or_b32 exec_lo, exec_lo, s9
	s_waitcnt vmcnt(0)
	ds_store_b32 v11, v16
	s_waitcnt lgkmcnt(0)
	s_barrier
	buffer_gl0_inv
	s_and_saveexec_b32 s9, s8
	s_cbranch_execz .LBB1461_4
; %bb.10:                               ;   in Loop: Header=BB1461_5 Depth=1
	global_load_b32 v29, v[0:1], off
	ds_load_2addr_b32 v[23:24], v10 offset1:32
	ds_load_b128 v[15:18], v8
	ds_load_2addr_b32 v[25:26], v10 offset0:64 offset1:96
	ds_load_b128 v[19:22], v8 offset:16
	ds_load_2addr_b32 v[27:28], v10 offset0:128 offset1:160
	s_waitcnt lgkmcnt(3)
	v_fma_f32 v30, v15, v23, 0
	s_delay_alu instid0(VALU_DEP_1) | instskip(SKIP_3) | instid1(VALU_DEP_1)
	v_fmac_f32_e32 v30, v16, v24
	ds_load_2addr_b32 v[23:24], v10 offset0:192 offset1:224
	s_waitcnt lgkmcnt(3)
	v_fmac_f32_e32 v30, v17, v25
	v_fmac_f32_e32 v30, v18, v26
	ds_load_2addr_b32 v[25:26], v12 offset1:32
	ds_load_b128 v[15:18], v8 offset:32
	s_waitcnt lgkmcnt(3)
	v_fmac_f32_e32 v30, v19, v27
	s_delay_alu instid0(VALU_DEP_1) | instskip(SKIP_3) | instid1(VALU_DEP_1)
	v_fmac_f32_e32 v30, v20, v28
	ds_load_2addr_b32 v[27:28], v12 offset0:64 offset1:96
	s_waitcnt lgkmcnt(3)
	v_fmac_f32_e32 v30, v21, v23
	v_fmac_f32_e32 v30, v22, v24
	ds_load_b128 v[19:22], v8 offset:48
	ds_load_2addr_b32 v[23:24], v12 offset0:128 offset1:160
	s_waitcnt lgkmcnt(3)
	v_fmac_f32_e32 v30, v15, v25
	s_delay_alu instid0(VALU_DEP_1) | instskip(SKIP_3) | instid1(VALU_DEP_1)
	v_fmac_f32_e32 v30, v16, v26
	ds_load_2addr_b32 v[25:26], v12 offset0:192 offset1:224
	s_waitcnt lgkmcnt(3)
	v_fmac_f32_e32 v30, v17, v27
	v_fmac_f32_e32 v30, v18, v28
	ds_load_2addr_b32 v[27:28], v13 offset1:32
	ds_load_b128 v[15:18], v8 offset:64
	s_waitcnt lgkmcnt(3)
	v_fmac_f32_e32 v30, v19, v23
	s_delay_alu instid0(VALU_DEP_1) | instskip(SKIP_3) | instid1(VALU_DEP_1)
	v_fmac_f32_e32 v30, v20, v24
	ds_load_2addr_b32 v[23:24], v13 offset0:64 offset1:96
	s_waitcnt lgkmcnt(3)
	v_fmac_f32_e32 v30, v21, v25
	v_fmac_f32_e32 v30, v22, v26
	ds_load_b128 v[19:22], v8 offset:80
	ds_load_2addr_b32 v[25:26], v13 offset0:128 offset1:160
	s_waitcnt lgkmcnt(3)
	v_fmac_f32_e32 v30, v15, v27
	;; [unrolled: 20-line block ×3, first 2 shown]
	s_delay_alu instid0(VALU_DEP_1) | instskip(SKIP_3) | instid1(VALU_DEP_1)
	v_fmac_f32_e32 v30, v16, v24
	ds_load_2addr_b32 v[15:16], v14 offset0:192 offset1:224
	s_waitcnt lgkmcnt(3)
	v_fmac_f32_e32 v30, v17, v25
	v_fmac_f32_e32 v30, v18, v26
	s_waitcnt lgkmcnt(1)
	s_delay_alu instid0(VALU_DEP_1) | instskip(NEXT) | instid1(VALU_DEP_1)
	v_fmac_f32_e32 v30, v19, v27
	v_fmac_f32_e32 v30, v20, v28
	s_waitcnt lgkmcnt(0)
	s_delay_alu instid0(VALU_DEP_1) | instskip(NEXT) | instid1(VALU_DEP_1)
	v_fmac_f32_e32 v30, v21, v15
	v_fmac_f32_e32 v30, v22, v16
	s_waitcnt vmcnt(0)
	s_delay_alu instid0(VALU_DEP_1)
	v_fmac_f32_e32 v29, s10, v30
	global_store_b32 v[0:1], v29, off
	s_branch .LBB1461_4
.LBB1461_11:
	s_endpgm
	.section	.rodata,"a",@progbits
	.p2align	6, 0x0
	.amdhsa_kernel _ZL26rocblas_syr2k_her2k_kernelIlLb0ELb0ELb0ELi32EPKfPKS1_PKPfEvbiT_T4_T5_S7_lS9_S7_lT6_S7_li
		.amdhsa_group_segment_fixed_size 8192
		.amdhsa_private_segment_fixed_size 0
		.amdhsa_kernarg_size 100
		.amdhsa_user_sgpr_count 13
		.amdhsa_user_sgpr_dispatch_ptr 0
		.amdhsa_user_sgpr_queue_ptr 0
		.amdhsa_user_sgpr_kernarg_segment_ptr 1
		.amdhsa_user_sgpr_dispatch_id 0
		.amdhsa_user_sgpr_private_segment_size 0
		.amdhsa_wavefront_size32 1
		.amdhsa_uses_dynamic_stack 0
		.amdhsa_enable_private_segment 0
		.amdhsa_system_sgpr_workgroup_id_x 1
		.amdhsa_system_sgpr_workgroup_id_y 1
		.amdhsa_system_sgpr_workgroup_id_z 1
		.amdhsa_system_sgpr_workgroup_info 0
		.amdhsa_system_vgpr_workitem_id 1
		.amdhsa_next_free_vgpr 31
		.amdhsa_next_free_sgpr 32
		.amdhsa_reserve_vcc 1
		.amdhsa_float_round_mode_32 0
		.amdhsa_float_round_mode_16_64 0
		.amdhsa_float_denorm_mode_32 3
		.amdhsa_float_denorm_mode_16_64 3
		.amdhsa_dx10_clamp 1
		.amdhsa_ieee_mode 1
		.amdhsa_fp16_overflow 0
		.amdhsa_workgroup_processor_mode 1
		.amdhsa_memory_ordered 1
		.amdhsa_forward_progress 0
		.amdhsa_shared_vgpr_count 0
		.amdhsa_exception_fp_ieee_invalid_op 0
		.amdhsa_exception_fp_denorm_src 0
		.amdhsa_exception_fp_ieee_div_zero 0
		.amdhsa_exception_fp_ieee_overflow 0
		.amdhsa_exception_fp_ieee_underflow 0
		.amdhsa_exception_fp_ieee_inexact 0
		.amdhsa_exception_int_div_zero 0
	.end_amdhsa_kernel
	.section	.text._ZL26rocblas_syr2k_her2k_kernelIlLb0ELb0ELb0ELi32EPKfPKS1_PKPfEvbiT_T4_T5_S7_lS9_S7_lT6_S7_li,"axG",@progbits,_ZL26rocblas_syr2k_her2k_kernelIlLb0ELb0ELb0ELi32EPKfPKS1_PKPfEvbiT_T4_T5_S7_lS9_S7_lT6_S7_li,comdat
.Lfunc_end1461:
	.size	_ZL26rocblas_syr2k_her2k_kernelIlLb0ELb0ELb0ELi32EPKfPKS1_PKPfEvbiT_T4_T5_S7_lS9_S7_lT6_S7_li, .Lfunc_end1461-_ZL26rocblas_syr2k_her2k_kernelIlLb0ELb0ELb0ELi32EPKfPKS1_PKPfEvbiT_T4_T5_S7_lS9_S7_lT6_S7_li
                                        ; -- End function
	.section	.AMDGPU.csdata,"",@progbits
; Kernel info:
; codeLenInByte = 1324
; NumSgprs: 34
; NumVgprs: 31
; ScratchSize: 0
; MemoryBound: 0
; FloatMode: 240
; IeeeMode: 1
; LDSByteSize: 8192 bytes/workgroup (compile time only)
; SGPRBlocks: 4
; VGPRBlocks: 3
; NumSGPRsForWavesPerEU: 34
; NumVGPRsForWavesPerEU: 31
; Occupancy: 16
; WaveLimiterHint : 1
; COMPUTE_PGM_RSRC2:SCRATCH_EN: 0
; COMPUTE_PGM_RSRC2:USER_SGPR: 13
; COMPUTE_PGM_RSRC2:TRAP_HANDLER: 0
; COMPUTE_PGM_RSRC2:TGID_X_EN: 1
; COMPUTE_PGM_RSRC2:TGID_Y_EN: 1
; COMPUTE_PGM_RSRC2:TGID_Z_EN: 1
; COMPUTE_PGM_RSRC2:TIDIG_COMP_CNT: 1
	.section	.text._ZL26rocblas_syr2k_her2k_kernelIlLb0ELb0ELb1ELi32EPKfPKS1_PKPfEvbiT_T4_T5_S7_lS9_S7_lT6_S7_li,"axG",@progbits,_ZL26rocblas_syr2k_her2k_kernelIlLb0ELb0ELb1ELi32EPKfPKS1_PKPfEvbiT_T4_T5_S7_lS9_S7_lT6_S7_li,comdat
	.globl	_ZL26rocblas_syr2k_her2k_kernelIlLb0ELb0ELb1ELi32EPKfPKS1_PKPfEvbiT_T4_T5_S7_lS9_S7_lT6_S7_li ; -- Begin function _ZL26rocblas_syr2k_her2k_kernelIlLb0ELb0ELb1ELi32EPKfPKS1_PKPfEvbiT_T4_T5_S7_lS9_S7_lT6_S7_li
	.p2align	8
	.type	_ZL26rocblas_syr2k_her2k_kernelIlLb0ELb0ELb1ELi32EPKfPKS1_PKPfEvbiT_T4_T5_S7_lS9_S7_lT6_S7_li,@function
_ZL26rocblas_syr2k_her2k_kernelIlLb0ELb0ELb1ELi32EPKfPKS1_PKPfEvbiT_T4_T5_S7_lS9_S7_lT6_S7_li: ; @_ZL26rocblas_syr2k_her2k_kernelIlLb0ELb0ELb1ELi32EPKfPKS1_PKPfEvbiT_T4_T5_S7_lS9_S7_lT6_S7_li
; %bb.0:
	s_load_b512 s[16:31], s[0:1], 0x8
	s_waitcnt lgkmcnt(0)
	s_load_b32 s10, s[18:19], 0x0
	s_waitcnt lgkmcnt(0)
	v_cmp_eq_f32_e64 s2, s10, 0
	s_delay_alu instid0(VALU_DEP_1)
	s_and_b32 vcc_lo, exec_lo, s2
	s_cbranch_vccnz .LBB1462_11
; %bb.1:
	s_load_b64 s[2:3], s[0:1], 0x0
	s_lshl_b32 s11, s14, 5
	s_lshl_b32 s12, s13, 5
	s_waitcnt lgkmcnt(0)
	s_and_b32 s2, 1, s2
	s_delay_alu instid0(SALU_CYCLE_1) | instskip(SKIP_1) | instid1(SALU_CYCLE_1)
	s_cmp_eq_u32 s2, 1
	s_cselect_b32 s2, -1, 0
	s_and_b32 s4, s2, exec_lo
	s_cselect_b32 s4, s12, s11
	s_cselect_b32 s5, s11, s12
	s_delay_alu instid0(SALU_CYCLE_1)
	s_cmp_gt_i32 s4, s5
	s_cbranch_scc1 .LBB1462_11
; %bb.2:
	v_cmp_lt_i64_e64 s4, s[16:17], 1
	s_delay_alu instid0(VALU_DEP_1)
	s_and_b32 vcc_lo, exec_lo, s4
	s_cbranch_vccnz .LBB1462_11
; %bb.3:
	s_clause 0x1
	s_load_b128 s[4:7], s[0:1], 0x48
	s_load_b64 s[0:1], s[0:1], 0x58
	s_mov_b32 s8, s15
	s_mov_b32 s9, 0
	v_bfe_u32 v6, v0, 10, 10
	v_and_b32_e32 v7, 0x3ff, v0
	s_lshl_b64 s[8:9], s[8:9], 3
	v_mov_b32_e32 v1, 0
	s_add_u32 s18, s20, s8
	v_add_nc_u32_e32 v2, s11, v6
	s_addc_u32 s19, s21, s9
	s_delay_alu instid0(VALU_DEP_2)
	v_dual_mov_b32 v3, v1 :: v_dual_add_nc_u32 v0, s12, v7
	s_add_u32 s12, s26, s8
	s_addc_u32 s13, s27, s9
	v_ashrrev_i32_e32 v11, 31, v2
	v_mad_u64_u32 v[4:5], null, s28, v2, 0
	v_mad_u64_u32 v[12:13], null, s22, v0, 0
	s_waitcnt lgkmcnt(0)
	s_add_u32 s4, s4, s8
	s_addc_u32 s5, s5, s9
	s_load_b64 s[8:9], s[18:19], 0x0
	s_load_b64 s[4:5], s[4:5], 0x0
	;; [unrolled: 1-line block ×3, first 2 shown]
	v_mul_lo_u32 v17, v11, s6
	v_mul_lo_u32 v21, v2, s7
	v_mad_u64_u32 v[14:15], null, v2, s6, 0
	v_max_i32_e32 v16, v0, v2
	s_lshl_b64 s[0:1], s[0:1], 2
	s_mov_b32 s14, s3
	v_cndmask_b32_e64 v18, v0, v2, s2
	v_cndmask_b32_e64 v20, v2, v0, s2
	v_cmp_gt_i32_e32 vcc_lo, s3, v16
	v_add3_u32 v15, v15, v21, v17
	v_mad_u64_u32 v[16:17], null, s29, v2, v[5:6]
	s_delay_alu instid0(VALU_DEP_4)
	v_cmp_le_i32_e64 s2, v20, v18
	v_lshlrev_b32_e32 v19, 2, v6
	s_waitcnt lgkmcnt(0)
	s_add_u32 s4, s4, s0
	s_addc_u32 s5, s5, s1
	s_ashr_i32 s15, s3, 31
	s_delay_alu instid0(VALU_DEP_3)
	v_mov_b32_e32 v5, v16
	v_cmp_gt_i64_e64 s1, s[14:15], v[2:3]
	v_mov_b32_e32 v2, v13
	v_cmp_gt_i64_e64 s0, s[14:15], v[0:1]
	v_ashrrev_i32_e32 v1, 31, v0
	v_lshlrev_b64 v[13:14], 2, v[14:15]
	v_lshlrev_b32_e32 v8, 7, v7
	v_mad_u64_u32 v[17:18], null, s23, v0, v[2:3]
	s_delay_alu instid0(VALU_DEP_4) | instskip(SKIP_2) | instid1(VALU_DEP_1)
	v_lshlrev_b64 v[0:1], 2, v[0:1]
	v_lshlrev_b64 v[2:3], 2, v[4:5]
	v_add_co_u32 v15, s3, s4, v13
	v_add_co_ci_u32_e64 v14, s3, s5, v14, s3
	v_mov_b32_e32 v13, v17
	s_delay_alu instid0(VALU_DEP_3) | instskip(SKIP_1) | instid1(VALU_DEP_3)
	v_add_co_u32 v0, s3, v15, v0
	s_lshl_b64 s[4:5], s[30:31], 2
	v_add_co_ci_u32_e64 v1, s3, v14, v1, s3
	s_delay_alu instid0(VALU_DEP_3) | instskip(SKIP_2) | instid1(VALU_DEP_1)
	v_lshlrev_b64 v[4:5], 2, v[12:13]
	v_lshlrev_b32_e32 v12, 2, v7
	v_add_co_u32 v2, s3, v2, s4
	v_add_co_ci_u32_e64 v3, s3, s5, v3, s3
	s_lshl_b64 s[4:5], s[24:25], 2
	v_or_b32_e32 v10, 0x1000, v19
	v_add_co_u32 v4, s3, v4, s4
	s_delay_alu instid0(VALU_DEP_1) | instskip(SKIP_1) | instid1(VALU_DEP_1)
	v_add_co_ci_u32_e64 v5, s3, s5, v5, s3
	v_add_co_u32 v2, s3, v2, v12
	v_add_co_ci_u32_e64 v3, s3, 0, v3, s3
	s_delay_alu instid0(VALU_DEP_4) | instskip(NEXT) | instid1(VALU_DEP_1)
	v_add_co_u32 v4, s3, v4, v19
	v_add_co_ci_u32_e64 v5, s3, 0, v5, s3
	s_delay_alu instid0(VALU_DEP_4) | instskip(NEXT) | instid1(VALU_DEP_1)
	v_add_co_u32 v2, s3, s12, v2
	v_add_co_ci_u32_e64 v3, s3, s13, v3, s3
	s_delay_alu instid0(VALU_DEP_4)
	v_add_co_u32 v4, s3, s8, v4
	v_add_nc_u32_e32 v9, v8, v19
	v_add_nc_u32_e32 v11, v10, v8
	v_add_co_ci_u32_e64 v5, s3, s9, v5, s3
	v_add_nc_u32_e32 v12, 0x400, v10
	v_add_nc_u32_e32 v13, 0x800, v10
	;; [unrolled: 1-line block ×3, first 2 shown]
	s_and_b32 s4, s2, vcc_lo
	s_mov_b64 s[2:3], 0
	s_branch .LBB1462_5
.LBB1462_4:                             ;   in Loop: Header=BB1462_5 Depth=1
	s_or_b32 exec_lo, exec_lo, s5
	s_add_u32 s2, s2, 32
	s_addc_u32 s3, s3, 0
	v_add_co_u32 v2, vcc_lo, 0x80, v2
	v_cmp_lt_i64_e64 s5, s[2:3], s[16:17]
	v_add_co_ci_u32_e32 v3, vcc_lo, 0, v3, vcc_lo
	v_add_co_u32 v4, vcc_lo, 0x80, v4
	v_add_co_ci_u32_e32 v5, vcc_lo, 0, v5, vcc_lo
	s_delay_alu instid0(VALU_DEP_4)
	s_and_b32 vcc_lo, exec_lo, s5
	s_waitcnt_vscnt null, 0x0
	s_barrier
	buffer_gl0_inv
	s_cbranch_vccz .LBB1462_11
.LBB1462_5:                             ; =>This Inner Loop Header: Depth=1
	v_add_co_u32 v15, s5, v6, s2
	s_delay_alu instid0(VALU_DEP_1) | instskip(NEXT) | instid1(VALU_DEP_1)
	v_add_co_ci_u32_e64 v16, null, 0, s3, s5
	v_cmp_gt_i64_e32 vcc_lo, s[16:17], v[15:16]
	v_mov_b32_e32 v15, 0
	s_and_b32 s6, s0, vcc_lo
	s_delay_alu instid0(SALU_CYCLE_1)
	s_and_saveexec_b32 s5, s6
	s_cbranch_execz .LBB1462_7
; %bb.6:                                ;   in Loop: Header=BB1462_5 Depth=1
	global_load_b32 v15, v[4:5], off
.LBB1462_7:                             ;   in Loop: Header=BB1462_5 Depth=1
	s_or_b32 exec_lo, exec_lo, s5
	v_add_co_u32 v16, s5, v7, s2
	s_delay_alu instid0(VALU_DEP_1)
	v_add_co_ci_u32_e64 v17, null, 0, s3, s5
	s_waitcnt vmcnt(0)
	ds_store_b32 v9, v15
	v_cmp_gt_i64_e32 vcc_lo, s[16:17], v[16:17]
	v_mov_b32_e32 v16, 0
	s_and_b32 s6, s1, vcc_lo
	s_delay_alu instid0(SALU_CYCLE_1)
	s_and_saveexec_b32 s5, s6
	s_cbranch_execz .LBB1462_9
; %bb.8:                                ;   in Loop: Header=BB1462_5 Depth=1
	global_load_b32 v16, v[2:3], off
.LBB1462_9:                             ;   in Loop: Header=BB1462_5 Depth=1
	s_or_b32 exec_lo, exec_lo, s5
	s_waitcnt vmcnt(0)
	ds_store_b32 v11, v16
	s_waitcnt lgkmcnt(0)
	s_barrier
	buffer_gl0_inv
	s_and_saveexec_b32 s5, s4
	s_cbranch_execz .LBB1462_4
; %bb.10:                               ;   in Loop: Header=BB1462_5 Depth=1
	global_load_b32 v29, v[0:1], off
	ds_load_2addr_b32 v[23:24], v10 offset1:32
	ds_load_b128 v[15:18], v8
	ds_load_2addr_b32 v[25:26], v10 offset0:64 offset1:96
	ds_load_b128 v[19:22], v8 offset:16
	ds_load_2addr_b32 v[27:28], v10 offset0:128 offset1:160
	s_waitcnt lgkmcnt(3)
	v_fma_f32 v30, v15, v23, 0
	s_delay_alu instid0(VALU_DEP_1) | instskip(SKIP_3) | instid1(VALU_DEP_1)
	v_fmac_f32_e32 v30, v16, v24
	ds_load_2addr_b32 v[23:24], v10 offset0:192 offset1:224
	s_waitcnt lgkmcnt(3)
	v_fmac_f32_e32 v30, v17, v25
	v_fmac_f32_e32 v30, v18, v26
	ds_load_2addr_b32 v[25:26], v12 offset1:32
	ds_load_b128 v[15:18], v8 offset:32
	s_waitcnt lgkmcnt(3)
	v_fmac_f32_e32 v30, v19, v27
	s_delay_alu instid0(VALU_DEP_1) | instskip(SKIP_3) | instid1(VALU_DEP_1)
	v_fmac_f32_e32 v30, v20, v28
	ds_load_2addr_b32 v[27:28], v12 offset0:64 offset1:96
	s_waitcnt lgkmcnt(3)
	v_fmac_f32_e32 v30, v21, v23
	v_fmac_f32_e32 v30, v22, v24
	ds_load_b128 v[19:22], v8 offset:48
	ds_load_2addr_b32 v[23:24], v12 offset0:128 offset1:160
	s_waitcnt lgkmcnt(3)
	v_fmac_f32_e32 v30, v15, v25
	s_delay_alu instid0(VALU_DEP_1) | instskip(SKIP_3) | instid1(VALU_DEP_1)
	v_fmac_f32_e32 v30, v16, v26
	ds_load_2addr_b32 v[25:26], v12 offset0:192 offset1:224
	s_waitcnt lgkmcnt(3)
	v_fmac_f32_e32 v30, v17, v27
	v_fmac_f32_e32 v30, v18, v28
	ds_load_2addr_b32 v[27:28], v13 offset1:32
	ds_load_b128 v[15:18], v8 offset:64
	s_waitcnt lgkmcnt(3)
	v_fmac_f32_e32 v30, v19, v23
	s_delay_alu instid0(VALU_DEP_1) | instskip(SKIP_3) | instid1(VALU_DEP_1)
	v_fmac_f32_e32 v30, v20, v24
	ds_load_2addr_b32 v[23:24], v13 offset0:64 offset1:96
	s_waitcnt lgkmcnt(3)
	v_fmac_f32_e32 v30, v21, v25
	v_fmac_f32_e32 v30, v22, v26
	ds_load_b128 v[19:22], v8 offset:80
	ds_load_2addr_b32 v[25:26], v13 offset0:128 offset1:160
	s_waitcnt lgkmcnt(3)
	v_fmac_f32_e32 v30, v15, v27
	;; [unrolled: 20-line block ×3, first 2 shown]
	s_delay_alu instid0(VALU_DEP_1) | instskip(SKIP_3) | instid1(VALU_DEP_1)
	v_fmac_f32_e32 v30, v16, v24
	ds_load_2addr_b32 v[15:16], v14 offset0:192 offset1:224
	s_waitcnt lgkmcnt(3)
	v_fmac_f32_e32 v30, v17, v25
	v_fmac_f32_e32 v30, v18, v26
	s_waitcnt lgkmcnt(1)
	s_delay_alu instid0(VALU_DEP_1) | instskip(NEXT) | instid1(VALU_DEP_1)
	v_fmac_f32_e32 v30, v19, v27
	v_fmac_f32_e32 v30, v20, v28
	s_waitcnt lgkmcnt(0)
	s_delay_alu instid0(VALU_DEP_1) | instskip(NEXT) | instid1(VALU_DEP_1)
	v_fmac_f32_e32 v30, v21, v15
	v_fmac_f32_e32 v30, v22, v16
	s_waitcnt vmcnt(0)
	s_delay_alu instid0(VALU_DEP_1)
	v_fmac_f32_e32 v29, s10, v30
	global_store_b32 v[0:1], v29, off
	s_branch .LBB1462_4
.LBB1462_11:
	s_endpgm
	.section	.rodata,"a",@progbits
	.p2align	6, 0x0
	.amdhsa_kernel _ZL26rocblas_syr2k_her2k_kernelIlLb0ELb0ELb1ELi32EPKfPKS1_PKPfEvbiT_T4_T5_S7_lS9_S7_lT6_S7_li
		.amdhsa_group_segment_fixed_size 8192
		.amdhsa_private_segment_fixed_size 0
		.amdhsa_kernarg_size 100
		.amdhsa_user_sgpr_count 13
		.amdhsa_user_sgpr_dispatch_ptr 0
		.amdhsa_user_sgpr_queue_ptr 0
		.amdhsa_user_sgpr_kernarg_segment_ptr 1
		.amdhsa_user_sgpr_dispatch_id 0
		.amdhsa_user_sgpr_private_segment_size 0
		.amdhsa_wavefront_size32 1
		.amdhsa_uses_dynamic_stack 0
		.amdhsa_enable_private_segment 0
		.amdhsa_system_sgpr_workgroup_id_x 1
		.amdhsa_system_sgpr_workgroup_id_y 1
		.amdhsa_system_sgpr_workgroup_id_z 1
		.amdhsa_system_sgpr_workgroup_info 0
		.amdhsa_system_vgpr_workitem_id 1
		.amdhsa_next_free_vgpr 31
		.amdhsa_next_free_sgpr 32
		.amdhsa_reserve_vcc 1
		.amdhsa_float_round_mode_32 0
		.amdhsa_float_round_mode_16_64 0
		.amdhsa_float_denorm_mode_32 3
		.amdhsa_float_denorm_mode_16_64 3
		.amdhsa_dx10_clamp 1
		.amdhsa_ieee_mode 1
		.amdhsa_fp16_overflow 0
		.amdhsa_workgroup_processor_mode 1
		.amdhsa_memory_ordered 1
		.amdhsa_forward_progress 0
		.amdhsa_shared_vgpr_count 0
		.amdhsa_exception_fp_ieee_invalid_op 0
		.amdhsa_exception_fp_denorm_src 0
		.amdhsa_exception_fp_ieee_div_zero 0
		.amdhsa_exception_fp_ieee_overflow 0
		.amdhsa_exception_fp_ieee_underflow 0
		.amdhsa_exception_fp_ieee_inexact 0
		.amdhsa_exception_int_div_zero 0
	.end_amdhsa_kernel
	.section	.text._ZL26rocblas_syr2k_her2k_kernelIlLb0ELb0ELb1ELi32EPKfPKS1_PKPfEvbiT_T4_T5_S7_lS9_S7_lT6_S7_li,"axG",@progbits,_ZL26rocblas_syr2k_her2k_kernelIlLb0ELb0ELb1ELi32EPKfPKS1_PKPfEvbiT_T4_T5_S7_lS9_S7_lT6_S7_li,comdat
.Lfunc_end1462:
	.size	_ZL26rocblas_syr2k_her2k_kernelIlLb0ELb0ELb1ELi32EPKfPKS1_PKPfEvbiT_T4_T5_S7_lS9_S7_lT6_S7_li, .Lfunc_end1462-_ZL26rocblas_syr2k_her2k_kernelIlLb0ELb0ELb1ELi32EPKfPKS1_PKPfEvbiT_T4_T5_S7_lS9_S7_lT6_S7_li
                                        ; -- End function
	.section	.AMDGPU.csdata,"",@progbits
; Kernel info:
; codeLenInByte = 1368
; NumSgprs: 34
; NumVgprs: 31
; ScratchSize: 0
; MemoryBound: 0
; FloatMode: 240
; IeeeMode: 1
; LDSByteSize: 8192 bytes/workgroup (compile time only)
; SGPRBlocks: 4
; VGPRBlocks: 3
; NumSGPRsForWavesPerEU: 34
; NumVGPRsForWavesPerEU: 31
; Occupancy: 16
; WaveLimiterHint : 1
; COMPUTE_PGM_RSRC2:SCRATCH_EN: 0
; COMPUTE_PGM_RSRC2:USER_SGPR: 13
; COMPUTE_PGM_RSRC2:TRAP_HANDLER: 0
; COMPUTE_PGM_RSRC2:TGID_X_EN: 1
; COMPUTE_PGM_RSRC2:TGID_Y_EN: 1
; COMPUTE_PGM_RSRC2:TGID_Z_EN: 1
; COMPUTE_PGM_RSRC2:TIDIG_COMP_CNT: 1
	.section	.text._ZL26rocblas_syr2k_her2k_kernelIlLb0ELb0ELb0ELi32EdPKPKdPKPdEvbiT_T4_T5_S7_lS9_S7_lT6_S7_li,"axG",@progbits,_ZL26rocblas_syr2k_her2k_kernelIlLb0ELb0ELb0ELi32EdPKPKdPKPdEvbiT_T4_T5_S7_lS9_S7_lT6_S7_li,comdat
	.globl	_ZL26rocblas_syr2k_her2k_kernelIlLb0ELb0ELb0ELi32EdPKPKdPKPdEvbiT_T4_T5_S7_lS9_S7_lT6_S7_li ; -- Begin function _ZL26rocblas_syr2k_her2k_kernelIlLb0ELb0ELb0ELi32EdPKPKdPKPdEvbiT_T4_T5_S7_lS9_S7_lT6_S7_li
	.p2align	8
	.type	_ZL26rocblas_syr2k_her2k_kernelIlLb0ELb0ELb0ELi32EdPKPKdPKPdEvbiT_T4_T5_S7_lS9_S7_lT6_S7_li,@function
_ZL26rocblas_syr2k_her2k_kernelIlLb0ELb0ELb0ELi32EdPKPKdPKPdEvbiT_T4_T5_S7_lS9_S7_lT6_S7_li: ; @_ZL26rocblas_syr2k_her2k_kernelIlLb0ELb0ELb0ELi32EdPKPKdPKPdEvbiT_T4_T5_S7_lS9_S7_lT6_S7_li
; %bb.0:
	s_load_b512 s[16:31], s[0:1], 0x8
	s_waitcnt lgkmcnt(0)
	v_cmp_eq_f64_e64 s2, s[18:19], 0
	s_delay_alu instid0(VALU_DEP_1)
	s_and_b32 vcc_lo, exec_lo, s2
	s_cbranch_vccnz .LBB1463_11
; %bb.1:
	s_load_b64 s[2:3], s[0:1], 0x0
	s_lshl_b32 s10, s14, 5
	s_lshl_b32 s11, s13, 5
	s_waitcnt lgkmcnt(0)
	s_and_b32 s2, 1, s2
	s_delay_alu instid0(SALU_CYCLE_1) | instskip(SKIP_1) | instid1(SALU_CYCLE_1)
	s_cmp_eq_u32 s2, 1
	s_cselect_b32 s2, -1, 0
	s_and_b32 s4, s2, exec_lo
	s_cselect_b32 s4, s11, s10
	s_cselect_b32 s5, s10, s11
	s_delay_alu instid0(SALU_CYCLE_1)
	s_cmp_gt_i32 s4, s5
	s_cbranch_scc1 .LBB1463_11
; %bb.2:
	v_cmp_lt_i64_e64 s4, s[16:17], 1
	s_delay_alu instid0(VALU_DEP_1)
	s_and_b32 vcc_lo, exec_lo, s4
	s_cbranch_vccnz .LBB1463_11
; %bb.3:
	s_clause 0x1
	s_load_b128 s[4:7], s[0:1], 0x48
	s_load_b64 s[0:1], s[0:1], 0x58
	v_bfe_u32 v10, v0, 10, 10
	v_and_b32_e32 v11, 0x3ff, v0
	v_mov_b32_e32 v3, 0
	s_mov_b32 s8, s15
	s_mov_b32 s9, 0
	v_add_nc_u32_e32 v4, s10, v10
	s_delay_alu instid0(VALU_DEP_2) | instskip(SKIP_2) | instid1(VALU_DEP_2)
	v_dual_mov_b32 v5, v3 :: v_dual_add_nc_u32 v2, s11, v11
	s_lshl_b64 s[8:9], s[8:9], 3
	v_mad_u64_u32 v[6:7], null, s22, v10, 0
	v_cndmask_b32_e64 v16, v2, v4, s2
	v_cndmask_b32_e64 v17, v4, v2, s2
	s_add_u32 s14, s20, s8
	s_addc_u32 s15, s21, s9
	s_add_u32 s10, s26, s8
	s_addc_u32 s11, s27, s9
	v_lshlrev_b32_e32 v8, 3, v10
	s_waitcnt lgkmcnt(0)
	s_add_u32 s4, s4, s8
	v_ashrrev_i32_e32 v9, 31, v4
	v_cmp_le_i32_e64 s2, v17, v16
	v_mov_b32_e32 v16, v2
	v_lshlrev_b32_e32 v12, 8, v11
	s_addc_u32 s5, s5, s9
	v_mad_u64_u32 v[0:1], null, s28, v11, 0
	s_load_b64 s[4:5], s[4:5], 0x0
	s_delay_alu instid0(VALU_DEP_2)
	v_add_nc_u32_e32 v13, v12, v8
	v_or_b32_e32 v14, 0x2000, v8
	v_mul_lo_u32 v19, v9, s6
	v_mul_lo_u32 v20, v4, s7
	v_mad_u64_u32 v[8:9], null, v4, s6, 0
	v_max_i32_e32 v18, v2, v4
	v_ashrrev_i32_e32 v17, 31, v2
	s_lshl_b64 s[0:1], s[0:1], 3
	s_load_b64 s[14:15], s[14:15], 0x0
	s_load_b64 s[10:11], s[10:11], 0x0
	s_mov_b32 s12, s3
	v_cmp_gt_i32_e32 vcc_lo, s3, v18
	v_add3_u32 v9, v9, v20, v19
	v_mad_u64_u32 v[18:19], null, s29, v11, v[1:2]
	v_mov_b32_e32 v1, v7
	v_lshlrev_b64 v[16:17], 3, v[16:17]
	s_delay_alu instid0(VALU_DEP_4)
	v_lshlrev_b64 v[7:8], 3, v[8:9]
	s_mov_b64 s[6:7], 0
	s_waitcnt lgkmcnt(0)
	s_add_u32 s4, s4, s0
	v_mad_u64_u32 v[19:20], null, s23, v10, v[1:2]
	v_mov_b32_e32 v1, v18
	s_addc_u32 s5, s5, s1
	s_and_b32 s8, s2, vcc_lo
	v_add_co_u32 v18, vcc_lo, s4, v7
	v_add_co_ci_u32_e32 v20, vcc_lo, s5, v8, vcc_lo
	s_delay_alu instid0(VALU_DEP_4) | instskip(SKIP_1) | instid1(VALU_DEP_4)
	v_mov_b32_e32 v7, v19
	v_lshlrev_b64 v[8:9], 3, v[0:1]
	v_add_co_u32 v0, vcc_lo, v18, v16
	v_add_nc_u32_e32 v16, 0x800, v14
	s_ashr_i32 s13, s3, 31
	s_lshl_b64 s[2:3], s[30:31], 3
	v_lshlrev_b64 v[6:7], 3, v[6:7]
	v_add_co_ci_u32_e32 v1, vcc_lo, v20, v17, vcc_lo
	v_add_co_u32 v8, vcc_lo, v8, s2
	v_cmp_gt_i64_e64 s1, s[12:13], v[4:5]
	v_lshlrev_b64 v[4:5], 3, v[4:5]
	v_add_co_ci_u32_e32 v9, vcc_lo, s3, v9, vcc_lo
	s_lshl_b64 s[2:3], s[24:25], 3
	v_cmp_gt_i64_e64 s0, s[12:13], v[2:3]
	v_add_co_u32 v6, vcc_lo, v6, s2
	v_lshlrev_b64 v[2:3], 3, v[2:3]
	v_add_co_ci_u32_e32 v7, vcc_lo, s3, v7, vcc_lo
	v_add_co_u32 v4, vcc_lo, v8, v4
	v_add_co_ci_u32_e32 v5, vcc_lo, v9, v5, vcc_lo
	s_delay_alu instid0(VALU_DEP_4) | instskip(NEXT) | instid1(VALU_DEP_4)
	v_add_co_u32 v6, vcc_lo, v6, v2
	v_add_co_ci_u32_e32 v7, vcc_lo, v7, v3, vcc_lo
	s_delay_alu instid0(VALU_DEP_4) | instskip(NEXT) | instid1(VALU_DEP_4)
	v_add_co_u32 v2, vcc_lo, s10, v4
	v_add_co_ci_u32_e32 v3, vcc_lo, s11, v5, vcc_lo
	s_delay_alu instid0(VALU_DEP_4)
	v_add_co_u32 v4, vcc_lo, s14, v6
	v_add_nc_u32_e32 v15, v14, v12
	v_add_co_ci_u32_e32 v5, vcc_lo, s15, v7, vcc_lo
	v_add_nc_u32_e32 v17, 0x1000, v14
	v_add_nc_u32_e32 v18, 0x1800, v14
	s_lshl_b64 s[2:3], s[28:29], 8
	s_lshl_b64 s[4:5], s[22:23], 8
	s_branch .LBB1463_5
.LBB1463_4:                             ;   in Loop: Header=BB1463_5 Depth=1
	s_or_b32 exec_lo, exec_lo, s9
	s_add_u32 s6, s6, 32
	s_addc_u32 s7, s7, 0
	v_add_co_u32 v2, vcc_lo, v2, s2
	v_cmp_lt_i64_e64 s9, s[6:7], s[16:17]
	v_add_co_ci_u32_e32 v3, vcc_lo, s3, v3, vcc_lo
	v_add_co_u32 v4, vcc_lo, v4, s4
	v_add_co_ci_u32_e32 v5, vcc_lo, s5, v5, vcc_lo
	s_delay_alu instid0(VALU_DEP_4)
	s_and_b32 vcc_lo, exec_lo, s9
	s_waitcnt_vscnt null, 0x0
	s_barrier
	buffer_gl0_inv
	s_cbranch_vccz .LBB1463_11
.LBB1463_5:                             ; =>This Inner Loop Header: Depth=1
	v_add_co_u32 v8, s9, v10, s6
	s_delay_alu instid0(VALU_DEP_1) | instskip(SKIP_2) | instid1(VALU_DEP_3)
	v_add_co_ci_u32_e64 v9, null, 0, s7, s9
	v_mov_b32_e32 v6, 0
	v_mov_b32_e32 v7, 0
	v_cmp_gt_i64_e32 vcc_lo, s[16:17], v[8:9]
	s_delay_alu instid0(VALU_DEP_2) | instskip(SKIP_1) | instid1(SALU_CYCLE_1)
	v_dual_mov_b32 v9, v7 :: v_dual_mov_b32 v8, v6
	s_and_b32 s10, s0, vcc_lo
	s_and_saveexec_b32 s9, s10
	s_cbranch_execz .LBB1463_7
; %bb.6:                                ;   in Loop: Header=BB1463_5 Depth=1
	global_load_b64 v[8:9], v[4:5], off
.LBB1463_7:                             ;   in Loop: Header=BB1463_5 Depth=1
	s_or_b32 exec_lo, exec_lo, s9
	v_add_co_u32 v19, s9, v11, s6
	s_delay_alu instid0(VALU_DEP_1) | instskip(SKIP_4) | instid1(SALU_CYCLE_1)
	v_add_co_ci_u32_e64 v20, null, 0, s7, s9
	s_waitcnt vmcnt(0)
	ds_store_b64 v13, v[8:9]
	v_cmp_gt_i64_e32 vcc_lo, s[16:17], v[19:20]
	s_and_b32 s10, s1, vcc_lo
	s_and_saveexec_b32 s9, s10
	s_cbranch_execz .LBB1463_9
; %bb.8:                                ;   in Loop: Header=BB1463_5 Depth=1
	global_load_b64 v[6:7], v[2:3], off
.LBB1463_9:                             ;   in Loop: Header=BB1463_5 Depth=1
	s_or_b32 exec_lo, exec_lo, s9
	s_waitcnt vmcnt(0)
	ds_store_b64 v15, v[6:7]
	s_waitcnt lgkmcnt(0)
	s_barrier
	buffer_gl0_inv
	s_and_saveexec_b32 s9, s8
	s_cbranch_execz .LBB1463_4
; %bb.10:                               ;   in Loop: Header=BB1463_5 Depth=1
	ds_load_2addr_b64 v[6:9], v14 offset1:32
	ds_load_b128 v[19:22], v12
	ds_load_b128 v[23:26], v12 offset:16
	s_waitcnt lgkmcnt(1)
	v_fma_f64 v[6:7], v[19:20], v[6:7], 0
	s_delay_alu instid0(VALU_DEP_1) | instskip(SKIP_3) | instid1(VALU_DEP_1)
	v_fma_f64 v[19:20], v[21:22], v[8:9], v[6:7]
	ds_load_2addr_b64 v[6:9], v14 offset0:64 offset1:96
	s_waitcnt lgkmcnt(0)
	v_fma_f64 v[6:7], v[23:24], v[6:7], v[19:20]
	v_fma_f64 v[27:28], v[25:26], v[8:9], v[6:7]
	ds_load_2addr_b64 v[6:9], v14 offset0:128 offset1:160
	ds_load_b128 v[19:22], v12 offset:32
	ds_load_b128 v[23:26], v12 offset:48
	s_waitcnt lgkmcnt(1)
	v_fma_f64 v[6:7], v[19:20], v[6:7], v[27:28]
	s_delay_alu instid0(VALU_DEP_1) | instskip(SKIP_3) | instid1(VALU_DEP_1)
	v_fma_f64 v[19:20], v[21:22], v[8:9], v[6:7]
	ds_load_2addr_b64 v[6:9], v14 offset0:192 offset1:224
	s_waitcnt lgkmcnt(0)
	v_fma_f64 v[6:7], v[23:24], v[6:7], v[19:20]
	v_fma_f64 v[27:28], v[25:26], v[8:9], v[6:7]
	ds_load_2addr_b64 v[6:9], v16 offset1:32
	ds_load_b128 v[19:22], v12 offset:64
	ds_load_b128 v[23:26], v12 offset:80
	s_waitcnt lgkmcnt(1)
	v_fma_f64 v[6:7], v[19:20], v[6:7], v[27:28]
	s_delay_alu instid0(VALU_DEP_1) | instskip(SKIP_3) | instid1(VALU_DEP_1)
	v_fma_f64 v[19:20], v[21:22], v[8:9], v[6:7]
	ds_load_2addr_b64 v[6:9], v16 offset0:64 offset1:96
	s_waitcnt lgkmcnt(0)
	v_fma_f64 v[6:7], v[23:24], v[6:7], v[19:20]
	v_fma_f64 v[27:28], v[25:26], v[8:9], v[6:7]
	ds_load_2addr_b64 v[6:9], v16 offset0:128 offset1:160
	ds_load_b128 v[19:22], v12 offset:96
	ds_load_b128 v[23:26], v12 offset:112
	s_waitcnt lgkmcnt(1)
	v_fma_f64 v[6:7], v[19:20], v[6:7], v[27:28]
	s_delay_alu instid0(VALU_DEP_1) | instskip(SKIP_3) | instid1(VALU_DEP_1)
	v_fma_f64 v[19:20], v[21:22], v[8:9], v[6:7]
	ds_load_2addr_b64 v[6:9], v16 offset0:192 offset1:224
	s_waitcnt lgkmcnt(0)
	v_fma_f64 v[6:7], v[23:24], v[6:7], v[19:20]
	v_fma_f64 v[27:28], v[25:26], v[8:9], v[6:7]
	ds_load_2addr_b64 v[6:9], v17 offset1:32
	ds_load_b128 v[19:22], v12 offset:128
	;; [unrolled: 22-line block ×3, first 2 shown]
	global_load_b64 v[29:30], v[0:1], off
	ds_load_b128 v[23:26], v12 offset:208
	s_waitcnt lgkmcnt(1)
	v_fma_f64 v[6:7], v[19:20], v[6:7], v[27:28]
	s_delay_alu instid0(VALU_DEP_1) | instskip(SKIP_3) | instid1(VALU_DEP_1)
	v_fma_f64 v[19:20], v[21:22], v[8:9], v[6:7]
	ds_load_2addr_b64 v[6:9], v18 offset0:64 offset1:96
	s_waitcnt lgkmcnt(0)
	v_fma_f64 v[6:7], v[23:24], v[6:7], v[19:20]
	v_fma_f64 v[27:28], v[25:26], v[8:9], v[6:7]
	ds_load_2addr_b64 v[6:9], v18 offset0:128 offset1:160
	ds_load_b128 v[19:22], v12 offset:224
	ds_load_b128 v[23:26], v12 offset:240
	s_waitcnt lgkmcnt(1)
	v_fma_f64 v[6:7], v[19:20], v[6:7], v[27:28]
	s_delay_alu instid0(VALU_DEP_1) | instskip(SKIP_3) | instid1(VALU_DEP_1)
	v_fma_f64 v[19:20], v[21:22], v[8:9], v[6:7]
	ds_load_2addr_b64 v[6:9], v18 offset0:192 offset1:224
	s_waitcnt lgkmcnt(0)
	v_fma_f64 v[6:7], v[23:24], v[6:7], v[19:20]
	v_fma_f64 v[6:7], v[25:26], v[8:9], v[6:7]
	s_waitcnt vmcnt(0)
	s_delay_alu instid0(VALU_DEP_1)
	v_fma_f64 v[6:7], v[6:7], s[18:19], v[29:30]
	global_store_b64 v[0:1], v[6:7], off
	s_branch .LBB1463_4
.LBB1463_11:
	s_endpgm
	.section	.rodata,"a",@progbits
	.p2align	6, 0x0
	.amdhsa_kernel _ZL26rocblas_syr2k_her2k_kernelIlLb0ELb0ELb0ELi32EdPKPKdPKPdEvbiT_T4_T5_S7_lS9_S7_lT6_S7_li
		.amdhsa_group_segment_fixed_size 16384
		.amdhsa_private_segment_fixed_size 0
		.amdhsa_kernarg_size 100
		.amdhsa_user_sgpr_count 13
		.amdhsa_user_sgpr_dispatch_ptr 0
		.amdhsa_user_sgpr_queue_ptr 0
		.amdhsa_user_sgpr_kernarg_segment_ptr 1
		.amdhsa_user_sgpr_dispatch_id 0
		.amdhsa_user_sgpr_private_segment_size 0
		.amdhsa_wavefront_size32 1
		.amdhsa_uses_dynamic_stack 0
		.amdhsa_enable_private_segment 0
		.amdhsa_system_sgpr_workgroup_id_x 1
		.amdhsa_system_sgpr_workgroup_id_y 1
		.amdhsa_system_sgpr_workgroup_id_z 1
		.amdhsa_system_sgpr_workgroup_info 0
		.amdhsa_system_vgpr_workitem_id 1
		.amdhsa_next_free_vgpr 31
		.amdhsa_next_free_sgpr 32
		.amdhsa_reserve_vcc 1
		.amdhsa_float_round_mode_32 0
		.amdhsa_float_round_mode_16_64 0
		.amdhsa_float_denorm_mode_32 3
		.amdhsa_float_denorm_mode_16_64 3
		.amdhsa_dx10_clamp 1
		.amdhsa_ieee_mode 1
		.amdhsa_fp16_overflow 0
		.amdhsa_workgroup_processor_mode 1
		.amdhsa_memory_ordered 1
		.amdhsa_forward_progress 0
		.amdhsa_shared_vgpr_count 0
		.amdhsa_exception_fp_ieee_invalid_op 0
		.amdhsa_exception_fp_denorm_src 0
		.amdhsa_exception_fp_ieee_div_zero 0
		.amdhsa_exception_fp_ieee_overflow 0
		.amdhsa_exception_fp_ieee_underflow 0
		.amdhsa_exception_fp_ieee_inexact 0
		.amdhsa_exception_int_div_zero 0
	.end_amdhsa_kernel
	.section	.text._ZL26rocblas_syr2k_her2k_kernelIlLb0ELb0ELb0ELi32EdPKPKdPKPdEvbiT_T4_T5_S7_lS9_S7_lT6_S7_li,"axG",@progbits,_ZL26rocblas_syr2k_her2k_kernelIlLb0ELb0ELb0ELi32EdPKPKdPKPdEvbiT_T4_T5_S7_lS9_S7_lT6_S7_li,comdat
.Lfunc_end1463:
	.size	_ZL26rocblas_syr2k_her2k_kernelIlLb0ELb0ELb0ELi32EdPKPKdPKPdEvbiT_T4_T5_S7_lS9_S7_lT6_S7_li, .Lfunc_end1463-_ZL26rocblas_syr2k_her2k_kernelIlLb0ELb0ELb0ELi32EdPKPKdPKPdEvbiT_T4_T5_S7_lS9_S7_lT6_S7_li
                                        ; -- End function
	.section	.AMDGPU.csdata,"",@progbits
; Kernel info:
; codeLenInByte = 1520
; NumSgprs: 34
; NumVgprs: 31
; ScratchSize: 0
; MemoryBound: 0
; FloatMode: 240
; IeeeMode: 1
; LDSByteSize: 16384 bytes/workgroup (compile time only)
; SGPRBlocks: 4
; VGPRBlocks: 3
; NumSGPRsForWavesPerEU: 34
; NumVGPRsForWavesPerEU: 31
; Occupancy: 16
; WaveLimiterHint : 1
; COMPUTE_PGM_RSRC2:SCRATCH_EN: 0
; COMPUTE_PGM_RSRC2:USER_SGPR: 13
; COMPUTE_PGM_RSRC2:TRAP_HANDLER: 0
; COMPUTE_PGM_RSRC2:TGID_X_EN: 1
; COMPUTE_PGM_RSRC2:TGID_Y_EN: 1
; COMPUTE_PGM_RSRC2:TGID_Z_EN: 1
; COMPUTE_PGM_RSRC2:TIDIG_COMP_CNT: 1
	.section	.text._ZL26rocblas_syr2k_her2k_kernelIlLb0ELb0ELb1ELi32EdPKPKdPKPdEvbiT_T4_T5_S7_lS9_S7_lT6_S7_li,"axG",@progbits,_ZL26rocblas_syr2k_her2k_kernelIlLb0ELb0ELb1ELi32EdPKPKdPKPdEvbiT_T4_T5_S7_lS9_S7_lT6_S7_li,comdat
	.globl	_ZL26rocblas_syr2k_her2k_kernelIlLb0ELb0ELb1ELi32EdPKPKdPKPdEvbiT_T4_T5_S7_lS9_S7_lT6_S7_li ; -- Begin function _ZL26rocblas_syr2k_her2k_kernelIlLb0ELb0ELb1ELi32EdPKPKdPKPdEvbiT_T4_T5_S7_lS9_S7_lT6_S7_li
	.p2align	8
	.type	_ZL26rocblas_syr2k_her2k_kernelIlLb0ELb0ELb1ELi32EdPKPKdPKPdEvbiT_T4_T5_S7_lS9_S7_lT6_S7_li,@function
_ZL26rocblas_syr2k_her2k_kernelIlLb0ELb0ELb1ELi32EdPKPKdPKPdEvbiT_T4_T5_S7_lS9_S7_lT6_S7_li: ; @_ZL26rocblas_syr2k_her2k_kernelIlLb0ELb0ELb1ELi32EdPKPKdPKPdEvbiT_T4_T5_S7_lS9_S7_lT6_S7_li
; %bb.0:
	s_load_b512 s[16:31], s[0:1], 0x8
	s_waitcnt lgkmcnt(0)
	v_cmp_eq_f64_e64 s2, s[18:19], 0
	s_delay_alu instid0(VALU_DEP_1)
	s_and_b32 vcc_lo, exec_lo, s2
	s_cbranch_vccnz .LBB1464_11
; %bb.1:
	s_load_b64 s[2:3], s[0:1], 0x0
	s_lshl_b32 s10, s14, 5
	s_lshl_b32 s11, s13, 5
	s_waitcnt lgkmcnt(0)
	s_and_b32 s2, 1, s2
	s_delay_alu instid0(SALU_CYCLE_1) | instskip(SKIP_1) | instid1(SALU_CYCLE_1)
	s_cmp_eq_u32 s2, 1
	s_cselect_b32 s2, -1, 0
	s_and_b32 s4, s2, exec_lo
	s_cselect_b32 s4, s11, s10
	s_cselect_b32 s5, s10, s11
	s_delay_alu instid0(SALU_CYCLE_1)
	s_cmp_gt_i32 s4, s5
	s_cbranch_scc1 .LBB1464_11
; %bb.2:
	v_cmp_lt_i64_e64 s4, s[16:17], 1
	s_delay_alu instid0(VALU_DEP_1)
	s_and_b32 vcc_lo, exec_lo, s4
	s_cbranch_vccnz .LBB1464_11
; %bb.3:
	s_clause 0x1
	s_load_b128 s[4:7], s[0:1], 0x48
	s_load_b64 s[0:1], s[0:1], 0x58
	s_mov_b32 s8, s15
	s_mov_b32 s9, 0
	v_bfe_u32 v10, v0, 10, 10
	v_and_b32_e32 v11, 0x3ff, v0
	s_lshl_b64 s[8:9], s[8:9], 3
	v_mov_b32_e32 v1, 0
	s_add_u32 s14, s20, s8
	v_add_nc_u32_e32 v2, s10, v10
	s_addc_u32 s15, s21, s9
	s_add_u32 s10, s26, s8
	v_dual_mov_b32 v3, v1 :: v_dual_add_nc_u32 v0, s11, v11
	s_addc_u32 s11, s27, s9
	v_ashrrev_i32_e32 v8, 31, v2
	v_mad_u64_u32 v[4:5], null, s28, v2, 0
	s_delay_alu instid0(VALU_DEP_3)
	v_mad_u64_u32 v[6:7], null, s22, v0, 0
	s_waitcnt lgkmcnt(0)
	s_add_u32 s4, s4, s8
	s_addc_u32 s5, s5, s9
	s_load_b64 s[8:9], s[14:15], 0x0
	s_load_b64 s[4:5], s[4:5], 0x0
	;; [unrolled: 1-line block ×3, first 2 shown]
	v_mul_lo_u32 v17, v8, s6
	v_mul_lo_u32 v21, v2, s7
	v_mad_u64_u32 v[8:9], null, v2, s6, 0
	v_max_i32_e32 v16, v0, v2
	s_lshl_b64 s[0:1], s[0:1], 3
	s_mov_b32 s12, s3
	v_cndmask_b32_e64 v18, v0, v2, s2
	v_cndmask_b32_e64 v20, v2, v0, s2
	v_cmp_gt_i32_e32 vcc_lo, s3, v16
	v_add3_u32 v9, v9, v21, v17
	v_mad_u64_u32 v[16:17], null, s29, v2, v[5:6]
	s_delay_alu instid0(VALU_DEP_4)
	v_cmp_le_i32_e64 s2, v20, v18
	v_lshlrev_b32_e32 v19, 3, v10
	s_waitcnt lgkmcnt(0)
	s_add_u32 s4, s4, s0
	s_addc_u32 s5, s5, s1
	s_ashr_i32 s13, s3, 31
	s_delay_alu instid0(VALU_DEP_3)
	v_mov_b32_e32 v5, v16
	v_cmp_gt_i64_e64 s1, s[12:13], v[2:3]
	v_mov_b32_e32 v2, v7
	v_cmp_gt_i64_e64 s0, s[12:13], v[0:1]
	v_ashrrev_i32_e32 v1, 31, v0
	v_lshlrev_b64 v[7:8], 3, v[8:9]
	v_lshlrev_b32_e32 v12, 8, v11
	v_mad_u64_u32 v[17:18], null, s23, v0, v[2:3]
	s_delay_alu instid0(VALU_DEP_4) | instskip(SKIP_2) | instid1(VALU_DEP_1)
	v_lshlrev_b64 v[0:1], 3, v[0:1]
	v_lshlrev_b64 v[2:3], 3, v[4:5]
	v_add_co_u32 v9, s3, s4, v7
	v_add_co_ci_u32_e64 v8, s3, s5, v8, s3
	v_mov_b32_e32 v7, v17
	s_delay_alu instid0(VALU_DEP_3) | instskip(SKIP_1) | instid1(VALU_DEP_3)
	v_add_co_u32 v0, s3, v9, v0
	s_lshl_b64 s[4:5], s[30:31], 3
	v_add_co_ci_u32_e64 v1, s3, v8, v1, s3
	s_delay_alu instid0(VALU_DEP_3) | instskip(SKIP_2) | instid1(VALU_DEP_1)
	v_lshlrev_b64 v[4:5], 3, v[6:7]
	v_lshlrev_b32_e32 v6, 3, v11
	v_add_co_u32 v2, s3, v2, s4
	v_add_co_ci_u32_e64 v3, s3, s5, v3, s3
	s_lshl_b64 s[4:5], s[24:25], 3
	v_or_b32_e32 v14, 0x2000, v19
	v_add_co_u32 v4, s3, v4, s4
	s_delay_alu instid0(VALU_DEP_1) | instskip(SKIP_1) | instid1(VALU_DEP_1)
	v_add_co_ci_u32_e64 v5, s3, s5, v5, s3
	v_add_co_u32 v2, s3, v2, v6
	v_add_co_ci_u32_e64 v3, s3, 0, v3, s3
	s_delay_alu instid0(VALU_DEP_4) | instskip(NEXT) | instid1(VALU_DEP_1)
	v_add_co_u32 v4, s3, v4, v19
	v_add_co_ci_u32_e64 v5, s3, 0, v5, s3
	s_delay_alu instid0(VALU_DEP_4) | instskip(NEXT) | instid1(VALU_DEP_1)
	v_add_co_u32 v2, s3, s10, v2
	v_add_co_ci_u32_e64 v3, s3, s11, v3, s3
	s_delay_alu instid0(VALU_DEP_4)
	v_add_co_u32 v4, s3, s8, v4
	v_add_nc_u32_e32 v13, v12, v19
	v_add_nc_u32_e32 v15, v14, v12
	v_add_co_ci_u32_e64 v5, s3, s9, v5, s3
	v_add_nc_u32_e32 v16, 0x800, v14
	v_add_nc_u32_e32 v17, 0x1000, v14
	;; [unrolled: 1-line block ×3, first 2 shown]
	s_and_b32 s4, s2, vcc_lo
	s_mov_b64 s[2:3], 0
	s_branch .LBB1464_5
.LBB1464_4:                             ;   in Loop: Header=BB1464_5 Depth=1
	s_or_b32 exec_lo, exec_lo, s5
	s_add_u32 s2, s2, 32
	s_addc_u32 s3, s3, 0
	v_add_co_u32 v2, vcc_lo, 0x100, v2
	v_cmp_lt_i64_e64 s5, s[2:3], s[16:17]
	v_add_co_ci_u32_e32 v3, vcc_lo, 0, v3, vcc_lo
	v_add_co_u32 v4, vcc_lo, 0x100, v4
	v_add_co_ci_u32_e32 v5, vcc_lo, 0, v5, vcc_lo
	s_delay_alu instid0(VALU_DEP_4)
	s_and_b32 vcc_lo, exec_lo, s5
	s_waitcnt_vscnt null, 0x0
	s_barrier
	buffer_gl0_inv
	s_cbranch_vccz .LBB1464_11
.LBB1464_5:                             ; =>This Inner Loop Header: Depth=1
	v_add_co_u32 v8, s5, v10, s2
	s_delay_alu instid0(VALU_DEP_1) | instskip(SKIP_2) | instid1(VALU_DEP_3)
	v_add_co_ci_u32_e64 v9, null, 0, s3, s5
	v_mov_b32_e32 v6, 0
	v_mov_b32_e32 v7, 0
	v_cmp_gt_i64_e32 vcc_lo, s[16:17], v[8:9]
	s_delay_alu instid0(VALU_DEP_2) | instskip(SKIP_1) | instid1(SALU_CYCLE_1)
	v_dual_mov_b32 v9, v7 :: v_dual_mov_b32 v8, v6
	s_and_b32 s6, s0, vcc_lo
	s_and_saveexec_b32 s5, s6
	s_cbranch_execz .LBB1464_7
; %bb.6:                                ;   in Loop: Header=BB1464_5 Depth=1
	global_load_b64 v[8:9], v[4:5], off
.LBB1464_7:                             ;   in Loop: Header=BB1464_5 Depth=1
	s_or_b32 exec_lo, exec_lo, s5
	v_add_co_u32 v19, s5, v11, s2
	s_delay_alu instid0(VALU_DEP_1) | instskip(SKIP_4) | instid1(SALU_CYCLE_1)
	v_add_co_ci_u32_e64 v20, null, 0, s3, s5
	s_waitcnt vmcnt(0)
	ds_store_b64 v13, v[8:9]
	v_cmp_gt_i64_e32 vcc_lo, s[16:17], v[19:20]
	s_and_b32 s6, s1, vcc_lo
	s_and_saveexec_b32 s5, s6
	s_cbranch_execz .LBB1464_9
; %bb.8:                                ;   in Loop: Header=BB1464_5 Depth=1
	global_load_b64 v[6:7], v[2:3], off
.LBB1464_9:                             ;   in Loop: Header=BB1464_5 Depth=1
	s_or_b32 exec_lo, exec_lo, s5
	s_waitcnt vmcnt(0)
	ds_store_b64 v15, v[6:7]
	s_waitcnt lgkmcnt(0)
	s_barrier
	buffer_gl0_inv
	s_and_saveexec_b32 s5, s4
	s_cbranch_execz .LBB1464_4
; %bb.10:                               ;   in Loop: Header=BB1464_5 Depth=1
	ds_load_2addr_b64 v[6:9], v14 offset1:32
	ds_load_b128 v[19:22], v12
	ds_load_b128 v[23:26], v12 offset:16
	s_waitcnt lgkmcnt(1)
	v_fma_f64 v[6:7], v[19:20], v[6:7], 0
	s_delay_alu instid0(VALU_DEP_1) | instskip(SKIP_3) | instid1(VALU_DEP_1)
	v_fma_f64 v[19:20], v[21:22], v[8:9], v[6:7]
	ds_load_2addr_b64 v[6:9], v14 offset0:64 offset1:96
	s_waitcnt lgkmcnt(0)
	v_fma_f64 v[6:7], v[23:24], v[6:7], v[19:20]
	v_fma_f64 v[27:28], v[25:26], v[8:9], v[6:7]
	ds_load_2addr_b64 v[6:9], v14 offset0:128 offset1:160
	ds_load_b128 v[19:22], v12 offset:32
	ds_load_b128 v[23:26], v12 offset:48
	s_waitcnt lgkmcnt(1)
	v_fma_f64 v[6:7], v[19:20], v[6:7], v[27:28]
	s_delay_alu instid0(VALU_DEP_1) | instskip(SKIP_3) | instid1(VALU_DEP_1)
	v_fma_f64 v[19:20], v[21:22], v[8:9], v[6:7]
	ds_load_2addr_b64 v[6:9], v14 offset0:192 offset1:224
	s_waitcnt lgkmcnt(0)
	v_fma_f64 v[6:7], v[23:24], v[6:7], v[19:20]
	v_fma_f64 v[27:28], v[25:26], v[8:9], v[6:7]
	ds_load_2addr_b64 v[6:9], v16 offset1:32
	ds_load_b128 v[19:22], v12 offset:64
	ds_load_b128 v[23:26], v12 offset:80
	s_waitcnt lgkmcnt(1)
	v_fma_f64 v[6:7], v[19:20], v[6:7], v[27:28]
	s_delay_alu instid0(VALU_DEP_1) | instskip(SKIP_3) | instid1(VALU_DEP_1)
	v_fma_f64 v[19:20], v[21:22], v[8:9], v[6:7]
	ds_load_2addr_b64 v[6:9], v16 offset0:64 offset1:96
	s_waitcnt lgkmcnt(0)
	v_fma_f64 v[6:7], v[23:24], v[6:7], v[19:20]
	v_fma_f64 v[27:28], v[25:26], v[8:9], v[6:7]
	ds_load_2addr_b64 v[6:9], v16 offset0:128 offset1:160
	ds_load_b128 v[19:22], v12 offset:96
	ds_load_b128 v[23:26], v12 offset:112
	s_waitcnt lgkmcnt(1)
	v_fma_f64 v[6:7], v[19:20], v[6:7], v[27:28]
	s_delay_alu instid0(VALU_DEP_1) | instskip(SKIP_3) | instid1(VALU_DEP_1)
	v_fma_f64 v[19:20], v[21:22], v[8:9], v[6:7]
	ds_load_2addr_b64 v[6:9], v16 offset0:192 offset1:224
	s_waitcnt lgkmcnt(0)
	v_fma_f64 v[6:7], v[23:24], v[6:7], v[19:20]
	v_fma_f64 v[27:28], v[25:26], v[8:9], v[6:7]
	ds_load_2addr_b64 v[6:9], v17 offset1:32
	ds_load_b128 v[19:22], v12 offset:128
	;; [unrolled: 22-line block ×3, first 2 shown]
	global_load_b64 v[29:30], v[0:1], off
	ds_load_b128 v[23:26], v12 offset:208
	s_waitcnt lgkmcnt(1)
	v_fma_f64 v[6:7], v[19:20], v[6:7], v[27:28]
	s_delay_alu instid0(VALU_DEP_1) | instskip(SKIP_3) | instid1(VALU_DEP_1)
	v_fma_f64 v[19:20], v[21:22], v[8:9], v[6:7]
	ds_load_2addr_b64 v[6:9], v18 offset0:64 offset1:96
	s_waitcnt lgkmcnt(0)
	v_fma_f64 v[6:7], v[23:24], v[6:7], v[19:20]
	v_fma_f64 v[27:28], v[25:26], v[8:9], v[6:7]
	ds_load_2addr_b64 v[6:9], v18 offset0:128 offset1:160
	ds_load_b128 v[19:22], v12 offset:224
	ds_load_b128 v[23:26], v12 offset:240
	s_waitcnt lgkmcnt(1)
	v_fma_f64 v[6:7], v[19:20], v[6:7], v[27:28]
	s_delay_alu instid0(VALU_DEP_1) | instskip(SKIP_3) | instid1(VALU_DEP_1)
	v_fma_f64 v[19:20], v[21:22], v[8:9], v[6:7]
	ds_load_2addr_b64 v[6:9], v18 offset0:192 offset1:224
	s_waitcnt lgkmcnt(0)
	v_fma_f64 v[6:7], v[23:24], v[6:7], v[19:20]
	v_fma_f64 v[6:7], v[25:26], v[8:9], v[6:7]
	s_waitcnt vmcnt(0)
	s_delay_alu instid0(VALU_DEP_1)
	v_fma_f64 v[6:7], v[6:7], s[18:19], v[29:30]
	global_store_b64 v[0:1], v[6:7], off
	s_branch .LBB1464_4
.LBB1464_11:
	s_endpgm
	.section	.rodata,"a",@progbits
	.p2align	6, 0x0
	.amdhsa_kernel _ZL26rocblas_syr2k_her2k_kernelIlLb0ELb0ELb1ELi32EdPKPKdPKPdEvbiT_T4_T5_S7_lS9_S7_lT6_S7_li
		.amdhsa_group_segment_fixed_size 16384
		.amdhsa_private_segment_fixed_size 0
		.amdhsa_kernarg_size 100
		.amdhsa_user_sgpr_count 13
		.amdhsa_user_sgpr_dispatch_ptr 0
		.amdhsa_user_sgpr_queue_ptr 0
		.amdhsa_user_sgpr_kernarg_segment_ptr 1
		.amdhsa_user_sgpr_dispatch_id 0
		.amdhsa_user_sgpr_private_segment_size 0
		.amdhsa_wavefront_size32 1
		.amdhsa_uses_dynamic_stack 0
		.amdhsa_enable_private_segment 0
		.amdhsa_system_sgpr_workgroup_id_x 1
		.amdhsa_system_sgpr_workgroup_id_y 1
		.amdhsa_system_sgpr_workgroup_id_z 1
		.amdhsa_system_sgpr_workgroup_info 0
		.amdhsa_system_vgpr_workitem_id 1
		.amdhsa_next_free_vgpr 31
		.amdhsa_next_free_sgpr 32
		.amdhsa_reserve_vcc 1
		.amdhsa_float_round_mode_32 0
		.amdhsa_float_round_mode_16_64 0
		.amdhsa_float_denorm_mode_32 3
		.amdhsa_float_denorm_mode_16_64 3
		.amdhsa_dx10_clamp 1
		.amdhsa_ieee_mode 1
		.amdhsa_fp16_overflow 0
		.amdhsa_workgroup_processor_mode 1
		.amdhsa_memory_ordered 1
		.amdhsa_forward_progress 0
		.amdhsa_shared_vgpr_count 0
		.amdhsa_exception_fp_ieee_invalid_op 0
		.amdhsa_exception_fp_denorm_src 0
		.amdhsa_exception_fp_ieee_div_zero 0
		.amdhsa_exception_fp_ieee_overflow 0
		.amdhsa_exception_fp_ieee_underflow 0
		.amdhsa_exception_fp_ieee_inexact 0
		.amdhsa_exception_int_div_zero 0
	.end_amdhsa_kernel
	.section	.text._ZL26rocblas_syr2k_her2k_kernelIlLb0ELb0ELb1ELi32EdPKPKdPKPdEvbiT_T4_T5_S7_lS9_S7_lT6_S7_li,"axG",@progbits,_ZL26rocblas_syr2k_her2k_kernelIlLb0ELb0ELb1ELi32EdPKPKdPKPdEvbiT_T4_T5_S7_lS9_S7_lT6_S7_li,comdat
.Lfunc_end1464:
	.size	_ZL26rocblas_syr2k_her2k_kernelIlLb0ELb0ELb1ELi32EdPKPKdPKPdEvbiT_T4_T5_S7_lS9_S7_lT6_S7_li, .Lfunc_end1464-_ZL26rocblas_syr2k_her2k_kernelIlLb0ELb0ELb1ELi32EdPKPKdPKPdEvbiT_T4_T5_S7_lS9_S7_lT6_S7_li
                                        ; -- End function
	.section	.AMDGPU.csdata,"",@progbits
; Kernel info:
; codeLenInByte = 1548
; NumSgprs: 34
; NumVgprs: 31
; ScratchSize: 0
; MemoryBound: 0
; FloatMode: 240
; IeeeMode: 1
; LDSByteSize: 16384 bytes/workgroup (compile time only)
; SGPRBlocks: 4
; VGPRBlocks: 3
; NumSGPRsForWavesPerEU: 34
; NumVGPRsForWavesPerEU: 31
; Occupancy: 16
; WaveLimiterHint : 1
; COMPUTE_PGM_RSRC2:SCRATCH_EN: 0
; COMPUTE_PGM_RSRC2:USER_SGPR: 13
; COMPUTE_PGM_RSRC2:TRAP_HANDLER: 0
; COMPUTE_PGM_RSRC2:TGID_X_EN: 1
; COMPUTE_PGM_RSRC2:TGID_Y_EN: 1
; COMPUTE_PGM_RSRC2:TGID_Z_EN: 1
; COMPUTE_PGM_RSRC2:TIDIG_COMP_CNT: 1
	.section	.text._ZL37rocblas_syrkx_herkx_restricted_kernelIldLi16ELi32ELi8ELi1ELi1ELb0ELc84ELc76EKPKdKPdEviT_PT9_S5_lS7_S5_lPT10_S5_li,"axG",@progbits,_ZL37rocblas_syrkx_herkx_restricted_kernelIldLi16ELi32ELi8ELi1ELi1ELb0ELc84ELc76EKPKdKPdEviT_PT9_S5_lS7_S5_lPT10_S5_li,comdat
	.globl	_ZL37rocblas_syrkx_herkx_restricted_kernelIldLi16ELi32ELi8ELi1ELi1ELb0ELc84ELc76EKPKdKPdEviT_PT9_S5_lS7_S5_lPT10_S5_li ; -- Begin function _ZL37rocblas_syrkx_herkx_restricted_kernelIldLi16ELi32ELi8ELi1ELi1ELb0ELc84ELc76EKPKdKPdEviT_PT9_S5_lS7_S5_lPT10_S5_li
	.p2align	8
	.type	_ZL37rocblas_syrkx_herkx_restricted_kernelIldLi16ELi32ELi8ELi1ELi1ELb0ELc84ELc76EKPKdKPdEviT_PT9_S5_lS7_S5_lPT10_S5_li,@function
_ZL37rocblas_syrkx_herkx_restricted_kernelIldLi16ELi32ELi8ELi1ELi1ELb0ELc84ELc76EKPKdKPdEviT_PT9_S5_lS7_S5_lPT10_S5_li: ; @_ZL37rocblas_syrkx_herkx_restricted_kernelIldLi16ELi32ELi8ELi1ELi1ELb0ELc84ELc76EKPKdKPdEviT_PT9_S5_lS7_S5_lPT10_S5_li
; %bb.0:
	s_clause 0x1
	s_load_b128 s[4:7], s[0:1], 0x40
	s_load_b128 s[8:11], s[0:1], 0x8
	s_mov_b32 s2, s15
	s_mov_b32 s3, 0
	v_mov_b32_e32 v10, 0
	s_lshl_b64 s[16:17], s[2:3], 3
	v_dual_mov_b32 v11, 0 :: v_dual_and_b32 v12, 0x3ff, v0
	v_bfe_u32 v13, v0, 10, 10
	s_delay_alu instid0(VALU_DEP_3) | instskip(NEXT) | instid1(VALU_DEP_3)
	v_mov_b32_e32 v8, v10
	v_dual_mov_b32 v2, v10 :: v_dual_mov_b32 v3, v11
	v_dual_mov_b32 v9, v11 :: v_dual_mov_b32 v0, v10
	v_mov_b32_e32 v1, v11
	s_waitcnt lgkmcnt(0)
	s_add_u32 s2, s4, s16
	s_addc_u32 s3, s5, s17
	v_cmp_lt_i64_e64 s4, s[8:9], 1
	s_load_b64 s[2:3], s[2:3], 0x0
	s_lshl_b32 s18, s13, 5
	s_lshl_b32 s19, s14, 5
	s_delay_alu instid0(VALU_DEP_1)
	s_and_b32 vcc_lo, exec_lo, s4
	s_cbranch_vccnz .LBB1465_3
; %bb.1:
	s_clause 0x1
	s_load_b128 s[12:15], s[0:1], 0x28
	s_load_b64 s[4:5], s[0:1], 0x18
	v_lshl_add_u32 v2, v13, 4, v12
	v_dual_mov_b32 v1, 0 :: v_dual_and_b32 v0, 7, v12
	s_add_u32 s10, s10, s16
	s_addc_u32 s11, s11, s17
	s_delay_alu instid0(VALU_DEP_2)
	v_lshrrev_b32_e32 v8, 3, v2
	v_and_b32_e32 v9, 31, v2
	v_lshrrev_b32_e32 v2, 5, v2
	v_mov_b32_e32 v3, v1
	s_load_b64 s[10:11], s[10:11], 0x0
	v_add_nc_u32_e32 v10, s19, v8
	v_add_nc_u32_e32 v6, s18, v9
	v_lshl_add_u32 v17, v13, 6, 0x800
	s_delay_alu instid0(VALU_DEP_3) | instskip(NEXT) | instid1(VALU_DEP_3)
	v_ashrrev_i32_e32 v4, 31, v10
	v_ashrrev_i32_e32 v5, 31, v6
	s_waitcnt lgkmcnt(0)
	s_add_u32 s12, s12, s16
	s_addc_u32 s13, s13, s17
	v_mul_lo_u32 v11, v4, s14
	v_mul_lo_u32 v15, s4, v5
	v_mad_u64_u32 v[4:5], null, s4, v6, v[2:3]
	v_mul_lo_u32 v3, s5, v6
	s_load_b64 s[4:5], s[12:13], 0x0
	v_mul_lo_u32 v14, v10, s15
	v_mad_u64_u32 v[6:7], null, v10, s14, v[0:1]
	v_lshlrev_b32_e32 v0, 3, v0
	v_lshlrev_b32_e32 v1, 3, v9
	v_add3_u32 v5, v3, v5, v15
	s_delay_alu instid0(VALU_DEP_3) | instskip(SKIP_1) | instid1(VALU_DEP_4)
	v_lshl_or_b32 v0, v8, 6, v0
	v_add3_u32 v7, v11, v7, v14
	v_lshl_or_b32 v14, v2, 8, v1
	s_delay_alu instid0(VALU_DEP_4) | instskip(NEXT) | instid1(VALU_DEP_4)
	v_lshlrev_b64 v[2:3], 3, v[4:5]
	v_add_nc_u32_e32 v15, 0x800, v0
	s_delay_alu instid0(VALU_DEP_4)
	v_lshlrev_b64 v[6:7], 3, v[6:7]
	v_mov_b32_e32 v0, 0
	v_mov_b32_e32 v1, 0
	v_add_co_u32 v4, vcc_lo, s10, v2
	v_add_co_ci_u32_e32 v5, vcc_lo, s11, v3, vcc_lo
	s_waitcnt lgkmcnt(0)
	v_add_co_u32 v6, vcc_lo, s4, v6
	v_dual_mov_b32 v3, v1 :: v_dual_lshlrev_b32 v16, 3, v12
	v_add_co_ci_u32_e32 v7, vcc_lo, s5, v7, vcc_lo
	v_dual_mov_b32 v2, v0 :: v_dual_mov_b32 v9, v1
	v_dual_mov_b32 v8, v0 :: v_dual_mov_b32 v11, v1
	v_mov_b32_e32 v10, v0
	s_mov_b64 s[4:5], 0
.LBB1465_2:                             ; =>This Inner Loop Header: Depth=1
	global_load_b64 v[18:19], v[4:5], off
	global_load_b64 v[20:21], v[6:7], off
	s_add_u32 s4, s4, 8
	v_add_co_u32 v4, vcc_lo, v4, 64
	s_addc_u32 s5, s5, 0
	v_add_co_ci_u32_e32 v5, vcc_lo, 0, v5, vcc_lo
	v_cmp_ge_u64_e64 s10, s[4:5], s[8:9]
	v_add_co_u32 v6, vcc_lo, v6, 64
	v_add_co_ci_u32_e32 v7, vcc_lo, 0, v7, vcc_lo
	s_waitcnt vmcnt(1)
	ds_store_b64 v14, v[18:19]
	s_waitcnt vmcnt(0)
	ds_store_b64 v15, v[20:21]
	s_waitcnt lgkmcnt(0)
	s_barrier
	buffer_gl0_inv
	ds_load_2addr_b64 v[18:21], v16 offset1:16
	ds_load_b128 v[22:25], v17
	ds_load_b128 v[26:29], v17 offset:1024
	ds_load_b128 v[30:33], v17 offset:16
	;; [unrolled: 1-line block ×3, first 2 shown]
	s_and_b32 vcc_lo, exec_lo, s10
	s_waitcnt lgkmcnt(3)
	v_fma_f64 v[10:11], v[18:19], v[22:23], v[10:11]
	v_fma_f64 v[8:9], v[20:21], v[22:23], v[8:9]
	s_waitcnt lgkmcnt(2)
	v_fma_f64 v[18:19], v[18:19], v[26:27], v[2:3]
	v_fma_f64 v[20:21], v[20:21], v[26:27], v[0:1]
	ds_load_2addr_b64 v[0:3], v16 offset0:32 offset1:48
	s_waitcnt lgkmcnt(0)
	v_fma_f64 v[10:11], v[0:1], v[24:25], v[10:11]
	v_fma_f64 v[8:9], v[2:3], v[24:25], v[8:9]
	v_fma_f64 v[18:19], v[0:1], v[28:29], v[18:19]
	v_fma_f64 v[20:21], v[2:3], v[28:29], v[20:21]
	ds_load_2addr_b64 v[0:3], v16 offset0:64 offset1:80
	s_waitcnt lgkmcnt(0)
	v_fma_f64 v[10:11], v[0:1], v[30:31], v[10:11]
	v_fma_f64 v[8:9], v[2:3], v[30:31], v[8:9]
	v_fma_f64 v[18:19], v[0:1], v[34:35], v[18:19]
	v_fma_f64 v[20:21], v[2:3], v[34:35], v[20:21]
	ds_load_2addr_b64 v[0:3], v16 offset0:96 offset1:112
	s_waitcnt lgkmcnt(0)
	v_fma_f64 v[30:31], v[0:1], v[32:33], v[10:11]
	v_fma_f64 v[32:33], v[2:3], v[32:33], v[8:9]
	v_fma_f64 v[34:35], v[0:1], v[36:37], v[18:19]
	v_fma_f64 v[36:37], v[2:3], v[36:37], v[20:21]
	ds_load_2addr_b64 v[0:3], v16 offset0:128 offset1:144
	ds_load_b128 v[8:11], v17 offset:32
	ds_load_b128 v[18:21], v17 offset:1056
	;; [unrolled: 1-line block ×4, first 2 shown]
	s_waitcnt lgkmcnt(3)
	v_fma_f64 v[30:31], v[0:1], v[8:9], v[30:31]
	v_fma_f64 v[8:9], v[2:3], v[8:9], v[32:33]
	s_waitcnt lgkmcnt(2)
	v_fma_f64 v[32:33], v[0:1], v[18:19], v[34:35]
	v_fma_f64 v[18:19], v[2:3], v[18:19], v[36:37]
	ds_load_2addr_b64 v[0:3], v16 offset0:160 offset1:176
	s_waitcnt lgkmcnt(0)
	v_fma_f64 v[30:31], v[0:1], v[10:11], v[30:31]
	v_fma_f64 v[8:9], v[2:3], v[10:11], v[8:9]
	v_fma_f64 v[10:11], v[0:1], v[20:21], v[32:33]
	v_fma_f64 v[18:19], v[2:3], v[20:21], v[18:19]
	ds_load_2addr_b64 v[0:3], v16 offset0:192 offset1:208
	s_waitcnt lgkmcnt(0)
	v_fma_f64 v[30:31], v[0:1], v[22:23], v[30:31]
	v_fma_f64 v[8:9], v[2:3], v[22:23], v[8:9]
	;; [unrolled: 1-line block ×4, first 2 shown]
	ds_load_2addr_b64 v[18:21], v16 offset0:224 offset1:240
	s_waitcnt lgkmcnt(0)
	s_barrier
	buffer_gl0_inv
	v_fma_f64 v[10:11], v[18:19], v[24:25], v[30:31]
	v_fma_f64 v[8:9], v[20:21], v[24:25], v[8:9]
	;; [unrolled: 1-line block ×4, first 2 shown]
	s_cbranch_vccz .LBB1465_2
.LBB1465_3:
	v_add_nc_u32_e32 v13, s19, v13
	s_load_b32 s4, s[0:1], 0x0
	s_delay_alu instid0(VALU_DEP_1) | instskip(SKIP_2) | instid1(VALU_DEP_3)
	v_ashrrev_i32_e32 v4, 31, v13
	v_mul_lo_u32 v7, v13, s7
	v_mad_u64_u32 v[5:6], null, v13, s6, 0
	v_mul_lo_u32 v4, v4, s6
	s_delay_alu instid0(VALU_DEP_1) | instskip(SKIP_1) | instid1(VALU_DEP_2)
	v_add3_u32 v6, v6, v7, v4
	v_add_nc_u32_e32 v4, s18, v12
	v_lshlrev_b64 v[5:6], 3, v[5:6]
	s_delay_alu instid0(VALU_DEP_2) | instskip(SKIP_2) | instid1(VALU_DEP_3)
	v_cmp_le_i32_e64 s0, v13, v4
	s_waitcnt lgkmcnt(0)
	v_cmp_gt_i32_e32 vcc_lo, s4, v4
	v_add_co_u32 v12, s1, s2, v5
	s_delay_alu instid0(VALU_DEP_1) | instskip(SKIP_1) | instid1(SALU_CYCLE_1)
	v_add_co_ci_u32_e64 v14, s1, s3, v6, s1
	s_and_b32 s0, s0, vcc_lo
	s_and_saveexec_b32 s1, s0
	s_cbranch_execz .LBB1465_5
; %bb.4:
	v_ashrrev_i32_e32 v5, 31, v4
	s_delay_alu instid0(VALU_DEP_1) | instskip(NEXT) | instid1(VALU_DEP_1)
	v_lshlrev_b64 v[5:6], 3, v[4:5]
	v_add_co_u32 v5, s0, v12, v5
	s_delay_alu instid0(VALU_DEP_1)
	v_add_co_ci_u32_e64 v6, s0, v14, v6, s0
	global_load_b64 v[15:16], v[5:6], off
	s_waitcnt vmcnt(0)
	v_add_f64 v[10:11], v[10:11], v[15:16]
	global_store_b64 v[5:6], v[10:11], off
.LBB1465_5:
	s_or_b32 exec_lo, exec_lo, s1
	v_add_nc_u32_e32 v6, 16, v4
	s_delay_alu instid0(VALU_DEP_1) | instskip(SKIP_1) | instid1(VALU_DEP_1)
	v_cmp_le_i32_e64 s1, v13, v6
	v_cmp_gt_i32_e64 s0, s4, v6
	s_and_b32 s1, s1, s0
	s_delay_alu instid0(SALU_CYCLE_1)
	s_and_saveexec_b32 s4, s1
	s_cbranch_execz .LBB1465_7
; %bb.6:
	v_ashrrev_i32_e32 v7, 31, v6
	s_delay_alu instid0(VALU_DEP_1) | instskip(NEXT) | instid1(VALU_DEP_1)
	v_lshlrev_b64 v[10:11], 3, v[6:7]
	v_add_co_u32 v10, s1, v12, v10
	s_delay_alu instid0(VALU_DEP_1)
	v_add_co_ci_u32_e64 v11, s1, v14, v11, s1
	global_load_b64 v[14:15], v[10:11], off
	s_waitcnt vmcnt(0)
	v_add_f64 v[7:8], v[8:9], v[14:15]
	global_store_b64 v[10:11], v[7:8], off
.LBB1465_7:
	s_or_b32 exec_lo, exec_lo, s4
	v_add_nc_u32_e32 v7, 16, v13
	s_delay_alu instid0(VALU_DEP_1) | instskip(SKIP_3) | instid1(VALU_DEP_4)
	v_ashrrev_i32_e32 v5, 31, v7
	v_mul_lo_u32 v10, v7, s7
	v_mad_u64_u32 v[8:9], null, v7, s6, 0
	v_cmp_le_i32_e64 s1, v7, v4
	v_mul_lo_u32 v5, v5, s6
	s_delay_alu instid0(VALU_DEP_1) | instskip(NEXT) | instid1(VALU_DEP_1)
	v_add3_u32 v9, v9, v10, v5
	v_lshlrev_b64 v[8:9], 3, v[8:9]
	s_delay_alu instid0(VALU_DEP_1) | instskip(NEXT) | instid1(VALU_DEP_1)
	v_add_co_u32 v8, s2, s2, v8
	v_add_co_ci_u32_e64 v9, s2, s3, v9, s2
	s_and_b32 s2, s1, vcc_lo
	s_delay_alu instid0(SALU_CYCLE_1)
	s_and_saveexec_b32 s1, s2
	s_cbranch_execz .LBB1465_9
; %bb.8:
	v_ashrrev_i32_e32 v5, 31, v4
	s_delay_alu instid0(VALU_DEP_1) | instskip(NEXT) | instid1(VALU_DEP_1)
	v_lshlrev_b64 v[4:5], 3, v[4:5]
	v_add_co_u32 v4, vcc_lo, v8, v4
	s_delay_alu instid0(VALU_DEP_2)
	v_add_co_ci_u32_e32 v5, vcc_lo, v9, v5, vcc_lo
	global_load_b64 v[10:11], v[4:5], off
	s_waitcnt vmcnt(0)
	v_add_f64 v[2:3], v[2:3], v[10:11]
	global_store_b64 v[4:5], v[2:3], off
.LBB1465_9:
	s_or_b32 exec_lo, exec_lo, s1
	v_cmp_le_i32_e32 vcc_lo, v7, v6
	s_and_b32 s0, vcc_lo, s0
	s_delay_alu instid0(SALU_CYCLE_1)
	s_and_saveexec_b32 s1, s0
	s_cbranch_execz .LBB1465_11
; %bb.10:
	v_ashrrev_i32_e32 v7, 31, v6
	s_delay_alu instid0(VALU_DEP_1) | instskip(NEXT) | instid1(VALU_DEP_1)
	v_lshlrev_b64 v[2:3], 3, v[6:7]
	v_add_co_u32 v2, vcc_lo, v8, v2
	s_delay_alu instid0(VALU_DEP_2)
	v_add_co_ci_u32_e32 v3, vcc_lo, v9, v3, vcc_lo
	global_load_b64 v[4:5], v[2:3], off
	s_waitcnt vmcnt(0)
	v_add_f64 v[0:1], v[0:1], v[4:5]
	global_store_b64 v[2:3], v[0:1], off
.LBB1465_11:
	s_nop 0
	s_sendmsg sendmsg(MSG_DEALLOC_VGPRS)
	s_endpgm
	.section	.rodata,"a",@progbits
	.p2align	6, 0x0
	.amdhsa_kernel _ZL37rocblas_syrkx_herkx_restricted_kernelIldLi16ELi32ELi8ELi1ELi1ELb0ELc84ELc76EKPKdKPdEviT_PT9_S5_lS7_S5_lPT10_S5_li
		.amdhsa_group_segment_fixed_size 4096
		.amdhsa_private_segment_fixed_size 0
		.amdhsa_kernarg_size 92
		.amdhsa_user_sgpr_count 13
		.amdhsa_user_sgpr_dispatch_ptr 0
		.amdhsa_user_sgpr_queue_ptr 0
		.amdhsa_user_sgpr_kernarg_segment_ptr 1
		.amdhsa_user_sgpr_dispatch_id 0
		.amdhsa_user_sgpr_private_segment_size 0
		.amdhsa_wavefront_size32 1
		.amdhsa_uses_dynamic_stack 0
		.amdhsa_enable_private_segment 0
		.amdhsa_system_sgpr_workgroup_id_x 1
		.amdhsa_system_sgpr_workgroup_id_y 1
		.amdhsa_system_sgpr_workgroup_id_z 1
		.amdhsa_system_sgpr_workgroup_info 0
		.amdhsa_system_vgpr_workitem_id 1
		.amdhsa_next_free_vgpr 38
		.amdhsa_next_free_sgpr 20
		.amdhsa_reserve_vcc 1
		.amdhsa_float_round_mode_32 0
		.amdhsa_float_round_mode_16_64 0
		.amdhsa_float_denorm_mode_32 3
		.amdhsa_float_denorm_mode_16_64 3
		.amdhsa_dx10_clamp 1
		.amdhsa_ieee_mode 1
		.amdhsa_fp16_overflow 0
		.amdhsa_workgroup_processor_mode 1
		.amdhsa_memory_ordered 1
		.amdhsa_forward_progress 0
		.amdhsa_shared_vgpr_count 0
		.amdhsa_exception_fp_ieee_invalid_op 0
		.amdhsa_exception_fp_denorm_src 0
		.amdhsa_exception_fp_ieee_div_zero 0
		.amdhsa_exception_fp_ieee_overflow 0
		.amdhsa_exception_fp_ieee_underflow 0
		.amdhsa_exception_fp_ieee_inexact 0
		.amdhsa_exception_int_div_zero 0
	.end_amdhsa_kernel
	.section	.text._ZL37rocblas_syrkx_herkx_restricted_kernelIldLi16ELi32ELi8ELi1ELi1ELb0ELc84ELc76EKPKdKPdEviT_PT9_S5_lS7_S5_lPT10_S5_li,"axG",@progbits,_ZL37rocblas_syrkx_herkx_restricted_kernelIldLi16ELi32ELi8ELi1ELi1ELb0ELc84ELc76EKPKdKPdEviT_PT9_S5_lS7_S5_lPT10_S5_li,comdat
.Lfunc_end1465:
	.size	_ZL37rocblas_syrkx_herkx_restricted_kernelIldLi16ELi32ELi8ELi1ELi1ELb0ELc84ELc76EKPKdKPdEviT_PT9_S5_lS7_S5_lPT10_S5_li, .Lfunc_end1465-_ZL37rocblas_syrkx_herkx_restricted_kernelIldLi16ELi32ELi8ELi1ELi1ELb0ELc84ELc76EKPKdKPdEviT_PT9_S5_lS7_S5_lPT10_S5_li
                                        ; -- End function
	.section	.AMDGPU.csdata,"",@progbits
; Kernel info:
; codeLenInByte = 1540
; NumSgprs: 22
; NumVgprs: 38
; ScratchSize: 0
; MemoryBound: 0
; FloatMode: 240
; IeeeMode: 1
; LDSByteSize: 4096 bytes/workgroup (compile time only)
; SGPRBlocks: 2
; VGPRBlocks: 4
; NumSGPRsForWavesPerEU: 22
; NumVGPRsForWavesPerEU: 38
; Occupancy: 16
; WaveLimiterHint : 1
; COMPUTE_PGM_RSRC2:SCRATCH_EN: 0
; COMPUTE_PGM_RSRC2:USER_SGPR: 13
; COMPUTE_PGM_RSRC2:TRAP_HANDLER: 0
; COMPUTE_PGM_RSRC2:TGID_X_EN: 1
; COMPUTE_PGM_RSRC2:TGID_Y_EN: 1
; COMPUTE_PGM_RSRC2:TGID_Z_EN: 1
; COMPUTE_PGM_RSRC2:TIDIG_COMP_CNT: 1
	.section	.text._ZL37rocblas_syrkx_herkx_restricted_kernelIldLi16ELi32ELi8ELi1ELi1ELb0ELc67ELc76EKPKdKPdEviT_PT9_S5_lS7_S5_lPT10_S5_li,"axG",@progbits,_ZL37rocblas_syrkx_herkx_restricted_kernelIldLi16ELi32ELi8ELi1ELi1ELb0ELc67ELc76EKPKdKPdEviT_PT9_S5_lS7_S5_lPT10_S5_li,comdat
	.globl	_ZL37rocblas_syrkx_herkx_restricted_kernelIldLi16ELi32ELi8ELi1ELi1ELb0ELc67ELc76EKPKdKPdEviT_PT9_S5_lS7_S5_lPT10_S5_li ; -- Begin function _ZL37rocblas_syrkx_herkx_restricted_kernelIldLi16ELi32ELi8ELi1ELi1ELb0ELc67ELc76EKPKdKPdEviT_PT9_S5_lS7_S5_lPT10_S5_li
	.p2align	8
	.type	_ZL37rocblas_syrkx_herkx_restricted_kernelIldLi16ELi32ELi8ELi1ELi1ELb0ELc67ELc76EKPKdKPdEviT_PT9_S5_lS7_S5_lPT10_S5_li,@function
_ZL37rocblas_syrkx_herkx_restricted_kernelIldLi16ELi32ELi8ELi1ELi1ELb0ELc67ELc76EKPKdKPdEviT_PT9_S5_lS7_S5_lPT10_S5_li: ; @_ZL37rocblas_syrkx_herkx_restricted_kernelIldLi16ELi32ELi8ELi1ELi1ELb0ELc67ELc76EKPKdKPdEviT_PT9_S5_lS7_S5_lPT10_S5_li
; %bb.0:
	s_clause 0x1
	s_load_b128 s[4:7], s[0:1], 0x40
	s_load_b128 s[8:11], s[0:1], 0x8
	s_mov_b32 s2, s15
	s_mov_b32 s3, 0
	v_mov_b32_e32 v10, 0
	s_lshl_b64 s[16:17], s[2:3], 3
	v_dual_mov_b32 v11, 0 :: v_dual_and_b32 v12, 0x3ff, v0
	v_bfe_u32 v13, v0, 10, 10
	s_delay_alu instid0(VALU_DEP_3) | instskip(NEXT) | instid1(VALU_DEP_3)
	v_mov_b32_e32 v8, v10
	v_dual_mov_b32 v2, v10 :: v_dual_mov_b32 v3, v11
	v_dual_mov_b32 v9, v11 :: v_dual_mov_b32 v0, v10
	v_mov_b32_e32 v1, v11
	s_waitcnt lgkmcnt(0)
	s_add_u32 s2, s4, s16
	s_addc_u32 s3, s5, s17
	v_cmp_lt_i64_e64 s4, s[8:9], 1
	s_load_b64 s[2:3], s[2:3], 0x0
	s_lshl_b32 s18, s13, 5
	s_lshl_b32 s19, s14, 5
	s_delay_alu instid0(VALU_DEP_1)
	s_and_b32 vcc_lo, exec_lo, s4
	s_cbranch_vccnz .LBB1466_3
; %bb.1:
	s_clause 0x1
	s_load_b128 s[12:15], s[0:1], 0x28
	s_load_b64 s[4:5], s[0:1], 0x18
	v_lshl_add_u32 v2, v13, 4, v12
	v_dual_mov_b32 v1, 0 :: v_dual_and_b32 v0, 7, v12
	s_add_u32 s10, s10, s16
	s_addc_u32 s11, s11, s17
	s_delay_alu instid0(VALU_DEP_2)
	v_lshrrev_b32_e32 v8, 3, v2
	v_and_b32_e32 v9, 31, v2
	v_lshrrev_b32_e32 v2, 5, v2
	v_mov_b32_e32 v3, v1
	s_load_b64 s[10:11], s[10:11], 0x0
	v_add_nc_u32_e32 v10, s19, v8
	v_add_nc_u32_e32 v6, s18, v9
	v_lshl_add_u32 v17, v13, 6, 0x800
	s_delay_alu instid0(VALU_DEP_3) | instskip(NEXT) | instid1(VALU_DEP_3)
	v_ashrrev_i32_e32 v4, 31, v10
	v_ashrrev_i32_e32 v5, 31, v6
	s_waitcnt lgkmcnt(0)
	s_add_u32 s12, s12, s16
	s_addc_u32 s13, s13, s17
	v_mul_lo_u32 v11, v4, s14
	v_mul_lo_u32 v15, s4, v5
	v_mad_u64_u32 v[4:5], null, s4, v6, v[2:3]
	v_mul_lo_u32 v3, s5, v6
	s_load_b64 s[4:5], s[12:13], 0x0
	v_mul_lo_u32 v14, v10, s15
	v_mad_u64_u32 v[6:7], null, v10, s14, v[0:1]
	v_lshlrev_b32_e32 v0, 3, v0
	v_lshlrev_b32_e32 v1, 3, v9
	v_add3_u32 v5, v3, v5, v15
	s_delay_alu instid0(VALU_DEP_3) | instskip(SKIP_1) | instid1(VALU_DEP_4)
	v_lshl_or_b32 v0, v8, 6, v0
	v_add3_u32 v7, v11, v7, v14
	v_lshl_or_b32 v14, v2, 8, v1
	s_delay_alu instid0(VALU_DEP_4) | instskip(NEXT) | instid1(VALU_DEP_4)
	v_lshlrev_b64 v[2:3], 3, v[4:5]
	v_add_nc_u32_e32 v15, 0x800, v0
	s_delay_alu instid0(VALU_DEP_4)
	v_lshlrev_b64 v[6:7], 3, v[6:7]
	v_mov_b32_e32 v0, 0
	v_mov_b32_e32 v1, 0
	v_add_co_u32 v4, vcc_lo, s10, v2
	v_add_co_ci_u32_e32 v5, vcc_lo, s11, v3, vcc_lo
	s_waitcnt lgkmcnt(0)
	v_add_co_u32 v6, vcc_lo, s4, v6
	v_dual_mov_b32 v3, v1 :: v_dual_lshlrev_b32 v16, 3, v12
	v_add_co_ci_u32_e32 v7, vcc_lo, s5, v7, vcc_lo
	v_dual_mov_b32 v2, v0 :: v_dual_mov_b32 v9, v1
	v_dual_mov_b32 v8, v0 :: v_dual_mov_b32 v11, v1
	v_mov_b32_e32 v10, v0
	s_mov_b64 s[4:5], 0
.LBB1466_2:                             ; =>This Inner Loop Header: Depth=1
	global_load_b64 v[18:19], v[4:5], off
	global_load_b64 v[20:21], v[6:7], off
	s_add_u32 s4, s4, 8
	v_add_co_u32 v4, vcc_lo, v4, 64
	s_addc_u32 s5, s5, 0
	v_add_co_ci_u32_e32 v5, vcc_lo, 0, v5, vcc_lo
	v_cmp_ge_u64_e64 s10, s[4:5], s[8:9]
	v_add_co_u32 v6, vcc_lo, v6, 64
	v_add_co_ci_u32_e32 v7, vcc_lo, 0, v7, vcc_lo
	s_waitcnt vmcnt(1)
	ds_store_b64 v14, v[18:19]
	s_waitcnt vmcnt(0)
	ds_store_b64 v15, v[20:21]
	s_waitcnt lgkmcnt(0)
	s_barrier
	buffer_gl0_inv
	ds_load_2addr_b64 v[18:21], v16 offset1:16
	ds_load_b128 v[22:25], v17
	ds_load_b128 v[26:29], v17 offset:1024
	ds_load_b128 v[30:33], v17 offset:16
	;; [unrolled: 1-line block ×3, first 2 shown]
	s_and_b32 vcc_lo, exec_lo, s10
	s_waitcnt lgkmcnt(3)
	v_fma_f64 v[10:11], v[18:19], v[22:23], v[10:11]
	v_fma_f64 v[8:9], v[20:21], v[22:23], v[8:9]
	s_waitcnt lgkmcnt(2)
	v_fma_f64 v[18:19], v[18:19], v[26:27], v[2:3]
	v_fma_f64 v[20:21], v[20:21], v[26:27], v[0:1]
	ds_load_2addr_b64 v[0:3], v16 offset0:32 offset1:48
	s_waitcnt lgkmcnt(0)
	v_fma_f64 v[10:11], v[0:1], v[24:25], v[10:11]
	v_fma_f64 v[8:9], v[2:3], v[24:25], v[8:9]
	v_fma_f64 v[18:19], v[0:1], v[28:29], v[18:19]
	v_fma_f64 v[20:21], v[2:3], v[28:29], v[20:21]
	ds_load_2addr_b64 v[0:3], v16 offset0:64 offset1:80
	s_waitcnt lgkmcnt(0)
	v_fma_f64 v[10:11], v[0:1], v[30:31], v[10:11]
	v_fma_f64 v[8:9], v[2:3], v[30:31], v[8:9]
	;; [unrolled: 6-line block ×3, first 2 shown]
	v_fma_f64 v[34:35], v[0:1], v[36:37], v[18:19]
	v_fma_f64 v[36:37], v[2:3], v[36:37], v[20:21]
	ds_load_2addr_b64 v[0:3], v16 offset0:128 offset1:144
	ds_load_b128 v[8:11], v17 offset:32
	ds_load_b128 v[18:21], v17 offset:1056
	;; [unrolled: 1-line block ×4, first 2 shown]
	s_waitcnt lgkmcnt(3)
	v_fma_f64 v[30:31], v[0:1], v[8:9], v[30:31]
	v_fma_f64 v[8:9], v[2:3], v[8:9], v[32:33]
	s_waitcnt lgkmcnt(2)
	v_fma_f64 v[32:33], v[0:1], v[18:19], v[34:35]
	v_fma_f64 v[18:19], v[2:3], v[18:19], v[36:37]
	ds_load_2addr_b64 v[0:3], v16 offset0:160 offset1:176
	s_waitcnt lgkmcnt(0)
	v_fma_f64 v[30:31], v[0:1], v[10:11], v[30:31]
	v_fma_f64 v[8:9], v[2:3], v[10:11], v[8:9]
	;; [unrolled: 1-line block ×4, first 2 shown]
	ds_load_2addr_b64 v[0:3], v16 offset0:192 offset1:208
	s_waitcnt lgkmcnt(0)
	v_fma_f64 v[30:31], v[0:1], v[22:23], v[30:31]
	v_fma_f64 v[8:9], v[2:3], v[22:23], v[8:9]
	;; [unrolled: 1-line block ×4, first 2 shown]
	ds_load_2addr_b64 v[18:21], v16 offset0:224 offset1:240
	s_waitcnt lgkmcnt(0)
	s_barrier
	buffer_gl0_inv
	v_fma_f64 v[10:11], v[18:19], v[24:25], v[30:31]
	v_fma_f64 v[8:9], v[20:21], v[24:25], v[8:9]
	;; [unrolled: 1-line block ×4, first 2 shown]
	s_cbranch_vccz .LBB1466_2
.LBB1466_3:
	v_add_nc_u32_e32 v13, s19, v13
	s_load_b32 s4, s[0:1], 0x0
	s_delay_alu instid0(VALU_DEP_1) | instskip(SKIP_2) | instid1(VALU_DEP_3)
	v_ashrrev_i32_e32 v4, 31, v13
	v_mul_lo_u32 v7, v13, s7
	v_mad_u64_u32 v[5:6], null, v13, s6, 0
	v_mul_lo_u32 v4, v4, s6
	s_delay_alu instid0(VALU_DEP_1) | instskip(SKIP_1) | instid1(VALU_DEP_2)
	v_add3_u32 v6, v6, v7, v4
	v_add_nc_u32_e32 v4, s18, v12
	v_lshlrev_b64 v[5:6], 3, v[5:6]
	s_delay_alu instid0(VALU_DEP_2) | instskip(SKIP_2) | instid1(VALU_DEP_3)
	v_cmp_le_i32_e64 s0, v13, v4
	s_waitcnt lgkmcnt(0)
	v_cmp_gt_i32_e32 vcc_lo, s4, v4
	v_add_co_u32 v12, s1, s2, v5
	s_delay_alu instid0(VALU_DEP_1) | instskip(SKIP_1) | instid1(SALU_CYCLE_1)
	v_add_co_ci_u32_e64 v14, s1, s3, v6, s1
	s_and_b32 s0, s0, vcc_lo
	s_and_saveexec_b32 s1, s0
	s_cbranch_execz .LBB1466_5
; %bb.4:
	v_ashrrev_i32_e32 v5, 31, v4
	s_delay_alu instid0(VALU_DEP_1) | instskip(NEXT) | instid1(VALU_DEP_1)
	v_lshlrev_b64 v[5:6], 3, v[4:5]
	v_add_co_u32 v5, s0, v12, v5
	s_delay_alu instid0(VALU_DEP_1)
	v_add_co_ci_u32_e64 v6, s0, v14, v6, s0
	global_load_b64 v[15:16], v[5:6], off
	s_waitcnt vmcnt(0)
	v_add_f64 v[10:11], v[10:11], v[15:16]
	global_store_b64 v[5:6], v[10:11], off
.LBB1466_5:
	s_or_b32 exec_lo, exec_lo, s1
	v_add_nc_u32_e32 v6, 16, v4
	s_delay_alu instid0(VALU_DEP_1) | instskip(SKIP_1) | instid1(VALU_DEP_1)
	v_cmp_le_i32_e64 s1, v13, v6
	v_cmp_gt_i32_e64 s0, s4, v6
	s_and_b32 s1, s1, s0
	s_delay_alu instid0(SALU_CYCLE_1)
	s_and_saveexec_b32 s4, s1
	s_cbranch_execz .LBB1466_7
; %bb.6:
	v_ashrrev_i32_e32 v7, 31, v6
	s_delay_alu instid0(VALU_DEP_1) | instskip(NEXT) | instid1(VALU_DEP_1)
	v_lshlrev_b64 v[10:11], 3, v[6:7]
	v_add_co_u32 v10, s1, v12, v10
	s_delay_alu instid0(VALU_DEP_1)
	v_add_co_ci_u32_e64 v11, s1, v14, v11, s1
	global_load_b64 v[14:15], v[10:11], off
	s_waitcnt vmcnt(0)
	v_add_f64 v[7:8], v[8:9], v[14:15]
	global_store_b64 v[10:11], v[7:8], off
.LBB1466_7:
	s_or_b32 exec_lo, exec_lo, s4
	v_add_nc_u32_e32 v7, 16, v13
	s_delay_alu instid0(VALU_DEP_1) | instskip(SKIP_3) | instid1(VALU_DEP_4)
	v_ashrrev_i32_e32 v5, 31, v7
	v_mul_lo_u32 v10, v7, s7
	v_mad_u64_u32 v[8:9], null, v7, s6, 0
	v_cmp_le_i32_e64 s1, v7, v4
	v_mul_lo_u32 v5, v5, s6
	s_delay_alu instid0(VALU_DEP_1) | instskip(NEXT) | instid1(VALU_DEP_1)
	v_add3_u32 v9, v9, v10, v5
	v_lshlrev_b64 v[8:9], 3, v[8:9]
	s_delay_alu instid0(VALU_DEP_1) | instskip(NEXT) | instid1(VALU_DEP_1)
	v_add_co_u32 v8, s2, s2, v8
	v_add_co_ci_u32_e64 v9, s2, s3, v9, s2
	s_and_b32 s2, s1, vcc_lo
	s_delay_alu instid0(SALU_CYCLE_1)
	s_and_saveexec_b32 s1, s2
	s_cbranch_execz .LBB1466_9
; %bb.8:
	v_ashrrev_i32_e32 v5, 31, v4
	s_delay_alu instid0(VALU_DEP_1) | instskip(NEXT) | instid1(VALU_DEP_1)
	v_lshlrev_b64 v[4:5], 3, v[4:5]
	v_add_co_u32 v4, vcc_lo, v8, v4
	s_delay_alu instid0(VALU_DEP_2)
	v_add_co_ci_u32_e32 v5, vcc_lo, v9, v5, vcc_lo
	global_load_b64 v[10:11], v[4:5], off
	s_waitcnt vmcnt(0)
	v_add_f64 v[2:3], v[2:3], v[10:11]
	global_store_b64 v[4:5], v[2:3], off
.LBB1466_9:
	s_or_b32 exec_lo, exec_lo, s1
	v_cmp_le_i32_e32 vcc_lo, v7, v6
	s_and_b32 s0, vcc_lo, s0
	s_delay_alu instid0(SALU_CYCLE_1)
	s_and_saveexec_b32 s1, s0
	s_cbranch_execz .LBB1466_11
; %bb.10:
	v_ashrrev_i32_e32 v7, 31, v6
	s_delay_alu instid0(VALU_DEP_1) | instskip(NEXT) | instid1(VALU_DEP_1)
	v_lshlrev_b64 v[2:3], 3, v[6:7]
	v_add_co_u32 v2, vcc_lo, v8, v2
	s_delay_alu instid0(VALU_DEP_2)
	v_add_co_ci_u32_e32 v3, vcc_lo, v9, v3, vcc_lo
	global_load_b64 v[4:5], v[2:3], off
	s_waitcnt vmcnt(0)
	v_add_f64 v[0:1], v[0:1], v[4:5]
	global_store_b64 v[2:3], v[0:1], off
.LBB1466_11:
	s_nop 0
	s_sendmsg sendmsg(MSG_DEALLOC_VGPRS)
	s_endpgm
	.section	.rodata,"a",@progbits
	.p2align	6, 0x0
	.amdhsa_kernel _ZL37rocblas_syrkx_herkx_restricted_kernelIldLi16ELi32ELi8ELi1ELi1ELb0ELc67ELc76EKPKdKPdEviT_PT9_S5_lS7_S5_lPT10_S5_li
		.amdhsa_group_segment_fixed_size 4096
		.amdhsa_private_segment_fixed_size 0
		.amdhsa_kernarg_size 92
		.amdhsa_user_sgpr_count 13
		.amdhsa_user_sgpr_dispatch_ptr 0
		.amdhsa_user_sgpr_queue_ptr 0
		.amdhsa_user_sgpr_kernarg_segment_ptr 1
		.amdhsa_user_sgpr_dispatch_id 0
		.amdhsa_user_sgpr_private_segment_size 0
		.amdhsa_wavefront_size32 1
		.amdhsa_uses_dynamic_stack 0
		.amdhsa_enable_private_segment 0
		.amdhsa_system_sgpr_workgroup_id_x 1
		.amdhsa_system_sgpr_workgroup_id_y 1
		.amdhsa_system_sgpr_workgroup_id_z 1
		.amdhsa_system_sgpr_workgroup_info 0
		.amdhsa_system_vgpr_workitem_id 1
		.amdhsa_next_free_vgpr 38
		.amdhsa_next_free_sgpr 20
		.amdhsa_reserve_vcc 1
		.amdhsa_float_round_mode_32 0
		.amdhsa_float_round_mode_16_64 0
		.amdhsa_float_denorm_mode_32 3
		.amdhsa_float_denorm_mode_16_64 3
		.amdhsa_dx10_clamp 1
		.amdhsa_ieee_mode 1
		.amdhsa_fp16_overflow 0
		.amdhsa_workgroup_processor_mode 1
		.amdhsa_memory_ordered 1
		.amdhsa_forward_progress 0
		.amdhsa_shared_vgpr_count 0
		.amdhsa_exception_fp_ieee_invalid_op 0
		.amdhsa_exception_fp_denorm_src 0
		.amdhsa_exception_fp_ieee_div_zero 0
		.amdhsa_exception_fp_ieee_overflow 0
		.amdhsa_exception_fp_ieee_underflow 0
		.amdhsa_exception_fp_ieee_inexact 0
		.amdhsa_exception_int_div_zero 0
	.end_amdhsa_kernel
	.section	.text._ZL37rocblas_syrkx_herkx_restricted_kernelIldLi16ELi32ELi8ELi1ELi1ELb0ELc67ELc76EKPKdKPdEviT_PT9_S5_lS7_S5_lPT10_S5_li,"axG",@progbits,_ZL37rocblas_syrkx_herkx_restricted_kernelIldLi16ELi32ELi8ELi1ELi1ELb0ELc67ELc76EKPKdKPdEviT_PT9_S5_lS7_S5_lPT10_S5_li,comdat
.Lfunc_end1466:
	.size	_ZL37rocblas_syrkx_herkx_restricted_kernelIldLi16ELi32ELi8ELi1ELi1ELb0ELc67ELc76EKPKdKPdEviT_PT9_S5_lS7_S5_lPT10_S5_li, .Lfunc_end1466-_ZL37rocblas_syrkx_herkx_restricted_kernelIldLi16ELi32ELi8ELi1ELi1ELb0ELc67ELc76EKPKdKPdEviT_PT9_S5_lS7_S5_lPT10_S5_li
                                        ; -- End function
	.section	.AMDGPU.csdata,"",@progbits
; Kernel info:
; codeLenInByte = 1540
; NumSgprs: 22
; NumVgprs: 38
; ScratchSize: 0
; MemoryBound: 0
; FloatMode: 240
; IeeeMode: 1
; LDSByteSize: 4096 bytes/workgroup (compile time only)
; SGPRBlocks: 2
; VGPRBlocks: 4
; NumSGPRsForWavesPerEU: 22
; NumVGPRsForWavesPerEU: 38
; Occupancy: 16
; WaveLimiterHint : 1
; COMPUTE_PGM_RSRC2:SCRATCH_EN: 0
; COMPUTE_PGM_RSRC2:USER_SGPR: 13
; COMPUTE_PGM_RSRC2:TRAP_HANDLER: 0
; COMPUTE_PGM_RSRC2:TGID_X_EN: 1
; COMPUTE_PGM_RSRC2:TGID_Y_EN: 1
; COMPUTE_PGM_RSRC2:TGID_Z_EN: 1
; COMPUTE_PGM_RSRC2:TIDIG_COMP_CNT: 1
	.section	.text._ZL37rocblas_syrkx_herkx_restricted_kernelIldLi16ELi32ELi8ELi1ELi1ELb0ELc78ELc76EKPKdKPdEviT_PT9_S5_lS7_S5_lPT10_S5_li,"axG",@progbits,_ZL37rocblas_syrkx_herkx_restricted_kernelIldLi16ELi32ELi8ELi1ELi1ELb0ELc78ELc76EKPKdKPdEviT_PT9_S5_lS7_S5_lPT10_S5_li,comdat
	.globl	_ZL37rocblas_syrkx_herkx_restricted_kernelIldLi16ELi32ELi8ELi1ELi1ELb0ELc78ELc76EKPKdKPdEviT_PT9_S5_lS7_S5_lPT10_S5_li ; -- Begin function _ZL37rocblas_syrkx_herkx_restricted_kernelIldLi16ELi32ELi8ELi1ELi1ELb0ELc78ELc76EKPKdKPdEviT_PT9_S5_lS7_S5_lPT10_S5_li
	.p2align	8
	.type	_ZL37rocblas_syrkx_herkx_restricted_kernelIldLi16ELi32ELi8ELi1ELi1ELb0ELc78ELc76EKPKdKPdEviT_PT9_S5_lS7_S5_lPT10_S5_li,@function
_ZL37rocblas_syrkx_herkx_restricted_kernelIldLi16ELi32ELi8ELi1ELi1ELb0ELc78ELc76EKPKdKPdEviT_PT9_S5_lS7_S5_lPT10_S5_li: ; @_ZL37rocblas_syrkx_herkx_restricted_kernelIldLi16ELi32ELi8ELi1ELi1ELb0ELc78ELc76EKPKdKPdEviT_PT9_S5_lS7_S5_lPT10_S5_li
; %bb.0:
	s_clause 0x1
	s_load_b128 s[4:7], s[0:1], 0x40
	s_load_b128 s[8:11], s[0:1], 0x8
	s_mov_b32 s2, s15
	s_mov_b32 s3, 0
	v_mov_b32_e32 v10, 0
	s_lshl_b64 s[16:17], s[2:3], 3
	v_dual_mov_b32 v11, 0 :: v_dual_and_b32 v12, 0x3ff, v0
	v_bfe_u32 v13, v0, 10, 10
	s_delay_alu instid0(VALU_DEP_3) | instskip(NEXT) | instid1(VALU_DEP_3)
	v_mov_b32_e32 v8, v10
	v_dual_mov_b32 v2, v10 :: v_dual_mov_b32 v3, v11
	v_dual_mov_b32 v9, v11 :: v_dual_mov_b32 v0, v10
	v_mov_b32_e32 v1, v11
	s_waitcnt lgkmcnt(0)
	s_add_u32 s2, s4, s16
	s_addc_u32 s3, s5, s17
	v_cmp_lt_i64_e64 s4, s[8:9], 1
	s_load_b64 s[2:3], s[2:3], 0x0
	s_lshl_b32 s18, s13, 5
	s_lshl_b32 s19, s14, 5
	s_delay_alu instid0(VALU_DEP_1)
	s_and_b32 vcc_lo, exec_lo, s4
	s_cbranch_vccnz .LBB1467_3
; %bb.1:
	v_lshl_add_u32 v1, v13, 4, v12
	s_clause 0x1
	s_load_b64 s[4:5], s[0:1], 0x18
	s_load_b128 s[12:15], s[0:1], 0x28
	s_add_u32 s10, s10, s16
	s_addc_u32 s11, s11, s17
	s_load_b64 s[10:11], s[10:11], 0x0
	v_and_b32_e32 v10, 31, v1
	v_lshrrev_b32_e32 v11, 3, v1
	v_lshrrev_b32_e32 v16, 5, v1
	s_delay_alu instid0(VALU_DEP_3) | instskip(NEXT) | instid1(VALU_DEP_3)
	v_add_nc_u32_e32 v0, s18, v10
	v_add_nc_u32_e32 v2, s19, v11
	s_delay_alu instid0(VALU_DEP_2) | instskip(NEXT) | instid1(VALU_DEP_2)
	v_ashrrev_i32_e32 v1, 31, v0
	v_ashrrev_i32_e32 v3, 31, v2
	s_waitcnt lgkmcnt(0)
	s_delay_alu instid0(VALU_DEP_2) | instskip(SKIP_4) | instid1(VALU_DEP_2)
	v_mad_u64_u32 v[4:5], null, v16, s4, v[0:1]
	v_and_b32_e32 v15, 7, v12
	s_add_u32 s12, s12, s16
	s_addc_u32 s13, s13, s17
	s_load_b64 s[12:13], s[12:13], 0x0
	v_mov_b32_e32 v0, v5
	v_mad_u64_u32 v[6:7], null, v15, s14, v[2:3]
	s_delay_alu instid0(VALU_DEP_1) | instskip(NEXT) | instid1(VALU_DEP_3)
	v_mov_b32_e32 v2, v7
	v_mad_u64_u32 v[7:8], null, v16, s5, v[0:1]
	s_lshl_b64 s[4:5], s[4:5], 6
	s_delay_alu instid0(VALU_DEP_2) | instskip(SKIP_2) | instid1(VALU_DEP_4)
	v_mad_u64_u32 v[8:9], null, v15, s15, v[2:3]
	v_lshlrev_b32_e32 v9, 3, v15
	v_lshl_add_u32 v15, v13, 6, 0x800
	v_mov_b32_e32 v5, v7
	s_delay_alu instid0(VALU_DEP_3) | instskip(SKIP_1) | instid1(VALU_DEP_3)
	v_lshl_or_b32 v11, v11, 6, v9
	v_mov_b32_e32 v7, v8
	v_lshlrev_b64 v[4:5], 3, v[4:5]
	v_mov_b32_e32 v0, 0
	v_mov_b32_e32 v1, 0
	v_add_nc_u32_e32 v17, 0x800, v11
	v_lshlrev_b64 v[6:7], 3, v[6:7]
	v_lshlrev_b32_e32 v10, 3, v10
	v_add_co_u32 v4, vcc_lo, s10, v4
	v_dual_mov_b32 v3, v1 :: v_dual_lshlrev_b32 v14, 3, v12
	v_add_co_ci_u32_e32 v5, vcc_lo, s11, v5, vcc_lo
	v_dual_mov_b32 v2, v0 :: v_dual_mov_b32 v9, v1
	s_waitcnt lgkmcnt(0)
	v_add_co_u32 v6, vcc_lo, s12, v6
	v_mov_b32_e32 v8, v0
	v_lshl_or_b32 v16, v16, 8, v10
	v_mov_b32_e32 v11, v1
	v_add_co_ci_u32_e32 v7, vcc_lo, s13, v7, vcc_lo
	v_mov_b32_e32 v10, v0
	s_lshl_b64 s[10:11], s[14:15], 6
	s_mov_b64 s[12:13], 0
.LBB1467_2:                             ; =>This Inner Loop Header: Depth=1
	global_load_b64 v[18:19], v[4:5], off
	global_load_b64 v[20:21], v[6:7], off
	s_add_u32 s12, s12, 8
	v_add_co_u32 v4, vcc_lo, v4, s4
	s_addc_u32 s13, s13, 0
	v_add_co_ci_u32_e32 v5, vcc_lo, s5, v5, vcc_lo
	v_cmp_ge_u64_e64 s14, s[12:13], s[8:9]
	v_add_co_u32 v6, vcc_lo, v6, s10
	v_add_co_ci_u32_e32 v7, vcc_lo, s11, v7, vcc_lo
	s_waitcnt vmcnt(1)
	ds_store_b64 v16, v[18:19]
	s_waitcnt vmcnt(0)
	ds_store_b64 v17, v[20:21]
	s_waitcnt lgkmcnt(0)
	s_barrier
	buffer_gl0_inv
	ds_load_2addr_b64 v[18:21], v14 offset1:16
	ds_load_b128 v[22:25], v15
	ds_load_b128 v[26:29], v15 offset:1024
	ds_load_b128 v[30:33], v15 offset:16
	;; [unrolled: 1-line block ×3, first 2 shown]
	s_and_b32 vcc_lo, exec_lo, s14
	s_waitcnt lgkmcnt(3)
	v_fma_f64 v[10:11], v[18:19], v[22:23], v[10:11]
	v_fma_f64 v[8:9], v[20:21], v[22:23], v[8:9]
	s_waitcnt lgkmcnt(2)
	v_fma_f64 v[18:19], v[18:19], v[26:27], v[2:3]
	v_fma_f64 v[20:21], v[20:21], v[26:27], v[0:1]
	ds_load_2addr_b64 v[0:3], v14 offset0:32 offset1:48
	s_waitcnt lgkmcnt(0)
	v_fma_f64 v[10:11], v[0:1], v[24:25], v[10:11]
	v_fma_f64 v[8:9], v[2:3], v[24:25], v[8:9]
	v_fma_f64 v[18:19], v[0:1], v[28:29], v[18:19]
	v_fma_f64 v[20:21], v[2:3], v[28:29], v[20:21]
	ds_load_2addr_b64 v[0:3], v14 offset0:64 offset1:80
	s_waitcnt lgkmcnt(0)
	v_fma_f64 v[10:11], v[0:1], v[30:31], v[10:11]
	v_fma_f64 v[8:9], v[2:3], v[30:31], v[8:9]
	;; [unrolled: 6-line block ×3, first 2 shown]
	v_fma_f64 v[34:35], v[0:1], v[36:37], v[18:19]
	v_fma_f64 v[36:37], v[2:3], v[36:37], v[20:21]
	ds_load_2addr_b64 v[0:3], v14 offset0:128 offset1:144
	ds_load_b128 v[8:11], v15 offset:32
	ds_load_b128 v[18:21], v15 offset:1056
	;; [unrolled: 1-line block ×4, first 2 shown]
	s_waitcnt lgkmcnt(3)
	v_fma_f64 v[30:31], v[0:1], v[8:9], v[30:31]
	v_fma_f64 v[8:9], v[2:3], v[8:9], v[32:33]
	s_waitcnt lgkmcnt(2)
	v_fma_f64 v[32:33], v[0:1], v[18:19], v[34:35]
	v_fma_f64 v[18:19], v[2:3], v[18:19], v[36:37]
	ds_load_2addr_b64 v[0:3], v14 offset0:160 offset1:176
	s_waitcnt lgkmcnt(0)
	v_fma_f64 v[30:31], v[0:1], v[10:11], v[30:31]
	v_fma_f64 v[8:9], v[2:3], v[10:11], v[8:9]
	;; [unrolled: 1-line block ×4, first 2 shown]
	ds_load_2addr_b64 v[0:3], v14 offset0:192 offset1:208
	s_waitcnt lgkmcnt(0)
	v_fma_f64 v[30:31], v[0:1], v[22:23], v[30:31]
	v_fma_f64 v[8:9], v[2:3], v[22:23], v[8:9]
	;; [unrolled: 1-line block ×4, first 2 shown]
	ds_load_2addr_b64 v[18:21], v14 offset0:224 offset1:240
	s_waitcnt lgkmcnt(0)
	s_barrier
	buffer_gl0_inv
	v_fma_f64 v[10:11], v[18:19], v[24:25], v[30:31]
	v_fma_f64 v[8:9], v[20:21], v[24:25], v[8:9]
	;; [unrolled: 1-line block ×4, first 2 shown]
	s_cbranch_vccz .LBB1467_2
.LBB1467_3:
	v_add_nc_u32_e32 v13, s19, v13
	s_load_b32 s4, s[0:1], 0x0
	s_delay_alu instid0(VALU_DEP_1) | instskip(SKIP_2) | instid1(VALU_DEP_3)
	v_ashrrev_i32_e32 v4, 31, v13
	v_mul_lo_u32 v7, v13, s7
	v_mad_u64_u32 v[5:6], null, v13, s6, 0
	v_mul_lo_u32 v4, v4, s6
	s_delay_alu instid0(VALU_DEP_1) | instskip(SKIP_1) | instid1(VALU_DEP_2)
	v_add3_u32 v6, v6, v7, v4
	v_add_nc_u32_e32 v4, s18, v12
	v_lshlrev_b64 v[5:6], 3, v[5:6]
	s_delay_alu instid0(VALU_DEP_2) | instskip(SKIP_2) | instid1(VALU_DEP_3)
	v_cmp_le_i32_e64 s0, v13, v4
	s_waitcnt lgkmcnt(0)
	v_cmp_gt_i32_e32 vcc_lo, s4, v4
	v_add_co_u32 v12, s1, s2, v5
	s_delay_alu instid0(VALU_DEP_1) | instskip(SKIP_1) | instid1(SALU_CYCLE_1)
	v_add_co_ci_u32_e64 v14, s1, s3, v6, s1
	s_and_b32 s0, s0, vcc_lo
	s_and_saveexec_b32 s1, s0
	s_cbranch_execz .LBB1467_5
; %bb.4:
	v_ashrrev_i32_e32 v5, 31, v4
	s_delay_alu instid0(VALU_DEP_1) | instskip(NEXT) | instid1(VALU_DEP_1)
	v_lshlrev_b64 v[5:6], 3, v[4:5]
	v_add_co_u32 v5, s0, v12, v5
	s_delay_alu instid0(VALU_DEP_1)
	v_add_co_ci_u32_e64 v6, s0, v14, v6, s0
	global_load_b64 v[15:16], v[5:6], off
	s_waitcnt vmcnt(0)
	v_add_f64 v[10:11], v[10:11], v[15:16]
	global_store_b64 v[5:6], v[10:11], off
.LBB1467_5:
	s_or_b32 exec_lo, exec_lo, s1
	v_add_nc_u32_e32 v6, 16, v4
	s_delay_alu instid0(VALU_DEP_1) | instskip(SKIP_1) | instid1(VALU_DEP_1)
	v_cmp_le_i32_e64 s1, v13, v6
	v_cmp_gt_i32_e64 s0, s4, v6
	s_and_b32 s1, s1, s0
	s_delay_alu instid0(SALU_CYCLE_1)
	s_and_saveexec_b32 s4, s1
	s_cbranch_execz .LBB1467_7
; %bb.6:
	v_ashrrev_i32_e32 v7, 31, v6
	s_delay_alu instid0(VALU_DEP_1) | instskip(NEXT) | instid1(VALU_DEP_1)
	v_lshlrev_b64 v[10:11], 3, v[6:7]
	v_add_co_u32 v10, s1, v12, v10
	s_delay_alu instid0(VALU_DEP_1)
	v_add_co_ci_u32_e64 v11, s1, v14, v11, s1
	global_load_b64 v[14:15], v[10:11], off
	s_waitcnt vmcnt(0)
	v_add_f64 v[7:8], v[8:9], v[14:15]
	global_store_b64 v[10:11], v[7:8], off
.LBB1467_7:
	s_or_b32 exec_lo, exec_lo, s4
	v_add_nc_u32_e32 v7, 16, v13
	s_delay_alu instid0(VALU_DEP_1) | instskip(SKIP_3) | instid1(VALU_DEP_4)
	v_ashrrev_i32_e32 v5, 31, v7
	v_mul_lo_u32 v10, v7, s7
	v_mad_u64_u32 v[8:9], null, v7, s6, 0
	v_cmp_le_i32_e64 s1, v7, v4
	v_mul_lo_u32 v5, v5, s6
	s_delay_alu instid0(VALU_DEP_1) | instskip(NEXT) | instid1(VALU_DEP_1)
	v_add3_u32 v9, v9, v10, v5
	v_lshlrev_b64 v[8:9], 3, v[8:9]
	s_delay_alu instid0(VALU_DEP_1) | instskip(NEXT) | instid1(VALU_DEP_1)
	v_add_co_u32 v8, s2, s2, v8
	v_add_co_ci_u32_e64 v9, s2, s3, v9, s2
	s_and_b32 s2, s1, vcc_lo
	s_delay_alu instid0(SALU_CYCLE_1)
	s_and_saveexec_b32 s1, s2
	s_cbranch_execz .LBB1467_9
; %bb.8:
	v_ashrrev_i32_e32 v5, 31, v4
	s_delay_alu instid0(VALU_DEP_1) | instskip(NEXT) | instid1(VALU_DEP_1)
	v_lshlrev_b64 v[4:5], 3, v[4:5]
	v_add_co_u32 v4, vcc_lo, v8, v4
	s_delay_alu instid0(VALU_DEP_2)
	v_add_co_ci_u32_e32 v5, vcc_lo, v9, v5, vcc_lo
	global_load_b64 v[10:11], v[4:5], off
	s_waitcnt vmcnt(0)
	v_add_f64 v[2:3], v[2:3], v[10:11]
	global_store_b64 v[4:5], v[2:3], off
.LBB1467_9:
	s_or_b32 exec_lo, exec_lo, s1
	v_cmp_le_i32_e32 vcc_lo, v7, v6
	s_and_b32 s0, vcc_lo, s0
	s_delay_alu instid0(SALU_CYCLE_1)
	s_and_saveexec_b32 s1, s0
	s_cbranch_execz .LBB1467_11
; %bb.10:
	v_ashrrev_i32_e32 v7, 31, v6
	s_delay_alu instid0(VALU_DEP_1) | instskip(NEXT) | instid1(VALU_DEP_1)
	v_lshlrev_b64 v[2:3], 3, v[6:7]
	v_add_co_u32 v2, vcc_lo, v8, v2
	s_delay_alu instid0(VALU_DEP_2)
	v_add_co_ci_u32_e32 v3, vcc_lo, v9, v3, vcc_lo
	global_load_b64 v[4:5], v[2:3], off
	s_waitcnt vmcnt(0)
	v_add_f64 v[0:1], v[0:1], v[4:5]
	global_store_b64 v[2:3], v[0:1], off
.LBB1467_11:
	s_nop 0
	s_sendmsg sendmsg(MSG_DEALLOC_VGPRS)
	s_endpgm
	.section	.rodata,"a",@progbits
	.p2align	6, 0x0
	.amdhsa_kernel _ZL37rocblas_syrkx_herkx_restricted_kernelIldLi16ELi32ELi8ELi1ELi1ELb0ELc78ELc76EKPKdKPdEviT_PT9_S5_lS7_S5_lPT10_S5_li
		.amdhsa_group_segment_fixed_size 4096
		.amdhsa_private_segment_fixed_size 0
		.amdhsa_kernarg_size 92
		.amdhsa_user_sgpr_count 13
		.amdhsa_user_sgpr_dispatch_ptr 0
		.amdhsa_user_sgpr_queue_ptr 0
		.amdhsa_user_sgpr_kernarg_segment_ptr 1
		.amdhsa_user_sgpr_dispatch_id 0
		.amdhsa_user_sgpr_private_segment_size 0
		.amdhsa_wavefront_size32 1
		.amdhsa_uses_dynamic_stack 0
		.amdhsa_enable_private_segment 0
		.amdhsa_system_sgpr_workgroup_id_x 1
		.amdhsa_system_sgpr_workgroup_id_y 1
		.amdhsa_system_sgpr_workgroup_id_z 1
		.amdhsa_system_sgpr_workgroup_info 0
		.amdhsa_system_vgpr_workitem_id 1
		.amdhsa_next_free_vgpr 38
		.amdhsa_next_free_sgpr 20
		.amdhsa_reserve_vcc 1
		.amdhsa_float_round_mode_32 0
		.amdhsa_float_round_mode_16_64 0
		.amdhsa_float_denorm_mode_32 3
		.amdhsa_float_denorm_mode_16_64 3
		.amdhsa_dx10_clamp 1
		.amdhsa_ieee_mode 1
		.amdhsa_fp16_overflow 0
		.amdhsa_workgroup_processor_mode 1
		.amdhsa_memory_ordered 1
		.amdhsa_forward_progress 0
		.amdhsa_shared_vgpr_count 0
		.amdhsa_exception_fp_ieee_invalid_op 0
		.amdhsa_exception_fp_denorm_src 0
		.amdhsa_exception_fp_ieee_div_zero 0
		.amdhsa_exception_fp_ieee_overflow 0
		.amdhsa_exception_fp_ieee_underflow 0
		.amdhsa_exception_fp_ieee_inexact 0
		.amdhsa_exception_int_div_zero 0
	.end_amdhsa_kernel
	.section	.text._ZL37rocblas_syrkx_herkx_restricted_kernelIldLi16ELi32ELi8ELi1ELi1ELb0ELc78ELc76EKPKdKPdEviT_PT9_S5_lS7_S5_lPT10_S5_li,"axG",@progbits,_ZL37rocblas_syrkx_herkx_restricted_kernelIldLi16ELi32ELi8ELi1ELi1ELb0ELc78ELc76EKPKdKPdEviT_PT9_S5_lS7_S5_lPT10_S5_li,comdat
.Lfunc_end1467:
	.size	_ZL37rocblas_syrkx_herkx_restricted_kernelIldLi16ELi32ELi8ELi1ELi1ELb0ELc78ELc76EKPKdKPdEviT_PT9_S5_lS7_S5_lPT10_S5_li, .Lfunc_end1467-_ZL37rocblas_syrkx_herkx_restricted_kernelIldLi16ELi32ELi8ELi1ELi1ELb0ELc78ELc76EKPKdKPdEviT_PT9_S5_lS7_S5_lPT10_S5_li
                                        ; -- End function
	.section	.AMDGPU.csdata,"",@progbits
; Kernel info:
; codeLenInByte = 1528
; NumSgprs: 22
; NumVgprs: 38
; ScratchSize: 0
; MemoryBound: 0
; FloatMode: 240
; IeeeMode: 1
; LDSByteSize: 4096 bytes/workgroup (compile time only)
; SGPRBlocks: 2
; VGPRBlocks: 4
; NumSGPRsForWavesPerEU: 22
; NumVGPRsForWavesPerEU: 38
; Occupancy: 16
; WaveLimiterHint : 1
; COMPUTE_PGM_RSRC2:SCRATCH_EN: 0
; COMPUTE_PGM_RSRC2:USER_SGPR: 13
; COMPUTE_PGM_RSRC2:TRAP_HANDLER: 0
; COMPUTE_PGM_RSRC2:TGID_X_EN: 1
; COMPUTE_PGM_RSRC2:TGID_Y_EN: 1
; COMPUTE_PGM_RSRC2:TGID_Z_EN: 1
; COMPUTE_PGM_RSRC2:TIDIG_COMP_CNT: 1
	.section	.text._ZL37rocblas_syrkx_herkx_restricted_kernelIldLi16ELi32ELi8ELi1ELi1ELb0ELc84ELc85EKPKdKPdEviT_PT9_S5_lS7_S5_lPT10_S5_li,"axG",@progbits,_ZL37rocblas_syrkx_herkx_restricted_kernelIldLi16ELi32ELi8ELi1ELi1ELb0ELc84ELc85EKPKdKPdEviT_PT9_S5_lS7_S5_lPT10_S5_li,comdat
	.globl	_ZL37rocblas_syrkx_herkx_restricted_kernelIldLi16ELi32ELi8ELi1ELi1ELb0ELc84ELc85EKPKdKPdEviT_PT9_S5_lS7_S5_lPT10_S5_li ; -- Begin function _ZL37rocblas_syrkx_herkx_restricted_kernelIldLi16ELi32ELi8ELi1ELi1ELb0ELc84ELc85EKPKdKPdEviT_PT9_S5_lS7_S5_lPT10_S5_li
	.p2align	8
	.type	_ZL37rocblas_syrkx_herkx_restricted_kernelIldLi16ELi32ELi8ELi1ELi1ELb0ELc84ELc85EKPKdKPdEviT_PT9_S5_lS7_S5_lPT10_S5_li,@function
_ZL37rocblas_syrkx_herkx_restricted_kernelIldLi16ELi32ELi8ELi1ELi1ELb0ELc84ELc85EKPKdKPdEviT_PT9_S5_lS7_S5_lPT10_S5_li: ; @_ZL37rocblas_syrkx_herkx_restricted_kernelIldLi16ELi32ELi8ELi1ELi1ELb0ELc84ELc85EKPKdKPdEviT_PT9_S5_lS7_S5_lPT10_S5_li
; %bb.0:
	s_clause 0x1
	s_load_b128 s[4:7], s[0:1], 0x40
	s_load_b128 s[8:11], s[0:1], 0x8
	s_mov_b32 s2, s15
	s_mov_b32 s3, 0
	v_mov_b32_e32 v10, 0
	s_lshl_b64 s[16:17], s[2:3], 3
	v_dual_mov_b32 v11, 0 :: v_dual_and_b32 v12, 0x3ff, v0
	v_bfe_u32 v13, v0, 10, 10
	s_delay_alu instid0(VALU_DEP_3) | instskip(NEXT) | instid1(VALU_DEP_3)
	v_mov_b32_e32 v8, v10
	v_dual_mov_b32 v2, v10 :: v_dual_mov_b32 v3, v11
	v_dual_mov_b32 v9, v11 :: v_dual_mov_b32 v0, v10
	v_mov_b32_e32 v1, v11
	s_waitcnt lgkmcnt(0)
	s_add_u32 s2, s4, s16
	s_addc_u32 s3, s5, s17
	v_cmp_lt_i64_e64 s4, s[8:9], 1
	s_load_b64 s[2:3], s[2:3], 0x0
	s_lshl_b32 s18, s13, 5
	s_lshl_b32 s19, s14, 5
	s_delay_alu instid0(VALU_DEP_1)
	s_and_b32 vcc_lo, exec_lo, s4
	s_cbranch_vccnz .LBB1468_3
; %bb.1:
	s_clause 0x1
	s_load_b128 s[12:15], s[0:1], 0x28
	s_load_b64 s[4:5], s[0:1], 0x18
	v_lshl_add_u32 v2, v13, 4, v12
	v_dual_mov_b32 v1, 0 :: v_dual_and_b32 v0, 7, v12
	s_add_u32 s10, s10, s16
	s_addc_u32 s11, s11, s17
	s_delay_alu instid0(VALU_DEP_2)
	v_lshrrev_b32_e32 v8, 3, v2
	v_and_b32_e32 v9, 31, v2
	v_lshrrev_b32_e32 v2, 5, v2
	v_mov_b32_e32 v3, v1
	s_load_b64 s[10:11], s[10:11], 0x0
	v_add_nc_u32_e32 v10, s19, v8
	v_add_nc_u32_e32 v6, s18, v9
	v_lshl_add_u32 v17, v13, 6, 0x800
	s_delay_alu instid0(VALU_DEP_3) | instskip(NEXT) | instid1(VALU_DEP_3)
	v_ashrrev_i32_e32 v4, 31, v10
	v_ashrrev_i32_e32 v5, 31, v6
	s_waitcnt lgkmcnt(0)
	s_add_u32 s12, s12, s16
	s_addc_u32 s13, s13, s17
	v_mul_lo_u32 v11, v4, s14
	v_mul_lo_u32 v15, s4, v5
	v_mad_u64_u32 v[4:5], null, s4, v6, v[2:3]
	v_mul_lo_u32 v3, s5, v6
	s_load_b64 s[4:5], s[12:13], 0x0
	v_mul_lo_u32 v14, v10, s15
	v_mad_u64_u32 v[6:7], null, v10, s14, v[0:1]
	v_lshlrev_b32_e32 v0, 3, v0
	v_lshlrev_b32_e32 v1, 3, v9
	v_add3_u32 v5, v3, v5, v15
	s_delay_alu instid0(VALU_DEP_3) | instskip(SKIP_1) | instid1(VALU_DEP_4)
	v_lshl_or_b32 v0, v8, 6, v0
	v_add3_u32 v7, v11, v7, v14
	v_lshl_or_b32 v14, v2, 8, v1
	s_delay_alu instid0(VALU_DEP_4) | instskip(NEXT) | instid1(VALU_DEP_4)
	v_lshlrev_b64 v[2:3], 3, v[4:5]
	v_add_nc_u32_e32 v15, 0x800, v0
	s_delay_alu instid0(VALU_DEP_4)
	v_lshlrev_b64 v[6:7], 3, v[6:7]
	v_mov_b32_e32 v0, 0
	v_mov_b32_e32 v1, 0
	v_add_co_u32 v4, vcc_lo, s10, v2
	v_add_co_ci_u32_e32 v5, vcc_lo, s11, v3, vcc_lo
	s_waitcnt lgkmcnt(0)
	v_add_co_u32 v6, vcc_lo, s4, v6
	v_dual_mov_b32 v3, v1 :: v_dual_lshlrev_b32 v16, 3, v12
	v_add_co_ci_u32_e32 v7, vcc_lo, s5, v7, vcc_lo
	v_dual_mov_b32 v2, v0 :: v_dual_mov_b32 v9, v1
	v_dual_mov_b32 v8, v0 :: v_dual_mov_b32 v11, v1
	v_mov_b32_e32 v10, v0
	s_mov_b64 s[4:5], 0
.LBB1468_2:                             ; =>This Inner Loop Header: Depth=1
	global_load_b64 v[18:19], v[4:5], off
	global_load_b64 v[20:21], v[6:7], off
	s_add_u32 s4, s4, 8
	v_add_co_u32 v4, vcc_lo, v4, 64
	s_addc_u32 s5, s5, 0
	v_add_co_ci_u32_e32 v5, vcc_lo, 0, v5, vcc_lo
	v_cmp_ge_u64_e64 s10, s[4:5], s[8:9]
	v_add_co_u32 v6, vcc_lo, v6, 64
	v_add_co_ci_u32_e32 v7, vcc_lo, 0, v7, vcc_lo
	s_waitcnt vmcnt(1)
	ds_store_b64 v14, v[18:19]
	s_waitcnt vmcnt(0)
	ds_store_b64 v15, v[20:21]
	s_waitcnt lgkmcnt(0)
	s_barrier
	buffer_gl0_inv
	ds_load_2addr_b64 v[18:21], v16 offset1:16
	ds_load_b128 v[22:25], v17
	ds_load_b128 v[26:29], v17 offset:1024
	ds_load_b128 v[30:33], v17 offset:16
	;; [unrolled: 1-line block ×3, first 2 shown]
	s_and_b32 vcc_lo, exec_lo, s10
	s_waitcnt lgkmcnt(3)
	v_fma_f64 v[10:11], v[18:19], v[22:23], v[10:11]
	v_fma_f64 v[8:9], v[20:21], v[22:23], v[8:9]
	s_waitcnt lgkmcnt(2)
	v_fma_f64 v[18:19], v[18:19], v[26:27], v[2:3]
	v_fma_f64 v[20:21], v[20:21], v[26:27], v[0:1]
	ds_load_2addr_b64 v[0:3], v16 offset0:32 offset1:48
	s_waitcnt lgkmcnt(0)
	v_fma_f64 v[10:11], v[0:1], v[24:25], v[10:11]
	v_fma_f64 v[8:9], v[2:3], v[24:25], v[8:9]
	v_fma_f64 v[18:19], v[0:1], v[28:29], v[18:19]
	v_fma_f64 v[20:21], v[2:3], v[28:29], v[20:21]
	ds_load_2addr_b64 v[0:3], v16 offset0:64 offset1:80
	s_waitcnt lgkmcnt(0)
	v_fma_f64 v[10:11], v[0:1], v[30:31], v[10:11]
	v_fma_f64 v[8:9], v[2:3], v[30:31], v[8:9]
	;; [unrolled: 6-line block ×3, first 2 shown]
	v_fma_f64 v[34:35], v[0:1], v[36:37], v[18:19]
	v_fma_f64 v[36:37], v[2:3], v[36:37], v[20:21]
	ds_load_2addr_b64 v[0:3], v16 offset0:128 offset1:144
	ds_load_b128 v[8:11], v17 offset:32
	ds_load_b128 v[18:21], v17 offset:1056
	;; [unrolled: 1-line block ×4, first 2 shown]
	s_waitcnt lgkmcnt(3)
	v_fma_f64 v[30:31], v[0:1], v[8:9], v[30:31]
	v_fma_f64 v[8:9], v[2:3], v[8:9], v[32:33]
	s_waitcnt lgkmcnt(2)
	v_fma_f64 v[32:33], v[0:1], v[18:19], v[34:35]
	v_fma_f64 v[18:19], v[2:3], v[18:19], v[36:37]
	ds_load_2addr_b64 v[0:3], v16 offset0:160 offset1:176
	s_waitcnt lgkmcnt(0)
	v_fma_f64 v[30:31], v[0:1], v[10:11], v[30:31]
	v_fma_f64 v[8:9], v[2:3], v[10:11], v[8:9]
	;; [unrolled: 1-line block ×4, first 2 shown]
	ds_load_2addr_b64 v[0:3], v16 offset0:192 offset1:208
	s_waitcnt lgkmcnt(0)
	v_fma_f64 v[30:31], v[0:1], v[22:23], v[30:31]
	v_fma_f64 v[8:9], v[2:3], v[22:23], v[8:9]
	;; [unrolled: 1-line block ×4, first 2 shown]
	ds_load_2addr_b64 v[18:21], v16 offset0:224 offset1:240
	s_waitcnt lgkmcnt(0)
	s_barrier
	buffer_gl0_inv
	v_fma_f64 v[10:11], v[18:19], v[24:25], v[30:31]
	v_fma_f64 v[8:9], v[20:21], v[24:25], v[8:9]
	;; [unrolled: 1-line block ×4, first 2 shown]
	s_cbranch_vccz .LBB1468_2
.LBB1468_3:
	v_add_nc_u32_e32 v13, s19, v13
	s_load_b32 s4, s[0:1], 0x0
	s_delay_alu instid0(VALU_DEP_1) | instskip(SKIP_2) | instid1(VALU_DEP_3)
	v_ashrrev_i32_e32 v4, 31, v13
	v_mul_lo_u32 v7, v13, s7
	v_mad_u64_u32 v[5:6], null, v13, s6, 0
	v_mul_lo_u32 v4, v4, s6
	s_delay_alu instid0(VALU_DEP_1) | instskip(SKIP_3) | instid1(VALU_DEP_3)
	v_add3_u32 v6, v6, v7, v4
	v_add_nc_u32_e32 v4, s18, v12
	s_waitcnt lgkmcnt(0)
	v_cmp_gt_i32_e32 vcc_lo, s4, v13
	v_lshlrev_b64 v[5:6], 3, v[5:6]
	s_delay_alu instid0(VALU_DEP_3) | instskip(NEXT) | instid1(VALU_DEP_1)
	v_cmp_le_i32_e64 s0, v4, v13
	s_and_b32 s0, vcc_lo, s0
	s_delay_alu instid0(VALU_DEP_2) | instskip(NEXT) | instid1(VALU_DEP_1)
	v_add_co_u32 v12, s1, s2, v5
	v_add_co_ci_u32_e64 v14, s1, s3, v6, s1
	s_and_saveexec_b32 s1, s0
	s_cbranch_execz .LBB1468_5
; %bb.4:
	v_ashrrev_i32_e32 v5, 31, v4
	s_delay_alu instid0(VALU_DEP_1) | instskip(NEXT) | instid1(VALU_DEP_1)
	v_lshlrev_b64 v[5:6], 3, v[4:5]
	v_add_co_u32 v5, s0, v12, v5
	s_delay_alu instid0(VALU_DEP_1)
	v_add_co_ci_u32_e64 v6, s0, v14, v6, s0
	global_load_b64 v[15:16], v[5:6], off
	s_waitcnt vmcnt(0)
	v_add_f64 v[10:11], v[10:11], v[15:16]
	global_store_b64 v[5:6], v[10:11], off
.LBB1468_5:
	s_or_b32 exec_lo, exec_lo, s1
	v_add_nc_u32_e32 v6, 16, v4
	s_delay_alu instid0(VALU_DEP_1) | instskip(NEXT) | instid1(VALU_DEP_1)
	v_cmp_le_i32_e64 s0, v6, v13
	s_and_b32 s1, vcc_lo, s0
	s_delay_alu instid0(SALU_CYCLE_1)
	s_and_saveexec_b32 s0, s1
	s_cbranch_execz .LBB1468_7
; %bb.6:
	v_ashrrev_i32_e32 v7, 31, v6
	s_delay_alu instid0(VALU_DEP_1) | instskip(NEXT) | instid1(VALU_DEP_1)
	v_lshlrev_b64 v[10:11], 3, v[6:7]
	v_add_co_u32 v10, vcc_lo, v12, v10
	s_delay_alu instid0(VALU_DEP_2)
	v_add_co_ci_u32_e32 v11, vcc_lo, v14, v11, vcc_lo
	global_load_b64 v[14:15], v[10:11], off
	s_waitcnt vmcnt(0)
	v_add_f64 v[7:8], v[8:9], v[14:15]
	global_store_b64 v[10:11], v[7:8], off
.LBB1468_7:
	s_or_b32 exec_lo, exec_lo, s0
	v_add_nc_u32_e32 v7, 16, v13
	s_delay_alu instid0(VALU_DEP_1) | instskip(SKIP_3) | instid1(VALU_DEP_4)
	v_ashrrev_i32_e32 v5, 31, v7
	v_mul_lo_u32 v10, v7, s7
	v_mad_u64_u32 v[8:9], null, v7, s6, 0
	v_cmp_gt_i32_e32 vcc_lo, s4, v7
	v_mul_lo_u32 v5, v5, s6
	v_cmp_le_i32_e64 s0, v4, v7
	s_delay_alu instid0(VALU_DEP_1) | instskip(NEXT) | instid1(VALU_DEP_2)
	s_and_b32 s0, vcc_lo, s0
	v_add3_u32 v9, v9, v10, v5
	s_delay_alu instid0(VALU_DEP_1) | instskip(NEXT) | instid1(VALU_DEP_1)
	v_lshlrev_b64 v[8:9], 3, v[8:9]
	v_add_co_u32 v8, s1, s2, v8
	s_delay_alu instid0(VALU_DEP_1)
	v_add_co_ci_u32_e64 v9, s1, s3, v9, s1
	s_and_saveexec_b32 s1, s0
	s_cbranch_execz .LBB1468_9
; %bb.8:
	v_ashrrev_i32_e32 v5, 31, v4
	s_delay_alu instid0(VALU_DEP_1) | instskip(NEXT) | instid1(VALU_DEP_1)
	v_lshlrev_b64 v[4:5], 3, v[4:5]
	v_add_co_u32 v4, s0, v8, v4
	s_delay_alu instid0(VALU_DEP_1)
	v_add_co_ci_u32_e64 v5, s0, v9, v5, s0
	global_load_b64 v[10:11], v[4:5], off
	s_waitcnt vmcnt(0)
	v_add_f64 v[2:3], v[2:3], v[10:11]
	global_store_b64 v[4:5], v[2:3], off
.LBB1468_9:
	s_or_b32 exec_lo, exec_lo, s1
	v_cmp_le_i32_e64 s0, v6, v7
	s_delay_alu instid0(VALU_DEP_1) | instskip(NEXT) | instid1(SALU_CYCLE_1)
	s_and_b32 s0, vcc_lo, s0
	s_and_saveexec_b32 s1, s0
	s_cbranch_execz .LBB1468_11
; %bb.10:
	v_ashrrev_i32_e32 v7, 31, v6
	s_delay_alu instid0(VALU_DEP_1) | instskip(NEXT) | instid1(VALU_DEP_1)
	v_lshlrev_b64 v[2:3], 3, v[6:7]
	v_add_co_u32 v2, vcc_lo, v8, v2
	s_delay_alu instid0(VALU_DEP_2)
	v_add_co_ci_u32_e32 v3, vcc_lo, v9, v3, vcc_lo
	global_load_b64 v[4:5], v[2:3], off
	s_waitcnt vmcnt(0)
	v_add_f64 v[0:1], v[0:1], v[4:5]
	global_store_b64 v[2:3], v[0:1], off
.LBB1468_11:
	s_nop 0
	s_sendmsg sendmsg(MSG_DEALLOC_VGPRS)
	s_endpgm
	.section	.rodata,"a",@progbits
	.p2align	6, 0x0
	.amdhsa_kernel _ZL37rocblas_syrkx_herkx_restricted_kernelIldLi16ELi32ELi8ELi1ELi1ELb0ELc84ELc85EKPKdKPdEviT_PT9_S5_lS7_S5_lPT10_S5_li
		.amdhsa_group_segment_fixed_size 4096
		.amdhsa_private_segment_fixed_size 0
		.amdhsa_kernarg_size 92
		.amdhsa_user_sgpr_count 13
		.amdhsa_user_sgpr_dispatch_ptr 0
		.amdhsa_user_sgpr_queue_ptr 0
		.amdhsa_user_sgpr_kernarg_segment_ptr 1
		.amdhsa_user_sgpr_dispatch_id 0
		.amdhsa_user_sgpr_private_segment_size 0
		.amdhsa_wavefront_size32 1
		.amdhsa_uses_dynamic_stack 0
		.amdhsa_enable_private_segment 0
		.amdhsa_system_sgpr_workgroup_id_x 1
		.amdhsa_system_sgpr_workgroup_id_y 1
		.amdhsa_system_sgpr_workgroup_id_z 1
		.amdhsa_system_sgpr_workgroup_info 0
		.amdhsa_system_vgpr_workitem_id 1
		.amdhsa_next_free_vgpr 38
		.amdhsa_next_free_sgpr 20
		.amdhsa_reserve_vcc 1
		.amdhsa_float_round_mode_32 0
		.amdhsa_float_round_mode_16_64 0
		.amdhsa_float_denorm_mode_32 3
		.amdhsa_float_denorm_mode_16_64 3
		.amdhsa_dx10_clamp 1
		.amdhsa_ieee_mode 1
		.amdhsa_fp16_overflow 0
		.amdhsa_workgroup_processor_mode 1
		.amdhsa_memory_ordered 1
		.amdhsa_forward_progress 0
		.amdhsa_shared_vgpr_count 0
		.amdhsa_exception_fp_ieee_invalid_op 0
		.amdhsa_exception_fp_denorm_src 0
		.amdhsa_exception_fp_ieee_div_zero 0
		.amdhsa_exception_fp_ieee_overflow 0
		.amdhsa_exception_fp_ieee_underflow 0
		.amdhsa_exception_fp_ieee_inexact 0
		.amdhsa_exception_int_div_zero 0
	.end_amdhsa_kernel
	.section	.text._ZL37rocblas_syrkx_herkx_restricted_kernelIldLi16ELi32ELi8ELi1ELi1ELb0ELc84ELc85EKPKdKPdEviT_PT9_S5_lS7_S5_lPT10_S5_li,"axG",@progbits,_ZL37rocblas_syrkx_herkx_restricted_kernelIldLi16ELi32ELi8ELi1ELi1ELb0ELc84ELc85EKPKdKPdEviT_PT9_S5_lS7_S5_lPT10_S5_li,comdat
.Lfunc_end1468:
	.size	_ZL37rocblas_syrkx_herkx_restricted_kernelIldLi16ELi32ELi8ELi1ELi1ELb0ELc84ELc85EKPKdKPdEviT_PT9_S5_lS7_S5_lPT10_S5_li, .Lfunc_end1468-_ZL37rocblas_syrkx_herkx_restricted_kernelIldLi16ELi32ELi8ELi1ELi1ELb0ELc84ELc85EKPKdKPdEviT_PT9_S5_lS7_S5_lPT10_S5_li
                                        ; -- End function
	.section	.AMDGPU.csdata,"",@progbits
; Kernel info:
; codeLenInByte = 1540
; NumSgprs: 22
; NumVgprs: 38
; ScratchSize: 0
; MemoryBound: 0
; FloatMode: 240
; IeeeMode: 1
; LDSByteSize: 4096 bytes/workgroup (compile time only)
; SGPRBlocks: 2
; VGPRBlocks: 4
; NumSGPRsForWavesPerEU: 22
; NumVGPRsForWavesPerEU: 38
; Occupancy: 16
; WaveLimiterHint : 1
; COMPUTE_PGM_RSRC2:SCRATCH_EN: 0
; COMPUTE_PGM_RSRC2:USER_SGPR: 13
; COMPUTE_PGM_RSRC2:TRAP_HANDLER: 0
; COMPUTE_PGM_RSRC2:TGID_X_EN: 1
; COMPUTE_PGM_RSRC2:TGID_Y_EN: 1
; COMPUTE_PGM_RSRC2:TGID_Z_EN: 1
; COMPUTE_PGM_RSRC2:TIDIG_COMP_CNT: 1
	.section	.text._ZL37rocblas_syrkx_herkx_restricted_kernelIldLi16ELi32ELi8ELi1ELi1ELb0ELc67ELc85EKPKdKPdEviT_PT9_S5_lS7_S5_lPT10_S5_li,"axG",@progbits,_ZL37rocblas_syrkx_herkx_restricted_kernelIldLi16ELi32ELi8ELi1ELi1ELb0ELc67ELc85EKPKdKPdEviT_PT9_S5_lS7_S5_lPT10_S5_li,comdat
	.globl	_ZL37rocblas_syrkx_herkx_restricted_kernelIldLi16ELi32ELi8ELi1ELi1ELb0ELc67ELc85EKPKdKPdEviT_PT9_S5_lS7_S5_lPT10_S5_li ; -- Begin function _ZL37rocblas_syrkx_herkx_restricted_kernelIldLi16ELi32ELi8ELi1ELi1ELb0ELc67ELc85EKPKdKPdEviT_PT9_S5_lS7_S5_lPT10_S5_li
	.p2align	8
	.type	_ZL37rocblas_syrkx_herkx_restricted_kernelIldLi16ELi32ELi8ELi1ELi1ELb0ELc67ELc85EKPKdKPdEviT_PT9_S5_lS7_S5_lPT10_S5_li,@function
_ZL37rocblas_syrkx_herkx_restricted_kernelIldLi16ELi32ELi8ELi1ELi1ELb0ELc67ELc85EKPKdKPdEviT_PT9_S5_lS7_S5_lPT10_S5_li: ; @_ZL37rocblas_syrkx_herkx_restricted_kernelIldLi16ELi32ELi8ELi1ELi1ELb0ELc67ELc85EKPKdKPdEviT_PT9_S5_lS7_S5_lPT10_S5_li
; %bb.0:
	s_clause 0x1
	s_load_b128 s[4:7], s[0:1], 0x40
	s_load_b128 s[8:11], s[0:1], 0x8
	s_mov_b32 s2, s15
	s_mov_b32 s3, 0
	v_mov_b32_e32 v10, 0
	s_lshl_b64 s[16:17], s[2:3], 3
	v_dual_mov_b32 v11, 0 :: v_dual_and_b32 v12, 0x3ff, v0
	v_bfe_u32 v13, v0, 10, 10
	s_delay_alu instid0(VALU_DEP_3) | instskip(NEXT) | instid1(VALU_DEP_3)
	v_mov_b32_e32 v8, v10
	v_dual_mov_b32 v2, v10 :: v_dual_mov_b32 v3, v11
	v_dual_mov_b32 v9, v11 :: v_dual_mov_b32 v0, v10
	v_mov_b32_e32 v1, v11
	s_waitcnt lgkmcnt(0)
	s_add_u32 s2, s4, s16
	s_addc_u32 s3, s5, s17
	v_cmp_lt_i64_e64 s4, s[8:9], 1
	s_load_b64 s[2:3], s[2:3], 0x0
	s_lshl_b32 s18, s13, 5
	s_lshl_b32 s19, s14, 5
	s_delay_alu instid0(VALU_DEP_1)
	s_and_b32 vcc_lo, exec_lo, s4
	s_cbranch_vccnz .LBB1469_3
; %bb.1:
	s_clause 0x1
	s_load_b128 s[12:15], s[0:1], 0x28
	s_load_b64 s[4:5], s[0:1], 0x18
	v_lshl_add_u32 v2, v13, 4, v12
	v_dual_mov_b32 v1, 0 :: v_dual_and_b32 v0, 7, v12
	s_add_u32 s10, s10, s16
	s_addc_u32 s11, s11, s17
	s_delay_alu instid0(VALU_DEP_2)
	v_lshrrev_b32_e32 v8, 3, v2
	v_and_b32_e32 v9, 31, v2
	v_lshrrev_b32_e32 v2, 5, v2
	v_mov_b32_e32 v3, v1
	s_load_b64 s[10:11], s[10:11], 0x0
	v_add_nc_u32_e32 v10, s19, v8
	v_add_nc_u32_e32 v6, s18, v9
	v_lshl_add_u32 v17, v13, 6, 0x800
	s_delay_alu instid0(VALU_DEP_3) | instskip(NEXT) | instid1(VALU_DEP_3)
	v_ashrrev_i32_e32 v4, 31, v10
	v_ashrrev_i32_e32 v5, 31, v6
	s_waitcnt lgkmcnt(0)
	s_add_u32 s12, s12, s16
	s_addc_u32 s13, s13, s17
	v_mul_lo_u32 v11, v4, s14
	v_mul_lo_u32 v15, s4, v5
	v_mad_u64_u32 v[4:5], null, s4, v6, v[2:3]
	v_mul_lo_u32 v3, s5, v6
	s_load_b64 s[4:5], s[12:13], 0x0
	v_mul_lo_u32 v14, v10, s15
	v_mad_u64_u32 v[6:7], null, v10, s14, v[0:1]
	v_lshlrev_b32_e32 v0, 3, v0
	v_lshlrev_b32_e32 v1, 3, v9
	v_add3_u32 v5, v3, v5, v15
	s_delay_alu instid0(VALU_DEP_3) | instskip(SKIP_1) | instid1(VALU_DEP_4)
	v_lshl_or_b32 v0, v8, 6, v0
	v_add3_u32 v7, v11, v7, v14
	v_lshl_or_b32 v14, v2, 8, v1
	s_delay_alu instid0(VALU_DEP_4) | instskip(NEXT) | instid1(VALU_DEP_4)
	v_lshlrev_b64 v[2:3], 3, v[4:5]
	v_add_nc_u32_e32 v15, 0x800, v0
	s_delay_alu instid0(VALU_DEP_4)
	v_lshlrev_b64 v[6:7], 3, v[6:7]
	v_mov_b32_e32 v0, 0
	v_mov_b32_e32 v1, 0
	v_add_co_u32 v4, vcc_lo, s10, v2
	v_add_co_ci_u32_e32 v5, vcc_lo, s11, v3, vcc_lo
	s_waitcnt lgkmcnt(0)
	v_add_co_u32 v6, vcc_lo, s4, v6
	v_dual_mov_b32 v3, v1 :: v_dual_lshlrev_b32 v16, 3, v12
	v_add_co_ci_u32_e32 v7, vcc_lo, s5, v7, vcc_lo
	v_dual_mov_b32 v2, v0 :: v_dual_mov_b32 v9, v1
	v_dual_mov_b32 v8, v0 :: v_dual_mov_b32 v11, v1
	v_mov_b32_e32 v10, v0
	s_mov_b64 s[4:5], 0
.LBB1469_2:                             ; =>This Inner Loop Header: Depth=1
	global_load_b64 v[18:19], v[4:5], off
	global_load_b64 v[20:21], v[6:7], off
	s_add_u32 s4, s4, 8
	v_add_co_u32 v4, vcc_lo, v4, 64
	s_addc_u32 s5, s5, 0
	v_add_co_ci_u32_e32 v5, vcc_lo, 0, v5, vcc_lo
	v_cmp_ge_u64_e64 s10, s[4:5], s[8:9]
	v_add_co_u32 v6, vcc_lo, v6, 64
	v_add_co_ci_u32_e32 v7, vcc_lo, 0, v7, vcc_lo
	s_waitcnt vmcnt(1)
	ds_store_b64 v14, v[18:19]
	s_waitcnt vmcnt(0)
	ds_store_b64 v15, v[20:21]
	s_waitcnt lgkmcnt(0)
	s_barrier
	buffer_gl0_inv
	ds_load_2addr_b64 v[18:21], v16 offset1:16
	ds_load_b128 v[22:25], v17
	ds_load_b128 v[26:29], v17 offset:1024
	ds_load_b128 v[30:33], v17 offset:16
	;; [unrolled: 1-line block ×3, first 2 shown]
	s_and_b32 vcc_lo, exec_lo, s10
	s_waitcnt lgkmcnt(3)
	v_fma_f64 v[10:11], v[18:19], v[22:23], v[10:11]
	v_fma_f64 v[8:9], v[20:21], v[22:23], v[8:9]
	s_waitcnt lgkmcnt(2)
	v_fma_f64 v[18:19], v[18:19], v[26:27], v[2:3]
	v_fma_f64 v[20:21], v[20:21], v[26:27], v[0:1]
	ds_load_2addr_b64 v[0:3], v16 offset0:32 offset1:48
	s_waitcnt lgkmcnt(0)
	v_fma_f64 v[10:11], v[0:1], v[24:25], v[10:11]
	v_fma_f64 v[8:9], v[2:3], v[24:25], v[8:9]
	v_fma_f64 v[18:19], v[0:1], v[28:29], v[18:19]
	v_fma_f64 v[20:21], v[2:3], v[28:29], v[20:21]
	ds_load_2addr_b64 v[0:3], v16 offset0:64 offset1:80
	s_waitcnt lgkmcnt(0)
	v_fma_f64 v[10:11], v[0:1], v[30:31], v[10:11]
	v_fma_f64 v[8:9], v[2:3], v[30:31], v[8:9]
	;; [unrolled: 6-line block ×3, first 2 shown]
	v_fma_f64 v[34:35], v[0:1], v[36:37], v[18:19]
	v_fma_f64 v[36:37], v[2:3], v[36:37], v[20:21]
	ds_load_2addr_b64 v[0:3], v16 offset0:128 offset1:144
	ds_load_b128 v[8:11], v17 offset:32
	ds_load_b128 v[18:21], v17 offset:1056
	;; [unrolled: 1-line block ×4, first 2 shown]
	s_waitcnt lgkmcnt(3)
	v_fma_f64 v[30:31], v[0:1], v[8:9], v[30:31]
	v_fma_f64 v[8:9], v[2:3], v[8:9], v[32:33]
	s_waitcnt lgkmcnt(2)
	v_fma_f64 v[32:33], v[0:1], v[18:19], v[34:35]
	v_fma_f64 v[18:19], v[2:3], v[18:19], v[36:37]
	ds_load_2addr_b64 v[0:3], v16 offset0:160 offset1:176
	s_waitcnt lgkmcnt(0)
	v_fma_f64 v[30:31], v[0:1], v[10:11], v[30:31]
	v_fma_f64 v[8:9], v[2:3], v[10:11], v[8:9]
	;; [unrolled: 1-line block ×4, first 2 shown]
	ds_load_2addr_b64 v[0:3], v16 offset0:192 offset1:208
	s_waitcnt lgkmcnt(0)
	v_fma_f64 v[30:31], v[0:1], v[22:23], v[30:31]
	v_fma_f64 v[8:9], v[2:3], v[22:23], v[8:9]
	;; [unrolled: 1-line block ×4, first 2 shown]
	ds_load_2addr_b64 v[18:21], v16 offset0:224 offset1:240
	s_waitcnt lgkmcnt(0)
	s_barrier
	buffer_gl0_inv
	v_fma_f64 v[10:11], v[18:19], v[24:25], v[30:31]
	v_fma_f64 v[8:9], v[20:21], v[24:25], v[8:9]
	;; [unrolled: 1-line block ×4, first 2 shown]
	s_cbranch_vccz .LBB1469_2
.LBB1469_3:
	v_add_nc_u32_e32 v13, s19, v13
	s_load_b32 s4, s[0:1], 0x0
	s_delay_alu instid0(VALU_DEP_1) | instskip(SKIP_2) | instid1(VALU_DEP_3)
	v_ashrrev_i32_e32 v4, 31, v13
	v_mul_lo_u32 v7, v13, s7
	v_mad_u64_u32 v[5:6], null, v13, s6, 0
	v_mul_lo_u32 v4, v4, s6
	s_delay_alu instid0(VALU_DEP_1) | instskip(SKIP_3) | instid1(VALU_DEP_3)
	v_add3_u32 v6, v6, v7, v4
	v_add_nc_u32_e32 v4, s18, v12
	s_waitcnt lgkmcnt(0)
	v_cmp_gt_i32_e32 vcc_lo, s4, v13
	v_lshlrev_b64 v[5:6], 3, v[5:6]
	s_delay_alu instid0(VALU_DEP_3) | instskip(NEXT) | instid1(VALU_DEP_1)
	v_cmp_le_i32_e64 s0, v4, v13
	s_and_b32 s0, vcc_lo, s0
	s_delay_alu instid0(VALU_DEP_2) | instskip(NEXT) | instid1(VALU_DEP_1)
	v_add_co_u32 v12, s1, s2, v5
	v_add_co_ci_u32_e64 v14, s1, s3, v6, s1
	s_and_saveexec_b32 s1, s0
	s_cbranch_execz .LBB1469_5
; %bb.4:
	v_ashrrev_i32_e32 v5, 31, v4
	s_delay_alu instid0(VALU_DEP_1) | instskip(NEXT) | instid1(VALU_DEP_1)
	v_lshlrev_b64 v[5:6], 3, v[4:5]
	v_add_co_u32 v5, s0, v12, v5
	s_delay_alu instid0(VALU_DEP_1)
	v_add_co_ci_u32_e64 v6, s0, v14, v6, s0
	global_load_b64 v[15:16], v[5:6], off
	s_waitcnt vmcnt(0)
	v_add_f64 v[10:11], v[10:11], v[15:16]
	global_store_b64 v[5:6], v[10:11], off
.LBB1469_5:
	s_or_b32 exec_lo, exec_lo, s1
	v_add_nc_u32_e32 v6, 16, v4
	s_delay_alu instid0(VALU_DEP_1) | instskip(NEXT) | instid1(VALU_DEP_1)
	v_cmp_le_i32_e64 s0, v6, v13
	s_and_b32 s1, vcc_lo, s0
	s_delay_alu instid0(SALU_CYCLE_1)
	s_and_saveexec_b32 s0, s1
	s_cbranch_execz .LBB1469_7
; %bb.6:
	v_ashrrev_i32_e32 v7, 31, v6
	s_delay_alu instid0(VALU_DEP_1) | instskip(NEXT) | instid1(VALU_DEP_1)
	v_lshlrev_b64 v[10:11], 3, v[6:7]
	v_add_co_u32 v10, vcc_lo, v12, v10
	s_delay_alu instid0(VALU_DEP_2)
	v_add_co_ci_u32_e32 v11, vcc_lo, v14, v11, vcc_lo
	global_load_b64 v[14:15], v[10:11], off
	s_waitcnt vmcnt(0)
	v_add_f64 v[7:8], v[8:9], v[14:15]
	global_store_b64 v[10:11], v[7:8], off
.LBB1469_7:
	s_or_b32 exec_lo, exec_lo, s0
	v_add_nc_u32_e32 v7, 16, v13
	s_delay_alu instid0(VALU_DEP_1) | instskip(SKIP_3) | instid1(VALU_DEP_4)
	v_ashrrev_i32_e32 v5, 31, v7
	v_mul_lo_u32 v10, v7, s7
	v_mad_u64_u32 v[8:9], null, v7, s6, 0
	v_cmp_gt_i32_e32 vcc_lo, s4, v7
	v_mul_lo_u32 v5, v5, s6
	v_cmp_le_i32_e64 s0, v4, v7
	s_delay_alu instid0(VALU_DEP_1) | instskip(NEXT) | instid1(VALU_DEP_2)
	s_and_b32 s0, vcc_lo, s0
	v_add3_u32 v9, v9, v10, v5
	s_delay_alu instid0(VALU_DEP_1) | instskip(NEXT) | instid1(VALU_DEP_1)
	v_lshlrev_b64 v[8:9], 3, v[8:9]
	v_add_co_u32 v8, s1, s2, v8
	s_delay_alu instid0(VALU_DEP_1)
	v_add_co_ci_u32_e64 v9, s1, s3, v9, s1
	s_and_saveexec_b32 s1, s0
	s_cbranch_execz .LBB1469_9
; %bb.8:
	v_ashrrev_i32_e32 v5, 31, v4
	s_delay_alu instid0(VALU_DEP_1) | instskip(NEXT) | instid1(VALU_DEP_1)
	v_lshlrev_b64 v[4:5], 3, v[4:5]
	v_add_co_u32 v4, s0, v8, v4
	s_delay_alu instid0(VALU_DEP_1)
	v_add_co_ci_u32_e64 v5, s0, v9, v5, s0
	global_load_b64 v[10:11], v[4:5], off
	s_waitcnt vmcnt(0)
	v_add_f64 v[2:3], v[2:3], v[10:11]
	global_store_b64 v[4:5], v[2:3], off
.LBB1469_9:
	s_or_b32 exec_lo, exec_lo, s1
	v_cmp_le_i32_e64 s0, v6, v7
	s_delay_alu instid0(VALU_DEP_1) | instskip(NEXT) | instid1(SALU_CYCLE_1)
	s_and_b32 s0, vcc_lo, s0
	s_and_saveexec_b32 s1, s0
	s_cbranch_execz .LBB1469_11
; %bb.10:
	v_ashrrev_i32_e32 v7, 31, v6
	s_delay_alu instid0(VALU_DEP_1) | instskip(NEXT) | instid1(VALU_DEP_1)
	v_lshlrev_b64 v[2:3], 3, v[6:7]
	v_add_co_u32 v2, vcc_lo, v8, v2
	s_delay_alu instid0(VALU_DEP_2)
	v_add_co_ci_u32_e32 v3, vcc_lo, v9, v3, vcc_lo
	global_load_b64 v[4:5], v[2:3], off
	s_waitcnt vmcnt(0)
	v_add_f64 v[0:1], v[0:1], v[4:5]
	global_store_b64 v[2:3], v[0:1], off
.LBB1469_11:
	s_nop 0
	s_sendmsg sendmsg(MSG_DEALLOC_VGPRS)
	s_endpgm
	.section	.rodata,"a",@progbits
	.p2align	6, 0x0
	.amdhsa_kernel _ZL37rocblas_syrkx_herkx_restricted_kernelIldLi16ELi32ELi8ELi1ELi1ELb0ELc67ELc85EKPKdKPdEviT_PT9_S5_lS7_S5_lPT10_S5_li
		.amdhsa_group_segment_fixed_size 4096
		.amdhsa_private_segment_fixed_size 0
		.amdhsa_kernarg_size 92
		.amdhsa_user_sgpr_count 13
		.amdhsa_user_sgpr_dispatch_ptr 0
		.amdhsa_user_sgpr_queue_ptr 0
		.amdhsa_user_sgpr_kernarg_segment_ptr 1
		.amdhsa_user_sgpr_dispatch_id 0
		.amdhsa_user_sgpr_private_segment_size 0
		.amdhsa_wavefront_size32 1
		.amdhsa_uses_dynamic_stack 0
		.amdhsa_enable_private_segment 0
		.amdhsa_system_sgpr_workgroup_id_x 1
		.amdhsa_system_sgpr_workgroup_id_y 1
		.amdhsa_system_sgpr_workgroup_id_z 1
		.amdhsa_system_sgpr_workgroup_info 0
		.amdhsa_system_vgpr_workitem_id 1
		.amdhsa_next_free_vgpr 38
		.amdhsa_next_free_sgpr 20
		.amdhsa_reserve_vcc 1
		.amdhsa_float_round_mode_32 0
		.amdhsa_float_round_mode_16_64 0
		.amdhsa_float_denorm_mode_32 3
		.amdhsa_float_denorm_mode_16_64 3
		.amdhsa_dx10_clamp 1
		.amdhsa_ieee_mode 1
		.amdhsa_fp16_overflow 0
		.amdhsa_workgroup_processor_mode 1
		.amdhsa_memory_ordered 1
		.amdhsa_forward_progress 0
		.amdhsa_shared_vgpr_count 0
		.amdhsa_exception_fp_ieee_invalid_op 0
		.amdhsa_exception_fp_denorm_src 0
		.amdhsa_exception_fp_ieee_div_zero 0
		.amdhsa_exception_fp_ieee_overflow 0
		.amdhsa_exception_fp_ieee_underflow 0
		.amdhsa_exception_fp_ieee_inexact 0
		.amdhsa_exception_int_div_zero 0
	.end_amdhsa_kernel
	.section	.text._ZL37rocblas_syrkx_herkx_restricted_kernelIldLi16ELi32ELi8ELi1ELi1ELb0ELc67ELc85EKPKdKPdEviT_PT9_S5_lS7_S5_lPT10_S5_li,"axG",@progbits,_ZL37rocblas_syrkx_herkx_restricted_kernelIldLi16ELi32ELi8ELi1ELi1ELb0ELc67ELc85EKPKdKPdEviT_PT9_S5_lS7_S5_lPT10_S5_li,comdat
.Lfunc_end1469:
	.size	_ZL37rocblas_syrkx_herkx_restricted_kernelIldLi16ELi32ELi8ELi1ELi1ELb0ELc67ELc85EKPKdKPdEviT_PT9_S5_lS7_S5_lPT10_S5_li, .Lfunc_end1469-_ZL37rocblas_syrkx_herkx_restricted_kernelIldLi16ELi32ELi8ELi1ELi1ELb0ELc67ELc85EKPKdKPdEviT_PT9_S5_lS7_S5_lPT10_S5_li
                                        ; -- End function
	.section	.AMDGPU.csdata,"",@progbits
; Kernel info:
; codeLenInByte = 1540
; NumSgprs: 22
; NumVgprs: 38
; ScratchSize: 0
; MemoryBound: 0
; FloatMode: 240
; IeeeMode: 1
; LDSByteSize: 4096 bytes/workgroup (compile time only)
; SGPRBlocks: 2
; VGPRBlocks: 4
; NumSGPRsForWavesPerEU: 22
; NumVGPRsForWavesPerEU: 38
; Occupancy: 16
; WaveLimiterHint : 1
; COMPUTE_PGM_RSRC2:SCRATCH_EN: 0
; COMPUTE_PGM_RSRC2:USER_SGPR: 13
; COMPUTE_PGM_RSRC2:TRAP_HANDLER: 0
; COMPUTE_PGM_RSRC2:TGID_X_EN: 1
; COMPUTE_PGM_RSRC2:TGID_Y_EN: 1
; COMPUTE_PGM_RSRC2:TGID_Z_EN: 1
; COMPUTE_PGM_RSRC2:TIDIG_COMP_CNT: 1
	.section	.text._ZL37rocblas_syrkx_herkx_restricted_kernelIldLi16ELi32ELi8ELi1ELi1ELb0ELc78ELc85EKPKdKPdEviT_PT9_S5_lS7_S5_lPT10_S5_li,"axG",@progbits,_ZL37rocblas_syrkx_herkx_restricted_kernelIldLi16ELi32ELi8ELi1ELi1ELb0ELc78ELc85EKPKdKPdEviT_PT9_S5_lS7_S5_lPT10_S5_li,comdat
	.globl	_ZL37rocblas_syrkx_herkx_restricted_kernelIldLi16ELi32ELi8ELi1ELi1ELb0ELc78ELc85EKPKdKPdEviT_PT9_S5_lS7_S5_lPT10_S5_li ; -- Begin function _ZL37rocblas_syrkx_herkx_restricted_kernelIldLi16ELi32ELi8ELi1ELi1ELb0ELc78ELc85EKPKdKPdEviT_PT9_S5_lS7_S5_lPT10_S5_li
	.p2align	8
	.type	_ZL37rocblas_syrkx_herkx_restricted_kernelIldLi16ELi32ELi8ELi1ELi1ELb0ELc78ELc85EKPKdKPdEviT_PT9_S5_lS7_S5_lPT10_S5_li,@function
_ZL37rocblas_syrkx_herkx_restricted_kernelIldLi16ELi32ELi8ELi1ELi1ELb0ELc78ELc85EKPKdKPdEviT_PT9_S5_lS7_S5_lPT10_S5_li: ; @_ZL37rocblas_syrkx_herkx_restricted_kernelIldLi16ELi32ELi8ELi1ELi1ELb0ELc78ELc85EKPKdKPdEviT_PT9_S5_lS7_S5_lPT10_S5_li
; %bb.0:
	s_clause 0x1
	s_load_b128 s[4:7], s[0:1], 0x40
	s_load_b128 s[8:11], s[0:1], 0x8
	s_mov_b32 s2, s15
	s_mov_b32 s3, 0
	v_mov_b32_e32 v10, 0
	s_lshl_b64 s[16:17], s[2:3], 3
	v_dual_mov_b32 v11, 0 :: v_dual_and_b32 v12, 0x3ff, v0
	v_bfe_u32 v13, v0, 10, 10
	s_delay_alu instid0(VALU_DEP_3) | instskip(NEXT) | instid1(VALU_DEP_3)
	v_mov_b32_e32 v8, v10
	v_dual_mov_b32 v2, v10 :: v_dual_mov_b32 v3, v11
	v_dual_mov_b32 v9, v11 :: v_dual_mov_b32 v0, v10
	v_mov_b32_e32 v1, v11
	s_waitcnt lgkmcnt(0)
	s_add_u32 s2, s4, s16
	s_addc_u32 s3, s5, s17
	v_cmp_lt_i64_e64 s4, s[8:9], 1
	s_load_b64 s[2:3], s[2:3], 0x0
	s_lshl_b32 s18, s13, 5
	s_lshl_b32 s19, s14, 5
	s_delay_alu instid0(VALU_DEP_1)
	s_and_b32 vcc_lo, exec_lo, s4
	s_cbranch_vccnz .LBB1470_3
; %bb.1:
	v_lshl_add_u32 v1, v13, 4, v12
	s_clause 0x1
	s_load_b64 s[4:5], s[0:1], 0x18
	s_load_b128 s[12:15], s[0:1], 0x28
	s_add_u32 s10, s10, s16
	s_addc_u32 s11, s11, s17
	s_load_b64 s[10:11], s[10:11], 0x0
	v_and_b32_e32 v10, 31, v1
	v_lshrrev_b32_e32 v11, 3, v1
	v_lshrrev_b32_e32 v16, 5, v1
	s_delay_alu instid0(VALU_DEP_3) | instskip(NEXT) | instid1(VALU_DEP_3)
	v_add_nc_u32_e32 v0, s18, v10
	v_add_nc_u32_e32 v2, s19, v11
	s_delay_alu instid0(VALU_DEP_2) | instskip(NEXT) | instid1(VALU_DEP_2)
	v_ashrrev_i32_e32 v1, 31, v0
	v_ashrrev_i32_e32 v3, 31, v2
	s_waitcnt lgkmcnt(0)
	s_delay_alu instid0(VALU_DEP_2) | instskip(SKIP_4) | instid1(VALU_DEP_2)
	v_mad_u64_u32 v[4:5], null, v16, s4, v[0:1]
	v_and_b32_e32 v15, 7, v12
	s_add_u32 s12, s12, s16
	s_addc_u32 s13, s13, s17
	s_load_b64 s[12:13], s[12:13], 0x0
	v_mov_b32_e32 v0, v5
	v_mad_u64_u32 v[6:7], null, v15, s14, v[2:3]
	s_delay_alu instid0(VALU_DEP_1) | instskip(NEXT) | instid1(VALU_DEP_3)
	v_mov_b32_e32 v2, v7
	v_mad_u64_u32 v[7:8], null, v16, s5, v[0:1]
	s_lshl_b64 s[4:5], s[4:5], 6
	s_delay_alu instid0(VALU_DEP_2) | instskip(SKIP_2) | instid1(VALU_DEP_4)
	v_mad_u64_u32 v[8:9], null, v15, s15, v[2:3]
	v_lshlrev_b32_e32 v9, 3, v15
	v_lshl_add_u32 v15, v13, 6, 0x800
	v_mov_b32_e32 v5, v7
	s_delay_alu instid0(VALU_DEP_3) | instskip(SKIP_1) | instid1(VALU_DEP_3)
	v_lshl_or_b32 v11, v11, 6, v9
	v_mov_b32_e32 v7, v8
	v_lshlrev_b64 v[4:5], 3, v[4:5]
	v_mov_b32_e32 v0, 0
	v_mov_b32_e32 v1, 0
	v_add_nc_u32_e32 v17, 0x800, v11
	v_lshlrev_b64 v[6:7], 3, v[6:7]
	v_lshlrev_b32_e32 v10, 3, v10
	v_add_co_u32 v4, vcc_lo, s10, v4
	v_dual_mov_b32 v3, v1 :: v_dual_lshlrev_b32 v14, 3, v12
	v_add_co_ci_u32_e32 v5, vcc_lo, s11, v5, vcc_lo
	v_dual_mov_b32 v2, v0 :: v_dual_mov_b32 v9, v1
	s_waitcnt lgkmcnt(0)
	v_add_co_u32 v6, vcc_lo, s12, v6
	v_mov_b32_e32 v8, v0
	v_lshl_or_b32 v16, v16, 8, v10
	v_mov_b32_e32 v11, v1
	v_add_co_ci_u32_e32 v7, vcc_lo, s13, v7, vcc_lo
	v_mov_b32_e32 v10, v0
	s_lshl_b64 s[10:11], s[14:15], 6
	s_mov_b64 s[12:13], 0
.LBB1470_2:                             ; =>This Inner Loop Header: Depth=1
	global_load_b64 v[18:19], v[4:5], off
	global_load_b64 v[20:21], v[6:7], off
	s_add_u32 s12, s12, 8
	v_add_co_u32 v4, vcc_lo, v4, s4
	s_addc_u32 s13, s13, 0
	v_add_co_ci_u32_e32 v5, vcc_lo, s5, v5, vcc_lo
	v_cmp_ge_u64_e64 s14, s[12:13], s[8:9]
	v_add_co_u32 v6, vcc_lo, v6, s10
	v_add_co_ci_u32_e32 v7, vcc_lo, s11, v7, vcc_lo
	s_waitcnt vmcnt(1)
	ds_store_b64 v16, v[18:19]
	s_waitcnt vmcnt(0)
	ds_store_b64 v17, v[20:21]
	s_waitcnt lgkmcnt(0)
	s_barrier
	buffer_gl0_inv
	ds_load_2addr_b64 v[18:21], v14 offset1:16
	ds_load_b128 v[22:25], v15
	ds_load_b128 v[26:29], v15 offset:1024
	ds_load_b128 v[30:33], v15 offset:16
	;; [unrolled: 1-line block ×3, first 2 shown]
	s_and_b32 vcc_lo, exec_lo, s14
	s_waitcnt lgkmcnt(3)
	v_fma_f64 v[10:11], v[18:19], v[22:23], v[10:11]
	v_fma_f64 v[8:9], v[20:21], v[22:23], v[8:9]
	s_waitcnt lgkmcnt(2)
	v_fma_f64 v[18:19], v[18:19], v[26:27], v[2:3]
	v_fma_f64 v[20:21], v[20:21], v[26:27], v[0:1]
	ds_load_2addr_b64 v[0:3], v14 offset0:32 offset1:48
	s_waitcnt lgkmcnt(0)
	v_fma_f64 v[10:11], v[0:1], v[24:25], v[10:11]
	v_fma_f64 v[8:9], v[2:3], v[24:25], v[8:9]
	v_fma_f64 v[18:19], v[0:1], v[28:29], v[18:19]
	v_fma_f64 v[20:21], v[2:3], v[28:29], v[20:21]
	ds_load_2addr_b64 v[0:3], v14 offset0:64 offset1:80
	s_waitcnt lgkmcnt(0)
	v_fma_f64 v[10:11], v[0:1], v[30:31], v[10:11]
	v_fma_f64 v[8:9], v[2:3], v[30:31], v[8:9]
	;; [unrolled: 6-line block ×3, first 2 shown]
	v_fma_f64 v[34:35], v[0:1], v[36:37], v[18:19]
	v_fma_f64 v[36:37], v[2:3], v[36:37], v[20:21]
	ds_load_2addr_b64 v[0:3], v14 offset0:128 offset1:144
	ds_load_b128 v[8:11], v15 offset:32
	ds_load_b128 v[18:21], v15 offset:1056
	;; [unrolled: 1-line block ×4, first 2 shown]
	s_waitcnt lgkmcnt(3)
	v_fma_f64 v[30:31], v[0:1], v[8:9], v[30:31]
	v_fma_f64 v[8:9], v[2:3], v[8:9], v[32:33]
	s_waitcnt lgkmcnt(2)
	v_fma_f64 v[32:33], v[0:1], v[18:19], v[34:35]
	v_fma_f64 v[18:19], v[2:3], v[18:19], v[36:37]
	ds_load_2addr_b64 v[0:3], v14 offset0:160 offset1:176
	s_waitcnt lgkmcnt(0)
	v_fma_f64 v[30:31], v[0:1], v[10:11], v[30:31]
	v_fma_f64 v[8:9], v[2:3], v[10:11], v[8:9]
	;; [unrolled: 1-line block ×4, first 2 shown]
	ds_load_2addr_b64 v[0:3], v14 offset0:192 offset1:208
	s_waitcnt lgkmcnt(0)
	v_fma_f64 v[30:31], v[0:1], v[22:23], v[30:31]
	v_fma_f64 v[8:9], v[2:3], v[22:23], v[8:9]
	;; [unrolled: 1-line block ×4, first 2 shown]
	ds_load_2addr_b64 v[18:21], v14 offset0:224 offset1:240
	s_waitcnt lgkmcnt(0)
	s_barrier
	buffer_gl0_inv
	v_fma_f64 v[10:11], v[18:19], v[24:25], v[30:31]
	v_fma_f64 v[8:9], v[20:21], v[24:25], v[8:9]
	;; [unrolled: 1-line block ×4, first 2 shown]
	s_cbranch_vccz .LBB1470_2
.LBB1470_3:
	v_add_nc_u32_e32 v13, s19, v13
	s_load_b32 s4, s[0:1], 0x0
	s_delay_alu instid0(VALU_DEP_1) | instskip(SKIP_2) | instid1(VALU_DEP_3)
	v_ashrrev_i32_e32 v4, 31, v13
	v_mul_lo_u32 v7, v13, s7
	v_mad_u64_u32 v[5:6], null, v13, s6, 0
	v_mul_lo_u32 v4, v4, s6
	s_delay_alu instid0(VALU_DEP_1) | instskip(SKIP_3) | instid1(VALU_DEP_3)
	v_add3_u32 v6, v6, v7, v4
	v_add_nc_u32_e32 v4, s18, v12
	s_waitcnt lgkmcnt(0)
	v_cmp_gt_i32_e32 vcc_lo, s4, v13
	v_lshlrev_b64 v[5:6], 3, v[5:6]
	s_delay_alu instid0(VALU_DEP_3) | instskip(NEXT) | instid1(VALU_DEP_1)
	v_cmp_le_i32_e64 s0, v4, v13
	s_and_b32 s0, vcc_lo, s0
	s_delay_alu instid0(VALU_DEP_2) | instskip(NEXT) | instid1(VALU_DEP_1)
	v_add_co_u32 v12, s1, s2, v5
	v_add_co_ci_u32_e64 v14, s1, s3, v6, s1
	s_and_saveexec_b32 s1, s0
	s_cbranch_execz .LBB1470_5
; %bb.4:
	v_ashrrev_i32_e32 v5, 31, v4
	s_delay_alu instid0(VALU_DEP_1) | instskip(NEXT) | instid1(VALU_DEP_1)
	v_lshlrev_b64 v[5:6], 3, v[4:5]
	v_add_co_u32 v5, s0, v12, v5
	s_delay_alu instid0(VALU_DEP_1)
	v_add_co_ci_u32_e64 v6, s0, v14, v6, s0
	global_load_b64 v[15:16], v[5:6], off
	s_waitcnt vmcnt(0)
	v_add_f64 v[10:11], v[10:11], v[15:16]
	global_store_b64 v[5:6], v[10:11], off
.LBB1470_5:
	s_or_b32 exec_lo, exec_lo, s1
	v_add_nc_u32_e32 v6, 16, v4
	s_delay_alu instid0(VALU_DEP_1) | instskip(NEXT) | instid1(VALU_DEP_1)
	v_cmp_le_i32_e64 s0, v6, v13
	s_and_b32 s1, vcc_lo, s0
	s_delay_alu instid0(SALU_CYCLE_1)
	s_and_saveexec_b32 s0, s1
	s_cbranch_execz .LBB1470_7
; %bb.6:
	v_ashrrev_i32_e32 v7, 31, v6
	s_delay_alu instid0(VALU_DEP_1) | instskip(NEXT) | instid1(VALU_DEP_1)
	v_lshlrev_b64 v[10:11], 3, v[6:7]
	v_add_co_u32 v10, vcc_lo, v12, v10
	s_delay_alu instid0(VALU_DEP_2)
	v_add_co_ci_u32_e32 v11, vcc_lo, v14, v11, vcc_lo
	global_load_b64 v[14:15], v[10:11], off
	s_waitcnt vmcnt(0)
	v_add_f64 v[7:8], v[8:9], v[14:15]
	global_store_b64 v[10:11], v[7:8], off
.LBB1470_7:
	s_or_b32 exec_lo, exec_lo, s0
	v_add_nc_u32_e32 v7, 16, v13
	s_delay_alu instid0(VALU_DEP_1) | instskip(SKIP_3) | instid1(VALU_DEP_4)
	v_ashrrev_i32_e32 v5, 31, v7
	v_mul_lo_u32 v10, v7, s7
	v_mad_u64_u32 v[8:9], null, v7, s6, 0
	v_cmp_gt_i32_e32 vcc_lo, s4, v7
	v_mul_lo_u32 v5, v5, s6
	v_cmp_le_i32_e64 s0, v4, v7
	s_delay_alu instid0(VALU_DEP_1) | instskip(NEXT) | instid1(VALU_DEP_2)
	s_and_b32 s0, vcc_lo, s0
	v_add3_u32 v9, v9, v10, v5
	s_delay_alu instid0(VALU_DEP_1) | instskip(NEXT) | instid1(VALU_DEP_1)
	v_lshlrev_b64 v[8:9], 3, v[8:9]
	v_add_co_u32 v8, s1, s2, v8
	s_delay_alu instid0(VALU_DEP_1)
	v_add_co_ci_u32_e64 v9, s1, s3, v9, s1
	s_and_saveexec_b32 s1, s0
	s_cbranch_execz .LBB1470_9
; %bb.8:
	v_ashrrev_i32_e32 v5, 31, v4
	s_delay_alu instid0(VALU_DEP_1) | instskip(NEXT) | instid1(VALU_DEP_1)
	v_lshlrev_b64 v[4:5], 3, v[4:5]
	v_add_co_u32 v4, s0, v8, v4
	s_delay_alu instid0(VALU_DEP_1)
	v_add_co_ci_u32_e64 v5, s0, v9, v5, s0
	global_load_b64 v[10:11], v[4:5], off
	s_waitcnt vmcnt(0)
	v_add_f64 v[2:3], v[2:3], v[10:11]
	global_store_b64 v[4:5], v[2:3], off
.LBB1470_9:
	s_or_b32 exec_lo, exec_lo, s1
	v_cmp_le_i32_e64 s0, v6, v7
	s_delay_alu instid0(VALU_DEP_1) | instskip(NEXT) | instid1(SALU_CYCLE_1)
	s_and_b32 s0, vcc_lo, s0
	s_and_saveexec_b32 s1, s0
	s_cbranch_execz .LBB1470_11
; %bb.10:
	v_ashrrev_i32_e32 v7, 31, v6
	s_delay_alu instid0(VALU_DEP_1) | instskip(NEXT) | instid1(VALU_DEP_1)
	v_lshlrev_b64 v[2:3], 3, v[6:7]
	v_add_co_u32 v2, vcc_lo, v8, v2
	s_delay_alu instid0(VALU_DEP_2)
	v_add_co_ci_u32_e32 v3, vcc_lo, v9, v3, vcc_lo
	global_load_b64 v[4:5], v[2:3], off
	s_waitcnt vmcnt(0)
	v_add_f64 v[0:1], v[0:1], v[4:5]
	global_store_b64 v[2:3], v[0:1], off
.LBB1470_11:
	s_nop 0
	s_sendmsg sendmsg(MSG_DEALLOC_VGPRS)
	s_endpgm
	.section	.rodata,"a",@progbits
	.p2align	6, 0x0
	.amdhsa_kernel _ZL37rocblas_syrkx_herkx_restricted_kernelIldLi16ELi32ELi8ELi1ELi1ELb0ELc78ELc85EKPKdKPdEviT_PT9_S5_lS7_S5_lPT10_S5_li
		.amdhsa_group_segment_fixed_size 4096
		.amdhsa_private_segment_fixed_size 0
		.amdhsa_kernarg_size 92
		.amdhsa_user_sgpr_count 13
		.amdhsa_user_sgpr_dispatch_ptr 0
		.amdhsa_user_sgpr_queue_ptr 0
		.amdhsa_user_sgpr_kernarg_segment_ptr 1
		.amdhsa_user_sgpr_dispatch_id 0
		.amdhsa_user_sgpr_private_segment_size 0
		.amdhsa_wavefront_size32 1
		.amdhsa_uses_dynamic_stack 0
		.amdhsa_enable_private_segment 0
		.amdhsa_system_sgpr_workgroup_id_x 1
		.amdhsa_system_sgpr_workgroup_id_y 1
		.amdhsa_system_sgpr_workgroup_id_z 1
		.amdhsa_system_sgpr_workgroup_info 0
		.amdhsa_system_vgpr_workitem_id 1
		.amdhsa_next_free_vgpr 38
		.amdhsa_next_free_sgpr 20
		.amdhsa_reserve_vcc 1
		.amdhsa_float_round_mode_32 0
		.amdhsa_float_round_mode_16_64 0
		.amdhsa_float_denorm_mode_32 3
		.amdhsa_float_denorm_mode_16_64 3
		.amdhsa_dx10_clamp 1
		.amdhsa_ieee_mode 1
		.amdhsa_fp16_overflow 0
		.amdhsa_workgroup_processor_mode 1
		.amdhsa_memory_ordered 1
		.amdhsa_forward_progress 0
		.amdhsa_shared_vgpr_count 0
		.amdhsa_exception_fp_ieee_invalid_op 0
		.amdhsa_exception_fp_denorm_src 0
		.amdhsa_exception_fp_ieee_div_zero 0
		.amdhsa_exception_fp_ieee_overflow 0
		.amdhsa_exception_fp_ieee_underflow 0
		.amdhsa_exception_fp_ieee_inexact 0
		.amdhsa_exception_int_div_zero 0
	.end_amdhsa_kernel
	.section	.text._ZL37rocblas_syrkx_herkx_restricted_kernelIldLi16ELi32ELi8ELi1ELi1ELb0ELc78ELc85EKPKdKPdEviT_PT9_S5_lS7_S5_lPT10_S5_li,"axG",@progbits,_ZL37rocblas_syrkx_herkx_restricted_kernelIldLi16ELi32ELi8ELi1ELi1ELb0ELc78ELc85EKPKdKPdEviT_PT9_S5_lS7_S5_lPT10_S5_li,comdat
.Lfunc_end1470:
	.size	_ZL37rocblas_syrkx_herkx_restricted_kernelIldLi16ELi32ELi8ELi1ELi1ELb0ELc78ELc85EKPKdKPdEviT_PT9_S5_lS7_S5_lPT10_S5_li, .Lfunc_end1470-_ZL37rocblas_syrkx_herkx_restricted_kernelIldLi16ELi32ELi8ELi1ELi1ELb0ELc78ELc85EKPKdKPdEviT_PT9_S5_lS7_S5_lPT10_S5_li
                                        ; -- End function
	.section	.AMDGPU.csdata,"",@progbits
; Kernel info:
; codeLenInByte = 1528
; NumSgprs: 22
; NumVgprs: 38
; ScratchSize: 0
; MemoryBound: 0
; FloatMode: 240
; IeeeMode: 1
; LDSByteSize: 4096 bytes/workgroup (compile time only)
; SGPRBlocks: 2
; VGPRBlocks: 4
; NumSGPRsForWavesPerEU: 22
; NumVGPRsForWavesPerEU: 38
; Occupancy: 16
; WaveLimiterHint : 1
; COMPUTE_PGM_RSRC2:SCRATCH_EN: 0
; COMPUTE_PGM_RSRC2:USER_SGPR: 13
; COMPUTE_PGM_RSRC2:TRAP_HANDLER: 0
; COMPUTE_PGM_RSRC2:TGID_X_EN: 1
; COMPUTE_PGM_RSRC2:TGID_Y_EN: 1
; COMPUTE_PGM_RSRC2:TGID_Z_EN: 1
; COMPUTE_PGM_RSRC2:TIDIG_COMP_CNT: 1
	.section	.text._ZL37rocblas_syrkx_herkx_restricted_kernelIldLi16ELi32ELi8ELi1ELin1ELb0ELc84ELc76EKPKdKPdEviT_PT9_S5_lS7_S5_lPT10_S5_li,"axG",@progbits,_ZL37rocblas_syrkx_herkx_restricted_kernelIldLi16ELi32ELi8ELi1ELin1ELb0ELc84ELc76EKPKdKPdEviT_PT9_S5_lS7_S5_lPT10_S5_li,comdat
	.globl	_ZL37rocblas_syrkx_herkx_restricted_kernelIldLi16ELi32ELi8ELi1ELin1ELb0ELc84ELc76EKPKdKPdEviT_PT9_S5_lS7_S5_lPT10_S5_li ; -- Begin function _ZL37rocblas_syrkx_herkx_restricted_kernelIldLi16ELi32ELi8ELi1ELin1ELb0ELc84ELc76EKPKdKPdEviT_PT9_S5_lS7_S5_lPT10_S5_li
	.p2align	8
	.type	_ZL37rocblas_syrkx_herkx_restricted_kernelIldLi16ELi32ELi8ELi1ELin1ELb0ELc84ELc76EKPKdKPdEviT_PT9_S5_lS7_S5_lPT10_S5_li,@function
_ZL37rocblas_syrkx_herkx_restricted_kernelIldLi16ELi32ELi8ELi1ELin1ELb0ELc84ELc76EKPKdKPdEviT_PT9_S5_lS7_S5_lPT10_S5_li: ; @_ZL37rocblas_syrkx_herkx_restricted_kernelIldLi16ELi32ELi8ELi1ELin1ELb0ELc84ELc76EKPKdKPdEviT_PT9_S5_lS7_S5_lPT10_S5_li
; %bb.0:
	s_clause 0x1
	s_load_b128 s[4:7], s[0:1], 0x40
	s_load_b128 s[8:11], s[0:1], 0x8
	s_mov_b32 s2, s15
	s_mov_b32 s3, 0
	v_mov_b32_e32 v10, 0
	s_lshl_b64 s[16:17], s[2:3], 3
	v_dual_mov_b32 v11, 0 :: v_dual_and_b32 v12, 0x3ff, v0
	v_bfe_u32 v13, v0, 10, 10
	s_delay_alu instid0(VALU_DEP_3) | instskip(NEXT) | instid1(VALU_DEP_3)
	v_mov_b32_e32 v8, v10
	v_dual_mov_b32 v2, v10 :: v_dual_mov_b32 v3, v11
	v_dual_mov_b32 v9, v11 :: v_dual_mov_b32 v0, v10
	v_mov_b32_e32 v1, v11
	s_waitcnt lgkmcnt(0)
	s_add_u32 s2, s4, s16
	s_addc_u32 s3, s5, s17
	v_cmp_lt_i64_e64 s4, s[8:9], 1
	s_load_b64 s[2:3], s[2:3], 0x0
	s_lshl_b32 s18, s13, 5
	s_lshl_b32 s19, s14, 5
	s_delay_alu instid0(VALU_DEP_1)
	s_and_b32 vcc_lo, exec_lo, s4
	s_cbranch_vccnz .LBB1471_3
; %bb.1:
	s_clause 0x1
	s_load_b128 s[12:15], s[0:1], 0x28
	s_load_b64 s[4:5], s[0:1], 0x18
	v_lshl_add_u32 v2, v13, 4, v12
	v_dual_mov_b32 v1, 0 :: v_dual_and_b32 v0, 7, v12
	s_add_u32 s10, s10, s16
	s_addc_u32 s11, s11, s17
	s_delay_alu instid0(VALU_DEP_2)
	v_lshrrev_b32_e32 v8, 3, v2
	v_and_b32_e32 v9, 31, v2
	v_lshrrev_b32_e32 v2, 5, v2
	v_mov_b32_e32 v3, v1
	s_load_b64 s[10:11], s[10:11], 0x0
	v_add_nc_u32_e32 v10, s19, v8
	v_add_nc_u32_e32 v6, s18, v9
	v_lshl_add_u32 v17, v13, 6, 0x800
	s_delay_alu instid0(VALU_DEP_3) | instskip(NEXT) | instid1(VALU_DEP_3)
	v_ashrrev_i32_e32 v4, 31, v10
	v_ashrrev_i32_e32 v5, 31, v6
	s_waitcnt lgkmcnt(0)
	s_add_u32 s12, s12, s16
	s_addc_u32 s13, s13, s17
	v_mul_lo_u32 v11, v4, s14
	v_mul_lo_u32 v15, s4, v5
	v_mad_u64_u32 v[4:5], null, s4, v6, v[2:3]
	v_mul_lo_u32 v3, s5, v6
	s_load_b64 s[4:5], s[12:13], 0x0
	v_mul_lo_u32 v14, v10, s15
	v_mad_u64_u32 v[6:7], null, v10, s14, v[0:1]
	v_lshlrev_b32_e32 v0, 3, v0
	v_lshlrev_b32_e32 v1, 3, v9
	v_add3_u32 v5, v3, v5, v15
	s_delay_alu instid0(VALU_DEP_3) | instskip(SKIP_1) | instid1(VALU_DEP_4)
	v_lshl_or_b32 v0, v8, 6, v0
	v_add3_u32 v7, v11, v7, v14
	v_lshl_or_b32 v14, v2, 8, v1
	s_delay_alu instid0(VALU_DEP_4) | instskip(NEXT) | instid1(VALU_DEP_4)
	v_lshlrev_b64 v[2:3], 3, v[4:5]
	v_add_nc_u32_e32 v15, 0x800, v0
	s_delay_alu instid0(VALU_DEP_4)
	v_lshlrev_b64 v[6:7], 3, v[6:7]
	v_mov_b32_e32 v0, 0
	v_mov_b32_e32 v1, 0
	v_add_co_u32 v4, vcc_lo, s10, v2
	v_add_co_ci_u32_e32 v5, vcc_lo, s11, v3, vcc_lo
	s_waitcnt lgkmcnt(0)
	v_add_co_u32 v6, vcc_lo, s4, v6
	v_dual_mov_b32 v3, v1 :: v_dual_lshlrev_b32 v16, 3, v12
	v_add_co_ci_u32_e32 v7, vcc_lo, s5, v7, vcc_lo
	v_dual_mov_b32 v2, v0 :: v_dual_mov_b32 v9, v1
	v_dual_mov_b32 v8, v0 :: v_dual_mov_b32 v11, v1
	v_mov_b32_e32 v10, v0
	s_mov_b64 s[4:5], 0
.LBB1471_2:                             ; =>This Inner Loop Header: Depth=1
	global_load_b64 v[18:19], v[4:5], off
	global_load_b64 v[20:21], v[6:7], off
	s_add_u32 s4, s4, 8
	v_add_co_u32 v4, vcc_lo, v4, 64
	s_addc_u32 s5, s5, 0
	v_add_co_ci_u32_e32 v5, vcc_lo, 0, v5, vcc_lo
	v_cmp_ge_u64_e64 s10, s[4:5], s[8:9]
	v_add_co_u32 v6, vcc_lo, v6, 64
	v_add_co_ci_u32_e32 v7, vcc_lo, 0, v7, vcc_lo
	s_waitcnt vmcnt(1)
	ds_store_b64 v14, v[18:19]
	s_waitcnt vmcnt(0)
	ds_store_b64 v15, v[20:21]
	s_waitcnt lgkmcnt(0)
	s_barrier
	buffer_gl0_inv
	ds_load_2addr_b64 v[18:21], v16 offset1:16
	ds_load_b128 v[22:25], v17
	ds_load_b128 v[26:29], v17 offset:1024
	ds_load_b128 v[30:33], v17 offset:16
	;; [unrolled: 1-line block ×3, first 2 shown]
	s_and_b32 vcc_lo, exec_lo, s10
	s_waitcnt lgkmcnt(3)
	v_fma_f64 v[10:11], v[18:19], v[22:23], v[10:11]
	v_fma_f64 v[8:9], v[20:21], v[22:23], v[8:9]
	s_waitcnt lgkmcnt(2)
	v_fma_f64 v[18:19], v[18:19], v[26:27], v[2:3]
	v_fma_f64 v[20:21], v[20:21], v[26:27], v[0:1]
	ds_load_2addr_b64 v[0:3], v16 offset0:32 offset1:48
	s_waitcnt lgkmcnt(0)
	v_fma_f64 v[10:11], v[0:1], v[24:25], v[10:11]
	v_fma_f64 v[8:9], v[2:3], v[24:25], v[8:9]
	v_fma_f64 v[18:19], v[0:1], v[28:29], v[18:19]
	v_fma_f64 v[20:21], v[2:3], v[28:29], v[20:21]
	ds_load_2addr_b64 v[0:3], v16 offset0:64 offset1:80
	s_waitcnt lgkmcnt(0)
	v_fma_f64 v[10:11], v[0:1], v[30:31], v[10:11]
	v_fma_f64 v[8:9], v[2:3], v[30:31], v[8:9]
	;; [unrolled: 6-line block ×3, first 2 shown]
	v_fma_f64 v[34:35], v[0:1], v[36:37], v[18:19]
	v_fma_f64 v[36:37], v[2:3], v[36:37], v[20:21]
	ds_load_2addr_b64 v[0:3], v16 offset0:128 offset1:144
	ds_load_b128 v[8:11], v17 offset:32
	ds_load_b128 v[18:21], v17 offset:1056
	ds_load_b128 v[22:25], v17 offset:48
	ds_load_b128 v[26:29], v17 offset:1072
	s_waitcnt lgkmcnt(3)
	v_fma_f64 v[30:31], v[0:1], v[8:9], v[30:31]
	v_fma_f64 v[8:9], v[2:3], v[8:9], v[32:33]
	s_waitcnt lgkmcnt(2)
	v_fma_f64 v[32:33], v[0:1], v[18:19], v[34:35]
	v_fma_f64 v[18:19], v[2:3], v[18:19], v[36:37]
	ds_load_2addr_b64 v[0:3], v16 offset0:160 offset1:176
	s_waitcnt lgkmcnt(0)
	v_fma_f64 v[30:31], v[0:1], v[10:11], v[30:31]
	v_fma_f64 v[8:9], v[2:3], v[10:11], v[8:9]
	;; [unrolled: 1-line block ×4, first 2 shown]
	ds_load_2addr_b64 v[0:3], v16 offset0:192 offset1:208
	s_waitcnt lgkmcnt(0)
	v_fma_f64 v[30:31], v[0:1], v[22:23], v[30:31]
	v_fma_f64 v[8:9], v[2:3], v[22:23], v[8:9]
	;; [unrolled: 1-line block ×4, first 2 shown]
	ds_load_2addr_b64 v[18:21], v16 offset0:224 offset1:240
	s_waitcnt lgkmcnt(0)
	s_barrier
	buffer_gl0_inv
	v_fma_f64 v[10:11], v[18:19], v[24:25], v[30:31]
	v_fma_f64 v[8:9], v[20:21], v[24:25], v[8:9]
	;; [unrolled: 1-line block ×4, first 2 shown]
	s_cbranch_vccz .LBB1471_2
.LBB1471_3:
	v_add_nc_u32_e32 v13, s19, v13
	s_load_b32 s4, s[0:1], 0x0
	s_delay_alu instid0(VALU_DEP_1) | instskip(SKIP_2) | instid1(VALU_DEP_3)
	v_ashrrev_i32_e32 v4, 31, v13
	v_mul_lo_u32 v7, v13, s7
	v_mad_u64_u32 v[5:6], null, v13, s6, 0
	v_mul_lo_u32 v4, v4, s6
	s_delay_alu instid0(VALU_DEP_1) | instskip(SKIP_1) | instid1(VALU_DEP_2)
	v_add3_u32 v6, v6, v7, v4
	v_add_nc_u32_e32 v4, s18, v12
	v_lshlrev_b64 v[5:6], 3, v[5:6]
	s_delay_alu instid0(VALU_DEP_2) | instskip(SKIP_2) | instid1(VALU_DEP_3)
	v_cmp_le_i32_e64 s0, v13, v4
	s_waitcnt lgkmcnt(0)
	v_cmp_gt_i32_e32 vcc_lo, s4, v4
	v_add_co_u32 v12, s1, s2, v5
	s_delay_alu instid0(VALU_DEP_1) | instskip(SKIP_1) | instid1(SALU_CYCLE_1)
	v_add_co_ci_u32_e64 v14, s1, s3, v6, s1
	s_and_b32 s0, s0, vcc_lo
	s_and_saveexec_b32 s1, s0
	s_cbranch_execz .LBB1471_5
; %bb.4:
	v_ashrrev_i32_e32 v5, 31, v4
	s_delay_alu instid0(VALU_DEP_1) | instskip(NEXT) | instid1(VALU_DEP_1)
	v_lshlrev_b64 v[5:6], 3, v[4:5]
	v_add_co_u32 v5, s0, v12, v5
	s_delay_alu instid0(VALU_DEP_1)
	v_add_co_ci_u32_e64 v6, s0, v14, v6, s0
	global_load_b64 v[15:16], v[5:6], off
	s_waitcnt vmcnt(0)
	v_add_f64 v[10:11], v[10:11], -v[15:16]
	global_store_b64 v[5:6], v[10:11], off
.LBB1471_5:
	s_or_b32 exec_lo, exec_lo, s1
	v_add_nc_u32_e32 v6, 16, v4
	s_delay_alu instid0(VALU_DEP_1) | instskip(SKIP_1) | instid1(VALU_DEP_1)
	v_cmp_le_i32_e64 s1, v13, v6
	v_cmp_gt_i32_e64 s0, s4, v6
	s_and_b32 s1, s1, s0
	s_delay_alu instid0(SALU_CYCLE_1)
	s_and_saveexec_b32 s4, s1
	s_cbranch_execz .LBB1471_7
; %bb.6:
	v_ashrrev_i32_e32 v7, 31, v6
	s_delay_alu instid0(VALU_DEP_1) | instskip(NEXT) | instid1(VALU_DEP_1)
	v_lshlrev_b64 v[10:11], 3, v[6:7]
	v_add_co_u32 v10, s1, v12, v10
	s_delay_alu instid0(VALU_DEP_1)
	v_add_co_ci_u32_e64 v11, s1, v14, v11, s1
	global_load_b64 v[14:15], v[10:11], off
	s_waitcnt vmcnt(0)
	v_add_f64 v[7:8], v[8:9], -v[14:15]
	global_store_b64 v[10:11], v[7:8], off
.LBB1471_7:
	s_or_b32 exec_lo, exec_lo, s4
	v_add_nc_u32_e32 v7, 16, v13
	s_delay_alu instid0(VALU_DEP_1) | instskip(SKIP_3) | instid1(VALU_DEP_4)
	v_ashrrev_i32_e32 v5, 31, v7
	v_mul_lo_u32 v10, v7, s7
	v_mad_u64_u32 v[8:9], null, v7, s6, 0
	v_cmp_le_i32_e64 s1, v7, v4
	v_mul_lo_u32 v5, v5, s6
	s_delay_alu instid0(VALU_DEP_1) | instskip(NEXT) | instid1(VALU_DEP_1)
	v_add3_u32 v9, v9, v10, v5
	v_lshlrev_b64 v[8:9], 3, v[8:9]
	s_delay_alu instid0(VALU_DEP_1) | instskip(NEXT) | instid1(VALU_DEP_1)
	v_add_co_u32 v8, s2, s2, v8
	v_add_co_ci_u32_e64 v9, s2, s3, v9, s2
	s_and_b32 s2, s1, vcc_lo
	s_delay_alu instid0(SALU_CYCLE_1)
	s_and_saveexec_b32 s1, s2
	s_cbranch_execz .LBB1471_9
; %bb.8:
	v_ashrrev_i32_e32 v5, 31, v4
	s_delay_alu instid0(VALU_DEP_1) | instskip(NEXT) | instid1(VALU_DEP_1)
	v_lshlrev_b64 v[4:5], 3, v[4:5]
	v_add_co_u32 v4, vcc_lo, v8, v4
	s_delay_alu instid0(VALU_DEP_2)
	v_add_co_ci_u32_e32 v5, vcc_lo, v9, v5, vcc_lo
	global_load_b64 v[10:11], v[4:5], off
	s_waitcnt vmcnt(0)
	v_add_f64 v[2:3], v[2:3], -v[10:11]
	global_store_b64 v[4:5], v[2:3], off
.LBB1471_9:
	s_or_b32 exec_lo, exec_lo, s1
	v_cmp_le_i32_e32 vcc_lo, v7, v6
	s_and_b32 s0, vcc_lo, s0
	s_delay_alu instid0(SALU_CYCLE_1)
	s_and_saveexec_b32 s1, s0
	s_cbranch_execz .LBB1471_11
; %bb.10:
	v_ashrrev_i32_e32 v7, 31, v6
	s_delay_alu instid0(VALU_DEP_1) | instskip(NEXT) | instid1(VALU_DEP_1)
	v_lshlrev_b64 v[2:3], 3, v[6:7]
	v_add_co_u32 v2, vcc_lo, v8, v2
	s_delay_alu instid0(VALU_DEP_2)
	v_add_co_ci_u32_e32 v3, vcc_lo, v9, v3, vcc_lo
	global_load_b64 v[4:5], v[2:3], off
	s_waitcnt vmcnt(0)
	v_add_f64 v[0:1], v[0:1], -v[4:5]
	global_store_b64 v[2:3], v[0:1], off
.LBB1471_11:
	s_nop 0
	s_sendmsg sendmsg(MSG_DEALLOC_VGPRS)
	s_endpgm
	.section	.rodata,"a",@progbits
	.p2align	6, 0x0
	.amdhsa_kernel _ZL37rocblas_syrkx_herkx_restricted_kernelIldLi16ELi32ELi8ELi1ELin1ELb0ELc84ELc76EKPKdKPdEviT_PT9_S5_lS7_S5_lPT10_S5_li
		.amdhsa_group_segment_fixed_size 4096
		.amdhsa_private_segment_fixed_size 0
		.amdhsa_kernarg_size 92
		.amdhsa_user_sgpr_count 13
		.amdhsa_user_sgpr_dispatch_ptr 0
		.amdhsa_user_sgpr_queue_ptr 0
		.amdhsa_user_sgpr_kernarg_segment_ptr 1
		.amdhsa_user_sgpr_dispatch_id 0
		.amdhsa_user_sgpr_private_segment_size 0
		.amdhsa_wavefront_size32 1
		.amdhsa_uses_dynamic_stack 0
		.amdhsa_enable_private_segment 0
		.amdhsa_system_sgpr_workgroup_id_x 1
		.amdhsa_system_sgpr_workgroup_id_y 1
		.amdhsa_system_sgpr_workgroup_id_z 1
		.amdhsa_system_sgpr_workgroup_info 0
		.amdhsa_system_vgpr_workitem_id 1
		.amdhsa_next_free_vgpr 38
		.amdhsa_next_free_sgpr 20
		.amdhsa_reserve_vcc 1
		.amdhsa_float_round_mode_32 0
		.amdhsa_float_round_mode_16_64 0
		.amdhsa_float_denorm_mode_32 3
		.amdhsa_float_denorm_mode_16_64 3
		.amdhsa_dx10_clamp 1
		.amdhsa_ieee_mode 1
		.amdhsa_fp16_overflow 0
		.amdhsa_workgroup_processor_mode 1
		.amdhsa_memory_ordered 1
		.amdhsa_forward_progress 0
		.amdhsa_shared_vgpr_count 0
		.amdhsa_exception_fp_ieee_invalid_op 0
		.amdhsa_exception_fp_denorm_src 0
		.amdhsa_exception_fp_ieee_div_zero 0
		.amdhsa_exception_fp_ieee_overflow 0
		.amdhsa_exception_fp_ieee_underflow 0
		.amdhsa_exception_fp_ieee_inexact 0
		.amdhsa_exception_int_div_zero 0
	.end_amdhsa_kernel
	.section	.text._ZL37rocblas_syrkx_herkx_restricted_kernelIldLi16ELi32ELi8ELi1ELin1ELb0ELc84ELc76EKPKdKPdEviT_PT9_S5_lS7_S5_lPT10_S5_li,"axG",@progbits,_ZL37rocblas_syrkx_herkx_restricted_kernelIldLi16ELi32ELi8ELi1ELin1ELb0ELc84ELc76EKPKdKPdEviT_PT9_S5_lS7_S5_lPT10_S5_li,comdat
.Lfunc_end1471:
	.size	_ZL37rocblas_syrkx_herkx_restricted_kernelIldLi16ELi32ELi8ELi1ELin1ELb0ELc84ELc76EKPKdKPdEviT_PT9_S5_lS7_S5_lPT10_S5_li, .Lfunc_end1471-_ZL37rocblas_syrkx_herkx_restricted_kernelIldLi16ELi32ELi8ELi1ELin1ELb0ELc84ELc76EKPKdKPdEviT_PT9_S5_lS7_S5_lPT10_S5_li
                                        ; -- End function
	.section	.AMDGPU.csdata,"",@progbits
; Kernel info:
; codeLenInByte = 1540
; NumSgprs: 22
; NumVgprs: 38
; ScratchSize: 0
; MemoryBound: 0
; FloatMode: 240
; IeeeMode: 1
; LDSByteSize: 4096 bytes/workgroup (compile time only)
; SGPRBlocks: 2
; VGPRBlocks: 4
; NumSGPRsForWavesPerEU: 22
; NumVGPRsForWavesPerEU: 38
; Occupancy: 16
; WaveLimiterHint : 1
; COMPUTE_PGM_RSRC2:SCRATCH_EN: 0
; COMPUTE_PGM_RSRC2:USER_SGPR: 13
; COMPUTE_PGM_RSRC2:TRAP_HANDLER: 0
; COMPUTE_PGM_RSRC2:TGID_X_EN: 1
; COMPUTE_PGM_RSRC2:TGID_Y_EN: 1
; COMPUTE_PGM_RSRC2:TGID_Z_EN: 1
; COMPUTE_PGM_RSRC2:TIDIG_COMP_CNT: 1
	.section	.text._ZL37rocblas_syrkx_herkx_restricted_kernelIldLi16ELi32ELi8ELi1ELin1ELb0ELc67ELc76EKPKdKPdEviT_PT9_S5_lS7_S5_lPT10_S5_li,"axG",@progbits,_ZL37rocblas_syrkx_herkx_restricted_kernelIldLi16ELi32ELi8ELi1ELin1ELb0ELc67ELc76EKPKdKPdEviT_PT9_S5_lS7_S5_lPT10_S5_li,comdat
	.globl	_ZL37rocblas_syrkx_herkx_restricted_kernelIldLi16ELi32ELi8ELi1ELin1ELb0ELc67ELc76EKPKdKPdEviT_PT9_S5_lS7_S5_lPT10_S5_li ; -- Begin function _ZL37rocblas_syrkx_herkx_restricted_kernelIldLi16ELi32ELi8ELi1ELin1ELb0ELc67ELc76EKPKdKPdEviT_PT9_S5_lS7_S5_lPT10_S5_li
	.p2align	8
	.type	_ZL37rocblas_syrkx_herkx_restricted_kernelIldLi16ELi32ELi8ELi1ELin1ELb0ELc67ELc76EKPKdKPdEviT_PT9_S5_lS7_S5_lPT10_S5_li,@function
_ZL37rocblas_syrkx_herkx_restricted_kernelIldLi16ELi32ELi8ELi1ELin1ELb0ELc67ELc76EKPKdKPdEviT_PT9_S5_lS7_S5_lPT10_S5_li: ; @_ZL37rocblas_syrkx_herkx_restricted_kernelIldLi16ELi32ELi8ELi1ELin1ELb0ELc67ELc76EKPKdKPdEviT_PT9_S5_lS7_S5_lPT10_S5_li
; %bb.0:
	s_clause 0x1
	s_load_b128 s[4:7], s[0:1], 0x40
	s_load_b128 s[8:11], s[0:1], 0x8
	s_mov_b32 s2, s15
	s_mov_b32 s3, 0
	v_mov_b32_e32 v10, 0
	s_lshl_b64 s[16:17], s[2:3], 3
	v_dual_mov_b32 v11, 0 :: v_dual_and_b32 v12, 0x3ff, v0
	v_bfe_u32 v13, v0, 10, 10
	s_delay_alu instid0(VALU_DEP_3) | instskip(NEXT) | instid1(VALU_DEP_3)
	v_mov_b32_e32 v8, v10
	v_dual_mov_b32 v2, v10 :: v_dual_mov_b32 v3, v11
	v_dual_mov_b32 v9, v11 :: v_dual_mov_b32 v0, v10
	v_mov_b32_e32 v1, v11
	s_waitcnt lgkmcnt(0)
	s_add_u32 s2, s4, s16
	s_addc_u32 s3, s5, s17
	v_cmp_lt_i64_e64 s4, s[8:9], 1
	s_load_b64 s[2:3], s[2:3], 0x0
	s_lshl_b32 s18, s13, 5
	s_lshl_b32 s19, s14, 5
	s_delay_alu instid0(VALU_DEP_1)
	s_and_b32 vcc_lo, exec_lo, s4
	s_cbranch_vccnz .LBB1472_3
; %bb.1:
	s_clause 0x1
	s_load_b128 s[12:15], s[0:1], 0x28
	s_load_b64 s[4:5], s[0:1], 0x18
	v_lshl_add_u32 v2, v13, 4, v12
	v_dual_mov_b32 v1, 0 :: v_dual_and_b32 v0, 7, v12
	s_add_u32 s10, s10, s16
	s_addc_u32 s11, s11, s17
	s_delay_alu instid0(VALU_DEP_2)
	v_lshrrev_b32_e32 v8, 3, v2
	v_and_b32_e32 v9, 31, v2
	v_lshrrev_b32_e32 v2, 5, v2
	v_mov_b32_e32 v3, v1
	s_load_b64 s[10:11], s[10:11], 0x0
	v_add_nc_u32_e32 v10, s19, v8
	v_add_nc_u32_e32 v6, s18, v9
	v_lshl_add_u32 v17, v13, 6, 0x800
	s_delay_alu instid0(VALU_DEP_3) | instskip(NEXT) | instid1(VALU_DEP_3)
	v_ashrrev_i32_e32 v4, 31, v10
	v_ashrrev_i32_e32 v5, 31, v6
	s_waitcnt lgkmcnt(0)
	s_add_u32 s12, s12, s16
	s_addc_u32 s13, s13, s17
	v_mul_lo_u32 v11, v4, s14
	v_mul_lo_u32 v15, s4, v5
	v_mad_u64_u32 v[4:5], null, s4, v6, v[2:3]
	v_mul_lo_u32 v3, s5, v6
	s_load_b64 s[4:5], s[12:13], 0x0
	v_mul_lo_u32 v14, v10, s15
	v_mad_u64_u32 v[6:7], null, v10, s14, v[0:1]
	v_lshlrev_b32_e32 v0, 3, v0
	v_lshlrev_b32_e32 v1, 3, v9
	v_add3_u32 v5, v3, v5, v15
	s_delay_alu instid0(VALU_DEP_3) | instskip(SKIP_1) | instid1(VALU_DEP_4)
	v_lshl_or_b32 v0, v8, 6, v0
	v_add3_u32 v7, v11, v7, v14
	v_lshl_or_b32 v14, v2, 8, v1
	s_delay_alu instid0(VALU_DEP_4) | instskip(NEXT) | instid1(VALU_DEP_4)
	v_lshlrev_b64 v[2:3], 3, v[4:5]
	v_add_nc_u32_e32 v15, 0x800, v0
	s_delay_alu instid0(VALU_DEP_4)
	v_lshlrev_b64 v[6:7], 3, v[6:7]
	v_mov_b32_e32 v0, 0
	v_mov_b32_e32 v1, 0
	v_add_co_u32 v4, vcc_lo, s10, v2
	v_add_co_ci_u32_e32 v5, vcc_lo, s11, v3, vcc_lo
	s_waitcnt lgkmcnt(0)
	v_add_co_u32 v6, vcc_lo, s4, v6
	v_dual_mov_b32 v3, v1 :: v_dual_lshlrev_b32 v16, 3, v12
	v_add_co_ci_u32_e32 v7, vcc_lo, s5, v7, vcc_lo
	v_dual_mov_b32 v2, v0 :: v_dual_mov_b32 v9, v1
	v_dual_mov_b32 v8, v0 :: v_dual_mov_b32 v11, v1
	v_mov_b32_e32 v10, v0
	s_mov_b64 s[4:5], 0
.LBB1472_2:                             ; =>This Inner Loop Header: Depth=1
	global_load_b64 v[18:19], v[4:5], off
	global_load_b64 v[20:21], v[6:7], off
	s_add_u32 s4, s4, 8
	v_add_co_u32 v4, vcc_lo, v4, 64
	s_addc_u32 s5, s5, 0
	v_add_co_ci_u32_e32 v5, vcc_lo, 0, v5, vcc_lo
	v_cmp_ge_u64_e64 s10, s[4:5], s[8:9]
	v_add_co_u32 v6, vcc_lo, v6, 64
	v_add_co_ci_u32_e32 v7, vcc_lo, 0, v7, vcc_lo
	s_waitcnt vmcnt(1)
	ds_store_b64 v14, v[18:19]
	s_waitcnt vmcnt(0)
	ds_store_b64 v15, v[20:21]
	s_waitcnt lgkmcnt(0)
	s_barrier
	buffer_gl0_inv
	ds_load_2addr_b64 v[18:21], v16 offset1:16
	ds_load_b128 v[22:25], v17
	ds_load_b128 v[26:29], v17 offset:1024
	ds_load_b128 v[30:33], v17 offset:16
	;; [unrolled: 1-line block ×3, first 2 shown]
	s_and_b32 vcc_lo, exec_lo, s10
	s_waitcnt lgkmcnt(3)
	v_fma_f64 v[10:11], v[18:19], v[22:23], v[10:11]
	v_fma_f64 v[8:9], v[20:21], v[22:23], v[8:9]
	s_waitcnt lgkmcnt(2)
	v_fma_f64 v[18:19], v[18:19], v[26:27], v[2:3]
	v_fma_f64 v[20:21], v[20:21], v[26:27], v[0:1]
	ds_load_2addr_b64 v[0:3], v16 offset0:32 offset1:48
	s_waitcnt lgkmcnt(0)
	v_fma_f64 v[10:11], v[0:1], v[24:25], v[10:11]
	v_fma_f64 v[8:9], v[2:3], v[24:25], v[8:9]
	v_fma_f64 v[18:19], v[0:1], v[28:29], v[18:19]
	v_fma_f64 v[20:21], v[2:3], v[28:29], v[20:21]
	ds_load_2addr_b64 v[0:3], v16 offset0:64 offset1:80
	s_waitcnt lgkmcnt(0)
	v_fma_f64 v[10:11], v[0:1], v[30:31], v[10:11]
	v_fma_f64 v[8:9], v[2:3], v[30:31], v[8:9]
	;; [unrolled: 6-line block ×3, first 2 shown]
	v_fma_f64 v[34:35], v[0:1], v[36:37], v[18:19]
	v_fma_f64 v[36:37], v[2:3], v[36:37], v[20:21]
	ds_load_2addr_b64 v[0:3], v16 offset0:128 offset1:144
	ds_load_b128 v[8:11], v17 offset:32
	ds_load_b128 v[18:21], v17 offset:1056
	;; [unrolled: 1-line block ×4, first 2 shown]
	s_waitcnt lgkmcnt(3)
	v_fma_f64 v[30:31], v[0:1], v[8:9], v[30:31]
	v_fma_f64 v[8:9], v[2:3], v[8:9], v[32:33]
	s_waitcnt lgkmcnt(2)
	v_fma_f64 v[32:33], v[0:1], v[18:19], v[34:35]
	v_fma_f64 v[18:19], v[2:3], v[18:19], v[36:37]
	ds_load_2addr_b64 v[0:3], v16 offset0:160 offset1:176
	s_waitcnt lgkmcnt(0)
	v_fma_f64 v[30:31], v[0:1], v[10:11], v[30:31]
	v_fma_f64 v[8:9], v[2:3], v[10:11], v[8:9]
	;; [unrolled: 1-line block ×4, first 2 shown]
	ds_load_2addr_b64 v[0:3], v16 offset0:192 offset1:208
	s_waitcnt lgkmcnt(0)
	v_fma_f64 v[30:31], v[0:1], v[22:23], v[30:31]
	v_fma_f64 v[8:9], v[2:3], v[22:23], v[8:9]
	;; [unrolled: 1-line block ×4, first 2 shown]
	ds_load_2addr_b64 v[18:21], v16 offset0:224 offset1:240
	s_waitcnt lgkmcnt(0)
	s_barrier
	buffer_gl0_inv
	v_fma_f64 v[10:11], v[18:19], v[24:25], v[30:31]
	v_fma_f64 v[8:9], v[20:21], v[24:25], v[8:9]
	;; [unrolled: 1-line block ×4, first 2 shown]
	s_cbranch_vccz .LBB1472_2
.LBB1472_3:
	v_add_nc_u32_e32 v13, s19, v13
	s_load_b32 s4, s[0:1], 0x0
	s_delay_alu instid0(VALU_DEP_1) | instskip(SKIP_2) | instid1(VALU_DEP_3)
	v_ashrrev_i32_e32 v4, 31, v13
	v_mul_lo_u32 v7, v13, s7
	v_mad_u64_u32 v[5:6], null, v13, s6, 0
	v_mul_lo_u32 v4, v4, s6
	s_delay_alu instid0(VALU_DEP_1) | instskip(SKIP_1) | instid1(VALU_DEP_2)
	v_add3_u32 v6, v6, v7, v4
	v_add_nc_u32_e32 v4, s18, v12
	v_lshlrev_b64 v[5:6], 3, v[5:6]
	s_delay_alu instid0(VALU_DEP_2) | instskip(SKIP_2) | instid1(VALU_DEP_3)
	v_cmp_le_i32_e64 s0, v13, v4
	s_waitcnt lgkmcnt(0)
	v_cmp_gt_i32_e32 vcc_lo, s4, v4
	v_add_co_u32 v12, s1, s2, v5
	s_delay_alu instid0(VALU_DEP_1) | instskip(SKIP_1) | instid1(SALU_CYCLE_1)
	v_add_co_ci_u32_e64 v14, s1, s3, v6, s1
	s_and_b32 s0, s0, vcc_lo
	s_and_saveexec_b32 s1, s0
	s_cbranch_execz .LBB1472_5
; %bb.4:
	v_ashrrev_i32_e32 v5, 31, v4
	s_delay_alu instid0(VALU_DEP_1) | instskip(NEXT) | instid1(VALU_DEP_1)
	v_lshlrev_b64 v[5:6], 3, v[4:5]
	v_add_co_u32 v5, s0, v12, v5
	s_delay_alu instid0(VALU_DEP_1)
	v_add_co_ci_u32_e64 v6, s0, v14, v6, s0
	global_load_b64 v[15:16], v[5:6], off
	s_waitcnt vmcnt(0)
	v_add_f64 v[10:11], v[10:11], -v[15:16]
	global_store_b64 v[5:6], v[10:11], off
.LBB1472_5:
	s_or_b32 exec_lo, exec_lo, s1
	v_add_nc_u32_e32 v6, 16, v4
	s_delay_alu instid0(VALU_DEP_1) | instskip(SKIP_1) | instid1(VALU_DEP_1)
	v_cmp_le_i32_e64 s1, v13, v6
	v_cmp_gt_i32_e64 s0, s4, v6
	s_and_b32 s1, s1, s0
	s_delay_alu instid0(SALU_CYCLE_1)
	s_and_saveexec_b32 s4, s1
	s_cbranch_execz .LBB1472_7
; %bb.6:
	v_ashrrev_i32_e32 v7, 31, v6
	s_delay_alu instid0(VALU_DEP_1) | instskip(NEXT) | instid1(VALU_DEP_1)
	v_lshlrev_b64 v[10:11], 3, v[6:7]
	v_add_co_u32 v10, s1, v12, v10
	s_delay_alu instid0(VALU_DEP_1)
	v_add_co_ci_u32_e64 v11, s1, v14, v11, s1
	global_load_b64 v[14:15], v[10:11], off
	s_waitcnt vmcnt(0)
	v_add_f64 v[7:8], v[8:9], -v[14:15]
	global_store_b64 v[10:11], v[7:8], off
.LBB1472_7:
	s_or_b32 exec_lo, exec_lo, s4
	v_add_nc_u32_e32 v7, 16, v13
	s_delay_alu instid0(VALU_DEP_1) | instskip(SKIP_3) | instid1(VALU_DEP_4)
	v_ashrrev_i32_e32 v5, 31, v7
	v_mul_lo_u32 v10, v7, s7
	v_mad_u64_u32 v[8:9], null, v7, s6, 0
	v_cmp_le_i32_e64 s1, v7, v4
	v_mul_lo_u32 v5, v5, s6
	s_delay_alu instid0(VALU_DEP_1) | instskip(NEXT) | instid1(VALU_DEP_1)
	v_add3_u32 v9, v9, v10, v5
	v_lshlrev_b64 v[8:9], 3, v[8:9]
	s_delay_alu instid0(VALU_DEP_1) | instskip(NEXT) | instid1(VALU_DEP_1)
	v_add_co_u32 v8, s2, s2, v8
	v_add_co_ci_u32_e64 v9, s2, s3, v9, s2
	s_and_b32 s2, s1, vcc_lo
	s_delay_alu instid0(SALU_CYCLE_1)
	s_and_saveexec_b32 s1, s2
	s_cbranch_execz .LBB1472_9
; %bb.8:
	v_ashrrev_i32_e32 v5, 31, v4
	s_delay_alu instid0(VALU_DEP_1) | instskip(NEXT) | instid1(VALU_DEP_1)
	v_lshlrev_b64 v[4:5], 3, v[4:5]
	v_add_co_u32 v4, vcc_lo, v8, v4
	s_delay_alu instid0(VALU_DEP_2)
	v_add_co_ci_u32_e32 v5, vcc_lo, v9, v5, vcc_lo
	global_load_b64 v[10:11], v[4:5], off
	s_waitcnt vmcnt(0)
	v_add_f64 v[2:3], v[2:3], -v[10:11]
	global_store_b64 v[4:5], v[2:3], off
.LBB1472_9:
	s_or_b32 exec_lo, exec_lo, s1
	v_cmp_le_i32_e32 vcc_lo, v7, v6
	s_and_b32 s0, vcc_lo, s0
	s_delay_alu instid0(SALU_CYCLE_1)
	s_and_saveexec_b32 s1, s0
	s_cbranch_execz .LBB1472_11
; %bb.10:
	v_ashrrev_i32_e32 v7, 31, v6
	s_delay_alu instid0(VALU_DEP_1) | instskip(NEXT) | instid1(VALU_DEP_1)
	v_lshlrev_b64 v[2:3], 3, v[6:7]
	v_add_co_u32 v2, vcc_lo, v8, v2
	s_delay_alu instid0(VALU_DEP_2)
	v_add_co_ci_u32_e32 v3, vcc_lo, v9, v3, vcc_lo
	global_load_b64 v[4:5], v[2:3], off
	s_waitcnt vmcnt(0)
	v_add_f64 v[0:1], v[0:1], -v[4:5]
	global_store_b64 v[2:3], v[0:1], off
.LBB1472_11:
	s_nop 0
	s_sendmsg sendmsg(MSG_DEALLOC_VGPRS)
	s_endpgm
	.section	.rodata,"a",@progbits
	.p2align	6, 0x0
	.amdhsa_kernel _ZL37rocblas_syrkx_herkx_restricted_kernelIldLi16ELi32ELi8ELi1ELin1ELb0ELc67ELc76EKPKdKPdEviT_PT9_S5_lS7_S5_lPT10_S5_li
		.amdhsa_group_segment_fixed_size 4096
		.amdhsa_private_segment_fixed_size 0
		.amdhsa_kernarg_size 92
		.amdhsa_user_sgpr_count 13
		.amdhsa_user_sgpr_dispatch_ptr 0
		.amdhsa_user_sgpr_queue_ptr 0
		.amdhsa_user_sgpr_kernarg_segment_ptr 1
		.amdhsa_user_sgpr_dispatch_id 0
		.amdhsa_user_sgpr_private_segment_size 0
		.amdhsa_wavefront_size32 1
		.amdhsa_uses_dynamic_stack 0
		.amdhsa_enable_private_segment 0
		.amdhsa_system_sgpr_workgroup_id_x 1
		.amdhsa_system_sgpr_workgroup_id_y 1
		.amdhsa_system_sgpr_workgroup_id_z 1
		.amdhsa_system_sgpr_workgroup_info 0
		.amdhsa_system_vgpr_workitem_id 1
		.amdhsa_next_free_vgpr 38
		.amdhsa_next_free_sgpr 20
		.amdhsa_reserve_vcc 1
		.amdhsa_float_round_mode_32 0
		.amdhsa_float_round_mode_16_64 0
		.amdhsa_float_denorm_mode_32 3
		.amdhsa_float_denorm_mode_16_64 3
		.amdhsa_dx10_clamp 1
		.amdhsa_ieee_mode 1
		.amdhsa_fp16_overflow 0
		.amdhsa_workgroup_processor_mode 1
		.amdhsa_memory_ordered 1
		.amdhsa_forward_progress 0
		.amdhsa_shared_vgpr_count 0
		.amdhsa_exception_fp_ieee_invalid_op 0
		.amdhsa_exception_fp_denorm_src 0
		.amdhsa_exception_fp_ieee_div_zero 0
		.amdhsa_exception_fp_ieee_overflow 0
		.amdhsa_exception_fp_ieee_underflow 0
		.amdhsa_exception_fp_ieee_inexact 0
		.amdhsa_exception_int_div_zero 0
	.end_amdhsa_kernel
	.section	.text._ZL37rocblas_syrkx_herkx_restricted_kernelIldLi16ELi32ELi8ELi1ELin1ELb0ELc67ELc76EKPKdKPdEviT_PT9_S5_lS7_S5_lPT10_S5_li,"axG",@progbits,_ZL37rocblas_syrkx_herkx_restricted_kernelIldLi16ELi32ELi8ELi1ELin1ELb0ELc67ELc76EKPKdKPdEviT_PT9_S5_lS7_S5_lPT10_S5_li,comdat
.Lfunc_end1472:
	.size	_ZL37rocblas_syrkx_herkx_restricted_kernelIldLi16ELi32ELi8ELi1ELin1ELb0ELc67ELc76EKPKdKPdEviT_PT9_S5_lS7_S5_lPT10_S5_li, .Lfunc_end1472-_ZL37rocblas_syrkx_herkx_restricted_kernelIldLi16ELi32ELi8ELi1ELin1ELb0ELc67ELc76EKPKdKPdEviT_PT9_S5_lS7_S5_lPT10_S5_li
                                        ; -- End function
	.section	.AMDGPU.csdata,"",@progbits
; Kernel info:
; codeLenInByte = 1540
; NumSgprs: 22
; NumVgprs: 38
; ScratchSize: 0
; MemoryBound: 0
; FloatMode: 240
; IeeeMode: 1
; LDSByteSize: 4096 bytes/workgroup (compile time only)
; SGPRBlocks: 2
; VGPRBlocks: 4
; NumSGPRsForWavesPerEU: 22
; NumVGPRsForWavesPerEU: 38
; Occupancy: 16
; WaveLimiterHint : 1
; COMPUTE_PGM_RSRC2:SCRATCH_EN: 0
; COMPUTE_PGM_RSRC2:USER_SGPR: 13
; COMPUTE_PGM_RSRC2:TRAP_HANDLER: 0
; COMPUTE_PGM_RSRC2:TGID_X_EN: 1
; COMPUTE_PGM_RSRC2:TGID_Y_EN: 1
; COMPUTE_PGM_RSRC2:TGID_Z_EN: 1
; COMPUTE_PGM_RSRC2:TIDIG_COMP_CNT: 1
	.section	.text._ZL37rocblas_syrkx_herkx_restricted_kernelIldLi16ELi32ELi8ELi1ELin1ELb0ELc78ELc76EKPKdKPdEviT_PT9_S5_lS7_S5_lPT10_S5_li,"axG",@progbits,_ZL37rocblas_syrkx_herkx_restricted_kernelIldLi16ELi32ELi8ELi1ELin1ELb0ELc78ELc76EKPKdKPdEviT_PT9_S5_lS7_S5_lPT10_S5_li,comdat
	.globl	_ZL37rocblas_syrkx_herkx_restricted_kernelIldLi16ELi32ELi8ELi1ELin1ELb0ELc78ELc76EKPKdKPdEviT_PT9_S5_lS7_S5_lPT10_S5_li ; -- Begin function _ZL37rocblas_syrkx_herkx_restricted_kernelIldLi16ELi32ELi8ELi1ELin1ELb0ELc78ELc76EKPKdKPdEviT_PT9_S5_lS7_S5_lPT10_S5_li
	.p2align	8
	.type	_ZL37rocblas_syrkx_herkx_restricted_kernelIldLi16ELi32ELi8ELi1ELin1ELb0ELc78ELc76EKPKdKPdEviT_PT9_S5_lS7_S5_lPT10_S5_li,@function
_ZL37rocblas_syrkx_herkx_restricted_kernelIldLi16ELi32ELi8ELi1ELin1ELb0ELc78ELc76EKPKdKPdEviT_PT9_S5_lS7_S5_lPT10_S5_li: ; @_ZL37rocblas_syrkx_herkx_restricted_kernelIldLi16ELi32ELi8ELi1ELin1ELb0ELc78ELc76EKPKdKPdEviT_PT9_S5_lS7_S5_lPT10_S5_li
; %bb.0:
	s_clause 0x1
	s_load_b128 s[4:7], s[0:1], 0x40
	s_load_b128 s[8:11], s[0:1], 0x8
	s_mov_b32 s2, s15
	s_mov_b32 s3, 0
	v_mov_b32_e32 v10, 0
	s_lshl_b64 s[16:17], s[2:3], 3
	v_dual_mov_b32 v11, 0 :: v_dual_and_b32 v12, 0x3ff, v0
	v_bfe_u32 v13, v0, 10, 10
	s_delay_alu instid0(VALU_DEP_3) | instskip(NEXT) | instid1(VALU_DEP_3)
	v_mov_b32_e32 v8, v10
	v_dual_mov_b32 v2, v10 :: v_dual_mov_b32 v3, v11
	v_dual_mov_b32 v9, v11 :: v_dual_mov_b32 v0, v10
	v_mov_b32_e32 v1, v11
	s_waitcnt lgkmcnt(0)
	s_add_u32 s2, s4, s16
	s_addc_u32 s3, s5, s17
	v_cmp_lt_i64_e64 s4, s[8:9], 1
	s_load_b64 s[2:3], s[2:3], 0x0
	s_lshl_b32 s18, s13, 5
	s_lshl_b32 s19, s14, 5
	s_delay_alu instid0(VALU_DEP_1)
	s_and_b32 vcc_lo, exec_lo, s4
	s_cbranch_vccnz .LBB1473_3
; %bb.1:
	v_lshl_add_u32 v1, v13, 4, v12
	s_clause 0x1
	s_load_b64 s[4:5], s[0:1], 0x18
	s_load_b128 s[12:15], s[0:1], 0x28
	s_add_u32 s10, s10, s16
	s_addc_u32 s11, s11, s17
	s_load_b64 s[10:11], s[10:11], 0x0
	v_and_b32_e32 v10, 31, v1
	v_lshrrev_b32_e32 v11, 3, v1
	v_lshrrev_b32_e32 v16, 5, v1
	s_delay_alu instid0(VALU_DEP_3) | instskip(NEXT) | instid1(VALU_DEP_3)
	v_add_nc_u32_e32 v0, s18, v10
	v_add_nc_u32_e32 v2, s19, v11
	s_delay_alu instid0(VALU_DEP_2) | instskip(NEXT) | instid1(VALU_DEP_2)
	v_ashrrev_i32_e32 v1, 31, v0
	v_ashrrev_i32_e32 v3, 31, v2
	s_waitcnt lgkmcnt(0)
	s_delay_alu instid0(VALU_DEP_2) | instskip(SKIP_4) | instid1(VALU_DEP_2)
	v_mad_u64_u32 v[4:5], null, v16, s4, v[0:1]
	v_and_b32_e32 v15, 7, v12
	s_add_u32 s12, s12, s16
	s_addc_u32 s13, s13, s17
	s_load_b64 s[12:13], s[12:13], 0x0
	v_mov_b32_e32 v0, v5
	v_mad_u64_u32 v[6:7], null, v15, s14, v[2:3]
	s_delay_alu instid0(VALU_DEP_1) | instskip(NEXT) | instid1(VALU_DEP_3)
	v_mov_b32_e32 v2, v7
	v_mad_u64_u32 v[7:8], null, v16, s5, v[0:1]
	s_lshl_b64 s[4:5], s[4:5], 6
	s_delay_alu instid0(VALU_DEP_2) | instskip(SKIP_2) | instid1(VALU_DEP_4)
	v_mad_u64_u32 v[8:9], null, v15, s15, v[2:3]
	v_lshlrev_b32_e32 v9, 3, v15
	v_lshl_add_u32 v15, v13, 6, 0x800
	v_mov_b32_e32 v5, v7
	s_delay_alu instid0(VALU_DEP_3) | instskip(SKIP_1) | instid1(VALU_DEP_3)
	v_lshl_or_b32 v11, v11, 6, v9
	v_mov_b32_e32 v7, v8
	v_lshlrev_b64 v[4:5], 3, v[4:5]
	v_mov_b32_e32 v0, 0
	v_mov_b32_e32 v1, 0
	v_add_nc_u32_e32 v17, 0x800, v11
	v_lshlrev_b64 v[6:7], 3, v[6:7]
	v_lshlrev_b32_e32 v10, 3, v10
	v_add_co_u32 v4, vcc_lo, s10, v4
	v_dual_mov_b32 v3, v1 :: v_dual_lshlrev_b32 v14, 3, v12
	v_add_co_ci_u32_e32 v5, vcc_lo, s11, v5, vcc_lo
	v_dual_mov_b32 v2, v0 :: v_dual_mov_b32 v9, v1
	s_waitcnt lgkmcnt(0)
	v_add_co_u32 v6, vcc_lo, s12, v6
	v_mov_b32_e32 v8, v0
	v_lshl_or_b32 v16, v16, 8, v10
	v_mov_b32_e32 v11, v1
	v_add_co_ci_u32_e32 v7, vcc_lo, s13, v7, vcc_lo
	v_mov_b32_e32 v10, v0
	s_lshl_b64 s[10:11], s[14:15], 6
	s_mov_b64 s[12:13], 0
.LBB1473_2:                             ; =>This Inner Loop Header: Depth=1
	global_load_b64 v[18:19], v[4:5], off
	global_load_b64 v[20:21], v[6:7], off
	s_add_u32 s12, s12, 8
	v_add_co_u32 v4, vcc_lo, v4, s4
	s_addc_u32 s13, s13, 0
	v_add_co_ci_u32_e32 v5, vcc_lo, s5, v5, vcc_lo
	v_cmp_ge_u64_e64 s14, s[12:13], s[8:9]
	v_add_co_u32 v6, vcc_lo, v6, s10
	v_add_co_ci_u32_e32 v7, vcc_lo, s11, v7, vcc_lo
	s_waitcnt vmcnt(1)
	ds_store_b64 v16, v[18:19]
	s_waitcnt vmcnt(0)
	ds_store_b64 v17, v[20:21]
	s_waitcnt lgkmcnt(0)
	s_barrier
	buffer_gl0_inv
	ds_load_2addr_b64 v[18:21], v14 offset1:16
	ds_load_b128 v[22:25], v15
	ds_load_b128 v[26:29], v15 offset:1024
	ds_load_b128 v[30:33], v15 offset:16
	;; [unrolled: 1-line block ×3, first 2 shown]
	s_and_b32 vcc_lo, exec_lo, s14
	s_waitcnt lgkmcnt(3)
	v_fma_f64 v[10:11], v[18:19], v[22:23], v[10:11]
	v_fma_f64 v[8:9], v[20:21], v[22:23], v[8:9]
	s_waitcnt lgkmcnt(2)
	v_fma_f64 v[18:19], v[18:19], v[26:27], v[2:3]
	v_fma_f64 v[20:21], v[20:21], v[26:27], v[0:1]
	ds_load_2addr_b64 v[0:3], v14 offset0:32 offset1:48
	s_waitcnt lgkmcnt(0)
	v_fma_f64 v[10:11], v[0:1], v[24:25], v[10:11]
	v_fma_f64 v[8:9], v[2:3], v[24:25], v[8:9]
	v_fma_f64 v[18:19], v[0:1], v[28:29], v[18:19]
	v_fma_f64 v[20:21], v[2:3], v[28:29], v[20:21]
	ds_load_2addr_b64 v[0:3], v14 offset0:64 offset1:80
	s_waitcnt lgkmcnt(0)
	v_fma_f64 v[10:11], v[0:1], v[30:31], v[10:11]
	v_fma_f64 v[8:9], v[2:3], v[30:31], v[8:9]
	;; [unrolled: 6-line block ×3, first 2 shown]
	v_fma_f64 v[34:35], v[0:1], v[36:37], v[18:19]
	v_fma_f64 v[36:37], v[2:3], v[36:37], v[20:21]
	ds_load_2addr_b64 v[0:3], v14 offset0:128 offset1:144
	ds_load_b128 v[8:11], v15 offset:32
	ds_load_b128 v[18:21], v15 offset:1056
	;; [unrolled: 1-line block ×4, first 2 shown]
	s_waitcnt lgkmcnt(3)
	v_fma_f64 v[30:31], v[0:1], v[8:9], v[30:31]
	v_fma_f64 v[8:9], v[2:3], v[8:9], v[32:33]
	s_waitcnt lgkmcnt(2)
	v_fma_f64 v[32:33], v[0:1], v[18:19], v[34:35]
	v_fma_f64 v[18:19], v[2:3], v[18:19], v[36:37]
	ds_load_2addr_b64 v[0:3], v14 offset0:160 offset1:176
	s_waitcnt lgkmcnt(0)
	v_fma_f64 v[30:31], v[0:1], v[10:11], v[30:31]
	v_fma_f64 v[8:9], v[2:3], v[10:11], v[8:9]
	;; [unrolled: 1-line block ×4, first 2 shown]
	ds_load_2addr_b64 v[0:3], v14 offset0:192 offset1:208
	s_waitcnt lgkmcnt(0)
	v_fma_f64 v[30:31], v[0:1], v[22:23], v[30:31]
	v_fma_f64 v[8:9], v[2:3], v[22:23], v[8:9]
	;; [unrolled: 1-line block ×4, first 2 shown]
	ds_load_2addr_b64 v[18:21], v14 offset0:224 offset1:240
	s_waitcnt lgkmcnt(0)
	s_barrier
	buffer_gl0_inv
	v_fma_f64 v[10:11], v[18:19], v[24:25], v[30:31]
	v_fma_f64 v[8:9], v[20:21], v[24:25], v[8:9]
	v_fma_f64 v[2:3], v[18:19], v[28:29], v[0:1]
	v_fma_f64 v[0:1], v[20:21], v[28:29], v[22:23]
	s_cbranch_vccz .LBB1473_2
.LBB1473_3:
	v_add_nc_u32_e32 v13, s19, v13
	s_load_b32 s4, s[0:1], 0x0
	s_delay_alu instid0(VALU_DEP_1) | instskip(SKIP_2) | instid1(VALU_DEP_3)
	v_ashrrev_i32_e32 v4, 31, v13
	v_mul_lo_u32 v7, v13, s7
	v_mad_u64_u32 v[5:6], null, v13, s6, 0
	v_mul_lo_u32 v4, v4, s6
	s_delay_alu instid0(VALU_DEP_1) | instskip(SKIP_1) | instid1(VALU_DEP_2)
	v_add3_u32 v6, v6, v7, v4
	v_add_nc_u32_e32 v4, s18, v12
	v_lshlrev_b64 v[5:6], 3, v[5:6]
	s_delay_alu instid0(VALU_DEP_2) | instskip(SKIP_2) | instid1(VALU_DEP_3)
	v_cmp_le_i32_e64 s0, v13, v4
	s_waitcnt lgkmcnt(0)
	v_cmp_gt_i32_e32 vcc_lo, s4, v4
	v_add_co_u32 v12, s1, s2, v5
	s_delay_alu instid0(VALU_DEP_1) | instskip(SKIP_1) | instid1(SALU_CYCLE_1)
	v_add_co_ci_u32_e64 v14, s1, s3, v6, s1
	s_and_b32 s0, s0, vcc_lo
	s_and_saveexec_b32 s1, s0
	s_cbranch_execz .LBB1473_5
; %bb.4:
	v_ashrrev_i32_e32 v5, 31, v4
	s_delay_alu instid0(VALU_DEP_1) | instskip(NEXT) | instid1(VALU_DEP_1)
	v_lshlrev_b64 v[5:6], 3, v[4:5]
	v_add_co_u32 v5, s0, v12, v5
	s_delay_alu instid0(VALU_DEP_1)
	v_add_co_ci_u32_e64 v6, s0, v14, v6, s0
	global_load_b64 v[15:16], v[5:6], off
	s_waitcnt vmcnt(0)
	v_add_f64 v[10:11], v[10:11], -v[15:16]
	global_store_b64 v[5:6], v[10:11], off
.LBB1473_5:
	s_or_b32 exec_lo, exec_lo, s1
	v_add_nc_u32_e32 v6, 16, v4
	s_delay_alu instid0(VALU_DEP_1) | instskip(SKIP_1) | instid1(VALU_DEP_1)
	v_cmp_le_i32_e64 s1, v13, v6
	v_cmp_gt_i32_e64 s0, s4, v6
	s_and_b32 s1, s1, s0
	s_delay_alu instid0(SALU_CYCLE_1)
	s_and_saveexec_b32 s4, s1
	s_cbranch_execz .LBB1473_7
; %bb.6:
	v_ashrrev_i32_e32 v7, 31, v6
	s_delay_alu instid0(VALU_DEP_1) | instskip(NEXT) | instid1(VALU_DEP_1)
	v_lshlrev_b64 v[10:11], 3, v[6:7]
	v_add_co_u32 v10, s1, v12, v10
	s_delay_alu instid0(VALU_DEP_1)
	v_add_co_ci_u32_e64 v11, s1, v14, v11, s1
	global_load_b64 v[14:15], v[10:11], off
	s_waitcnt vmcnt(0)
	v_add_f64 v[7:8], v[8:9], -v[14:15]
	global_store_b64 v[10:11], v[7:8], off
.LBB1473_7:
	s_or_b32 exec_lo, exec_lo, s4
	v_add_nc_u32_e32 v7, 16, v13
	s_delay_alu instid0(VALU_DEP_1) | instskip(SKIP_3) | instid1(VALU_DEP_4)
	v_ashrrev_i32_e32 v5, 31, v7
	v_mul_lo_u32 v10, v7, s7
	v_mad_u64_u32 v[8:9], null, v7, s6, 0
	v_cmp_le_i32_e64 s1, v7, v4
	v_mul_lo_u32 v5, v5, s6
	s_delay_alu instid0(VALU_DEP_1) | instskip(NEXT) | instid1(VALU_DEP_1)
	v_add3_u32 v9, v9, v10, v5
	v_lshlrev_b64 v[8:9], 3, v[8:9]
	s_delay_alu instid0(VALU_DEP_1) | instskip(NEXT) | instid1(VALU_DEP_1)
	v_add_co_u32 v8, s2, s2, v8
	v_add_co_ci_u32_e64 v9, s2, s3, v9, s2
	s_and_b32 s2, s1, vcc_lo
	s_delay_alu instid0(SALU_CYCLE_1)
	s_and_saveexec_b32 s1, s2
	s_cbranch_execz .LBB1473_9
; %bb.8:
	v_ashrrev_i32_e32 v5, 31, v4
	s_delay_alu instid0(VALU_DEP_1) | instskip(NEXT) | instid1(VALU_DEP_1)
	v_lshlrev_b64 v[4:5], 3, v[4:5]
	v_add_co_u32 v4, vcc_lo, v8, v4
	s_delay_alu instid0(VALU_DEP_2)
	v_add_co_ci_u32_e32 v5, vcc_lo, v9, v5, vcc_lo
	global_load_b64 v[10:11], v[4:5], off
	s_waitcnt vmcnt(0)
	v_add_f64 v[2:3], v[2:3], -v[10:11]
	global_store_b64 v[4:5], v[2:3], off
.LBB1473_9:
	s_or_b32 exec_lo, exec_lo, s1
	v_cmp_le_i32_e32 vcc_lo, v7, v6
	s_and_b32 s0, vcc_lo, s0
	s_delay_alu instid0(SALU_CYCLE_1)
	s_and_saveexec_b32 s1, s0
	s_cbranch_execz .LBB1473_11
; %bb.10:
	v_ashrrev_i32_e32 v7, 31, v6
	s_delay_alu instid0(VALU_DEP_1) | instskip(NEXT) | instid1(VALU_DEP_1)
	v_lshlrev_b64 v[2:3], 3, v[6:7]
	v_add_co_u32 v2, vcc_lo, v8, v2
	s_delay_alu instid0(VALU_DEP_2)
	v_add_co_ci_u32_e32 v3, vcc_lo, v9, v3, vcc_lo
	global_load_b64 v[4:5], v[2:3], off
	s_waitcnt vmcnt(0)
	v_add_f64 v[0:1], v[0:1], -v[4:5]
	global_store_b64 v[2:3], v[0:1], off
.LBB1473_11:
	s_nop 0
	s_sendmsg sendmsg(MSG_DEALLOC_VGPRS)
	s_endpgm
	.section	.rodata,"a",@progbits
	.p2align	6, 0x0
	.amdhsa_kernel _ZL37rocblas_syrkx_herkx_restricted_kernelIldLi16ELi32ELi8ELi1ELin1ELb0ELc78ELc76EKPKdKPdEviT_PT9_S5_lS7_S5_lPT10_S5_li
		.amdhsa_group_segment_fixed_size 4096
		.amdhsa_private_segment_fixed_size 0
		.amdhsa_kernarg_size 92
		.amdhsa_user_sgpr_count 13
		.amdhsa_user_sgpr_dispatch_ptr 0
		.amdhsa_user_sgpr_queue_ptr 0
		.amdhsa_user_sgpr_kernarg_segment_ptr 1
		.amdhsa_user_sgpr_dispatch_id 0
		.amdhsa_user_sgpr_private_segment_size 0
		.amdhsa_wavefront_size32 1
		.amdhsa_uses_dynamic_stack 0
		.amdhsa_enable_private_segment 0
		.amdhsa_system_sgpr_workgroup_id_x 1
		.amdhsa_system_sgpr_workgroup_id_y 1
		.amdhsa_system_sgpr_workgroup_id_z 1
		.amdhsa_system_sgpr_workgroup_info 0
		.amdhsa_system_vgpr_workitem_id 1
		.amdhsa_next_free_vgpr 38
		.amdhsa_next_free_sgpr 20
		.amdhsa_reserve_vcc 1
		.amdhsa_float_round_mode_32 0
		.amdhsa_float_round_mode_16_64 0
		.amdhsa_float_denorm_mode_32 3
		.amdhsa_float_denorm_mode_16_64 3
		.amdhsa_dx10_clamp 1
		.amdhsa_ieee_mode 1
		.amdhsa_fp16_overflow 0
		.amdhsa_workgroup_processor_mode 1
		.amdhsa_memory_ordered 1
		.amdhsa_forward_progress 0
		.amdhsa_shared_vgpr_count 0
		.amdhsa_exception_fp_ieee_invalid_op 0
		.amdhsa_exception_fp_denorm_src 0
		.amdhsa_exception_fp_ieee_div_zero 0
		.amdhsa_exception_fp_ieee_overflow 0
		.amdhsa_exception_fp_ieee_underflow 0
		.amdhsa_exception_fp_ieee_inexact 0
		.amdhsa_exception_int_div_zero 0
	.end_amdhsa_kernel
	.section	.text._ZL37rocblas_syrkx_herkx_restricted_kernelIldLi16ELi32ELi8ELi1ELin1ELb0ELc78ELc76EKPKdKPdEviT_PT9_S5_lS7_S5_lPT10_S5_li,"axG",@progbits,_ZL37rocblas_syrkx_herkx_restricted_kernelIldLi16ELi32ELi8ELi1ELin1ELb0ELc78ELc76EKPKdKPdEviT_PT9_S5_lS7_S5_lPT10_S5_li,comdat
.Lfunc_end1473:
	.size	_ZL37rocblas_syrkx_herkx_restricted_kernelIldLi16ELi32ELi8ELi1ELin1ELb0ELc78ELc76EKPKdKPdEviT_PT9_S5_lS7_S5_lPT10_S5_li, .Lfunc_end1473-_ZL37rocblas_syrkx_herkx_restricted_kernelIldLi16ELi32ELi8ELi1ELin1ELb0ELc78ELc76EKPKdKPdEviT_PT9_S5_lS7_S5_lPT10_S5_li
                                        ; -- End function
	.section	.AMDGPU.csdata,"",@progbits
; Kernel info:
; codeLenInByte = 1528
; NumSgprs: 22
; NumVgprs: 38
; ScratchSize: 0
; MemoryBound: 0
; FloatMode: 240
; IeeeMode: 1
; LDSByteSize: 4096 bytes/workgroup (compile time only)
; SGPRBlocks: 2
; VGPRBlocks: 4
; NumSGPRsForWavesPerEU: 22
; NumVGPRsForWavesPerEU: 38
; Occupancy: 16
; WaveLimiterHint : 1
; COMPUTE_PGM_RSRC2:SCRATCH_EN: 0
; COMPUTE_PGM_RSRC2:USER_SGPR: 13
; COMPUTE_PGM_RSRC2:TRAP_HANDLER: 0
; COMPUTE_PGM_RSRC2:TGID_X_EN: 1
; COMPUTE_PGM_RSRC2:TGID_Y_EN: 1
; COMPUTE_PGM_RSRC2:TGID_Z_EN: 1
; COMPUTE_PGM_RSRC2:TIDIG_COMP_CNT: 1
	.section	.text._ZL37rocblas_syrkx_herkx_restricted_kernelIldLi16ELi32ELi8ELi1ELin1ELb0ELc84ELc85EKPKdKPdEviT_PT9_S5_lS7_S5_lPT10_S5_li,"axG",@progbits,_ZL37rocblas_syrkx_herkx_restricted_kernelIldLi16ELi32ELi8ELi1ELin1ELb0ELc84ELc85EKPKdKPdEviT_PT9_S5_lS7_S5_lPT10_S5_li,comdat
	.globl	_ZL37rocblas_syrkx_herkx_restricted_kernelIldLi16ELi32ELi8ELi1ELin1ELb0ELc84ELc85EKPKdKPdEviT_PT9_S5_lS7_S5_lPT10_S5_li ; -- Begin function _ZL37rocblas_syrkx_herkx_restricted_kernelIldLi16ELi32ELi8ELi1ELin1ELb0ELc84ELc85EKPKdKPdEviT_PT9_S5_lS7_S5_lPT10_S5_li
	.p2align	8
	.type	_ZL37rocblas_syrkx_herkx_restricted_kernelIldLi16ELi32ELi8ELi1ELin1ELb0ELc84ELc85EKPKdKPdEviT_PT9_S5_lS7_S5_lPT10_S5_li,@function
_ZL37rocblas_syrkx_herkx_restricted_kernelIldLi16ELi32ELi8ELi1ELin1ELb0ELc84ELc85EKPKdKPdEviT_PT9_S5_lS7_S5_lPT10_S5_li: ; @_ZL37rocblas_syrkx_herkx_restricted_kernelIldLi16ELi32ELi8ELi1ELin1ELb0ELc84ELc85EKPKdKPdEviT_PT9_S5_lS7_S5_lPT10_S5_li
; %bb.0:
	s_clause 0x1
	s_load_b128 s[4:7], s[0:1], 0x40
	s_load_b128 s[8:11], s[0:1], 0x8
	s_mov_b32 s2, s15
	s_mov_b32 s3, 0
	v_mov_b32_e32 v10, 0
	s_lshl_b64 s[16:17], s[2:3], 3
	v_dual_mov_b32 v11, 0 :: v_dual_and_b32 v12, 0x3ff, v0
	v_bfe_u32 v13, v0, 10, 10
	s_delay_alu instid0(VALU_DEP_3) | instskip(NEXT) | instid1(VALU_DEP_3)
	v_mov_b32_e32 v8, v10
	v_dual_mov_b32 v2, v10 :: v_dual_mov_b32 v3, v11
	v_dual_mov_b32 v9, v11 :: v_dual_mov_b32 v0, v10
	v_mov_b32_e32 v1, v11
	s_waitcnt lgkmcnt(0)
	s_add_u32 s2, s4, s16
	s_addc_u32 s3, s5, s17
	v_cmp_lt_i64_e64 s4, s[8:9], 1
	s_load_b64 s[2:3], s[2:3], 0x0
	s_lshl_b32 s18, s13, 5
	s_lshl_b32 s19, s14, 5
	s_delay_alu instid0(VALU_DEP_1)
	s_and_b32 vcc_lo, exec_lo, s4
	s_cbranch_vccnz .LBB1474_3
; %bb.1:
	s_clause 0x1
	s_load_b128 s[12:15], s[0:1], 0x28
	s_load_b64 s[4:5], s[0:1], 0x18
	v_lshl_add_u32 v2, v13, 4, v12
	v_dual_mov_b32 v1, 0 :: v_dual_and_b32 v0, 7, v12
	s_add_u32 s10, s10, s16
	s_addc_u32 s11, s11, s17
	s_delay_alu instid0(VALU_DEP_2)
	v_lshrrev_b32_e32 v8, 3, v2
	v_and_b32_e32 v9, 31, v2
	v_lshrrev_b32_e32 v2, 5, v2
	v_mov_b32_e32 v3, v1
	s_load_b64 s[10:11], s[10:11], 0x0
	v_add_nc_u32_e32 v10, s19, v8
	v_add_nc_u32_e32 v6, s18, v9
	v_lshl_add_u32 v17, v13, 6, 0x800
	s_delay_alu instid0(VALU_DEP_3) | instskip(NEXT) | instid1(VALU_DEP_3)
	v_ashrrev_i32_e32 v4, 31, v10
	v_ashrrev_i32_e32 v5, 31, v6
	s_waitcnt lgkmcnt(0)
	s_add_u32 s12, s12, s16
	s_addc_u32 s13, s13, s17
	v_mul_lo_u32 v11, v4, s14
	v_mul_lo_u32 v15, s4, v5
	v_mad_u64_u32 v[4:5], null, s4, v6, v[2:3]
	v_mul_lo_u32 v3, s5, v6
	s_load_b64 s[4:5], s[12:13], 0x0
	v_mul_lo_u32 v14, v10, s15
	v_mad_u64_u32 v[6:7], null, v10, s14, v[0:1]
	v_lshlrev_b32_e32 v0, 3, v0
	v_lshlrev_b32_e32 v1, 3, v9
	v_add3_u32 v5, v3, v5, v15
	s_delay_alu instid0(VALU_DEP_3) | instskip(SKIP_1) | instid1(VALU_DEP_4)
	v_lshl_or_b32 v0, v8, 6, v0
	v_add3_u32 v7, v11, v7, v14
	v_lshl_or_b32 v14, v2, 8, v1
	s_delay_alu instid0(VALU_DEP_4) | instskip(NEXT) | instid1(VALU_DEP_4)
	v_lshlrev_b64 v[2:3], 3, v[4:5]
	v_add_nc_u32_e32 v15, 0x800, v0
	s_delay_alu instid0(VALU_DEP_4)
	v_lshlrev_b64 v[6:7], 3, v[6:7]
	v_mov_b32_e32 v0, 0
	v_mov_b32_e32 v1, 0
	v_add_co_u32 v4, vcc_lo, s10, v2
	v_add_co_ci_u32_e32 v5, vcc_lo, s11, v3, vcc_lo
	s_waitcnt lgkmcnt(0)
	v_add_co_u32 v6, vcc_lo, s4, v6
	v_dual_mov_b32 v3, v1 :: v_dual_lshlrev_b32 v16, 3, v12
	v_add_co_ci_u32_e32 v7, vcc_lo, s5, v7, vcc_lo
	v_dual_mov_b32 v2, v0 :: v_dual_mov_b32 v9, v1
	v_dual_mov_b32 v8, v0 :: v_dual_mov_b32 v11, v1
	v_mov_b32_e32 v10, v0
	s_mov_b64 s[4:5], 0
.LBB1474_2:                             ; =>This Inner Loop Header: Depth=1
	global_load_b64 v[18:19], v[4:5], off
	global_load_b64 v[20:21], v[6:7], off
	s_add_u32 s4, s4, 8
	v_add_co_u32 v4, vcc_lo, v4, 64
	s_addc_u32 s5, s5, 0
	v_add_co_ci_u32_e32 v5, vcc_lo, 0, v5, vcc_lo
	v_cmp_ge_u64_e64 s10, s[4:5], s[8:9]
	v_add_co_u32 v6, vcc_lo, v6, 64
	v_add_co_ci_u32_e32 v7, vcc_lo, 0, v7, vcc_lo
	s_waitcnt vmcnt(1)
	ds_store_b64 v14, v[18:19]
	s_waitcnt vmcnt(0)
	ds_store_b64 v15, v[20:21]
	s_waitcnt lgkmcnt(0)
	s_barrier
	buffer_gl0_inv
	ds_load_2addr_b64 v[18:21], v16 offset1:16
	ds_load_b128 v[22:25], v17
	ds_load_b128 v[26:29], v17 offset:1024
	ds_load_b128 v[30:33], v17 offset:16
	;; [unrolled: 1-line block ×3, first 2 shown]
	s_and_b32 vcc_lo, exec_lo, s10
	s_waitcnt lgkmcnt(3)
	v_fma_f64 v[10:11], v[18:19], v[22:23], v[10:11]
	v_fma_f64 v[8:9], v[20:21], v[22:23], v[8:9]
	s_waitcnt lgkmcnt(2)
	v_fma_f64 v[18:19], v[18:19], v[26:27], v[2:3]
	v_fma_f64 v[20:21], v[20:21], v[26:27], v[0:1]
	ds_load_2addr_b64 v[0:3], v16 offset0:32 offset1:48
	s_waitcnt lgkmcnt(0)
	v_fma_f64 v[10:11], v[0:1], v[24:25], v[10:11]
	v_fma_f64 v[8:9], v[2:3], v[24:25], v[8:9]
	v_fma_f64 v[18:19], v[0:1], v[28:29], v[18:19]
	v_fma_f64 v[20:21], v[2:3], v[28:29], v[20:21]
	ds_load_2addr_b64 v[0:3], v16 offset0:64 offset1:80
	s_waitcnt lgkmcnt(0)
	v_fma_f64 v[10:11], v[0:1], v[30:31], v[10:11]
	v_fma_f64 v[8:9], v[2:3], v[30:31], v[8:9]
	v_fma_f64 v[18:19], v[0:1], v[34:35], v[18:19]
	v_fma_f64 v[20:21], v[2:3], v[34:35], v[20:21]
	ds_load_2addr_b64 v[0:3], v16 offset0:96 offset1:112
	s_waitcnt lgkmcnt(0)
	v_fma_f64 v[30:31], v[0:1], v[32:33], v[10:11]
	v_fma_f64 v[32:33], v[2:3], v[32:33], v[8:9]
	v_fma_f64 v[34:35], v[0:1], v[36:37], v[18:19]
	v_fma_f64 v[36:37], v[2:3], v[36:37], v[20:21]
	ds_load_2addr_b64 v[0:3], v16 offset0:128 offset1:144
	ds_load_b128 v[8:11], v17 offset:32
	ds_load_b128 v[18:21], v17 offset:1056
	;; [unrolled: 1-line block ×4, first 2 shown]
	s_waitcnt lgkmcnt(3)
	v_fma_f64 v[30:31], v[0:1], v[8:9], v[30:31]
	v_fma_f64 v[8:9], v[2:3], v[8:9], v[32:33]
	s_waitcnt lgkmcnt(2)
	v_fma_f64 v[32:33], v[0:1], v[18:19], v[34:35]
	v_fma_f64 v[18:19], v[2:3], v[18:19], v[36:37]
	ds_load_2addr_b64 v[0:3], v16 offset0:160 offset1:176
	s_waitcnt lgkmcnt(0)
	v_fma_f64 v[30:31], v[0:1], v[10:11], v[30:31]
	v_fma_f64 v[8:9], v[2:3], v[10:11], v[8:9]
	;; [unrolled: 1-line block ×4, first 2 shown]
	ds_load_2addr_b64 v[0:3], v16 offset0:192 offset1:208
	s_waitcnt lgkmcnt(0)
	v_fma_f64 v[30:31], v[0:1], v[22:23], v[30:31]
	v_fma_f64 v[8:9], v[2:3], v[22:23], v[8:9]
	v_fma_f64 v[0:1], v[0:1], v[26:27], v[10:11]
	v_fma_f64 v[22:23], v[2:3], v[26:27], v[18:19]
	ds_load_2addr_b64 v[18:21], v16 offset0:224 offset1:240
	s_waitcnt lgkmcnt(0)
	s_barrier
	buffer_gl0_inv
	v_fma_f64 v[10:11], v[18:19], v[24:25], v[30:31]
	v_fma_f64 v[8:9], v[20:21], v[24:25], v[8:9]
	v_fma_f64 v[2:3], v[18:19], v[28:29], v[0:1]
	v_fma_f64 v[0:1], v[20:21], v[28:29], v[22:23]
	s_cbranch_vccz .LBB1474_2
.LBB1474_3:
	v_add_nc_u32_e32 v13, s19, v13
	s_load_b32 s4, s[0:1], 0x0
	s_delay_alu instid0(VALU_DEP_1) | instskip(SKIP_2) | instid1(VALU_DEP_3)
	v_ashrrev_i32_e32 v4, 31, v13
	v_mul_lo_u32 v7, v13, s7
	v_mad_u64_u32 v[5:6], null, v13, s6, 0
	v_mul_lo_u32 v4, v4, s6
	s_delay_alu instid0(VALU_DEP_1) | instskip(SKIP_3) | instid1(VALU_DEP_3)
	v_add3_u32 v6, v6, v7, v4
	v_add_nc_u32_e32 v4, s18, v12
	s_waitcnt lgkmcnt(0)
	v_cmp_gt_i32_e32 vcc_lo, s4, v13
	v_lshlrev_b64 v[5:6], 3, v[5:6]
	s_delay_alu instid0(VALU_DEP_3) | instskip(NEXT) | instid1(VALU_DEP_1)
	v_cmp_le_i32_e64 s0, v4, v13
	s_and_b32 s0, vcc_lo, s0
	s_delay_alu instid0(VALU_DEP_2) | instskip(NEXT) | instid1(VALU_DEP_1)
	v_add_co_u32 v12, s1, s2, v5
	v_add_co_ci_u32_e64 v14, s1, s3, v6, s1
	s_and_saveexec_b32 s1, s0
	s_cbranch_execz .LBB1474_5
; %bb.4:
	v_ashrrev_i32_e32 v5, 31, v4
	s_delay_alu instid0(VALU_DEP_1) | instskip(NEXT) | instid1(VALU_DEP_1)
	v_lshlrev_b64 v[5:6], 3, v[4:5]
	v_add_co_u32 v5, s0, v12, v5
	s_delay_alu instid0(VALU_DEP_1)
	v_add_co_ci_u32_e64 v6, s0, v14, v6, s0
	global_load_b64 v[15:16], v[5:6], off
	s_waitcnt vmcnt(0)
	v_add_f64 v[10:11], v[10:11], -v[15:16]
	global_store_b64 v[5:6], v[10:11], off
.LBB1474_5:
	s_or_b32 exec_lo, exec_lo, s1
	v_add_nc_u32_e32 v6, 16, v4
	s_delay_alu instid0(VALU_DEP_1) | instskip(NEXT) | instid1(VALU_DEP_1)
	v_cmp_le_i32_e64 s0, v6, v13
	s_and_b32 s1, vcc_lo, s0
	s_delay_alu instid0(SALU_CYCLE_1)
	s_and_saveexec_b32 s0, s1
	s_cbranch_execz .LBB1474_7
; %bb.6:
	v_ashrrev_i32_e32 v7, 31, v6
	s_delay_alu instid0(VALU_DEP_1) | instskip(NEXT) | instid1(VALU_DEP_1)
	v_lshlrev_b64 v[10:11], 3, v[6:7]
	v_add_co_u32 v10, vcc_lo, v12, v10
	s_delay_alu instid0(VALU_DEP_2)
	v_add_co_ci_u32_e32 v11, vcc_lo, v14, v11, vcc_lo
	global_load_b64 v[14:15], v[10:11], off
	s_waitcnt vmcnt(0)
	v_add_f64 v[7:8], v[8:9], -v[14:15]
	global_store_b64 v[10:11], v[7:8], off
.LBB1474_7:
	s_or_b32 exec_lo, exec_lo, s0
	v_add_nc_u32_e32 v7, 16, v13
	s_delay_alu instid0(VALU_DEP_1) | instskip(SKIP_3) | instid1(VALU_DEP_4)
	v_ashrrev_i32_e32 v5, 31, v7
	v_mul_lo_u32 v10, v7, s7
	v_mad_u64_u32 v[8:9], null, v7, s6, 0
	v_cmp_gt_i32_e32 vcc_lo, s4, v7
	v_mul_lo_u32 v5, v5, s6
	v_cmp_le_i32_e64 s0, v4, v7
	s_delay_alu instid0(VALU_DEP_1) | instskip(NEXT) | instid1(VALU_DEP_2)
	s_and_b32 s0, vcc_lo, s0
	v_add3_u32 v9, v9, v10, v5
	s_delay_alu instid0(VALU_DEP_1) | instskip(NEXT) | instid1(VALU_DEP_1)
	v_lshlrev_b64 v[8:9], 3, v[8:9]
	v_add_co_u32 v8, s1, s2, v8
	s_delay_alu instid0(VALU_DEP_1)
	v_add_co_ci_u32_e64 v9, s1, s3, v9, s1
	s_and_saveexec_b32 s1, s0
	s_cbranch_execz .LBB1474_9
; %bb.8:
	v_ashrrev_i32_e32 v5, 31, v4
	s_delay_alu instid0(VALU_DEP_1) | instskip(NEXT) | instid1(VALU_DEP_1)
	v_lshlrev_b64 v[4:5], 3, v[4:5]
	v_add_co_u32 v4, s0, v8, v4
	s_delay_alu instid0(VALU_DEP_1)
	v_add_co_ci_u32_e64 v5, s0, v9, v5, s0
	global_load_b64 v[10:11], v[4:5], off
	s_waitcnt vmcnt(0)
	v_add_f64 v[2:3], v[2:3], -v[10:11]
	global_store_b64 v[4:5], v[2:3], off
.LBB1474_9:
	s_or_b32 exec_lo, exec_lo, s1
	v_cmp_le_i32_e64 s0, v6, v7
	s_delay_alu instid0(VALU_DEP_1) | instskip(NEXT) | instid1(SALU_CYCLE_1)
	s_and_b32 s0, vcc_lo, s0
	s_and_saveexec_b32 s1, s0
	s_cbranch_execz .LBB1474_11
; %bb.10:
	v_ashrrev_i32_e32 v7, 31, v6
	s_delay_alu instid0(VALU_DEP_1) | instskip(NEXT) | instid1(VALU_DEP_1)
	v_lshlrev_b64 v[2:3], 3, v[6:7]
	v_add_co_u32 v2, vcc_lo, v8, v2
	s_delay_alu instid0(VALU_DEP_2)
	v_add_co_ci_u32_e32 v3, vcc_lo, v9, v3, vcc_lo
	global_load_b64 v[4:5], v[2:3], off
	s_waitcnt vmcnt(0)
	v_add_f64 v[0:1], v[0:1], -v[4:5]
	global_store_b64 v[2:3], v[0:1], off
.LBB1474_11:
	s_nop 0
	s_sendmsg sendmsg(MSG_DEALLOC_VGPRS)
	s_endpgm
	.section	.rodata,"a",@progbits
	.p2align	6, 0x0
	.amdhsa_kernel _ZL37rocblas_syrkx_herkx_restricted_kernelIldLi16ELi32ELi8ELi1ELin1ELb0ELc84ELc85EKPKdKPdEviT_PT9_S5_lS7_S5_lPT10_S5_li
		.amdhsa_group_segment_fixed_size 4096
		.amdhsa_private_segment_fixed_size 0
		.amdhsa_kernarg_size 92
		.amdhsa_user_sgpr_count 13
		.amdhsa_user_sgpr_dispatch_ptr 0
		.amdhsa_user_sgpr_queue_ptr 0
		.amdhsa_user_sgpr_kernarg_segment_ptr 1
		.amdhsa_user_sgpr_dispatch_id 0
		.amdhsa_user_sgpr_private_segment_size 0
		.amdhsa_wavefront_size32 1
		.amdhsa_uses_dynamic_stack 0
		.amdhsa_enable_private_segment 0
		.amdhsa_system_sgpr_workgroup_id_x 1
		.amdhsa_system_sgpr_workgroup_id_y 1
		.amdhsa_system_sgpr_workgroup_id_z 1
		.amdhsa_system_sgpr_workgroup_info 0
		.amdhsa_system_vgpr_workitem_id 1
		.amdhsa_next_free_vgpr 38
		.amdhsa_next_free_sgpr 20
		.amdhsa_reserve_vcc 1
		.amdhsa_float_round_mode_32 0
		.amdhsa_float_round_mode_16_64 0
		.amdhsa_float_denorm_mode_32 3
		.amdhsa_float_denorm_mode_16_64 3
		.amdhsa_dx10_clamp 1
		.amdhsa_ieee_mode 1
		.amdhsa_fp16_overflow 0
		.amdhsa_workgroup_processor_mode 1
		.amdhsa_memory_ordered 1
		.amdhsa_forward_progress 0
		.amdhsa_shared_vgpr_count 0
		.amdhsa_exception_fp_ieee_invalid_op 0
		.amdhsa_exception_fp_denorm_src 0
		.amdhsa_exception_fp_ieee_div_zero 0
		.amdhsa_exception_fp_ieee_overflow 0
		.amdhsa_exception_fp_ieee_underflow 0
		.amdhsa_exception_fp_ieee_inexact 0
		.amdhsa_exception_int_div_zero 0
	.end_amdhsa_kernel
	.section	.text._ZL37rocblas_syrkx_herkx_restricted_kernelIldLi16ELi32ELi8ELi1ELin1ELb0ELc84ELc85EKPKdKPdEviT_PT9_S5_lS7_S5_lPT10_S5_li,"axG",@progbits,_ZL37rocblas_syrkx_herkx_restricted_kernelIldLi16ELi32ELi8ELi1ELin1ELb0ELc84ELc85EKPKdKPdEviT_PT9_S5_lS7_S5_lPT10_S5_li,comdat
.Lfunc_end1474:
	.size	_ZL37rocblas_syrkx_herkx_restricted_kernelIldLi16ELi32ELi8ELi1ELin1ELb0ELc84ELc85EKPKdKPdEviT_PT9_S5_lS7_S5_lPT10_S5_li, .Lfunc_end1474-_ZL37rocblas_syrkx_herkx_restricted_kernelIldLi16ELi32ELi8ELi1ELin1ELb0ELc84ELc85EKPKdKPdEviT_PT9_S5_lS7_S5_lPT10_S5_li
                                        ; -- End function
	.section	.AMDGPU.csdata,"",@progbits
; Kernel info:
; codeLenInByte = 1540
; NumSgprs: 22
; NumVgprs: 38
; ScratchSize: 0
; MemoryBound: 0
; FloatMode: 240
; IeeeMode: 1
; LDSByteSize: 4096 bytes/workgroup (compile time only)
; SGPRBlocks: 2
; VGPRBlocks: 4
; NumSGPRsForWavesPerEU: 22
; NumVGPRsForWavesPerEU: 38
; Occupancy: 16
; WaveLimiterHint : 1
; COMPUTE_PGM_RSRC2:SCRATCH_EN: 0
; COMPUTE_PGM_RSRC2:USER_SGPR: 13
; COMPUTE_PGM_RSRC2:TRAP_HANDLER: 0
; COMPUTE_PGM_RSRC2:TGID_X_EN: 1
; COMPUTE_PGM_RSRC2:TGID_Y_EN: 1
; COMPUTE_PGM_RSRC2:TGID_Z_EN: 1
; COMPUTE_PGM_RSRC2:TIDIG_COMP_CNT: 1
	.section	.text._ZL37rocblas_syrkx_herkx_restricted_kernelIldLi16ELi32ELi8ELi1ELin1ELb0ELc67ELc85EKPKdKPdEviT_PT9_S5_lS7_S5_lPT10_S5_li,"axG",@progbits,_ZL37rocblas_syrkx_herkx_restricted_kernelIldLi16ELi32ELi8ELi1ELin1ELb0ELc67ELc85EKPKdKPdEviT_PT9_S5_lS7_S5_lPT10_S5_li,comdat
	.globl	_ZL37rocblas_syrkx_herkx_restricted_kernelIldLi16ELi32ELi8ELi1ELin1ELb0ELc67ELc85EKPKdKPdEviT_PT9_S5_lS7_S5_lPT10_S5_li ; -- Begin function _ZL37rocblas_syrkx_herkx_restricted_kernelIldLi16ELi32ELi8ELi1ELin1ELb0ELc67ELc85EKPKdKPdEviT_PT9_S5_lS7_S5_lPT10_S5_li
	.p2align	8
	.type	_ZL37rocblas_syrkx_herkx_restricted_kernelIldLi16ELi32ELi8ELi1ELin1ELb0ELc67ELc85EKPKdKPdEviT_PT9_S5_lS7_S5_lPT10_S5_li,@function
_ZL37rocblas_syrkx_herkx_restricted_kernelIldLi16ELi32ELi8ELi1ELin1ELb0ELc67ELc85EKPKdKPdEviT_PT9_S5_lS7_S5_lPT10_S5_li: ; @_ZL37rocblas_syrkx_herkx_restricted_kernelIldLi16ELi32ELi8ELi1ELin1ELb0ELc67ELc85EKPKdKPdEviT_PT9_S5_lS7_S5_lPT10_S5_li
; %bb.0:
	s_clause 0x1
	s_load_b128 s[4:7], s[0:1], 0x40
	s_load_b128 s[8:11], s[0:1], 0x8
	s_mov_b32 s2, s15
	s_mov_b32 s3, 0
	v_mov_b32_e32 v10, 0
	s_lshl_b64 s[16:17], s[2:3], 3
	v_dual_mov_b32 v11, 0 :: v_dual_and_b32 v12, 0x3ff, v0
	v_bfe_u32 v13, v0, 10, 10
	s_delay_alu instid0(VALU_DEP_3) | instskip(NEXT) | instid1(VALU_DEP_3)
	v_mov_b32_e32 v8, v10
	v_dual_mov_b32 v2, v10 :: v_dual_mov_b32 v3, v11
	v_dual_mov_b32 v9, v11 :: v_dual_mov_b32 v0, v10
	v_mov_b32_e32 v1, v11
	s_waitcnt lgkmcnt(0)
	s_add_u32 s2, s4, s16
	s_addc_u32 s3, s5, s17
	v_cmp_lt_i64_e64 s4, s[8:9], 1
	s_load_b64 s[2:3], s[2:3], 0x0
	s_lshl_b32 s18, s13, 5
	s_lshl_b32 s19, s14, 5
	s_delay_alu instid0(VALU_DEP_1)
	s_and_b32 vcc_lo, exec_lo, s4
	s_cbranch_vccnz .LBB1475_3
; %bb.1:
	s_clause 0x1
	s_load_b128 s[12:15], s[0:1], 0x28
	s_load_b64 s[4:5], s[0:1], 0x18
	v_lshl_add_u32 v2, v13, 4, v12
	v_dual_mov_b32 v1, 0 :: v_dual_and_b32 v0, 7, v12
	s_add_u32 s10, s10, s16
	s_addc_u32 s11, s11, s17
	s_delay_alu instid0(VALU_DEP_2)
	v_lshrrev_b32_e32 v8, 3, v2
	v_and_b32_e32 v9, 31, v2
	v_lshrrev_b32_e32 v2, 5, v2
	v_mov_b32_e32 v3, v1
	s_load_b64 s[10:11], s[10:11], 0x0
	v_add_nc_u32_e32 v10, s19, v8
	v_add_nc_u32_e32 v6, s18, v9
	v_lshl_add_u32 v17, v13, 6, 0x800
	s_delay_alu instid0(VALU_DEP_3) | instskip(NEXT) | instid1(VALU_DEP_3)
	v_ashrrev_i32_e32 v4, 31, v10
	v_ashrrev_i32_e32 v5, 31, v6
	s_waitcnt lgkmcnt(0)
	s_add_u32 s12, s12, s16
	s_addc_u32 s13, s13, s17
	v_mul_lo_u32 v11, v4, s14
	v_mul_lo_u32 v15, s4, v5
	v_mad_u64_u32 v[4:5], null, s4, v6, v[2:3]
	v_mul_lo_u32 v3, s5, v6
	s_load_b64 s[4:5], s[12:13], 0x0
	v_mul_lo_u32 v14, v10, s15
	v_mad_u64_u32 v[6:7], null, v10, s14, v[0:1]
	v_lshlrev_b32_e32 v0, 3, v0
	v_lshlrev_b32_e32 v1, 3, v9
	v_add3_u32 v5, v3, v5, v15
	s_delay_alu instid0(VALU_DEP_3) | instskip(SKIP_1) | instid1(VALU_DEP_4)
	v_lshl_or_b32 v0, v8, 6, v0
	v_add3_u32 v7, v11, v7, v14
	v_lshl_or_b32 v14, v2, 8, v1
	s_delay_alu instid0(VALU_DEP_4) | instskip(NEXT) | instid1(VALU_DEP_4)
	v_lshlrev_b64 v[2:3], 3, v[4:5]
	v_add_nc_u32_e32 v15, 0x800, v0
	s_delay_alu instid0(VALU_DEP_4)
	v_lshlrev_b64 v[6:7], 3, v[6:7]
	v_mov_b32_e32 v0, 0
	v_mov_b32_e32 v1, 0
	v_add_co_u32 v4, vcc_lo, s10, v2
	v_add_co_ci_u32_e32 v5, vcc_lo, s11, v3, vcc_lo
	s_waitcnt lgkmcnt(0)
	v_add_co_u32 v6, vcc_lo, s4, v6
	v_dual_mov_b32 v3, v1 :: v_dual_lshlrev_b32 v16, 3, v12
	v_add_co_ci_u32_e32 v7, vcc_lo, s5, v7, vcc_lo
	v_dual_mov_b32 v2, v0 :: v_dual_mov_b32 v9, v1
	v_dual_mov_b32 v8, v0 :: v_dual_mov_b32 v11, v1
	v_mov_b32_e32 v10, v0
	s_mov_b64 s[4:5], 0
.LBB1475_2:                             ; =>This Inner Loop Header: Depth=1
	global_load_b64 v[18:19], v[4:5], off
	global_load_b64 v[20:21], v[6:7], off
	s_add_u32 s4, s4, 8
	v_add_co_u32 v4, vcc_lo, v4, 64
	s_addc_u32 s5, s5, 0
	v_add_co_ci_u32_e32 v5, vcc_lo, 0, v5, vcc_lo
	v_cmp_ge_u64_e64 s10, s[4:5], s[8:9]
	v_add_co_u32 v6, vcc_lo, v6, 64
	v_add_co_ci_u32_e32 v7, vcc_lo, 0, v7, vcc_lo
	s_waitcnt vmcnt(1)
	ds_store_b64 v14, v[18:19]
	s_waitcnt vmcnt(0)
	ds_store_b64 v15, v[20:21]
	s_waitcnt lgkmcnt(0)
	s_barrier
	buffer_gl0_inv
	ds_load_2addr_b64 v[18:21], v16 offset1:16
	ds_load_b128 v[22:25], v17
	ds_load_b128 v[26:29], v17 offset:1024
	ds_load_b128 v[30:33], v17 offset:16
	ds_load_b128 v[34:37], v17 offset:1040
	s_and_b32 vcc_lo, exec_lo, s10
	s_waitcnt lgkmcnt(3)
	v_fma_f64 v[10:11], v[18:19], v[22:23], v[10:11]
	v_fma_f64 v[8:9], v[20:21], v[22:23], v[8:9]
	s_waitcnt lgkmcnt(2)
	v_fma_f64 v[18:19], v[18:19], v[26:27], v[2:3]
	v_fma_f64 v[20:21], v[20:21], v[26:27], v[0:1]
	ds_load_2addr_b64 v[0:3], v16 offset0:32 offset1:48
	s_waitcnt lgkmcnt(0)
	v_fma_f64 v[10:11], v[0:1], v[24:25], v[10:11]
	v_fma_f64 v[8:9], v[2:3], v[24:25], v[8:9]
	v_fma_f64 v[18:19], v[0:1], v[28:29], v[18:19]
	v_fma_f64 v[20:21], v[2:3], v[28:29], v[20:21]
	ds_load_2addr_b64 v[0:3], v16 offset0:64 offset1:80
	s_waitcnt lgkmcnt(0)
	v_fma_f64 v[10:11], v[0:1], v[30:31], v[10:11]
	v_fma_f64 v[8:9], v[2:3], v[30:31], v[8:9]
	;; [unrolled: 6-line block ×3, first 2 shown]
	v_fma_f64 v[34:35], v[0:1], v[36:37], v[18:19]
	v_fma_f64 v[36:37], v[2:3], v[36:37], v[20:21]
	ds_load_2addr_b64 v[0:3], v16 offset0:128 offset1:144
	ds_load_b128 v[8:11], v17 offset:32
	ds_load_b128 v[18:21], v17 offset:1056
	;; [unrolled: 1-line block ×4, first 2 shown]
	s_waitcnt lgkmcnt(3)
	v_fma_f64 v[30:31], v[0:1], v[8:9], v[30:31]
	v_fma_f64 v[8:9], v[2:3], v[8:9], v[32:33]
	s_waitcnt lgkmcnt(2)
	v_fma_f64 v[32:33], v[0:1], v[18:19], v[34:35]
	v_fma_f64 v[18:19], v[2:3], v[18:19], v[36:37]
	ds_load_2addr_b64 v[0:3], v16 offset0:160 offset1:176
	s_waitcnt lgkmcnt(0)
	v_fma_f64 v[30:31], v[0:1], v[10:11], v[30:31]
	v_fma_f64 v[8:9], v[2:3], v[10:11], v[8:9]
	;; [unrolled: 1-line block ×4, first 2 shown]
	ds_load_2addr_b64 v[0:3], v16 offset0:192 offset1:208
	s_waitcnt lgkmcnt(0)
	v_fma_f64 v[30:31], v[0:1], v[22:23], v[30:31]
	v_fma_f64 v[8:9], v[2:3], v[22:23], v[8:9]
	v_fma_f64 v[0:1], v[0:1], v[26:27], v[10:11]
	v_fma_f64 v[22:23], v[2:3], v[26:27], v[18:19]
	ds_load_2addr_b64 v[18:21], v16 offset0:224 offset1:240
	s_waitcnt lgkmcnt(0)
	s_barrier
	buffer_gl0_inv
	v_fma_f64 v[10:11], v[18:19], v[24:25], v[30:31]
	v_fma_f64 v[8:9], v[20:21], v[24:25], v[8:9]
	;; [unrolled: 1-line block ×4, first 2 shown]
	s_cbranch_vccz .LBB1475_2
.LBB1475_3:
	v_add_nc_u32_e32 v13, s19, v13
	s_load_b32 s4, s[0:1], 0x0
	s_delay_alu instid0(VALU_DEP_1) | instskip(SKIP_2) | instid1(VALU_DEP_3)
	v_ashrrev_i32_e32 v4, 31, v13
	v_mul_lo_u32 v7, v13, s7
	v_mad_u64_u32 v[5:6], null, v13, s6, 0
	v_mul_lo_u32 v4, v4, s6
	s_delay_alu instid0(VALU_DEP_1) | instskip(SKIP_3) | instid1(VALU_DEP_3)
	v_add3_u32 v6, v6, v7, v4
	v_add_nc_u32_e32 v4, s18, v12
	s_waitcnt lgkmcnt(0)
	v_cmp_gt_i32_e32 vcc_lo, s4, v13
	v_lshlrev_b64 v[5:6], 3, v[5:6]
	s_delay_alu instid0(VALU_DEP_3) | instskip(NEXT) | instid1(VALU_DEP_1)
	v_cmp_le_i32_e64 s0, v4, v13
	s_and_b32 s0, vcc_lo, s0
	s_delay_alu instid0(VALU_DEP_2) | instskip(NEXT) | instid1(VALU_DEP_1)
	v_add_co_u32 v12, s1, s2, v5
	v_add_co_ci_u32_e64 v14, s1, s3, v6, s1
	s_and_saveexec_b32 s1, s0
	s_cbranch_execz .LBB1475_5
; %bb.4:
	v_ashrrev_i32_e32 v5, 31, v4
	s_delay_alu instid0(VALU_DEP_1) | instskip(NEXT) | instid1(VALU_DEP_1)
	v_lshlrev_b64 v[5:6], 3, v[4:5]
	v_add_co_u32 v5, s0, v12, v5
	s_delay_alu instid0(VALU_DEP_1)
	v_add_co_ci_u32_e64 v6, s0, v14, v6, s0
	global_load_b64 v[15:16], v[5:6], off
	s_waitcnt vmcnt(0)
	v_add_f64 v[10:11], v[10:11], -v[15:16]
	global_store_b64 v[5:6], v[10:11], off
.LBB1475_5:
	s_or_b32 exec_lo, exec_lo, s1
	v_add_nc_u32_e32 v6, 16, v4
	s_delay_alu instid0(VALU_DEP_1) | instskip(NEXT) | instid1(VALU_DEP_1)
	v_cmp_le_i32_e64 s0, v6, v13
	s_and_b32 s1, vcc_lo, s0
	s_delay_alu instid0(SALU_CYCLE_1)
	s_and_saveexec_b32 s0, s1
	s_cbranch_execz .LBB1475_7
; %bb.6:
	v_ashrrev_i32_e32 v7, 31, v6
	s_delay_alu instid0(VALU_DEP_1) | instskip(NEXT) | instid1(VALU_DEP_1)
	v_lshlrev_b64 v[10:11], 3, v[6:7]
	v_add_co_u32 v10, vcc_lo, v12, v10
	s_delay_alu instid0(VALU_DEP_2)
	v_add_co_ci_u32_e32 v11, vcc_lo, v14, v11, vcc_lo
	global_load_b64 v[14:15], v[10:11], off
	s_waitcnt vmcnt(0)
	v_add_f64 v[7:8], v[8:9], -v[14:15]
	global_store_b64 v[10:11], v[7:8], off
.LBB1475_7:
	s_or_b32 exec_lo, exec_lo, s0
	v_add_nc_u32_e32 v7, 16, v13
	s_delay_alu instid0(VALU_DEP_1) | instskip(SKIP_3) | instid1(VALU_DEP_4)
	v_ashrrev_i32_e32 v5, 31, v7
	v_mul_lo_u32 v10, v7, s7
	v_mad_u64_u32 v[8:9], null, v7, s6, 0
	v_cmp_gt_i32_e32 vcc_lo, s4, v7
	v_mul_lo_u32 v5, v5, s6
	v_cmp_le_i32_e64 s0, v4, v7
	s_delay_alu instid0(VALU_DEP_1) | instskip(NEXT) | instid1(VALU_DEP_2)
	s_and_b32 s0, vcc_lo, s0
	v_add3_u32 v9, v9, v10, v5
	s_delay_alu instid0(VALU_DEP_1) | instskip(NEXT) | instid1(VALU_DEP_1)
	v_lshlrev_b64 v[8:9], 3, v[8:9]
	v_add_co_u32 v8, s1, s2, v8
	s_delay_alu instid0(VALU_DEP_1)
	v_add_co_ci_u32_e64 v9, s1, s3, v9, s1
	s_and_saveexec_b32 s1, s0
	s_cbranch_execz .LBB1475_9
; %bb.8:
	v_ashrrev_i32_e32 v5, 31, v4
	s_delay_alu instid0(VALU_DEP_1) | instskip(NEXT) | instid1(VALU_DEP_1)
	v_lshlrev_b64 v[4:5], 3, v[4:5]
	v_add_co_u32 v4, s0, v8, v4
	s_delay_alu instid0(VALU_DEP_1)
	v_add_co_ci_u32_e64 v5, s0, v9, v5, s0
	global_load_b64 v[10:11], v[4:5], off
	s_waitcnt vmcnt(0)
	v_add_f64 v[2:3], v[2:3], -v[10:11]
	global_store_b64 v[4:5], v[2:3], off
.LBB1475_9:
	s_or_b32 exec_lo, exec_lo, s1
	v_cmp_le_i32_e64 s0, v6, v7
	s_delay_alu instid0(VALU_DEP_1) | instskip(NEXT) | instid1(SALU_CYCLE_1)
	s_and_b32 s0, vcc_lo, s0
	s_and_saveexec_b32 s1, s0
	s_cbranch_execz .LBB1475_11
; %bb.10:
	v_ashrrev_i32_e32 v7, 31, v6
	s_delay_alu instid0(VALU_DEP_1) | instskip(NEXT) | instid1(VALU_DEP_1)
	v_lshlrev_b64 v[2:3], 3, v[6:7]
	v_add_co_u32 v2, vcc_lo, v8, v2
	s_delay_alu instid0(VALU_DEP_2)
	v_add_co_ci_u32_e32 v3, vcc_lo, v9, v3, vcc_lo
	global_load_b64 v[4:5], v[2:3], off
	s_waitcnt vmcnt(0)
	v_add_f64 v[0:1], v[0:1], -v[4:5]
	global_store_b64 v[2:3], v[0:1], off
.LBB1475_11:
	s_nop 0
	s_sendmsg sendmsg(MSG_DEALLOC_VGPRS)
	s_endpgm
	.section	.rodata,"a",@progbits
	.p2align	6, 0x0
	.amdhsa_kernel _ZL37rocblas_syrkx_herkx_restricted_kernelIldLi16ELi32ELi8ELi1ELin1ELb0ELc67ELc85EKPKdKPdEviT_PT9_S5_lS7_S5_lPT10_S5_li
		.amdhsa_group_segment_fixed_size 4096
		.amdhsa_private_segment_fixed_size 0
		.amdhsa_kernarg_size 92
		.amdhsa_user_sgpr_count 13
		.amdhsa_user_sgpr_dispatch_ptr 0
		.amdhsa_user_sgpr_queue_ptr 0
		.amdhsa_user_sgpr_kernarg_segment_ptr 1
		.amdhsa_user_sgpr_dispatch_id 0
		.amdhsa_user_sgpr_private_segment_size 0
		.amdhsa_wavefront_size32 1
		.amdhsa_uses_dynamic_stack 0
		.amdhsa_enable_private_segment 0
		.amdhsa_system_sgpr_workgroup_id_x 1
		.amdhsa_system_sgpr_workgroup_id_y 1
		.amdhsa_system_sgpr_workgroup_id_z 1
		.amdhsa_system_sgpr_workgroup_info 0
		.amdhsa_system_vgpr_workitem_id 1
		.amdhsa_next_free_vgpr 38
		.amdhsa_next_free_sgpr 20
		.amdhsa_reserve_vcc 1
		.amdhsa_float_round_mode_32 0
		.amdhsa_float_round_mode_16_64 0
		.amdhsa_float_denorm_mode_32 3
		.amdhsa_float_denorm_mode_16_64 3
		.amdhsa_dx10_clamp 1
		.amdhsa_ieee_mode 1
		.amdhsa_fp16_overflow 0
		.amdhsa_workgroup_processor_mode 1
		.amdhsa_memory_ordered 1
		.amdhsa_forward_progress 0
		.amdhsa_shared_vgpr_count 0
		.amdhsa_exception_fp_ieee_invalid_op 0
		.amdhsa_exception_fp_denorm_src 0
		.amdhsa_exception_fp_ieee_div_zero 0
		.amdhsa_exception_fp_ieee_overflow 0
		.amdhsa_exception_fp_ieee_underflow 0
		.amdhsa_exception_fp_ieee_inexact 0
		.amdhsa_exception_int_div_zero 0
	.end_amdhsa_kernel
	.section	.text._ZL37rocblas_syrkx_herkx_restricted_kernelIldLi16ELi32ELi8ELi1ELin1ELb0ELc67ELc85EKPKdKPdEviT_PT9_S5_lS7_S5_lPT10_S5_li,"axG",@progbits,_ZL37rocblas_syrkx_herkx_restricted_kernelIldLi16ELi32ELi8ELi1ELin1ELb0ELc67ELc85EKPKdKPdEviT_PT9_S5_lS7_S5_lPT10_S5_li,comdat
.Lfunc_end1475:
	.size	_ZL37rocblas_syrkx_herkx_restricted_kernelIldLi16ELi32ELi8ELi1ELin1ELb0ELc67ELc85EKPKdKPdEviT_PT9_S5_lS7_S5_lPT10_S5_li, .Lfunc_end1475-_ZL37rocblas_syrkx_herkx_restricted_kernelIldLi16ELi32ELi8ELi1ELin1ELb0ELc67ELc85EKPKdKPdEviT_PT9_S5_lS7_S5_lPT10_S5_li
                                        ; -- End function
	.section	.AMDGPU.csdata,"",@progbits
; Kernel info:
; codeLenInByte = 1540
; NumSgprs: 22
; NumVgprs: 38
; ScratchSize: 0
; MemoryBound: 0
; FloatMode: 240
; IeeeMode: 1
; LDSByteSize: 4096 bytes/workgroup (compile time only)
; SGPRBlocks: 2
; VGPRBlocks: 4
; NumSGPRsForWavesPerEU: 22
; NumVGPRsForWavesPerEU: 38
; Occupancy: 16
; WaveLimiterHint : 1
; COMPUTE_PGM_RSRC2:SCRATCH_EN: 0
; COMPUTE_PGM_RSRC2:USER_SGPR: 13
; COMPUTE_PGM_RSRC2:TRAP_HANDLER: 0
; COMPUTE_PGM_RSRC2:TGID_X_EN: 1
; COMPUTE_PGM_RSRC2:TGID_Y_EN: 1
; COMPUTE_PGM_RSRC2:TGID_Z_EN: 1
; COMPUTE_PGM_RSRC2:TIDIG_COMP_CNT: 1
	.section	.text._ZL37rocblas_syrkx_herkx_restricted_kernelIldLi16ELi32ELi8ELi1ELin1ELb0ELc78ELc85EKPKdKPdEviT_PT9_S5_lS7_S5_lPT10_S5_li,"axG",@progbits,_ZL37rocblas_syrkx_herkx_restricted_kernelIldLi16ELi32ELi8ELi1ELin1ELb0ELc78ELc85EKPKdKPdEviT_PT9_S5_lS7_S5_lPT10_S5_li,comdat
	.globl	_ZL37rocblas_syrkx_herkx_restricted_kernelIldLi16ELi32ELi8ELi1ELin1ELb0ELc78ELc85EKPKdKPdEviT_PT9_S5_lS7_S5_lPT10_S5_li ; -- Begin function _ZL37rocblas_syrkx_herkx_restricted_kernelIldLi16ELi32ELi8ELi1ELin1ELb0ELc78ELc85EKPKdKPdEviT_PT9_S5_lS7_S5_lPT10_S5_li
	.p2align	8
	.type	_ZL37rocblas_syrkx_herkx_restricted_kernelIldLi16ELi32ELi8ELi1ELin1ELb0ELc78ELc85EKPKdKPdEviT_PT9_S5_lS7_S5_lPT10_S5_li,@function
_ZL37rocblas_syrkx_herkx_restricted_kernelIldLi16ELi32ELi8ELi1ELin1ELb0ELc78ELc85EKPKdKPdEviT_PT9_S5_lS7_S5_lPT10_S5_li: ; @_ZL37rocblas_syrkx_herkx_restricted_kernelIldLi16ELi32ELi8ELi1ELin1ELb0ELc78ELc85EKPKdKPdEviT_PT9_S5_lS7_S5_lPT10_S5_li
; %bb.0:
	s_clause 0x1
	s_load_b128 s[4:7], s[0:1], 0x40
	s_load_b128 s[8:11], s[0:1], 0x8
	s_mov_b32 s2, s15
	s_mov_b32 s3, 0
	v_mov_b32_e32 v10, 0
	s_lshl_b64 s[16:17], s[2:3], 3
	v_dual_mov_b32 v11, 0 :: v_dual_and_b32 v12, 0x3ff, v0
	v_bfe_u32 v13, v0, 10, 10
	s_delay_alu instid0(VALU_DEP_3) | instskip(NEXT) | instid1(VALU_DEP_3)
	v_mov_b32_e32 v8, v10
	v_dual_mov_b32 v2, v10 :: v_dual_mov_b32 v3, v11
	v_dual_mov_b32 v9, v11 :: v_dual_mov_b32 v0, v10
	v_mov_b32_e32 v1, v11
	s_waitcnt lgkmcnt(0)
	s_add_u32 s2, s4, s16
	s_addc_u32 s3, s5, s17
	v_cmp_lt_i64_e64 s4, s[8:9], 1
	s_load_b64 s[2:3], s[2:3], 0x0
	s_lshl_b32 s18, s13, 5
	s_lshl_b32 s19, s14, 5
	s_delay_alu instid0(VALU_DEP_1)
	s_and_b32 vcc_lo, exec_lo, s4
	s_cbranch_vccnz .LBB1476_3
; %bb.1:
	v_lshl_add_u32 v1, v13, 4, v12
	s_clause 0x1
	s_load_b64 s[4:5], s[0:1], 0x18
	s_load_b128 s[12:15], s[0:1], 0x28
	s_add_u32 s10, s10, s16
	s_addc_u32 s11, s11, s17
	s_load_b64 s[10:11], s[10:11], 0x0
	v_and_b32_e32 v10, 31, v1
	v_lshrrev_b32_e32 v11, 3, v1
	v_lshrrev_b32_e32 v16, 5, v1
	s_delay_alu instid0(VALU_DEP_3) | instskip(NEXT) | instid1(VALU_DEP_3)
	v_add_nc_u32_e32 v0, s18, v10
	v_add_nc_u32_e32 v2, s19, v11
	s_delay_alu instid0(VALU_DEP_2) | instskip(NEXT) | instid1(VALU_DEP_2)
	v_ashrrev_i32_e32 v1, 31, v0
	v_ashrrev_i32_e32 v3, 31, v2
	s_waitcnt lgkmcnt(0)
	s_delay_alu instid0(VALU_DEP_2) | instskip(SKIP_4) | instid1(VALU_DEP_2)
	v_mad_u64_u32 v[4:5], null, v16, s4, v[0:1]
	v_and_b32_e32 v15, 7, v12
	s_add_u32 s12, s12, s16
	s_addc_u32 s13, s13, s17
	s_load_b64 s[12:13], s[12:13], 0x0
	v_mov_b32_e32 v0, v5
	v_mad_u64_u32 v[6:7], null, v15, s14, v[2:3]
	s_delay_alu instid0(VALU_DEP_1) | instskip(NEXT) | instid1(VALU_DEP_3)
	v_mov_b32_e32 v2, v7
	v_mad_u64_u32 v[7:8], null, v16, s5, v[0:1]
	s_lshl_b64 s[4:5], s[4:5], 6
	s_delay_alu instid0(VALU_DEP_2) | instskip(SKIP_2) | instid1(VALU_DEP_4)
	v_mad_u64_u32 v[8:9], null, v15, s15, v[2:3]
	v_lshlrev_b32_e32 v9, 3, v15
	v_lshl_add_u32 v15, v13, 6, 0x800
	v_mov_b32_e32 v5, v7
	s_delay_alu instid0(VALU_DEP_3) | instskip(SKIP_1) | instid1(VALU_DEP_3)
	v_lshl_or_b32 v11, v11, 6, v9
	v_mov_b32_e32 v7, v8
	v_lshlrev_b64 v[4:5], 3, v[4:5]
	v_mov_b32_e32 v0, 0
	v_mov_b32_e32 v1, 0
	v_add_nc_u32_e32 v17, 0x800, v11
	v_lshlrev_b64 v[6:7], 3, v[6:7]
	v_lshlrev_b32_e32 v10, 3, v10
	v_add_co_u32 v4, vcc_lo, s10, v4
	v_dual_mov_b32 v3, v1 :: v_dual_lshlrev_b32 v14, 3, v12
	v_add_co_ci_u32_e32 v5, vcc_lo, s11, v5, vcc_lo
	v_dual_mov_b32 v2, v0 :: v_dual_mov_b32 v9, v1
	s_waitcnt lgkmcnt(0)
	v_add_co_u32 v6, vcc_lo, s12, v6
	v_mov_b32_e32 v8, v0
	v_lshl_or_b32 v16, v16, 8, v10
	v_mov_b32_e32 v11, v1
	v_add_co_ci_u32_e32 v7, vcc_lo, s13, v7, vcc_lo
	v_mov_b32_e32 v10, v0
	s_lshl_b64 s[10:11], s[14:15], 6
	s_mov_b64 s[12:13], 0
.LBB1476_2:                             ; =>This Inner Loop Header: Depth=1
	global_load_b64 v[18:19], v[4:5], off
	global_load_b64 v[20:21], v[6:7], off
	s_add_u32 s12, s12, 8
	v_add_co_u32 v4, vcc_lo, v4, s4
	s_addc_u32 s13, s13, 0
	v_add_co_ci_u32_e32 v5, vcc_lo, s5, v5, vcc_lo
	v_cmp_ge_u64_e64 s14, s[12:13], s[8:9]
	v_add_co_u32 v6, vcc_lo, v6, s10
	v_add_co_ci_u32_e32 v7, vcc_lo, s11, v7, vcc_lo
	s_waitcnt vmcnt(1)
	ds_store_b64 v16, v[18:19]
	s_waitcnt vmcnt(0)
	ds_store_b64 v17, v[20:21]
	s_waitcnt lgkmcnt(0)
	s_barrier
	buffer_gl0_inv
	ds_load_2addr_b64 v[18:21], v14 offset1:16
	ds_load_b128 v[22:25], v15
	ds_load_b128 v[26:29], v15 offset:1024
	ds_load_b128 v[30:33], v15 offset:16
	;; [unrolled: 1-line block ×3, first 2 shown]
	s_and_b32 vcc_lo, exec_lo, s14
	s_waitcnt lgkmcnt(3)
	v_fma_f64 v[10:11], v[18:19], v[22:23], v[10:11]
	v_fma_f64 v[8:9], v[20:21], v[22:23], v[8:9]
	s_waitcnt lgkmcnt(2)
	v_fma_f64 v[18:19], v[18:19], v[26:27], v[2:3]
	v_fma_f64 v[20:21], v[20:21], v[26:27], v[0:1]
	ds_load_2addr_b64 v[0:3], v14 offset0:32 offset1:48
	s_waitcnt lgkmcnt(0)
	v_fma_f64 v[10:11], v[0:1], v[24:25], v[10:11]
	v_fma_f64 v[8:9], v[2:3], v[24:25], v[8:9]
	v_fma_f64 v[18:19], v[0:1], v[28:29], v[18:19]
	v_fma_f64 v[20:21], v[2:3], v[28:29], v[20:21]
	ds_load_2addr_b64 v[0:3], v14 offset0:64 offset1:80
	s_waitcnt lgkmcnt(0)
	v_fma_f64 v[10:11], v[0:1], v[30:31], v[10:11]
	v_fma_f64 v[8:9], v[2:3], v[30:31], v[8:9]
	;; [unrolled: 6-line block ×3, first 2 shown]
	v_fma_f64 v[34:35], v[0:1], v[36:37], v[18:19]
	v_fma_f64 v[36:37], v[2:3], v[36:37], v[20:21]
	ds_load_2addr_b64 v[0:3], v14 offset0:128 offset1:144
	ds_load_b128 v[8:11], v15 offset:32
	ds_load_b128 v[18:21], v15 offset:1056
	;; [unrolled: 1-line block ×4, first 2 shown]
	s_waitcnt lgkmcnt(3)
	v_fma_f64 v[30:31], v[0:1], v[8:9], v[30:31]
	v_fma_f64 v[8:9], v[2:3], v[8:9], v[32:33]
	s_waitcnt lgkmcnt(2)
	v_fma_f64 v[32:33], v[0:1], v[18:19], v[34:35]
	v_fma_f64 v[18:19], v[2:3], v[18:19], v[36:37]
	ds_load_2addr_b64 v[0:3], v14 offset0:160 offset1:176
	s_waitcnt lgkmcnt(0)
	v_fma_f64 v[30:31], v[0:1], v[10:11], v[30:31]
	v_fma_f64 v[8:9], v[2:3], v[10:11], v[8:9]
	;; [unrolled: 1-line block ×4, first 2 shown]
	ds_load_2addr_b64 v[0:3], v14 offset0:192 offset1:208
	s_waitcnt lgkmcnt(0)
	v_fma_f64 v[30:31], v[0:1], v[22:23], v[30:31]
	v_fma_f64 v[8:9], v[2:3], v[22:23], v[8:9]
	;; [unrolled: 1-line block ×4, first 2 shown]
	ds_load_2addr_b64 v[18:21], v14 offset0:224 offset1:240
	s_waitcnt lgkmcnt(0)
	s_barrier
	buffer_gl0_inv
	v_fma_f64 v[10:11], v[18:19], v[24:25], v[30:31]
	v_fma_f64 v[8:9], v[20:21], v[24:25], v[8:9]
	;; [unrolled: 1-line block ×4, first 2 shown]
	s_cbranch_vccz .LBB1476_2
.LBB1476_3:
	v_add_nc_u32_e32 v13, s19, v13
	s_load_b32 s4, s[0:1], 0x0
	s_delay_alu instid0(VALU_DEP_1) | instskip(SKIP_2) | instid1(VALU_DEP_3)
	v_ashrrev_i32_e32 v4, 31, v13
	v_mul_lo_u32 v7, v13, s7
	v_mad_u64_u32 v[5:6], null, v13, s6, 0
	v_mul_lo_u32 v4, v4, s6
	s_delay_alu instid0(VALU_DEP_1) | instskip(SKIP_3) | instid1(VALU_DEP_3)
	v_add3_u32 v6, v6, v7, v4
	v_add_nc_u32_e32 v4, s18, v12
	s_waitcnt lgkmcnt(0)
	v_cmp_gt_i32_e32 vcc_lo, s4, v13
	v_lshlrev_b64 v[5:6], 3, v[5:6]
	s_delay_alu instid0(VALU_DEP_3) | instskip(NEXT) | instid1(VALU_DEP_1)
	v_cmp_le_i32_e64 s0, v4, v13
	s_and_b32 s0, vcc_lo, s0
	s_delay_alu instid0(VALU_DEP_2) | instskip(NEXT) | instid1(VALU_DEP_1)
	v_add_co_u32 v12, s1, s2, v5
	v_add_co_ci_u32_e64 v14, s1, s3, v6, s1
	s_and_saveexec_b32 s1, s0
	s_cbranch_execz .LBB1476_5
; %bb.4:
	v_ashrrev_i32_e32 v5, 31, v4
	s_delay_alu instid0(VALU_DEP_1) | instskip(NEXT) | instid1(VALU_DEP_1)
	v_lshlrev_b64 v[5:6], 3, v[4:5]
	v_add_co_u32 v5, s0, v12, v5
	s_delay_alu instid0(VALU_DEP_1)
	v_add_co_ci_u32_e64 v6, s0, v14, v6, s0
	global_load_b64 v[15:16], v[5:6], off
	s_waitcnt vmcnt(0)
	v_add_f64 v[10:11], v[10:11], -v[15:16]
	global_store_b64 v[5:6], v[10:11], off
.LBB1476_5:
	s_or_b32 exec_lo, exec_lo, s1
	v_add_nc_u32_e32 v6, 16, v4
	s_delay_alu instid0(VALU_DEP_1) | instskip(NEXT) | instid1(VALU_DEP_1)
	v_cmp_le_i32_e64 s0, v6, v13
	s_and_b32 s1, vcc_lo, s0
	s_delay_alu instid0(SALU_CYCLE_1)
	s_and_saveexec_b32 s0, s1
	s_cbranch_execz .LBB1476_7
; %bb.6:
	v_ashrrev_i32_e32 v7, 31, v6
	s_delay_alu instid0(VALU_DEP_1) | instskip(NEXT) | instid1(VALU_DEP_1)
	v_lshlrev_b64 v[10:11], 3, v[6:7]
	v_add_co_u32 v10, vcc_lo, v12, v10
	s_delay_alu instid0(VALU_DEP_2)
	v_add_co_ci_u32_e32 v11, vcc_lo, v14, v11, vcc_lo
	global_load_b64 v[14:15], v[10:11], off
	s_waitcnt vmcnt(0)
	v_add_f64 v[7:8], v[8:9], -v[14:15]
	global_store_b64 v[10:11], v[7:8], off
.LBB1476_7:
	s_or_b32 exec_lo, exec_lo, s0
	v_add_nc_u32_e32 v7, 16, v13
	s_delay_alu instid0(VALU_DEP_1) | instskip(SKIP_3) | instid1(VALU_DEP_4)
	v_ashrrev_i32_e32 v5, 31, v7
	v_mul_lo_u32 v10, v7, s7
	v_mad_u64_u32 v[8:9], null, v7, s6, 0
	v_cmp_gt_i32_e32 vcc_lo, s4, v7
	v_mul_lo_u32 v5, v5, s6
	v_cmp_le_i32_e64 s0, v4, v7
	s_delay_alu instid0(VALU_DEP_1) | instskip(NEXT) | instid1(VALU_DEP_2)
	s_and_b32 s0, vcc_lo, s0
	v_add3_u32 v9, v9, v10, v5
	s_delay_alu instid0(VALU_DEP_1) | instskip(NEXT) | instid1(VALU_DEP_1)
	v_lshlrev_b64 v[8:9], 3, v[8:9]
	v_add_co_u32 v8, s1, s2, v8
	s_delay_alu instid0(VALU_DEP_1)
	v_add_co_ci_u32_e64 v9, s1, s3, v9, s1
	s_and_saveexec_b32 s1, s0
	s_cbranch_execz .LBB1476_9
; %bb.8:
	v_ashrrev_i32_e32 v5, 31, v4
	s_delay_alu instid0(VALU_DEP_1) | instskip(NEXT) | instid1(VALU_DEP_1)
	v_lshlrev_b64 v[4:5], 3, v[4:5]
	v_add_co_u32 v4, s0, v8, v4
	s_delay_alu instid0(VALU_DEP_1)
	v_add_co_ci_u32_e64 v5, s0, v9, v5, s0
	global_load_b64 v[10:11], v[4:5], off
	s_waitcnt vmcnt(0)
	v_add_f64 v[2:3], v[2:3], -v[10:11]
	global_store_b64 v[4:5], v[2:3], off
.LBB1476_9:
	s_or_b32 exec_lo, exec_lo, s1
	v_cmp_le_i32_e64 s0, v6, v7
	s_delay_alu instid0(VALU_DEP_1) | instskip(NEXT) | instid1(SALU_CYCLE_1)
	s_and_b32 s0, vcc_lo, s0
	s_and_saveexec_b32 s1, s0
	s_cbranch_execz .LBB1476_11
; %bb.10:
	v_ashrrev_i32_e32 v7, 31, v6
	s_delay_alu instid0(VALU_DEP_1) | instskip(NEXT) | instid1(VALU_DEP_1)
	v_lshlrev_b64 v[2:3], 3, v[6:7]
	v_add_co_u32 v2, vcc_lo, v8, v2
	s_delay_alu instid0(VALU_DEP_2)
	v_add_co_ci_u32_e32 v3, vcc_lo, v9, v3, vcc_lo
	global_load_b64 v[4:5], v[2:3], off
	s_waitcnt vmcnt(0)
	v_add_f64 v[0:1], v[0:1], -v[4:5]
	global_store_b64 v[2:3], v[0:1], off
.LBB1476_11:
	s_nop 0
	s_sendmsg sendmsg(MSG_DEALLOC_VGPRS)
	s_endpgm
	.section	.rodata,"a",@progbits
	.p2align	6, 0x0
	.amdhsa_kernel _ZL37rocblas_syrkx_herkx_restricted_kernelIldLi16ELi32ELi8ELi1ELin1ELb0ELc78ELc85EKPKdKPdEviT_PT9_S5_lS7_S5_lPT10_S5_li
		.amdhsa_group_segment_fixed_size 4096
		.amdhsa_private_segment_fixed_size 0
		.amdhsa_kernarg_size 92
		.amdhsa_user_sgpr_count 13
		.amdhsa_user_sgpr_dispatch_ptr 0
		.amdhsa_user_sgpr_queue_ptr 0
		.amdhsa_user_sgpr_kernarg_segment_ptr 1
		.amdhsa_user_sgpr_dispatch_id 0
		.amdhsa_user_sgpr_private_segment_size 0
		.amdhsa_wavefront_size32 1
		.amdhsa_uses_dynamic_stack 0
		.amdhsa_enable_private_segment 0
		.amdhsa_system_sgpr_workgroup_id_x 1
		.amdhsa_system_sgpr_workgroup_id_y 1
		.amdhsa_system_sgpr_workgroup_id_z 1
		.amdhsa_system_sgpr_workgroup_info 0
		.amdhsa_system_vgpr_workitem_id 1
		.amdhsa_next_free_vgpr 38
		.amdhsa_next_free_sgpr 20
		.amdhsa_reserve_vcc 1
		.amdhsa_float_round_mode_32 0
		.amdhsa_float_round_mode_16_64 0
		.amdhsa_float_denorm_mode_32 3
		.amdhsa_float_denorm_mode_16_64 3
		.amdhsa_dx10_clamp 1
		.amdhsa_ieee_mode 1
		.amdhsa_fp16_overflow 0
		.amdhsa_workgroup_processor_mode 1
		.amdhsa_memory_ordered 1
		.amdhsa_forward_progress 0
		.amdhsa_shared_vgpr_count 0
		.amdhsa_exception_fp_ieee_invalid_op 0
		.amdhsa_exception_fp_denorm_src 0
		.amdhsa_exception_fp_ieee_div_zero 0
		.amdhsa_exception_fp_ieee_overflow 0
		.amdhsa_exception_fp_ieee_underflow 0
		.amdhsa_exception_fp_ieee_inexact 0
		.amdhsa_exception_int_div_zero 0
	.end_amdhsa_kernel
	.section	.text._ZL37rocblas_syrkx_herkx_restricted_kernelIldLi16ELi32ELi8ELi1ELin1ELb0ELc78ELc85EKPKdKPdEviT_PT9_S5_lS7_S5_lPT10_S5_li,"axG",@progbits,_ZL37rocblas_syrkx_herkx_restricted_kernelIldLi16ELi32ELi8ELi1ELin1ELb0ELc78ELc85EKPKdKPdEviT_PT9_S5_lS7_S5_lPT10_S5_li,comdat
.Lfunc_end1476:
	.size	_ZL37rocblas_syrkx_herkx_restricted_kernelIldLi16ELi32ELi8ELi1ELin1ELb0ELc78ELc85EKPKdKPdEviT_PT9_S5_lS7_S5_lPT10_S5_li, .Lfunc_end1476-_ZL37rocblas_syrkx_herkx_restricted_kernelIldLi16ELi32ELi8ELi1ELin1ELb0ELc78ELc85EKPKdKPdEviT_PT9_S5_lS7_S5_lPT10_S5_li
                                        ; -- End function
	.section	.AMDGPU.csdata,"",@progbits
; Kernel info:
; codeLenInByte = 1528
; NumSgprs: 22
; NumVgprs: 38
; ScratchSize: 0
; MemoryBound: 0
; FloatMode: 240
; IeeeMode: 1
; LDSByteSize: 4096 bytes/workgroup (compile time only)
; SGPRBlocks: 2
; VGPRBlocks: 4
; NumSGPRsForWavesPerEU: 22
; NumVGPRsForWavesPerEU: 38
; Occupancy: 16
; WaveLimiterHint : 1
; COMPUTE_PGM_RSRC2:SCRATCH_EN: 0
; COMPUTE_PGM_RSRC2:USER_SGPR: 13
; COMPUTE_PGM_RSRC2:TRAP_HANDLER: 0
; COMPUTE_PGM_RSRC2:TGID_X_EN: 1
; COMPUTE_PGM_RSRC2:TGID_Y_EN: 1
; COMPUTE_PGM_RSRC2:TGID_Z_EN: 1
; COMPUTE_PGM_RSRC2:TIDIG_COMP_CNT: 1
	.section	.text._ZL37rocblas_syrkx_herkx_restricted_kernelIldLi16ELi32ELi8ELi1ELi0ELb0ELc84ELc76EKPKdKPdEviT_PT9_S5_lS7_S5_lPT10_S5_li,"axG",@progbits,_ZL37rocblas_syrkx_herkx_restricted_kernelIldLi16ELi32ELi8ELi1ELi0ELb0ELc84ELc76EKPKdKPdEviT_PT9_S5_lS7_S5_lPT10_S5_li,comdat
	.globl	_ZL37rocblas_syrkx_herkx_restricted_kernelIldLi16ELi32ELi8ELi1ELi0ELb0ELc84ELc76EKPKdKPdEviT_PT9_S5_lS7_S5_lPT10_S5_li ; -- Begin function _ZL37rocblas_syrkx_herkx_restricted_kernelIldLi16ELi32ELi8ELi1ELi0ELb0ELc84ELc76EKPKdKPdEviT_PT9_S5_lS7_S5_lPT10_S5_li
	.p2align	8
	.type	_ZL37rocblas_syrkx_herkx_restricted_kernelIldLi16ELi32ELi8ELi1ELi0ELb0ELc84ELc76EKPKdKPdEviT_PT9_S5_lS7_S5_lPT10_S5_li,@function
_ZL37rocblas_syrkx_herkx_restricted_kernelIldLi16ELi32ELi8ELi1ELi0ELb0ELc84ELc76EKPKdKPdEviT_PT9_S5_lS7_S5_lPT10_S5_li: ; @_ZL37rocblas_syrkx_herkx_restricted_kernelIldLi16ELi32ELi8ELi1ELi0ELb0ELc84ELc76EKPKdKPdEviT_PT9_S5_lS7_S5_lPT10_S5_li
; %bb.0:
	s_clause 0x1
	s_load_b128 s[4:7], s[0:1], 0x40
	s_load_b128 s[8:11], s[0:1], 0x8
	s_mov_b32 s2, s15
	s_mov_b32 s3, 0
	v_mov_b32_e32 v10, 0
	s_lshl_b64 s[16:17], s[2:3], 3
	v_dual_mov_b32 v11, 0 :: v_dual_and_b32 v12, 0x3ff, v0
	v_bfe_u32 v13, v0, 10, 10
	s_delay_alu instid0(VALU_DEP_3) | instskip(NEXT) | instid1(VALU_DEP_3)
	v_mov_b32_e32 v8, v10
	v_dual_mov_b32 v2, v10 :: v_dual_mov_b32 v3, v11
	v_dual_mov_b32 v9, v11 :: v_dual_mov_b32 v0, v10
	v_mov_b32_e32 v1, v11
	s_waitcnt lgkmcnt(0)
	s_add_u32 s2, s4, s16
	s_addc_u32 s3, s5, s17
	v_cmp_lt_i64_e64 s4, s[8:9], 1
	s_load_b64 s[2:3], s[2:3], 0x0
	s_lshl_b32 s18, s13, 5
	s_lshl_b32 s19, s14, 5
	s_delay_alu instid0(VALU_DEP_1)
	s_and_b32 vcc_lo, exec_lo, s4
	s_cbranch_vccnz .LBB1477_3
; %bb.1:
	s_clause 0x1
	s_load_b128 s[12:15], s[0:1], 0x28
	s_load_b64 s[4:5], s[0:1], 0x18
	v_lshl_add_u32 v2, v13, 4, v12
	v_dual_mov_b32 v1, 0 :: v_dual_and_b32 v0, 7, v12
	s_add_u32 s10, s10, s16
	s_addc_u32 s11, s11, s17
	s_delay_alu instid0(VALU_DEP_2)
	v_lshrrev_b32_e32 v8, 3, v2
	v_and_b32_e32 v9, 31, v2
	v_lshrrev_b32_e32 v2, 5, v2
	v_mov_b32_e32 v3, v1
	s_load_b64 s[10:11], s[10:11], 0x0
	v_add_nc_u32_e32 v10, s19, v8
	v_add_nc_u32_e32 v6, s18, v9
	v_lshl_add_u32 v17, v13, 6, 0x800
	s_delay_alu instid0(VALU_DEP_3) | instskip(NEXT) | instid1(VALU_DEP_3)
	v_ashrrev_i32_e32 v4, 31, v10
	v_ashrrev_i32_e32 v5, 31, v6
	s_waitcnt lgkmcnt(0)
	s_add_u32 s12, s12, s16
	s_addc_u32 s13, s13, s17
	v_mul_lo_u32 v11, v4, s14
	v_mul_lo_u32 v15, s4, v5
	v_mad_u64_u32 v[4:5], null, s4, v6, v[2:3]
	v_mul_lo_u32 v3, s5, v6
	s_load_b64 s[4:5], s[12:13], 0x0
	v_mul_lo_u32 v14, v10, s15
	v_mad_u64_u32 v[6:7], null, v10, s14, v[0:1]
	v_lshlrev_b32_e32 v0, 3, v0
	v_lshlrev_b32_e32 v1, 3, v9
	v_add3_u32 v5, v3, v5, v15
	s_delay_alu instid0(VALU_DEP_3) | instskip(SKIP_1) | instid1(VALU_DEP_4)
	v_lshl_or_b32 v0, v8, 6, v0
	v_add3_u32 v7, v11, v7, v14
	v_lshl_or_b32 v14, v2, 8, v1
	s_delay_alu instid0(VALU_DEP_4) | instskip(NEXT) | instid1(VALU_DEP_4)
	v_lshlrev_b64 v[2:3], 3, v[4:5]
	v_add_nc_u32_e32 v15, 0x800, v0
	s_delay_alu instid0(VALU_DEP_4)
	v_lshlrev_b64 v[6:7], 3, v[6:7]
	v_mov_b32_e32 v0, 0
	v_mov_b32_e32 v1, 0
	v_add_co_u32 v4, vcc_lo, s10, v2
	v_add_co_ci_u32_e32 v5, vcc_lo, s11, v3, vcc_lo
	s_waitcnt lgkmcnt(0)
	v_add_co_u32 v6, vcc_lo, s4, v6
	v_dual_mov_b32 v3, v1 :: v_dual_lshlrev_b32 v16, 3, v12
	v_add_co_ci_u32_e32 v7, vcc_lo, s5, v7, vcc_lo
	v_dual_mov_b32 v2, v0 :: v_dual_mov_b32 v9, v1
	v_dual_mov_b32 v8, v0 :: v_dual_mov_b32 v11, v1
	v_mov_b32_e32 v10, v0
	s_mov_b64 s[4:5], 0
.LBB1477_2:                             ; =>This Inner Loop Header: Depth=1
	global_load_b64 v[18:19], v[4:5], off
	global_load_b64 v[20:21], v[6:7], off
	s_add_u32 s4, s4, 8
	v_add_co_u32 v4, vcc_lo, v4, 64
	s_addc_u32 s5, s5, 0
	v_add_co_ci_u32_e32 v5, vcc_lo, 0, v5, vcc_lo
	v_cmp_ge_u64_e64 s10, s[4:5], s[8:9]
	v_add_co_u32 v6, vcc_lo, v6, 64
	v_add_co_ci_u32_e32 v7, vcc_lo, 0, v7, vcc_lo
	s_waitcnt vmcnt(1)
	ds_store_b64 v14, v[18:19]
	s_waitcnt vmcnt(0)
	ds_store_b64 v15, v[20:21]
	s_waitcnt lgkmcnt(0)
	s_barrier
	buffer_gl0_inv
	ds_load_2addr_b64 v[18:21], v16 offset1:16
	ds_load_b128 v[22:25], v17
	ds_load_b128 v[26:29], v17 offset:1024
	ds_load_b128 v[30:33], v17 offset:16
	;; [unrolled: 1-line block ×3, first 2 shown]
	s_and_b32 vcc_lo, exec_lo, s10
	s_waitcnt lgkmcnt(3)
	v_fma_f64 v[10:11], v[18:19], v[22:23], v[10:11]
	v_fma_f64 v[8:9], v[20:21], v[22:23], v[8:9]
	s_waitcnt lgkmcnt(2)
	v_fma_f64 v[18:19], v[18:19], v[26:27], v[2:3]
	v_fma_f64 v[20:21], v[20:21], v[26:27], v[0:1]
	ds_load_2addr_b64 v[0:3], v16 offset0:32 offset1:48
	s_waitcnt lgkmcnt(0)
	v_fma_f64 v[10:11], v[0:1], v[24:25], v[10:11]
	v_fma_f64 v[8:9], v[2:3], v[24:25], v[8:9]
	v_fma_f64 v[18:19], v[0:1], v[28:29], v[18:19]
	v_fma_f64 v[20:21], v[2:3], v[28:29], v[20:21]
	ds_load_2addr_b64 v[0:3], v16 offset0:64 offset1:80
	s_waitcnt lgkmcnt(0)
	v_fma_f64 v[10:11], v[0:1], v[30:31], v[10:11]
	v_fma_f64 v[8:9], v[2:3], v[30:31], v[8:9]
	;; [unrolled: 6-line block ×3, first 2 shown]
	v_fma_f64 v[34:35], v[0:1], v[36:37], v[18:19]
	v_fma_f64 v[36:37], v[2:3], v[36:37], v[20:21]
	ds_load_2addr_b64 v[0:3], v16 offset0:128 offset1:144
	ds_load_b128 v[8:11], v17 offset:32
	ds_load_b128 v[18:21], v17 offset:1056
	;; [unrolled: 1-line block ×4, first 2 shown]
	s_waitcnt lgkmcnt(3)
	v_fma_f64 v[30:31], v[0:1], v[8:9], v[30:31]
	v_fma_f64 v[8:9], v[2:3], v[8:9], v[32:33]
	s_waitcnt lgkmcnt(2)
	v_fma_f64 v[32:33], v[0:1], v[18:19], v[34:35]
	v_fma_f64 v[18:19], v[2:3], v[18:19], v[36:37]
	ds_load_2addr_b64 v[0:3], v16 offset0:160 offset1:176
	s_waitcnt lgkmcnt(0)
	v_fma_f64 v[30:31], v[0:1], v[10:11], v[30:31]
	v_fma_f64 v[8:9], v[2:3], v[10:11], v[8:9]
	;; [unrolled: 1-line block ×4, first 2 shown]
	ds_load_2addr_b64 v[0:3], v16 offset0:192 offset1:208
	s_waitcnt lgkmcnt(0)
	v_fma_f64 v[30:31], v[0:1], v[22:23], v[30:31]
	v_fma_f64 v[8:9], v[2:3], v[22:23], v[8:9]
	;; [unrolled: 1-line block ×4, first 2 shown]
	ds_load_2addr_b64 v[18:21], v16 offset0:224 offset1:240
	s_waitcnt lgkmcnt(0)
	s_barrier
	buffer_gl0_inv
	v_fma_f64 v[10:11], v[18:19], v[24:25], v[30:31]
	v_fma_f64 v[8:9], v[20:21], v[24:25], v[8:9]
	;; [unrolled: 1-line block ×4, first 2 shown]
	s_cbranch_vccz .LBB1477_2
.LBB1477_3:
	v_add_nc_u32_e32 v13, s19, v13
	s_load_b32 s4, s[0:1], 0x0
	s_delay_alu instid0(VALU_DEP_1) | instskip(SKIP_2) | instid1(VALU_DEP_3)
	v_ashrrev_i32_e32 v4, 31, v13
	v_mul_lo_u32 v7, v13, s7
	v_mad_u64_u32 v[5:6], null, v13, s6, 0
	v_mul_lo_u32 v4, v4, s6
	s_delay_alu instid0(VALU_DEP_1) | instskip(SKIP_1) | instid1(VALU_DEP_2)
	v_add3_u32 v6, v6, v7, v4
	v_add_nc_u32_e32 v4, s18, v12
	v_lshlrev_b64 v[5:6], 3, v[5:6]
	s_delay_alu instid0(VALU_DEP_2) | instskip(SKIP_2) | instid1(VALU_DEP_3)
	v_cmp_le_i32_e64 s0, v13, v4
	s_waitcnt lgkmcnt(0)
	v_cmp_gt_i32_e32 vcc_lo, s4, v4
	v_add_co_u32 v12, s1, s2, v5
	s_delay_alu instid0(VALU_DEP_1) | instskip(SKIP_1) | instid1(SALU_CYCLE_1)
	v_add_co_ci_u32_e64 v14, s1, s3, v6, s1
	s_and_b32 s0, s0, vcc_lo
	s_and_saveexec_b32 s1, s0
	s_cbranch_execz .LBB1477_5
; %bb.4:
	v_ashrrev_i32_e32 v5, 31, v4
	s_delay_alu instid0(VALU_DEP_1) | instskip(NEXT) | instid1(VALU_DEP_1)
	v_lshlrev_b64 v[5:6], 3, v[4:5]
	v_add_co_u32 v5, s0, v12, v5
	s_delay_alu instid0(VALU_DEP_1)
	v_add_co_ci_u32_e64 v6, s0, v14, v6, s0
	global_store_b64 v[5:6], v[10:11], off
.LBB1477_5:
	s_or_b32 exec_lo, exec_lo, s1
	v_add_nc_u32_e32 v6, 16, v4
	s_delay_alu instid0(VALU_DEP_1) | instskip(SKIP_1) | instid1(VALU_DEP_1)
	v_cmp_le_i32_e64 s1, v13, v6
	v_cmp_gt_i32_e64 s0, s4, v6
	s_and_b32 s1, s1, s0
	s_delay_alu instid0(SALU_CYCLE_1)
	s_and_saveexec_b32 s4, s1
	s_cbranch_execz .LBB1477_7
; %bb.6:
	v_ashrrev_i32_e32 v7, 31, v6
	s_delay_alu instid0(VALU_DEP_1) | instskip(NEXT) | instid1(VALU_DEP_1)
	v_lshlrev_b64 v[10:11], 3, v[6:7]
	v_add_co_u32 v10, s1, v12, v10
	s_delay_alu instid0(VALU_DEP_1)
	v_add_co_ci_u32_e64 v11, s1, v14, v11, s1
	global_store_b64 v[10:11], v[8:9], off
.LBB1477_7:
	s_or_b32 exec_lo, exec_lo, s4
	v_add_nc_u32_e32 v7, 16, v13
	s_delay_alu instid0(VALU_DEP_1) | instskip(SKIP_3) | instid1(VALU_DEP_4)
	v_ashrrev_i32_e32 v5, 31, v7
	v_mul_lo_u32 v10, v7, s7
	v_mad_u64_u32 v[8:9], null, v7, s6, 0
	v_cmp_le_i32_e64 s1, v7, v4
	v_mul_lo_u32 v5, v5, s6
	s_delay_alu instid0(VALU_DEP_1) | instskip(NEXT) | instid1(VALU_DEP_1)
	v_add3_u32 v9, v9, v10, v5
	v_lshlrev_b64 v[8:9], 3, v[8:9]
	s_delay_alu instid0(VALU_DEP_1) | instskip(NEXT) | instid1(VALU_DEP_1)
	v_add_co_u32 v8, s2, s2, v8
	v_add_co_ci_u32_e64 v9, s2, s3, v9, s2
	s_and_b32 s2, s1, vcc_lo
	s_delay_alu instid0(SALU_CYCLE_1)
	s_and_saveexec_b32 s1, s2
	s_cbranch_execz .LBB1477_9
; %bb.8:
	v_ashrrev_i32_e32 v5, 31, v4
	s_delay_alu instid0(VALU_DEP_1) | instskip(NEXT) | instid1(VALU_DEP_1)
	v_lshlrev_b64 v[4:5], 3, v[4:5]
	v_add_co_u32 v4, vcc_lo, v8, v4
	s_delay_alu instid0(VALU_DEP_2)
	v_add_co_ci_u32_e32 v5, vcc_lo, v9, v5, vcc_lo
	global_store_b64 v[4:5], v[2:3], off
.LBB1477_9:
	s_or_b32 exec_lo, exec_lo, s1
	v_cmp_le_i32_e32 vcc_lo, v7, v6
	s_and_b32 s0, vcc_lo, s0
	s_delay_alu instid0(SALU_CYCLE_1)
	s_and_saveexec_b32 s1, s0
	s_cbranch_execz .LBB1477_11
; %bb.10:
	v_ashrrev_i32_e32 v7, 31, v6
	s_delay_alu instid0(VALU_DEP_1) | instskip(NEXT) | instid1(VALU_DEP_1)
	v_lshlrev_b64 v[2:3], 3, v[6:7]
	v_add_co_u32 v2, vcc_lo, v8, v2
	s_delay_alu instid0(VALU_DEP_2)
	v_add_co_ci_u32_e32 v3, vcc_lo, v9, v3, vcc_lo
	global_store_b64 v[2:3], v[0:1], off
.LBB1477_11:
	s_nop 0
	s_sendmsg sendmsg(MSG_DEALLOC_VGPRS)
	s_endpgm
	.section	.rodata,"a",@progbits
	.p2align	6, 0x0
	.amdhsa_kernel _ZL37rocblas_syrkx_herkx_restricted_kernelIldLi16ELi32ELi8ELi1ELi0ELb0ELc84ELc76EKPKdKPdEviT_PT9_S5_lS7_S5_lPT10_S5_li
		.amdhsa_group_segment_fixed_size 4096
		.amdhsa_private_segment_fixed_size 0
		.amdhsa_kernarg_size 92
		.amdhsa_user_sgpr_count 13
		.amdhsa_user_sgpr_dispatch_ptr 0
		.amdhsa_user_sgpr_queue_ptr 0
		.amdhsa_user_sgpr_kernarg_segment_ptr 1
		.amdhsa_user_sgpr_dispatch_id 0
		.amdhsa_user_sgpr_private_segment_size 0
		.amdhsa_wavefront_size32 1
		.amdhsa_uses_dynamic_stack 0
		.amdhsa_enable_private_segment 0
		.amdhsa_system_sgpr_workgroup_id_x 1
		.amdhsa_system_sgpr_workgroup_id_y 1
		.amdhsa_system_sgpr_workgroup_id_z 1
		.amdhsa_system_sgpr_workgroup_info 0
		.amdhsa_system_vgpr_workitem_id 1
		.amdhsa_next_free_vgpr 38
		.amdhsa_next_free_sgpr 20
		.amdhsa_reserve_vcc 1
		.amdhsa_float_round_mode_32 0
		.amdhsa_float_round_mode_16_64 0
		.amdhsa_float_denorm_mode_32 3
		.amdhsa_float_denorm_mode_16_64 3
		.amdhsa_dx10_clamp 1
		.amdhsa_ieee_mode 1
		.amdhsa_fp16_overflow 0
		.amdhsa_workgroup_processor_mode 1
		.amdhsa_memory_ordered 1
		.amdhsa_forward_progress 0
		.amdhsa_shared_vgpr_count 0
		.amdhsa_exception_fp_ieee_invalid_op 0
		.amdhsa_exception_fp_denorm_src 0
		.amdhsa_exception_fp_ieee_div_zero 0
		.amdhsa_exception_fp_ieee_overflow 0
		.amdhsa_exception_fp_ieee_underflow 0
		.amdhsa_exception_fp_ieee_inexact 0
		.amdhsa_exception_int_div_zero 0
	.end_amdhsa_kernel
	.section	.text._ZL37rocblas_syrkx_herkx_restricted_kernelIldLi16ELi32ELi8ELi1ELi0ELb0ELc84ELc76EKPKdKPdEviT_PT9_S5_lS7_S5_lPT10_S5_li,"axG",@progbits,_ZL37rocblas_syrkx_herkx_restricted_kernelIldLi16ELi32ELi8ELi1ELi0ELb0ELc84ELc76EKPKdKPdEviT_PT9_S5_lS7_S5_lPT10_S5_li,comdat
.Lfunc_end1477:
	.size	_ZL37rocblas_syrkx_herkx_restricted_kernelIldLi16ELi32ELi8ELi1ELi0ELb0ELc84ELc76EKPKdKPdEviT_PT9_S5_lS7_S5_lPT10_S5_li, .Lfunc_end1477-_ZL37rocblas_syrkx_herkx_restricted_kernelIldLi16ELi32ELi8ELi1ELi0ELb0ELc84ELc76EKPKdKPdEviT_PT9_S5_lS7_S5_lPT10_S5_li
                                        ; -- End function
	.section	.AMDGPU.csdata,"",@progbits
; Kernel info:
; codeLenInByte = 1460
; NumSgprs: 22
; NumVgprs: 38
; ScratchSize: 0
; MemoryBound: 0
; FloatMode: 240
; IeeeMode: 1
; LDSByteSize: 4096 bytes/workgroup (compile time only)
; SGPRBlocks: 2
; VGPRBlocks: 4
; NumSGPRsForWavesPerEU: 22
; NumVGPRsForWavesPerEU: 38
; Occupancy: 16
; WaveLimiterHint : 1
; COMPUTE_PGM_RSRC2:SCRATCH_EN: 0
; COMPUTE_PGM_RSRC2:USER_SGPR: 13
; COMPUTE_PGM_RSRC2:TRAP_HANDLER: 0
; COMPUTE_PGM_RSRC2:TGID_X_EN: 1
; COMPUTE_PGM_RSRC2:TGID_Y_EN: 1
; COMPUTE_PGM_RSRC2:TGID_Z_EN: 1
; COMPUTE_PGM_RSRC2:TIDIG_COMP_CNT: 1
	.section	.text._ZL37rocblas_syrkx_herkx_restricted_kernelIldLi16ELi32ELi8ELi1ELi0ELb0ELc67ELc76EKPKdKPdEviT_PT9_S5_lS7_S5_lPT10_S5_li,"axG",@progbits,_ZL37rocblas_syrkx_herkx_restricted_kernelIldLi16ELi32ELi8ELi1ELi0ELb0ELc67ELc76EKPKdKPdEviT_PT9_S5_lS7_S5_lPT10_S5_li,comdat
	.globl	_ZL37rocblas_syrkx_herkx_restricted_kernelIldLi16ELi32ELi8ELi1ELi0ELb0ELc67ELc76EKPKdKPdEviT_PT9_S5_lS7_S5_lPT10_S5_li ; -- Begin function _ZL37rocblas_syrkx_herkx_restricted_kernelIldLi16ELi32ELi8ELi1ELi0ELb0ELc67ELc76EKPKdKPdEviT_PT9_S5_lS7_S5_lPT10_S5_li
	.p2align	8
	.type	_ZL37rocblas_syrkx_herkx_restricted_kernelIldLi16ELi32ELi8ELi1ELi0ELb0ELc67ELc76EKPKdKPdEviT_PT9_S5_lS7_S5_lPT10_S5_li,@function
_ZL37rocblas_syrkx_herkx_restricted_kernelIldLi16ELi32ELi8ELi1ELi0ELb0ELc67ELc76EKPKdKPdEviT_PT9_S5_lS7_S5_lPT10_S5_li: ; @_ZL37rocblas_syrkx_herkx_restricted_kernelIldLi16ELi32ELi8ELi1ELi0ELb0ELc67ELc76EKPKdKPdEviT_PT9_S5_lS7_S5_lPT10_S5_li
; %bb.0:
	s_clause 0x1
	s_load_b128 s[4:7], s[0:1], 0x40
	s_load_b128 s[8:11], s[0:1], 0x8
	s_mov_b32 s2, s15
	s_mov_b32 s3, 0
	v_mov_b32_e32 v10, 0
	s_lshl_b64 s[16:17], s[2:3], 3
	v_dual_mov_b32 v11, 0 :: v_dual_and_b32 v12, 0x3ff, v0
	v_bfe_u32 v13, v0, 10, 10
	s_delay_alu instid0(VALU_DEP_3) | instskip(NEXT) | instid1(VALU_DEP_3)
	v_mov_b32_e32 v8, v10
	v_dual_mov_b32 v2, v10 :: v_dual_mov_b32 v3, v11
	v_dual_mov_b32 v9, v11 :: v_dual_mov_b32 v0, v10
	v_mov_b32_e32 v1, v11
	s_waitcnt lgkmcnt(0)
	s_add_u32 s2, s4, s16
	s_addc_u32 s3, s5, s17
	v_cmp_lt_i64_e64 s4, s[8:9], 1
	s_load_b64 s[2:3], s[2:3], 0x0
	s_lshl_b32 s18, s13, 5
	s_lshl_b32 s19, s14, 5
	s_delay_alu instid0(VALU_DEP_1)
	s_and_b32 vcc_lo, exec_lo, s4
	s_cbranch_vccnz .LBB1478_3
; %bb.1:
	s_clause 0x1
	s_load_b128 s[12:15], s[0:1], 0x28
	s_load_b64 s[4:5], s[0:1], 0x18
	v_lshl_add_u32 v2, v13, 4, v12
	v_dual_mov_b32 v1, 0 :: v_dual_and_b32 v0, 7, v12
	s_add_u32 s10, s10, s16
	s_addc_u32 s11, s11, s17
	s_delay_alu instid0(VALU_DEP_2)
	v_lshrrev_b32_e32 v8, 3, v2
	v_and_b32_e32 v9, 31, v2
	v_lshrrev_b32_e32 v2, 5, v2
	v_mov_b32_e32 v3, v1
	s_load_b64 s[10:11], s[10:11], 0x0
	v_add_nc_u32_e32 v10, s19, v8
	v_add_nc_u32_e32 v6, s18, v9
	v_lshl_add_u32 v17, v13, 6, 0x800
	s_delay_alu instid0(VALU_DEP_3) | instskip(NEXT) | instid1(VALU_DEP_3)
	v_ashrrev_i32_e32 v4, 31, v10
	v_ashrrev_i32_e32 v5, 31, v6
	s_waitcnt lgkmcnt(0)
	s_add_u32 s12, s12, s16
	s_addc_u32 s13, s13, s17
	v_mul_lo_u32 v11, v4, s14
	v_mul_lo_u32 v15, s4, v5
	v_mad_u64_u32 v[4:5], null, s4, v6, v[2:3]
	v_mul_lo_u32 v3, s5, v6
	s_load_b64 s[4:5], s[12:13], 0x0
	v_mul_lo_u32 v14, v10, s15
	v_mad_u64_u32 v[6:7], null, v10, s14, v[0:1]
	v_lshlrev_b32_e32 v0, 3, v0
	v_lshlrev_b32_e32 v1, 3, v9
	v_add3_u32 v5, v3, v5, v15
	s_delay_alu instid0(VALU_DEP_3) | instskip(SKIP_1) | instid1(VALU_DEP_4)
	v_lshl_or_b32 v0, v8, 6, v0
	v_add3_u32 v7, v11, v7, v14
	v_lshl_or_b32 v14, v2, 8, v1
	s_delay_alu instid0(VALU_DEP_4) | instskip(NEXT) | instid1(VALU_DEP_4)
	v_lshlrev_b64 v[2:3], 3, v[4:5]
	v_add_nc_u32_e32 v15, 0x800, v0
	s_delay_alu instid0(VALU_DEP_4)
	v_lshlrev_b64 v[6:7], 3, v[6:7]
	v_mov_b32_e32 v0, 0
	v_mov_b32_e32 v1, 0
	v_add_co_u32 v4, vcc_lo, s10, v2
	v_add_co_ci_u32_e32 v5, vcc_lo, s11, v3, vcc_lo
	s_waitcnt lgkmcnt(0)
	v_add_co_u32 v6, vcc_lo, s4, v6
	v_dual_mov_b32 v3, v1 :: v_dual_lshlrev_b32 v16, 3, v12
	v_add_co_ci_u32_e32 v7, vcc_lo, s5, v7, vcc_lo
	v_dual_mov_b32 v2, v0 :: v_dual_mov_b32 v9, v1
	v_dual_mov_b32 v8, v0 :: v_dual_mov_b32 v11, v1
	v_mov_b32_e32 v10, v0
	s_mov_b64 s[4:5], 0
.LBB1478_2:                             ; =>This Inner Loop Header: Depth=1
	global_load_b64 v[18:19], v[4:5], off
	global_load_b64 v[20:21], v[6:7], off
	s_add_u32 s4, s4, 8
	v_add_co_u32 v4, vcc_lo, v4, 64
	s_addc_u32 s5, s5, 0
	v_add_co_ci_u32_e32 v5, vcc_lo, 0, v5, vcc_lo
	v_cmp_ge_u64_e64 s10, s[4:5], s[8:9]
	v_add_co_u32 v6, vcc_lo, v6, 64
	v_add_co_ci_u32_e32 v7, vcc_lo, 0, v7, vcc_lo
	s_waitcnt vmcnt(1)
	ds_store_b64 v14, v[18:19]
	s_waitcnt vmcnt(0)
	ds_store_b64 v15, v[20:21]
	s_waitcnt lgkmcnt(0)
	s_barrier
	buffer_gl0_inv
	ds_load_2addr_b64 v[18:21], v16 offset1:16
	ds_load_b128 v[22:25], v17
	ds_load_b128 v[26:29], v17 offset:1024
	ds_load_b128 v[30:33], v17 offset:16
	ds_load_b128 v[34:37], v17 offset:1040
	s_and_b32 vcc_lo, exec_lo, s10
	s_waitcnt lgkmcnt(3)
	v_fma_f64 v[10:11], v[18:19], v[22:23], v[10:11]
	v_fma_f64 v[8:9], v[20:21], v[22:23], v[8:9]
	s_waitcnt lgkmcnt(2)
	v_fma_f64 v[18:19], v[18:19], v[26:27], v[2:3]
	v_fma_f64 v[20:21], v[20:21], v[26:27], v[0:1]
	ds_load_2addr_b64 v[0:3], v16 offset0:32 offset1:48
	s_waitcnt lgkmcnt(0)
	v_fma_f64 v[10:11], v[0:1], v[24:25], v[10:11]
	v_fma_f64 v[8:9], v[2:3], v[24:25], v[8:9]
	v_fma_f64 v[18:19], v[0:1], v[28:29], v[18:19]
	v_fma_f64 v[20:21], v[2:3], v[28:29], v[20:21]
	ds_load_2addr_b64 v[0:3], v16 offset0:64 offset1:80
	s_waitcnt lgkmcnt(0)
	v_fma_f64 v[10:11], v[0:1], v[30:31], v[10:11]
	v_fma_f64 v[8:9], v[2:3], v[30:31], v[8:9]
	;; [unrolled: 6-line block ×3, first 2 shown]
	v_fma_f64 v[34:35], v[0:1], v[36:37], v[18:19]
	v_fma_f64 v[36:37], v[2:3], v[36:37], v[20:21]
	ds_load_2addr_b64 v[0:3], v16 offset0:128 offset1:144
	ds_load_b128 v[8:11], v17 offset:32
	ds_load_b128 v[18:21], v17 offset:1056
	;; [unrolled: 1-line block ×4, first 2 shown]
	s_waitcnt lgkmcnt(3)
	v_fma_f64 v[30:31], v[0:1], v[8:9], v[30:31]
	v_fma_f64 v[8:9], v[2:3], v[8:9], v[32:33]
	s_waitcnt lgkmcnt(2)
	v_fma_f64 v[32:33], v[0:1], v[18:19], v[34:35]
	v_fma_f64 v[18:19], v[2:3], v[18:19], v[36:37]
	ds_load_2addr_b64 v[0:3], v16 offset0:160 offset1:176
	s_waitcnt lgkmcnt(0)
	v_fma_f64 v[30:31], v[0:1], v[10:11], v[30:31]
	v_fma_f64 v[8:9], v[2:3], v[10:11], v[8:9]
	;; [unrolled: 1-line block ×4, first 2 shown]
	ds_load_2addr_b64 v[0:3], v16 offset0:192 offset1:208
	s_waitcnt lgkmcnt(0)
	v_fma_f64 v[30:31], v[0:1], v[22:23], v[30:31]
	v_fma_f64 v[8:9], v[2:3], v[22:23], v[8:9]
	;; [unrolled: 1-line block ×4, first 2 shown]
	ds_load_2addr_b64 v[18:21], v16 offset0:224 offset1:240
	s_waitcnt lgkmcnt(0)
	s_barrier
	buffer_gl0_inv
	v_fma_f64 v[10:11], v[18:19], v[24:25], v[30:31]
	v_fma_f64 v[8:9], v[20:21], v[24:25], v[8:9]
	v_fma_f64 v[2:3], v[18:19], v[28:29], v[0:1]
	v_fma_f64 v[0:1], v[20:21], v[28:29], v[22:23]
	s_cbranch_vccz .LBB1478_2
.LBB1478_3:
	v_add_nc_u32_e32 v13, s19, v13
	s_load_b32 s4, s[0:1], 0x0
	s_delay_alu instid0(VALU_DEP_1) | instskip(SKIP_2) | instid1(VALU_DEP_3)
	v_ashrrev_i32_e32 v4, 31, v13
	v_mul_lo_u32 v7, v13, s7
	v_mad_u64_u32 v[5:6], null, v13, s6, 0
	v_mul_lo_u32 v4, v4, s6
	s_delay_alu instid0(VALU_DEP_1) | instskip(SKIP_1) | instid1(VALU_DEP_2)
	v_add3_u32 v6, v6, v7, v4
	v_add_nc_u32_e32 v4, s18, v12
	v_lshlrev_b64 v[5:6], 3, v[5:6]
	s_delay_alu instid0(VALU_DEP_2) | instskip(SKIP_2) | instid1(VALU_DEP_3)
	v_cmp_le_i32_e64 s0, v13, v4
	s_waitcnt lgkmcnt(0)
	v_cmp_gt_i32_e32 vcc_lo, s4, v4
	v_add_co_u32 v12, s1, s2, v5
	s_delay_alu instid0(VALU_DEP_1) | instskip(SKIP_1) | instid1(SALU_CYCLE_1)
	v_add_co_ci_u32_e64 v14, s1, s3, v6, s1
	s_and_b32 s0, s0, vcc_lo
	s_and_saveexec_b32 s1, s0
	s_cbranch_execz .LBB1478_5
; %bb.4:
	v_ashrrev_i32_e32 v5, 31, v4
	s_delay_alu instid0(VALU_DEP_1) | instskip(NEXT) | instid1(VALU_DEP_1)
	v_lshlrev_b64 v[5:6], 3, v[4:5]
	v_add_co_u32 v5, s0, v12, v5
	s_delay_alu instid0(VALU_DEP_1)
	v_add_co_ci_u32_e64 v6, s0, v14, v6, s0
	global_store_b64 v[5:6], v[10:11], off
.LBB1478_5:
	s_or_b32 exec_lo, exec_lo, s1
	v_add_nc_u32_e32 v6, 16, v4
	s_delay_alu instid0(VALU_DEP_1) | instskip(SKIP_1) | instid1(VALU_DEP_1)
	v_cmp_le_i32_e64 s1, v13, v6
	v_cmp_gt_i32_e64 s0, s4, v6
	s_and_b32 s1, s1, s0
	s_delay_alu instid0(SALU_CYCLE_1)
	s_and_saveexec_b32 s4, s1
	s_cbranch_execz .LBB1478_7
; %bb.6:
	v_ashrrev_i32_e32 v7, 31, v6
	s_delay_alu instid0(VALU_DEP_1) | instskip(NEXT) | instid1(VALU_DEP_1)
	v_lshlrev_b64 v[10:11], 3, v[6:7]
	v_add_co_u32 v10, s1, v12, v10
	s_delay_alu instid0(VALU_DEP_1)
	v_add_co_ci_u32_e64 v11, s1, v14, v11, s1
	global_store_b64 v[10:11], v[8:9], off
.LBB1478_7:
	s_or_b32 exec_lo, exec_lo, s4
	v_add_nc_u32_e32 v7, 16, v13
	s_delay_alu instid0(VALU_DEP_1) | instskip(SKIP_3) | instid1(VALU_DEP_4)
	v_ashrrev_i32_e32 v5, 31, v7
	v_mul_lo_u32 v10, v7, s7
	v_mad_u64_u32 v[8:9], null, v7, s6, 0
	v_cmp_le_i32_e64 s1, v7, v4
	v_mul_lo_u32 v5, v5, s6
	s_delay_alu instid0(VALU_DEP_1) | instskip(NEXT) | instid1(VALU_DEP_1)
	v_add3_u32 v9, v9, v10, v5
	v_lshlrev_b64 v[8:9], 3, v[8:9]
	s_delay_alu instid0(VALU_DEP_1) | instskip(NEXT) | instid1(VALU_DEP_1)
	v_add_co_u32 v8, s2, s2, v8
	v_add_co_ci_u32_e64 v9, s2, s3, v9, s2
	s_and_b32 s2, s1, vcc_lo
	s_delay_alu instid0(SALU_CYCLE_1)
	s_and_saveexec_b32 s1, s2
	s_cbranch_execz .LBB1478_9
; %bb.8:
	v_ashrrev_i32_e32 v5, 31, v4
	s_delay_alu instid0(VALU_DEP_1) | instskip(NEXT) | instid1(VALU_DEP_1)
	v_lshlrev_b64 v[4:5], 3, v[4:5]
	v_add_co_u32 v4, vcc_lo, v8, v4
	s_delay_alu instid0(VALU_DEP_2)
	v_add_co_ci_u32_e32 v5, vcc_lo, v9, v5, vcc_lo
	global_store_b64 v[4:5], v[2:3], off
.LBB1478_9:
	s_or_b32 exec_lo, exec_lo, s1
	v_cmp_le_i32_e32 vcc_lo, v7, v6
	s_and_b32 s0, vcc_lo, s0
	s_delay_alu instid0(SALU_CYCLE_1)
	s_and_saveexec_b32 s1, s0
	s_cbranch_execz .LBB1478_11
; %bb.10:
	v_ashrrev_i32_e32 v7, 31, v6
	s_delay_alu instid0(VALU_DEP_1) | instskip(NEXT) | instid1(VALU_DEP_1)
	v_lshlrev_b64 v[2:3], 3, v[6:7]
	v_add_co_u32 v2, vcc_lo, v8, v2
	s_delay_alu instid0(VALU_DEP_2)
	v_add_co_ci_u32_e32 v3, vcc_lo, v9, v3, vcc_lo
	global_store_b64 v[2:3], v[0:1], off
.LBB1478_11:
	s_nop 0
	s_sendmsg sendmsg(MSG_DEALLOC_VGPRS)
	s_endpgm
	.section	.rodata,"a",@progbits
	.p2align	6, 0x0
	.amdhsa_kernel _ZL37rocblas_syrkx_herkx_restricted_kernelIldLi16ELi32ELi8ELi1ELi0ELb0ELc67ELc76EKPKdKPdEviT_PT9_S5_lS7_S5_lPT10_S5_li
		.amdhsa_group_segment_fixed_size 4096
		.amdhsa_private_segment_fixed_size 0
		.amdhsa_kernarg_size 92
		.amdhsa_user_sgpr_count 13
		.amdhsa_user_sgpr_dispatch_ptr 0
		.amdhsa_user_sgpr_queue_ptr 0
		.amdhsa_user_sgpr_kernarg_segment_ptr 1
		.amdhsa_user_sgpr_dispatch_id 0
		.amdhsa_user_sgpr_private_segment_size 0
		.amdhsa_wavefront_size32 1
		.amdhsa_uses_dynamic_stack 0
		.amdhsa_enable_private_segment 0
		.amdhsa_system_sgpr_workgroup_id_x 1
		.amdhsa_system_sgpr_workgroup_id_y 1
		.amdhsa_system_sgpr_workgroup_id_z 1
		.amdhsa_system_sgpr_workgroup_info 0
		.amdhsa_system_vgpr_workitem_id 1
		.amdhsa_next_free_vgpr 38
		.amdhsa_next_free_sgpr 20
		.amdhsa_reserve_vcc 1
		.amdhsa_float_round_mode_32 0
		.amdhsa_float_round_mode_16_64 0
		.amdhsa_float_denorm_mode_32 3
		.amdhsa_float_denorm_mode_16_64 3
		.amdhsa_dx10_clamp 1
		.amdhsa_ieee_mode 1
		.amdhsa_fp16_overflow 0
		.amdhsa_workgroup_processor_mode 1
		.amdhsa_memory_ordered 1
		.amdhsa_forward_progress 0
		.amdhsa_shared_vgpr_count 0
		.amdhsa_exception_fp_ieee_invalid_op 0
		.amdhsa_exception_fp_denorm_src 0
		.amdhsa_exception_fp_ieee_div_zero 0
		.amdhsa_exception_fp_ieee_overflow 0
		.amdhsa_exception_fp_ieee_underflow 0
		.amdhsa_exception_fp_ieee_inexact 0
		.amdhsa_exception_int_div_zero 0
	.end_amdhsa_kernel
	.section	.text._ZL37rocblas_syrkx_herkx_restricted_kernelIldLi16ELi32ELi8ELi1ELi0ELb0ELc67ELc76EKPKdKPdEviT_PT9_S5_lS7_S5_lPT10_S5_li,"axG",@progbits,_ZL37rocblas_syrkx_herkx_restricted_kernelIldLi16ELi32ELi8ELi1ELi0ELb0ELc67ELc76EKPKdKPdEviT_PT9_S5_lS7_S5_lPT10_S5_li,comdat
.Lfunc_end1478:
	.size	_ZL37rocblas_syrkx_herkx_restricted_kernelIldLi16ELi32ELi8ELi1ELi0ELb0ELc67ELc76EKPKdKPdEviT_PT9_S5_lS7_S5_lPT10_S5_li, .Lfunc_end1478-_ZL37rocblas_syrkx_herkx_restricted_kernelIldLi16ELi32ELi8ELi1ELi0ELb0ELc67ELc76EKPKdKPdEviT_PT9_S5_lS7_S5_lPT10_S5_li
                                        ; -- End function
	.section	.AMDGPU.csdata,"",@progbits
; Kernel info:
; codeLenInByte = 1460
; NumSgprs: 22
; NumVgprs: 38
; ScratchSize: 0
; MemoryBound: 0
; FloatMode: 240
; IeeeMode: 1
; LDSByteSize: 4096 bytes/workgroup (compile time only)
; SGPRBlocks: 2
; VGPRBlocks: 4
; NumSGPRsForWavesPerEU: 22
; NumVGPRsForWavesPerEU: 38
; Occupancy: 16
; WaveLimiterHint : 1
; COMPUTE_PGM_RSRC2:SCRATCH_EN: 0
; COMPUTE_PGM_RSRC2:USER_SGPR: 13
; COMPUTE_PGM_RSRC2:TRAP_HANDLER: 0
; COMPUTE_PGM_RSRC2:TGID_X_EN: 1
; COMPUTE_PGM_RSRC2:TGID_Y_EN: 1
; COMPUTE_PGM_RSRC2:TGID_Z_EN: 1
; COMPUTE_PGM_RSRC2:TIDIG_COMP_CNT: 1
	.section	.text._ZL37rocblas_syrkx_herkx_restricted_kernelIldLi16ELi32ELi8ELi1ELi0ELb0ELc78ELc76EKPKdKPdEviT_PT9_S5_lS7_S5_lPT10_S5_li,"axG",@progbits,_ZL37rocblas_syrkx_herkx_restricted_kernelIldLi16ELi32ELi8ELi1ELi0ELb0ELc78ELc76EKPKdKPdEviT_PT9_S5_lS7_S5_lPT10_S5_li,comdat
	.globl	_ZL37rocblas_syrkx_herkx_restricted_kernelIldLi16ELi32ELi8ELi1ELi0ELb0ELc78ELc76EKPKdKPdEviT_PT9_S5_lS7_S5_lPT10_S5_li ; -- Begin function _ZL37rocblas_syrkx_herkx_restricted_kernelIldLi16ELi32ELi8ELi1ELi0ELb0ELc78ELc76EKPKdKPdEviT_PT9_S5_lS7_S5_lPT10_S5_li
	.p2align	8
	.type	_ZL37rocblas_syrkx_herkx_restricted_kernelIldLi16ELi32ELi8ELi1ELi0ELb0ELc78ELc76EKPKdKPdEviT_PT9_S5_lS7_S5_lPT10_S5_li,@function
_ZL37rocblas_syrkx_herkx_restricted_kernelIldLi16ELi32ELi8ELi1ELi0ELb0ELc78ELc76EKPKdKPdEviT_PT9_S5_lS7_S5_lPT10_S5_li: ; @_ZL37rocblas_syrkx_herkx_restricted_kernelIldLi16ELi32ELi8ELi1ELi0ELb0ELc78ELc76EKPKdKPdEviT_PT9_S5_lS7_S5_lPT10_S5_li
; %bb.0:
	s_clause 0x1
	s_load_b128 s[4:7], s[0:1], 0x40
	s_load_b128 s[8:11], s[0:1], 0x8
	s_mov_b32 s2, s15
	s_mov_b32 s3, 0
	v_mov_b32_e32 v10, 0
	s_lshl_b64 s[16:17], s[2:3], 3
	v_dual_mov_b32 v11, 0 :: v_dual_and_b32 v12, 0x3ff, v0
	v_bfe_u32 v13, v0, 10, 10
	s_delay_alu instid0(VALU_DEP_3) | instskip(NEXT) | instid1(VALU_DEP_3)
	v_mov_b32_e32 v8, v10
	v_dual_mov_b32 v2, v10 :: v_dual_mov_b32 v3, v11
	v_dual_mov_b32 v9, v11 :: v_dual_mov_b32 v0, v10
	v_mov_b32_e32 v1, v11
	s_waitcnt lgkmcnt(0)
	s_add_u32 s2, s4, s16
	s_addc_u32 s3, s5, s17
	v_cmp_lt_i64_e64 s4, s[8:9], 1
	s_load_b64 s[2:3], s[2:3], 0x0
	s_lshl_b32 s18, s13, 5
	s_lshl_b32 s19, s14, 5
	s_delay_alu instid0(VALU_DEP_1)
	s_and_b32 vcc_lo, exec_lo, s4
	s_cbranch_vccnz .LBB1479_3
; %bb.1:
	v_lshl_add_u32 v1, v13, 4, v12
	s_clause 0x1
	s_load_b64 s[4:5], s[0:1], 0x18
	s_load_b128 s[12:15], s[0:1], 0x28
	s_add_u32 s10, s10, s16
	s_addc_u32 s11, s11, s17
	s_load_b64 s[10:11], s[10:11], 0x0
	v_and_b32_e32 v10, 31, v1
	v_lshrrev_b32_e32 v11, 3, v1
	v_lshrrev_b32_e32 v16, 5, v1
	s_delay_alu instid0(VALU_DEP_3) | instskip(NEXT) | instid1(VALU_DEP_3)
	v_add_nc_u32_e32 v0, s18, v10
	v_add_nc_u32_e32 v2, s19, v11
	s_delay_alu instid0(VALU_DEP_2) | instskip(NEXT) | instid1(VALU_DEP_2)
	v_ashrrev_i32_e32 v1, 31, v0
	v_ashrrev_i32_e32 v3, 31, v2
	s_waitcnt lgkmcnt(0)
	s_delay_alu instid0(VALU_DEP_2) | instskip(SKIP_4) | instid1(VALU_DEP_2)
	v_mad_u64_u32 v[4:5], null, v16, s4, v[0:1]
	v_and_b32_e32 v15, 7, v12
	s_add_u32 s12, s12, s16
	s_addc_u32 s13, s13, s17
	s_load_b64 s[12:13], s[12:13], 0x0
	v_mov_b32_e32 v0, v5
	v_mad_u64_u32 v[6:7], null, v15, s14, v[2:3]
	s_delay_alu instid0(VALU_DEP_1) | instskip(NEXT) | instid1(VALU_DEP_3)
	v_mov_b32_e32 v2, v7
	v_mad_u64_u32 v[7:8], null, v16, s5, v[0:1]
	s_lshl_b64 s[4:5], s[4:5], 6
	s_delay_alu instid0(VALU_DEP_2) | instskip(SKIP_2) | instid1(VALU_DEP_4)
	v_mad_u64_u32 v[8:9], null, v15, s15, v[2:3]
	v_lshlrev_b32_e32 v9, 3, v15
	v_lshl_add_u32 v15, v13, 6, 0x800
	v_mov_b32_e32 v5, v7
	s_delay_alu instid0(VALU_DEP_3) | instskip(SKIP_1) | instid1(VALU_DEP_3)
	v_lshl_or_b32 v11, v11, 6, v9
	v_mov_b32_e32 v7, v8
	v_lshlrev_b64 v[4:5], 3, v[4:5]
	v_mov_b32_e32 v0, 0
	v_mov_b32_e32 v1, 0
	v_add_nc_u32_e32 v17, 0x800, v11
	v_lshlrev_b64 v[6:7], 3, v[6:7]
	v_lshlrev_b32_e32 v10, 3, v10
	v_add_co_u32 v4, vcc_lo, s10, v4
	v_dual_mov_b32 v3, v1 :: v_dual_lshlrev_b32 v14, 3, v12
	v_add_co_ci_u32_e32 v5, vcc_lo, s11, v5, vcc_lo
	v_dual_mov_b32 v2, v0 :: v_dual_mov_b32 v9, v1
	s_waitcnt lgkmcnt(0)
	v_add_co_u32 v6, vcc_lo, s12, v6
	v_mov_b32_e32 v8, v0
	v_lshl_or_b32 v16, v16, 8, v10
	v_mov_b32_e32 v11, v1
	v_add_co_ci_u32_e32 v7, vcc_lo, s13, v7, vcc_lo
	v_mov_b32_e32 v10, v0
	s_lshl_b64 s[10:11], s[14:15], 6
	s_mov_b64 s[12:13], 0
.LBB1479_2:                             ; =>This Inner Loop Header: Depth=1
	global_load_b64 v[18:19], v[4:5], off
	global_load_b64 v[20:21], v[6:7], off
	s_add_u32 s12, s12, 8
	v_add_co_u32 v4, vcc_lo, v4, s4
	s_addc_u32 s13, s13, 0
	v_add_co_ci_u32_e32 v5, vcc_lo, s5, v5, vcc_lo
	v_cmp_ge_u64_e64 s14, s[12:13], s[8:9]
	v_add_co_u32 v6, vcc_lo, v6, s10
	v_add_co_ci_u32_e32 v7, vcc_lo, s11, v7, vcc_lo
	s_waitcnt vmcnt(1)
	ds_store_b64 v16, v[18:19]
	s_waitcnt vmcnt(0)
	ds_store_b64 v17, v[20:21]
	s_waitcnt lgkmcnt(0)
	s_barrier
	buffer_gl0_inv
	ds_load_2addr_b64 v[18:21], v14 offset1:16
	ds_load_b128 v[22:25], v15
	ds_load_b128 v[26:29], v15 offset:1024
	ds_load_b128 v[30:33], v15 offset:16
	;; [unrolled: 1-line block ×3, first 2 shown]
	s_and_b32 vcc_lo, exec_lo, s14
	s_waitcnt lgkmcnt(3)
	v_fma_f64 v[10:11], v[18:19], v[22:23], v[10:11]
	v_fma_f64 v[8:9], v[20:21], v[22:23], v[8:9]
	s_waitcnt lgkmcnt(2)
	v_fma_f64 v[18:19], v[18:19], v[26:27], v[2:3]
	v_fma_f64 v[20:21], v[20:21], v[26:27], v[0:1]
	ds_load_2addr_b64 v[0:3], v14 offset0:32 offset1:48
	s_waitcnt lgkmcnt(0)
	v_fma_f64 v[10:11], v[0:1], v[24:25], v[10:11]
	v_fma_f64 v[8:9], v[2:3], v[24:25], v[8:9]
	v_fma_f64 v[18:19], v[0:1], v[28:29], v[18:19]
	v_fma_f64 v[20:21], v[2:3], v[28:29], v[20:21]
	ds_load_2addr_b64 v[0:3], v14 offset0:64 offset1:80
	s_waitcnt lgkmcnt(0)
	v_fma_f64 v[10:11], v[0:1], v[30:31], v[10:11]
	v_fma_f64 v[8:9], v[2:3], v[30:31], v[8:9]
	;; [unrolled: 6-line block ×3, first 2 shown]
	v_fma_f64 v[34:35], v[0:1], v[36:37], v[18:19]
	v_fma_f64 v[36:37], v[2:3], v[36:37], v[20:21]
	ds_load_2addr_b64 v[0:3], v14 offset0:128 offset1:144
	ds_load_b128 v[8:11], v15 offset:32
	ds_load_b128 v[18:21], v15 offset:1056
	;; [unrolled: 1-line block ×4, first 2 shown]
	s_waitcnt lgkmcnt(3)
	v_fma_f64 v[30:31], v[0:1], v[8:9], v[30:31]
	v_fma_f64 v[8:9], v[2:3], v[8:9], v[32:33]
	s_waitcnt lgkmcnt(2)
	v_fma_f64 v[32:33], v[0:1], v[18:19], v[34:35]
	v_fma_f64 v[18:19], v[2:3], v[18:19], v[36:37]
	ds_load_2addr_b64 v[0:3], v14 offset0:160 offset1:176
	s_waitcnt lgkmcnt(0)
	v_fma_f64 v[30:31], v[0:1], v[10:11], v[30:31]
	v_fma_f64 v[8:9], v[2:3], v[10:11], v[8:9]
	;; [unrolled: 1-line block ×4, first 2 shown]
	ds_load_2addr_b64 v[0:3], v14 offset0:192 offset1:208
	s_waitcnt lgkmcnt(0)
	v_fma_f64 v[30:31], v[0:1], v[22:23], v[30:31]
	v_fma_f64 v[8:9], v[2:3], v[22:23], v[8:9]
	;; [unrolled: 1-line block ×4, first 2 shown]
	ds_load_2addr_b64 v[18:21], v14 offset0:224 offset1:240
	s_waitcnt lgkmcnt(0)
	s_barrier
	buffer_gl0_inv
	v_fma_f64 v[10:11], v[18:19], v[24:25], v[30:31]
	v_fma_f64 v[8:9], v[20:21], v[24:25], v[8:9]
	;; [unrolled: 1-line block ×4, first 2 shown]
	s_cbranch_vccz .LBB1479_2
.LBB1479_3:
	v_add_nc_u32_e32 v13, s19, v13
	s_load_b32 s4, s[0:1], 0x0
	s_delay_alu instid0(VALU_DEP_1) | instskip(SKIP_2) | instid1(VALU_DEP_3)
	v_ashrrev_i32_e32 v4, 31, v13
	v_mul_lo_u32 v7, v13, s7
	v_mad_u64_u32 v[5:6], null, v13, s6, 0
	v_mul_lo_u32 v4, v4, s6
	s_delay_alu instid0(VALU_DEP_1) | instskip(SKIP_1) | instid1(VALU_DEP_2)
	v_add3_u32 v6, v6, v7, v4
	v_add_nc_u32_e32 v4, s18, v12
	v_lshlrev_b64 v[5:6], 3, v[5:6]
	s_delay_alu instid0(VALU_DEP_2) | instskip(SKIP_2) | instid1(VALU_DEP_3)
	v_cmp_le_i32_e64 s0, v13, v4
	s_waitcnt lgkmcnt(0)
	v_cmp_gt_i32_e32 vcc_lo, s4, v4
	v_add_co_u32 v12, s1, s2, v5
	s_delay_alu instid0(VALU_DEP_1) | instskip(SKIP_1) | instid1(SALU_CYCLE_1)
	v_add_co_ci_u32_e64 v14, s1, s3, v6, s1
	s_and_b32 s0, s0, vcc_lo
	s_and_saveexec_b32 s1, s0
	s_cbranch_execz .LBB1479_5
; %bb.4:
	v_ashrrev_i32_e32 v5, 31, v4
	s_delay_alu instid0(VALU_DEP_1) | instskip(NEXT) | instid1(VALU_DEP_1)
	v_lshlrev_b64 v[5:6], 3, v[4:5]
	v_add_co_u32 v5, s0, v12, v5
	s_delay_alu instid0(VALU_DEP_1)
	v_add_co_ci_u32_e64 v6, s0, v14, v6, s0
	global_store_b64 v[5:6], v[10:11], off
.LBB1479_5:
	s_or_b32 exec_lo, exec_lo, s1
	v_add_nc_u32_e32 v6, 16, v4
	s_delay_alu instid0(VALU_DEP_1) | instskip(SKIP_1) | instid1(VALU_DEP_1)
	v_cmp_le_i32_e64 s1, v13, v6
	v_cmp_gt_i32_e64 s0, s4, v6
	s_and_b32 s1, s1, s0
	s_delay_alu instid0(SALU_CYCLE_1)
	s_and_saveexec_b32 s4, s1
	s_cbranch_execz .LBB1479_7
; %bb.6:
	v_ashrrev_i32_e32 v7, 31, v6
	s_delay_alu instid0(VALU_DEP_1) | instskip(NEXT) | instid1(VALU_DEP_1)
	v_lshlrev_b64 v[10:11], 3, v[6:7]
	v_add_co_u32 v10, s1, v12, v10
	s_delay_alu instid0(VALU_DEP_1)
	v_add_co_ci_u32_e64 v11, s1, v14, v11, s1
	global_store_b64 v[10:11], v[8:9], off
.LBB1479_7:
	s_or_b32 exec_lo, exec_lo, s4
	v_add_nc_u32_e32 v7, 16, v13
	s_delay_alu instid0(VALU_DEP_1) | instskip(SKIP_3) | instid1(VALU_DEP_4)
	v_ashrrev_i32_e32 v5, 31, v7
	v_mul_lo_u32 v10, v7, s7
	v_mad_u64_u32 v[8:9], null, v7, s6, 0
	v_cmp_le_i32_e64 s1, v7, v4
	v_mul_lo_u32 v5, v5, s6
	s_delay_alu instid0(VALU_DEP_1) | instskip(NEXT) | instid1(VALU_DEP_1)
	v_add3_u32 v9, v9, v10, v5
	v_lshlrev_b64 v[8:9], 3, v[8:9]
	s_delay_alu instid0(VALU_DEP_1) | instskip(NEXT) | instid1(VALU_DEP_1)
	v_add_co_u32 v8, s2, s2, v8
	v_add_co_ci_u32_e64 v9, s2, s3, v9, s2
	s_and_b32 s2, s1, vcc_lo
	s_delay_alu instid0(SALU_CYCLE_1)
	s_and_saveexec_b32 s1, s2
	s_cbranch_execz .LBB1479_9
; %bb.8:
	v_ashrrev_i32_e32 v5, 31, v4
	s_delay_alu instid0(VALU_DEP_1) | instskip(NEXT) | instid1(VALU_DEP_1)
	v_lshlrev_b64 v[4:5], 3, v[4:5]
	v_add_co_u32 v4, vcc_lo, v8, v4
	s_delay_alu instid0(VALU_DEP_2)
	v_add_co_ci_u32_e32 v5, vcc_lo, v9, v5, vcc_lo
	global_store_b64 v[4:5], v[2:3], off
.LBB1479_9:
	s_or_b32 exec_lo, exec_lo, s1
	v_cmp_le_i32_e32 vcc_lo, v7, v6
	s_and_b32 s0, vcc_lo, s0
	s_delay_alu instid0(SALU_CYCLE_1)
	s_and_saveexec_b32 s1, s0
	s_cbranch_execz .LBB1479_11
; %bb.10:
	v_ashrrev_i32_e32 v7, 31, v6
	s_delay_alu instid0(VALU_DEP_1) | instskip(NEXT) | instid1(VALU_DEP_1)
	v_lshlrev_b64 v[2:3], 3, v[6:7]
	v_add_co_u32 v2, vcc_lo, v8, v2
	s_delay_alu instid0(VALU_DEP_2)
	v_add_co_ci_u32_e32 v3, vcc_lo, v9, v3, vcc_lo
	global_store_b64 v[2:3], v[0:1], off
.LBB1479_11:
	s_nop 0
	s_sendmsg sendmsg(MSG_DEALLOC_VGPRS)
	s_endpgm
	.section	.rodata,"a",@progbits
	.p2align	6, 0x0
	.amdhsa_kernel _ZL37rocblas_syrkx_herkx_restricted_kernelIldLi16ELi32ELi8ELi1ELi0ELb0ELc78ELc76EKPKdKPdEviT_PT9_S5_lS7_S5_lPT10_S5_li
		.amdhsa_group_segment_fixed_size 4096
		.amdhsa_private_segment_fixed_size 0
		.amdhsa_kernarg_size 92
		.amdhsa_user_sgpr_count 13
		.amdhsa_user_sgpr_dispatch_ptr 0
		.amdhsa_user_sgpr_queue_ptr 0
		.amdhsa_user_sgpr_kernarg_segment_ptr 1
		.amdhsa_user_sgpr_dispatch_id 0
		.amdhsa_user_sgpr_private_segment_size 0
		.amdhsa_wavefront_size32 1
		.amdhsa_uses_dynamic_stack 0
		.amdhsa_enable_private_segment 0
		.amdhsa_system_sgpr_workgroup_id_x 1
		.amdhsa_system_sgpr_workgroup_id_y 1
		.amdhsa_system_sgpr_workgroup_id_z 1
		.amdhsa_system_sgpr_workgroup_info 0
		.amdhsa_system_vgpr_workitem_id 1
		.amdhsa_next_free_vgpr 38
		.amdhsa_next_free_sgpr 20
		.amdhsa_reserve_vcc 1
		.amdhsa_float_round_mode_32 0
		.amdhsa_float_round_mode_16_64 0
		.amdhsa_float_denorm_mode_32 3
		.amdhsa_float_denorm_mode_16_64 3
		.amdhsa_dx10_clamp 1
		.amdhsa_ieee_mode 1
		.amdhsa_fp16_overflow 0
		.amdhsa_workgroup_processor_mode 1
		.amdhsa_memory_ordered 1
		.amdhsa_forward_progress 0
		.amdhsa_shared_vgpr_count 0
		.amdhsa_exception_fp_ieee_invalid_op 0
		.amdhsa_exception_fp_denorm_src 0
		.amdhsa_exception_fp_ieee_div_zero 0
		.amdhsa_exception_fp_ieee_overflow 0
		.amdhsa_exception_fp_ieee_underflow 0
		.amdhsa_exception_fp_ieee_inexact 0
		.amdhsa_exception_int_div_zero 0
	.end_amdhsa_kernel
	.section	.text._ZL37rocblas_syrkx_herkx_restricted_kernelIldLi16ELi32ELi8ELi1ELi0ELb0ELc78ELc76EKPKdKPdEviT_PT9_S5_lS7_S5_lPT10_S5_li,"axG",@progbits,_ZL37rocblas_syrkx_herkx_restricted_kernelIldLi16ELi32ELi8ELi1ELi0ELb0ELc78ELc76EKPKdKPdEviT_PT9_S5_lS7_S5_lPT10_S5_li,comdat
.Lfunc_end1479:
	.size	_ZL37rocblas_syrkx_herkx_restricted_kernelIldLi16ELi32ELi8ELi1ELi0ELb0ELc78ELc76EKPKdKPdEviT_PT9_S5_lS7_S5_lPT10_S5_li, .Lfunc_end1479-_ZL37rocblas_syrkx_herkx_restricted_kernelIldLi16ELi32ELi8ELi1ELi0ELb0ELc78ELc76EKPKdKPdEviT_PT9_S5_lS7_S5_lPT10_S5_li
                                        ; -- End function
	.section	.AMDGPU.csdata,"",@progbits
; Kernel info:
; codeLenInByte = 1448
; NumSgprs: 22
; NumVgprs: 38
; ScratchSize: 0
; MemoryBound: 0
; FloatMode: 240
; IeeeMode: 1
; LDSByteSize: 4096 bytes/workgroup (compile time only)
; SGPRBlocks: 2
; VGPRBlocks: 4
; NumSGPRsForWavesPerEU: 22
; NumVGPRsForWavesPerEU: 38
; Occupancy: 16
; WaveLimiterHint : 1
; COMPUTE_PGM_RSRC2:SCRATCH_EN: 0
; COMPUTE_PGM_RSRC2:USER_SGPR: 13
; COMPUTE_PGM_RSRC2:TRAP_HANDLER: 0
; COMPUTE_PGM_RSRC2:TGID_X_EN: 1
; COMPUTE_PGM_RSRC2:TGID_Y_EN: 1
; COMPUTE_PGM_RSRC2:TGID_Z_EN: 1
; COMPUTE_PGM_RSRC2:TIDIG_COMP_CNT: 1
	.section	.text._ZL37rocblas_syrkx_herkx_restricted_kernelIldLi16ELi32ELi8ELi1ELi0ELb0ELc84ELc85EKPKdKPdEviT_PT9_S5_lS7_S5_lPT10_S5_li,"axG",@progbits,_ZL37rocblas_syrkx_herkx_restricted_kernelIldLi16ELi32ELi8ELi1ELi0ELb0ELc84ELc85EKPKdKPdEviT_PT9_S5_lS7_S5_lPT10_S5_li,comdat
	.globl	_ZL37rocblas_syrkx_herkx_restricted_kernelIldLi16ELi32ELi8ELi1ELi0ELb0ELc84ELc85EKPKdKPdEviT_PT9_S5_lS7_S5_lPT10_S5_li ; -- Begin function _ZL37rocblas_syrkx_herkx_restricted_kernelIldLi16ELi32ELi8ELi1ELi0ELb0ELc84ELc85EKPKdKPdEviT_PT9_S5_lS7_S5_lPT10_S5_li
	.p2align	8
	.type	_ZL37rocblas_syrkx_herkx_restricted_kernelIldLi16ELi32ELi8ELi1ELi0ELb0ELc84ELc85EKPKdKPdEviT_PT9_S5_lS7_S5_lPT10_S5_li,@function
_ZL37rocblas_syrkx_herkx_restricted_kernelIldLi16ELi32ELi8ELi1ELi0ELb0ELc84ELc85EKPKdKPdEviT_PT9_S5_lS7_S5_lPT10_S5_li: ; @_ZL37rocblas_syrkx_herkx_restricted_kernelIldLi16ELi32ELi8ELi1ELi0ELb0ELc84ELc85EKPKdKPdEviT_PT9_S5_lS7_S5_lPT10_S5_li
; %bb.0:
	s_clause 0x1
	s_load_b128 s[4:7], s[0:1], 0x40
	s_load_b128 s[8:11], s[0:1], 0x8
	s_mov_b32 s2, s15
	s_mov_b32 s3, 0
	v_mov_b32_e32 v10, 0
	s_lshl_b64 s[16:17], s[2:3], 3
	v_dual_mov_b32 v11, 0 :: v_dual_and_b32 v12, 0x3ff, v0
	v_bfe_u32 v13, v0, 10, 10
	s_delay_alu instid0(VALU_DEP_3) | instskip(NEXT) | instid1(VALU_DEP_3)
	v_mov_b32_e32 v8, v10
	v_dual_mov_b32 v2, v10 :: v_dual_mov_b32 v3, v11
	v_dual_mov_b32 v9, v11 :: v_dual_mov_b32 v0, v10
	v_mov_b32_e32 v1, v11
	s_waitcnt lgkmcnt(0)
	s_add_u32 s2, s4, s16
	s_addc_u32 s3, s5, s17
	v_cmp_lt_i64_e64 s4, s[8:9], 1
	s_load_b64 s[2:3], s[2:3], 0x0
	s_lshl_b32 s18, s13, 5
	s_lshl_b32 s19, s14, 5
	s_delay_alu instid0(VALU_DEP_1)
	s_and_b32 vcc_lo, exec_lo, s4
	s_cbranch_vccnz .LBB1480_3
; %bb.1:
	s_clause 0x1
	s_load_b128 s[12:15], s[0:1], 0x28
	s_load_b64 s[4:5], s[0:1], 0x18
	v_lshl_add_u32 v2, v13, 4, v12
	v_dual_mov_b32 v1, 0 :: v_dual_and_b32 v0, 7, v12
	s_add_u32 s10, s10, s16
	s_addc_u32 s11, s11, s17
	s_delay_alu instid0(VALU_DEP_2)
	v_lshrrev_b32_e32 v8, 3, v2
	v_and_b32_e32 v9, 31, v2
	v_lshrrev_b32_e32 v2, 5, v2
	v_mov_b32_e32 v3, v1
	s_load_b64 s[10:11], s[10:11], 0x0
	v_add_nc_u32_e32 v10, s19, v8
	v_add_nc_u32_e32 v6, s18, v9
	v_lshl_add_u32 v17, v13, 6, 0x800
	s_delay_alu instid0(VALU_DEP_3) | instskip(NEXT) | instid1(VALU_DEP_3)
	v_ashrrev_i32_e32 v4, 31, v10
	v_ashrrev_i32_e32 v5, 31, v6
	s_waitcnt lgkmcnt(0)
	s_add_u32 s12, s12, s16
	s_addc_u32 s13, s13, s17
	v_mul_lo_u32 v11, v4, s14
	v_mul_lo_u32 v15, s4, v5
	v_mad_u64_u32 v[4:5], null, s4, v6, v[2:3]
	v_mul_lo_u32 v3, s5, v6
	s_load_b64 s[4:5], s[12:13], 0x0
	v_mul_lo_u32 v14, v10, s15
	v_mad_u64_u32 v[6:7], null, v10, s14, v[0:1]
	v_lshlrev_b32_e32 v0, 3, v0
	v_lshlrev_b32_e32 v1, 3, v9
	v_add3_u32 v5, v3, v5, v15
	s_delay_alu instid0(VALU_DEP_3) | instskip(SKIP_1) | instid1(VALU_DEP_4)
	v_lshl_or_b32 v0, v8, 6, v0
	v_add3_u32 v7, v11, v7, v14
	v_lshl_or_b32 v14, v2, 8, v1
	s_delay_alu instid0(VALU_DEP_4) | instskip(NEXT) | instid1(VALU_DEP_4)
	v_lshlrev_b64 v[2:3], 3, v[4:5]
	v_add_nc_u32_e32 v15, 0x800, v0
	s_delay_alu instid0(VALU_DEP_4)
	v_lshlrev_b64 v[6:7], 3, v[6:7]
	v_mov_b32_e32 v0, 0
	v_mov_b32_e32 v1, 0
	v_add_co_u32 v4, vcc_lo, s10, v2
	v_add_co_ci_u32_e32 v5, vcc_lo, s11, v3, vcc_lo
	s_waitcnt lgkmcnt(0)
	v_add_co_u32 v6, vcc_lo, s4, v6
	v_dual_mov_b32 v3, v1 :: v_dual_lshlrev_b32 v16, 3, v12
	v_add_co_ci_u32_e32 v7, vcc_lo, s5, v7, vcc_lo
	v_dual_mov_b32 v2, v0 :: v_dual_mov_b32 v9, v1
	v_dual_mov_b32 v8, v0 :: v_dual_mov_b32 v11, v1
	v_mov_b32_e32 v10, v0
	s_mov_b64 s[4:5], 0
.LBB1480_2:                             ; =>This Inner Loop Header: Depth=1
	global_load_b64 v[18:19], v[4:5], off
	global_load_b64 v[20:21], v[6:7], off
	s_add_u32 s4, s4, 8
	v_add_co_u32 v4, vcc_lo, v4, 64
	s_addc_u32 s5, s5, 0
	v_add_co_ci_u32_e32 v5, vcc_lo, 0, v5, vcc_lo
	v_cmp_ge_u64_e64 s10, s[4:5], s[8:9]
	v_add_co_u32 v6, vcc_lo, v6, 64
	v_add_co_ci_u32_e32 v7, vcc_lo, 0, v7, vcc_lo
	s_waitcnt vmcnt(1)
	ds_store_b64 v14, v[18:19]
	s_waitcnt vmcnt(0)
	ds_store_b64 v15, v[20:21]
	s_waitcnt lgkmcnt(0)
	s_barrier
	buffer_gl0_inv
	ds_load_2addr_b64 v[18:21], v16 offset1:16
	ds_load_b128 v[22:25], v17
	ds_load_b128 v[26:29], v17 offset:1024
	ds_load_b128 v[30:33], v17 offset:16
	;; [unrolled: 1-line block ×3, first 2 shown]
	s_and_b32 vcc_lo, exec_lo, s10
	s_waitcnt lgkmcnt(3)
	v_fma_f64 v[10:11], v[18:19], v[22:23], v[10:11]
	v_fma_f64 v[8:9], v[20:21], v[22:23], v[8:9]
	s_waitcnt lgkmcnt(2)
	v_fma_f64 v[18:19], v[18:19], v[26:27], v[2:3]
	v_fma_f64 v[20:21], v[20:21], v[26:27], v[0:1]
	ds_load_2addr_b64 v[0:3], v16 offset0:32 offset1:48
	s_waitcnt lgkmcnt(0)
	v_fma_f64 v[10:11], v[0:1], v[24:25], v[10:11]
	v_fma_f64 v[8:9], v[2:3], v[24:25], v[8:9]
	v_fma_f64 v[18:19], v[0:1], v[28:29], v[18:19]
	v_fma_f64 v[20:21], v[2:3], v[28:29], v[20:21]
	ds_load_2addr_b64 v[0:3], v16 offset0:64 offset1:80
	s_waitcnt lgkmcnt(0)
	v_fma_f64 v[10:11], v[0:1], v[30:31], v[10:11]
	v_fma_f64 v[8:9], v[2:3], v[30:31], v[8:9]
	;; [unrolled: 6-line block ×3, first 2 shown]
	v_fma_f64 v[34:35], v[0:1], v[36:37], v[18:19]
	v_fma_f64 v[36:37], v[2:3], v[36:37], v[20:21]
	ds_load_2addr_b64 v[0:3], v16 offset0:128 offset1:144
	ds_load_b128 v[8:11], v17 offset:32
	ds_load_b128 v[18:21], v17 offset:1056
	;; [unrolled: 1-line block ×4, first 2 shown]
	s_waitcnt lgkmcnt(3)
	v_fma_f64 v[30:31], v[0:1], v[8:9], v[30:31]
	v_fma_f64 v[8:9], v[2:3], v[8:9], v[32:33]
	s_waitcnt lgkmcnt(2)
	v_fma_f64 v[32:33], v[0:1], v[18:19], v[34:35]
	v_fma_f64 v[18:19], v[2:3], v[18:19], v[36:37]
	ds_load_2addr_b64 v[0:3], v16 offset0:160 offset1:176
	s_waitcnt lgkmcnt(0)
	v_fma_f64 v[30:31], v[0:1], v[10:11], v[30:31]
	v_fma_f64 v[8:9], v[2:3], v[10:11], v[8:9]
	;; [unrolled: 1-line block ×4, first 2 shown]
	ds_load_2addr_b64 v[0:3], v16 offset0:192 offset1:208
	s_waitcnt lgkmcnt(0)
	v_fma_f64 v[30:31], v[0:1], v[22:23], v[30:31]
	v_fma_f64 v[8:9], v[2:3], v[22:23], v[8:9]
	;; [unrolled: 1-line block ×4, first 2 shown]
	ds_load_2addr_b64 v[18:21], v16 offset0:224 offset1:240
	s_waitcnt lgkmcnt(0)
	s_barrier
	buffer_gl0_inv
	v_fma_f64 v[10:11], v[18:19], v[24:25], v[30:31]
	v_fma_f64 v[8:9], v[20:21], v[24:25], v[8:9]
	;; [unrolled: 1-line block ×4, first 2 shown]
	s_cbranch_vccz .LBB1480_2
.LBB1480_3:
	v_add_nc_u32_e32 v13, s19, v13
	s_load_b32 s4, s[0:1], 0x0
	s_delay_alu instid0(VALU_DEP_1) | instskip(SKIP_2) | instid1(VALU_DEP_3)
	v_ashrrev_i32_e32 v4, 31, v13
	v_mul_lo_u32 v7, v13, s7
	v_mad_u64_u32 v[5:6], null, v13, s6, 0
	v_mul_lo_u32 v4, v4, s6
	s_delay_alu instid0(VALU_DEP_1) | instskip(SKIP_3) | instid1(VALU_DEP_3)
	v_add3_u32 v6, v6, v7, v4
	v_add_nc_u32_e32 v4, s18, v12
	s_waitcnt lgkmcnt(0)
	v_cmp_gt_i32_e32 vcc_lo, s4, v13
	v_lshlrev_b64 v[5:6], 3, v[5:6]
	s_delay_alu instid0(VALU_DEP_3) | instskip(NEXT) | instid1(VALU_DEP_1)
	v_cmp_le_i32_e64 s0, v4, v13
	s_and_b32 s0, vcc_lo, s0
	s_delay_alu instid0(VALU_DEP_2) | instskip(NEXT) | instid1(VALU_DEP_1)
	v_add_co_u32 v12, s1, s2, v5
	v_add_co_ci_u32_e64 v14, s1, s3, v6, s1
	s_and_saveexec_b32 s1, s0
	s_cbranch_execz .LBB1480_5
; %bb.4:
	v_ashrrev_i32_e32 v5, 31, v4
	s_delay_alu instid0(VALU_DEP_1) | instskip(NEXT) | instid1(VALU_DEP_1)
	v_lshlrev_b64 v[5:6], 3, v[4:5]
	v_add_co_u32 v5, s0, v12, v5
	s_delay_alu instid0(VALU_DEP_1)
	v_add_co_ci_u32_e64 v6, s0, v14, v6, s0
	global_store_b64 v[5:6], v[10:11], off
.LBB1480_5:
	s_or_b32 exec_lo, exec_lo, s1
	v_add_nc_u32_e32 v6, 16, v4
	s_delay_alu instid0(VALU_DEP_1) | instskip(NEXT) | instid1(VALU_DEP_1)
	v_cmp_le_i32_e64 s0, v6, v13
	s_and_b32 s1, vcc_lo, s0
	s_delay_alu instid0(SALU_CYCLE_1)
	s_and_saveexec_b32 s0, s1
	s_cbranch_execz .LBB1480_7
; %bb.6:
	v_ashrrev_i32_e32 v7, 31, v6
	s_delay_alu instid0(VALU_DEP_1) | instskip(NEXT) | instid1(VALU_DEP_1)
	v_lshlrev_b64 v[10:11], 3, v[6:7]
	v_add_co_u32 v10, vcc_lo, v12, v10
	s_delay_alu instid0(VALU_DEP_2)
	v_add_co_ci_u32_e32 v11, vcc_lo, v14, v11, vcc_lo
	global_store_b64 v[10:11], v[8:9], off
.LBB1480_7:
	s_or_b32 exec_lo, exec_lo, s0
	v_add_nc_u32_e32 v7, 16, v13
	s_delay_alu instid0(VALU_DEP_1) | instskip(SKIP_3) | instid1(VALU_DEP_4)
	v_ashrrev_i32_e32 v5, 31, v7
	v_mul_lo_u32 v10, v7, s7
	v_mad_u64_u32 v[8:9], null, v7, s6, 0
	v_cmp_gt_i32_e32 vcc_lo, s4, v7
	v_mul_lo_u32 v5, v5, s6
	v_cmp_le_i32_e64 s0, v4, v7
	s_delay_alu instid0(VALU_DEP_1) | instskip(NEXT) | instid1(VALU_DEP_2)
	s_and_b32 s0, vcc_lo, s0
	v_add3_u32 v9, v9, v10, v5
	s_delay_alu instid0(VALU_DEP_1) | instskip(NEXT) | instid1(VALU_DEP_1)
	v_lshlrev_b64 v[8:9], 3, v[8:9]
	v_add_co_u32 v8, s1, s2, v8
	s_delay_alu instid0(VALU_DEP_1)
	v_add_co_ci_u32_e64 v9, s1, s3, v9, s1
	s_and_saveexec_b32 s1, s0
	s_cbranch_execz .LBB1480_9
; %bb.8:
	v_ashrrev_i32_e32 v5, 31, v4
	s_delay_alu instid0(VALU_DEP_1) | instskip(NEXT) | instid1(VALU_DEP_1)
	v_lshlrev_b64 v[4:5], 3, v[4:5]
	v_add_co_u32 v4, s0, v8, v4
	s_delay_alu instid0(VALU_DEP_1)
	v_add_co_ci_u32_e64 v5, s0, v9, v5, s0
	global_store_b64 v[4:5], v[2:3], off
.LBB1480_9:
	s_or_b32 exec_lo, exec_lo, s1
	v_cmp_le_i32_e64 s0, v6, v7
	s_delay_alu instid0(VALU_DEP_1) | instskip(NEXT) | instid1(SALU_CYCLE_1)
	s_and_b32 s0, vcc_lo, s0
	s_and_saveexec_b32 s1, s0
	s_cbranch_execz .LBB1480_11
; %bb.10:
	v_ashrrev_i32_e32 v7, 31, v6
	s_delay_alu instid0(VALU_DEP_1) | instskip(NEXT) | instid1(VALU_DEP_1)
	v_lshlrev_b64 v[2:3], 3, v[6:7]
	v_add_co_u32 v2, vcc_lo, v8, v2
	s_delay_alu instid0(VALU_DEP_2)
	v_add_co_ci_u32_e32 v3, vcc_lo, v9, v3, vcc_lo
	global_store_b64 v[2:3], v[0:1], off
.LBB1480_11:
	s_nop 0
	s_sendmsg sendmsg(MSG_DEALLOC_VGPRS)
	s_endpgm
	.section	.rodata,"a",@progbits
	.p2align	6, 0x0
	.amdhsa_kernel _ZL37rocblas_syrkx_herkx_restricted_kernelIldLi16ELi32ELi8ELi1ELi0ELb0ELc84ELc85EKPKdKPdEviT_PT9_S5_lS7_S5_lPT10_S5_li
		.amdhsa_group_segment_fixed_size 4096
		.amdhsa_private_segment_fixed_size 0
		.amdhsa_kernarg_size 92
		.amdhsa_user_sgpr_count 13
		.amdhsa_user_sgpr_dispatch_ptr 0
		.amdhsa_user_sgpr_queue_ptr 0
		.amdhsa_user_sgpr_kernarg_segment_ptr 1
		.amdhsa_user_sgpr_dispatch_id 0
		.amdhsa_user_sgpr_private_segment_size 0
		.amdhsa_wavefront_size32 1
		.amdhsa_uses_dynamic_stack 0
		.amdhsa_enable_private_segment 0
		.amdhsa_system_sgpr_workgroup_id_x 1
		.amdhsa_system_sgpr_workgroup_id_y 1
		.amdhsa_system_sgpr_workgroup_id_z 1
		.amdhsa_system_sgpr_workgroup_info 0
		.amdhsa_system_vgpr_workitem_id 1
		.amdhsa_next_free_vgpr 38
		.amdhsa_next_free_sgpr 20
		.amdhsa_reserve_vcc 1
		.amdhsa_float_round_mode_32 0
		.amdhsa_float_round_mode_16_64 0
		.amdhsa_float_denorm_mode_32 3
		.amdhsa_float_denorm_mode_16_64 3
		.amdhsa_dx10_clamp 1
		.amdhsa_ieee_mode 1
		.amdhsa_fp16_overflow 0
		.amdhsa_workgroup_processor_mode 1
		.amdhsa_memory_ordered 1
		.amdhsa_forward_progress 0
		.amdhsa_shared_vgpr_count 0
		.amdhsa_exception_fp_ieee_invalid_op 0
		.amdhsa_exception_fp_denorm_src 0
		.amdhsa_exception_fp_ieee_div_zero 0
		.amdhsa_exception_fp_ieee_overflow 0
		.amdhsa_exception_fp_ieee_underflow 0
		.amdhsa_exception_fp_ieee_inexact 0
		.amdhsa_exception_int_div_zero 0
	.end_amdhsa_kernel
	.section	.text._ZL37rocblas_syrkx_herkx_restricted_kernelIldLi16ELi32ELi8ELi1ELi0ELb0ELc84ELc85EKPKdKPdEviT_PT9_S5_lS7_S5_lPT10_S5_li,"axG",@progbits,_ZL37rocblas_syrkx_herkx_restricted_kernelIldLi16ELi32ELi8ELi1ELi0ELb0ELc84ELc85EKPKdKPdEviT_PT9_S5_lS7_S5_lPT10_S5_li,comdat
.Lfunc_end1480:
	.size	_ZL37rocblas_syrkx_herkx_restricted_kernelIldLi16ELi32ELi8ELi1ELi0ELb0ELc84ELc85EKPKdKPdEviT_PT9_S5_lS7_S5_lPT10_S5_li, .Lfunc_end1480-_ZL37rocblas_syrkx_herkx_restricted_kernelIldLi16ELi32ELi8ELi1ELi0ELb0ELc84ELc85EKPKdKPdEviT_PT9_S5_lS7_S5_lPT10_S5_li
                                        ; -- End function
	.section	.AMDGPU.csdata,"",@progbits
; Kernel info:
; codeLenInByte = 1460
; NumSgprs: 22
; NumVgprs: 38
; ScratchSize: 0
; MemoryBound: 0
; FloatMode: 240
; IeeeMode: 1
; LDSByteSize: 4096 bytes/workgroup (compile time only)
; SGPRBlocks: 2
; VGPRBlocks: 4
; NumSGPRsForWavesPerEU: 22
; NumVGPRsForWavesPerEU: 38
; Occupancy: 16
; WaveLimiterHint : 1
; COMPUTE_PGM_RSRC2:SCRATCH_EN: 0
; COMPUTE_PGM_RSRC2:USER_SGPR: 13
; COMPUTE_PGM_RSRC2:TRAP_HANDLER: 0
; COMPUTE_PGM_RSRC2:TGID_X_EN: 1
; COMPUTE_PGM_RSRC2:TGID_Y_EN: 1
; COMPUTE_PGM_RSRC2:TGID_Z_EN: 1
; COMPUTE_PGM_RSRC2:TIDIG_COMP_CNT: 1
	.section	.text._ZL37rocblas_syrkx_herkx_restricted_kernelIldLi16ELi32ELi8ELi1ELi0ELb0ELc67ELc85EKPKdKPdEviT_PT9_S5_lS7_S5_lPT10_S5_li,"axG",@progbits,_ZL37rocblas_syrkx_herkx_restricted_kernelIldLi16ELi32ELi8ELi1ELi0ELb0ELc67ELc85EKPKdKPdEviT_PT9_S5_lS7_S5_lPT10_S5_li,comdat
	.globl	_ZL37rocblas_syrkx_herkx_restricted_kernelIldLi16ELi32ELi8ELi1ELi0ELb0ELc67ELc85EKPKdKPdEviT_PT9_S5_lS7_S5_lPT10_S5_li ; -- Begin function _ZL37rocblas_syrkx_herkx_restricted_kernelIldLi16ELi32ELi8ELi1ELi0ELb0ELc67ELc85EKPKdKPdEviT_PT9_S5_lS7_S5_lPT10_S5_li
	.p2align	8
	.type	_ZL37rocblas_syrkx_herkx_restricted_kernelIldLi16ELi32ELi8ELi1ELi0ELb0ELc67ELc85EKPKdKPdEviT_PT9_S5_lS7_S5_lPT10_S5_li,@function
_ZL37rocblas_syrkx_herkx_restricted_kernelIldLi16ELi32ELi8ELi1ELi0ELb0ELc67ELc85EKPKdKPdEviT_PT9_S5_lS7_S5_lPT10_S5_li: ; @_ZL37rocblas_syrkx_herkx_restricted_kernelIldLi16ELi32ELi8ELi1ELi0ELb0ELc67ELc85EKPKdKPdEviT_PT9_S5_lS7_S5_lPT10_S5_li
; %bb.0:
	s_clause 0x1
	s_load_b128 s[4:7], s[0:1], 0x40
	s_load_b128 s[8:11], s[0:1], 0x8
	s_mov_b32 s2, s15
	s_mov_b32 s3, 0
	v_mov_b32_e32 v10, 0
	s_lshl_b64 s[16:17], s[2:3], 3
	v_dual_mov_b32 v11, 0 :: v_dual_and_b32 v12, 0x3ff, v0
	v_bfe_u32 v13, v0, 10, 10
	s_delay_alu instid0(VALU_DEP_3) | instskip(NEXT) | instid1(VALU_DEP_3)
	v_mov_b32_e32 v8, v10
	v_dual_mov_b32 v2, v10 :: v_dual_mov_b32 v3, v11
	v_dual_mov_b32 v9, v11 :: v_dual_mov_b32 v0, v10
	v_mov_b32_e32 v1, v11
	s_waitcnt lgkmcnt(0)
	s_add_u32 s2, s4, s16
	s_addc_u32 s3, s5, s17
	v_cmp_lt_i64_e64 s4, s[8:9], 1
	s_load_b64 s[2:3], s[2:3], 0x0
	s_lshl_b32 s18, s13, 5
	s_lshl_b32 s19, s14, 5
	s_delay_alu instid0(VALU_DEP_1)
	s_and_b32 vcc_lo, exec_lo, s4
	s_cbranch_vccnz .LBB1481_3
; %bb.1:
	s_clause 0x1
	s_load_b128 s[12:15], s[0:1], 0x28
	s_load_b64 s[4:5], s[0:1], 0x18
	v_lshl_add_u32 v2, v13, 4, v12
	v_dual_mov_b32 v1, 0 :: v_dual_and_b32 v0, 7, v12
	s_add_u32 s10, s10, s16
	s_addc_u32 s11, s11, s17
	s_delay_alu instid0(VALU_DEP_2)
	v_lshrrev_b32_e32 v8, 3, v2
	v_and_b32_e32 v9, 31, v2
	v_lshrrev_b32_e32 v2, 5, v2
	v_mov_b32_e32 v3, v1
	s_load_b64 s[10:11], s[10:11], 0x0
	v_add_nc_u32_e32 v10, s19, v8
	v_add_nc_u32_e32 v6, s18, v9
	v_lshl_add_u32 v17, v13, 6, 0x800
	s_delay_alu instid0(VALU_DEP_3) | instskip(NEXT) | instid1(VALU_DEP_3)
	v_ashrrev_i32_e32 v4, 31, v10
	v_ashrrev_i32_e32 v5, 31, v6
	s_waitcnt lgkmcnt(0)
	s_add_u32 s12, s12, s16
	s_addc_u32 s13, s13, s17
	v_mul_lo_u32 v11, v4, s14
	v_mul_lo_u32 v15, s4, v5
	v_mad_u64_u32 v[4:5], null, s4, v6, v[2:3]
	v_mul_lo_u32 v3, s5, v6
	s_load_b64 s[4:5], s[12:13], 0x0
	v_mul_lo_u32 v14, v10, s15
	v_mad_u64_u32 v[6:7], null, v10, s14, v[0:1]
	v_lshlrev_b32_e32 v0, 3, v0
	v_lshlrev_b32_e32 v1, 3, v9
	v_add3_u32 v5, v3, v5, v15
	s_delay_alu instid0(VALU_DEP_3) | instskip(SKIP_1) | instid1(VALU_DEP_4)
	v_lshl_or_b32 v0, v8, 6, v0
	v_add3_u32 v7, v11, v7, v14
	v_lshl_or_b32 v14, v2, 8, v1
	s_delay_alu instid0(VALU_DEP_4) | instskip(NEXT) | instid1(VALU_DEP_4)
	v_lshlrev_b64 v[2:3], 3, v[4:5]
	v_add_nc_u32_e32 v15, 0x800, v0
	s_delay_alu instid0(VALU_DEP_4)
	v_lshlrev_b64 v[6:7], 3, v[6:7]
	v_mov_b32_e32 v0, 0
	v_mov_b32_e32 v1, 0
	v_add_co_u32 v4, vcc_lo, s10, v2
	v_add_co_ci_u32_e32 v5, vcc_lo, s11, v3, vcc_lo
	s_waitcnt lgkmcnt(0)
	v_add_co_u32 v6, vcc_lo, s4, v6
	v_dual_mov_b32 v3, v1 :: v_dual_lshlrev_b32 v16, 3, v12
	v_add_co_ci_u32_e32 v7, vcc_lo, s5, v7, vcc_lo
	v_dual_mov_b32 v2, v0 :: v_dual_mov_b32 v9, v1
	v_dual_mov_b32 v8, v0 :: v_dual_mov_b32 v11, v1
	v_mov_b32_e32 v10, v0
	s_mov_b64 s[4:5], 0
.LBB1481_2:                             ; =>This Inner Loop Header: Depth=1
	global_load_b64 v[18:19], v[4:5], off
	global_load_b64 v[20:21], v[6:7], off
	s_add_u32 s4, s4, 8
	v_add_co_u32 v4, vcc_lo, v4, 64
	s_addc_u32 s5, s5, 0
	v_add_co_ci_u32_e32 v5, vcc_lo, 0, v5, vcc_lo
	v_cmp_ge_u64_e64 s10, s[4:5], s[8:9]
	v_add_co_u32 v6, vcc_lo, v6, 64
	v_add_co_ci_u32_e32 v7, vcc_lo, 0, v7, vcc_lo
	s_waitcnt vmcnt(1)
	ds_store_b64 v14, v[18:19]
	s_waitcnt vmcnt(0)
	ds_store_b64 v15, v[20:21]
	s_waitcnt lgkmcnt(0)
	s_barrier
	buffer_gl0_inv
	ds_load_2addr_b64 v[18:21], v16 offset1:16
	ds_load_b128 v[22:25], v17
	ds_load_b128 v[26:29], v17 offset:1024
	ds_load_b128 v[30:33], v17 offset:16
	;; [unrolled: 1-line block ×3, first 2 shown]
	s_and_b32 vcc_lo, exec_lo, s10
	s_waitcnt lgkmcnt(3)
	v_fma_f64 v[10:11], v[18:19], v[22:23], v[10:11]
	v_fma_f64 v[8:9], v[20:21], v[22:23], v[8:9]
	s_waitcnt lgkmcnt(2)
	v_fma_f64 v[18:19], v[18:19], v[26:27], v[2:3]
	v_fma_f64 v[20:21], v[20:21], v[26:27], v[0:1]
	ds_load_2addr_b64 v[0:3], v16 offset0:32 offset1:48
	s_waitcnt lgkmcnt(0)
	v_fma_f64 v[10:11], v[0:1], v[24:25], v[10:11]
	v_fma_f64 v[8:9], v[2:3], v[24:25], v[8:9]
	v_fma_f64 v[18:19], v[0:1], v[28:29], v[18:19]
	v_fma_f64 v[20:21], v[2:3], v[28:29], v[20:21]
	ds_load_2addr_b64 v[0:3], v16 offset0:64 offset1:80
	s_waitcnt lgkmcnt(0)
	v_fma_f64 v[10:11], v[0:1], v[30:31], v[10:11]
	v_fma_f64 v[8:9], v[2:3], v[30:31], v[8:9]
	;; [unrolled: 6-line block ×3, first 2 shown]
	v_fma_f64 v[34:35], v[0:1], v[36:37], v[18:19]
	v_fma_f64 v[36:37], v[2:3], v[36:37], v[20:21]
	ds_load_2addr_b64 v[0:3], v16 offset0:128 offset1:144
	ds_load_b128 v[8:11], v17 offset:32
	ds_load_b128 v[18:21], v17 offset:1056
	;; [unrolled: 1-line block ×4, first 2 shown]
	s_waitcnt lgkmcnt(3)
	v_fma_f64 v[30:31], v[0:1], v[8:9], v[30:31]
	v_fma_f64 v[8:9], v[2:3], v[8:9], v[32:33]
	s_waitcnt lgkmcnt(2)
	v_fma_f64 v[32:33], v[0:1], v[18:19], v[34:35]
	v_fma_f64 v[18:19], v[2:3], v[18:19], v[36:37]
	ds_load_2addr_b64 v[0:3], v16 offset0:160 offset1:176
	s_waitcnt lgkmcnt(0)
	v_fma_f64 v[30:31], v[0:1], v[10:11], v[30:31]
	v_fma_f64 v[8:9], v[2:3], v[10:11], v[8:9]
	;; [unrolled: 1-line block ×4, first 2 shown]
	ds_load_2addr_b64 v[0:3], v16 offset0:192 offset1:208
	s_waitcnt lgkmcnt(0)
	v_fma_f64 v[30:31], v[0:1], v[22:23], v[30:31]
	v_fma_f64 v[8:9], v[2:3], v[22:23], v[8:9]
	;; [unrolled: 1-line block ×4, first 2 shown]
	ds_load_2addr_b64 v[18:21], v16 offset0:224 offset1:240
	s_waitcnt lgkmcnt(0)
	s_barrier
	buffer_gl0_inv
	v_fma_f64 v[10:11], v[18:19], v[24:25], v[30:31]
	v_fma_f64 v[8:9], v[20:21], v[24:25], v[8:9]
	;; [unrolled: 1-line block ×4, first 2 shown]
	s_cbranch_vccz .LBB1481_2
.LBB1481_3:
	v_add_nc_u32_e32 v13, s19, v13
	s_load_b32 s4, s[0:1], 0x0
	s_delay_alu instid0(VALU_DEP_1) | instskip(SKIP_2) | instid1(VALU_DEP_3)
	v_ashrrev_i32_e32 v4, 31, v13
	v_mul_lo_u32 v7, v13, s7
	v_mad_u64_u32 v[5:6], null, v13, s6, 0
	v_mul_lo_u32 v4, v4, s6
	s_delay_alu instid0(VALU_DEP_1) | instskip(SKIP_3) | instid1(VALU_DEP_3)
	v_add3_u32 v6, v6, v7, v4
	v_add_nc_u32_e32 v4, s18, v12
	s_waitcnt lgkmcnt(0)
	v_cmp_gt_i32_e32 vcc_lo, s4, v13
	v_lshlrev_b64 v[5:6], 3, v[5:6]
	s_delay_alu instid0(VALU_DEP_3) | instskip(NEXT) | instid1(VALU_DEP_1)
	v_cmp_le_i32_e64 s0, v4, v13
	s_and_b32 s0, vcc_lo, s0
	s_delay_alu instid0(VALU_DEP_2) | instskip(NEXT) | instid1(VALU_DEP_1)
	v_add_co_u32 v12, s1, s2, v5
	v_add_co_ci_u32_e64 v14, s1, s3, v6, s1
	s_and_saveexec_b32 s1, s0
	s_cbranch_execz .LBB1481_5
; %bb.4:
	v_ashrrev_i32_e32 v5, 31, v4
	s_delay_alu instid0(VALU_DEP_1) | instskip(NEXT) | instid1(VALU_DEP_1)
	v_lshlrev_b64 v[5:6], 3, v[4:5]
	v_add_co_u32 v5, s0, v12, v5
	s_delay_alu instid0(VALU_DEP_1)
	v_add_co_ci_u32_e64 v6, s0, v14, v6, s0
	global_store_b64 v[5:6], v[10:11], off
.LBB1481_5:
	s_or_b32 exec_lo, exec_lo, s1
	v_add_nc_u32_e32 v6, 16, v4
	s_delay_alu instid0(VALU_DEP_1) | instskip(NEXT) | instid1(VALU_DEP_1)
	v_cmp_le_i32_e64 s0, v6, v13
	s_and_b32 s1, vcc_lo, s0
	s_delay_alu instid0(SALU_CYCLE_1)
	s_and_saveexec_b32 s0, s1
	s_cbranch_execz .LBB1481_7
; %bb.6:
	v_ashrrev_i32_e32 v7, 31, v6
	s_delay_alu instid0(VALU_DEP_1) | instskip(NEXT) | instid1(VALU_DEP_1)
	v_lshlrev_b64 v[10:11], 3, v[6:7]
	v_add_co_u32 v10, vcc_lo, v12, v10
	s_delay_alu instid0(VALU_DEP_2)
	v_add_co_ci_u32_e32 v11, vcc_lo, v14, v11, vcc_lo
	global_store_b64 v[10:11], v[8:9], off
.LBB1481_7:
	s_or_b32 exec_lo, exec_lo, s0
	v_add_nc_u32_e32 v7, 16, v13
	s_delay_alu instid0(VALU_DEP_1) | instskip(SKIP_3) | instid1(VALU_DEP_4)
	v_ashrrev_i32_e32 v5, 31, v7
	v_mul_lo_u32 v10, v7, s7
	v_mad_u64_u32 v[8:9], null, v7, s6, 0
	v_cmp_gt_i32_e32 vcc_lo, s4, v7
	v_mul_lo_u32 v5, v5, s6
	v_cmp_le_i32_e64 s0, v4, v7
	s_delay_alu instid0(VALU_DEP_1) | instskip(NEXT) | instid1(VALU_DEP_2)
	s_and_b32 s0, vcc_lo, s0
	v_add3_u32 v9, v9, v10, v5
	s_delay_alu instid0(VALU_DEP_1) | instskip(NEXT) | instid1(VALU_DEP_1)
	v_lshlrev_b64 v[8:9], 3, v[8:9]
	v_add_co_u32 v8, s1, s2, v8
	s_delay_alu instid0(VALU_DEP_1)
	v_add_co_ci_u32_e64 v9, s1, s3, v9, s1
	s_and_saveexec_b32 s1, s0
	s_cbranch_execz .LBB1481_9
; %bb.8:
	v_ashrrev_i32_e32 v5, 31, v4
	s_delay_alu instid0(VALU_DEP_1) | instskip(NEXT) | instid1(VALU_DEP_1)
	v_lshlrev_b64 v[4:5], 3, v[4:5]
	v_add_co_u32 v4, s0, v8, v4
	s_delay_alu instid0(VALU_DEP_1)
	v_add_co_ci_u32_e64 v5, s0, v9, v5, s0
	global_store_b64 v[4:5], v[2:3], off
.LBB1481_9:
	s_or_b32 exec_lo, exec_lo, s1
	v_cmp_le_i32_e64 s0, v6, v7
	s_delay_alu instid0(VALU_DEP_1) | instskip(NEXT) | instid1(SALU_CYCLE_1)
	s_and_b32 s0, vcc_lo, s0
	s_and_saveexec_b32 s1, s0
	s_cbranch_execz .LBB1481_11
; %bb.10:
	v_ashrrev_i32_e32 v7, 31, v6
	s_delay_alu instid0(VALU_DEP_1) | instskip(NEXT) | instid1(VALU_DEP_1)
	v_lshlrev_b64 v[2:3], 3, v[6:7]
	v_add_co_u32 v2, vcc_lo, v8, v2
	s_delay_alu instid0(VALU_DEP_2)
	v_add_co_ci_u32_e32 v3, vcc_lo, v9, v3, vcc_lo
	global_store_b64 v[2:3], v[0:1], off
.LBB1481_11:
	s_nop 0
	s_sendmsg sendmsg(MSG_DEALLOC_VGPRS)
	s_endpgm
	.section	.rodata,"a",@progbits
	.p2align	6, 0x0
	.amdhsa_kernel _ZL37rocblas_syrkx_herkx_restricted_kernelIldLi16ELi32ELi8ELi1ELi0ELb0ELc67ELc85EKPKdKPdEviT_PT9_S5_lS7_S5_lPT10_S5_li
		.amdhsa_group_segment_fixed_size 4096
		.amdhsa_private_segment_fixed_size 0
		.amdhsa_kernarg_size 92
		.amdhsa_user_sgpr_count 13
		.amdhsa_user_sgpr_dispatch_ptr 0
		.amdhsa_user_sgpr_queue_ptr 0
		.amdhsa_user_sgpr_kernarg_segment_ptr 1
		.amdhsa_user_sgpr_dispatch_id 0
		.amdhsa_user_sgpr_private_segment_size 0
		.amdhsa_wavefront_size32 1
		.amdhsa_uses_dynamic_stack 0
		.amdhsa_enable_private_segment 0
		.amdhsa_system_sgpr_workgroup_id_x 1
		.amdhsa_system_sgpr_workgroup_id_y 1
		.amdhsa_system_sgpr_workgroup_id_z 1
		.amdhsa_system_sgpr_workgroup_info 0
		.amdhsa_system_vgpr_workitem_id 1
		.amdhsa_next_free_vgpr 38
		.amdhsa_next_free_sgpr 20
		.amdhsa_reserve_vcc 1
		.amdhsa_float_round_mode_32 0
		.amdhsa_float_round_mode_16_64 0
		.amdhsa_float_denorm_mode_32 3
		.amdhsa_float_denorm_mode_16_64 3
		.amdhsa_dx10_clamp 1
		.amdhsa_ieee_mode 1
		.amdhsa_fp16_overflow 0
		.amdhsa_workgroup_processor_mode 1
		.amdhsa_memory_ordered 1
		.amdhsa_forward_progress 0
		.amdhsa_shared_vgpr_count 0
		.amdhsa_exception_fp_ieee_invalid_op 0
		.amdhsa_exception_fp_denorm_src 0
		.amdhsa_exception_fp_ieee_div_zero 0
		.amdhsa_exception_fp_ieee_overflow 0
		.amdhsa_exception_fp_ieee_underflow 0
		.amdhsa_exception_fp_ieee_inexact 0
		.amdhsa_exception_int_div_zero 0
	.end_amdhsa_kernel
	.section	.text._ZL37rocblas_syrkx_herkx_restricted_kernelIldLi16ELi32ELi8ELi1ELi0ELb0ELc67ELc85EKPKdKPdEviT_PT9_S5_lS7_S5_lPT10_S5_li,"axG",@progbits,_ZL37rocblas_syrkx_herkx_restricted_kernelIldLi16ELi32ELi8ELi1ELi0ELb0ELc67ELc85EKPKdKPdEviT_PT9_S5_lS7_S5_lPT10_S5_li,comdat
.Lfunc_end1481:
	.size	_ZL37rocblas_syrkx_herkx_restricted_kernelIldLi16ELi32ELi8ELi1ELi0ELb0ELc67ELc85EKPKdKPdEviT_PT9_S5_lS7_S5_lPT10_S5_li, .Lfunc_end1481-_ZL37rocblas_syrkx_herkx_restricted_kernelIldLi16ELi32ELi8ELi1ELi0ELb0ELc67ELc85EKPKdKPdEviT_PT9_S5_lS7_S5_lPT10_S5_li
                                        ; -- End function
	.section	.AMDGPU.csdata,"",@progbits
; Kernel info:
; codeLenInByte = 1460
; NumSgprs: 22
; NumVgprs: 38
; ScratchSize: 0
; MemoryBound: 0
; FloatMode: 240
; IeeeMode: 1
; LDSByteSize: 4096 bytes/workgroup (compile time only)
; SGPRBlocks: 2
; VGPRBlocks: 4
; NumSGPRsForWavesPerEU: 22
; NumVGPRsForWavesPerEU: 38
; Occupancy: 16
; WaveLimiterHint : 1
; COMPUTE_PGM_RSRC2:SCRATCH_EN: 0
; COMPUTE_PGM_RSRC2:USER_SGPR: 13
; COMPUTE_PGM_RSRC2:TRAP_HANDLER: 0
; COMPUTE_PGM_RSRC2:TGID_X_EN: 1
; COMPUTE_PGM_RSRC2:TGID_Y_EN: 1
; COMPUTE_PGM_RSRC2:TGID_Z_EN: 1
; COMPUTE_PGM_RSRC2:TIDIG_COMP_CNT: 1
	.section	.text._ZL37rocblas_syrkx_herkx_restricted_kernelIldLi16ELi32ELi8ELi1ELi0ELb0ELc78ELc85EKPKdKPdEviT_PT9_S5_lS7_S5_lPT10_S5_li,"axG",@progbits,_ZL37rocblas_syrkx_herkx_restricted_kernelIldLi16ELi32ELi8ELi1ELi0ELb0ELc78ELc85EKPKdKPdEviT_PT9_S5_lS7_S5_lPT10_S5_li,comdat
	.globl	_ZL37rocblas_syrkx_herkx_restricted_kernelIldLi16ELi32ELi8ELi1ELi0ELb0ELc78ELc85EKPKdKPdEviT_PT9_S5_lS7_S5_lPT10_S5_li ; -- Begin function _ZL37rocblas_syrkx_herkx_restricted_kernelIldLi16ELi32ELi8ELi1ELi0ELb0ELc78ELc85EKPKdKPdEviT_PT9_S5_lS7_S5_lPT10_S5_li
	.p2align	8
	.type	_ZL37rocblas_syrkx_herkx_restricted_kernelIldLi16ELi32ELi8ELi1ELi0ELb0ELc78ELc85EKPKdKPdEviT_PT9_S5_lS7_S5_lPT10_S5_li,@function
_ZL37rocblas_syrkx_herkx_restricted_kernelIldLi16ELi32ELi8ELi1ELi0ELb0ELc78ELc85EKPKdKPdEviT_PT9_S5_lS7_S5_lPT10_S5_li: ; @_ZL37rocblas_syrkx_herkx_restricted_kernelIldLi16ELi32ELi8ELi1ELi0ELb0ELc78ELc85EKPKdKPdEviT_PT9_S5_lS7_S5_lPT10_S5_li
; %bb.0:
	s_clause 0x1
	s_load_b128 s[4:7], s[0:1], 0x40
	s_load_b128 s[8:11], s[0:1], 0x8
	s_mov_b32 s2, s15
	s_mov_b32 s3, 0
	v_mov_b32_e32 v10, 0
	s_lshl_b64 s[16:17], s[2:3], 3
	v_dual_mov_b32 v11, 0 :: v_dual_and_b32 v12, 0x3ff, v0
	v_bfe_u32 v13, v0, 10, 10
	s_delay_alu instid0(VALU_DEP_3) | instskip(NEXT) | instid1(VALU_DEP_3)
	v_mov_b32_e32 v8, v10
	v_dual_mov_b32 v2, v10 :: v_dual_mov_b32 v3, v11
	v_dual_mov_b32 v9, v11 :: v_dual_mov_b32 v0, v10
	v_mov_b32_e32 v1, v11
	s_waitcnt lgkmcnt(0)
	s_add_u32 s2, s4, s16
	s_addc_u32 s3, s5, s17
	v_cmp_lt_i64_e64 s4, s[8:9], 1
	s_load_b64 s[2:3], s[2:3], 0x0
	s_lshl_b32 s18, s13, 5
	s_lshl_b32 s19, s14, 5
	s_delay_alu instid0(VALU_DEP_1)
	s_and_b32 vcc_lo, exec_lo, s4
	s_cbranch_vccnz .LBB1482_3
; %bb.1:
	v_lshl_add_u32 v1, v13, 4, v12
	s_clause 0x1
	s_load_b64 s[4:5], s[0:1], 0x18
	s_load_b128 s[12:15], s[0:1], 0x28
	s_add_u32 s10, s10, s16
	s_addc_u32 s11, s11, s17
	s_load_b64 s[10:11], s[10:11], 0x0
	v_and_b32_e32 v10, 31, v1
	v_lshrrev_b32_e32 v11, 3, v1
	v_lshrrev_b32_e32 v16, 5, v1
	s_delay_alu instid0(VALU_DEP_3) | instskip(NEXT) | instid1(VALU_DEP_3)
	v_add_nc_u32_e32 v0, s18, v10
	v_add_nc_u32_e32 v2, s19, v11
	s_delay_alu instid0(VALU_DEP_2) | instskip(NEXT) | instid1(VALU_DEP_2)
	v_ashrrev_i32_e32 v1, 31, v0
	v_ashrrev_i32_e32 v3, 31, v2
	s_waitcnt lgkmcnt(0)
	s_delay_alu instid0(VALU_DEP_2) | instskip(SKIP_4) | instid1(VALU_DEP_2)
	v_mad_u64_u32 v[4:5], null, v16, s4, v[0:1]
	v_and_b32_e32 v15, 7, v12
	s_add_u32 s12, s12, s16
	s_addc_u32 s13, s13, s17
	s_load_b64 s[12:13], s[12:13], 0x0
	v_mov_b32_e32 v0, v5
	v_mad_u64_u32 v[6:7], null, v15, s14, v[2:3]
	s_delay_alu instid0(VALU_DEP_1) | instskip(NEXT) | instid1(VALU_DEP_3)
	v_mov_b32_e32 v2, v7
	v_mad_u64_u32 v[7:8], null, v16, s5, v[0:1]
	s_lshl_b64 s[4:5], s[4:5], 6
	s_delay_alu instid0(VALU_DEP_2) | instskip(SKIP_2) | instid1(VALU_DEP_4)
	v_mad_u64_u32 v[8:9], null, v15, s15, v[2:3]
	v_lshlrev_b32_e32 v9, 3, v15
	v_lshl_add_u32 v15, v13, 6, 0x800
	v_mov_b32_e32 v5, v7
	s_delay_alu instid0(VALU_DEP_3) | instskip(SKIP_1) | instid1(VALU_DEP_3)
	v_lshl_or_b32 v11, v11, 6, v9
	v_mov_b32_e32 v7, v8
	v_lshlrev_b64 v[4:5], 3, v[4:5]
	v_mov_b32_e32 v0, 0
	v_mov_b32_e32 v1, 0
	v_add_nc_u32_e32 v17, 0x800, v11
	v_lshlrev_b64 v[6:7], 3, v[6:7]
	v_lshlrev_b32_e32 v10, 3, v10
	v_add_co_u32 v4, vcc_lo, s10, v4
	v_dual_mov_b32 v3, v1 :: v_dual_lshlrev_b32 v14, 3, v12
	v_add_co_ci_u32_e32 v5, vcc_lo, s11, v5, vcc_lo
	v_dual_mov_b32 v2, v0 :: v_dual_mov_b32 v9, v1
	s_waitcnt lgkmcnt(0)
	v_add_co_u32 v6, vcc_lo, s12, v6
	v_mov_b32_e32 v8, v0
	v_lshl_or_b32 v16, v16, 8, v10
	v_mov_b32_e32 v11, v1
	v_add_co_ci_u32_e32 v7, vcc_lo, s13, v7, vcc_lo
	v_mov_b32_e32 v10, v0
	s_lshl_b64 s[10:11], s[14:15], 6
	s_mov_b64 s[12:13], 0
.LBB1482_2:                             ; =>This Inner Loop Header: Depth=1
	global_load_b64 v[18:19], v[4:5], off
	global_load_b64 v[20:21], v[6:7], off
	s_add_u32 s12, s12, 8
	v_add_co_u32 v4, vcc_lo, v4, s4
	s_addc_u32 s13, s13, 0
	v_add_co_ci_u32_e32 v5, vcc_lo, s5, v5, vcc_lo
	v_cmp_ge_u64_e64 s14, s[12:13], s[8:9]
	v_add_co_u32 v6, vcc_lo, v6, s10
	v_add_co_ci_u32_e32 v7, vcc_lo, s11, v7, vcc_lo
	s_waitcnt vmcnt(1)
	ds_store_b64 v16, v[18:19]
	s_waitcnt vmcnt(0)
	ds_store_b64 v17, v[20:21]
	s_waitcnt lgkmcnt(0)
	s_barrier
	buffer_gl0_inv
	ds_load_2addr_b64 v[18:21], v14 offset1:16
	ds_load_b128 v[22:25], v15
	ds_load_b128 v[26:29], v15 offset:1024
	ds_load_b128 v[30:33], v15 offset:16
	;; [unrolled: 1-line block ×3, first 2 shown]
	s_and_b32 vcc_lo, exec_lo, s14
	s_waitcnt lgkmcnt(3)
	v_fma_f64 v[10:11], v[18:19], v[22:23], v[10:11]
	v_fma_f64 v[8:9], v[20:21], v[22:23], v[8:9]
	s_waitcnt lgkmcnt(2)
	v_fma_f64 v[18:19], v[18:19], v[26:27], v[2:3]
	v_fma_f64 v[20:21], v[20:21], v[26:27], v[0:1]
	ds_load_2addr_b64 v[0:3], v14 offset0:32 offset1:48
	s_waitcnt lgkmcnt(0)
	v_fma_f64 v[10:11], v[0:1], v[24:25], v[10:11]
	v_fma_f64 v[8:9], v[2:3], v[24:25], v[8:9]
	v_fma_f64 v[18:19], v[0:1], v[28:29], v[18:19]
	v_fma_f64 v[20:21], v[2:3], v[28:29], v[20:21]
	ds_load_2addr_b64 v[0:3], v14 offset0:64 offset1:80
	s_waitcnt lgkmcnt(0)
	v_fma_f64 v[10:11], v[0:1], v[30:31], v[10:11]
	v_fma_f64 v[8:9], v[2:3], v[30:31], v[8:9]
	;; [unrolled: 6-line block ×3, first 2 shown]
	v_fma_f64 v[34:35], v[0:1], v[36:37], v[18:19]
	v_fma_f64 v[36:37], v[2:3], v[36:37], v[20:21]
	ds_load_2addr_b64 v[0:3], v14 offset0:128 offset1:144
	ds_load_b128 v[8:11], v15 offset:32
	ds_load_b128 v[18:21], v15 offset:1056
	;; [unrolled: 1-line block ×4, first 2 shown]
	s_waitcnt lgkmcnt(3)
	v_fma_f64 v[30:31], v[0:1], v[8:9], v[30:31]
	v_fma_f64 v[8:9], v[2:3], v[8:9], v[32:33]
	s_waitcnt lgkmcnt(2)
	v_fma_f64 v[32:33], v[0:1], v[18:19], v[34:35]
	v_fma_f64 v[18:19], v[2:3], v[18:19], v[36:37]
	ds_load_2addr_b64 v[0:3], v14 offset0:160 offset1:176
	s_waitcnt lgkmcnt(0)
	v_fma_f64 v[30:31], v[0:1], v[10:11], v[30:31]
	v_fma_f64 v[8:9], v[2:3], v[10:11], v[8:9]
	;; [unrolled: 1-line block ×4, first 2 shown]
	ds_load_2addr_b64 v[0:3], v14 offset0:192 offset1:208
	s_waitcnt lgkmcnt(0)
	v_fma_f64 v[30:31], v[0:1], v[22:23], v[30:31]
	v_fma_f64 v[8:9], v[2:3], v[22:23], v[8:9]
	v_fma_f64 v[0:1], v[0:1], v[26:27], v[10:11]
	v_fma_f64 v[22:23], v[2:3], v[26:27], v[18:19]
	ds_load_2addr_b64 v[18:21], v14 offset0:224 offset1:240
	s_waitcnt lgkmcnt(0)
	s_barrier
	buffer_gl0_inv
	v_fma_f64 v[10:11], v[18:19], v[24:25], v[30:31]
	v_fma_f64 v[8:9], v[20:21], v[24:25], v[8:9]
	;; [unrolled: 1-line block ×4, first 2 shown]
	s_cbranch_vccz .LBB1482_2
.LBB1482_3:
	v_add_nc_u32_e32 v13, s19, v13
	s_load_b32 s4, s[0:1], 0x0
	s_delay_alu instid0(VALU_DEP_1) | instskip(SKIP_2) | instid1(VALU_DEP_3)
	v_ashrrev_i32_e32 v4, 31, v13
	v_mul_lo_u32 v7, v13, s7
	v_mad_u64_u32 v[5:6], null, v13, s6, 0
	v_mul_lo_u32 v4, v4, s6
	s_delay_alu instid0(VALU_DEP_1) | instskip(SKIP_3) | instid1(VALU_DEP_3)
	v_add3_u32 v6, v6, v7, v4
	v_add_nc_u32_e32 v4, s18, v12
	s_waitcnt lgkmcnt(0)
	v_cmp_gt_i32_e32 vcc_lo, s4, v13
	v_lshlrev_b64 v[5:6], 3, v[5:6]
	s_delay_alu instid0(VALU_DEP_3) | instskip(NEXT) | instid1(VALU_DEP_1)
	v_cmp_le_i32_e64 s0, v4, v13
	s_and_b32 s0, vcc_lo, s0
	s_delay_alu instid0(VALU_DEP_2) | instskip(NEXT) | instid1(VALU_DEP_1)
	v_add_co_u32 v12, s1, s2, v5
	v_add_co_ci_u32_e64 v14, s1, s3, v6, s1
	s_and_saveexec_b32 s1, s0
	s_cbranch_execz .LBB1482_5
; %bb.4:
	v_ashrrev_i32_e32 v5, 31, v4
	s_delay_alu instid0(VALU_DEP_1) | instskip(NEXT) | instid1(VALU_DEP_1)
	v_lshlrev_b64 v[5:6], 3, v[4:5]
	v_add_co_u32 v5, s0, v12, v5
	s_delay_alu instid0(VALU_DEP_1)
	v_add_co_ci_u32_e64 v6, s0, v14, v6, s0
	global_store_b64 v[5:6], v[10:11], off
.LBB1482_5:
	s_or_b32 exec_lo, exec_lo, s1
	v_add_nc_u32_e32 v6, 16, v4
	s_delay_alu instid0(VALU_DEP_1) | instskip(NEXT) | instid1(VALU_DEP_1)
	v_cmp_le_i32_e64 s0, v6, v13
	s_and_b32 s1, vcc_lo, s0
	s_delay_alu instid0(SALU_CYCLE_1)
	s_and_saveexec_b32 s0, s1
	s_cbranch_execz .LBB1482_7
; %bb.6:
	v_ashrrev_i32_e32 v7, 31, v6
	s_delay_alu instid0(VALU_DEP_1) | instskip(NEXT) | instid1(VALU_DEP_1)
	v_lshlrev_b64 v[10:11], 3, v[6:7]
	v_add_co_u32 v10, vcc_lo, v12, v10
	s_delay_alu instid0(VALU_DEP_2)
	v_add_co_ci_u32_e32 v11, vcc_lo, v14, v11, vcc_lo
	global_store_b64 v[10:11], v[8:9], off
.LBB1482_7:
	s_or_b32 exec_lo, exec_lo, s0
	v_add_nc_u32_e32 v7, 16, v13
	s_delay_alu instid0(VALU_DEP_1) | instskip(SKIP_3) | instid1(VALU_DEP_4)
	v_ashrrev_i32_e32 v5, 31, v7
	v_mul_lo_u32 v10, v7, s7
	v_mad_u64_u32 v[8:9], null, v7, s6, 0
	v_cmp_gt_i32_e32 vcc_lo, s4, v7
	v_mul_lo_u32 v5, v5, s6
	v_cmp_le_i32_e64 s0, v4, v7
	s_delay_alu instid0(VALU_DEP_1) | instskip(NEXT) | instid1(VALU_DEP_2)
	s_and_b32 s0, vcc_lo, s0
	v_add3_u32 v9, v9, v10, v5
	s_delay_alu instid0(VALU_DEP_1) | instskip(NEXT) | instid1(VALU_DEP_1)
	v_lshlrev_b64 v[8:9], 3, v[8:9]
	v_add_co_u32 v8, s1, s2, v8
	s_delay_alu instid0(VALU_DEP_1)
	v_add_co_ci_u32_e64 v9, s1, s3, v9, s1
	s_and_saveexec_b32 s1, s0
	s_cbranch_execz .LBB1482_9
; %bb.8:
	v_ashrrev_i32_e32 v5, 31, v4
	s_delay_alu instid0(VALU_DEP_1) | instskip(NEXT) | instid1(VALU_DEP_1)
	v_lshlrev_b64 v[4:5], 3, v[4:5]
	v_add_co_u32 v4, s0, v8, v4
	s_delay_alu instid0(VALU_DEP_1)
	v_add_co_ci_u32_e64 v5, s0, v9, v5, s0
	global_store_b64 v[4:5], v[2:3], off
.LBB1482_9:
	s_or_b32 exec_lo, exec_lo, s1
	v_cmp_le_i32_e64 s0, v6, v7
	s_delay_alu instid0(VALU_DEP_1) | instskip(NEXT) | instid1(SALU_CYCLE_1)
	s_and_b32 s0, vcc_lo, s0
	s_and_saveexec_b32 s1, s0
	s_cbranch_execz .LBB1482_11
; %bb.10:
	v_ashrrev_i32_e32 v7, 31, v6
	s_delay_alu instid0(VALU_DEP_1) | instskip(NEXT) | instid1(VALU_DEP_1)
	v_lshlrev_b64 v[2:3], 3, v[6:7]
	v_add_co_u32 v2, vcc_lo, v8, v2
	s_delay_alu instid0(VALU_DEP_2)
	v_add_co_ci_u32_e32 v3, vcc_lo, v9, v3, vcc_lo
	global_store_b64 v[2:3], v[0:1], off
.LBB1482_11:
	s_nop 0
	s_sendmsg sendmsg(MSG_DEALLOC_VGPRS)
	s_endpgm
	.section	.rodata,"a",@progbits
	.p2align	6, 0x0
	.amdhsa_kernel _ZL37rocblas_syrkx_herkx_restricted_kernelIldLi16ELi32ELi8ELi1ELi0ELb0ELc78ELc85EKPKdKPdEviT_PT9_S5_lS7_S5_lPT10_S5_li
		.amdhsa_group_segment_fixed_size 4096
		.amdhsa_private_segment_fixed_size 0
		.amdhsa_kernarg_size 92
		.amdhsa_user_sgpr_count 13
		.amdhsa_user_sgpr_dispatch_ptr 0
		.amdhsa_user_sgpr_queue_ptr 0
		.amdhsa_user_sgpr_kernarg_segment_ptr 1
		.amdhsa_user_sgpr_dispatch_id 0
		.amdhsa_user_sgpr_private_segment_size 0
		.amdhsa_wavefront_size32 1
		.amdhsa_uses_dynamic_stack 0
		.amdhsa_enable_private_segment 0
		.amdhsa_system_sgpr_workgroup_id_x 1
		.amdhsa_system_sgpr_workgroup_id_y 1
		.amdhsa_system_sgpr_workgroup_id_z 1
		.amdhsa_system_sgpr_workgroup_info 0
		.amdhsa_system_vgpr_workitem_id 1
		.amdhsa_next_free_vgpr 38
		.amdhsa_next_free_sgpr 20
		.amdhsa_reserve_vcc 1
		.amdhsa_float_round_mode_32 0
		.amdhsa_float_round_mode_16_64 0
		.amdhsa_float_denorm_mode_32 3
		.amdhsa_float_denorm_mode_16_64 3
		.amdhsa_dx10_clamp 1
		.amdhsa_ieee_mode 1
		.amdhsa_fp16_overflow 0
		.amdhsa_workgroup_processor_mode 1
		.amdhsa_memory_ordered 1
		.amdhsa_forward_progress 0
		.amdhsa_shared_vgpr_count 0
		.amdhsa_exception_fp_ieee_invalid_op 0
		.amdhsa_exception_fp_denorm_src 0
		.amdhsa_exception_fp_ieee_div_zero 0
		.amdhsa_exception_fp_ieee_overflow 0
		.amdhsa_exception_fp_ieee_underflow 0
		.amdhsa_exception_fp_ieee_inexact 0
		.amdhsa_exception_int_div_zero 0
	.end_amdhsa_kernel
	.section	.text._ZL37rocblas_syrkx_herkx_restricted_kernelIldLi16ELi32ELi8ELi1ELi0ELb0ELc78ELc85EKPKdKPdEviT_PT9_S5_lS7_S5_lPT10_S5_li,"axG",@progbits,_ZL37rocblas_syrkx_herkx_restricted_kernelIldLi16ELi32ELi8ELi1ELi0ELb0ELc78ELc85EKPKdKPdEviT_PT9_S5_lS7_S5_lPT10_S5_li,comdat
.Lfunc_end1482:
	.size	_ZL37rocblas_syrkx_herkx_restricted_kernelIldLi16ELi32ELi8ELi1ELi0ELb0ELc78ELc85EKPKdKPdEviT_PT9_S5_lS7_S5_lPT10_S5_li, .Lfunc_end1482-_ZL37rocblas_syrkx_herkx_restricted_kernelIldLi16ELi32ELi8ELi1ELi0ELb0ELc78ELc85EKPKdKPdEviT_PT9_S5_lS7_S5_lPT10_S5_li
                                        ; -- End function
	.section	.AMDGPU.csdata,"",@progbits
; Kernel info:
; codeLenInByte = 1448
; NumSgprs: 22
; NumVgprs: 38
; ScratchSize: 0
; MemoryBound: 0
; FloatMode: 240
; IeeeMode: 1
; LDSByteSize: 4096 bytes/workgroup (compile time only)
; SGPRBlocks: 2
; VGPRBlocks: 4
; NumSGPRsForWavesPerEU: 22
; NumVGPRsForWavesPerEU: 38
; Occupancy: 16
; WaveLimiterHint : 1
; COMPUTE_PGM_RSRC2:SCRATCH_EN: 0
; COMPUTE_PGM_RSRC2:USER_SGPR: 13
; COMPUTE_PGM_RSRC2:TRAP_HANDLER: 0
; COMPUTE_PGM_RSRC2:TGID_X_EN: 1
; COMPUTE_PGM_RSRC2:TGID_Y_EN: 1
; COMPUTE_PGM_RSRC2:TGID_Z_EN: 1
; COMPUTE_PGM_RSRC2:TIDIG_COMP_CNT: 1
	.section	.text._ZL37rocblas_syrkx_herkx_restricted_kernelIldLi16ELi32ELi8ELin1ELi0ELb0ELc84ELc76EKPKdKPdEviT_PT9_S5_lS7_S5_lPT10_S5_li,"axG",@progbits,_ZL37rocblas_syrkx_herkx_restricted_kernelIldLi16ELi32ELi8ELin1ELi0ELb0ELc84ELc76EKPKdKPdEviT_PT9_S5_lS7_S5_lPT10_S5_li,comdat
	.globl	_ZL37rocblas_syrkx_herkx_restricted_kernelIldLi16ELi32ELi8ELin1ELi0ELb0ELc84ELc76EKPKdKPdEviT_PT9_S5_lS7_S5_lPT10_S5_li ; -- Begin function _ZL37rocblas_syrkx_herkx_restricted_kernelIldLi16ELi32ELi8ELin1ELi0ELb0ELc84ELc76EKPKdKPdEviT_PT9_S5_lS7_S5_lPT10_S5_li
	.p2align	8
	.type	_ZL37rocblas_syrkx_herkx_restricted_kernelIldLi16ELi32ELi8ELin1ELi0ELb0ELc84ELc76EKPKdKPdEviT_PT9_S5_lS7_S5_lPT10_S5_li,@function
_ZL37rocblas_syrkx_herkx_restricted_kernelIldLi16ELi32ELi8ELin1ELi0ELb0ELc84ELc76EKPKdKPdEviT_PT9_S5_lS7_S5_lPT10_S5_li: ; @_ZL37rocblas_syrkx_herkx_restricted_kernelIldLi16ELi32ELi8ELin1ELi0ELb0ELc84ELc76EKPKdKPdEviT_PT9_S5_lS7_S5_lPT10_S5_li
; %bb.0:
	s_clause 0x1
	s_load_b128 s[4:7], s[0:1], 0x40
	s_load_b128 s[8:11], s[0:1], 0x8
	s_mov_b32 s2, s15
	s_mov_b32 s3, 0
	v_mov_b32_e32 v10, 0
	s_lshl_b64 s[16:17], s[2:3], 3
	v_dual_mov_b32 v11, 0 :: v_dual_and_b32 v12, 0x3ff, v0
	v_bfe_u32 v13, v0, 10, 10
	s_delay_alu instid0(VALU_DEP_3) | instskip(NEXT) | instid1(VALU_DEP_3)
	v_mov_b32_e32 v8, v10
	v_dual_mov_b32 v2, v10 :: v_dual_mov_b32 v3, v11
	v_dual_mov_b32 v9, v11 :: v_dual_mov_b32 v0, v10
	v_mov_b32_e32 v1, v11
	s_waitcnt lgkmcnt(0)
	s_add_u32 s2, s4, s16
	s_addc_u32 s3, s5, s17
	v_cmp_lt_i64_e64 s4, s[8:9], 1
	s_load_b64 s[2:3], s[2:3], 0x0
	s_lshl_b32 s18, s13, 5
	s_lshl_b32 s19, s14, 5
	s_delay_alu instid0(VALU_DEP_1)
	s_and_b32 vcc_lo, exec_lo, s4
	s_cbranch_vccnz .LBB1483_3
; %bb.1:
	s_clause 0x1
	s_load_b128 s[12:15], s[0:1], 0x28
	s_load_b64 s[4:5], s[0:1], 0x18
	v_lshl_add_u32 v2, v13, 4, v12
	v_dual_mov_b32 v1, 0 :: v_dual_and_b32 v0, 7, v12
	s_add_u32 s10, s10, s16
	s_addc_u32 s11, s11, s17
	s_delay_alu instid0(VALU_DEP_2)
	v_lshrrev_b32_e32 v8, 3, v2
	v_and_b32_e32 v9, 31, v2
	v_lshrrev_b32_e32 v2, 5, v2
	v_mov_b32_e32 v3, v1
	s_load_b64 s[10:11], s[10:11], 0x0
	v_add_nc_u32_e32 v10, s19, v8
	v_add_nc_u32_e32 v6, s18, v9
	v_lshl_add_u32 v17, v13, 6, 0x800
	s_delay_alu instid0(VALU_DEP_3) | instskip(NEXT) | instid1(VALU_DEP_3)
	v_ashrrev_i32_e32 v4, 31, v10
	v_ashrrev_i32_e32 v5, 31, v6
	s_waitcnt lgkmcnt(0)
	s_add_u32 s12, s12, s16
	s_addc_u32 s13, s13, s17
	v_mul_lo_u32 v11, v4, s14
	v_mul_lo_u32 v15, s4, v5
	v_mad_u64_u32 v[4:5], null, s4, v6, v[2:3]
	v_mul_lo_u32 v3, s5, v6
	s_load_b64 s[4:5], s[12:13], 0x0
	v_mul_lo_u32 v14, v10, s15
	v_mad_u64_u32 v[6:7], null, v10, s14, v[0:1]
	v_lshlrev_b32_e32 v0, 3, v0
	v_lshlrev_b32_e32 v1, 3, v9
	v_add3_u32 v5, v3, v5, v15
	s_delay_alu instid0(VALU_DEP_3) | instskip(SKIP_1) | instid1(VALU_DEP_4)
	v_lshl_or_b32 v0, v8, 6, v0
	v_add3_u32 v7, v11, v7, v14
	v_lshl_or_b32 v14, v2, 8, v1
	s_delay_alu instid0(VALU_DEP_4) | instskip(NEXT) | instid1(VALU_DEP_4)
	v_lshlrev_b64 v[2:3], 3, v[4:5]
	v_add_nc_u32_e32 v15, 0x800, v0
	s_delay_alu instid0(VALU_DEP_4)
	v_lshlrev_b64 v[6:7], 3, v[6:7]
	v_mov_b32_e32 v0, 0
	v_mov_b32_e32 v1, 0
	v_add_co_u32 v4, vcc_lo, s10, v2
	v_add_co_ci_u32_e32 v5, vcc_lo, s11, v3, vcc_lo
	s_waitcnt lgkmcnt(0)
	v_add_co_u32 v6, vcc_lo, s4, v6
	v_dual_mov_b32 v3, v1 :: v_dual_lshlrev_b32 v16, 3, v12
	v_add_co_ci_u32_e32 v7, vcc_lo, s5, v7, vcc_lo
	v_dual_mov_b32 v2, v0 :: v_dual_mov_b32 v9, v1
	v_dual_mov_b32 v8, v0 :: v_dual_mov_b32 v11, v1
	v_mov_b32_e32 v10, v0
	s_mov_b64 s[4:5], 0
.LBB1483_2:                             ; =>This Inner Loop Header: Depth=1
	global_load_b64 v[18:19], v[4:5], off
	global_load_b64 v[20:21], v[6:7], off
	s_add_u32 s4, s4, 8
	v_add_co_u32 v4, vcc_lo, v4, 64
	s_addc_u32 s5, s5, 0
	v_add_co_ci_u32_e32 v5, vcc_lo, 0, v5, vcc_lo
	v_cmp_ge_u64_e64 s10, s[4:5], s[8:9]
	v_add_co_u32 v6, vcc_lo, v6, 64
	v_add_co_ci_u32_e32 v7, vcc_lo, 0, v7, vcc_lo
	s_waitcnt vmcnt(1)
	ds_store_b64 v14, v[18:19]
	s_waitcnt vmcnt(0)
	ds_store_b64 v15, v[20:21]
	s_waitcnt lgkmcnt(0)
	s_barrier
	buffer_gl0_inv
	ds_load_2addr_b64 v[18:21], v16 offset1:16
	ds_load_b128 v[22:25], v17
	ds_load_b128 v[26:29], v17 offset:1024
	ds_load_b128 v[30:33], v17 offset:16
	;; [unrolled: 1-line block ×3, first 2 shown]
	s_and_b32 vcc_lo, exec_lo, s10
	s_waitcnt lgkmcnt(3)
	v_fma_f64 v[10:11], v[18:19], v[22:23], v[10:11]
	v_fma_f64 v[8:9], v[20:21], v[22:23], v[8:9]
	s_waitcnt lgkmcnt(2)
	v_fma_f64 v[18:19], v[18:19], v[26:27], v[2:3]
	v_fma_f64 v[20:21], v[20:21], v[26:27], v[0:1]
	ds_load_2addr_b64 v[0:3], v16 offset0:32 offset1:48
	s_waitcnt lgkmcnt(0)
	v_fma_f64 v[10:11], v[0:1], v[24:25], v[10:11]
	v_fma_f64 v[8:9], v[2:3], v[24:25], v[8:9]
	v_fma_f64 v[18:19], v[0:1], v[28:29], v[18:19]
	v_fma_f64 v[20:21], v[2:3], v[28:29], v[20:21]
	ds_load_2addr_b64 v[0:3], v16 offset0:64 offset1:80
	s_waitcnt lgkmcnt(0)
	v_fma_f64 v[10:11], v[0:1], v[30:31], v[10:11]
	v_fma_f64 v[8:9], v[2:3], v[30:31], v[8:9]
	;; [unrolled: 6-line block ×3, first 2 shown]
	v_fma_f64 v[34:35], v[0:1], v[36:37], v[18:19]
	v_fma_f64 v[36:37], v[2:3], v[36:37], v[20:21]
	ds_load_2addr_b64 v[0:3], v16 offset0:128 offset1:144
	ds_load_b128 v[8:11], v17 offset:32
	ds_load_b128 v[18:21], v17 offset:1056
	;; [unrolled: 1-line block ×4, first 2 shown]
	s_waitcnt lgkmcnt(3)
	v_fma_f64 v[30:31], v[0:1], v[8:9], v[30:31]
	v_fma_f64 v[8:9], v[2:3], v[8:9], v[32:33]
	s_waitcnt lgkmcnt(2)
	v_fma_f64 v[32:33], v[0:1], v[18:19], v[34:35]
	v_fma_f64 v[18:19], v[2:3], v[18:19], v[36:37]
	ds_load_2addr_b64 v[0:3], v16 offset0:160 offset1:176
	s_waitcnt lgkmcnt(0)
	v_fma_f64 v[30:31], v[0:1], v[10:11], v[30:31]
	v_fma_f64 v[8:9], v[2:3], v[10:11], v[8:9]
	v_fma_f64 v[10:11], v[0:1], v[20:21], v[32:33]
	v_fma_f64 v[18:19], v[2:3], v[20:21], v[18:19]
	ds_load_2addr_b64 v[0:3], v16 offset0:192 offset1:208
	s_waitcnt lgkmcnt(0)
	v_fma_f64 v[30:31], v[0:1], v[22:23], v[30:31]
	v_fma_f64 v[8:9], v[2:3], v[22:23], v[8:9]
	;; [unrolled: 1-line block ×4, first 2 shown]
	ds_load_2addr_b64 v[18:21], v16 offset0:224 offset1:240
	s_waitcnt lgkmcnt(0)
	s_barrier
	buffer_gl0_inv
	v_fma_f64 v[10:11], v[18:19], v[24:25], v[30:31]
	v_fma_f64 v[8:9], v[20:21], v[24:25], v[8:9]
	;; [unrolled: 1-line block ×4, first 2 shown]
	s_cbranch_vccz .LBB1483_2
.LBB1483_3:
	v_add_nc_u32_e32 v13, s19, v13
	s_load_b32 s4, s[0:1], 0x0
	s_delay_alu instid0(VALU_DEP_1) | instskip(SKIP_2) | instid1(VALU_DEP_3)
	v_ashrrev_i32_e32 v4, 31, v13
	v_mul_lo_u32 v7, v13, s7
	v_mad_u64_u32 v[5:6], null, v13, s6, 0
	v_mul_lo_u32 v4, v4, s6
	s_delay_alu instid0(VALU_DEP_1) | instskip(SKIP_1) | instid1(VALU_DEP_2)
	v_add3_u32 v6, v6, v7, v4
	v_add_nc_u32_e32 v4, s18, v12
	v_lshlrev_b64 v[5:6], 3, v[5:6]
	s_delay_alu instid0(VALU_DEP_2) | instskip(SKIP_2) | instid1(VALU_DEP_3)
	v_cmp_le_i32_e64 s0, v13, v4
	s_waitcnt lgkmcnt(0)
	v_cmp_gt_i32_e32 vcc_lo, s4, v4
	v_add_co_u32 v12, s1, s2, v5
	s_delay_alu instid0(VALU_DEP_1) | instskip(SKIP_1) | instid1(SALU_CYCLE_1)
	v_add_co_ci_u32_e64 v14, s1, s3, v6, s1
	s_and_b32 s0, s0, vcc_lo
	s_and_saveexec_b32 s1, s0
	s_cbranch_execz .LBB1483_5
; %bb.4:
	v_ashrrev_i32_e32 v5, 31, v4
	v_xor_b32_e32 v11, 0x80000000, v11
	s_delay_alu instid0(VALU_DEP_2) | instskip(NEXT) | instid1(VALU_DEP_1)
	v_lshlrev_b64 v[5:6], 3, v[4:5]
	v_add_co_u32 v5, s0, v12, v5
	s_delay_alu instid0(VALU_DEP_1)
	v_add_co_ci_u32_e64 v6, s0, v14, v6, s0
	global_store_b64 v[5:6], v[10:11], off
.LBB1483_5:
	s_or_b32 exec_lo, exec_lo, s1
	v_add_nc_u32_e32 v6, 16, v4
	s_delay_alu instid0(VALU_DEP_1) | instskip(SKIP_1) | instid1(VALU_DEP_1)
	v_cmp_le_i32_e64 s1, v13, v6
	v_cmp_gt_i32_e64 s0, s4, v6
	s_and_b32 s1, s1, s0
	s_delay_alu instid0(SALU_CYCLE_1)
	s_and_saveexec_b32 s4, s1
	s_cbranch_execz .LBB1483_7
; %bb.6:
	v_ashrrev_i32_e32 v7, 31, v6
	v_xor_b32_e32 v9, 0x80000000, v9
	s_delay_alu instid0(VALU_DEP_2) | instskip(NEXT) | instid1(VALU_DEP_1)
	v_lshlrev_b64 v[10:11], 3, v[6:7]
	v_add_co_u32 v10, s1, v12, v10
	s_delay_alu instid0(VALU_DEP_1)
	v_add_co_ci_u32_e64 v11, s1, v14, v11, s1
	global_store_b64 v[10:11], v[8:9], off
.LBB1483_7:
	s_or_b32 exec_lo, exec_lo, s4
	v_add_nc_u32_e32 v7, 16, v13
	s_delay_alu instid0(VALU_DEP_1) | instskip(SKIP_3) | instid1(VALU_DEP_4)
	v_ashrrev_i32_e32 v5, 31, v7
	v_mul_lo_u32 v10, v7, s7
	v_mad_u64_u32 v[8:9], null, v7, s6, 0
	v_cmp_le_i32_e64 s1, v7, v4
	v_mul_lo_u32 v5, v5, s6
	s_delay_alu instid0(VALU_DEP_1) | instskip(NEXT) | instid1(VALU_DEP_1)
	v_add3_u32 v9, v9, v10, v5
	v_lshlrev_b64 v[8:9], 3, v[8:9]
	s_delay_alu instid0(VALU_DEP_1) | instskip(NEXT) | instid1(VALU_DEP_1)
	v_add_co_u32 v8, s2, s2, v8
	v_add_co_ci_u32_e64 v9, s2, s3, v9, s2
	s_and_b32 s2, s1, vcc_lo
	s_delay_alu instid0(SALU_CYCLE_1)
	s_and_saveexec_b32 s1, s2
	s_cbranch_execz .LBB1483_9
; %bb.8:
	v_ashrrev_i32_e32 v5, 31, v4
	v_xor_b32_e32 v3, 0x80000000, v3
	s_delay_alu instid0(VALU_DEP_2) | instskip(NEXT) | instid1(VALU_DEP_1)
	v_lshlrev_b64 v[4:5], 3, v[4:5]
	v_add_co_u32 v4, vcc_lo, v8, v4
	s_delay_alu instid0(VALU_DEP_2)
	v_add_co_ci_u32_e32 v5, vcc_lo, v9, v5, vcc_lo
	global_store_b64 v[4:5], v[2:3], off
.LBB1483_9:
	s_or_b32 exec_lo, exec_lo, s1
	v_cmp_le_i32_e32 vcc_lo, v7, v6
	s_and_b32 s0, vcc_lo, s0
	s_delay_alu instid0(SALU_CYCLE_1)
	s_and_saveexec_b32 s1, s0
	s_cbranch_execz .LBB1483_11
; %bb.10:
	v_ashrrev_i32_e32 v7, 31, v6
	v_xor_b32_e32 v1, 0x80000000, v1
	s_delay_alu instid0(VALU_DEP_2) | instskip(NEXT) | instid1(VALU_DEP_1)
	v_lshlrev_b64 v[2:3], 3, v[6:7]
	v_add_co_u32 v2, vcc_lo, v8, v2
	s_delay_alu instid0(VALU_DEP_2)
	v_add_co_ci_u32_e32 v3, vcc_lo, v9, v3, vcc_lo
	global_store_b64 v[2:3], v[0:1], off
.LBB1483_11:
	s_nop 0
	s_sendmsg sendmsg(MSG_DEALLOC_VGPRS)
	s_endpgm
	.section	.rodata,"a",@progbits
	.p2align	6, 0x0
	.amdhsa_kernel _ZL37rocblas_syrkx_herkx_restricted_kernelIldLi16ELi32ELi8ELin1ELi0ELb0ELc84ELc76EKPKdKPdEviT_PT9_S5_lS7_S5_lPT10_S5_li
		.amdhsa_group_segment_fixed_size 4096
		.amdhsa_private_segment_fixed_size 0
		.amdhsa_kernarg_size 92
		.amdhsa_user_sgpr_count 13
		.amdhsa_user_sgpr_dispatch_ptr 0
		.amdhsa_user_sgpr_queue_ptr 0
		.amdhsa_user_sgpr_kernarg_segment_ptr 1
		.amdhsa_user_sgpr_dispatch_id 0
		.amdhsa_user_sgpr_private_segment_size 0
		.amdhsa_wavefront_size32 1
		.amdhsa_uses_dynamic_stack 0
		.amdhsa_enable_private_segment 0
		.amdhsa_system_sgpr_workgroup_id_x 1
		.amdhsa_system_sgpr_workgroup_id_y 1
		.amdhsa_system_sgpr_workgroup_id_z 1
		.amdhsa_system_sgpr_workgroup_info 0
		.amdhsa_system_vgpr_workitem_id 1
		.amdhsa_next_free_vgpr 38
		.amdhsa_next_free_sgpr 20
		.amdhsa_reserve_vcc 1
		.amdhsa_float_round_mode_32 0
		.amdhsa_float_round_mode_16_64 0
		.amdhsa_float_denorm_mode_32 3
		.amdhsa_float_denorm_mode_16_64 3
		.amdhsa_dx10_clamp 1
		.amdhsa_ieee_mode 1
		.amdhsa_fp16_overflow 0
		.amdhsa_workgroup_processor_mode 1
		.amdhsa_memory_ordered 1
		.amdhsa_forward_progress 0
		.amdhsa_shared_vgpr_count 0
		.amdhsa_exception_fp_ieee_invalid_op 0
		.amdhsa_exception_fp_denorm_src 0
		.amdhsa_exception_fp_ieee_div_zero 0
		.amdhsa_exception_fp_ieee_overflow 0
		.amdhsa_exception_fp_ieee_underflow 0
		.amdhsa_exception_fp_ieee_inexact 0
		.amdhsa_exception_int_div_zero 0
	.end_amdhsa_kernel
	.section	.text._ZL37rocblas_syrkx_herkx_restricted_kernelIldLi16ELi32ELi8ELin1ELi0ELb0ELc84ELc76EKPKdKPdEviT_PT9_S5_lS7_S5_lPT10_S5_li,"axG",@progbits,_ZL37rocblas_syrkx_herkx_restricted_kernelIldLi16ELi32ELi8ELin1ELi0ELb0ELc84ELc76EKPKdKPdEviT_PT9_S5_lS7_S5_lPT10_S5_li,comdat
.Lfunc_end1483:
	.size	_ZL37rocblas_syrkx_herkx_restricted_kernelIldLi16ELi32ELi8ELin1ELi0ELb0ELc84ELc76EKPKdKPdEviT_PT9_S5_lS7_S5_lPT10_S5_li, .Lfunc_end1483-_ZL37rocblas_syrkx_herkx_restricted_kernelIldLi16ELi32ELi8ELin1ELi0ELb0ELc84ELc76EKPKdKPdEviT_PT9_S5_lS7_S5_lPT10_S5_li
                                        ; -- End function
	.section	.AMDGPU.csdata,"",@progbits
; Kernel info:
; codeLenInByte = 1492
; NumSgprs: 22
; NumVgprs: 38
; ScratchSize: 0
; MemoryBound: 0
; FloatMode: 240
; IeeeMode: 1
; LDSByteSize: 4096 bytes/workgroup (compile time only)
; SGPRBlocks: 2
; VGPRBlocks: 4
; NumSGPRsForWavesPerEU: 22
; NumVGPRsForWavesPerEU: 38
; Occupancy: 16
; WaveLimiterHint : 1
; COMPUTE_PGM_RSRC2:SCRATCH_EN: 0
; COMPUTE_PGM_RSRC2:USER_SGPR: 13
; COMPUTE_PGM_RSRC2:TRAP_HANDLER: 0
; COMPUTE_PGM_RSRC2:TGID_X_EN: 1
; COMPUTE_PGM_RSRC2:TGID_Y_EN: 1
; COMPUTE_PGM_RSRC2:TGID_Z_EN: 1
; COMPUTE_PGM_RSRC2:TIDIG_COMP_CNT: 1
	.section	.text._ZL37rocblas_syrkx_herkx_restricted_kernelIldLi16ELi32ELi8ELin1ELi0ELb0ELc67ELc76EKPKdKPdEviT_PT9_S5_lS7_S5_lPT10_S5_li,"axG",@progbits,_ZL37rocblas_syrkx_herkx_restricted_kernelIldLi16ELi32ELi8ELin1ELi0ELb0ELc67ELc76EKPKdKPdEviT_PT9_S5_lS7_S5_lPT10_S5_li,comdat
	.globl	_ZL37rocblas_syrkx_herkx_restricted_kernelIldLi16ELi32ELi8ELin1ELi0ELb0ELc67ELc76EKPKdKPdEviT_PT9_S5_lS7_S5_lPT10_S5_li ; -- Begin function _ZL37rocblas_syrkx_herkx_restricted_kernelIldLi16ELi32ELi8ELin1ELi0ELb0ELc67ELc76EKPKdKPdEviT_PT9_S5_lS7_S5_lPT10_S5_li
	.p2align	8
	.type	_ZL37rocblas_syrkx_herkx_restricted_kernelIldLi16ELi32ELi8ELin1ELi0ELb0ELc67ELc76EKPKdKPdEviT_PT9_S5_lS7_S5_lPT10_S5_li,@function
_ZL37rocblas_syrkx_herkx_restricted_kernelIldLi16ELi32ELi8ELin1ELi0ELb0ELc67ELc76EKPKdKPdEviT_PT9_S5_lS7_S5_lPT10_S5_li: ; @_ZL37rocblas_syrkx_herkx_restricted_kernelIldLi16ELi32ELi8ELin1ELi0ELb0ELc67ELc76EKPKdKPdEviT_PT9_S5_lS7_S5_lPT10_S5_li
; %bb.0:
	s_clause 0x1
	s_load_b128 s[4:7], s[0:1], 0x40
	s_load_b128 s[8:11], s[0:1], 0x8
	s_mov_b32 s2, s15
	s_mov_b32 s3, 0
	v_mov_b32_e32 v10, 0
	s_lshl_b64 s[16:17], s[2:3], 3
	v_dual_mov_b32 v11, 0 :: v_dual_and_b32 v12, 0x3ff, v0
	v_bfe_u32 v13, v0, 10, 10
	s_delay_alu instid0(VALU_DEP_3) | instskip(NEXT) | instid1(VALU_DEP_3)
	v_mov_b32_e32 v8, v10
	v_dual_mov_b32 v2, v10 :: v_dual_mov_b32 v3, v11
	v_dual_mov_b32 v9, v11 :: v_dual_mov_b32 v0, v10
	v_mov_b32_e32 v1, v11
	s_waitcnt lgkmcnt(0)
	s_add_u32 s2, s4, s16
	s_addc_u32 s3, s5, s17
	v_cmp_lt_i64_e64 s4, s[8:9], 1
	s_load_b64 s[2:3], s[2:3], 0x0
	s_lshl_b32 s18, s13, 5
	s_lshl_b32 s19, s14, 5
	s_delay_alu instid0(VALU_DEP_1)
	s_and_b32 vcc_lo, exec_lo, s4
	s_cbranch_vccnz .LBB1484_3
; %bb.1:
	s_clause 0x1
	s_load_b128 s[12:15], s[0:1], 0x28
	s_load_b64 s[4:5], s[0:1], 0x18
	v_lshl_add_u32 v2, v13, 4, v12
	v_dual_mov_b32 v1, 0 :: v_dual_and_b32 v0, 7, v12
	s_add_u32 s10, s10, s16
	s_addc_u32 s11, s11, s17
	s_delay_alu instid0(VALU_DEP_2)
	v_lshrrev_b32_e32 v8, 3, v2
	v_and_b32_e32 v9, 31, v2
	v_lshrrev_b32_e32 v2, 5, v2
	v_mov_b32_e32 v3, v1
	s_load_b64 s[10:11], s[10:11], 0x0
	v_add_nc_u32_e32 v10, s19, v8
	v_add_nc_u32_e32 v6, s18, v9
	v_lshl_add_u32 v17, v13, 6, 0x800
	s_delay_alu instid0(VALU_DEP_3) | instskip(NEXT) | instid1(VALU_DEP_3)
	v_ashrrev_i32_e32 v4, 31, v10
	v_ashrrev_i32_e32 v5, 31, v6
	s_waitcnt lgkmcnt(0)
	s_add_u32 s12, s12, s16
	s_addc_u32 s13, s13, s17
	v_mul_lo_u32 v11, v4, s14
	v_mul_lo_u32 v15, s4, v5
	v_mad_u64_u32 v[4:5], null, s4, v6, v[2:3]
	v_mul_lo_u32 v3, s5, v6
	s_load_b64 s[4:5], s[12:13], 0x0
	v_mul_lo_u32 v14, v10, s15
	v_mad_u64_u32 v[6:7], null, v10, s14, v[0:1]
	v_lshlrev_b32_e32 v0, 3, v0
	v_lshlrev_b32_e32 v1, 3, v9
	v_add3_u32 v5, v3, v5, v15
	s_delay_alu instid0(VALU_DEP_3) | instskip(SKIP_1) | instid1(VALU_DEP_4)
	v_lshl_or_b32 v0, v8, 6, v0
	v_add3_u32 v7, v11, v7, v14
	v_lshl_or_b32 v14, v2, 8, v1
	s_delay_alu instid0(VALU_DEP_4) | instskip(NEXT) | instid1(VALU_DEP_4)
	v_lshlrev_b64 v[2:3], 3, v[4:5]
	v_add_nc_u32_e32 v15, 0x800, v0
	s_delay_alu instid0(VALU_DEP_4)
	v_lshlrev_b64 v[6:7], 3, v[6:7]
	v_mov_b32_e32 v0, 0
	v_mov_b32_e32 v1, 0
	v_add_co_u32 v4, vcc_lo, s10, v2
	v_add_co_ci_u32_e32 v5, vcc_lo, s11, v3, vcc_lo
	s_waitcnt lgkmcnt(0)
	v_add_co_u32 v6, vcc_lo, s4, v6
	v_dual_mov_b32 v3, v1 :: v_dual_lshlrev_b32 v16, 3, v12
	v_add_co_ci_u32_e32 v7, vcc_lo, s5, v7, vcc_lo
	v_dual_mov_b32 v2, v0 :: v_dual_mov_b32 v9, v1
	v_dual_mov_b32 v8, v0 :: v_dual_mov_b32 v11, v1
	v_mov_b32_e32 v10, v0
	s_mov_b64 s[4:5], 0
.LBB1484_2:                             ; =>This Inner Loop Header: Depth=1
	global_load_b64 v[18:19], v[4:5], off
	global_load_b64 v[20:21], v[6:7], off
	s_add_u32 s4, s4, 8
	v_add_co_u32 v4, vcc_lo, v4, 64
	s_addc_u32 s5, s5, 0
	v_add_co_ci_u32_e32 v5, vcc_lo, 0, v5, vcc_lo
	v_cmp_ge_u64_e64 s10, s[4:5], s[8:9]
	v_add_co_u32 v6, vcc_lo, v6, 64
	v_add_co_ci_u32_e32 v7, vcc_lo, 0, v7, vcc_lo
	s_waitcnt vmcnt(1)
	ds_store_b64 v14, v[18:19]
	s_waitcnt vmcnt(0)
	ds_store_b64 v15, v[20:21]
	s_waitcnt lgkmcnt(0)
	s_barrier
	buffer_gl0_inv
	ds_load_2addr_b64 v[18:21], v16 offset1:16
	ds_load_b128 v[22:25], v17
	ds_load_b128 v[26:29], v17 offset:1024
	ds_load_b128 v[30:33], v17 offset:16
	;; [unrolled: 1-line block ×3, first 2 shown]
	s_and_b32 vcc_lo, exec_lo, s10
	s_waitcnt lgkmcnt(3)
	v_fma_f64 v[10:11], v[18:19], v[22:23], v[10:11]
	v_fma_f64 v[8:9], v[20:21], v[22:23], v[8:9]
	s_waitcnt lgkmcnt(2)
	v_fma_f64 v[18:19], v[18:19], v[26:27], v[2:3]
	v_fma_f64 v[20:21], v[20:21], v[26:27], v[0:1]
	ds_load_2addr_b64 v[0:3], v16 offset0:32 offset1:48
	s_waitcnt lgkmcnt(0)
	v_fma_f64 v[10:11], v[0:1], v[24:25], v[10:11]
	v_fma_f64 v[8:9], v[2:3], v[24:25], v[8:9]
	v_fma_f64 v[18:19], v[0:1], v[28:29], v[18:19]
	v_fma_f64 v[20:21], v[2:3], v[28:29], v[20:21]
	ds_load_2addr_b64 v[0:3], v16 offset0:64 offset1:80
	s_waitcnt lgkmcnt(0)
	v_fma_f64 v[10:11], v[0:1], v[30:31], v[10:11]
	v_fma_f64 v[8:9], v[2:3], v[30:31], v[8:9]
	;; [unrolled: 6-line block ×3, first 2 shown]
	v_fma_f64 v[34:35], v[0:1], v[36:37], v[18:19]
	v_fma_f64 v[36:37], v[2:3], v[36:37], v[20:21]
	ds_load_2addr_b64 v[0:3], v16 offset0:128 offset1:144
	ds_load_b128 v[8:11], v17 offset:32
	ds_load_b128 v[18:21], v17 offset:1056
	;; [unrolled: 1-line block ×4, first 2 shown]
	s_waitcnt lgkmcnt(3)
	v_fma_f64 v[30:31], v[0:1], v[8:9], v[30:31]
	v_fma_f64 v[8:9], v[2:3], v[8:9], v[32:33]
	s_waitcnt lgkmcnt(2)
	v_fma_f64 v[32:33], v[0:1], v[18:19], v[34:35]
	v_fma_f64 v[18:19], v[2:3], v[18:19], v[36:37]
	ds_load_2addr_b64 v[0:3], v16 offset0:160 offset1:176
	s_waitcnt lgkmcnt(0)
	v_fma_f64 v[30:31], v[0:1], v[10:11], v[30:31]
	v_fma_f64 v[8:9], v[2:3], v[10:11], v[8:9]
	;; [unrolled: 1-line block ×4, first 2 shown]
	ds_load_2addr_b64 v[0:3], v16 offset0:192 offset1:208
	s_waitcnt lgkmcnt(0)
	v_fma_f64 v[30:31], v[0:1], v[22:23], v[30:31]
	v_fma_f64 v[8:9], v[2:3], v[22:23], v[8:9]
	v_fma_f64 v[0:1], v[0:1], v[26:27], v[10:11]
	v_fma_f64 v[22:23], v[2:3], v[26:27], v[18:19]
	ds_load_2addr_b64 v[18:21], v16 offset0:224 offset1:240
	s_waitcnt lgkmcnt(0)
	s_barrier
	buffer_gl0_inv
	v_fma_f64 v[10:11], v[18:19], v[24:25], v[30:31]
	v_fma_f64 v[8:9], v[20:21], v[24:25], v[8:9]
	;; [unrolled: 1-line block ×4, first 2 shown]
	s_cbranch_vccz .LBB1484_2
.LBB1484_3:
	v_add_nc_u32_e32 v13, s19, v13
	s_load_b32 s4, s[0:1], 0x0
	s_delay_alu instid0(VALU_DEP_1) | instskip(SKIP_2) | instid1(VALU_DEP_3)
	v_ashrrev_i32_e32 v4, 31, v13
	v_mul_lo_u32 v7, v13, s7
	v_mad_u64_u32 v[5:6], null, v13, s6, 0
	v_mul_lo_u32 v4, v4, s6
	s_delay_alu instid0(VALU_DEP_1) | instskip(SKIP_1) | instid1(VALU_DEP_2)
	v_add3_u32 v6, v6, v7, v4
	v_add_nc_u32_e32 v4, s18, v12
	v_lshlrev_b64 v[5:6], 3, v[5:6]
	s_delay_alu instid0(VALU_DEP_2) | instskip(SKIP_2) | instid1(VALU_DEP_3)
	v_cmp_le_i32_e64 s0, v13, v4
	s_waitcnt lgkmcnt(0)
	v_cmp_gt_i32_e32 vcc_lo, s4, v4
	v_add_co_u32 v12, s1, s2, v5
	s_delay_alu instid0(VALU_DEP_1) | instskip(SKIP_1) | instid1(SALU_CYCLE_1)
	v_add_co_ci_u32_e64 v14, s1, s3, v6, s1
	s_and_b32 s0, s0, vcc_lo
	s_and_saveexec_b32 s1, s0
	s_cbranch_execz .LBB1484_5
; %bb.4:
	v_ashrrev_i32_e32 v5, 31, v4
	v_xor_b32_e32 v11, 0x80000000, v11
	s_delay_alu instid0(VALU_DEP_2) | instskip(NEXT) | instid1(VALU_DEP_1)
	v_lshlrev_b64 v[5:6], 3, v[4:5]
	v_add_co_u32 v5, s0, v12, v5
	s_delay_alu instid0(VALU_DEP_1)
	v_add_co_ci_u32_e64 v6, s0, v14, v6, s0
	global_store_b64 v[5:6], v[10:11], off
.LBB1484_5:
	s_or_b32 exec_lo, exec_lo, s1
	v_add_nc_u32_e32 v6, 16, v4
	s_delay_alu instid0(VALU_DEP_1) | instskip(SKIP_1) | instid1(VALU_DEP_1)
	v_cmp_le_i32_e64 s1, v13, v6
	v_cmp_gt_i32_e64 s0, s4, v6
	s_and_b32 s1, s1, s0
	s_delay_alu instid0(SALU_CYCLE_1)
	s_and_saveexec_b32 s4, s1
	s_cbranch_execz .LBB1484_7
; %bb.6:
	v_ashrrev_i32_e32 v7, 31, v6
	v_xor_b32_e32 v9, 0x80000000, v9
	s_delay_alu instid0(VALU_DEP_2) | instskip(NEXT) | instid1(VALU_DEP_1)
	v_lshlrev_b64 v[10:11], 3, v[6:7]
	v_add_co_u32 v10, s1, v12, v10
	s_delay_alu instid0(VALU_DEP_1)
	v_add_co_ci_u32_e64 v11, s1, v14, v11, s1
	global_store_b64 v[10:11], v[8:9], off
.LBB1484_7:
	s_or_b32 exec_lo, exec_lo, s4
	v_add_nc_u32_e32 v7, 16, v13
	s_delay_alu instid0(VALU_DEP_1) | instskip(SKIP_3) | instid1(VALU_DEP_4)
	v_ashrrev_i32_e32 v5, 31, v7
	v_mul_lo_u32 v10, v7, s7
	v_mad_u64_u32 v[8:9], null, v7, s6, 0
	v_cmp_le_i32_e64 s1, v7, v4
	v_mul_lo_u32 v5, v5, s6
	s_delay_alu instid0(VALU_DEP_1) | instskip(NEXT) | instid1(VALU_DEP_1)
	v_add3_u32 v9, v9, v10, v5
	v_lshlrev_b64 v[8:9], 3, v[8:9]
	s_delay_alu instid0(VALU_DEP_1) | instskip(NEXT) | instid1(VALU_DEP_1)
	v_add_co_u32 v8, s2, s2, v8
	v_add_co_ci_u32_e64 v9, s2, s3, v9, s2
	s_and_b32 s2, s1, vcc_lo
	s_delay_alu instid0(SALU_CYCLE_1)
	s_and_saveexec_b32 s1, s2
	s_cbranch_execz .LBB1484_9
; %bb.8:
	v_ashrrev_i32_e32 v5, 31, v4
	v_xor_b32_e32 v3, 0x80000000, v3
	s_delay_alu instid0(VALU_DEP_2) | instskip(NEXT) | instid1(VALU_DEP_1)
	v_lshlrev_b64 v[4:5], 3, v[4:5]
	v_add_co_u32 v4, vcc_lo, v8, v4
	s_delay_alu instid0(VALU_DEP_2)
	v_add_co_ci_u32_e32 v5, vcc_lo, v9, v5, vcc_lo
	global_store_b64 v[4:5], v[2:3], off
.LBB1484_9:
	s_or_b32 exec_lo, exec_lo, s1
	v_cmp_le_i32_e32 vcc_lo, v7, v6
	s_and_b32 s0, vcc_lo, s0
	s_delay_alu instid0(SALU_CYCLE_1)
	s_and_saveexec_b32 s1, s0
	s_cbranch_execz .LBB1484_11
; %bb.10:
	v_ashrrev_i32_e32 v7, 31, v6
	v_xor_b32_e32 v1, 0x80000000, v1
	s_delay_alu instid0(VALU_DEP_2) | instskip(NEXT) | instid1(VALU_DEP_1)
	v_lshlrev_b64 v[2:3], 3, v[6:7]
	v_add_co_u32 v2, vcc_lo, v8, v2
	s_delay_alu instid0(VALU_DEP_2)
	v_add_co_ci_u32_e32 v3, vcc_lo, v9, v3, vcc_lo
	global_store_b64 v[2:3], v[0:1], off
.LBB1484_11:
	s_nop 0
	s_sendmsg sendmsg(MSG_DEALLOC_VGPRS)
	s_endpgm
	.section	.rodata,"a",@progbits
	.p2align	6, 0x0
	.amdhsa_kernel _ZL37rocblas_syrkx_herkx_restricted_kernelIldLi16ELi32ELi8ELin1ELi0ELb0ELc67ELc76EKPKdKPdEviT_PT9_S5_lS7_S5_lPT10_S5_li
		.amdhsa_group_segment_fixed_size 4096
		.amdhsa_private_segment_fixed_size 0
		.amdhsa_kernarg_size 92
		.amdhsa_user_sgpr_count 13
		.amdhsa_user_sgpr_dispatch_ptr 0
		.amdhsa_user_sgpr_queue_ptr 0
		.amdhsa_user_sgpr_kernarg_segment_ptr 1
		.amdhsa_user_sgpr_dispatch_id 0
		.amdhsa_user_sgpr_private_segment_size 0
		.amdhsa_wavefront_size32 1
		.amdhsa_uses_dynamic_stack 0
		.amdhsa_enable_private_segment 0
		.amdhsa_system_sgpr_workgroup_id_x 1
		.amdhsa_system_sgpr_workgroup_id_y 1
		.amdhsa_system_sgpr_workgroup_id_z 1
		.amdhsa_system_sgpr_workgroup_info 0
		.amdhsa_system_vgpr_workitem_id 1
		.amdhsa_next_free_vgpr 38
		.amdhsa_next_free_sgpr 20
		.amdhsa_reserve_vcc 1
		.amdhsa_float_round_mode_32 0
		.amdhsa_float_round_mode_16_64 0
		.amdhsa_float_denorm_mode_32 3
		.amdhsa_float_denorm_mode_16_64 3
		.amdhsa_dx10_clamp 1
		.amdhsa_ieee_mode 1
		.amdhsa_fp16_overflow 0
		.amdhsa_workgroup_processor_mode 1
		.amdhsa_memory_ordered 1
		.amdhsa_forward_progress 0
		.amdhsa_shared_vgpr_count 0
		.amdhsa_exception_fp_ieee_invalid_op 0
		.amdhsa_exception_fp_denorm_src 0
		.amdhsa_exception_fp_ieee_div_zero 0
		.amdhsa_exception_fp_ieee_overflow 0
		.amdhsa_exception_fp_ieee_underflow 0
		.amdhsa_exception_fp_ieee_inexact 0
		.amdhsa_exception_int_div_zero 0
	.end_amdhsa_kernel
	.section	.text._ZL37rocblas_syrkx_herkx_restricted_kernelIldLi16ELi32ELi8ELin1ELi0ELb0ELc67ELc76EKPKdKPdEviT_PT9_S5_lS7_S5_lPT10_S5_li,"axG",@progbits,_ZL37rocblas_syrkx_herkx_restricted_kernelIldLi16ELi32ELi8ELin1ELi0ELb0ELc67ELc76EKPKdKPdEviT_PT9_S5_lS7_S5_lPT10_S5_li,comdat
.Lfunc_end1484:
	.size	_ZL37rocblas_syrkx_herkx_restricted_kernelIldLi16ELi32ELi8ELin1ELi0ELb0ELc67ELc76EKPKdKPdEviT_PT9_S5_lS7_S5_lPT10_S5_li, .Lfunc_end1484-_ZL37rocblas_syrkx_herkx_restricted_kernelIldLi16ELi32ELi8ELin1ELi0ELb0ELc67ELc76EKPKdKPdEviT_PT9_S5_lS7_S5_lPT10_S5_li
                                        ; -- End function
	.section	.AMDGPU.csdata,"",@progbits
; Kernel info:
; codeLenInByte = 1492
; NumSgprs: 22
; NumVgprs: 38
; ScratchSize: 0
; MemoryBound: 0
; FloatMode: 240
; IeeeMode: 1
; LDSByteSize: 4096 bytes/workgroup (compile time only)
; SGPRBlocks: 2
; VGPRBlocks: 4
; NumSGPRsForWavesPerEU: 22
; NumVGPRsForWavesPerEU: 38
; Occupancy: 16
; WaveLimiterHint : 1
; COMPUTE_PGM_RSRC2:SCRATCH_EN: 0
; COMPUTE_PGM_RSRC2:USER_SGPR: 13
; COMPUTE_PGM_RSRC2:TRAP_HANDLER: 0
; COMPUTE_PGM_RSRC2:TGID_X_EN: 1
; COMPUTE_PGM_RSRC2:TGID_Y_EN: 1
; COMPUTE_PGM_RSRC2:TGID_Z_EN: 1
; COMPUTE_PGM_RSRC2:TIDIG_COMP_CNT: 1
	.section	.text._ZL37rocblas_syrkx_herkx_restricted_kernelIldLi16ELi32ELi8ELin1ELi0ELb0ELc78ELc76EKPKdKPdEviT_PT9_S5_lS7_S5_lPT10_S5_li,"axG",@progbits,_ZL37rocblas_syrkx_herkx_restricted_kernelIldLi16ELi32ELi8ELin1ELi0ELb0ELc78ELc76EKPKdKPdEviT_PT9_S5_lS7_S5_lPT10_S5_li,comdat
	.globl	_ZL37rocblas_syrkx_herkx_restricted_kernelIldLi16ELi32ELi8ELin1ELi0ELb0ELc78ELc76EKPKdKPdEviT_PT9_S5_lS7_S5_lPT10_S5_li ; -- Begin function _ZL37rocblas_syrkx_herkx_restricted_kernelIldLi16ELi32ELi8ELin1ELi0ELb0ELc78ELc76EKPKdKPdEviT_PT9_S5_lS7_S5_lPT10_S5_li
	.p2align	8
	.type	_ZL37rocblas_syrkx_herkx_restricted_kernelIldLi16ELi32ELi8ELin1ELi0ELb0ELc78ELc76EKPKdKPdEviT_PT9_S5_lS7_S5_lPT10_S5_li,@function
_ZL37rocblas_syrkx_herkx_restricted_kernelIldLi16ELi32ELi8ELin1ELi0ELb0ELc78ELc76EKPKdKPdEviT_PT9_S5_lS7_S5_lPT10_S5_li: ; @_ZL37rocblas_syrkx_herkx_restricted_kernelIldLi16ELi32ELi8ELin1ELi0ELb0ELc78ELc76EKPKdKPdEviT_PT9_S5_lS7_S5_lPT10_S5_li
; %bb.0:
	s_clause 0x1
	s_load_b128 s[4:7], s[0:1], 0x40
	s_load_b128 s[8:11], s[0:1], 0x8
	s_mov_b32 s2, s15
	s_mov_b32 s3, 0
	v_mov_b32_e32 v10, 0
	s_lshl_b64 s[16:17], s[2:3], 3
	v_dual_mov_b32 v11, 0 :: v_dual_and_b32 v12, 0x3ff, v0
	v_bfe_u32 v13, v0, 10, 10
	s_delay_alu instid0(VALU_DEP_3) | instskip(NEXT) | instid1(VALU_DEP_3)
	v_mov_b32_e32 v8, v10
	v_dual_mov_b32 v2, v10 :: v_dual_mov_b32 v3, v11
	v_dual_mov_b32 v9, v11 :: v_dual_mov_b32 v0, v10
	v_mov_b32_e32 v1, v11
	s_waitcnt lgkmcnt(0)
	s_add_u32 s2, s4, s16
	s_addc_u32 s3, s5, s17
	v_cmp_lt_i64_e64 s4, s[8:9], 1
	s_load_b64 s[2:3], s[2:3], 0x0
	s_lshl_b32 s18, s13, 5
	s_lshl_b32 s19, s14, 5
	s_delay_alu instid0(VALU_DEP_1)
	s_and_b32 vcc_lo, exec_lo, s4
	s_cbranch_vccnz .LBB1485_3
; %bb.1:
	v_lshl_add_u32 v1, v13, 4, v12
	s_clause 0x1
	s_load_b64 s[4:5], s[0:1], 0x18
	s_load_b128 s[12:15], s[0:1], 0x28
	s_add_u32 s10, s10, s16
	s_addc_u32 s11, s11, s17
	s_load_b64 s[10:11], s[10:11], 0x0
	v_and_b32_e32 v10, 31, v1
	v_lshrrev_b32_e32 v11, 3, v1
	v_lshrrev_b32_e32 v16, 5, v1
	s_delay_alu instid0(VALU_DEP_3) | instskip(NEXT) | instid1(VALU_DEP_3)
	v_add_nc_u32_e32 v0, s18, v10
	v_add_nc_u32_e32 v2, s19, v11
	s_delay_alu instid0(VALU_DEP_2) | instskip(NEXT) | instid1(VALU_DEP_2)
	v_ashrrev_i32_e32 v1, 31, v0
	v_ashrrev_i32_e32 v3, 31, v2
	s_waitcnt lgkmcnt(0)
	s_delay_alu instid0(VALU_DEP_2) | instskip(SKIP_4) | instid1(VALU_DEP_2)
	v_mad_u64_u32 v[4:5], null, v16, s4, v[0:1]
	v_and_b32_e32 v15, 7, v12
	s_add_u32 s12, s12, s16
	s_addc_u32 s13, s13, s17
	s_load_b64 s[12:13], s[12:13], 0x0
	v_mov_b32_e32 v0, v5
	v_mad_u64_u32 v[6:7], null, v15, s14, v[2:3]
	s_delay_alu instid0(VALU_DEP_1) | instskip(NEXT) | instid1(VALU_DEP_3)
	v_mov_b32_e32 v2, v7
	v_mad_u64_u32 v[7:8], null, v16, s5, v[0:1]
	s_lshl_b64 s[4:5], s[4:5], 6
	s_delay_alu instid0(VALU_DEP_2) | instskip(SKIP_2) | instid1(VALU_DEP_4)
	v_mad_u64_u32 v[8:9], null, v15, s15, v[2:3]
	v_lshlrev_b32_e32 v9, 3, v15
	v_lshl_add_u32 v15, v13, 6, 0x800
	v_mov_b32_e32 v5, v7
	s_delay_alu instid0(VALU_DEP_3) | instskip(SKIP_1) | instid1(VALU_DEP_3)
	v_lshl_or_b32 v11, v11, 6, v9
	v_mov_b32_e32 v7, v8
	v_lshlrev_b64 v[4:5], 3, v[4:5]
	v_mov_b32_e32 v0, 0
	v_mov_b32_e32 v1, 0
	v_add_nc_u32_e32 v17, 0x800, v11
	v_lshlrev_b64 v[6:7], 3, v[6:7]
	v_lshlrev_b32_e32 v10, 3, v10
	v_add_co_u32 v4, vcc_lo, s10, v4
	v_dual_mov_b32 v3, v1 :: v_dual_lshlrev_b32 v14, 3, v12
	v_add_co_ci_u32_e32 v5, vcc_lo, s11, v5, vcc_lo
	v_dual_mov_b32 v2, v0 :: v_dual_mov_b32 v9, v1
	s_waitcnt lgkmcnt(0)
	v_add_co_u32 v6, vcc_lo, s12, v6
	v_mov_b32_e32 v8, v0
	v_lshl_or_b32 v16, v16, 8, v10
	v_mov_b32_e32 v11, v1
	v_add_co_ci_u32_e32 v7, vcc_lo, s13, v7, vcc_lo
	v_mov_b32_e32 v10, v0
	s_lshl_b64 s[10:11], s[14:15], 6
	s_mov_b64 s[12:13], 0
.LBB1485_2:                             ; =>This Inner Loop Header: Depth=1
	global_load_b64 v[18:19], v[4:5], off
	global_load_b64 v[20:21], v[6:7], off
	s_add_u32 s12, s12, 8
	v_add_co_u32 v4, vcc_lo, v4, s4
	s_addc_u32 s13, s13, 0
	v_add_co_ci_u32_e32 v5, vcc_lo, s5, v5, vcc_lo
	v_cmp_ge_u64_e64 s14, s[12:13], s[8:9]
	v_add_co_u32 v6, vcc_lo, v6, s10
	v_add_co_ci_u32_e32 v7, vcc_lo, s11, v7, vcc_lo
	s_waitcnt vmcnt(1)
	ds_store_b64 v16, v[18:19]
	s_waitcnt vmcnt(0)
	ds_store_b64 v17, v[20:21]
	s_waitcnt lgkmcnt(0)
	s_barrier
	buffer_gl0_inv
	ds_load_2addr_b64 v[18:21], v14 offset1:16
	ds_load_b128 v[22:25], v15
	ds_load_b128 v[26:29], v15 offset:1024
	ds_load_b128 v[30:33], v15 offset:16
	;; [unrolled: 1-line block ×3, first 2 shown]
	s_and_b32 vcc_lo, exec_lo, s14
	s_waitcnt lgkmcnt(3)
	v_fma_f64 v[10:11], v[18:19], v[22:23], v[10:11]
	v_fma_f64 v[8:9], v[20:21], v[22:23], v[8:9]
	s_waitcnt lgkmcnt(2)
	v_fma_f64 v[18:19], v[18:19], v[26:27], v[2:3]
	v_fma_f64 v[20:21], v[20:21], v[26:27], v[0:1]
	ds_load_2addr_b64 v[0:3], v14 offset0:32 offset1:48
	s_waitcnt lgkmcnt(0)
	v_fma_f64 v[10:11], v[0:1], v[24:25], v[10:11]
	v_fma_f64 v[8:9], v[2:3], v[24:25], v[8:9]
	v_fma_f64 v[18:19], v[0:1], v[28:29], v[18:19]
	v_fma_f64 v[20:21], v[2:3], v[28:29], v[20:21]
	ds_load_2addr_b64 v[0:3], v14 offset0:64 offset1:80
	s_waitcnt lgkmcnt(0)
	v_fma_f64 v[10:11], v[0:1], v[30:31], v[10:11]
	v_fma_f64 v[8:9], v[2:3], v[30:31], v[8:9]
	;; [unrolled: 6-line block ×3, first 2 shown]
	v_fma_f64 v[34:35], v[0:1], v[36:37], v[18:19]
	v_fma_f64 v[36:37], v[2:3], v[36:37], v[20:21]
	ds_load_2addr_b64 v[0:3], v14 offset0:128 offset1:144
	ds_load_b128 v[8:11], v15 offset:32
	ds_load_b128 v[18:21], v15 offset:1056
	;; [unrolled: 1-line block ×4, first 2 shown]
	s_waitcnt lgkmcnt(3)
	v_fma_f64 v[30:31], v[0:1], v[8:9], v[30:31]
	v_fma_f64 v[8:9], v[2:3], v[8:9], v[32:33]
	s_waitcnt lgkmcnt(2)
	v_fma_f64 v[32:33], v[0:1], v[18:19], v[34:35]
	v_fma_f64 v[18:19], v[2:3], v[18:19], v[36:37]
	ds_load_2addr_b64 v[0:3], v14 offset0:160 offset1:176
	s_waitcnt lgkmcnt(0)
	v_fma_f64 v[30:31], v[0:1], v[10:11], v[30:31]
	v_fma_f64 v[8:9], v[2:3], v[10:11], v[8:9]
	;; [unrolled: 1-line block ×4, first 2 shown]
	ds_load_2addr_b64 v[0:3], v14 offset0:192 offset1:208
	s_waitcnt lgkmcnt(0)
	v_fma_f64 v[30:31], v[0:1], v[22:23], v[30:31]
	v_fma_f64 v[8:9], v[2:3], v[22:23], v[8:9]
	;; [unrolled: 1-line block ×4, first 2 shown]
	ds_load_2addr_b64 v[18:21], v14 offset0:224 offset1:240
	s_waitcnt lgkmcnt(0)
	s_barrier
	buffer_gl0_inv
	v_fma_f64 v[10:11], v[18:19], v[24:25], v[30:31]
	v_fma_f64 v[8:9], v[20:21], v[24:25], v[8:9]
	;; [unrolled: 1-line block ×4, first 2 shown]
	s_cbranch_vccz .LBB1485_2
.LBB1485_3:
	v_add_nc_u32_e32 v13, s19, v13
	s_load_b32 s4, s[0:1], 0x0
	s_delay_alu instid0(VALU_DEP_1) | instskip(SKIP_2) | instid1(VALU_DEP_3)
	v_ashrrev_i32_e32 v4, 31, v13
	v_mul_lo_u32 v7, v13, s7
	v_mad_u64_u32 v[5:6], null, v13, s6, 0
	v_mul_lo_u32 v4, v4, s6
	s_delay_alu instid0(VALU_DEP_1) | instskip(SKIP_1) | instid1(VALU_DEP_2)
	v_add3_u32 v6, v6, v7, v4
	v_add_nc_u32_e32 v4, s18, v12
	v_lshlrev_b64 v[5:6], 3, v[5:6]
	s_delay_alu instid0(VALU_DEP_2) | instskip(SKIP_2) | instid1(VALU_DEP_3)
	v_cmp_le_i32_e64 s0, v13, v4
	s_waitcnt lgkmcnt(0)
	v_cmp_gt_i32_e32 vcc_lo, s4, v4
	v_add_co_u32 v12, s1, s2, v5
	s_delay_alu instid0(VALU_DEP_1) | instskip(SKIP_1) | instid1(SALU_CYCLE_1)
	v_add_co_ci_u32_e64 v14, s1, s3, v6, s1
	s_and_b32 s0, s0, vcc_lo
	s_and_saveexec_b32 s1, s0
	s_cbranch_execz .LBB1485_5
; %bb.4:
	v_ashrrev_i32_e32 v5, 31, v4
	v_xor_b32_e32 v11, 0x80000000, v11
	s_delay_alu instid0(VALU_DEP_2) | instskip(NEXT) | instid1(VALU_DEP_1)
	v_lshlrev_b64 v[5:6], 3, v[4:5]
	v_add_co_u32 v5, s0, v12, v5
	s_delay_alu instid0(VALU_DEP_1)
	v_add_co_ci_u32_e64 v6, s0, v14, v6, s0
	global_store_b64 v[5:6], v[10:11], off
.LBB1485_5:
	s_or_b32 exec_lo, exec_lo, s1
	v_add_nc_u32_e32 v6, 16, v4
	s_delay_alu instid0(VALU_DEP_1) | instskip(SKIP_1) | instid1(VALU_DEP_1)
	v_cmp_le_i32_e64 s1, v13, v6
	v_cmp_gt_i32_e64 s0, s4, v6
	s_and_b32 s1, s1, s0
	s_delay_alu instid0(SALU_CYCLE_1)
	s_and_saveexec_b32 s4, s1
	s_cbranch_execz .LBB1485_7
; %bb.6:
	v_ashrrev_i32_e32 v7, 31, v6
	v_xor_b32_e32 v9, 0x80000000, v9
	s_delay_alu instid0(VALU_DEP_2) | instskip(NEXT) | instid1(VALU_DEP_1)
	v_lshlrev_b64 v[10:11], 3, v[6:7]
	v_add_co_u32 v10, s1, v12, v10
	s_delay_alu instid0(VALU_DEP_1)
	v_add_co_ci_u32_e64 v11, s1, v14, v11, s1
	global_store_b64 v[10:11], v[8:9], off
.LBB1485_7:
	s_or_b32 exec_lo, exec_lo, s4
	v_add_nc_u32_e32 v7, 16, v13
	s_delay_alu instid0(VALU_DEP_1) | instskip(SKIP_3) | instid1(VALU_DEP_4)
	v_ashrrev_i32_e32 v5, 31, v7
	v_mul_lo_u32 v10, v7, s7
	v_mad_u64_u32 v[8:9], null, v7, s6, 0
	v_cmp_le_i32_e64 s1, v7, v4
	v_mul_lo_u32 v5, v5, s6
	s_delay_alu instid0(VALU_DEP_1) | instskip(NEXT) | instid1(VALU_DEP_1)
	v_add3_u32 v9, v9, v10, v5
	v_lshlrev_b64 v[8:9], 3, v[8:9]
	s_delay_alu instid0(VALU_DEP_1) | instskip(NEXT) | instid1(VALU_DEP_1)
	v_add_co_u32 v8, s2, s2, v8
	v_add_co_ci_u32_e64 v9, s2, s3, v9, s2
	s_and_b32 s2, s1, vcc_lo
	s_delay_alu instid0(SALU_CYCLE_1)
	s_and_saveexec_b32 s1, s2
	s_cbranch_execz .LBB1485_9
; %bb.8:
	v_ashrrev_i32_e32 v5, 31, v4
	v_xor_b32_e32 v3, 0x80000000, v3
	s_delay_alu instid0(VALU_DEP_2) | instskip(NEXT) | instid1(VALU_DEP_1)
	v_lshlrev_b64 v[4:5], 3, v[4:5]
	v_add_co_u32 v4, vcc_lo, v8, v4
	s_delay_alu instid0(VALU_DEP_2)
	v_add_co_ci_u32_e32 v5, vcc_lo, v9, v5, vcc_lo
	global_store_b64 v[4:5], v[2:3], off
.LBB1485_9:
	s_or_b32 exec_lo, exec_lo, s1
	v_cmp_le_i32_e32 vcc_lo, v7, v6
	s_and_b32 s0, vcc_lo, s0
	s_delay_alu instid0(SALU_CYCLE_1)
	s_and_saveexec_b32 s1, s0
	s_cbranch_execz .LBB1485_11
; %bb.10:
	v_ashrrev_i32_e32 v7, 31, v6
	v_xor_b32_e32 v1, 0x80000000, v1
	s_delay_alu instid0(VALU_DEP_2) | instskip(NEXT) | instid1(VALU_DEP_1)
	v_lshlrev_b64 v[2:3], 3, v[6:7]
	v_add_co_u32 v2, vcc_lo, v8, v2
	s_delay_alu instid0(VALU_DEP_2)
	v_add_co_ci_u32_e32 v3, vcc_lo, v9, v3, vcc_lo
	global_store_b64 v[2:3], v[0:1], off
.LBB1485_11:
	s_nop 0
	s_sendmsg sendmsg(MSG_DEALLOC_VGPRS)
	s_endpgm
	.section	.rodata,"a",@progbits
	.p2align	6, 0x0
	.amdhsa_kernel _ZL37rocblas_syrkx_herkx_restricted_kernelIldLi16ELi32ELi8ELin1ELi0ELb0ELc78ELc76EKPKdKPdEviT_PT9_S5_lS7_S5_lPT10_S5_li
		.amdhsa_group_segment_fixed_size 4096
		.amdhsa_private_segment_fixed_size 0
		.amdhsa_kernarg_size 92
		.amdhsa_user_sgpr_count 13
		.amdhsa_user_sgpr_dispatch_ptr 0
		.amdhsa_user_sgpr_queue_ptr 0
		.amdhsa_user_sgpr_kernarg_segment_ptr 1
		.amdhsa_user_sgpr_dispatch_id 0
		.amdhsa_user_sgpr_private_segment_size 0
		.amdhsa_wavefront_size32 1
		.amdhsa_uses_dynamic_stack 0
		.amdhsa_enable_private_segment 0
		.amdhsa_system_sgpr_workgroup_id_x 1
		.amdhsa_system_sgpr_workgroup_id_y 1
		.amdhsa_system_sgpr_workgroup_id_z 1
		.amdhsa_system_sgpr_workgroup_info 0
		.amdhsa_system_vgpr_workitem_id 1
		.amdhsa_next_free_vgpr 38
		.amdhsa_next_free_sgpr 20
		.amdhsa_reserve_vcc 1
		.amdhsa_float_round_mode_32 0
		.amdhsa_float_round_mode_16_64 0
		.amdhsa_float_denorm_mode_32 3
		.amdhsa_float_denorm_mode_16_64 3
		.amdhsa_dx10_clamp 1
		.amdhsa_ieee_mode 1
		.amdhsa_fp16_overflow 0
		.amdhsa_workgroup_processor_mode 1
		.amdhsa_memory_ordered 1
		.amdhsa_forward_progress 0
		.amdhsa_shared_vgpr_count 0
		.amdhsa_exception_fp_ieee_invalid_op 0
		.amdhsa_exception_fp_denorm_src 0
		.amdhsa_exception_fp_ieee_div_zero 0
		.amdhsa_exception_fp_ieee_overflow 0
		.amdhsa_exception_fp_ieee_underflow 0
		.amdhsa_exception_fp_ieee_inexact 0
		.amdhsa_exception_int_div_zero 0
	.end_amdhsa_kernel
	.section	.text._ZL37rocblas_syrkx_herkx_restricted_kernelIldLi16ELi32ELi8ELin1ELi0ELb0ELc78ELc76EKPKdKPdEviT_PT9_S5_lS7_S5_lPT10_S5_li,"axG",@progbits,_ZL37rocblas_syrkx_herkx_restricted_kernelIldLi16ELi32ELi8ELin1ELi0ELb0ELc78ELc76EKPKdKPdEviT_PT9_S5_lS7_S5_lPT10_S5_li,comdat
.Lfunc_end1485:
	.size	_ZL37rocblas_syrkx_herkx_restricted_kernelIldLi16ELi32ELi8ELin1ELi0ELb0ELc78ELc76EKPKdKPdEviT_PT9_S5_lS7_S5_lPT10_S5_li, .Lfunc_end1485-_ZL37rocblas_syrkx_herkx_restricted_kernelIldLi16ELi32ELi8ELin1ELi0ELb0ELc78ELc76EKPKdKPdEviT_PT9_S5_lS7_S5_lPT10_S5_li
                                        ; -- End function
	.section	.AMDGPU.csdata,"",@progbits
; Kernel info:
; codeLenInByte = 1480
; NumSgprs: 22
; NumVgprs: 38
; ScratchSize: 0
; MemoryBound: 0
; FloatMode: 240
; IeeeMode: 1
; LDSByteSize: 4096 bytes/workgroup (compile time only)
; SGPRBlocks: 2
; VGPRBlocks: 4
; NumSGPRsForWavesPerEU: 22
; NumVGPRsForWavesPerEU: 38
; Occupancy: 16
; WaveLimiterHint : 1
; COMPUTE_PGM_RSRC2:SCRATCH_EN: 0
; COMPUTE_PGM_RSRC2:USER_SGPR: 13
; COMPUTE_PGM_RSRC2:TRAP_HANDLER: 0
; COMPUTE_PGM_RSRC2:TGID_X_EN: 1
; COMPUTE_PGM_RSRC2:TGID_Y_EN: 1
; COMPUTE_PGM_RSRC2:TGID_Z_EN: 1
; COMPUTE_PGM_RSRC2:TIDIG_COMP_CNT: 1
	.section	.text._ZL37rocblas_syrkx_herkx_restricted_kernelIldLi16ELi32ELi8ELin1ELi0ELb0ELc84ELc85EKPKdKPdEviT_PT9_S5_lS7_S5_lPT10_S5_li,"axG",@progbits,_ZL37rocblas_syrkx_herkx_restricted_kernelIldLi16ELi32ELi8ELin1ELi0ELb0ELc84ELc85EKPKdKPdEviT_PT9_S5_lS7_S5_lPT10_S5_li,comdat
	.globl	_ZL37rocblas_syrkx_herkx_restricted_kernelIldLi16ELi32ELi8ELin1ELi0ELb0ELc84ELc85EKPKdKPdEviT_PT9_S5_lS7_S5_lPT10_S5_li ; -- Begin function _ZL37rocblas_syrkx_herkx_restricted_kernelIldLi16ELi32ELi8ELin1ELi0ELb0ELc84ELc85EKPKdKPdEviT_PT9_S5_lS7_S5_lPT10_S5_li
	.p2align	8
	.type	_ZL37rocblas_syrkx_herkx_restricted_kernelIldLi16ELi32ELi8ELin1ELi0ELb0ELc84ELc85EKPKdKPdEviT_PT9_S5_lS7_S5_lPT10_S5_li,@function
_ZL37rocblas_syrkx_herkx_restricted_kernelIldLi16ELi32ELi8ELin1ELi0ELb0ELc84ELc85EKPKdKPdEviT_PT9_S5_lS7_S5_lPT10_S5_li: ; @_ZL37rocblas_syrkx_herkx_restricted_kernelIldLi16ELi32ELi8ELin1ELi0ELb0ELc84ELc85EKPKdKPdEviT_PT9_S5_lS7_S5_lPT10_S5_li
; %bb.0:
	s_clause 0x1
	s_load_b128 s[4:7], s[0:1], 0x40
	s_load_b128 s[8:11], s[0:1], 0x8
	s_mov_b32 s2, s15
	s_mov_b32 s3, 0
	v_mov_b32_e32 v10, 0
	s_lshl_b64 s[16:17], s[2:3], 3
	v_dual_mov_b32 v11, 0 :: v_dual_and_b32 v12, 0x3ff, v0
	v_bfe_u32 v13, v0, 10, 10
	s_delay_alu instid0(VALU_DEP_3) | instskip(NEXT) | instid1(VALU_DEP_3)
	v_mov_b32_e32 v8, v10
	v_dual_mov_b32 v2, v10 :: v_dual_mov_b32 v3, v11
	v_dual_mov_b32 v9, v11 :: v_dual_mov_b32 v0, v10
	v_mov_b32_e32 v1, v11
	s_waitcnt lgkmcnt(0)
	s_add_u32 s2, s4, s16
	s_addc_u32 s3, s5, s17
	v_cmp_lt_i64_e64 s4, s[8:9], 1
	s_load_b64 s[2:3], s[2:3], 0x0
	s_lshl_b32 s18, s13, 5
	s_lshl_b32 s19, s14, 5
	s_delay_alu instid0(VALU_DEP_1)
	s_and_b32 vcc_lo, exec_lo, s4
	s_cbranch_vccnz .LBB1486_3
; %bb.1:
	s_clause 0x1
	s_load_b128 s[12:15], s[0:1], 0x28
	s_load_b64 s[4:5], s[0:1], 0x18
	v_lshl_add_u32 v2, v13, 4, v12
	v_dual_mov_b32 v1, 0 :: v_dual_and_b32 v0, 7, v12
	s_add_u32 s10, s10, s16
	s_addc_u32 s11, s11, s17
	s_delay_alu instid0(VALU_DEP_2)
	v_lshrrev_b32_e32 v8, 3, v2
	v_and_b32_e32 v9, 31, v2
	v_lshrrev_b32_e32 v2, 5, v2
	v_mov_b32_e32 v3, v1
	s_load_b64 s[10:11], s[10:11], 0x0
	v_add_nc_u32_e32 v10, s19, v8
	v_add_nc_u32_e32 v6, s18, v9
	v_lshl_add_u32 v17, v13, 6, 0x800
	s_delay_alu instid0(VALU_DEP_3) | instskip(NEXT) | instid1(VALU_DEP_3)
	v_ashrrev_i32_e32 v4, 31, v10
	v_ashrrev_i32_e32 v5, 31, v6
	s_waitcnt lgkmcnt(0)
	s_add_u32 s12, s12, s16
	s_addc_u32 s13, s13, s17
	v_mul_lo_u32 v11, v4, s14
	v_mul_lo_u32 v15, s4, v5
	v_mad_u64_u32 v[4:5], null, s4, v6, v[2:3]
	v_mul_lo_u32 v3, s5, v6
	s_load_b64 s[4:5], s[12:13], 0x0
	v_mul_lo_u32 v14, v10, s15
	v_mad_u64_u32 v[6:7], null, v10, s14, v[0:1]
	v_lshlrev_b32_e32 v0, 3, v0
	v_lshlrev_b32_e32 v1, 3, v9
	v_add3_u32 v5, v3, v5, v15
	s_delay_alu instid0(VALU_DEP_3) | instskip(SKIP_1) | instid1(VALU_DEP_4)
	v_lshl_or_b32 v0, v8, 6, v0
	v_add3_u32 v7, v11, v7, v14
	v_lshl_or_b32 v14, v2, 8, v1
	s_delay_alu instid0(VALU_DEP_4) | instskip(NEXT) | instid1(VALU_DEP_4)
	v_lshlrev_b64 v[2:3], 3, v[4:5]
	v_add_nc_u32_e32 v15, 0x800, v0
	s_delay_alu instid0(VALU_DEP_4)
	v_lshlrev_b64 v[6:7], 3, v[6:7]
	v_mov_b32_e32 v0, 0
	v_mov_b32_e32 v1, 0
	v_add_co_u32 v4, vcc_lo, s10, v2
	v_add_co_ci_u32_e32 v5, vcc_lo, s11, v3, vcc_lo
	s_waitcnt lgkmcnt(0)
	v_add_co_u32 v6, vcc_lo, s4, v6
	v_dual_mov_b32 v3, v1 :: v_dual_lshlrev_b32 v16, 3, v12
	v_add_co_ci_u32_e32 v7, vcc_lo, s5, v7, vcc_lo
	v_dual_mov_b32 v2, v0 :: v_dual_mov_b32 v9, v1
	v_dual_mov_b32 v8, v0 :: v_dual_mov_b32 v11, v1
	v_mov_b32_e32 v10, v0
	s_mov_b64 s[4:5], 0
.LBB1486_2:                             ; =>This Inner Loop Header: Depth=1
	global_load_b64 v[18:19], v[4:5], off
	global_load_b64 v[20:21], v[6:7], off
	s_add_u32 s4, s4, 8
	v_add_co_u32 v4, vcc_lo, v4, 64
	s_addc_u32 s5, s5, 0
	v_add_co_ci_u32_e32 v5, vcc_lo, 0, v5, vcc_lo
	v_cmp_ge_u64_e64 s10, s[4:5], s[8:9]
	v_add_co_u32 v6, vcc_lo, v6, 64
	v_add_co_ci_u32_e32 v7, vcc_lo, 0, v7, vcc_lo
	s_waitcnt vmcnt(1)
	ds_store_b64 v14, v[18:19]
	s_waitcnt vmcnt(0)
	ds_store_b64 v15, v[20:21]
	s_waitcnt lgkmcnt(0)
	s_barrier
	buffer_gl0_inv
	ds_load_2addr_b64 v[18:21], v16 offset1:16
	ds_load_b128 v[22:25], v17
	ds_load_b128 v[26:29], v17 offset:1024
	ds_load_b128 v[30:33], v17 offset:16
	;; [unrolled: 1-line block ×3, first 2 shown]
	s_and_b32 vcc_lo, exec_lo, s10
	s_waitcnt lgkmcnt(3)
	v_fma_f64 v[10:11], v[18:19], v[22:23], v[10:11]
	v_fma_f64 v[8:9], v[20:21], v[22:23], v[8:9]
	s_waitcnt lgkmcnt(2)
	v_fma_f64 v[18:19], v[18:19], v[26:27], v[2:3]
	v_fma_f64 v[20:21], v[20:21], v[26:27], v[0:1]
	ds_load_2addr_b64 v[0:3], v16 offset0:32 offset1:48
	s_waitcnt lgkmcnt(0)
	v_fma_f64 v[10:11], v[0:1], v[24:25], v[10:11]
	v_fma_f64 v[8:9], v[2:3], v[24:25], v[8:9]
	v_fma_f64 v[18:19], v[0:1], v[28:29], v[18:19]
	v_fma_f64 v[20:21], v[2:3], v[28:29], v[20:21]
	ds_load_2addr_b64 v[0:3], v16 offset0:64 offset1:80
	s_waitcnt lgkmcnt(0)
	v_fma_f64 v[10:11], v[0:1], v[30:31], v[10:11]
	v_fma_f64 v[8:9], v[2:3], v[30:31], v[8:9]
	;; [unrolled: 6-line block ×3, first 2 shown]
	v_fma_f64 v[34:35], v[0:1], v[36:37], v[18:19]
	v_fma_f64 v[36:37], v[2:3], v[36:37], v[20:21]
	ds_load_2addr_b64 v[0:3], v16 offset0:128 offset1:144
	ds_load_b128 v[8:11], v17 offset:32
	ds_load_b128 v[18:21], v17 offset:1056
	ds_load_b128 v[22:25], v17 offset:48
	ds_load_b128 v[26:29], v17 offset:1072
	s_waitcnt lgkmcnt(3)
	v_fma_f64 v[30:31], v[0:1], v[8:9], v[30:31]
	v_fma_f64 v[8:9], v[2:3], v[8:9], v[32:33]
	s_waitcnt lgkmcnt(2)
	v_fma_f64 v[32:33], v[0:1], v[18:19], v[34:35]
	v_fma_f64 v[18:19], v[2:3], v[18:19], v[36:37]
	ds_load_2addr_b64 v[0:3], v16 offset0:160 offset1:176
	s_waitcnt lgkmcnt(0)
	v_fma_f64 v[30:31], v[0:1], v[10:11], v[30:31]
	v_fma_f64 v[8:9], v[2:3], v[10:11], v[8:9]
	;; [unrolled: 1-line block ×4, first 2 shown]
	ds_load_2addr_b64 v[0:3], v16 offset0:192 offset1:208
	s_waitcnt lgkmcnt(0)
	v_fma_f64 v[30:31], v[0:1], v[22:23], v[30:31]
	v_fma_f64 v[8:9], v[2:3], v[22:23], v[8:9]
	;; [unrolled: 1-line block ×4, first 2 shown]
	ds_load_2addr_b64 v[18:21], v16 offset0:224 offset1:240
	s_waitcnt lgkmcnt(0)
	s_barrier
	buffer_gl0_inv
	v_fma_f64 v[10:11], v[18:19], v[24:25], v[30:31]
	v_fma_f64 v[8:9], v[20:21], v[24:25], v[8:9]
	;; [unrolled: 1-line block ×4, first 2 shown]
	s_cbranch_vccz .LBB1486_2
.LBB1486_3:
	v_add_nc_u32_e32 v13, s19, v13
	s_load_b32 s4, s[0:1], 0x0
	s_delay_alu instid0(VALU_DEP_1) | instskip(SKIP_2) | instid1(VALU_DEP_3)
	v_ashrrev_i32_e32 v4, 31, v13
	v_mul_lo_u32 v7, v13, s7
	v_mad_u64_u32 v[5:6], null, v13, s6, 0
	v_mul_lo_u32 v4, v4, s6
	s_delay_alu instid0(VALU_DEP_1) | instskip(SKIP_3) | instid1(VALU_DEP_3)
	v_add3_u32 v6, v6, v7, v4
	v_add_nc_u32_e32 v4, s18, v12
	s_waitcnt lgkmcnt(0)
	v_cmp_gt_i32_e32 vcc_lo, s4, v13
	v_lshlrev_b64 v[5:6], 3, v[5:6]
	s_delay_alu instid0(VALU_DEP_3) | instskip(NEXT) | instid1(VALU_DEP_1)
	v_cmp_le_i32_e64 s0, v4, v13
	s_and_b32 s0, vcc_lo, s0
	s_delay_alu instid0(VALU_DEP_2) | instskip(NEXT) | instid1(VALU_DEP_1)
	v_add_co_u32 v12, s1, s2, v5
	v_add_co_ci_u32_e64 v14, s1, s3, v6, s1
	s_and_saveexec_b32 s1, s0
	s_cbranch_execz .LBB1486_5
; %bb.4:
	v_ashrrev_i32_e32 v5, 31, v4
	v_xor_b32_e32 v11, 0x80000000, v11
	s_delay_alu instid0(VALU_DEP_2) | instskip(NEXT) | instid1(VALU_DEP_1)
	v_lshlrev_b64 v[5:6], 3, v[4:5]
	v_add_co_u32 v5, s0, v12, v5
	s_delay_alu instid0(VALU_DEP_1)
	v_add_co_ci_u32_e64 v6, s0, v14, v6, s0
	global_store_b64 v[5:6], v[10:11], off
.LBB1486_5:
	s_or_b32 exec_lo, exec_lo, s1
	v_add_nc_u32_e32 v6, 16, v4
	s_delay_alu instid0(VALU_DEP_1) | instskip(NEXT) | instid1(VALU_DEP_1)
	v_cmp_le_i32_e64 s0, v6, v13
	s_and_b32 s1, vcc_lo, s0
	s_delay_alu instid0(SALU_CYCLE_1)
	s_and_saveexec_b32 s0, s1
	s_cbranch_execz .LBB1486_7
; %bb.6:
	v_ashrrev_i32_e32 v7, 31, v6
	v_xor_b32_e32 v9, 0x80000000, v9
	s_delay_alu instid0(VALU_DEP_2) | instskip(NEXT) | instid1(VALU_DEP_1)
	v_lshlrev_b64 v[10:11], 3, v[6:7]
	v_add_co_u32 v10, vcc_lo, v12, v10
	s_delay_alu instid0(VALU_DEP_2)
	v_add_co_ci_u32_e32 v11, vcc_lo, v14, v11, vcc_lo
	global_store_b64 v[10:11], v[8:9], off
.LBB1486_7:
	s_or_b32 exec_lo, exec_lo, s0
	v_add_nc_u32_e32 v7, 16, v13
	s_delay_alu instid0(VALU_DEP_1) | instskip(SKIP_3) | instid1(VALU_DEP_4)
	v_ashrrev_i32_e32 v5, 31, v7
	v_mul_lo_u32 v10, v7, s7
	v_mad_u64_u32 v[8:9], null, v7, s6, 0
	v_cmp_gt_i32_e32 vcc_lo, s4, v7
	v_mul_lo_u32 v5, v5, s6
	v_cmp_le_i32_e64 s0, v4, v7
	s_delay_alu instid0(VALU_DEP_1) | instskip(NEXT) | instid1(VALU_DEP_2)
	s_and_b32 s0, vcc_lo, s0
	v_add3_u32 v9, v9, v10, v5
	s_delay_alu instid0(VALU_DEP_1) | instskip(NEXT) | instid1(VALU_DEP_1)
	v_lshlrev_b64 v[8:9], 3, v[8:9]
	v_add_co_u32 v8, s1, s2, v8
	s_delay_alu instid0(VALU_DEP_1)
	v_add_co_ci_u32_e64 v9, s1, s3, v9, s1
	s_and_saveexec_b32 s1, s0
	s_cbranch_execz .LBB1486_9
; %bb.8:
	v_ashrrev_i32_e32 v5, 31, v4
	v_xor_b32_e32 v3, 0x80000000, v3
	s_delay_alu instid0(VALU_DEP_2) | instskip(NEXT) | instid1(VALU_DEP_1)
	v_lshlrev_b64 v[4:5], 3, v[4:5]
	v_add_co_u32 v4, s0, v8, v4
	s_delay_alu instid0(VALU_DEP_1)
	v_add_co_ci_u32_e64 v5, s0, v9, v5, s0
	global_store_b64 v[4:5], v[2:3], off
.LBB1486_9:
	s_or_b32 exec_lo, exec_lo, s1
	v_cmp_le_i32_e64 s0, v6, v7
	s_delay_alu instid0(VALU_DEP_1) | instskip(NEXT) | instid1(SALU_CYCLE_1)
	s_and_b32 s0, vcc_lo, s0
	s_and_saveexec_b32 s1, s0
	s_cbranch_execz .LBB1486_11
; %bb.10:
	v_ashrrev_i32_e32 v7, 31, v6
	v_xor_b32_e32 v1, 0x80000000, v1
	s_delay_alu instid0(VALU_DEP_2) | instskip(NEXT) | instid1(VALU_DEP_1)
	v_lshlrev_b64 v[2:3], 3, v[6:7]
	v_add_co_u32 v2, vcc_lo, v8, v2
	s_delay_alu instid0(VALU_DEP_2)
	v_add_co_ci_u32_e32 v3, vcc_lo, v9, v3, vcc_lo
	global_store_b64 v[2:3], v[0:1], off
.LBB1486_11:
	s_nop 0
	s_sendmsg sendmsg(MSG_DEALLOC_VGPRS)
	s_endpgm
	.section	.rodata,"a",@progbits
	.p2align	6, 0x0
	.amdhsa_kernel _ZL37rocblas_syrkx_herkx_restricted_kernelIldLi16ELi32ELi8ELin1ELi0ELb0ELc84ELc85EKPKdKPdEviT_PT9_S5_lS7_S5_lPT10_S5_li
		.amdhsa_group_segment_fixed_size 4096
		.amdhsa_private_segment_fixed_size 0
		.amdhsa_kernarg_size 92
		.amdhsa_user_sgpr_count 13
		.amdhsa_user_sgpr_dispatch_ptr 0
		.amdhsa_user_sgpr_queue_ptr 0
		.amdhsa_user_sgpr_kernarg_segment_ptr 1
		.amdhsa_user_sgpr_dispatch_id 0
		.amdhsa_user_sgpr_private_segment_size 0
		.amdhsa_wavefront_size32 1
		.amdhsa_uses_dynamic_stack 0
		.amdhsa_enable_private_segment 0
		.amdhsa_system_sgpr_workgroup_id_x 1
		.amdhsa_system_sgpr_workgroup_id_y 1
		.amdhsa_system_sgpr_workgroup_id_z 1
		.amdhsa_system_sgpr_workgroup_info 0
		.amdhsa_system_vgpr_workitem_id 1
		.amdhsa_next_free_vgpr 38
		.amdhsa_next_free_sgpr 20
		.amdhsa_reserve_vcc 1
		.amdhsa_float_round_mode_32 0
		.amdhsa_float_round_mode_16_64 0
		.amdhsa_float_denorm_mode_32 3
		.amdhsa_float_denorm_mode_16_64 3
		.amdhsa_dx10_clamp 1
		.amdhsa_ieee_mode 1
		.amdhsa_fp16_overflow 0
		.amdhsa_workgroup_processor_mode 1
		.amdhsa_memory_ordered 1
		.amdhsa_forward_progress 0
		.amdhsa_shared_vgpr_count 0
		.amdhsa_exception_fp_ieee_invalid_op 0
		.amdhsa_exception_fp_denorm_src 0
		.amdhsa_exception_fp_ieee_div_zero 0
		.amdhsa_exception_fp_ieee_overflow 0
		.amdhsa_exception_fp_ieee_underflow 0
		.amdhsa_exception_fp_ieee_inexact 0
		.amdhsa_exception_int_div_zero 0
	.end_amdhsa_kernel
	.section	.text._ZL37rocblas_syrkx_herkx_restricted_kernelIldLi16ELi32ELi8ELin1ELi0ELb0ELc84ELc85EKPKdKPdEviT_PT9_S5_lS7_S5_lPT10_S5_li,"axG",@progbits,_ZL37rocblas_syrkx_herkx_restricted_kernelIldLi16ELi32ELi8ELin1ELi0ELb0ELc84ELc85EKPKdKPdEviT_PT9_S5_lS7_S5_lPT10_S5_li,comdat
.Lfunc_end1486:
	.size	_ZL37rocblas_syrkx_herkx_restricted_kernelIldLi16ELi32ELi8ELin1ELi0ELb0ELc84ELc85EKPKdKPdEviT_PT9_S5_lS7_S5_lPT10_S5_li, .Lfunc_end1486-_ZL37rocblas_syrkx_herkx_restricted_kernelIldLi16ELi32ELi8ELin1ELi0ELb0ELc84ELc85EKPKdKPdEviT_PT9_S5_lS7_S5_lPT10_S5_li
                                        ; -- End function
	.section	.AMDGPU.csdata,"",@progbits
; Kernel info:
; codeLenInByte = 1492
; NumSgprs: 22
; NumVgprs: 38
; ScratchSize: 0
; MemoryBound: 0
; FloatMode: 240
; IeeeMode: 1
; LDSByteSize: 4096 bytes/workgroup (compile time only)
; SGPRBlocks: 2
; VGPRBlocks: 4
; NumSGPRsForWavesPerEU: 22
; NumVGPRsForWavesPerEU: 38
; Occupancy: 16
; WaveLimiterHint : 1
; COMPUTE_PGM_RSRC2:SCRATCH_EN: 0
; COMPUTE_PGM_RSRC2:USER_SGPR: 13
; COMPUTE_PGM_RSRC2:TRAP_HANDLER: 0
; COMPUTE_PGM_RSRC2:TGID_X_EN: 1
; COMPUTE_PGM_RSRC2:TGID_Y_EN: 1
; COMPUTE_PGM_RSRC2:TGID_Z_EN: 1
; COMPUTE_PGM_RSRC2:TIDIG_COMP_CNT: 1
	.section	.text._ZL37rocblas_syrkx_herkx_restricted_kernelIldLi16ELi32ELi8ELin1ELi0ELb0ELc67ELc85EKPKdKPdEviT_PT9_S5_lS7_S5_lPT10_S5_li,"axG",@progbits,_ZL37rocblas_syrkx_herkx_restricted_kernelIldLi16ELi32ELi8ELin1ELi0ELb0ELc67ELc85EKPKdKPdEviT_PT9_S5_lS7_S5_lPT10_S5_li,comdat
	.globl	_ZL37rocblas_syrkx_herkx_restricted_kernelIldLi16ELi32ELi8ELin1ELi0ELb0ELc67ELc85EKPKdKPdEviT_PT9_S5_lS7_S5_lPT10_S5_li ; -- Begin function _ZL37rocblas_syrkx_herkx_restricted_kernelIldLi16ELi32ELi8ELin1ELi0ELb0ELc67ELc85EKPKdKPdEviT_PT9_S5_lS7_S5_lPT10_S5_li
	.p2align	8
	.type	_ZL37rocblas_syrkx_herkx_restricted_kernelIldLi16ELi32ELi8ELin1ELi0ELb0ELc67ELc85EKPKdKPdEviT_PT9_S5_lS7_S5_lPT10_S5_li,@function
_ZL37rocblas_syrkx_herkx_restricted_kernelIldLi16ELi32ELi8ELin1ELi0ELb0ELc67ELc85EKPKdKPdEviT_PT9_S5_lS7_S5_lPT10_S5_li: ; @_ZL37rocblas_syrkx_herkx_restricted_kernelIldLi16ELi32ELi8ELin1ELi0ELb0ELc67ELc85EKPKdKPdEviT_PT9_S5_lS7_S5_lPT10_S5_li
; %bb.0:
	s_clause 0x1
	s_load_b128 s[4:7], s[0:1], 0x40
	s_load_b128 s[8:11], s[0:1], 0x8
	s_mov_b32 s2, s15
	s_mov_b32 s3, 0
	v_mov_b32_e32 v10, 0
	s_lshl_b64 s[16:17], s[2:3], 3
	v_dual_mov_b32 v11, 0 :: v_dual_and_b32 v12, 0x3ff, v0
	v_bfe_u32 v13, v0, 10, 10
	s_delay_alu instid0(VALU_DEP_3) | instskip(NEXT) | instid1(VALU_DEP_3)
	v_mov_b32_e32 v8, v10
	v_dual_mov_b32 v2, v10 :: v_dual_mov_b32 v3, v11
	v_dual_mov_b32 v9, v11 :: v_dual_mov_b32 v0, v10
	v_mov_b32_e32 v1, v11
	s_waitcnt lgkmcnt(0)
	s_add_u32 s2, s4, s16
	s_addc_u32 s3, s5, s17
	v_cmp_lt_i64_e64 s4, s[8:9], 1
	s_load_b64 s[2:3], s[2:3], 0x0
	s_lshl_b32 s18, s13, 5
	s_lshl_b32 s19, s14, 5
	s_delay_alu instid0(VALU_DEP_1)
	s_and_b32 vcc_lo, exec_lo, s4
	s_cbranch_vccnz .LBB1487_3
; %bb.1:
	s_clause 0x1
	s_load_b128 s[12:15], s[0:1], 0x28
	s_load_b64 s[4:5], s[0:1], 0x18
	v_lshl_add_u32 v2, v13, 4, v12
	v_dual_mov_b32 v1, 0 :: v_dual_and_b32 v0, 7, v12
	s_add_u32 s10, s10, s16
	s_addc_u32 s11, s11, s17
	s_delay_alu instid0(VALU_DEP_2)
	v_lshrrev_b32_e32 v8, 3, v2
	v_and_b32_e32 v9, 31, v2
	v_lshrrev_b32_e32 v2, 5, v2
	v_mov_b32_e32 v3, v1
	s_load_b64 s[10:11], s[10:11], 0x0
	v_add_nc_u32_e32 v10, s19, v8
	v_add_nc_u32_e32 v6, s18, v9
	v_lshl_add_u32 v17, v13, 6, 0x800
	s_delay_alu instid0(VALU_DEP_3) | instskip(NEXT) | instid1(VALU_DEP_3)
	v_ashrrev_i32_e32 v4, 31, v10
	v_ashrrev_i32_e32 v5, 31, v6
	s_waitcnt lgkmcnt(0)
	s_add_u32 s12, s12, s16
	s_addc_u32 s13, s13, s17
	v_mul_lo_u32 v11, v4, s14
	v_mul_lo_u32 v15, s4, v5
	v_mad_u64_u32 v[4:5], null, s4, v6, v[2:3]
	v_mul_lo_u32 v3, s5, v6
	s_load_b64 s[4:5], s[12:13], 0x0
	v_mul_lo_u32 v14, v10, s15
	v_mad_u64_u32 v[6:7], null, v10, s14, v[0:1]
	v_lshlrev_b32_e32 v0, 3, v0
	v_lshlrev_b32_e32 v1, 3, v9
	v_add3_u32 v5, v3, v5, v15
	s_delay_alu instid0(VALU_DEP_3) | instskip(SKIP_1) | instid1(VALU_DEP_4)
	v_lshl_or_b32 v0, v8, 6, v0
	v_add3_u32 v7, v11, v7, v14
	v_lshl_or_b32 v14, v2, 8, v1
	s_delay_alu instid0(VALU_DEP_4) | instskip(NEXT) | instid1(VALU_DEP_4)
	v_lshlrev_b64 v[2:3], 3, v[4:5]
	v_add_nc_u32_e32 v15, 0x800, v0
	s_delay_alu instid0(VALU_DEP_4)
	v_lshlrev_b64 v[6:7], 3, v[6:7]
	v_mov_b32_e32 v0, 0
	v_mov_b32_e32 v1, 0
	v_add_co_u32 v4, vcc_lo, s10, v2
	v_add_co_ci_u32_e32 v5, vcc_lo, s11, v3, vcc_lo
	s_waitcnt lgkmcnt(0)
	v_add_co_u32 v6, vcc_lo, s4, v6
	v_dual_mov_b32 v3, v1 :: v_dual_lshlrev_b32 v16, 3, v12
	v_add_co_ci_u32_e32 v7, vcc_lo, s5, v7, vcc_lo
	v_dual_mov_b32 v2, v0 :: v_dual_mov_b32 v9, v1
	v_dual_mov_b32 v8, v0 :: v_dual_mov_b32 v11, v1
	v_mov_b32_e32 v10, v0
	s_mov_b64 s[4:5], 0
.LBB1487_2:                             ; =>This Inner Loop Header: Depth=1
	global_load_b64 v[18:19], v[4:5], off
	global_load_b64 v[20:21], v[6:7], off
	s_add_u32 s4, s4, 8
	v_add_co_u32 v4, vcc_lo, v4, 64
	s_addc_u32 s5, s5, 0
	v_add_co_ci_u32_e32 v5, vcc_lo, 0, v5, vcc_lo
	v_cmp_ge_u64_e64 s10, s[4:5], s[8:9]
	v_add_co_u32 v6, vcc_lo, v6, 64
	v_add_co_ci_u32_e32 v7, vcc_lo, 0, v7, vcc_lo
	s_waitcnt vmcnt(1)
	ds_store_b64 v14, v[18:19]
	s_waitcnt vmcnt(0)
	ds_store_b64 v15, v[20:21]
	s_waitcnt lgkmcnt(0)
	s_barrier
	buffer_gl0_inv
	ds_load_2addr_b64 v[18:21], v16 offset1:16
	ds_load_b128 v[22:25], v17
	ds_load_b128 v[26:29], v17 offset:1024
	ds_load_b128 v[30:33], v17 offset:16
	;; [unrolled: 1-line block ×3, first 2 shown]
	s_and_b32 vcc_lo, exec_lo, s10
	s_waitcnt lgkmcnt(3)
	v_fma_f64 v[10:11], v[18:19], v[22:23], v[10:11]
	v_fma_f64 v[8:9], v[20:21], v[22:23], v[8:9]
	s_waitcnt lgkmcnt(2)
	v_fma_f64 v[18:19], v[18:19], v[26:27], v[2:3]
	v_fma_f64 v[20:21], v[20:21], v[26:27], v[0:1]
	ds_load_2addr_b64 v[0:3], v16 offset0:32 offset1:48
	s_waitcnt lgkmcnt(0)
	v_fma_f64 v[10:11], v[0:1], v[24:25], v[10:11]
	v_fma_f64 v[8:9], v[2:3], v[24:25], v[8:9]
	v_fma_f64 v[18:19], v[0:1], v[28:29], v[18:19]
	v_fma_f64 v[20:21], v[2:3], v[28:29], v[20:21]
	ds_load_2addr_b64 v[0:3], v16 offset0:64 offset1:80
	s_waitcnt lgkmcnt(0)
	v_fma_f64 v[10:11], v[0:1], v[30:31], v[10:11]
	v_fma_f64 v[8:9], v[2:3], v[30:31], v[8:9]
	;; [unrolled: 6-line block ×3, first 2 shown]
	v_fma_f64 v[34:35], v[0:1], v[36:37], v[18:19]
	v_fma_f64 v[36:37], v[2:3], v[36:37], v[20:21]
	ds_load_2addr_b64 v[0:3], v16 offset0:128 offset1:144
	ds_load_b128 v[8:11], v17 offset:32
	ds_load_b128 v[18:21], v17 offset:1056
	;; [unrolled: 1-line block ×4, first 2 shown]
	s_waitcnt lgkmcnt(3)
	v_fma_f64 v[30:31], v[0:1], v[8:9], v[30:31]
	v_fma_f64 v[8:9], v[2:3], v[8:9], v[32:33]
	s_waitcnt lgkmcnt(2)
	v_fma_f64 v[32:33], v[0:1], v[18:19], v[34:35]
	v_fma_f64 v[18:19], v[2:3], v[18:19], v[36:37]
	ds_load_2addr_b64 v[0:3], v16 offset0:160 offset1:176
	s_waitcnt lgkmcnt(0)
	v_fma_f64 v[30:31], v[0:1], v[10:11], v[30:31]
	v_fma_f64 v[8:9], v[2:3], v[10:11], v[8:9]
	;; [unrolled: 1-line block ×4, first 2 shown]
	ds_load_2addr_b64 v[0:3], v16 offset0:192 offset1:208
	s_waitcnt lgkmcnt(0)
	v_fma_f64 v[30:31], v[0:1], v[22:23], v[30:31]
	v_fma_f64 v[8:9], v[2:3], v[22:23], v[8:9]
	;; [unrolled: 1-line block ×4, first 2 shown]
	ds_load_2addr_b64 v[18:21], v16 offset0:224 offset1:240
	s_waitcnt lgkmcnt(0)
	s_barrier
	buffer_gl0_inv
	v_fma_f64 v[10:11], v[18:19], v[24:25], v[30:31]
	v_fma_f64 v[8:9], v[20:21], v[24:25], v[8:9]
	;; [unrolled: 1-line block ×4, first 2 shown]
	s_cbranch_vccz .LBB1487_2
.LBB1487_3:
	v_add_nc_u32_e32 v13, s19, v13
	s_load_b32 s4, s[0:1], 0x0
	s_delay_alu instid0(VALU_DEP_1) | instskip(SKIP_2) | instid1(VALU_DEP_3)
	v_ashrrev_i32_e32 v4, 31, v13
	v_mul_lo_u32 v7, v13, s7
	v_mad_u64_u32 v[5:6], null, v13, s6, 0
	v_mul_lo_u32 v4, v4, s6
	s_delay_alu instid0(VALU_DEP_1) | instskip(SKIP_3) | instid1(VALU_DEP_3)
	v_add3_u32 v6, v6, v7, v4
	v_add_nc_u32_e32 v4, s18, v12
	s_waitcnt lgkmcnt(0)
	v_cmp_gt_i32_e32 vcc_lo, s4, v13
	v_lshlrev_b64 v[5:6], 3, v[5:6]
	s_delay_alu instid0(VALU_DEP_3) | instskip(NEXT) | instid1(VALU_DEP_1)
	v_cmp_le_i32_e64 s0, v4, v13
	s_and_b32 s0, vcc_lo, s0
	s_delay_alu instid0(VALU_DEP_2) | instskip(NEXT) | instid1(VALU_DEP_1)
	v_add_co_u32 v12, s1, s2, v5
	v_add_co_ci_u32_e64 v14, s1, s3, v6, s1
	s_and_saveexec_b32 s1, s0
	s_cbranch_execz .LBB1487_5
; %bb.4:
	v_ashrrev_i32_e32 v5, 31, v4
	v_xor_b32_e32 v11, 0x80000000, v11
	s_delay_alu instid0(VALU_DEP_2) | instskip(NEXT) | instid1(VALU_DEP_1)
	v_lshlrev_b64 v[5:6], 3, v[4:5]
	v_add_co_u32 v5, s0, v12, v5
	s_delay_alu instid0(VALU_DEP_1)
	v_add_co_ci_u32_e64 v6, s0, v14, v6, s0
	global_store_b64 v[5:6], v[10:11], off
.LBB1487_5:
	s_or_b32 exec_lo, exec_lo, s1
	v_add_nc_u32_e32 v6, 16, v4
	s_delay_alu instid0(VALU_DEP_1) | instskip(NEXT) | instid1(VALU_DEP_1)
	v_cmp_le_i32_e64 s0, v6, v13
	s_and_b32 s1, vcc_lo, s0
	s_delay_alu instid0(SALU_CYCLE_1)
	s_and_saveexec_b32 s0, s1
	s_cbranch_execz .LBB1487_7
; %bb.6:
	v_ashrrev_i32_e32 v7, 31, v6
	v_xor_b32_e32 v9, 0x80000000, v9
	s_delay_alu instid0(VALU_DEP_2) | instskip(NEXT) | instid1(VALU_DEP_1)
	v_lshlrev_b64 v[10:11], 3, v[6:7]
	v_add_co_u32 v10, vcc_lo, v12, v10
	s_delay_alu instid0(VALU_DEP_2)
	v_add_co_ci_u32_e32 v11, vcc_lo, v14, v11, vcc_lo
	global_store_b64 v[10:11], v[8:9], off
.LBB1487_7:
	s_or_b32 exec_lo, exec_lo, s0
	v_add_nc_u32_e32 v7, 16, v13
	s_delay_alu instid0(VALU_DEP_1) | instskip(SKIP_3) | instid1(VALU_DEP_4)
	v_ashrrev_i32_e32 v5, 31, v7
	v_mul_lo_u32 v10, v7, s7
	v_mad_u64_u32 v[8:9], null, v7, s6, 0
	v_cmp_gt_i32_e32 vcc_lo, s4, v7
	v_mul_lo_u32 v5, v5, s6
	v_cmp_le_i32_e64 s0, v4, v7
	s_delay_alu instid0(VALU_DEP_1) | instskip(NEXT) | instid1(VALU_DEP_2)
	s_and_b32 s0, vcc_lo, s0
	v_add3_u32 v9, v9, v10, v5
	s_delay_alu instid0(VALU_DEP_1) | instskip(NEXT) | instid1(VALU_DEP_1)
	v_lshlrev_b64 v[8:9], 3, v[8:9]
	v_add_co_u32 v8, s1, s2, v8
	s_delay_alu instid0(VALU_DEP_1)
	v_add_co_ci_u32_e64 v9, s1, s3, v9, s1
	s_and_saveexec_b32 s1, s0
	s_cbranch_execz .LBB1487_9
; %bb.8:
	v_ashrrev_i32_e32 v5, 31, v4
	v_xor_b32_e32 v3, 0x80000000, v3
	s_delay_alu instid0(VALU_DEP_2) | instskip(NEXT) | instid1(VALU_DEP_1)
	v_lshlrev_b64 v[4:5], 3, v[4:5]
	v_add_co_u32 v4, s0, v8, v4
	s_delay_alu instid0(VALU_DEP_1)
	v_add_co_ci_u32_e64 v5, s0, v9, v5, s0
	global_store_b64 v[4:5], v[2:3], off
.LBB1487_9:
	s_or_b32 exec_lo, exec_lo, s1
	v_cmp_le_i32_e64 s0, v6, v7
	s_delay_alu instid0(VALU_DEP_1) | instskip(NEXT) | instid1(SALU_CYCLE_1)
	s_and_b32 s0, vcc_lo, s0
	s_and_saveexec_b32 s1, s0
	s_cbranch_execz .LBB1487_11
; %bb.10:
	v_ashrrev_i32_e32 v7, 31, v6
	v_xor_b32_e32 v1, 0x80000000, v1
	s_delay_alu instid0(VALU_DEP_2) | instskip(NEXT) | instid1(VALU_DEP_1)
	v_lshlrev_b64 v[2:3], 3, v[6:7]
	v_add_co_u32 v2, vcc_lo, v8, v2
	s_delay_alu instid0(VALU_DEP_2)
	v_add_co_ci_u32_e32 v3, vcc_lo, v9, v3, vcc_lo
	global_store_b64 v[2:3], v[0:1], off
.LBB1487_11:
	s_nop 0
	s_sendmsg sendmsg(MSG_DEALLOC_VGPRS)
	s_endpgm
	.section	.rodata,"a",@progbits
	.p2align	6, 0x0
	.amdhsa_kernel _ZL37rocblas_syrkx_herkx_restricted_kernelIldLi16ELi32ELi8ELin1ELi0ELb0ELc67ELc85EKPKdKPdEviT_PT9_S5_lS7_S5_lPT10_S5_li
		.amdhsa_group_segment_fixed_size 4096
		.amdhsa_private_segment_fixed_size 0
		.amdhsa_kernarg_size 92
		.amdhsa_user_sgpr_count 13
		.amdhsa_user_sgpr_dispatch_ptr 0
		.amdhsa_user_sgpr_queue_ptr 0
		.amdhsa_user_sgpr_kernarg_segment_ptr 1
		.amdhsa_user_sgpr_dispatch_id 0
		.amdhsa_user_sgpr_private_segment_size 0
		.amdhsa_wavefront_size32 1
		.amdhsa_uses_dynamic_stack 0
		.amdhsa_enable_private_segment 0
		.amdhsa_system_sgpr_workgroup_id_x 1
		.amdhsa_system_sgpr_workgroup_id_y 1
		.amdhsa_system_sgpr_workgroup_id_z 1
		.amdhsa_system_sgpr_workgroup_info 0
		.amdhsa_system_vgpr_workitem_id 1
		.amdhsa_next_free_vgpr 38
		.amdhsa_next_free_sgpr 20
		.amdhsa_reserve_vcc 1
		.amdhsa_float_round_mode_32 0
		.amdhsa_float_round_mode_16_64 0
		.amdhsa_float_denorm_mode_32 3
		.amdhsa_float_denorm_mode_16_64 3
		.amdhsa_dx10_clamp 1
		.amdhsa_ieee_mode 1
		.amdhsa_fp16_overflow 0
		.amdhsa_workgroup_processor_mode 1
		.amdhsa_memory_ordered 1
		.amdhsa_forward_progress 0
		.amdhsa_shared_vgpr_count 0
		.amdhsa_exception_fp_ieee_invalid_op 0
		.amdhsa_exception_fp_denorm_src 0
		.amdhsa_exception_fp_ieee_div_zero 0
		.amdhsa_exception_fp_ieee_overflow 0
		.amdhsa_exception_fp_ieee_underflow 0
		.amdhsa_exception_fp_ieee_inexact 0
		.amdhsa_exception_int_div_zero 0
	.end_amdhsa_kernel
	.section	.text._ZL37rocblas_syrkx_herkx_restricted_kernelIldLi16ELi32ELi8ELin1ELi0ELb0ELc67ELc85EKPKdKPdEviT_PT9_S5_lS7_S5_lPT10_S5_li,"axG",@progbits,_ZL37rocblas_syrkx_herkx_restricted_kernelIldLi16ELi32ELi8ELin1ELi0ELb0ELc67ELc85EKPKdKPdEviT_PT9_S5_lS7_S5_lPT10_S5_li,comdat
.Lfunc_end1487:
	.size	_ZL37rocblas_syrkx_herkx_restricted_kernelIldLi16ELi32ELi8ELin1ELi0ELb0ELc67ELc85EKPKdKPdEviT_PT9_S5_lS7_S5_lPT10_S5_li, .Lfunc_end1487-_ZL37rocblas_syrkx_herkx_restricted_kernelIldLi16ELi32ELi8ELin1ELi0ELb0ELc67ELc85EKPKdKPdEviT_PT9_S5_lS7_S5_lPT10_S5_li
                                        ; -- End function
	.section	.AMDGPU.csdata,"",@progbits
; Kernel info:
; codeLenInByte = 1492
; NumSgprs: 22
; NumVgprs: 38
; ScratchSize: 0
; MemoryBound: 0
; FloatMode: 240
; IeeeMode: 1
; LDSByteSize: 4096 bytes/workgroup (compile time only)
; SGPRBlocks: 2
; VGPRBlocks: 4
; NumSGPRsForWavesPerEU: 22
; NumVGPRsForWavesPerEU: 38
; Occupancy: 16
; WaveLimiterHint : 1
; COMPUTE_PGM_RSRC2:SCRATCH_EN: 0
; COMPUTE_PGM_RSRC2:USER_SGPR: 13
; COMPUTE_PGM_RSRC2:TRAP_HANDLER: 0
; COMPUTE_PGM_RSRC2:TGID_X_EN: 1
; COMPUTE_PGM_RSRC2:TGID_Y_EN: 1
; COMPUTE_PGM_RSRC2:TGID_Z_EN: 1
; COMPUTE_PGM_RSRC2:TIDIG_COMP_CNT: 1
	.section	.text._ZL37rocblas_syrkx_herkx_restricted_kernelIldLi16ELi32ELi8ELin1ELi0ELb0ELc78ELc85EKPKdKPdEviT_PT9_S5_lS7_S5_lPT10_S5_li,"axG",@progbits,_ZL37rocblas_syrkx_herkx_restricted_kernelIldLi16ELi32ELi8ELin1ELi0ELb0ELc78ELc85EKPKdKPdEviT_PT9_S5_lS7_S5_lPT10_S5_li,comdat
	.globl	_ZL37rocblas_syrkx_herkx_restricted_kernelIldLi16ELi32ELi8ELin1ELi0ELb0ELc78ELc85EKPKdKPdEviT_PT9_S5_lS7_S5_lPT10_S5_li ; -- Begin function _ZL37rocblas_syrkx_herkx_restricted_kernelIldLi16ELi32ELi8ELin1ELi0ELb0ELc78ELc85EKPKdKPdEviT_PT9_S5_lS7_S5_lPT10_S5_li
	.p2align	8
	.type	_ZL37rocblas_syrkx_herkx_restricted_kernelIldLi16ELi32ELi8ELin1ELi0ELb0ELc78ELc85EKPKdKPdEviT_PT9_S5_lS7_S5_lPT10_S5_li,@function
_ZL37rocblas_syrkx_herkx_restricted_kernelIldLi16ELi32ELi8ELin1ELi0ELb0ELc78ELc85EKPKdKPdEviT_PT9_S5_lS7_S5_lPT10_S5_li: ; @_ZL37rocblas_syrkx_herkx_restricted_kernelIldLi16ELi32ELi8ELin1ELi0ELb0ELc78ELc85EKPKdKPdEviT_PT9_S5_lS7_S5_lPT10_S5_li
; %bb.0:
	s_clause 0x1
	s_load_b128 s[4:7], s[0:1], 0x40
	s_load_b128 s[8:11], s[0:1], 0x8
	s_mov_b32 s2, s15
	s_mov_b32 s3, 0
	v_mov_b32_e32 v10, 0
	s_lshl_b64 s[16:17], s[2:3], 3
	v_dual_mov_b32 v11, 0 :: v_dual_and_b32 v12, 0x3ff, v0
	v_bfe_u32 v13, v0, 10, 10
	s_delay_alu instid0(VALU_DEP_3) | instskip(NEXT) | instid1(VALU_DEP_3)
	v_mov_b32_e32 v8, v10
	v_dual_mov_b32 v2, v10 :: v_dual_mov_b32 v3, v11
	v_dual_mov_b32 v9, v11 :: v_dual_mov_b32 v0, v10
	v_mov_b32_e32 v1, v11
	s_waitcnt lgkmcnt(0)
	s_add_u32 s2, s4, s16
	s_addc_u32 s3, s5, s17
	v_cmp_lt_i64_e64 s4, s[8:9], 1
	s_load_b64 s[2:3], s[2:3], 0x0
	s_lshl_b32 s18, s13, 5
	s_lshl_b32 s19, s14, 5
	s_delay_alu instid0(VALU_DEP_1)
	s_and_b32 vcc_lo, exec_lo, s4
	s_cbranch_vccnz .LBB1488_3
; %bb.1:
	v_lshl_add_u32 v1, v13, 4, v12
	s_clause 0x1
	s_load_b64 s[4:5], s[0:1], 0x18
	s_load_b128 s[12:15], s[0:1], 0x28
	s_add_u32 s10, s10, s16
	s_addc_u32 s11, s11, s17
	s_load_b64 s[10:11], s[10:11], 0x0
	v_and_b32_e32 v10, 31, v1
	v_lshrrev_b32_e32 v11, 3, v1
	v_lshrrev_b32_e32 v16, 5, v1
	s_delay_alu instid0(VALU_DEP_3) | instskip(NEXT) | instid1(VALU_DEP_3)
	v_add_nc_u32_e32 v0, s18, v10
	v_add_nc_u32_e32 v2, s19, v11
	s_delay_alu instid0(VALU_DEP_2) | instskip(NEXT) | instid1(VALU_DEP_2)
	v_ashrrev_i32_e32 v1, 31, v0
	v_ashrrev_i32_e32 v3, 31, v2
	s_waitcnt lgkmcnt(0)
	s_delay_alu instid0(VALU_DEP_2) | instskip(SKIP_4) | instid1(VALU_DEP_2)
	v_mad_u64_u32 v[4:5], null, v16, s4, v[0:1]
	v_and_b32_e32 v15, 7, v12
	s_add_u32 s12, s12, s16
	s_addc_u32 s13, s13, s17
	s_load_b64 s[12:13], s[12:13], 0x0
	v_mov_b32_e32 v0, v5
	v_mad_u64_u32 v[6:7], null, v15, s14, v[2:3]
	s_delay_alu instid0(VALU_DEP_1) | instskip(NEXT) | instid1(VALU_DEP_3)
	v_mov_b32_e32 v2, v7
	v_mad_u64_u32 v[7:8], null, v16, s5, v[0:1]
	s_lshl_b64 s[4:5], s[4:5], 6
	s_delay_alu instid0(VALU_DEP_2) | instskip(SKIP_2) | instid1(VALU_DEP_4)
	v_mad_u64_u32 v[8:9], null, v15, s15, v[2:3]
	v_lshlrev_b32_e32 v9, 3, v15
	v_lshl_add_u32 v15, v13, 6, 0x800
	v_mov_b32_e32 v5, v7
	s_delay_alu instid0(VALU_DEP_3) | instskip(SKIP_1) | instid1(VALU_DEP_3)
	v_lshl_or_b32 v11, v11, 6, v9
	v_mov_b32_e32 v7, v8
	v_lshlrev_b64 v[4:5], 3, v[4:5]
	v_mov_b32_e32 v0, 0
	v_mov_b32_e32 v1, 0
	v_add_nc_u32_e32 v17, 0x800, v11
	v_lshlrev_b64 v[6:7], 3, v[6:7]
	v_lshlrev_b32_e32 v10, 3, v10
	v_add_co_u32 v4, vcc_lo, s10, v4
	v_dual_mov_b32 v3, v1 :: v_dual_lshlrev_b32 v14, 3, v12
	v_add_co_ci_u32_e32 v5, vcc_lo, s11, v5, vcc_lo
	v_dual_mov_b32 v2, v0 :: v_dual_mov_b32 v9, v1
	s_waitcnt lgkmcnt(0)
	v_add_co_u32 v6, vcc_lo, s12, v6
	v_mov_b32_e32 v8, v0
	v_lshl_or_b32 v16, v16, 8, v10
	v_mov_b32_e32 v11, v1
	v_add_co_ci_u32_e32 v7, vcc_lo, s13, v7, vcc_lo
	v_mov_b32_e32 v10, v0
	s_lshl_b64 s[10:11], s[14:15], 6
	s_mov_b64 s[12:13], 0
.LBB1488_2:                             ; =>This Inner Loop Header: Depth=1
	global_load_b64 v[18:19], v[4:5], off
	global_load_b64 v[20:21], v[6:7], off
	s_add_u32 s12, s12, 8
	v_add_co_u32 v4, vcc_lo, v4, s4
	s_addc_u32 s13, s13, 0
	v_add_co_ci_u32_e32 v5, vcc_lo, s5, v5, vcc_lo
	v_cmp_ge_u64_e64 s14, s[12:13], s[8:9]
	v_add_co_u32 v6, vcc_lo, v6, s10
	v_add_co_ci_u32_e32 v7, vcc_lo, s11, v7, vcc_lo
	s_waitcnt vmcnt(1)
	ds_store_b64 v16, v[18:19]
	s_waitcnt vmcnt(0)
	ds_store_b64 v17, v[20:21]
	s_waitcnt lgkmcnt(0)
	s_barrier
	buffer_gl0_inv
	ds_load_2addr_b64 v[18:21], v14 offset1:16
	ds_load_b128 v[22:25], v15
	ds_load_b128 v[26:29], v15 offset:1024
	ds_load_b128 v[30:33], v15 offset:16
	;; [unrolled: 1-line block ×3, first 2 shown]
	s_and_b32 vcc_lo, exec_lo, s14
	s_waitcnt lgkmcnt(3)
	v_fma_f64 v[10:11], v[18:19], v[22:23], v[10:11]
	v_fma_f64 v[8:9], v[20:21], v[22:23], v[8:9]
	s_waitcnt lgkmcnt(2)
	v_fma_f64 v[18:19], v[18:19], v[26:27], v[2:3]
	v_fma_f64 v[20:21], v[20:21], v[26:27], v[0:1]
	ds_load_2addr_b64 v[0:3], v14 offset0:32 offset1:48
	s_waitcnt lgkmcnt(0)
	v_fma_f64 v[10:11], v[0:1], v[24:25], v[10:11]
	v_fma_f64 v[8:9], v[2:3], v[24:25], v[8:9]
	v_fma_f64 v[18:19], v[0:1], v[28:29], v[18:19]
	v_fma_f64 v[20:21], v[2:3], v[28:29], v[20:21]
	ds_load_2addr_b64 v[0:3], v14 offset0:64 offset1:80
	s_waitcnt lgkmcnt(0)
	v_fma_f64 v[10:11], v[0:1], v[30:31], v[10:11]
	v_fma_f64 v[8:9], v[2:3], v[30:31], v[8:9]
	v_fma_f64 v[18:19], v[0:1], v[34:35], v[18:19]
	v_fma_f64 v[20:21], v[2:3], v[34:35], v[20:21]
	ds_load_2addr_b64 v[0:3], v14 offset0:96 offset1:112
	s_waitcnt lgkmcnt(0)
	v_fma_f64 v[30:31], v[0:1], v[32:33], v[10:11]
	v_fma_f64 v[32:33], v[2:3], v[32:33], v[8:9]
	v_fma_f64 v[34:35], v[0:1], v[36:37], v[18:19]
	v_fma_f64 v[36:37], v[2:3], v[36:37], v[20:21]
	ds_load_2addr_b64 v[0:3], v14 offset0:128 offset1:144
	ds_load_b128 v[8:11], v15 offset:32
	ds_load_b128 v[18:21], v15 offset:1056
	;; [unrolled: 1-line block ×4, first 2 shown]
	s_waitcnt lgkmcnt(3)
	v_fma_f64 v[30:31], v[0:1], v[8:9], v[30:31]
	v_fma_f64 v[8:9], v[2:3], v[8:9], v[32:33]
	s_waitcnt lgkmcnt(2)
	v_fma_f64 v[32:33], v[0:1], v[18:19], v[34:35]
	v_fma_f64 v[18:19], v[2:3], v[18:19], v[36:37]
	ds_load_2addr_b64 v[0:3], v14 offset0:160 offset1:176
	s_waitcnt lgkmcnt(0)
	v_fma_f64 v[30:31], v[0:1], v[10:11], v[30:31]
	v_fma_f64 v[8:9], v[2:3], v[10:11], v[8:9]
	;; [unrolled: 1-line block ×4, first 2 shown]
	ds_load_2addr_b64 v[0:3], v14 offset0:192 offset1:208
	s_waitcnt lgkmcnt(0)
	v_fma_f64 v[30:31], v[0:1], v[22:23], v[30:31]
	v_fma_f64 v[8:9], v[2:3], v[22:23], v[8:9]
	;; [unrolled: 1-line block ×4, first 2 shown]
	ds_load_2addr_b64 v[18:21], v14 offset0:224 offset1:240
	s_waitcnt lgkmcnt(0)
	s_barrier
	buffer_gl0_inv
	v_fma_f64 v[10:11], v[18:19], v[24:25], v[30:31]
	v_fma_f64 v[8:9], v[20:21], v[24:25], v[8:9]
	;; [unrolled: 1-line block ×4, first 2 shown]
	s_cbranch_vccz .LBB1488_2
.LBB1488_3:
	v_add_nc_u32_e32 v13, s19, v13
	s_load_b32 s4, s[0:1], 0x0
	s_delay_alu instid0(VALU_DEP_1) | instskip(SKIP_2) | instid1(VALU_DEP_3)
	v_ashrrev_i32_e32 v4, 31, v13
	v_mul_lo_u32 v7, v13, s7
	v_mad_u64_u32 v[5:6], null, v13, s6, 0
	v_mul_lo_u32 v4, v4, s6
	s_delay_alu instid0(VALU_DEP_1) | instskip(SKIP_3) | instid1(VALU_DEP_3)
	v_add3_u32 v6, v6, v7, v4
	v_add_nc_u32_e32 v4, s18, v12
	s_waitcnt lgkmcnt(0)
	v_cmp_gt_i32_e32 vcc_lo, s4, v13
	v_lshlrev_b64 v[5:6], 3, v[5:6]
	s_delay_alu instid0(VALU_DEP_3) | instskip(NEXT) | instid1(VALU_DEP_1)
	v_cmp_le_i32_e64 s0, v4, v13
	s_and_b32 s0, vcc_lo, s0
	s_delay_alu instid0(VALU_DEP_2) | instskip(NEXT) | instid1(VALU_DEP_1)
	v_add_co_u32 v12, s1, s2, v5
	v_add_co_ci_u32_e64 v14, s1, s3, v6, s1
	s_and_saveexec_b32 s1, s0
	s_cbranch_execz .LBB1488_5
; %bb.4:
	v_ashrrev_i32_e32 v5, 31, v4
	v_xor_b32_e32 v11, 0x80000000, v11
	s_delay_alu instid0(VALU_DEP_2) | instskip(NEXT) | instid1(VALU_DEP_1)
	v_lshlrev_b64 v[5:6], 3, v[4:5]
	v_add_co_u32 v5, s0, v12, v5
	s_delay_alu instid0(VALU_DEP_1)
	v_add_co_ci_u32_e64 v6, s0, v14, v6, s0
	global_store_b64 v[5:6], v[10:11], off
.LBB1488_5:
	s_or_b32 exec_lo, exec_lo, s1
	v_add_nc_u32_e32 v6, 16, v4
	s_delay_alu instid0(VALU_DEP_1) | instskip(NEXT) | instid1(VALU_DEP_1)
	v_cmp_le_i32_e64 s0, v6, v13
	s_and_b32 s1, vcc_lo, s0
	s_delay_alu instid0(SALU_CYCLE_1)
	s_and_saveexec_b32 s0, s1
	s_cbranch_execz .LBB1488_7
; %bb.6:
	v_ashrrev_i32_e32 v7, 31, v6
	v_xor_b32_e32 v9, 0x80000000, v9
	s_delay_alu instid0(VALU_DEP_2) | instskip(NEXT) | instid1(VALU_DEP_1)
	v_lshlrev_b64 v[10:11], 3, v[6:7]
	v_add_co_u32 v10, vcc_lo, v12, v10
	s_delay_alu instid0(VALU_DEP_2)
	v_add_co_ci_u32_e32 v11, vcc_lo, v14, v11, vcc_lo
	global_store_b64 v[10:11], v[8:9], off
.LBB1488_7:
	s_or_b32 exec_lo, exec_lo, s0
	v_add_nc_u32_e32 v7, 16, v13
	s_delay_alu instid0(VALU_DEP_1) | instskip(SKIP_3) | instid1(VALU_DEP_4)
	v_ashrrev_i32_e32 v5, 31, v7
	v_mul_lo_u32 v10, v7, s7
	v_mad_u64_u32 v[8:9], null, v7, s6, 0
	v_cmp_gt_i32_e32 vcc_lo, s4, v7
	v_mul_lo_u32 v5, v5, s6
	v_cmp_le_i32_e64 s0, v4, v7
	s_delay_alu instid0(VALU_DEP_1) | instskip(NEXT) | instid1(VALU_DEP_2)
	s_and_b32 s0, vcc_lo, s0
	v_add3_u32 v9, v9, v10, v5
	s_delay_alu instid0(VALU_DEP_1) | instskip(NEXT) | instid1(VALU_DEP_1)
	v_lshlrev_b64 v[8:9], 3, v[8:9]
	v_add_co_u32 v8, s1, s2, v8
	s_delay_alu instid0(VALU_DEP_1)
	v_add_co_ci_u32_e64 v9, s1, s3, v9, s1
	s_and_saveexec_b32 s1, s0
	s_cbranch_execz .LBB1488_9
; %bb.8:
	v_ashrrev_i32_e32 v5, 31, v4
	v_xor_b32_e32 v3, 0x80000000, v3
	s_delay_alu instid0(VALU_DEP_2) | instskip(NEXT) | instid1(VALU_DEP_1)
	v_lshlrev_b64 v[4:5], 3, v[4:5]
	v_add_co_u32 v4, s0, v8, v4
	s_delay_alu instid0(VALU_DEP_1)
	v_add_co_ci_u32_e64 v5, s0, v9, v5, s0
	global_store_b64 v[4:5], v[2:3], off
.LBB1488_9:
	s_or_b32 exec_lo, exec_lo, s1
	v_cmp_le_i32_e64 s0, v6, v7
	s_delay_alu instid0(VALU_DEP_1) | instskip(NEXT) | instid1(SALU_CYCLE_1)
	s_and_b32 s0, vcc_lo, s0
	s_and_saveexec_b32 s1, s0
	s_cbranch_execz .LBB1488_11
; %bb.10:
	v_ashrrev_i32_e32 v7, 31, v6
	v_xor_b32_e32 v1, 0x80000000, v1
	s_delay_alu instid0(VALU_DEP_2) | instskip(NEXT) | instid1(VALU_DEP_1)
	v_lshlrev_b64 v[2:3], 3, v[6:7]
	v_add_co_u32 v2, vcc_lo, v8, v2
	s_delay_alu instid0(VALU_DEP_2)
	v_add_co_ci_u32_e32 v3, vcc_lo, v9, v3, vcc_lo
	global_store_b64 v[2:3], v[0:1], off
.LBB1488_11:
	s_nop 0
	s_sendmsg sendmsg(MSG_DEALLOC_VGPRS)
	s_endpgm
	.section	.rodata,"a",@progbits
	.p2align	6, 0x0
	.amdhsa_kernel _ZL37rocblas_syrkx_herkx_restricted_kernelIldLi16ELi32ELi8ELin1ELi0ELb0ELc78ELc85EKPKdKPdEviT_PT9_S5_lS7_S5_lPT10_S5_li
		.amdhsa_group_segment_fixed_size 4096
		.amdhsa_private_segment_fixed_size 0
		.amdhsa_kernarg_size 92
		.amdhsa_user_sgpr_count 13
		.amdhsa_user_sgpr_dispatch_ptr 0
		.amdhsa_user_sgpr_queue_ptr 0
		.amdhsa_user_sgpr_kernarg_segment_ptr 1
		.amdhsa_user_sgpr_dispatch_id 0
		.amdhsa_user_sgpr_private_segment_size 0
		.amdhsa_wavefront_size32 1
		.amdhsa_uses_dynamic_stack 0
		.amdhsa_enable_private_segment 0
		.amdhsa_system_sgpr_workgroup_id_x 1
		.amdhsa_system_sgpr_workgroup_id_y 1
		.amdhsa_system_sgpr_workgroup_id_z 1
		.amdhsa_system_sgpr_workgroup_info 0
		.amdhsa_system_vgpr_workitem_id 1
		.amdhsa_next_free_vgpr 38
		.amdhsa_next_free_sgpr 20
		.amdhsa_reserve_vcc 1
		.amdhsa_float_round_mode_32 0
		.amdhsa_float_round_mode_16_64 0
		.amdhsa_float_denorm_mode_32 3
		.amdhsa_float_denorm_mode_16_64 3
		.amdhsa_dx10_clamp 1
		.amdhsa_ieee_mode 1
		.amdhsa_fp16_overflow 0
		.amdhsa_workgroup_processor_mode 1
		.amdhsa_memory_ordered 1
		.amdhsa_forward_progress 0
		.amdhsa_shared_vgpr_count 0
		.amdhsa_exception_fp_ieee_invalid_op 0
		.amdhsa_exception_fp_denorm_src 0
		.amdhsa_exception_fp_ieee_div_zero 0
		.amdhsa_exception_fp_ieee_overflow 0
		.amdhsa_exception_fp_ieee_underflow 0
		.amdhsa_exception_fp_ieee_inexact 0
		.amdhsa_exception_int_div_zero 0
	.end_amdhsa_kernel
	.section	.text._ZL37rocblas_syrkx_herkx_restricted_kernelIldLi16ELi32ELi8ELin1ELi0ELb0ELc78ELc85EKPKdKPdEviT_PT9_S5_lS7_S5_lPT10_S5_li,"axG",@progbits,_ZL37rocblas_syrkx_herkx_restricted_kernelIldLi16ELi32ELi8ELin1ELi0ELb0ELc78ELc85EKPKdKPdEviT_PT9_S5_lS7_S5_lPT10_S5_li,comdat
.Lfunc_end1488:
	.size	_ZL37rocblas_syrkx_herkx_restricted_kernelIldLi16ELi32ELi8ELin1ELi0ELb0ELc78ELc85EKPKdKPdEviT_PT9_S5_lS7_S5_lPT10_S5_li, .Lfunc_end1488-_ZL37rocblas_syrkx_herkx_restricted_kernelIldLi16ELi32ELi8ELin1ELi0ELb0ELc78ELc85EKPKdKPdEviT_PT9_S5_lS7_S5_lPT10_S5_li
                                        ; -- End function
	.section	.AMDGPU.csdata,"",@progbits
; Kernel info:
; codeLenInByte = 1480
; NumSgprs: 22
; NumVgprs: 38
; ScratchSize: 0
; MemoryBound: 0
; FloatMode: 240
; IeeeMode: 1
; LDSByteSize: 4096 bytes/workgroup (compile time only)
; SGPRBlocks: 2
; VGPRBlocks: 4
; NumSGPRsForWavesPerEU: 22
; NumVGPRsForWavesPerEU: 38
; Occupancy: 16
; WaveLimiterHint : 1
; COMPUTE_PGM_RSRC2:SCRATCH_EN: 0
; COMPUTE_PGM_RSRC2:USER_SGPR: 13
; COMPUTE_PGM_RSRC2:TRAP_HANDLER: 0
; COMPUTE_PGM_RSRC2:TGID_X_EN: 1
; COMPUTE_PGM_RSRC2:TGID_Y_EN: 1
; COMPUTE_PGM_RSRC2:TGID_Z_EN: 1
; COMPUTE_PGM_RSRC2:TIDIG_COMP_CNT: 1
	.section	.text._ZL37rocblas_syrkx_herkx_restricted_kernelIldLi16ELi32ELi8ELb1ELb0ELc84ELc76EKPKdKPdEviT_T0_PT8_S5_lS8_S5_lS6_PT9_S5_li,"axG",@progbits,_ZL37rocblas_syrkx_herkx_restricted_kernelIldLi16ELi32ELi8ELb1ELb0ELc84ELc76EKPKdKPdEviT_T0_PT8_S5_lS8_S5_lS6_PT9_S5_li,comdat
	.globl	_ZL37rocblas_syrkx_herkx_restricted_kernelIldLi16ELi32ELi8ELb1ELb0ELc84ELc76EKPKdKPdEviT_T0_PT8_S5_lS8_S5_lS6_PT9_S5_li ; -- Begin function _ZL37rocblas_syrkx_herkx_restricted_kernelIldLi16ELi32ELi8ELb1ELb0ELc84ELc76EKPKdKPdEviT_T0_PT8_S5_lS8_S5_lS6_PT9_S5_li
	.p2align	8
	.type	_ZL37rocblas_syrkx_herkx_restricted_kernelIldLi16ELi32ELi8ELb1ELb0ELc84ELc76EKPKdKPdEviT_T0_PT8_S5_lS8_S5_lS6_PT9_S5_li,@function
_ZL37rocblas_syrkx_herkx_restricted_kernelIldLi16ELi32ELi8ELb1ELb0ELc84ELc76EKPKdKPdEviT_T0_PT8_S5_lS8_S5_lS6_PT9_S5_li: ; @_ZL37rocblas_syrkx_herkx_restricted_kernelIldLi16ELi32ELi8ELb1ELb0ELc84ELc76EKPKdKPdEviT_T0_PT8_S5_lS8_S5_lS6_PT9_S5_li
; %bb.0:
	s_clause 0x1
	s_load_b128 s[16:19], s[0:1], 0x50
	s_load_b256 s[4:11], s[0:1], 0x8
	s_mov_b32 s2, s15
	s_mov_b32 s3, 0
	v_mov_b32_e32 v10, 0
	s_lshl_b64 s[20:21], s[2:3], 3
	v_dual_mov_b32 v11, 0 :: v_dual_and_b32 v12, 0x3ff, v0
	v_bfe_u32 v13, v0, 10, 10
	s_delay_alu instid0(VALU_DEP_3) | instskip(NEXT) | instid1(VALU_DEP_3)
	v_mov_b32_e32 v8, v10
	v_dual_mov_b32 v2, v10 :: v_dual_mov_b32 v3, v11
	v_dual_mov_b32 v9, v11 :: v_dual_mov_b32 v0, v10
	v_mov_b32_e32 v1, v11
	s_waitcnt lgkmcnt(0)
	s_add_u32 s2, s16, s20
	s_addc_u32 s3, s17, s21
	v_cmp_lt_i64_e64 s12, s[4:5], 1
	s_load_b64 s[2:3], s[2:3], 0x0
	s_lshl_b32 s16, s13, 5
	s_lshl_b32 s17, s14, 5
	s_delay_alu instid0(VALU_DEP_1)
	s_and_b32 vcc_lo, exec_lo, s12
	s_cbranch_vccnz .LBB1489_3
; %bb.1:
	s_load_b128 s[12:15], s[0:1], 0x30
	v_lshl_add_u32 v2, v13, 4, v12
	v_dual_mov_b32 v1, 0 :: v_dual_and_b32 v0, 7, v12
	s_add_u32 s8, s8, s20
	s_addc_u32 s9, s9, s21
	s_delay_alu instid0(VALU_DEP_2) | instskip(SKIP_3) | instid1(VALU_DEP_3)
	v_lshrrev_b32_e32 v8, 3, v2
	v_and_b32_e32 v9, 31, v2
	v_lshrrev_b32_e32 v2, 5, v2
	s_load_b64 s[8:9], s[8:9], 0x0
	v_dual_mov_b32 v3, v1 :: v_dual_add_nc_u32 v6, s17, v8
	s_delay_alu instid0(VALU_DEP_3) | instskip(NEXT) | instid1(VALU_DEP_2)
	v_add_nc_u32_e32 v10, s16, v9
	v_ashrrev_i32_e32 v4, 31, v6
	s_delay_alu instid0(VALU_DEP_2)
	v_ashrrev_i32_e32 v11, 31, v10
	s_waitcnt lgkmcnt(0)
	s_add_u32 s12, s12, s20
	s_addc_u32 s13, s13, s21
	v_mul_lo_u32 v15, v4, s14
	s_load_b64 s[12:13], s[12:13], 0x0
	v_mul_lo_u32 v16, v6, s15
	v_mad_u64_u32 v[4:5], null, v6, s14, v[0:1]
	v_mad_u64_u32 v[6:7], null, s10, v10, v[2:3]
	v_mul_lo_u32 v1, s11, v10
	v_mul_lo_u32 v3, s10, v11
	v_lshlrev_b32_e32 v0, 3, v0
	v_add3_u32 v5, v15, v5, v16
	v_lshl_add_u32 v15, v13, 6, 0x800
	s_delay_alu instid0(VALU_DEP_3)
	v_lshl_or_b32 v8, v8, 6, v0
	v_add3_u32 v7, v1, v7, v3
	v_mov_b32_e32 v0, 0
	v_mov_b32_e32 v1, 0
	v_lshlrev_b32_e32 v9, 3, v9
	v_lshlrev_b64 v[4:5], 3, v[4:5]
	v_lshlrev_b32_e32 v14, 3, v12
	v_add_nc_u32_e32 v17, 0x800, v8
	v_mov_b32_e32 v11, v1
	v_lshl_or_b32 v16, v2, 8, v9
	v_lshlrev_b64 v[2:3], 3, v[6:7]
	s_waitcnt lgkmcnt(0)
	v_add_co_u32 v4, vcc_lo, s12, v4
	v_add_co_ci_u32_e32 v5, vcc_lo, s13, v5, vcc_lo
	v_dual_mov_b32 v9, v1 :: v_dual_mov_b32 v10, v0
	s_delay_alu instid0(VALU_DEP_4)
	v_add_co_u32 v6, vcc_lo, s8, v2
	v_add_co_ci_u32_e32 v7, vcc_lo, s9, v3, vcc_lo
	v_dual_mov_b32 v3, v1 :: v_dual_mov_b32 v2, v0
	v_mov_b32_e32 v8, v0
	s_mov_b64 s[8:9], 0
.LBB1489_2:                             ; =>This Inner Loop Header: Depth=1
	global_load_b64 v[18:19], v[6:7], off
	global_load_b64 v[20:21], v[4:5], off
	s_add_u32 s8, s8, 8
	v_add_co_u32 v4, vcc_lo, v4, 64
	s_addc_u32 s9, s9, 0
	v_add_co_ci_u32_e32 v5, vcc_lo, 0, v5, vcc_lo
	v_cmp_ge_u64_e64 s10, s[8:9], s[4:5]
	v_add_co_u32 v6, vcc_lo, v6, 64
	v_add_co_ci_u32_e32 v7, vcc_lo, 0, v7, vcc_lo
	s_waitcnt vmcnt(1)
	ds_store_b64 v16, v[18:19]
	s_waitcnt vmcnt(0)
	ds_store_b64 v17, v[20:21]
	s_waitcnt lgkmcnt(0)
	s_barrier
	buffer_gl0_inv
	ds_load_2addr_b64 v[18:21], v14 offset1:16
	ds_load_b128 v[22:25], v15
	ds_load_b128 v[26:29], v15 offset:1024
	ds_load_b128 v[30:33], v15 offset:16
	;; [unrolled: 1-line block ×3, first 2 shown]
	s_and_b32 vcc_lo, exec_lo, s10
	s_waitcnt lgkmcnt(3)
	v_fma_f64 v[10:11], v[18:19], v[22:23], v[10:11]
	v_fma_f64 v[8:9], v[20:21], v[22:23], v[8:9]
	s_waitcnt lgkmcnt(2)
	v_fma_f64 v[18:19], v[18:19], v[26:27], v[2:3]
	v_fma_f64 v[20:21], v[20:21], v[26:27], v[0:1]
	ds_load_2addr_b64 v[0:3], v14 offset0:32 offset1:48
	s_waitcnt lgkmcnt(0)
	v_fma_f64 v[10:11], v[0:1], v[24:25], v[10:11]
	v_fma_f64 v[8:9], v[2:3], v[24:25], v[8:9]
	v_fma_f64 v[18:19], v[0:1], v[28:29], v[18:19]
	v_fma_f64 v[20:21], v[2:3], v[28:29], v[20:21]
	ds_load_2addr_b64 v[0:3], v14 offset0:64 offset1:80
	s_waitcnt lgkmcnt(0)
	v_fma_f64 v[10:11], v[0:1], v[30:31], v[10:11]
	v_fma_f64 v[8:9], v[2:3], v[30:31], v[8:9]
	;; [unrolled: 6-line block ×3, first 2 shown]
	v_fma_f64 v[34:35], v[0:1], v[36:37], v[18:19]
	v_fma_f64 v[36:37], v[2:3], v[36:37], v[20:21]
	ds_load_2addr_b64 v[0:3], v14 offset0:128 offset1:144
	ds_load_b128 v[8:11], v15 offset:32
	ds_load_b128 v[18:21], v15 offset:1056
	;; [unrolled: 1-line block ×4, first 2 shown]
	s_waitcnt lgkmcnt(3)
	v_fma_f64 v[30:31], v[0:1], v[8:9], v[30:31]
	v_fma_f64 v[8:9], v[2:3], v[8:9], v[32:33]
	s_waitcnt lgkmcnt(2)
	v_fma_f64 v[32:33], v[0:1], v[18:19], v[34:35]
	v_fma_f64 v[18:19], v[2:3], v[18:19], v[36:37]
	ds_load_2addr_b64 v[0:3], v14 offset0:160 offset1:176
	s_waitcnt lgkmcnt(0)
	v_fma_f64 v[30:31], v[0:1], v[10:11], v[30:31]
	v_fma_f64 v[8:9], v[2:3], v[10:11], v[8:9]
	;; [unrolled: 1-line block ×4, first 2 shown]
	ds_load_2addr_b64 v[0:3], v14 offset0:192 offset1:208
	s_waitcnt lgkmcnt(0)
	v_fma_f64 v[30:31], v[0:1], v[22:23], v[30:31]
	v_fma_f64 v[8:9], v[2:3], v[22:23], v[8:9]
	;; [unrolled: 1-line block ×4, first 2 shown]
	ds_load_2addr_b64 v[18:21], v14 offset0:224 offset1:240
	s_waitcnt lgkmcnt(0)
	s_barrier
	buffer_gl0_inv
	v_fma_f64 v[10:11], v[18:19], v[24:25], v[30:31]
	v_fma_f64 v[8:9], v[20:21], v[24:25], v[8:9]
	;; [unrolled: 1-line block ×4, first 2 shown]
	s_cbranch_vccz .LBB1489_2
.LBB1489_3:
	v_add_nc_u32_e32 v13, s17, v13
	s_load_b32 s4, s[0:1], 0x0
	s_delay_alu instid0(VALU_DEP_1) | instskip(SKIP_2) | instid1(VALU_DEP_3)
	v_ashrrev_i32_e32 v4, 31, v13
	v_mul_lo_u32 v7, v13, s19
	v_mad_u64_u32 v[5:6], null, v13, s18, 0
	v_mul_lo_u32 v4, v4, s18
	s_delay_alu instid0(VALU_DEP_1) | instskip(SKIP_1) | instid1(VALU_DEP_2)
	v_add3_u32 v6, v6, v7, v4
	v_add_nc_u32_e32 v4, s16, v12
	v_lshlrev_b64 v[5:6], 3, v[5:6]
	s_delay_alu instid0(VALU_DEP_2) | instskip(SKIP_2) | instid1(VALU_DEP_3)
	v_cmp_le_i32_e64 s0, v13, v4
	s_waitcnt lgkmcnt(0)
	v_cmp_gt_i32_e32 vcc_lo, s4, v4
	v_add_co_u32 v12, s1, s2, v5
	s_delay_alu instid0(VALU_DEP_1) | instskip(SKIP_1) | instid1(SALU_CYCLE_1)
	v_add_co_ci_u32_e64 v14, s1, s3, v6, s1
	s_and_b32 s0, s0, vcc_lo
	s_and_saveexec_b32 s1, s0
	s_cbranch_execz .LBB1489_5
; %bb.4:
	v_mul_f64 v[6:7], v[10:11], s[6:7]
	v_ashrrev_i32_e32 v5, 31, v4
	s_delay_alu instid0(VALU_DEP_1) | instskip(NEXT) | instid1(VALU_DEP_1)
	v_lshlrev_b64 v[10:11], 3, v[4:5]
	v_add_co_u32 v10, s0, v12, v10
	s_delay_alu instid0(VALU_DEP_1)
	v_add_co_ci_u32_e64 v11, s0, v14, v11, s0
	global_store_b64 v[10:11], v[6:7], off
.LBB1489_5:
	s_or_b32 exec_lo, exec_lo, s1
	v_add_nc_u32_e32 v6, 16, v4
	s_delay_alu instid0(VALU_DEP_1) | instskip(SKIP_1) | instid1(VALU_DEP_1)
	v_cmp_le_i32_e64 s1, v13, v6
	v_cmp_gt_i32_e64 s0, s4, v6
	s_and_b32 s1, s1, s0
	s_delay_alu instid0(SALU_CYCLE_1)
	s_and_saveexec_b32 s4, s1
	s_cbranch_execz .LBB1489_7
; %bb.6:
	v_mul_f64 v[8:9], v[8:9], s[6:7]
	v_ashrrev_i32_e32 v7, 31, v6
	s_delay_alu instid0(VALU_DEP_1) | instskip(NEXT) | instid1(VALU_DEP_1)
	v_lshlrev_b64 v[10:11], 3, v[6:7]
	v_add_co_u32 v10, s1, v12, v10
	s_delay_alu instid0(VALU_DEP_1)
	v_add_co_ci_u32_e64 v11, s1, v14, v11, s1
	global_store_b64 v[10:11], v[8:9], off
.LBB1489_7:
	s_or_b32 exec_lo, exec_lo, s4
	v_add_nc_u32_e32 v7, 16, v13
	s_delay_alu instid0(VALU_DEP_1) | instskip(SKIP_3) | instid1(VALU_DEP_4)
	v_ashrrev_i32_e32 v5, 31, v7
	v_mul_lo_u32 v10, v7, s19
	v_mad_u64_u32 v[8:9], null, v7, s18, 0
	v_cmp_le_i32_e64 s1, v7, v4
	v_mul_lo_u32 v5, v5, s18
	s_delay_alu instid0(VALU_DEP_1) | instskip(NEXT) | instid1(VALU_DEP_1)
	v_add3_u32 v9, v9, v10, v5
	v_lshlrev_b64 v[8:9], 3, v[8:9]
	s_delay_alu instid0(VALU_DEP_1) | instskip(NEXT) | instid1(VALU_DEP_1)
	v_add_co_u32 v8, s2, s2, v8
	v_add_co_ci_u32_e64 v9, s2, s3, v9, s2
	s_and_b32 s2, s1, vcc_lo
	s_delay_alu instid0(SALU_CYCLE_1)
	s_and_saveexec_b32 s1, s2
	s_cbranch_execz .LBB1489_9
; %bb.8:
	v_mul_f64 v[2:3], v[2:3], s[6:7]
	v_ashrrev_i32_e32 v5, 31, v4
	s_delay_alu instid0(VALU_DEP_1) | instskip(NEXT) | instid1(VALU_DEP_1)
	v_lshlrev_b64 v[4:5], 3, v[4:5]
	v_add_co_u32 v4, vcc_lo, v8, v4
	s_delay_alu instid0(VALU_DEP_2)
	v_add_co_ci_u32_e32 v5, vcc_lo, v9, v5, vcc_lo
	global_store_b64 v[4:5], v[2:3], off
.LBB1489_9:
	s_or_b32 exec_lo, exec_lo, s1
	v_cmp_le_i32_e32 vcc_lo, v7, v6
	s_and_b32 s0, vcc_lo, s0
	s_delay_alu instid0(SALU_CYCLE_1)
	s_and_saveexec_b32 s1, s0
	s_cbranch_execz .LBB1489_11
; %bb.10:
	v_mul_f64 v[0:1], v[0:1], s[6:7]
	v_ashrrev_i32_e32 v7, 31, v6
	s_delay_alu instid0(VALU_DEP_1) | instskip(NEXT) | instid1(VALU_DEP_1)
	v_lshlrev_b64 v[2:3], 3, v[6:7]
	v_add_co_u32 v2, vcc_lo, v8, v2
	s_delay_alu instid0(VALU_DEP_2)
	v_add_co_ci_u32_e32 v3, vcc_lo, v9, v3, vcc_lo
	global_store_b64 v[2:3], v[0:1], off
.LBB1489_11:
	s_nop 0
	s_sendmsg sendmsg(MSG_DEALLOC_VGPRS)
	s_endpgm
	.section	.rodata,"a",@progbits
	.p2align	6, 0x0
	.amdhsa_kernel _ZL37rocblas_syrkx_herkx_restricted_kernelIldLi16ELi32ELi8ELb1ELb0ELc84ELc76EKPKdKPdEviT_T0_PT8_S5_lS8_S5_lS6_PT9_S5_li
		.amdhsa_group_segment_fixed_size 4096
		.amdhsa_private_segment_fixed_size 0
		.amdhsa_kernarg_size 108
		.amdhsa_user_sgpr_count 13
		.amdhsa_user_sgpr_dispatch_ptr 0
		.amdhsa_user_sgpr_queue_ptr 0
		.amdhsa_user_sgpr_kernarg_segment_ptr 1
		.amdhsa_user_sgpr_dispatch_id 0
		.amdhsa_user_sgpr_private_segment_size 0
		.amdhsa_wavefront_size32 1
		.amdhsa_uses_dynamic_stack 0
		.amdhsa_enable_private_segment 0
		.amdhsa_system_sgpr_workgroup_id_x 1
		.amdhsa_system_sgpr_workgroup_id_y 1
		.amdhsa_system_sgpr_workgroup_id_z 1
		.amdhsa_system_sgpr_workgroup_info 0
		.amdhsa_system_vgpr_workitem_id 1
		.amdhsa_next_free_vgpr 38
		.amdhsa_next_free_sgpr 22
		.amdhsa_reserve_vcc 1
		.amdhsa_float_round_mode_32 0
		.amdhsa_float_round_mode_16_64 0
		.amdhsa_float_denorm_mode_32 3
		.amdhsa_float_denorm_mode_16_64 3
		.amdhsa_dx10_clamp 1
		.amdhsa_ieee_mode 1
		.amdhsa_fp16_overflow 0
		.amdhsa_workgroup_processor_mode 1
		.amdhsa_memory_ordered 1
		.amdhsa_forward_progress 0
		.amdhsa_shared_vgpr_count 0
		.amdhsa_exception_fp_ieee_invalid_op 0
		.amdhsa_exception_fp_denorm_src 0
		.amdhsa_exception_fp_ieee_div_zero 0
		.amdhsa_exception_fp_ieee_overflow 0
		.amdhsa_exception_fp_ieee_underflow 0
		.amdhsa_exception_fp_ieee_inexact 0
		.amdhsa_exception_int_div_zero 0
	.end_amdhsa_kernel
	.section	.text._ZL37rocblas_syrkx_herkx_restricted_kernelIldLi16ELi32ELi8ELb1ELb0ELc84ELc76EKPKdKPdEviT_T0_PT8_S5_lS8_S5_lS6_PT9_S5_li,"axG",@progbits,_ZL37rocblas_syrkx_herkx_restricted_kernelIldLi16ELi32ELi8ELb1ELb0ELc84ELc76EKPKdKPdEviT_T0_PT8_S5_lS8_S5_lS6_PT9_S5_li,comdat
.Lfunc_end1489:
	.size	_ZL37rocblas_syrkx_herkx_restricted_kernelIldLi16ELi32ELi8ELb1ELb0ELc84ELc76EKPKdKPdEviT_T0_PT8_S5_lS8_S5_lS6_PT9_S5_li, .Lfunc_end1489-_ZL37rocblas_syrkx_herkx_restricted_kernelIldLi16ELi32ELi8ELb1ELb0ELc84ELc76EKPKdKPdEviT_T0_PT8_S5_lS8_S5_lS6_PT9_S5_li
                                        ; -- End function
	.section	.AMDGPU.csdata,"",@progbits
; Kernel info:
; codeLenInByte = 1480
; NumSgprs: 24
; NumVgprs: 38
; ScratchSize: 0
; MemoryBound: 0
; FloatMode: 240
; IeeeMode: 1
; LDSByteSize: 4096 bytes/workgroup (compile time only)
; SGPRBlocks: 2
; VGPRBlocks: 4
; NumSGPRsForWavesPerEU: 24
; NumVGPRsForWavesPerEU: 38
; Occupancy: 16
; WaveLimiterHint : 1
; COMPUTE_PGM_RSRC2:SCRATCH_EN: 0
; COMPUTE_PGM_RSRC2:USER_SGPR: 13
; COMPUTE_PGM_RSRC2:TRAP_HANDLER: 0
; COMPUTE_PGM_RSRC2:TGID_X_EN: 1
; COMPUTE_PGM_RSRC2:TGID_Y_EN: 1
; COMPUTE_PGM_RSRC2:TGID_Z_EN: 1
; COMPUTE_PGM_RSRC2:TIDIG_COMP_CNT: 1
	.section	.text._ZL37rocblas_syrkx_herkx_restricted_kernelIldLi16ELi32ELi8ELb1ELb0ELc67ELc76EKPKdKPdEviT_T0_PT8_S5_lS8_S5_lS6_PT9_S5_li,"axG",@progbits,_ZL37rocblas_syrkx_herkx_restricted_kernelIldLi16ELi32ELi8ELb1ELb0ELc67ELc76EKPKdKPdEviT_T0_PT8_S5_lS8_S5_lS6_PT9_S5_li,comdat
	.globl	_ZL37rocblas_syrkx_herkx_restricted_kernelIldLi16ELi32ELi8ELb1ELb0ELc67ELc76EKPKdKPdEviT_T0_PT8_S5_lS8_S5_lS6_PT9_S5_li ; -- Begin function _ZL37rocblas_syrkx_herkx_restricted_kernelIldLi16ELi32ELi8ELb1ELb0ELc67ELc76EKPKdKPdEviT_T0_PT8_S5_lS8_S5_lS6_PT9_S5_li
	.p2align	8
	.type	_ZL37rocblas_syrkx_herkx_restricted_kernelIldLi16ELi32ELi8ELb1ELb0ELc67ELc76EKPKdKPdEviT_T0_PT8_S5_lS8_S5_lS6_PT9_S5_li,@function
_ZL37rocblas_syrkx_herkx_restricted_kernelIldLi16ELi32ELi8ELb1ELb0ELc67ELc76EKPKdKPdEviT_T0_PT8_S5_lS8_S5_lS6_PT9_S5_li: ; @_ZL37rocblas_syrkx_herkx_restricted_kernelIldLi16ELi32ELi8ELb1ELb0ELc67ELc76EKPKdKPdEviT_T0_PT8_S5_lS8_S5_lS6_PT9_S5_li
; %bb.0:
	s_clause 0x1
	s_load_b128 s[16:19], s[0:1], 0x50
	s_load_b256 s[4:11], s[0:1], 0x8
	s_mov_b32 s2, s15
	s_mov_b32 s3, 0
	v_mov_b32_e32 v10, 0
	s_lshl_b64 s[20:21], s[2:3], 3
	v_dual_mov_b32 v11, 0 :: v_dual_and_b32 v12, 0x3ff, v0
	v_bfe_u32 v13, v0, 10, 10
	s_delay_alu instid0(VALU_DEP_3) | instskip(NEXT) | instid1(VALU_DEP_3)
	v_mov_b32_e32 v8, v10
	v_dual_mov_b32 v2, v10 :: v_dual_mov_b32 v3, v11
	v_dual_mov_b32 v9, v11 :: v_dual_mov_b32 v0, v10
	v_mov_b32_e32 v1, v11
	s_waitcnt lgkmcnt(0)
	s_add_u32 s2, s16, s20
	s_addc_u32 s3, s17, s21
	v_cmp_lt_i64_e64 s12, s[4:5], 1
	s_load_b64 s[2:3], s[2:3], 0x0
	s_lshl_b32 s16, s13, 5
	s_lshl_b32 s17, s14, 5
	s_delay_alu instid0(VALU_DEP_1)
	s_and_b32 vcc_lo, exec_lo, s12
	s_cbranch_vccnz .LBB1490_3
; %bb.1:
	s_load_b128 s[12:15], s[0:1], 0x30
	v_lshl_add_u32 v2, v13, 4, v12
	v_dual_mov_b32 v1, 0 :: v_dual_and_b32 v0, 7, v12
	s_add_u32 s8, s8, s20
	s_addc_u32 s9, s9, s21
	s_delay_alu instid0(VALU_DEP_2) | instskip(SKIP_3) | instid1(VALU_DEP_3)
	v_lshrrev_b32_e32 v8, 3, v2
	v_and_b32_e32 v9, 31, v2
	v_lshrrev_b32_e32 v2, 5, v2
	s_load_b64 s[8:9], s[8:9], 0x0
	v_dual_mov_b32 v3, v1 :: v_dual_add_nc_u32 v6, s17, v8
	s_delay_alu instid0(VALU_DEP_3) | instskip(NEXT) | instid1(VALU_DEP_2)
	v_add_nc_u32_e32 v10, s16, v9
	v_ashrrev_i32_e32 v4, 31, v6
	s_delay_alu instid0(VALU_DEP_2)
	v_ashrrev_i32_e32 v11, 31, v10
	s_waitcnt lgkmcnt(0)
	s_add_u32 s12, s12, s20
	s_addc_u32 s13, s13, s21
	v_mul_lo_u32 v15, v4, s14
	s_load_b64 s[12:13], s[12:13], 0x0
	v_mul_lo_u32 v16, v6, s15
	v_mad_u64_u32 v[4:5], null, v6, s14, v[0:1]
	v_mad_u64_u32 v[6:7], null, s10, v10, v[2:3]
	v_mul_lo_u32 v1, s11, v10
	v_mul_lo_u32 v3, s10, v11
	v_lshlrev_b32_e32 v0, 3, v0
	v_add3_u32 v5, v15, v5, v16
	v_lshl_add_u32 v15, v13, 6, 0x800
	s_delay_alu instid0(VALU_DEP_3)
	v_lshl_or_b32 v8, v8, 6, v0
	v_add3_u32 v7, v1, v7, v3
	v_mov_b32_e32 v0, 0
	v_mov_b32_e32 v1, 0
	v_lshlrev_b32_e32 v9, 3, v9
	v_lshlrev_b64 v[4:5], 3, v[4:5]
	v_lshlrev_b32_e32 v14, 3, v12
	v_add_nc_u32_e32 v17, 0x800, v8
	v_mov_b32_e32 v11, v1
	v_lshl_or_b32 v16, v2, 8, v9
	v_lshlrev_b64 v[2:3], 3, v[6:7]
	s_waitcnt lgkmcnt(0)
	v_add_co_u32 v4, vcc_lo, s12, v4
	v_add_co_ci_u32_e32 v5, vcc_lo, s13, v5, vcc_lo
	v_dual_mov_b32 v9, v1 :: v_dual_mov_b32 v10, v0
	s_delay_alu instid0(VALU_DEP_4)
	v_add_co_u32 v6, vcc_lo, s8, v2
	v_add_co_ci_u32_e32 v7, vcc_lo, s9, v3, vcc_lo
	v_dual_mov_b32 v3, v1 :: v_dual_mov_b32 v2, v0
	v_mov_b32_e32 v8, v0
	s_mov_b64 s[8:9], 0
.LBB1490_2:                             ; =>This Inner Loop Header: Depth=1
	global_load_b64 v[18:19], v[6:7], off
	global_load_b64 v[20:21], v[4:5], off
	s_add_u32 s8, s8, 8
	v_add_co_u32 v4, vcc_lo, v4, 64
	s_addc_u32 s9, s9, 0
	v_add_co_ci_u32_e32 v5, vcc_lo, 0, v5, vcc_lo
	v_cmp_ge_u64_e64 s10, s[8:9], s[4:5]
	v_add_co_u32 v6, vcc_lo, v6, 64
	v_add_co_ci_u32_e32 v7, vcc_lo, 0, v7, vcc_lo
	s_waitcnt vmcnt(1)
	ds_store_b64 v16, v[18:19]
	s_waitcnt vmcnt(0)
	ds_store_b64 v17, v[20:21]
	s_waitcnt lgkmcnt(0)
	s_barrier
	buffer_gl0_inv
	ds_load_2addr_b64 v[18:21], v14 offset1:16
	ds_load_b128 v[22:25], v15
	ds_load_b128 v[26:29], v15 offset:1024
	ds_load_b128 v[30:33], v15 offset:16
	;; [unrolled: 1-line block ×3, first 2 shown]
	s_and_b32 vcc_lo, exec_lo, s10
	s_waitcnt lgkmcnt(3)
	v_fma_f64 v[10:11], v[18:19], v[22:23], v[10:11]
	v_fma_f64 v[8:9], v[20:21], v[22:23], v[8:9]
	s_waitcnt lgkmcnt(2)
	v_fma_f64 v[18:19], v[18:19], v[26:27], v[2:3]
	v_fma_f64 v[20:21], v[20:21], v[26:27], v[0:1]
	ds_load_2addr_b64 v[0:3], v14 offset0:32 offset1:48
	s_waitcnt lgkmcnt(0)
	v_fma_f64 v[10:11], v[0:1], v[24:25], v[10:11]
	v_fma_f64 v[8:9], v[2:3], v[24:25], v[8:9]
	v_fma_f64 v[18:19], v[0:1], v[28:29], v[18:19]
	v_fma_f64 v[20:21], v[2:3], v[28:29], v[20:21]
	ds_load_2addr_b64 v[0:3], v14 offset0:64 offset1:80
	s_waitcnt lgkmcnt(0)
	v_fma_f64 v[10:11], v[0:1], v[30:31], v[10:11]
	v_fma_f64 v[8:9], v[2:3], v[30:31], v[8:9]
	;; [unrolled: 6-line block ×3, first 2 shown]
	v_fma_f64 v[34:35], v[0:1], v[36:37], v[18:19]
	v_fma_f64 v[36:37], v[2:3], v[36:37], v[20:21]
	ds_load_2addr_b64 v[0:3], v14 offset0:128 offset1:144
	ds_load_b128 v[8:11], v15 offset:32
	ds_load_b128 v[18:21], v15 offset:1056
	;; [unrolled: 1-line block ×4, first 2 shown]
	s_waitcnt lgkmcnt(3)
	v_fma_f64 v[30:31], v[0:1], v[8:9], v[30:31]
	v_fma_f64 v[8:9], v[2:3], v[8:9], v[32:33]
	s_waitcnt lgkmcnt(2)
	v_fma_f64 v[32:33], v[0:1], v[18:19], v[34:35]
	v_fma_f64 v[18:19], v[2:3], v[18:19], v[36:37]
	ds_load_2addr_b64 v[0:3], v14 offset0:160 offset1:176
	s_waitcnt lgkmcnt(0)
	v_fma_f64 v[30:31], v[0:1], v[10:11], v[30:31]
	v_fma_f64 v[8:9], v[2:3], v[10:11], v[8:9]
	;; [unrolled: 1-line block ×4, first 2 shown]
	ds_load_2addr_b64 v[0:3], v14 offset0:192 offset1:208
	s_waitcnt lgkmcnt(0)
	v_fma_f64 v[30:31], v[0:1], v[22:23], v[30:31]
	v_fma_f64 v[8:9], v[2:3], v[22:23], v[8:9]
	;; [unrolled: 1-line block ×4, first 2 shown]
	ds_load_2addr_b64 v[18:21], v14 offset0:224 offset1:240
	s_waitcnt lgkmcnt(0)
	s_barrier
	buffer_gl0_inv
	v_fma_f64 v[10:11], v[18:19], v[24:25], v[30:31]
	v_fma_f64 v[8:9], v[20:21], v[24:25], v[8:9]
	;; [unrolled: 1-line block ×4, first 2 shown]
	s_cbranch_vccz .LBB1490_2
.LBB1490_3:
	v_add_nc_u32_e32 v13, s17, v13
	s_load_b32 s4, s[0:1], 0x0
	s_delay_alu instid0(VALU_DEP_1) | instskip(SKIP_2) | instid1(VALU_DEP_3)
	v_ashrrev_i32_e32 v4, 31, v13
	v_mul_lo_u32 v7, v13, s19
	v_mad_u64_u32 v[5:6], null, v13, s18, 0
	v_mul_lo_u32 v4, v4, s18
	s_delay_alu instid0(VALU_DEP_1) | instskip(SKIP_1) | instid1(VALU_DEP_2)
	v_add3_u32 v6, v6, v7, v4
	v_add_nc_u32_e32 v4, s16, v12
	v_lshlrev_b64 v[5:6], 3, v[5:6]
	s_delay_alu instid0(VALU_DEP_2) | instskip(SKIP_2) | instid1(VALU_DEP_3)
	v_cmp_le_i32_e64 s0, v13, v4
	s_waitcnt lgkmcnt(0)
	v_cmp_gt_i32_e32 vcc_lo, s4, v4
	v_add_co_u32 v12, s1, s2, v5
	s_delay_alu instid0(VALU_DEP_1) | instskip(SKIP_1) | instid1(SALU_CYCLE_1)
	v_add_co_ci_u32_e64 v14, s1, s3, v6, s1
	s_and_b32 s0, s0, vcc_lo
	s_and_saveexec_b32 s1, s0
	s_cbranch_execz .LBB1490_5
; %bb.4:
	v_mul_f64 v[6:7], v[10:11], s[6:7]
	v_ashrrev_i32_e32 v5, 31, v4
	s_delay_alu instid0(VALU_DEP_1) | instskip(NEXT) | instid1(VALU_DEP_1)
	v_lshlrev_b64 v[10:11], 3, v[4:5]
	v_add_co_u32 v10, s0, v12, v10
	s_delay_alu instid0(VALU_DEP_1)
	v_add_co_ci_u32_e64 v11, s0, v14, v11, s0
	global_store_b64 v[10:11], v[6:7], off
.LBB1490_5:
	s_or_b32 exec_lo, exec_lo, s1
	v_add_nc_u32_e32 v6, 16, v4
	s_delay_alu instid0(VALU_DEP_1) | instskip(SKIP_1) | instid1(VALU_DEP_1)
	v_cmp_le_i32_e64 s1, v13, v6
	v_cmp_gt_i32_e64 s0, s4, v6
	s_and_b32 s1, s1, s0
	s_delay_alu instid0(SALU_CYCLE_1)
	s_and_saveexec_b32 s4, s1
	s_cbranch_execz .LBB1490_7
; %bb.6:
	v_mul_f64 v[8:9], v[8:9], s[6:7]
	v_ashrrev_i32_e32 v7, 31, v6
	s_delay_alu instid0(VALU_DEP_1) | instskip(NEXT) | instid1(VALU_DEP_1)
	v_lshlrev_b64 v[10:11], 3, v[6:7]
	v_add_co_u32 v10, s1, v12, v10
	s_delay_alu instid0(VALU_DEP_1)
	v_add_co_ci_u32_e64 v11, s1, v14, v11, s1
	global_store_b64 v[10:11], v[8:9], off
.LBB1490_7:
	s_or_b32 exec_lo, exec_lo, s4
	v_add_nc_u32_e32 v7, 16, v13
	s_delay_alu instid0(VALU_DEP_1) | instskip(SKIP_3) | instid1(VALU_DEP_4)
	v_ashrrev_i32_e32 v5, 31, v7
	v_mul_lo_u32 v10, v7, s19
	v_mad_u64_u32 v[8:9], null, v7, s18, 0
	v_cmp_le_i32_e64 s1, v7, v4
	v_mul_lo_u32 v5, v5, s18
	s_delay_alu instid0(VALU_DEP_1) | instskip(NEXT) | instid1(VALU_DEP_1)
	v_add3_u32 v9, v9, v10, v5
	v_lshlrev_b64 v[8:9], 3, v[8:9]
	s_delay_alu instid0(VALU_DEP_1) | instskip(NEXT) | instid1(VALU_DEP_1)
	v_add_co_u32 v8, s2, s2, v8
	v_add_co_ci_u32_e64 v9, s2, s3, v9, s2
	s_and_b32 s2, s1, vcc_lo
	s_delay_alu instid0(SALU_CYCLE_1)
	s_and_saveexec_b32 s1, s2
	s_cbranch_execz .LBB1490_9
; %bb.8:
	v_mul_f64 v[2:3], v[2:3], s[6:7]
	v_ashrrev_i32_e32 v5, 31, v4
	s_delay_alu instid0(VALU_DEP_1) | instskip(NEXT) | instid1(VALU_DEP_1)
	v_lshlrev_b64 v[4:5], 3, v[4:5]
	v_add_co_u32 v4, vcc_lo, v8, v4
	s_delay_alu instid0(VALU_DEP_2)
	v_add_co_ci_u32_e32 v5, vcc_lo, v9, v5, vcc_lo
	global_store_b64 v[4:5], v[2:3], off
.LBB1490_9:
	s_or_b32 exec_lo, exec_lo, s1
	v_cmp_le_i32_e32 vcc_lo, v7, v6
	s_and_b32 s0, vcc_lo, s0
	s_delay_alu instid0(SALU_CYCLE_1)
	s_and_saveexec_b32 s1, s0
	s_cbranch_execz .LBB1490_11
; %bb.10:
	v_mul_f64 v[0:1], v[0:1], s[6:7]
	v_ashrrev_i32_e32 v7, 31, v6
	s_delay_alu instid0(VALU_DEP_1) | instskip(NEXT) | instid1(VALU_DEP_1)
	v_lshlrev_b64 v[2:3], 3, v[6:7]
	v_add_co_u32 v2, vcc_lo, v8, v2
	s_delay_alu instid0(VALU_DEP_2)
	v_add_co_ci_u32_e32 v3, vcc_lo, v9, v3, vcc_lo
	global_store_b64 v[2:3], v[0:1], off
.LBB1490_11:
	s_nop 0
	s_sendmsg sendmsg(MSG_DEALLOC_VGPRS)
	s_endpgm
	.section	.rodata,"a",@progbits
	.p2align	6, 0x0
	.amdhsa_kernel _ZL37rocblas_syrkx_herkx_restricted_kernelIldLi16ELi32ELi8ELb1ELb0ELc67ELc76EKPKdKPdEviT_T0_PT8_S5_lS8_S5_lS6_PT9_S5_li
		.amdhsa_group_segment_fixed_size 4096
		.amdhsa_private_segment_fixed_size 0
		.amdhsa_kernarg_size 108
		.amdhsa_user_sgpr_count 13
		.amdhsa_user_sgpr_dispatch_ptr 0
		.amdhsa_user_sgpr_queue_ptr 0
		.amdhsa_user_sgpr_kernarg_segment_ptr 1
		.amdhsa_user_sgpr_dispatch_id 0
		.amdhsa_user_sgpr_private_segment_size 0
		.amdhsa_wavefront_size32 1
		.amdhsa_uses_dynamic_stack 0
		.amdhsa_enable_private_segment 0
		.amdhsa_system_sgpr_workgroup_id_x 1
		.amdhsa_system_sgpr_workgroup_id_y 1
		.amdhsa_system_sgpr_workgroup_id_z 1
		.amdhsa_system_sgpr_workgroup_info 0
		.amdhsa_system_vgpr_workitem_id 1
		.amdhsa_next_free_vgpr 38
		.amdhsa_next_free_sgpr 22
		.amdhsa_reserve_vcc 1
		.amdhsa_float_round_mode_32 0
		.amdhsa_float_round_mode_16_64 0
		.amdhsa_float_denorm_mode_32 3
		.amdhsa_float_denorm_mode_16_64 3
		.amdhsa_dx10_clamp 1
		.amdhsa_ieee_mode 1
		.amdhsa_fp16_overflow 0
		.amdhsa_workgroup_processor_mode 1
		.amdhsa_memory_ordered 1
		.amdhsa_forward_progress 0
		.amdhsa_shared_vgpr_count 0
		.amdhsa_exception_fp_ieee_invalid_op 0
		.amdhsa_exception_fp_denorm_src 0
		.amdhsa_exception_fp_ieee_div_zero 0
		.amdhsa_exception_fp_ieee_overflow 0
		.amdhsa_exception_fp_ieee_underflow 0
		.amdhsa_exception_fp_ieee_inexact 0
		.amdhsa_exception_int_div_zero 0
	.end_amdhsa_kernel
	.section	.text._ZL37rocblas_syrkx_herkx_restricted_kernelIldLi16ELi32ELi8ELb1ELb0ELc67ELc76EKPKdKPdEviT_T0_PT8_S5_lS8_S5_lS6_PT9_S5_li,"axG",@progbits,_ZL37rocblas_syrkx_herkx_restricted_kernelIldLi16ELi32ELi8ELb1ELb0ELc67ELc76EKPKdKPdEviT_T0_PT8_S5_lS8_S5_lS6_PT9_S5_li,comdat
.Lfunc_end1490:
	.size	_ZL37rocblas_syrkx_herkx_restricted_kernelIldLi16ELi32ELi8ELb1ELb0ELc67ELc76EKPKdKPdEviT_T0_PT8_S5_lS8_S5_lS6_PT9_S5_li, .Lfunc_end1490-_ZL37rocblas_syrkx_herkx_restricted_kernelIldLi16ELi32ELi8ELb1ELb0ELc67ELc76EKPKdKPdEviT_T0_PT8_S5_lS8_S5_lS6_PT9_S5_li
                                        ; -- End function
	.section	.AMDGPU.csdata,"",@progbits
; Kernel info:
; codeLenInByte = 1480
; NumSgprs: 24
; NumVgprs: 38
; ScratchSize: 0
; MemoryBound: 0
; FloatMode: 240
; IeeeMode: 1
; LDSByteSize: 4096 bytes/workgroup (compile time only)
; SGPRBlocks: 2
; VGPRBlocks: 4
; NumSGPRsForWavesPerEU: 24
; NumVGPRsForWavesPerEU: 38
; Occupancy: 16
; WaveLimiterHint : 1
; COMPUTE_PGM_RSRC2:SCRATCH_EN: 0
; COMPUTE_PGM_RSRC2:USER_SGPR: 13
; COMPUTE_PGM_RSRC2:TRAP_HANDLER: 0
; COMPUTE_PGM_RSRC2:TGID_X_EN: 1
; COMPUTE_PGM_RSRC2:TGID_Y_EN: 1
; COMPUTE_PGM_RSRC2:TGID_Z_EN: 1
; COMPUTE_PGM_RSRC2:TIDIG_COMP_CNT: 1
	.section	.text._ZL37rocblas_syrkx_herkx_restricted_kernelIldLi16ELi32ELi8ELb1ELb0ELc78ELc76EKPKdKPdEviT_T0_PT8_S5_lS8_S5_lS6_PT9_S5_li,"axG",@progbits,_ZL37rocblas_syrkx_herkx_restricted_kernelIldLi16ELi32ELi8ELb1ELb0ELc78ELc76EKPKdKPdEviT_T0_PT8_S5_lS8_S5_lS6_PT9_S5_li,comdat
	.globl	_ZL37rocblas_syrkx_herkx_restricted_kernelIldLi16ELi32ELi8ELb1ELb0ELc78ELc76EKPKdKPdEviT_T0_PT8_S5_lS8_S5_lS6_PT9_S5_li ; -- Begin function _ZL37rocblas_syrkx_herkx_restricted_kernelIldLi16ELi32ELi8ELb1ELb0ELc78ELc76EKPKdKPdEviT_T0_PT8_S5_lS8_S5_lS6_PT9_S5_li
	.p2align	8
	.type	_ZL37rocblas_syrkx_herkx_restricted_kernelIldLi16ELi32ELi8ELb1ELb0ELc78ELc76EKPKdKPdEviT_T0_PT8_S5_lS8_S5_lS6_PT9_S5_li,@function
_ZL37rocblas_syrkx_herkx_restricted_kernelIldLi16ELi32ELi8ELb1ELb0ELc78ELc76EKPKdKPdEviT_T0_PT8_S5_lS8_S5_lS6_PT9_S5_li: ; @_ZL37rocblas_syrkx_herkx_restricted_kernelIldLi16ELi32ELi8ELb1ELb0ELc78ELc76EKPKdKPdEviT_T0_PT8_S5_lS8_S5_lS6_PT9_S5_li
; %bb.0:
	s_clause 0x1
	s_load_b128 s[16:19], s[0:1], 0x50
	s_load_b256 s[4:11], s[0:1], 0x8
	s_mov_b32 s2, s15
	s_mov_b32 s3, 0
	v_mov_b32_e32 v10, 0
	s_lshl_b64 s[20:21], s[2:3], 3
	v_dual_mov_b32 v11, 0 :: v_dual_and_b32 v12, 0x3ff, v0
	v_bfe_u32 v13, v0, 10, 10
	s_delay_alu instid0(VALU_DEP_3) | instskip(NEXT) | instid1(VALU_DEP_3)
	v_mov_b32_e32 v8, v10
	v_dual_mov_b32 v2, v10 :: v_dual_mov_b32 v3, v11
	v_dual_mov_b32 v9, v11 :: v_dual_mov_b32 v0, v10
	v_mov_b32_e32 v1, v11
	s_waitcnt lgkmcnt(0)
	s_add_u32 s2, s16, s20
	s_addc_u32 s3, s17, s21
	v_cmp_lt_i64_e64 s12, s[4:5], 1
	s_load_b64 s[2:3], s[2:3], 0x0
	s_lshl_b32 s16, s13, 5
	s_lshl_b32 s17, s14, 5
	s_delay_alu instid0(VALU_DEP_1)
	s_and_b32 vcc_lo, exec_lo, s12
	s_cbranch_vccnz .LBB1491_3
; %bb.1:
	s_load_b128 s[12:15], s[0:1], 0x30
	v_lshl_add_u32 v3, v13, 4, v12
	v_and_b32_e32 v15, 7, v12
	s_add_u32 s8, s8, s20
	s_addc_u32 s9, s9, s21
	s_delay_alu instid0(VALU_DEP_2) | instskip(SKIP_2) | instid1(VALU_DEP_2)
	v_lshrrev_b32_e32 v10, 3, v3
	v_lshrrev_b32_e32 v16, 5, v3
	s_load_b64 s[8:9], s[8:9], 0x0
	v_add_nc_u32_e32 v0, s17, v10
	s_delay_alu instid0(VALU_DEP_1) | instskip(SKIP_2) | instid1(VALU_DEP_1)
	v_ashrrev_i32_e32 v1, 31, v0
	s_waitcnt lgkmcnt(0)
	s_add_u32 s12, s12, s20
	v_mad_u64_u32 v[4:5], null, v15, s14, v[0:1]
	v_and_b32_e32 v11, 31, v3
	s_addc_u32 s13, s13, s21
	s_load_b64 s[12:13], s[12:13], 0x0
	s_delay_alu instid0(VALU_DEP_2) | instskip(NEXT) | instid1(VALU_DEP_2)
	v_mov_b32_e32 v0, v5
	v_add_nc_u32_e32 v2, s16, v11
	v_lshlrev_b32_e32 v11, 3, v11
	s_delay_alu instid0(VALU_DEP_2) | instskip(NEXT) | instid1(VALU_DEP_1)
	v_ashrrev_i32_e32 v3, 31, v2
	v_mad_u64_u32 v[6:7], null, v16, s10, v[2:3]
	s_delay_alu instid0(VALU_DEP_1) | instskip(SKIP_3) | instid1(VALU_DEP_4)
	v_mov_b32_e32 v2, v7
	v_mad_u64_u32 v[7:8], null, v15, s15, v[0:1]
	v_mov_b32_e32 v0, 0
	v_mov_b32_e32 v1, 0
	v_mad_u64_u32 v[8:9], null, v16, s11, v[2:3]
	v_lshlrev_b32_e32 v9, 3, v15
	s_delay_alu instid0(VALU_DEP_3) | instskip(SKIP_1) | instid1(VALU_DEP_3)
	v_dual_mov_b32 v3, v1 :: v_dual_lshlrev_b32 v14, 3, v12
	v_dual_mov_b32 v5, v7 :: v_dual_mov_b32 v2, v0
	v_lshl_or_b32 v10, v10, 6, v9
	v_mov_b32_e32 v7, v8
	v_lshl_or_b32 v16, v16, 8, v11
	s_delay_alu instid0(VALU_DEP_4)
	v_lshlrev_b64 v[4:5], 3, v[4:5]
	v_lshl_add_u32 v15, v13, 6, 0x800
	v_add_nc_u32_e32 v17, 0x800, v10
	v_lshlrev_b64 v[6:7], 3, v[6:7]
	v_dual_mov_b32 v11, v1 :: v_dual_mov_b32 v10, v0
	s_waitcnt lgkmcnt(0)
	v_add_co_u32 v4, vcc_lo, s12, v4
	v_add_co_ci_u32_e32 v5, vcc_lo, s13, v5, vcc_lo
	s_delay_alu instid0(VALU_DEP_4)
	v_add_co_u32 v6, vcc_lo, s8, v6
	v_dual_mov_b32 v9, v1 :: v_dual_mov_b32 v8, v0
	v_add_co_ci_u32_e32 v7, vcc_lo, s9, v7, vcc_lo
	s_lshl_b64 s[8:9], s[14:15], 6
	s_lshl_b64 s[10:11], s[10:11], 6
	s_mov_b64 s[12:13], 0
.LBB1491_2:                             ; =>This Inner Loop Header: Depth=1
	global_load_b64 v[18:19], v[6:7], off
	global_load_b64 v[20:21], v[4:5], off
	s_add_u32 s12, s12, 8
	v_add_co_u32 v4, vcc_lo, v4, s8
	s_addc_u32 s13, s13, 0
	v_add_co_ci_u32_e32 v5, vcc_lo, s9, v5, vcc_lo
	v_cmp_ge_u64_e64 s14, s[12:13], s[4:5]
	v_add_co_u32 v6, vcc_lo, v6, s10
	v_add_co_ci_u32_e32 v7, vcc_lo, s11, v7, vcc_lo
	s_waitcnt vmcnt(1)
	ds_store_b64 v16, v[18:19]
	s_waitcnt vmcnt(0)
	ds_store_b64 v17, v[20:21]
	s_waitcnt lgkmcnt(0)
	s_barrier
	buffer_gl0_inv
	ds_load_2addr_b64 v[18:21], v14 offset1:16
	ds_load_b128 v[22:25], v15
	ds_load_b128 v[26:29], v15 offset:1024
	ds_load_b128 v[30:33], v15 offset:16
	;; [unrolled: 1-line block ×3, first 2 shown]
	s_and_b32 vcc_lo, exec_lo, s14
	s_waitcnt lgkmcnt(3)
	v_fma_f64 v[10:11], v[18:19], v[22:23], v[10:11]
	v_fma_f64 v[8:9], v[20:21], v[22:23], v[8:9]
	s_waitcnt lgkmcnt(2)
	v_fma_f64 v[18:19], v[18:19], v[26:27], v[2:3]
	v_fma_f64 v[20:21], v[20:21], v[26:27], v[0:1]
	ds_load_2addr_b64 v[0:3], v14 offset0:32 offset1:48
	s_waitcnt lgkmcnt(0)
	v_fma_f64 v[10:11], v[0:1], v[24:25], v[10:11]
	v_fma_f64 v[8:9], v[2:3], v[24:25], v[8:9]
	v_fma_f64 v[18:19], v[0:1], v[28:29], v[18:19]
	v_fma_f64 v[20:21], v[2:3], v[28:29], v[20:21]
	ds_load_2addr_b64 v[0:3], v14 offset0:64 offset1:80
	s_waitcnt lgkmcnt(0)
	v_fma_f64 v[10:11], v[0:1], v[30:31], v[10:11]
	v_fma_f64 v[8:9], v[2:3], v[30:31], v[8:9]
	;; [unrolled: 6-line block ×3, first 2 shown]
	v_fma_f64 v[34:35], v[0:1], v[36:37], v[18:19]
	v_fma_f64 v[36:37], v[2:3], v[36:37], v[20:21]
	ds_load_2addr_b64 v[0:3], v14 offset0:128 offset1:144
	ds_load_b128 v[8:11], v15 offset:32
	ds_load_b128 v[18:21], v15 offset:1056
	;; [unrolled: 1-line block ×4, first 2 shown]
	s_waitcnt lgkmcnt(3)
	v_fma_f64 v[30:31], v[0:1], v[8:9], v[30:31]
	v_fma_f64 v[8:9], v[2:3], v[8:9], v[32:33]
	s_waitcnt lgkmcnt(2)
	v_fma_f64 v[32:33], v[0:1], v[18:19], v[34:35]
	v_fma_f64 v[18:19], v[2:3], v[18:19], v[36:37]
	ds_load_2addr_b64 v[0:3], v14 offset0:160 offset1:176
	s_waitcnt lgkmcnt(0)
	v_fma_f64 v[30:31], v[0:1], v[10:11], v[30:31]
	v_fma_f64 v[8:9], v[2:3], v[10:11], v[8:9]
	;; [unrolled: 1-line block ×4, first 2 shown]
	ds_load_2addr_b64 v[0:3], v14 offset0:192 offset1:208
	s_waitcnt lgkmcnt(0)
	v_fma_f64 v[30:31], v[0:1], v[22:23], v[30:31]
	v_fma_f64 v[8:9], v[2:3], v[22:23], v[8:9]
	;; [unrolled: 1-line block ×4, first 2 shown]
	ds_load_2addr_b64 v[18:21], v14 offset0:224 offset1:240
	s_waitcnt lgkmcnt(0)
	s_barrier
	buffer_gl0_inv
	v_fma_f64 v[10:11], v[18:19], v[24:25], v[30:31]
	v_fma_f64 v[8:9], v[20:21], v[24:25], v[8:9]
	;; [unrolled: 1-line block ×4, first 2 shown]
	s_cbranch_vccz .LBB1491_2
.LBB1491_3:
	v_add_nc_u32_e32 v13, s17, v13
	s_load_b32 s4, s[0:1], 0x0
	s_delay_alu instid0(VALU_DEP_1) | instskip(SKIP_2) | instid1(VALU_DEP_3)
	v_ashrrev_i32_e32 v4, 31, v13
	v_mul_lo_u32 v7, v13, s19
	v_mad_u64_u32 v[5:6], null, v13, s18, 0
	v_mul_lo_u32 v4, v4, s18
	s_delay_alu instid0(VALU_DEP_1) | instskip(SKIP_1) | instid1(VALU_DEP_2)
	v_add3_u32 v6, v6, v7, v4
	v_add_nc_u32_e32 v4, s16, v12
	v_lshlrev_b64 v[5:6], 3, v[5:6]
	s_delay_alu instid0(VALU_DEP_2) | instskip(SKIP_2) | instid1(VALU_DEP_3)
	v_cmp_le_i32_e64 s0, v13, v4
	s_waitcnt lgkmcnt(0)
	v_cmp_gt_i32_e32 vcc_lo, s4, v4
	v_add_co_u32 v12, s1, s2, v5
	s_delay_alu instid0(VALU_DEP_1) | instskip(SKIP_1) | instid1(SALU_CYCLE_1)
	v_add_co_ci_u32_e64 v14, s1, s3, v6, s1
	s_and_b32 s0, s0, vcc_lo
	s_and_saveexec_b32 s1, s0
	s_cbranch_execz .LBB1491_5
; %bb.4:
	v_mul_f64 v[6:7], v[10:11], s[6:7]
	v_ashrrev_i32_e32 v5, 31, v4
	s_delay_alu instid0(VALU_DEP_1) | instskip(NEXT) | instid1(VALU_DEP_1)
	v_lshlrev_b64 v[10:11], 3, v[4:5]
	v_add_co_u32 v10, s0, v12, v10
	s_delay_alu instid0(VALU_DEP_1)
	v_add_co_ci_u32_e64 v11, s0, v14, v11, s0
	global_store_b64 v[10:11], v[6:7], off
.LBB1491_5:
	s_or_b32 exec_lo, exec_lo, s1
	v_add_nc_u32_e32 v6, 16, v4
	s_delay_alu instid0(VALU_DEP_1) | instskip(SKIP_1) | instid1(VALU_DEP_1)
	v_cmp_le_i32_e64 s1, v13, v6
	v_cmp_gt_i32_e64 s0, s4, v6
	s_and_b32 s1, s1, s0
	s_delay_alu instid0(SALU_CYCLE_1)
	s_and_saveexec_b32 s4, s1
	s_cbranch_execz .LBB1491_7
; %bb.6:
	v_mul_f64 v[8:9], v[8:9], s[6:7]
	v_ashrrev_i32_e32 v7, 31, v6
	s_delay_alu instid0(VALU_DEP_1) | instskip(NEXT) | instid1(VALU_DEP_1)
	v_lshlrev_b64 v[10:11], 3, v[6:7]
	v_add_co_u32 v10, s1, v12, v10
	s_delay_alu instid0(VALU_DEP_1)
	v_add_co_ci_u32_e64 v11, s1, v14, v11, s1
	global_store_b64 v[10:11], v[8:9], off
.LBB1491_7:
	s_or_b32 exec_lo, exec_lo, s4
	v_add_nc_u32_e32 v7, 16, v13
	s_delay_alu instid0(VALU_DEP_1) | instskip(SKIP_3) | instid1(VALU_DEP_4)
	v_ashrrev_i32_e32 v5, 31, v7
	v_mul_lo_u32 v10, v7, s19
	v_mad_u64_u32 v[8:9], null, v7, s18, 0
	v_cmp_le_i32_e64 s1, v7, v4
	v_mul_lo_u32 v5, v5, s18
	s_delay_alu instid0(VALU_DEP_1) | instskip(NEXT) | instid1(VALU_DEP_1)
	v_add3_u32 v9, v9, v10, v5
	v_lshlrev_b64 v[8:9], 3, v[8:9]
	s_delay_alu instid0(VALU_DEP_1) | instskip(NEXT) | instid1(VALU_DEP_1)
	v_add_co_u32 v8, s2, s2, v8
	v_add_co_ci_u32_e64 v9, s2, s3, v9, s2
	s_and_b32 s2, s1, vcc_lo
	s_delay_alu instid0(SALU_CYCLE_1)
	s_and_saveexec_b32 s1, s2
	s_cbranch_execz .LBB1491_9
; %bb.8:
	v_mul_f64 v[2:3], v[2:3], s[6:7]
	v_ashrrev_i32_e32 v5, 31, v4
	s_delay_alu instid0(VALU_DEP_1) | instskip(NEXT) | instid1(VALU_DEP_1)
	v_lshlrev_b64 v[4:5], 3, v[4:5]
	v_add_co_u32 v4, vcc_lo, v8, v4
	s_delay_alu instid0(VALU_DEP_2)
	v_add_co_ci_u32_e32 v5, vcc_lo, v9, v5, vcc_lo
	global_store_b64 v[4:5], v[2:3], off
.LBB1491_9:
	s_or_b32 exec_lo, exec_lo, s1
	v_cmp_le_i32_e32 vcc_lo, v7, v6
	s_and_b32 s0, vcc_lo, s0
	s_delay_alu instid0(SALU_CYCLE_1)
	s_and_saveexec_b32 s1, s0
	s_cbranch_execz .LBB1491_11
; %bb.10:
	v_mul_f64 v[0:1], v[0:1], s[6:7]
	v_ashrrev_i32_e32 v7, 31, v6
	s_delay_alu instid0(VALU_DEP_1) | instskip(NEXT) | instid1(VALU_DEP_1)
	v_lshlrev_b64 v[2:3], 3, v[6:7]
	v_add_co_u32 v2, vcc_lo, v8, v2
	s_delay_alu instid0(VALU_DEP_2)
	v_add_co_ci_u32_e32 v3, vcc_lo, v9, v3, vcc_lo
	global_store_b64 v[2:3], v[0:1], off
.LBB1491_11:
	s_nop 0
	s_sendmsg sendmsg(MSG_DEALLOC_VGPRS)
	s_endpgm
	.section	.rodata,"a",@progbits
	.p2align	6, 0x0
	.amdhsa_kernel _ZL37rocblas_syrkx_herkx_restricted_kernelIldLi16ELi32ELi8ELb1ELb0ELc78ELc76EKPKdKPdEviT_T0_PT8_S5_lS8_S5_lS6_PT9_S5_li
		.amdhsa_group_segment_fixed_size 4096
		.amdhsa_private_segment_fixed_size 0
		.amdhsa_kernarg_size 108
		.amdhsa_user_sgpr_count 13
		.amdhsa_user_sgpr_dispatch_ptr 0
		.amdhsa_user_sgpr_queue_ptr 0
		.amdhsa_user_sgpr_kernarg_segment_ptr 1
		.amdhsa_user_sgpr_dispatch_id 0
		.amdhsa_user_sgpr_private_segment_size 0
		.amdhsa_wavefront_size32 1
		.amdhsa_uses_dynamic_stack 0
		.amdhsa_enable_private_segment 0
		.amdhsa_system_sgpr_workgroup_id_x 1
		.amdhsa_system_sgpr_workgroup_id_y 1
		.amdhsa_system_sgpr_workgroup_id_z 1
		.amdhsa_system_sgpr_workgroup_info 0
		.amdhsa_system_vgpr_workitem_id 1
		.amdhsa_next_free_vgpr 38
		.amdhsa_next_free_sgpr 22
		.amdhsa_reserve_vcc 1
		.amdhsa_float_round_mode_32 0
		.amdhsa_float_round_mode_16_64 0
		.amdhsa_float_denorm_mode_32 3
		.amdhsa_float_denorm_mode_16_64 3
		.amdhsa_dx10_clamp 1
		.amdhsa_ieee_mode 1
		.amdhsa_fp16_overflow 0
		.amdhsa_workgroup_processor_mode 1
		.amdhsa_memory_ordered 1
		.amdhsa_forward_progress 0
		.amdhsa_shared_vgpr_count 0
		.amdhsa_exception_fp_ieee_invalid_op 0
		.amdhsa_exception_fp_denorm_src 0
		.amdhsa_exception_fp_ieee_div_zero 0
		.amdhsa_exception_fp_ieee_overflow 0
		.amdhsa_exception_fp_ieee_underflow 0
		.amdhsa_exception_fp_ieee_inexact 0
		.amdhsa_exception_int_div_zero 0
	.end_amdhsa_kernel
	.section	.text._ZL37rocblas_syrkx_herkx_restricted_kernelIldLi16ELi32ELi8ELb1ELb0ELc78ELc76EKPKdKPdEviT_T0_PT8_S5_lS8_S5_lS6_PT9_S5_li,"axG",@progbits,_ZL37rocblas_syrkx_herkx_restricted_kernelIldLi16ELi32ELi8ELb1ELb0ELc78ELc76EKPKdKPdEviT_T0_PT8_S5_lS8_S5_lS6_PT9_S5_li,comdat
.Lfunc_end1491:
	.size	_ZL37rocblas_syrkx_herkx_restricted_kernelIldLi16ELi32ELi8ELb1ELb0ELc78ELc76EKPKdKPdEviT_T0_PT8_S5_lS8_S5_lS6_PT9_S5_li, .Lfunc_end1491-_ZL37rocblas_syrkx_herkx_restricted_kernelIldLi16ELi32ELi8ELb1ELb0ELc78ELc76EKPKdKPdEviT_T0_PT8_S5_lS8_S5_lS6_PT9_S5_li
                                        ; -- End function
	.section	.AMDGPU.csdata,"",@progbits
; Kernel info:
; codeLenInByte = 1476
; NumSgprs: 24
; NumVgprs: 38
; ScratchSize: 0
; MemoryBound: 0
; FloatMode: 240
; IeeeMode: 1
; LDSByteSize: 4096 bytes/workgroup (compile time only)
; SGPRBlocks: 2
; VGPRBlocks: 4
; NumSGPRsForWavesPerEU: 24
; NumVGPRsForWavesPerEU: 38
; Occupancy: 16
; WaveLimiterHint : 1
; COMPUTE_PGM_RSRC2:SCRATCH_EN: 0
; COMPUTE_PGM_RSRC2:USER_SGPR: 13
; COMPUTE_PGM_RSRC2:TRAP_HANDLER: 0
; COMPUTE_PGM_RSRC2:TGID_X_EN: 1
; COMPUTE_PGM_RSRC2:TGID_Y_EN: 1
; COMPUTE_PGM_RSRC2:TGID_Z_EN: 1
; COMPUTE_PGM_RSRC2:TIDIG_COMP_CNT: 1
	.section	.text._ZL37rocblas_syrkx_herkx_restricted_kernelIldLi16ELi32ELi8ELb1ELb0ELc84ELc85EKPKdKPdEviT_T0_PT8_S5_lS8_S5_lS6_PT9_S5_li,"axG",@progbits,_ZL37rocblas_syrkx_herkx_restricted_kernelIldLi16ELi32ELi8ELb1ELb0ELc84ELc85EKPKdKPdEviT_T0_PT8_S5_lS8_S5_lS6_PT9_S5_li,comdat
	.globl	_ZL37rocblas_syrkx_herkx_restricted_kernelIldLi16ELi32ELi8ELb1ELb0ELc84ELc85EKPKdKPdEviT_T0_PT8_S5_lS8_S5_lS6_PT9_S5_li ; -- Begin function _ZL37rocblas_syrkx_herkx_restricted_kernelIldLi16ELi32ELi8ELb1ELb0ELc84ELc85EKPKdKPdEviT_T0_PT8_S5_lS8_S5_lS6_PT9_S5_li
	.p2align	8
	.type	_ZL37rocblas_syrkx_herkx_restricted_kernelIldLi16ELi32ELi8ELb1ELb0ELc84ELc85EKPKdKPdEviT_T0_PT8_S5_lS8_S5_lS6_PT9_S5_li,@function
_ZL37rocblas_syrkx_herkx_restricted_kernelIldLi16ELi32ELi8ELb1ELb0ELc84ELc85EKPKdKPdEviT_T0_PT8_S5_lS8_S5_lS6_PT9_S5_li: ; @_ZL37rocblas_syrkx_herkx_restricted_kernelIldLi16ELi32ELi8ELb1ELb0ELc84ELc85EKPKdKPdEviT_T0_PT8_S5_lS8_S5_lS6_PT9_S5_li
; %bb.0:
	s_clause 0x1
	s_load_b128 s[16:19], s[0:1], 0x50
	s_load_b256 s[4:11], s[0:1], 0x8
	s_mov_b32 s2, s15
	s_mov_b32 s3, 0
	v_mov_b32_e32 v10, 0
	s_lshl_b64 s[20:21], s[2:3], 3
	v_dual_mov_b32 v11, 0 :: v_dual_and_b32 v12, 0x3ff, v0
	v_bfe_u32 v13, v0, 10, 10
	s_delay_alu instid0(VALU_DEP_3) | instskip(NEXT) | instid1(VALU_DEP_3)
	v_mov_b32_e32 v8, v10
	v_dual_mov_b32 v2, v10 :: v_dual_mov_b32 v3, v11
	v_dual_mov_b32 v9, v11 :: v_dual_mov_b32 v0, v10
	v_mov_b32_e32 v1, v11
	s_waitcnt lgkmcnt(0)
	s_add_u32 s2, s16, s20
	s_addc_u32 s3, s17, s21
	v_cmp_lt_i64_e64 s12, s[4:5], 1
	s_load_b64 s[2:3], s[2:3], 0x0
	s_lshl_b32 s16, s13, 5
	s_lshl_b32 s17, s14, 5
	s_delay_alu instid0(VALU_DEP_1)
	s_and_b32 vcc_lo, exec_lo, s12
	s_cbranch_vccnz .LBB1492_3
; %bb.1:
	s_load_b128 s[12:15], s[0:1], 0x30
	v_lshl_add_u32 v2, v13, 4, v12
	v_dual_mov_b32 v1, 0 :: v_dual_and_b32 v0, 7, v12
	s_add_u32 s8, s8, s20
	s_addc_u32 s9, s9, s21
	s_delay_alu instid0(VALU_DEP_2) | instskip(SKIP_3) | instid1(VALU_DEP_3)
	v_lshrrev_b32_e32 v8, 3, v2
	v_and_b32_e32 v9, 31, v2
	v_lshrrev_b32_e32 v2, 5, v2
	s_load_b64 s[8:9], s[8:9], 0x0
	v_dual_mov_b32 v3, v1 :: v_dual_add_nc_u32 v6, s17, v8
	s_delay_alu instid0(VALU_DEP_3) | instskip(NEXT) | instid1(VALU_DEP_2)
	v_add_nc_u32_e32 v10, s16, v9
	v_ashrrev_i32_e32 v4, 31, v6
	s_delay_alu instid0(VALU_DEP_2)
	v_ashrrev_i32_e32 v11, 31, v10
	s_waitcnt lgkmcnt(0)
	s_add_u32 s12, s12, s20
	s_addc_u32 s13, s13, s21
	v_mul_lo_u32 v15, v4, s14
	s_load_b64 s[12:13], s[12:13], 0x0
	v_mul_lo_u32 v16, v6, s15
	v_mad_u64_u32 v[4:5], null, v6, s14, v[0:1]
	v_mad_u64_u32 v[6:7], null, s10, v10, v[2:3]
	v_mul_lo_u32 v1, s11, v10
	v_mul_lo_u32 v3, s10, v11
	v_lshlrev_b32_e32 v0, 3, v0
	v_add3_u32 v5, v15, v5, v16
	v_lshl_add_u32 v15, v13, 6, 0x800
	s_delay_alu instid0(VALU_DEP_3)
	v_lshl_or_b32 v8, v8, 6, v0
	v_add3_u32 v7, v1, v7, v3
	v_mov_b32_e32 v0, 0
	v_mov_b32_e32 v1, 0
	v_lshlrev_b32_e32 v9, 3, v9
	v_lshlrev_b64 v[4:5], 3, v[4:5]
	v_lshlrev_b32_e32 v14, 3, v12
	v_add_nc_u32_e32 v17, 0x800, v8
	v_mov_b32_e32 v11, v1
	v_lshl_or_b32 v16, v2, 8, v9
	v_lshlrev_b64 v[2:3], 3, v[6:7]
	s_waitcnt lgkmcnt(0)
	v_add_co_u32 v4, vcc_lo, s12, v4
	v_add_co_ci_u32_e32 v5, vcc_lo, s13, v5, vcc_lo
	v_dual_mov_b32 v9, v1 :: v_dual_mov_b32 v10, v0
	s_delay_alu instid0(VALU_DEP_4)
	v_add_co_u32 v6, vcc_lo, s8, v2
	v_add_co_ci_u32_e32 v7, vcc_lo, s9, v3, vcc_lo
	v_dual_mov_b32 v3, v1 :: v_dual_mov_b32 v2, v0
	v_mov_b32_e32 v8, v0
	s_mov_b64 s[8:9], 0
.LBB1492_2:                             ; =>This Inner Loop Header: Depth=1
	global_load_b64 v[18:19], v[6:7], off
	global_load_b64 v[20:21], v[4:5], off
	s_add_u32 s8, s8, 8
	v_add_co_u32 v4, vcc_lo, v4, 64
	s_addc_u32 s9, s9, 0
	v_add_co_ci_u32_e32 v5, vcc_lo, 0, v5, vcc_lo
	v_cmp_ge_u64_e64 s10, s[8:9], s[4:5]
	v_add_co_u32 v6, vcc_lo, v6, 64
	v_add_co_ci_u32_e32 v7, vcc_lo, 0, v7, vcc_lo
	s_waitcnt vmcnt(1)
	ds_store_b64 v16, v[18:19]
	s_waitcnt vmcnt(0)
	ds_store_b64 v17, v[20:21]
	s_waitcnt lgkmcnt(0)
	s_barrier
	buffer_gl0_inv
	ds_load_2addr_b64 v[18:21], v14 offset1:16
	ds_load_b128 v[22:25], v15
	ds_load_b128 v[26:29], v15 offset:1024
	ds_load_b128 v[30:33], v15 offset:16
	;; [unrolled: 1-line block ×3, first 2 shown]
	s_and_b32 vcc_lo, exec_lo, s10
	s_waitcnt lgkmcnt(3)
	v_fma_f64 v[10:11], v[18:19], v[22:23], v[10:11]
	v_fma_f64 v[8:9], v[20:21], v[22:23], v[8:9]
	s_waitcnt lgkmcnt(2)
	v_fma_f64 v[18:19], v[18:19], v[26:27], v[2:3]
	v_fma_f64 v[20:21], v[20:21], v[26:27], v[0:1]
	ds_load_2addr_b64 v[0:3], v14 offset0:32 offset1:48
	s_waitcnt lgkmcnt(0)
	v_fma_f64 v[10:11], v[0:1], v[24:25], v[10:11]
	v_fma_f64 v[8:9], v[2:3], v[24:25], v[8:9]
	v_fma_f64 v[18:19], v[0:1], v[28:29], v[18:19]
	v_fma_f64 v[20:21], v[2:3], v[28:29], v[20:21]
	ds_load_2addr_b64 v[0:3], v14 offset0:64 offset1:80
	s_waitcnt lgkmcnt(0)
	v_fma_f64 v[10:11], v[0:1], v[30:31], v[10:11]
	v_fma_f64 v[8:9], v[2:3], v[30:31], v[8:9]
	;; [unrolled: 6-line block ×3, first 2 shown]
	v_fma_f64 v[34:35], v[0:1], v[36:37], v[18:19]
	v_fma_f64 v[36:37], v[2:3], v[36:37], v[20:21]
	ds_load_2addr_b64 v[0:3], v14 offset0:128 offset1:144
	ds_load_b128 v[8:11], v15 offset:32
	ds_load_b128 v[18:21], v15 offset:1056
	;; [unrolled: 1-line block ×4, first 2 shown]
	s_waitcnt lgkmcnt(3)
	v_fma_f64 v[30:31], v[0:1], v[8:9], v[30:31]
	v_fma_f64 v[8:9], v[2:3], v[8:9], v[32:33]
	s_waitcnt lgkmcnt(2)
	v_fma_f64 v[32:33], v[0:1], v[18:19], v[34:35]
	v_fma_f64 v[18:19], v[2:3], v[18:19], v[36:37]
	ds_load_2addr_b64 v[0:3], v14 offset0:160 offset1:176
	s_waitcnt lgkmcnt(0)
	v_fma_f64 v[30:31], v[0:1], v[10:11], v[30:31]
	v_fma_f64 v[8:9], v[2:3], v[10:11], v[8:9]
	;; [unrolled: 1-line block ×4, first 2 shown]
	ds_load_2addr_b64 v[0:3], v14 offset0:192 offset1:208
	s_waitcnt lgkmcnt(0)
	v_fma_f64 v[30:31], v[0:1], v[22:23], v[30:31]
	v_fma_f64 v[8:9], v[2:3], v[22:23], v[8:9]
	;; [unrolled: 1-line block ×4, first 2 shown]
	ds_load_2addr_b64 v[18:21], v14 offset0:224 offset1:240
	s_waitcnt lgkmcnt(0)
	s_barrier
	buffer_gl0_inv
	v_fma_f64 v[10:11], v[18:19], v[24:25], v[30:31]
	v_fma_f64 v[8:9], v[20:21], v[24:25], v[8:9]
	;; [unrolled: 1-line block ×4, first 2 shown]
	s_cbranch_vccz .LBB1492_2
.LBB1492_3:
	v_add_nc_u32_e32 v13, s17, v13
	s_load_b32 s4, s[0:1], 0x0
	s_delay_alu instid0(VALU_DEP_1) | instskip(SKIP_2) | instid1(VALU_DEP_3)
	v_ashrrev_i32_e32 v4, 31, v13
	v_mul_lo_u32 v7, v13, s19
	v_mad_u64_u32 v[5:6], null, v13, s18, 0
	v_mul_lo_u32 v4, v4, s18
	s_delay_alu instid0(VALU_DEP_1) | instskip(SKIP_3) | instid1(VALU_DEP_3)
	v_add3_u32 v6, v6, v7, v4
	v_add_nc_u32_e32 v4, s16, v12
	s_waitcnt lgkmcnt(0)
	v_cmp_gt_i32_e32 vcc_lo, s4, v13
	v_lshlrev_b64 v[5:6], 3, v[5:6]
	s_delay_alu instid0(VALU_DEP_3) | instskip(NEXT) | instid1(VALU_DEP_1)
	v_cmp_le_i32_e64 s0, v4, v13
	s_and_b32 s0, vcc_lo, s0
	s_delay_alu instid0(VALU_DEP_2) | instskip(NEXT) | instid1(VALU_DEP_1)
	v_add_co_u32 v12, s1, s2, v5
	v_add_co_ci_u32_e64 v14, s1, s3, v6, s1
	s_and_saveexec_b32 s1, s0
	s_cbranch_execz .LBB1492_5
; %bb.4:
	v_mul_f64 v[6:7], v[10:11], s[6:7]
	v_ashrrev_i32_e32 v5, 31, v4
	s_delay_alu instid0(VALU_DEP_1) | instskip(NEXT) | instid1(VALU_DEP_1)
	v_lshlrev_b64 v[10:11], 3, v[4:5]
	v_add_co_u32 v10, s0, v12, v10
	s_delay_alu instid0(VALU_DEP_1)
	v_add_co_ci_u32_e64 v11, s0, v14, v11, s0
	global_store_b64 v[10:11], v[6:7], off
.LBB1492_5:
	s_or_b32 exec_lo, exec_lo, s1
	v_add_nc_u32_e32 v6, 16, v4
	s_delay_alu instid0(VALU_DEP_1) | instskip(NEXT) | instid1(VALU_DEP_1)
	v_cmp_le_i32_e64 s0, v6, v13
	s_and_b32 s1, vcc_lo, s0
	s_delay_alu instid0(SALU_CYCLE_1)
	s_and_saveexec_b32 s0, s1
	s_cbranch_execz .LBB1492_7
; %bb.6:
	v_mul_f64 v[8:9], v[8:9], s[6:7]
	v_ashrrev_i32_e32 v7, 31, v6
	s_delay_alu instid0(VALU_DEP_1) | instskip(NEXT) | instid1(VALU_DEP_1)
	v_lshlrev_b64 v[10:11], 3, v[6:7]
	v_add_co_u32 v10, vcc_lo, v12, v10
	s_delay_alu instid0(VALU_DEP_2)
	v_add_co_ci_u32_e32 v11, vcc_lo, v14, v11, vcc_lo
	global_store_b64 v[10:11], v[8:9], off
.LBB1492_7:
	s_or_b32 exec_lo, exec_lo, s0
	v_add_nc_u32_e32 v7, 16, v13
	s_delay_alu instid0(VALU_DEP_1) | instskip(SKIP_3) | instid1(VALU_DEP_4)
	v_ashrrev_i32_e32 v5, 31, v7
	v_mul_lo_u32 v10, v7, s19
	v_mad_u64_u32 v[8:9], null, v7, s18, 0
	v_cmp_gt_i32_e32 vcc_lo, s4, v7
	v_mul_lo_u32 v5, v5, s18
	v_cmp_le_i32_e64 s0, v4, v7
	s_delay_alu instid0(VALU_DEP_1) | instskip(NEXT) | instid1(VALU_DEP_2)
	s_and_b32 s0, vcc_lo, s0
	v_add3_u32 v9, v9, v10, v5
	s_delay_alu instid0(VALU_DEP_1) | instskip(NEXT) | instid1(VALU_DEP_1)
	v_lshlrev_b64 v[8:9], 3, v[8:9]
	v_add_co_u32 v8, s1, s2, v8
	s_delay_alu instid0(VALU_DEP_1)
	v_add_co_ci_u32_e64 v9, s1, s3, v9, s1
	s_and_saveexec_b32 s1, s0
	s_cbranch_execz .LBB1492_9
; %bb.8:
	v_mul_f64 v[2:3], v[2:3], s[6:7]
	v_ashrrev_i32_e32 v5, 31, v4
	s_delay_alu instid0(VALU_DEP_1) | instskip(NEXT) | instid1(VALU_DEP_1)
	v_lshlrev_b64 v[4:5], 3, v[4:5]
	v_add_co_u32 v4, s0, v8, v4
	s_delay_alu instid0(VALU_DEP_1)
	v_add_co_ci_u32_e64 v5, s0, v9, v5, s0
	global_store_b64 v[4:5], v[2:3], off
.LBB1492_9:
	s_or_b32 exec_lo, exec_lo, s1
	v_cmp_le_i32_e64 s0, v6, v7
	s_delay_alu instid0(VALU_DEP_1) | instskip(NEXT) | instid1(SALU_CYCLE_1)
	s_and_b32 s0, vcc_lo, s0
	s_and_saveexec_b32 s1, s0
	s_cbranch_execz .LBB1492_11
; %bb.10:
	v_mul_f64 v[0:1], v[0:1], s[6:7]
	v_ashrrev_i32_e32 v7, 31, v6
	s_delay_alu instid0(VALU_DEP_1) | instskip(NEXT) | instid1(VALU_DEP_1)
	v_lshlrev_b64 v[2:3], 3, v[6:7]
	v_add_co_u32 v2, vcc_lo, v8, v2
	s_delay_alu instid0(VALU_DEP_2)
	v_add_co_ci_u32_e32 v3, vcc_lo, v9, v3, vcc_lo
	global_store_b64 v[2:3], v[0:1], off
.LBB1492_11:
	s_nop 0
	s_sendmsg sendmsg(MSG_DEALLOC_VGPRS)
	s_endpgm
	.section	.rodata,"a",@progbits
	.p2align	6, 0x0
	.amdhsa_kernel _ZL37rocblas_syrkx_herkx_restricted_kernelIldLi16ELi32ELi8ELb1ELb0ELc84ELc85EKPKdKPdEviT_T0_PT8_S5_lS8_S5_lS6_PT9_S5_li
		.amdhsa_group_segment_fixed_size 4096
		.amdhsa_private_segment_fixed_size 0
		.amdhsa_kernarg_size 108
		.amdhsa_user_sgpr_count 13
		.amdhsa_user_sgpr_dispatch_ptr 0
		.amdhsa_user_sgpr_queue_ptr 0
		.amdhsa_user_sgpr_kernarg_segment_ptr 1
		.amdhsa_user_sgpr_dispatch_id 0
		.amdhsa_user_sgpr_private_segment_size 0
		.amdhsa_wavefront_size32 1
		.amdhsa_uses_dynamic_stack 0
		.amdhsa_enable_private_segment 0
		.amdhsa_system_sgpr_workgroup_id_x 1
		.amdhsa_system_sgpr_workgroup_id_y 1
		.amdhsa_system_sgpr_workgroup_id_z 1
		.amdhsa_system_sgpr_workgroup_info 0
		.amdhsa_system_vgpr_workitem_id 1
		.amdhsa_next_free_vgpr 38
		.amdhsa_next_free_sgpr 22
		.amdhsa_reserve_vcc 1
		.amdhsa_float_round_mode_32 0
		.amdhsa_float_round_mode_16_64 0
		.amdhsa_float_denorm_mode_32 3
		.amdhsa_float_denorm_mode_16_64 3
		.amdhsa_dx10_clamp 1
		.amdhsa_ieee_mode 1
		.amdhsa_fp16_overflow 0
		.amdhsa_workgroup_processor_mode 1
		.amdhsa_memory_ordered 1
		.amdhsa_forward_progress 0
		.amdhsa_shared_vgpr_count 0
		.amdhsa_exception_fp_ieee_invalid_op 0
		.amdhsa_exception_fp_denorm_src 0
		.amdhsa_exception_fp_ieee_div_zero 0
		.amdhsa_exception_fp_ieee_overflow 0
		.amdhsa_exception_fp_ieee_underflow 0
		.amdhsa_exception_fp_ieee_inexact 0
		.amdhsa_exception_int_div_zero 0
	.end_amdhsa_kernel
	.section	.text._ZL37rocblas_syrkx_herkx_restricted_kernelIldLi16ELi32ELi8ELb1ELb0ELc84ELc85EKPKdKPdEviT_T0_PT8_S5_lS8_S5_lS6_PT9_S5_li,"axG",@progbits,_ZL37rocblas_syrkx_herkx_restricted_kernelIldLi16ELi32ELi8ELb1ELb0ELc84ELc85EKPKdKPdEviT_T0_PT8_S5_lS8_S5_lS6_PT9_S5_li,comdat
.Lfunc_end1492:
	.size	_ZL37rocblas_syrkx_herkx_restricted_kernelIldLi16ELi32ELi8ELb1ELb0ELc84ELc85EKPKdKPdEviT_T0_PT8_S5_lS8_S5_lS6_PT9_S5_li, .Lfunc_end1492-_ZL37rocblas_syrkx_herkx_restricted_kernelIldLi16ELi32ELi8ELb1ELb0ELc84ELc85EKPKdKPdEviT_T0_PT8_S5_lS8_S5_lS6_PT9_S5_li
                                        ; -- End function
	.section	.AMDGPU.csdata,"",@progbits
; Kernel info:
; codeLenInByte = 1480
; NumSgprs: 24
; NumVgprs: 38
; ScratchSize: 0
; MemoryBound: 0
; FloatMode: 240
; IeeeMode: 1
; LDSByteSize: 4096 bytes/workgroup (compile time only)
; SGPRBlocks: 2
; VGPRBlocks: 4
; NumSGPRsForWavesPerEU: 24
; NumVGPRsForWavesPerEU: 38
; Occupancy: 16
; WaveLimiterHint : 1
; COMPUTE_PGM_RSRC2:SCRATCH_EN: 0
; COMPUTE_PGM_RSRC2:USER_SGPR: 13
; COMPUTE_PGM_RSRC2:TRAP_HANDLER: 0
; COMPUTE_PGM_RSRC2:TGID_X_EN: 1
; COMPUTE_PGM_RSRC2:TGID_Y_EN: 1
; COMPUTE_PGM_RSRC2:TGID_Z_EN: 1
; COMPUTE_PGM_RSRC2:TIDIG_COMP_CNT: 1
	.section	.text._ZL37rocblas_syrkx_herkx_restricted_kernelIldLi16ELi32ELi8ELb1ELb0ELc67ELc85EKPKdKPdEviT_T0_PT8_S5_lS8_S5_lS6_PT9_S5_li,"axG",@progbits,_ZL37rocblas_syrkx_herkx_restricted_kernelIldLi16ELi32ELi8ELb1ELb0ELc67ELc85EKPKdKPdEviT_T0_PT8_S5_lS8_S5_lS6_PT9_S5_li,comdat
	.globl	_ZL37rocblas_syrkx_herkx_restricted_kernelIldLi16ELi32ELi8ELb1ELb0ELc67ELc85EKPKdKPdEviT_T0_PT8_S5_lS8_S5_lS6_PT9_S5_li ; -- Begin function _ZL37rocblas_syrkx_herkx_restricted_kernelIldLi16ELi32ELi8ELb1ELb0ELc67ELc85EKPKdKPdEviT_T0_PT8_S5_lS8_S5_lS6_PT9_S5_li
	.p2align	8
	.type	_ZL37rocblas_syrkx_herkx_restricted_kernelIldLi16ELi32ELi8ELb1ELb0ELc67ELc85EKPKdKPdEviT_T0_PT8_S5_lS8_S5_lS6_PT9_S5_li,@function
_ZL37rocblas_syrkx_herkx_restricted_kernelIldLi16ELi32ELi8ELb1ELb0ELc67ELc85EKPKdKPdEviT_T0_PT8_S5_lS8_S5_lS6_PT9_S5_li: ; @_ZL37rocblas_syrkx_herkx_restricted_kernelIldLi16ELi32ELi8ELb1ELb0ELc67ELc85EKPKdKPdEviT_T0_PT8_S5_lS8_S5_lS6_PT9_S5_li
; %bb.0:
	s_clause 0x1
	s_load_b128 s[16:19], s[0:1], 0x50
	s_load_b256 s[4:11], s[0:1], 0x8
	s_mov_b32 s2, s15
	s_mov_b32 s3, 0
	v_mov_b32_e32 v10, 0
	s_lshl_b64 s[20:21], s[2:3], 3
	v_dual_mov_b32 v11, 0 :: v_dual_and_b32 v12, 0x3ff, v0
	v_bfe_u32 v13, v0, 10, 10
	s_delay_alu instid0(VALU_DEP_3) | instskip(NEXT) | instid1(VALU_DEP_3)
	v_mov_b32_e32 v8, v10
	v_dual_mov_b32 v2, v10 :: v_dual_mov_b32 v3, v11
	v_dual_mov_b32 v9, v11 :: v_dual_mov_b32 v0, v10
	v_mov_b32_e32 v1, v11
	s_waitcnt lgkmcnt(0)
	s_add_u32 s2, s16, s20
	s_addc_u32 s3, s17, s21
	v_cmp_lt_i64_e64 s12, s[4:5], 1
	s_load_b64 s[2:3], s[2:3], 0x0
	s_lshl_b32 s16, s13, 5
	s_lshl_b32 s17, s14, 5
	s_delay_alu instid0(VALU_DEP_1)
	s_and_b32 vcc_lo, exec_lo, s12
	s_cbranch_vccnz .LBB1493_3
; %bb.1:
	s_load_b128 s[12:15], s[0:1], 0x30
	v_lshl_add_u32 v2, v13, 4, v12
	v_dual_mov_b32 v1, 0 :: v_dual_and_b32 v0, 7, v12
	s_add_u32 s8, s8, s20
	s_addc_u32 s9, s9, s21
	s_delay_alu instid0(VALU_DEP_2) | instskip(SKIP_3) | instid1(VALU_DEP_3)
	v_lshrrev_b32_e32 v8, 3, v2
	v_and_b32_e32 v9, 31, v2
	v_lshrrev_b32_e32 v2, 5, v2
	s_load_b64 s[8:9], s[8:9], 0x0
	v_dual_mov_b32 v3, v1 :: v_dual_add_nc_u32 v6, s17, v8
	s_delay_alu instid0(VALU_DEP_3) | instskip(NEXT) | instid1(VALU_DEP_2)
	v_add_nc_u32_e32 v10, s16, v9
	v_ashrrev_i32_e32 v4, 31, v6
	s_delay_alu instid0(VALU_DEP_2)
	v_ashrrev_i32_e32 v11, 31, v10
	s_waitcnt lgkmcnt(0)
	s_add_u32 s12, s12, s20
	s_addc_u32 s13, s13, s21
	v_mul_lo_u32 v15, v4, s14
	s_load_b64 s[12:13], s[12:13], 0x0
	v_mul_lo_u32 v16, v6, s15
	v_mad_u64_u32 v[4:5], null, v6, s14, v[0:1]
	v_mad_u64_u32 v[6:7], null, s10, v10, v[2:3]
	v_mul_lo_u32 v1, s11, v10
	v_mul_lo_u32 v3, s10, v11
	v_lshlrev_b32_e32 v0, 3, v0
	v_add3_u32 v5, v15, v5, v16
	v_lshl_add_u32 v15, v13, 6, 0x800
	s_delay_alu instid0(VALU_DEP_3)
	v_lshl_or_b32 v8, v8, 6, v0
	v_add3_u32 v7, v1, v7, v3
	v_mov_b32_e32 v0, 0
	v_mov_b32_e32 v1, 0
	v_lshlrev_b32_e32 v9, 3, v9
	v_lshlrev_b64 v[4:5], 3, v[4:5]
	v_lshlrev_b32_e32 v14, 3, v12
	v_add_nc_u32_e32 v17, 0x800, v8
	v_mov_b32_e32 v11, v1
	v_lshl_or_b32 v16, v2, 8, v9
	v_lshlrev_b64 v[2:3], 3, v[6:7]
	s_waitcnt lgkmcnt(0)
	v_add_co_u32 v4, vcc_lo, s12, v4
	v_add_co_ci_u32_e32 v5, vcc_lo, s13, v5, vcc_lo
	v_dual_mov_b32 v9, v1 :: v_dual_mov_b32 v10, v0
	s_delay_alu instid0(VALU_DEP_4)
	v_add_co_u32 v6, vcc_lo, s8, v2
	v_add_co_ci_u32_e32 v7, vcc_lo, s9, v3, vcc_lo
	v_dual_mov_b32 v3, v1 :: v_dual_mov_b32 v2, v0
	v_mov_b32_e32 v8, v0
	s_mov_b64 s[8:9], 0
.LBB1493_2:                             ; =>This Inner Loop Header: Depth=1
	global_load_b64 v[18:19], v[6:7], off
	global_load_b64 v[20:21], v[4:5], off
	s_add_u32 s8, s8, 8
	v_add_co_u32 v4, vcc_lo, v4, 64
	s_addc_u32 s9, s9, 0
	v_add_co_ci_u32_e32 v5, vcc_lo, 0, v5, vcc_lo
	v_cmp_ge_u64_e64 s10, s[8:9], s[4:5]
	v_add_co_u32 v6, vcc_lo, v6, 64
	v_add_co_ci_u32_e32 v7, vcc_lo, 0, v7, vcc_lo
	s_waitcnt vmcnt(1)
	ds_store_b64 v16, v[18:19]
	s_waitcnt vmcnt(0)
	ds_store_b64 v17, v[20:21]
	s_waitcnt lgkmcnt(0)
	s_barrier
	buffer_gl0_inv
	ds_load_2addr_b64 v[18:21], v14 offset1:16
	ds_load_b128 v[22:25], v15
	ds_load_b128 v[26:29], v15 offset:1024
	ds_load_b128 v[30:33], v15 offset:16
	;; [unrolled: 1-line block ×3, first 2 shown]
	s_and_b32 vcc_lo, exec_lo, s10
	s_waitcnt lgkmcnt(3)
	v_fma_f64 v[10:11], v[18:19], v[22:23], v[10:11]
	v_fma_f64 v[8:9], v[20:21], v[22:23], v[8:9]
	s_waitcnt lgkmcnt(2)
	v_fma_f64 v[18:19], v[18:19], v[26:27], v[2:3]
	v_fma_f64 v[20:21], v[20:21], v[26:27], v[0:1]
	ds_load_2addr_b64 v[0:3], v14 offset0:32 offset1:48
	s_waitcnt lgkmcnt(0)
	v_fma_f64 v[10:11], v[0:1], v[24:25], v[10:11]
	v_fma_f64 v[8:9], v[2:3], v[24:25], v[8:9]
	v_fma_f64 v[18:19], v[0:1], v[28:29], v[18:19]
	v_fma_f64 v[20:21], v[2:3], v[28:29], v[20:21]
	ds_load_2addr_b64 v[0:3], v14 offset0:64 offset1:80
	s_waitcnt lgkmcnt(0)
	v_fma_f64 v[10:11], v[0:1], v[30:31], v[10:11]
	v_fma_f64 v[8:9], v[2:3], v[30:31], v[8:9]
	;; [unrolled: 6-line block ×3, first 2 shown]
	v_fma_f64 v[34:35], v[0:1], v[36:37], v[18:19]
	v_fma_f64 v[36:37], v[2:3], v[36:37], v[20:21]
	ds_load_2addr_b64 v[0:3], v14 offset0:128 offset1:144
	ds_load_b128 v[8:11], v15 offset:32
	ds_load_b128 v[18:21], v15 offset:1056
	;; [unrolled: 1-line block ×4, first 2 shown]
	s_waitcnt lgkmcnt(3)
	v_fma_f64 v[30:31], v[0:1], v[8:9], v[30:31]
	v_fma_f64 v[8:9], v[2:3], v[8:9], v[32:33]
	s_waitcnt lgkmcnt(2)
	v_fma_f64 v[32:33], v[0:1], v[18:19], v[34:35]
	v_fma_f64 v[18:19], v[2:3], v[18:19], v[36:37]
	ds_load_2addr_b64 v[0:3], v14 offset0:160 offset1:176
	s_waitcnt lgkmcnt(0)
	v_fma_f64 v[30:31], v[0:1], v[10:11], v[30:31]
	v_fma_f64 v[8:9], v[2:3], v[10:11], v[8:9]
	;; [unrolled: 1-line block ×4, first 2 shown]
	ds_load_2addr_b64 v[0:3], v14 offset0:192 offset1:208
	s_waitcnt lgkmcnt(0)
	v_fma_f64 v[30:31], v[0:1], v[22:23], v[30:31]
	v_fma_f64 v[8:9], v[2:3], v[22:23], v[8:9]
	;; [unrolled: 1-line block ×4, first 2 shown]
	ds_load_2addr_b64 v[18:21], v14 offset0:224 offset1:240
	s_waitcnt lgkmcnt(0)
	s_barrier
	buffer_gl0_inv
	v_fma_f64 v[10:11], v[18:19], v[24:25], v[30:31]
	v_fma_f64 v[8:9], v[20:21], v[24:25], v[8:9]
	v_fma_f64 v[2:3], v[18:19], v[28:29], v[0:1]
	v_fma_f64 v[0:1], v[20:21], v[28:29], v[22:23]
	s_cbranch_vccz .LBB1493_2
.LBB1493_3:
	v_add_nc_u32_e32 v13, s17, v13
	s_load_b32 s4, s[0:1], 0x0
	s_delay_alu instid0(VALU_DEP_1) | instskip(SKIP_2) | instid1(VALU_DEP_3)
	v_ashrrev_i32_e32 v4, 31, v13
	v_mul_lo_u32 v7, v13, s19
	v_mad_u64_u32 v[5:6], null, v13, s18, 0
	v_mul_lo_u32 v4, v4, s18
	s_delay_alu instid0(VALU_DEP_1) | instskip(SKIP_3) | instid1(VALU_DEP_3)
	v_add3_u32 v6, v6, v7, v4
	v_add_nc_u32_e32 v4, s16, v12
	s_waitcnt lgkmcnt(0)
	v_cmp_gt_i32_e32 vcc_lo, s4, v13
	v_lshlrev_b64 v[5:6], 3, v[5:6]
	s_delay_alu instid0(VALU_DEP_3) | instskip(NEXT) | instid1(VALU_DEP_1)
	v_cmp_le_i32_e64 s0, v4, v13
	s_and_b32 s0, vcc_lo, s0
	s_delay_alu instid0(VALU_DEP_2) | instskip(NEXT) | instid1(VALU_DEP_1)
	v_add_co_u32 v12, s1, s2, v5
	v_add_co_ci_u32_e64 v14, s1, s3, v6, s1
	s_and_saveexec_b32 s1, s0
	s_cbranch_execz .LBB1493_5
; %bb.4:
	v_mul_f64 v[6:7], v[10:11], s[6:7]
	v_ashrrev_i32_e32 v5, 31, v4
	s_delay_alu instid0(VALU_DEP_1) | instskip(NEXT) | instid1(VALU_DEP_1)
	v_lshlrev_b64 v[10:11], 3, v[4:5]
	v_add_co_u32 v10, s0, v12, v10
	s_delay_alu instid0(VALU_DEP_1)
	v_add_co_ci_u32_e64 v11, s0, v14, v11, s0
	global_store_b64 v[10:11], v[6:7], off
.LBB1493_5:
	s_or_b32 exec_lo, exec_lo, s1
	v_add_nc_u32_e32 v6, 16, v4
	s_delay_alu instid0(VALU_DEP_1) | instskip(NEXT) | instid1(VALU_DEP_1)
	v_cmp_le_i32_e64 s0, v6, v13
	s_and_b32 s1, vcc_lo, s0
	s_delay_alu instid0(SALU_CYCLE_1)
	s_and_saveexec_b32 s0, s1
	s_cbranch_execz .LBB1493_7
; %bb.6:
	v_mul_f64 v[8:9], v[8:9], s[6:7]
	v_ashrrev_i32_e32 v7, 31, v6
	s_delay_alu instid0(VALU_DEP_1) | instskip(NEXT) | instid1(VALU_DEP_1)
	v_lshlrev_b64 v[10:11], 3, v[6:7]
	v_add_co_u32 v10, vcc_lo, v12, v10
	s_delay_alu instid0(VALU_DEP_2)
	v_add_co_ci_u32_e32 v11, vcc_lo, v14, v11, vcc_lo
	global_store_b64 v[10:11], v[8:9], off
.LBB1493_7:
	s_or_b32 exec_lo, exec_lo, s0
	v_add_nc_u32_e32 v7, 16, v13
	s_delay_alu instid0(VALU_DEP_1) | instskip(SKIP_3) | instid1(VALU_DEP_4)
	v_ashrrev_i32_e32 v5, 31, v7
	v_mul_lo_u32 v10, v7, s19
	v_mad_u64_u32 v[8:9], null, v7, s18, 0
	v_cmp_gt_i32_e32 vcc_lo, s4, v7
	v_mul_lo_u32 v5, v5, s18
	v_cmp_le_i32_e64 s0, v4, v7
	s_delay_alu instid0(VALU_DEP_1) | instskip(NEXT) | instid1(VALU_DEP_2)
	s_and_b32 s0, vcc_lo, s0
	v_add3_u32 v9, v9, v10, v5
	s_delay_alu instid0(VALU_DEP_1) | instskip(NEXT) | instid1(VALU_DEP_1)
	v_lshlrev_b64 v[8:9], 3, v[8:9]
	v_add_co_u32 v8, s1, s2, v8
	s_delay_alu instid0(VALU_DEP_1)
	v_add_co_ci_u32_e64 v9, s1, s3, v9, s1
	s_and_saveexec_b32 s1, s0
	s_cbranch_execz .LBB1493_9
; %bb.8:
	v_mul_f64 v[2:3], v[2:3], s[6:7]
	v_ashrrev_i32_e32 v5, 31, v4
	s_delay_alu instid0(VALU_DEP_1) | instskip(NEXT) | instid1(VALU_DEP_1)
	v_lshlrev_b64 v[4:5], 3, v[4:5]
	v_add_co_u32 v4, s0, v8, v4
	s_delay_alu instid0(VALU_DEP_1)
	v_add_co_ci_u32_e64 v5, s0, v9, v5, s0
	global_store_b64 v[4:5], v[2:3], off
.LBB1493_9:
	s_or_b32 exec_lo, exec_lo, s1
	v_cmp_le_i32_e64 s0, v6, v7
	s_delay_alu instid0(VALU_DEP_1) | instskip(NEXT) | instid1(SALU_CYCLE_1)
	s_and_b32 s0, vcc_lo, s0
	s_and_saveexec_b32 s1, s0
	s_cbranch_execz .LBB1493_11
; %bb.10:
	v_mul_f64 v[0:1], v[0:1], s[6:7]
	v_ashrrev_i32_e32 v7, 31, v6
	s_delay_alu instid0(VALU_DEP_1) | instskip(NEXT) | instid1(VALU_DEP_1)
	v_lshlrev_b64 v[2:3], 3, v[6:7]
	v_add_co_u32 v2, vcc_lo, v8, v2
	s_delay_alu instid0(VALU_DEP_2)
	v_add_co_ci_u32_e32 v3, vcc_lo, v9, v3, vcc_lo
	global_store_b64 v[2:3], v[0:1], off
.LBB1493_11:
	s_nop 0
	s_sendmsg sendmsg(MSG_DEALLOC_VGPRS)
	s_endpgm
	.section	.rodata,"a",@progbits
	.p2align	6, 0x0
	.amdhsa_kernel _ZL37rocblas_syrkx_herkx_restricted_kernelIldLi16ELi32ELi8ELb1ELb0ELc67ELc85EKPKdKPdEviT_T0_PT8_S5_lS8_S5_lS6_PT9_S5_li
		.amdhsa_group_segment_fixed_size 4096
		.amdhsa_private_segment_fixed_size 0
		.amdhsa_kernarg_size 108
		.amdhsa_user_sgpr_count 13
		.amdhsa_user_sgpr_dispatch_ptr 0
		.amdhsa_user_sgpr_queue_ptr 0
		.amdhsa_user_sgpr_kernarg_segment_ptr 1
		.amdhsa_user_sgpr_dispatch_id 0
		.amdhsa_user_sgpr_private_segment_size 0
		.amdhsa_wavefront_size32 1
		.amdhsa_uses_dynamic_stack 0
		.amdhsa_enable_private_segment 0
		.amdhsa_system_sgpr_workgroup_id_x 1
		.amdhsa_system_sgpr_workgroup_id_y 1
		.amdhsa_system_sgpr_workgroup_id_z 1
		.amdhsa_system_sgpr_workgroup_info 0
		.amdhsa_system_vgpr_workitem_id 1
		.amdhsa_next_free_vgpr 38
		.amdhsa_next_free_sgpr 22
		.amdhsa_reserve_vcc 1
		.amdhsa_float_round_mode_32 0
		.amdhsa_float_round_mode_16_64 0
		.amdhsa_float_denorm_mode_32 3
		.amdhsa_float_denorm_mode_16_64 3
		.amdhsa_dx10_clamp 1
		.amdhsa_ieee_mode 1
		.amdhsa_fp16_overflow 0
		.amdhsa_workgroup_processor_mode 1
		.amdhsa_memory_ordered 1
		.amdhsa_forward_progress 0
		.amdhsa_shared_vgpr_count 0
		.amdhsa_exception_fp_ieee_invalid_op 0
		.amdhsa_exception_fp_denorm_src 0
		.amdhsa_exception_fp_ieee_div_zero 0
		.amdhsa_exception_fp_ieee_overflow 0
		.amdhsa_exception_fp_ieee_underflow 0
		.amdhsa_exception_fp_ieee_inexact 0
		.amdhsa_exception_int_div_zero 0
	.end_amdhsa_kernel
	.section	.text._ZL37rocblas_syrkx_herkx_restricted_kernelIldLi16ELi32ELi8ELb1ELb0ELc67ELc85EKPKdKPdEviT_T0_PT8_S5_lS8_S5_lS6_PT9_S5_li,"axG",@progbits,_ZL37rocblas_syrkx_herkx_restricted_kernelIldLi16ELi32ELi8ELb1ELb0ELc67ELc85EKPKdKPdEviT_T0_PT8_S5_lS8_S5_lS6_PT9_S5_li,comdat
.Lfunc_end1493:
	.size	_ZL37rocblas_syrkx_herkx_restricted_kernelIldLi16ELi32ELi8ELb1ELb0ELc67ELc85EKPKdKPdEviT_T0_PT8_S5_lS8_S5_lS6_PT9_S5_li, .Lfunc_end1493-_ZL37rocblas_syrkx_herkx_restricted_kernelIldLi16ELi32ELi8ELb1ELb0ELc67ELc85EKPKdKPdEviT_T0_PT8_S5_lS8_S5_lS6_PT9_S5_li
                                        ; -- End function
	.section	.AMDGPU.csdata,"",@progbits
; Kernel info:
; codeLenInByte = 1480
; NumSgprs: 24
; NumVgprs: 38
; ScratchSize: 0
; MemoryBound: 0
; FloatMode: 240
; IeeeMode: 1
; LDSByteSize: 4096 bytes/workgroup (compile time only)
; SGPRBlocks: 2
; VGPRBlocks: 4
; NumSGPRsForWavesPerEU: 24
; NumVGPRsForWavesPerEU: 38
; Occupancy: 16
; WaveLimiterHint : 1
; COMPUTE_PGM_RSRC2:SCRATCH_EN: 0
; COMPUTE_PGM_RSRC2:USER_SGPR: 13
; COMPUTE_PGM_RSRC2:TRAP_HANDLER: 0
; COMPUTE_PGM_RSRC2:TGID_X_EN: 1
; COMPUTE_PGM_RSRC2:TGID_Y_EN: 1
; COMPUTE_PGM_RSRC2:TGID_Z_EN: 1
; COMPUTE_PGM_RSRC2:TIDIG_COMP_CNT: 1
	.section	.text._ZL37rocblas_syrkx_herkx_restricted_kernelIldLi16ELi32ELi8ELb1ELb0ELc78ELc85EKPKdKPdEviT_T0_PT8_S5_lS8_S5_lS6_PT9_S5_li,"axG",@progbits,_ZL37rocblas_syrkx_herkx_restricted_kernelIldLi16ELi32ELi8ELb1ELb0ELc78ELc85EKPKdKPdEviT_T0_PT8_S5_lS8_S5_lS6_PT9_S5_li,comdat
	.globl	_ZL37rocblas_syrkx_herkx_restricted_kernelIldLi16ELi32ELi8ELb1ELb0ELc78ELc85EKPKdKPdEviT_T0_PT8_S5_lS8_S5_lS6_PT9_S5_li ; -- Begin function _ZL37rocblas_syrkx_herkx_restricted_kernelIldLi16ELi32ELi8ELb1ELb0ELc78ELc85EKPKdKPdEviT_T0_PT8_S5_lS8_S5_lS6_PT9_S5_li
	.p2align	8
	.type	_ZL37rocblas_syrkx_herkx_restricted_kernelIldLi16ELi32ELi8ELb1ELb0ELc78ELc85EKPKdKPdEviT_T0_PT8_S5_lS8_S5_lS6_PT9_S5_li,@function
_ZL37rocblas_syrkx_herkx_restricted_kernelIldLi16ELi32ELi8ELb1ELb0ELc78ELc85EKPKdKPdEviT_T0_PT8_S5_lS8_S5_lS6_PT9_S5_li: ; @_ZL37rocblas_syrkx_herkx_restricted_kernelIldLi16ELi32ELi8ELb1ELb0ELc78ELc85EKPKdKPdEviT_T0_PT8_S5_lS8_S5_lS6_PT9_S5_li
; %bb.0:
	s_clause 0x1
	s_load_b128 s[16:19], s[0:1], 0x50
	s_load_b256 s[4:11], s[0:1], 0x8
	s_mov_b32 s2, s15
	s_mov_b32 s3, 0
	v_mov_b32_e32 v10, 0
	s_lshl_b64 s[20:21], s[2:3], 3
	v_dual_mov_b32 v11, 0 :: v_dual_and_b32 v12, 0x3ff, v0
	v_bfe_u32 v13, v0, 10, 10
	s_delay_alu instid0(VALU_DEP_3) | instskip(NEXT) | instid1(VALU_DEP_3)
	v_mov_b32_e32 v8, v10
	v_dual_mov_b32 v2, v10 :: v_dual_mov_b32 v3, v11
	v_dual_mov_b32 v9, v11 :: v_dual_mov_b32 v0, v10
	v_mov_b32_e32 v1, v11
	s_waitcnt lgkmcnt(0)
	s_add_u32 s2, s16, s20
	s_addc_u32 s3, s17, s21
	v_cmp_lt_i64_e64 s12, s[4:5], 1
	s_load_b64 s[2:3], s[2:3], 0x0
	s_lshl_b32 s16, s13, 5
	s_lshl_b32 s17, s14, 5
	s_delay_alu instid0(VALU_DEP_1)
	s_and_b32 vcc_lo, exec_lo, s12
	s_cbranch_vccnz .LBB1494_3
; %bb.1:
	s_load_b128 s[12:15], s[0:1], 0x30
	v_lshl_add_u32 v3, v13, 4, v12
	v_and_b32_e32 v15, 7, v12
	s_add_u32 s8, s8, s20
	s_addc_u32 s9, s9, s21
	s_delay_alu instid0(VALU_DEP_2) | instskip(SKIP_2) | instid1(VALU_DEP_2)
	v_lshrrev_b32_e32 v10, 3, v3
	v_lshrrev_b32_e32 v16, 5, v3
	s_load_b64 s[8:9], s[8:9], 0x0
	v_add_nc_u32_e32 v0, s17, v10
	s_delay_alu instid0(VALU_DEP_1) | instskip(SKIP_2) | instid1(VALU_DEP_1)
	v_ashrrev_i32_e32 v1, 31, v0
	s_waitcnt lgkmcnt(0)
	s_add_u32 s12, s12, s20
	v_mad_u64_u32 v[4:5], null, v15, s14, v[0:1]
	v_and_b32_e32 v11, 31, v3
	s_addc_u32 s13, s13, s21
	s_load_b64 s[12:13], s[12:13], 0x0
	s_delay_alu instid0(VALU_DEP_2) | instskip(NEXT) | instid1(VALU_DEP_2)
	v_mov_b32_e32 v0, v5
	v_add_nc_u32_e32 v2, s16, v11
	v_lshlrev_b32_e32 v11, 3, v11
	s_delay_alu instid0(VALU_DEP_2) | instskip(NEXT) | instid1(VALU_DEP_1)
	v_ashrrev_i32_e32 v3, 31, v2
	v_mad_u64_u32 v[6:7], null, v16, s10, v[2:3]
	s_delay_alu instid0(VALU_DEP_1) | instskip(SKIP_3) | instid1(VALU_DEP_4)
	v_mov_b32_e32 v2, v7
	v_mad_u64_u32 v[7:8], null, v15, s15, v[0:1]
	v_mov_b32_e32 v0, 0
	v_mov_b32_e32 v1, 0
	v_mad_u64_u32 v[8:9], null, v16, s11, v[2:3]
	v_lshlrev_b32_e32 v9, 3, v15
	s_delay_alu instid0(VALU_DEP_3) | instskip(SKIP_1) | instid1(VALU_DEP_3)
	v_dual_mov_b32 v3, v1 :: v_dual_lshlrev_b32 v14, 3, v12
	v_dual_mov_b32 v5, v7 :: v_dual_mov_b32 v2, v0
	v_lshl_or_b32 v10, v10, 6, v9
	v_mov_b32_e32 v7, v8
	v_lshl_or_b32 v16, v16, 8, v11
	s_delay_alu instid0(VALU_DEP_4)
	v_lshlrev_b64 v[4:5], 3, v[4:5]
	v_lshl_add_u32 v15, v13, 6, 0x800
	v_add_nc_u32_e32 v17, 0x800, v10
	v_lshlrev_b64 v[6:7], 3, v[6:7]
	v_dual_mov_b32 v11, v1 :: v_dual_mov_b32 v10, v0
	s_waitcnt lgkmcnt(0)
	v_add_co_u32 v4, vcc_lo, s12, v4
	v_add_co_ci_u32_e32 v5, vcc_lo, s13, v5, vcc_lo
	s_delay_alu instid0(VALU_DEP_4)
	v_add_co_u32 v6, vcc_lo, s8, v6
	v_dual_mov_b32 v9, v1 :: v_dual_mov_b32 v8, v0
	v_add_co_ci_u32_e32 v7, vcc_lo, s9, v7, vcc_lo
	s_lshl_b64 s[8:9], s[14:15], 6
	s_lshl_b64 s[10:11], s[10:11], 6
	s_mov_b64 s[12:13], 0
.LBB1494_2:                             ; =>This Inner Loop Header: Depth=1
	global_load_b64 v[18:19], v[6:7], off
	global_load_b64 v[20:21], v[4:5], off
	s_add_u32 s12, s12, 8
	v_add_co_u32 v4, vcc_lo, v4, s8
	s_addc_u32 s13, s13, 0
	v_add_co_ci_u32_e32 v5, vcc_lo, s9, v5, vcc_lo
	v_cmp_ge_u64_e64 s14, s[12:13], s[4:5]
	v_add_co_u32 v6, vcc_lo, v6, s10
	v_add_co_ci_u32_e32 v7, vcc_lo, s11, v7, vcc_lo
	s_waitcnt vmcnt(1)
	ds_store_b64 v16, v[18:19]
	s_waitcnt vmcnt(0)
	ds_store_b64 v17, v[20:21]
	s_waitcnt lgkmcnt(0)
	s_barrier
	buffer_gl0_inv
	ds_load_2addr_b64 v[18:21], v14 offset1:16
	ds_load_b128 v[22:25], v15
	ds_load_b128 v[26:29], v15 offset:1024
	ds_load_b128 v[30:33], v15 offset:16
	;; [unrolled: 1-line block ×3, first 2 shown]
	s_and_b32 vcc_lo, exec_lo, s14
	s_waitcnt lgkmcnt(3)
	v_fma_f64 v[10:11], v[18:19], v[22:23], v[10:11]
	v_fma_f64 v[8:9], v[20:21], v[22:23], v[8:9]
	s_waitcnt lgkmcnt(2)
	v_fma_f64 v[18:19], v[18:19], v[26:27], v[2:3]
	v_fma_f64 v[20:21], v[20:21], v[26:27], v[0:1]
	ds_load_2addr_b64 v[0:3], v14 offset0:32 offset1:48
	s_waitcnt lgkmcnt(0)
	v_fma_f64 v[10:11], v[0:1], v[24:25], v[10:11]
	v_fma_f64 v[8:9], v[2:3], v[24:25], v[8:9]
	v_fma_f64 v[18:19], v[0:1], v[28:29], v[18:19]
	v_fma_f64 v[20:21], v[2:3], v[28:29], v[20:21]
	ds_load_2addr_b64 v[0:3], v14 offset0:64 offset1:80
	s_waitcnt lgkmcnt(0)
	v_fma_f64 v[10:11], v[0:1], v[30:31], v[10:11]
	v_fma_f64 v[8:9], v[2:3], v[30:31], v[8:9]
	;; [unrolled: 6-line block ×3, first 2 shown]
	v_fma_f64 v[34:35], v[0:1], v[36:37], v[18:19]
	v_fma_f64 v[36:37], v[2:3], v[36:37], v[20:21]
	ds_load_2addr_b64 v[0:3], v14 offset0:128 offset1:144
	ds_load_b128 v[8:11], v15 offset:32
	ds_load_b128 v[18:21], v15 offset:1056
	;; [unrolled: 1-line block ×4, first 2 shown]
	s_waitcnt lgkmcnt(3)
	v_fma_f64 v[30:31], v[0:1], v[8:9], v[30:31]
	v_fma_f64 v[8:9], v[2:3], v[8:9], v[32:33]
	s_waitcnt lgkmcnt(2)
	v_fma_f64 v[32:33], v[0:1], v[18:19], v[34:35]
	v_fma_f64 v[18:19], v[2:3], v[18:19], v[36:37]
	ds_load_2addr_b64 v[0:3], v14 offset0:160 offset1:176
	s_waitcnt lgkmcnt(0)
	v_fma_f64 v[30:31], v[0:1], v[10:11], v[30:31]
	v_fma_f64 v[8:9], v[2:3], v[10:11], v[8:9]
	;; [unrolled: 1-line block ×4, first 2 shown]
	ds_load_2addr_b64 v[0:3], v14 offset0:192 offset1:208
	s_waitcnt lgkmcnt(0)
	v_fma_f64 v[30:31], v[0:1], v[22:23], v[30:31]
	v_fma_f64 v[8:9], v[2:3], v[22:23], v[8:9]
	;; [unrolled: 1-line block ×4, first 2 shown]
	ds_load_2addr_b64 v[18:21], v14 offset0:224 offset1:240
	s_waitcnt lgkmcnt(0)
	s_barrier
	buffer_gl0_inv
	v_fma_f64 v[10:11], v[18:19], v[24:25], v[30:31]
	v_fma_f64 v[8:9], v[20:21], v[24:25], v[8:9]
	;; [unrolled: 1-line block ×4, first 2 shown]
	s_cbranch_vccz .LBB1494_2
.LBB1494_3:
	v_add_nc_u32_e32 v13, s17, v13
	s_load_b32 s4, s[0:1], 0x0
	s_delay_alu instid0(VALU_DEP_1) | instskip(SKIP_2) | instid1(VALU_DEP_3)
	v_ashrrev_i32_e32 v4, 31, v13
	v_mul_lo_u32 v7, v13, s19
	v_mad_u64_u32 v[5:6], null, v13, s18, 0
	v_mul_lo_u32 v4, v4, s18
	s_delay_alu instid0(VALU_DEP_1) | instskip(SKIP_3) | instid1(VALU_DEP_3)
	v_add3_u32 v6, v6, v7, v4
	v_add_nc_u32_e32 v4, s16, v12
	s_waitcnt lgkmcnt(0)
	v_cmp_gt_i32_e32 vcc_lo, s4, v13
	v_lshlrev_b64 v[5:6], 3, v[5:6]
	s_delay_alu instid0(VALU_DEP_3) | instskip(NEXT) | instid1(VALU_DEP_1)
	v_cmp_le_i32_e64 s0, v4, v13
	s_and_b32 s0, vcc_lo, s0
	s_delay_alu instid0(VALU_DEP_2) | instskip(NEXT) | instid1(VALU_DEP_1)
	v_add_co_u32 v12, s1, s2, v5
	v_add_co_ci_u32_e64 v14, s1, s3, v6, s1
	s_and_saveexec_b32 s1, s0
	s_cbranch_execz .LBB1494_5
; %bb.4:
	v_mul_f64 v[6:7], v[10:11], s[6:7]
	v_ashrrev_i32_e32 v5, 31, v4
	s_delay_alu instid0(VALU_DEP_1) | instskip(NEXT) | instid1(VALU_DEP_1)
	v_lshlrev_b64 v[10:11], 3, v[4:5]
	v_add_co_u32 v10, s0, v12, v10
	s_delay_alu instid0(VALU_DEP_1)
	v_add_co_ci_u32_e64 v11, s0, v14, v11, s0
	global_store_b64 v[10:11], v[6:7], off
.LBB1494_5:
	s_or_b32 exec_lo, exec_lo, s1
	v_add_nc_u32_e32 v6, 16, v4
	s_delay_alu instid0(VALU_DEP_1) | instskip(NEXT) | instid1(VALU_DEP_1)
	v_cmp_le_i32_e64 s0, v6, v13
	s_and_b32 s1, vcc_lo, s0
	s_delay_alu instid0(SALU_CYCLE_1)
	s_and_saveexec_b32 s0, s1
	s_cbranch_execz .LBB1494_7
; %bb.6:
	v_mul_f64 v[8:9], v[8:9], s[6:7]
	v_ashrrev_i32_e32 v7, 31, v6
	s_delay_alu instid0(VALU_DEP_1) | instskip(NEXT) | instid1(VALU_DEP_1)
	v_lshlrev_b64 v[10:11], 3, v[6:7]
	v_add_co_u32 v10, vcc_lo, v12, v10
	s_delay_alu instid0(VALU_DEP_2)
	v_add_co_ci_u32_e32 v11, vcc_lo, v14, v11, vcc_lo
	global_store_b64 v[10:11], v[8:9], off
.LBB1494_7:
	s_or_b32 exec_lo, exec_lo, s0
	v_add_nc_u32_e32 v7, 16, v13
	s_delay_alu instid0(VALU_DEP_1) | instskip(SKIP_3) | instid1(VALU_DEP_4)
	v_ashrrev_i32_e32 v5, 31, v7
	v_mul_lo_u32 v10, v7, s19
	v_mad_u64_u32 v[8:9], null, v7, s18, 0
	v_cmp_gt_i32_e32 vcc_lo, s4, v7
	v_mul_lo_u32 v5, v5, s18
	v_cmp_le_i32_e64 s0, v4, v7
	s_delay_alu instid0(VALU_DEP_1) | instskip(NEXT) | instid1(VALU_DEP_2)
	s_and_b32 s0, vcc_lo, s0
	v_add3_u32 v9, v9, v10, v5
	s_delay_alu instid0(VALU_DEP_1) | instskip(NEXT) | instid1(VALU_DEP_1)
	v_lshlrev_b64 v[8:9], 3, v[8:9]
	v_add_co_u32 v8, s1, s2, v8
	s_delay_alu instid0(VALU_DEP_1)
	v_add_co_ci_u32_e64 v9, s1, s3, v9, s1
	s_and_saveexec_b32 s1, s0
	s_cbranch_execz .LBB1494_9
; %bb.8:
	v_mul_f64 v[2:3], v[2:3], s[6:7]
	v_ashrrev_i32_e32 v5, 31, v4
	s_delay_alu instid0(VALU_DEP_1) | instskip(NEXT) | instid1(VALU_DEP_1)
	v_lshlrev_b64 v[4:5], 3, v[4:5]
	v_add_co_u32 v4, s0, v8, v4
	s_delay_alu instid0(VALU_DEP_1)
	v_add_co_ci_u32_e64 v5, s0, v9, v5, s0
	global_store_b64 v[4:5], v[2:3], off
.LBB1494_9:
	s_or_b32 exec_lo, exec_lo, s1
	v_cmp_le_i32_e64 s0, v6, v7
	s_delay_alu instid0(VALU_DEP_1) | instskip(NEXT) | instid1(SALU_CYCLE_1)
	s_and_b32 s0, vcc_lo, s0
	s_and_saveexec_b32 s1, s0
	s_cbranch_execz .LBB1494_11
; %bb.10:
	v_mul_f64 v[0:1], v[0:1], s[6:7]
	v_ashrrev_i32_e32 v7, 31, v6
	s_delay_alu instid0(VALU_DEP_1) | instskip(NEXT) | instid1(VALU_DEP_1)
	v_lshlrev_b64 v[2:3], 3, v[6:7]
	v_add_co_u32 v2, vcc_lo, v8, v2
	s_delay_alu instid0(VALU_DEP_2)
	v_add_co_ci_u32_e32 v3, vcc_lo, v9, v3, vcc_lo
	global_store_b64 v[2:3], v[0:1], off
.LBB1494_11:
	s_nop 0
	s_sendmsg sendmsg(MSG_DEALLOC_VGPRS)
	s_endpgm
	.section	.rodata,"a",@progbits
	.p2align	6, 0x0
	.amdhsa_kernel _ZL37rocblas_syrkx_herkx_restricted_kernelIldLi16ELi32ELi8ELb1ELb0ELc78ELc85EKPKdKPdEviT_T0_PT8_S5_lS8_S5_lS6_PT9_S5_li
		.amdhsa_group_segment_fixed_size 4096
		.amdhsa_private_segment_fixed_size 0
		.amdhsa_kernarg_size 108
		.amdhsa_user_sgpr_count 13
		.amdhsa_user_sgpr_dispatch_ptr 0
		.amdhsa_user_sgpr_queue_ptr 0
		.amdhsa_user_sgpr_kernarg_segment_ptr 1
		.amdhsa_user_sgpr_dispatch_id 0
		.amdhsa_user_sgpr_private_segment_size 0
		.amdhsa_wavefront_size32 1
		.amdhsa_uses_dynamic_stack 0
		.amdhsa_enable_private_segment 0
		.amdhsa_system_sgpr_workgroup_id_x 1
		.amdhsa_system_sgpr_workgroup_id_y 1
		.amdhsa_system_sgpr_workgroup_id_z 1
		.amdhsa_system_sgpr_workgroup_info 0
		.amdhsa_system_vgpr_workitem_id 1
		.amdhsa_next_free_vgpr 38
		.amdhsa_next_free_sgpr 22
		.amdhsa_reserve_vcc 1
		.amdhsa_float_round_mode_32 0
		.amdhsa_float_round_mode_16_64 0
		.amdhsa_float_denorm_mode_32 3
		.amdhsa_float_denorm_mode_16_64 3
		.amdhsa_dx10_clamp 1
		.amdhsa_ieee_mode 1
		.amdhsa_fp16_overflow 0
		.amdhsa_workgroup_processor_mode 1
		.amdhsa_memory_ordered 1
		.amdhsa_forward_progress 0
		.amdhsa_shared_vgpr_count 0
		.amdhsa_exception_fp_ieee_invalid_op 0
		.amdhsa_exception_fp_denorm_src 0
		.amdhsa_exception_fp_ieee_div_zero 0
		.amdhsa_exception_fp_ieee_overflow 0
		.amdhsa_exception_fp_ieee_underflow 0
		.amdhsa_exception_fp_ieee_inexact 0
		.amdhsa_exception_int_div_zero 0
	.end_amdhsa_kernel
	.section	.text._ZL37rocblas_syrkx_herkx_restricted_kernelIldLi16ELi32ELi8ELb1ELb0ELc78ELc85EKPKdKPdEviT_T0_PT8_S5_lS8_S5_lS6_PT9_S5_li,"axG",@progbits,_ZL37rocblas_syrkx_herkx_restricted_kernelIldLi16ELi32ELi8ELb1ELb0ELc78ELc85EKPKdKPdEviT_T0_PT8_S5_lS8_S5_lS6_PT9_S5_li,comdat
.Lfunc_end1494:
	.size	_ZL37rocblas_syrkx_herkx_restricted_kernelIldLi16ELi32ELi8ELb1ELb0ELc78ELc85EKPKdKPdEviT_T0_PT8_S5_lS8_S5_lS6_PT9_S5_li, .Lfunc_end1494-_ZL37rocblas_syrkx_herkx_restricted_kernelIldLi16ELi32ELi8ELb1ELb0ELc78ELc85EKPKdKPdEviT_T0_PT8_S5_lS8_S5_lS6_PT9_S5_li
                                        ; -- End function
	.section	.AMDGPU.csdata,"",@progbits
; Kernel info:
; codeLenInByte = 1476
; NumSgprs: 24
; NumVgprs: 38
; ScratchSize: 0
; MemoryBound: 0
; FloatMode: 240
; IeeeMode: 1
; LDSByteSize: 4096 bytes/workgroup (compile time only)
; SGPRBlocks: 2
; VGPRBlocks: 4
; NumSGPRsForWavesPerEU: 24
; NumVGPRsForWavesPerEU: 38
; Occupancy: 16
; WaveLimiterHint : 1
; COMPUTE_PGM_RSRC2:SCRATCH_EN: 0
; COMPUTE_PGM_RSRC2:USER_SGPR: 13
; COMPUTE_PGM_RSRC2:TRAP_HANDLER: 0
; COMPUTE_PGM_RSRC2:TGID_X_EN: 1
; COMPUTE_PGM_RSRC2:TGID_Y_EN: 1
; COMPUTE_PGM_RSRC2:TGID_Z_EN: 1
; COMPUTE_PGM_RSRC2:TIDIG_COMP_CNT: 1
	.section	.text._ZL37rocblas_syrkx_herkx_restricted_kernelIldLi16ELi32ELi8ELb0ELb0ELc84ELc76EKPKdKPdEviT_T0_PT8_S5_lS8_S5_lS6_PT9_S5_li,"axG",@progbits,_ZL37rocblas_syrkx_herkx_restricted_kernelIldLi16ELi32ELi8ELb0ELb0ELc84ELc76EKPKdKPdEviT_T0_PT8_S5_lS8_S5_lS6_PT9_S5_li,comdat
	.globl	_ZL37rocblas_syrkx_herkx_restricted_kernelIldLi16ELi32ELi8ELb0ELb0ELc84ELc76EKPKdKPdEviT_T0_PT8_S5_lS8_S5_lS6_PT9_S5_li ; -- Begin function _ZL37rocblas_syrkx_herkx_restricted_kernelIldLi16ELi32ELi8ELb0ELb0ELc84ELc76EKPKdKPdEviT_T0_PT8_S5_lS8_S5_lS6_PT9_S5_li
	.p2align	8
	.type	_ZL37rocblas_syrkx_herkx_restricted_kernelIldLi16ELi32ELi8ELb0ELb0ELc84ELc76EKPKdKPdEviT_T0_PT8_S5_lS8_S5_lS6_PT9_S5_li,@function
_ZL37rocblas_syrkx_herkx_restricted_kernelIldLi16ELi32ELi8ELb0ELb0ELc84ELc76EKPKdKPdEviT_T0_PT8_S5_lS8_S5_lS6_PT9_S5_li: ; @_ZL37rocblas_syrkx_herkx_restricted_kernelIldLi16ELi32ELi8ELb0ELb0ELc84ELc76EKPKdKPdEviT_T0_PT8_S5_lS8_S5_lS6_PT9_S5_li
; %bb.0:
	s_clause 0x1
	s_load_b128 s[16:19], s[0:1], 0x48
	s_load_b256 s[4:11], s[0:1], 0x8
	s_mov_b32 s2, s15
	s_mov_b32 s3, 0
	v_mov_b32_e32 v10, 0
	s_lshl_b64 s[20:21], s[2:3], 3
	v_dual_mov_b32 v11, 0 :: v_dual_and_b32 v12, 0x3ff, v0
	v_bfe_u32 v13, v0, 10, 10
	s_delay_alu instid0(VALU_DEP_3) | instskip(NEXT) | instid1(VALU_DEP_3)
	v_mov_b32_e32 v8, v10
	v_dual_mov_b32 v2, v10 :: v_dual_mov_b32 v3, v11
	v_dual_mov_b32 v9, v11 :: v_dual_mov_b32 v0, v10
	v_mov_b32_e32 v1, v11
	s_waitcnt lgkmcnt(0)
	s_add_u32 s2, s18, s20
	s_addc_u32 s3, s19, s21
	s_load_b64 s[18:19], s[0:1], 0x58
	s_load_b64 s[2:3], s[2:3], 0x0
	v_cmp_lt_i64_e64 s12, s[4:5], 1
	s_lshl_b32 s22, s13, 5
	s_lshl_b32 s23, s14, 5
	s_delay_alu instid0(VALU_DEP_1)
	s_and_b32 vcc_lo, exec_lo, s12
	s_cbranch_vccnz .LBB1495_3
; %bb.1:
	s_load_b128 s[12:15], s[0:1], 0x30
	v_lshl_add_u32 v2, v13, 4, v12
	v_dual_mov_b32 v1, 0 :: v_dual_and_b32 v0, 7, v12
	s_add_u32 s8, s8, s20
	s_addc_u32 s9, s9, s21
	s_delay_alu instid0(VALU_DEP_2) | instskip(SKIP_3) | instid1(VALU_DEP_3)
	v_lshrrev_b32_e32 v8, 3, v2
	v_and_b32_e32 v9, 31, v2
	v_lshrrev_b32_e32 v2, 5, v2
	s_load_b64 s[8:9], s[8:9], 0x0
	v_dual_mov_b32 v3, v1 :: v_dual_add_nc_u32 v6, s23, v8
	s_delay_alu instid0(VALU_DEP_3) | instskip(NEXT) | instid1(VALU_DEP_2)
	v_add_nc_u32_e32 v10, s22, v9
	v_ashrrev_i32_e32 v4, 31, v6
	s_delay_alu instid0(VALU_DEP_2)
	v_ashrrev_i32_e32 v11, 31, v10
	s_waitcnt lgkmcnt(0)
	s_add_u32 s12, s12, s20
	s_addc_u32 s13, s13, s21
	v_mul_lo_u32 v15, v4, s14
	s_load_b64 s[12:13], s[12:13], 0x0
	v_mul_lo_u32 v16, v6, s15
	v_mad_u64_u32 v[4:5], null, v6, s14, v[0:1]
	v_mad_u64_u32 v[6:7], null, s10, v10, v[2:3]
	v_mul_lo_u32 v1, s11, v10
	v_mul_lo_u32 v3, s10, v11
	v_lshlrev_b32_e32 v0, 3, v0
	v_add3_u32 v5, v15, v5, v16
	v_lshl_add_u32 v15, v13, 6, 0x800
	s_delay_alu instid0(VALU_DEP_3)
	v_lshl_or_b32 v8, v8, 6, v0
	v_add3_u32 v7, v1, v7, v3
	v_mov_b32_e32 v0, 0
	v_mov_b32_e32 v1, 0
	v_lshlrev_b32_e32 v9, 3, v9
	v_lshlrev_b64 v[4:5], 3, v[4:5]
	v_lshlrev_b32_e32 v14, 3, v12
	v_add_nc_u32_e32 v17, 0x800, v8
	v_mov_b32_e32 v11, v1
	v_lshl_or_b32 v16, v2, 8, v9
	v_lshlrev_b64 v[2:3], 3, v[6:7]
	s_waitcnt lgkmcnt(0)
	v_add_co_u32 v4, vcc_lo, s12, v4
	v_add_co_ci_u32_e32 v5, vcc_lo, s13, v5, vcc_lo
	v_dual_mov_b32 v9, v1 :: v_dual_mov_b32 v10, v0
	s_delay_alu instid0(VALU_DEP_4)
	v_add_co_u32 v6, vcc_lo, s8, v2
	v_add_co_ci_u32_e32 v7, vcc_lo, s9, v3, vcc_lo
	v_dual_mov_b32 v3, v1 :: v_dual_mov_b32 v2, v0
	v_mov_b32_e32 v8, v0
	s_mov_b64 s[8:9], 0
.LBB1495_2:                             ; =>This Inner Loop Header: Depth=1
	global_load_b64 v[18:19], v[6:7], off
	global_load_b64 v[20:21], v[4:5], off
	s_add_u32 s8, s8, 8
	v_add_co_u32 v4, vcc_lo, v4, 64
	s_addc_u32 s9, s9, 0
	v_add_co_ci_u32_e32 v5, vcc_lo, 0, v5, vcc_lo
	v_cmp_ge_u64_e64 s10, s[8:9], s[4:5]
	v_add_co_u32 v6, vcc_lo, v6, 64
	v_add_co_ci_u32_e32 v7, vcc_lo, 0, v7, vcc_lo
	s_waitcnt vmcnt(1)
	ds_store_b64 v16, v[18:19]
	s_waitcnt vmcnt(0)
	ds_store_b64 v17, v[20:21]
	s_waitcnt lgkmcnt(0)
	s_barrier
	buffer_gl0_inv
	ds_load_2addr_b64 v[18:21], v14 offset1:16
	ds_load_b128 v[22:25], v15
	ds_load_b128 v[26:29], v15 offset:1024
	ds_load_b128 v[30:33], v15 offset:16
	;; [unrolled: 1-line block ×3, first 2 shown]
	s_and_b32 vcc_lo, exec_lo, s10
	s_waitcnt lgkmcnt(3)
	v_fma_f64 v[10:11], v[18:19], v[22:23], v[10:11]
	v_fma_f64 v[8:9], v[20:21], v[22:23], v[8:9]
	s_waitcnt lgkmcnt(2)
	v_fma_f64 v[18:19], v[18:19], v[26:27], v[2:3]
	v_fma_f64 v[20:21], v[20:21], v[26:27], v[0:1]
	ds_load_2addr_b64 v[0:3], v14 offset0:32 offset1:48
	s_waitcnt lgkmcnt(0)
	v_fma_f64 v[10:11], v[0:1], v[24:25], v[10:11]
	v_fma_f64 v[8:9], v[2:3], v[24:25], v[8:9]
	v_fma_f64 v[18:19], v[0:1], v[28:29], v[18:19]
	v_fma_f64 v[20:21], v[2:3], v[28:29], v[20:21]
	ds_load_2addr_b64 v[0:3], v14 offset0:64 offset1:80
	s_waitcnt lgkmcnt(0)
	v_fma_f64 v[10:11], v[0:1], v[30:31], v[10:11]
	v_fma_f64 v[8:9], v[2:3], v[30:31], v[8:9]
	;; [unrolled: 6-line block ×3, first 2 shown]
	v_fma_f64 v[34:35], v[0:1], v[36:37], v[18:19]
	v_fma_f64 v[36:37], v[2:3], v[36:37], v[20:21]
	ds_load_2addr_b64 v[0:3], v14 offset0:128 offset1:144
	ds_load_b128 v[8:11], v15 offset:32
	ds_load_b128 v[18:21], v15 offset:1056
	;; [unrolled: 1-line block ×4, first 2 shown]
	s_waitcnt lgkmcnt(3)
	v_fma_f64 v[30:31], v[0:1], v[8:9], v[30:31]
	v_fma_f64 v[8:9], v[2:3], v[8:9], v[32:33]
	s_waitcnt lgkmcnt(2)
	v_fma_f64 v[32:33], v[0:1], v[18:19], v[34:35]
	v_fma_f64 v[18:19], v[2:3], v[18:19], v[36:37]
	ds_load_2addr_b64 v[0:3], v14 offset0:160 offset1:176
	s_waitcnt lgkmcnt(0)
	v_fma_f64 v[30:31], v[0:1], v[10:11], v[30:31]
	v_fma_f64 v[8:9], v[2:3], v[10:11], v[8:9]
	;; [unrolled: 1-line block ×4, first 2 shown]
	ds_load_2addr_b64 v[0:3], v14 offset0:192 offset1:208
	s_waitcnt lgkmcnt(0)
	v_fma_f64 v[30:31], v[0:1], v[22:23], v[30:31]
	v_fma_f64 v[8:9], v[2:3], v[22:23], v[8:9]
	;; [unrolled: 1-line block ×4, first 2 shown]
	ds_load_2addr_b64 v[18:21], v14 offset0:224 offset1:240
	s_waitcnt lgkmcnt(0)
	s_barrier
	buffer_gl0_inv
	v_fma_f64 v[10:11], v[18:19], v[24:25], v[30:31]
	v_fma_f64 v[8:9], v[20:21], v[24:25], v[8:9]
	;; [unrolled: 1-line block ×4, first 2 shown]
	s_cbranch_vccz .LBB1495_2
.LBB1495_3:
	v_add_nc_u32_e32 v13, s23, v13
	s_load_b32 s4, s[0:1], 0x0
	s_delay_alu instid0(VALU_DEP_1) | instskip(SKIP_3) | instid1(VALU_DEP_3)
	v_ashrrev_i32_e32 v4, 31, v13
	s_waitcnt lgkmcnt(0)
	v_mul_lo_u32 v7, v13, s19
	v_mad_u64_u32 v[5:6], null, v13, s18, 0
	v_mul_lo_u32 v4, v4, s18
	s_delay_alu instid0(VALU_DEP_1) | instskip(SKIP_1) | instid1(VALU_DEP_2)
	v_add3_u32 v6, v6, v7, v4
	v_add_nc_u32_e32 v4, s22, v12
	v_lshlrev_b64 v[5:6], 3, v[5:6]
	s_delay_alu instid0(VALU_DEP_2) | instskip(SKIP_1) | instid1(VALU_DEP_3)
	v_cmp_le_i32_e64 s0, v13, v4
	v_cmp_gt_i32_e32 vcc_lo, s4, v4
	v_add_co_u32 v12, s1, s2, v5
	s_delay_alu instid0(VALU_DEP_1) | instskip(NEXT) | instid1(VALU_DEP_4)
	v_add_co_ci_u32_e64 v14, s1, s3, v6, s1
	s_and_b32 s0, s0, vcc_lo
	s_delay_alu instid0(SALU_CYCLE_1)
	s_and_saveexec_b32 s1, s0
	s_cbranch_execz .LBB1495_5
; %bb.4:
	v_ashrrev_i32_e32 v5, 31, v4
	s_delay_alu instid0(VALU_DEP_1) | instskip(NEXT) | instid1(VALU_DEP_1)
	v_lshlrev_b64 v[5:6], 3, v[4:5]
	v_add_co_u32 v5, s0, v12, v5
	s_delay_alu instid0(VALU_DEP_1) | instskip(SKIP_3) | instid1(VALU_DEP_1)
	v_add_co_ci_u32_e64 v6, s0, v14, v6, s0
	global_load_b64 v[15:16], v[5:6], off
	s_waitcnt vmcnt(0)
	v_mul_f64 v[15:16], v[15:16], s[16:17]
	v_fma_f64 v[10:11], v[10:11], s[6:7], v[15:16]
	global_store_b64 v[5:6], v[10:11], off
.LBB1495_5:
	s_or_b32 exec_lo, exec_lo, s1
	v_add_nc_u32_e32 v6, 16, v4
	s_delay_alu instid0(VALU_DEP_1) | instskip(SKIP_1) | instid1(VALU_DEP_1)
	v_cmp_le_i32_e64 s1, v13, v6
	v_cmp_gt_i32_e64 s0, s4, v6
	s_and_b32 s1, s1, s0
	s_delay_alu instid0(SALU_CYCLE_1)
	s_and_saveexec_b32 s4, s1
	s_cbranch_execz .LBB1495_7
; %bb.6:
	v_ashrrev_i32_e32 v7, 31, v6
	s_delay_alu instid0(VALU_DEP_1) | instskip(NEXT) | instid1(VALU_DEP_1)
	v_lshlrev_b64 v[10:11], 3, v[6:7]
	v_add_co_u32 v10, s1, v12, v10
	s_delay_alu instid0(VALU_DEP_1) | instskip(SKIP_3) | instid1(VALU_DEP_1)
	v_add_co_ci_u32_e64 v11, s1, v14, v11, s1
	global_load_b64 v[14:15], v[10:11], off
	s_waitcnt vmcnt(0)
	v_mul_f64 v[14:15], v[14:15], s[16:17]
	v_fma_f64 v[7:8], v[8:9], s[6:7], v[14:15]
	global_store_b64 v[10:11], v[7:8], off
.LBB1495_7:
	s_or_b32 exec_lo, exec_lo, s4
	v_add_nc_u32_e32 v7, 16, v13
	s_delay_alu instid0(VALU_DEP_1) | instskip(SKIP_3) | instid1(VALU_DEP_4)
	v_ashrrev_i32_e32 v5, 31, v7
	v_mul_lo_u32 v10, v7, s19
	v_mad_u64_u32 v[8:9], null, v7, s18, 0
	v_cmp_le_i32_e64 s1, v7, v4
	v_mul_lo_u32 v5, v5, s18
	s_delay_alu instid0(VALU_DEP_1) | instskip(NEXT) | instid1(VALU_DEP_1)
	v_add3_u32 v9, v9, v10, v5
	v_lshlrev_b64 v[8:9], 3, v[8:9]
	s_delay_alu instid0(VALU_DEP_1) | instskip(NEXT) | instid1(VALU_DEP_1)
	v_add_co_u32 v8, s2, s2, v8
	v_add_co_ci_u32_e64 v9, s2, s3, v9, s2
	s_and_b32 s2, s1, vcc_lo
	s_delay_alu instid0(SALU_CYCLE_1)
	s_and_saveexec_b32 s1, s2
	s_cbranch_execz .LBB1495_9
; %bb.8:
	v_ashrrev_i32_e32 v5, 31, v4
	s_delay_alu instid0(VALU_DEP_1) | instskip(NEXT) | instid1(VALU_DEP_1)
	v_lshlrev_b64 v[4:5], 3, v[4:5]
	v_add_co_u32 v4, vcc_lo, v8, v4
	s_delay_alu instid0(VALU_DEP_2) | instskip(SKIP_3) | instid1(VALU_DEP_1)
	v_add_co_ci_u32_e32 v5, vcc_lo, v9, v5, vcc_lo
	global_load_b64 v[10:11], v[4:5], off
	s_waitcnt vmcnt(0)
	v_mul_f64 v[10:11], v[10:11], s[16:17]
	v_fma_f64 v[2:3], v[2:3], s[6:7], v[10:11]
	global_store_b64 v[4:5], v[2:3], off
.LBB1495_9:
	s_or_b32 exec_lo, exec_lo, s1
	v_cmp_le_i32_e32 vcc_lo, v7, v6
	s_and_b32 s0, vcc_lo, s0
	s_delay_alu instid0(SALU_CYCLE_1)
	s_and_saveexec_b32 s1, s0
	s_cbranch_execz .LBB1495_11
; %bb.10:
	v_ashrrev_i32_e32 v7, 31, v6
	s_delay_alu instid0(VALU_DEP_1) | instskip(NEXT) | instid1(VALU_DEP_1)
	v_lshlrev_b64 v[2:3], 3, v[6:7]
	v_add_co_u32 v2, vcc_lo, v8, v2
	s_delay_alu instid0(VALU_DEP_2) | instskip(SKIP_3) | instid1(VALU_DEP_1)
	v_add_co_ci_u32_e32 v3, vcc_lo, v9, v3, vcc_lo
	global_load_b64 v[4:5], v[2:3], off
	s_waitcnt vmcnt(0)
	v_mul_f64 v[4:5], v[4:5], s[16:17]
	v_fma_f64 v[0:1], v[0:1], s[6:7], v[4:5]
	global_store_b64 v[2:3], v[0:1], off
.LBB1495_11:
	s_nop 0
	s_sendmsg sendmsg(MSG_DEALLOC_VGPRS)
	s_endpgm
	.section	.rodata,"a",@progbits
	.p2align	6, 0x0
	.amdhsa_kernel _ZL37rocblas_syrkx_herkx_restricted_kernelIldLi16ELi32ELi8ELb0ELb0ELc84ELc76EKPKdKPdEviT_T0_PT8_S5_lS8_S5_lS6_PT9_S5_li
		.amdhsa_group_segment_fixed_size 4096
		.amdhsa_private_segment_fixed_size 0
		.amdhsa_kernarg_size 108
		.amdhsa_user_sgpr_count 13
		.amdhsa_user_sgpr_dispatch_ptr 0
		.amdhsa_user_sgpr_queue_ptr 0
		.amdhsa_user_sgpr_kernarg_segment_ptr 1
		.amdhsa_user_sgpr_dispatch_id 0
		.amdhsa_user_sgpr_private_segment_size 0
		.amdhsa_wavefront_size32 1
		.amdhsa_uses_dynamic_stack 0
		.amdhsa_enable_private_segment 0
		.amdhsa_system_sgpr_workgroup_id_x 1
		.amdhsa_system_sgpr_workgroup_id_y 1
		.amdhsa_system_sgpr_workgroup_id_z 1
		.amdhsa_system_sgpr_workgroup_info 0
		.amdhsa_system_vgpr_workitem_id 1
		.amdhsa_next_free_vgpr 38
		.amdhsa_next_free_sgpr 24
		.amdhsa_reserve_vcc 1
		.amdhsa_float_round_mode_32 0
		.amdhsa_float_round_mode_16_64 0
		.amdhsa_float_denorm_mode_32 3
		.amdhsa_float_denorm_mode_16_64 3
		.amdhsa_dx10_clamp 1
		.amdhsa_ieee_mode 1
		.amdhsa_fp16_overflow 0
		.amdhsa_workgroup_processor_mode 1
		.amdhsa_memory_ordered 1
		.amdhsa_forward_progress 0
		.amdhsa_shared_vgpr_count 0
		.amdhsa_exception_fp_ieee_invalid_op 0
		.amdhsa_exception_fp_denorm_src 0
		.amdhsa_exception_fp_ieee_div_zero 0
		.amdhsa_exception_fp_ieee_overflow 0
		.amdhsa_exception_fp_ieee_underflow 0
		.amdhsa_exception_fp_ieee_inexact 0
		.amdhsa_exception_int_div_zero 0
	.end_amdhsa_kernel
	.section	.text._ZL37rocblas_syrkx_herkx_restricted_kernelIldLi16ELi32ELi8ELb0ELb0ELc84ELc76EKPKdKPdEviT_T0_PT8_S5_lS8_S5_lS6_PT9_S5_li,"axG",@progbits,_ZL37rocblas_syrkx_herkx_restricted_kernelIldLi16ELi32ELi8ELb0ELb0ELc84ELc76EKPKdKPdEviT_T0_PT8_S5_lS8_S5_lS6_PT9_S5_li,comdat
.Lfunc_end1495:
	.size	_ZL37rocblas_syrkx_herkx_restricted_kernelIldLi16ELi32ELi8ELb0ELb0ELc84ELc76EKPKdKPdEviT_T0_PT8_S5_lS8_S5_lS6_PT9_S5_li, .Lfunc_end1495-_ZL37rocblas_syrkx_herkx_restricted_kernelIldLi16ELi32ELi8ELb0ELb0ELc84ELc76EKPKdKPdEviT_T0_PT8_S5_lS8_S5_lS6_PT9_S5_li
                                        ; -- End function
	.section	.AMDGPU.csdata,"",@progbits
; Kernel info:
; codeLenInByte = 1572
; NumSgprs: 26
; NumVgprs: 38
; ScratchSize: 0
; MemoryBound: 0
; FloatMode: 240
; IeeeMode: 1
; LDSByteSize: 4096 bytes/workgroup (compile time only)
; SGPRBlocks: 3
; VGPRBlocks: 4
; NumSGPRsForWavesPerEU: 26
; NumVGPRsForWavesPerEU: 38
; Occupancy: 16
; WaveLimiterHint : 1
; COMPUTE_PGM_RSRC2:SCRATCH_EN: 0
; COMPUTE_PGM_RSRC2:USER_SGPR: 13
; COMPUTE_PGM_RSRC2:TRAP_HANDLER: 0
; COMPUTE_PGM_RSRC2:TGID_X_EN: 1
; COMPUTE_PGM_RSRC2:TGID_Y_EN: 1
; COMPUTE_PGM_RSRC2:TGID_Z_EN: 1
; COMPUTE_PGM_RSRC2:TIDIG_COMP_CNT: 1
	.section	.text._ZL37rocblas_syrkx_herkx_restricted_kernelIldLi16ELi32ELi8ELb0ELb0ELc67ELc76EKPKdKPdEviT_T0_PT8_S5_lS8_S5_lS6_PT9_S5_li,"axG",@progbits,_ZL37rocblas_syrkx_herkx_restricted_kernelIldLi16ELi32ELi8ELb0ELb0ELc67ELc76EKPKdKPdEviT_T0_PT8_S5_lS8_S5_lS6_PT9_S5_li,comdat
	.globl	_ZL37rocblas_syrkx_herkx_restricted_kernelIldLi16ELi32ELi8ELb0ELb0ELc67ELc76EKPKdKPdEviT_T0_PT8_S5_lS8_S5_lS6_PT9_S5_li ; -- Begin function _ZL37rocblas_syrkx_herkx_restricted_kernelIldLi16ELi32ELi8ELb0ELb0ELc67ELc76EKPKdKPdEviT_T0_PT8_S5_lS8_S5_lS6_PT9_S5_li
	.p2align	8
	.type	_ZL37rocblas_syrkx_herkx_restricted_kernelIldLi16ELi32ELi8ELb0ELb0ELc67ELc76EKPKdKPdEviT_T0_PT8_S5_lS8_S5_lS6_PT9_S5_li,@function
_ZL37rocblas_syrkx_herkx_restricted_kernelIldLi16ELi32ELi8ELb0ELb0ELc67ELc76EKPKdKPdEviT_T0_PT8_S5_lS8_S5_lS6_PT9_S5_li: ; @_ZL37rocblas_syrkx_herkx_restricted_kernelIldLi16ELi32ELi8ELb0ELb0ELc67ELc76EKPKdKPdEviT_T0_PT8_S5_lS8_S5_lS6_PT9_S5_li
; %bb.0:
	s_clause 0x1
	s_load_b128 s[16:19], s[0:1], 0x48
	s_load_b256 s[4:11], s[0:1], 0x8
	s_mov_b32 s2, s15
	s_mov_b32 s3, 0
	v_mov_b32_e32 v10, 0
	s_lshl_b64 s[20:21], s[2:3], 3
	v_dual_mov_b32 v11, 0 :: v_dual_and_b32 v12, 0x3ff, v0
	v_bfe_u32 v13, v0, 10, 10
	s_delay_alu instid0(VALU_DEP_3) | instskip(NEXT) | instid1(VALU_DEP_3)
	v_mov_b32_e32 v8, v10
	v_dual_mov_b32 v2, v10 :: v_dual_mov_b32 v3, v11
	v_dual_mov_b32 v9, v11 :: v_dual_mov_b32 v0, v10
	v_mov_b32_e32 v1, v11
	s_waitcnt lgkmcnt(0)
	s_add_u32 s2, s18, s20
	s_addc_u32 s3, s19, s21
	s_load_b64 s[18:19], s[0:1], 0x58
	s_load_b64 s[2:3], s[2:3], 0x0
	v_cmp_lt_i64_e64 s12, s[4:5], 1
	s_lshl_b32 s22, s13, 5
	s_lshl_b32 s23, s14, 5
	s_delay_alu instid0(VALU_DEP_1)
	s_and_b32 vcc_lo, exec_lo, s12
	s_cbranch_vccnz .LBB1496_3
; %bb.1:
	s_load_b128 s[12:15], s[0:1], 0x30
	v_lshl_add_u32 v2, v13, 4, v12
	v_dual_mov_b32 v1, 0 :: v_dual_and_b32 v0, 7, v12
	s_add_u32 s8, s8, s20
	s_addc_u32 s9, s9, s21
	s_delay_alu instid0(VALU_DEP_2) | instskip(SKIP_3) | instid1(VALU_DEP_3)
	v_lshrrev_b32_e32 v8, 3, v2
	v_and_b32_e32 v9, 31, v2
	v_lshrrev_b32_e32 v2, 5, v2
	s_load_b64 s[8:9], s[8:9], 0x0
	v_dual_mov_b32 v3, v1 :: v_dual_add_nc_u32 v6, s23, v8
	s_delay_alu instid0(VALU_DEP_3) | instskip(NEXT) | instid1(VALU_DEP_2)
	v_add_nc_u32_e32 v10, s22, v9
	v_ashrrev_i32_e32 v4, 31, v6
	s_delay_alu instid0(VALU_DEP_2)
	v_ashrrev_i32_e32 v11, 31, v10
	s_waitcnt lgkmcnt(0)
	s_add_u32 s12, s12, s20
	s_addc_u32 s13, s13, s21
	v_mul_lo_u32 v15, v4, s14
	s_load_b64 s[12:13], s[12:13], 0x0
	v_mul_lo_u32 v16, v6, s15
	v_mad_u64_u32 v[4:5], null, v6, s14, v[0:1]
	v_mad_u64_u32 v[6:7], null, s10, v10, v[2:3]
	v_mul_lo_u32 v1, s11, v10
	v_mul_lo_u32 v3, s10, v11
	v_lshlrev_b32_e32 v0, 3, v0
	v_add3_u32 v5, v15, v5, v16
	v_lshl_add_u32 v15, v13, 6, 0x800
	s_delay_alu instid0(VALU_DEP_3)
	v_lshl_or_b32 v8, v8, 6, v0
	v_add3_u32 v7, v1, v7, v3
	v_mov_b32_e32 v0, 0
	v_mov_b32_e32 v1, 0
	v_lshlrev_b32_e32 v9, 3, v9
	v_lshlrev_b64 v[4:5], 3, v[4:5]
	v_lshlrev_b32_e32 v14, 3, v12
	v_add_nc_u32_e32 v17, 0x800, v8
	v_mov_b32_e32 v11, v1
	v_lshl_or_b32 v16, v2, 8, v9
	v_lshlrev_b64 v[2:3], 3, v[6:7]
	s_waitcnt lgkmcnt(0)
	v_add_co_u32 v4, vcc_lo, s12, v4
	v_add_co_ci_u32_e32 v5, vcc_lo, s13, v5, vcc_lo
	v_dual_mov_b32 v9, v1 :: v_dual_mov_b32 v10, v0
	s_delay_alu instid0(VALU_DEP_4)
	v_add_co_u32 v6, vcc_lo, s8, v2
	v_add_co_ci_u32_e32 v7, vcc_lo, s9, v3, vcc_lo
	v_dual_mov_b32 v3, v1 :: v_dual_mov_b32 v2, v0
	v_mov_b32_e32 v8, v0
	s_mov_b64 s[8:9], 0
.LBB1496_2:                             ; =>This Inner Loop Header: Depth=1
	global_load_b64 v[18:19], v[6:7], off
	global_load_b64 v[20:21], v[4:5], off
	s_add_u32 s8, s8, 8
	v_add_co_u32 v4, vcc_lo, v4, 64
	s_addc_u32 s9, s9, 0
	v_add_co_ci_u32_e32 v5, vcc_lo, 0, v5, vcc_lo
	v_cmp_ge_u64_e64 s10, s[8:9], s[4:5]
	v_add_co_u32 v6, vcc_lo, v6, 64
	v_add_co_ci_u32_e32 v7, vcc_lo, 0, v7, vcc_lo
	s_waitcnt vmcnt(1)
	ds_store_b64 v16, v[18:19]
	s_waitcnt vmcnt(0)
	ds_store_b64 v17, v[20:21]
	s_waitcnt lgkmcnt(0)
	s_barrier
	buffer_gl0_inv
	ds_load_2addr_b64 v[18:21], v14 offset1:16
	ds_load_b128 v[22:25], v15
	ds_load_b128 v[26:29], v15 offset:1024
	ds_load_b128 v[30:33], v15 offset:16
	;; [unrolled: 1-line block ×3, first 2 shown]
	s_and_b32 vcc_lo, exec_lo, s10
	s_waitcnt lgkmcnt(3)
	v_fma_f64 v[10:11], v[18:19], v[22:23], v[10:11]
	v_fma_f64 v[8:9], v[20:21], v[22:23], v[8:9]
	s_waitcnt lgkmcnt(2)
	v_fma_f64 v[18:19], v[18:19], v[26:27], v[2:3]
	v_fma_f64 v[20:21], v[20:21], v[26:27], v[0:1]
	ds_load_2addr_b64 v[0:3], v14 offset0:32 offset1:48
	s_waitcnt lgkmcnt(0)
	v_fma_f64 v[10:11], v[0:1], v[24:25], v[10:11]
	v_fma_f64 v[8:9], v[2:3], v[24:25], v[8:9]
	v_fma_f64 v[18:19], v[0:1], v[28:29], v[18:19]
	v_fma_f64 v[20:21], v[2:3], v[28:29], v[20:21]
	ds_load_2addr_b64 v[0:3], v14 offset0:64 offset1:80
	s_waitcnt lgkmcnt(0)
	v_fma_f64 v[10:11], v[0:1], v[30:31], v[10:11]
	v_fma_f64 v[8:9], v[2:3], v[30:31], v[8:9]
	;; [unrolled: 6-line block ×3, first 2 shown]
	v_fma_f64 v[34:35], v[0:1], v[36:37], v[18:19]
	v_fma_f64 v[36:37], v[2:3], v[36:37], v[20:21]
	ds_load_2addr_b64 v[0:3], v14 offset0:128 offset1:144
	ds_load_b128 v[8:11], v15 offset:32
	ds_load_b128 v[18:21], v15 offset:1056
	;; [unrolled: 1-line block ×4, first 2 shown]
	s_waitcnt lgkmcnt(3)
	v_fma_f64 v[30:31], v[0:1], v[8:9], v[30:31]
	v_fma_f64 v[8:9], v[2:3], v[8:9], v[32:33]
	s_waitcnt lgkmcnt(2)
	v_fma_f64 v[32:33], v[0:1], v[18:19], v[34:35]
	v_fma_f64 v[18:19], v[2:3], v[18:19], v[36:37]
	ds_load_2addr_b64 v[0:3], v14 offset0:160 offset1:176
	s_waitcnt lgkmcnt(0)
	v_fma_f64 v[30:31], v[0:1], v[10:11], v[30:31]
	v_fma_f64 v[8:9], v[2:3], v[10:11], v[8:9]
	;; [unrolled: 1-line block ×4, first 2 shown]
	ds_load_2addr_b64 v[0:3], v14 offset0:192 offset1:208
	s_waitcnt lgkmcnt(0)
	v_fma_f64 v[30:31], v[0:1], v[22:23], v[30:31]
	v_fma_f64 v[8:9], v[2:3], v[22:23], v[8:9]
	;; [unrolled: 1-line block ×4, first 2 shown]
	ds_load_2addr_b64 v[18:21], v14 offset0:224 offset1:240
	s_waitcnt lgkmcnt(0)
	s_barrier
	buffer_gl0_inv
	v_fma_f64 v[10:11], v[18:19], v[24:25], v[30:31]
	v_fma_f64 v[8:9], v[20:21], v[24:25], v[8:9]
	;; [unrolled: 1-line block ×4, first 2 shown]
	s_cbranch_vccz .LBB1496_2
.LBB1496_3:
	v_add_nc_u32_e32 v13, s23, v13
	s_load_b32 s4, s[0:1], 0x0
	s_delay_alu instid0(VALU_DEP_1) | instskip(SKIP_3) | instid1(VALU_DEP_3)
	v_ashrrev_i32_e32 v4, 31, v13
	s_waitcnt lgkmcnt(0)
	v_mul_lo_u32 v7, v13, s19
	v_mad_u64_u32 v[5:6], null, v13, s18, 0
	v_mul_lo_u32 v4, v4, s18
	s_delay_alu instid0(VALU_DEP_1) | instskip(SKIP_1) | instid1(VALU_DEP_2)
	v_add3_u32 v6, v6, v7, v4
	v_add_nc_u32_e32 v4, s22, v12
	v_lshlrev_b64 v[5:6], 3, v[5:6]
	s_delay_alu instid0(VALU_DEP_2) | instskip(SKIP_1) | instid1(VALU_DEP_3)
	v_cmp_le_i32_e64 s0, v13, v4
	v_cmp_gt_i32_e32 vcc_lo, s4, v4
	v_add_co_u32 v12, s1, s2, v5
	s_delay_alu instid0(VALU_DEP_1) | instskip(NEXT) | instid1(VALU_DEP_4)
	v_add_co_ci_u32_e64 v14, s1, s3, v6, s1
	s_and_b32 s0, s0, vcc_lo
	s_delay_alu instid0(SALU_CYCLE_1)
	s_and_saveexec_b32 s1, s0
	s_cbranch_execz .LBB1496_5
; %bb.4:
	v_ashrrev_i32_e32 v5, 31, v4
	s_delay_alu instid0(VALU_DEP_1) | instskip(NEXT) | instid1(VALU_DEP_1)
	v_lshlrev_b64 v[5:6], 3, v[4:5]
	v_add_co_u32 v5, s0, v12, v5
	s_delay_alu instid0(VALU_DEP_1) | instskip(SKIP_3) | instid1(VALU_DEP_1)
	v_add_co_ci_u32_e64 v6, s0, v14, v6, s0
	global_load_b64 v[15:16], v[5:6], off
	s_waitcnt vmcnt(0)
	v_mul_f64 v[15:16], v[15:16], s[16:17]
	v_fma_f64 v[10:11], v[10:11], s[6:7], v[15:16]
	global_store_b64 v[5:6], v[10:11], off
.LBB1496_5:
	s_or_b32 exec_lo, exec_lo, s1
	v_add_nc_u32_e32 v6, 16, v4
	s_delay_alu instid0(VALU_DEP_1) | instskip(SKIP_1) | instid1(VALU_DEP_1)
	v_cmp_le_i32_e64 s1, v13, v6
	v_cmp_gt_i32_e64 s0, s4, v6
	s_and_b32 s1, s1, s0
	s_delay_alu instid0(SALU_CYCLE_1)
	s_and_saveexec_b32 s4, s1
	s_cbranch_execz .LBB1496_7
; %bb.6:
	v_ashrrev_i32_e32 v7, 31, v6
	s_delay_alu instid0(VALU_DEP_1) | instskip(NEXT) | instid1(VALU_DEP_1)
	v_lshlrev_b64 v[10:11], 3, v[6:7]
	v_add_co_u32 v10, s1, v12, v10
	s_delay_alu instid0(VALU_DEP_1) | instskip(SKIP_3) | instid1(VALU_DEP_1)
	v_add_co_ci_u32_e64 v11, s1, v14, v11, s1
	global_load_b64 v[14:15], v[10:11], off
	s_waitcnt vmcnt(0)
	v_mul_f64 v[14:15], v[14:15], s[16:17]
	v_fma_f64 v[7:8], v[8:9], s[6:7], v[14:15]
	global_store_b64 v[10:11], v[7:8], off
.LBB1496_7:
	s_or_b32 exec_lo, exec_lo, s4
	v_add_nc_u32_e32 v7, 16, v13
	s_delay_alu instid0(VALU_DEP_1) | instskip(SKIP_3) | instid1(VALU_DEP_4)
	v_ashrrev_i32_e32 v5, 31, v7
	v_mul_lo_u32 v10, v7, s19
	v_mad_u64_u32 v[8:9], null, v7, s18, 0
	v_cmp_le_i32_e64 s1, v7, v4
	v_mul_lo_u32 v5, v5, s18
	s_delay_alu instid0(VALU_DEP_1) | instskip(NEXT) | instid1(VALU_DEP_1)
	v_add3_u32 v9, v9, v10, v5
	v_lshlrev_b64 v[8:9], 3, v[8:9]
	s_delay_alu instid0(VALU_DEP_1) | instskip(NEXT) | instid1(VALU_DEP_1)
	v_add_co_u32 v8, s2, s2, v8
	v_add_co_ci_u32_e64 v9, s2, s3, v9, s2
	s_and_b32 s2, s1, vcc_lo
	s_delay_alu instid0(SALU_CYCLE_1)
	s_and_saveexec_b32 s1, s2
	s_cbranch_execz .LBB1496_9
; %bb.8:
	v_ashrrev_i32_e32 v5, 31, v4
	s_delay_alu instid0(VALU_DEP_1) | instskip(NEXT) | instid1(VALU_DEP_1)
	v_lshlrev_b64 v[4:5], 3, v[4:5]
	v_add_co_u32 v4, vcc_lo, v8, v4
	s_delay_alu instid0(VALU_DEP_2) | instskip(SKIP_3) | instid1(VALU_DEP_1)
	v_add_co_ci_u32_e32 v5, vcc_lo, v9, v5, vcc_lo
	global_load_b64 v[10:11], v[4:5], off
	s_waitcnt vmcnt(0)
	v_mul_f64 v[10:11], v[10:11], s[16:17]
	v_fma_f64 v[2:3], v[2:3], s[6:7], v[10:11]
	global_store_b64 v[4:5], v[2:3], off
.LBB1496_9:
	s_or_b32 exec_lo, exec_lo, s1
	v_cmp_le_i32_e32 vcc_lo, v7, v6
	s_and_b32 s0, vcc_lo, s0
	s_delay_alu instid0(SALU_CYCLE_1)
	s_and_saveexec_b32 s1, s0
	s_cbranch_execz .LBB1496_11
; %bb.10:
	v_ashrrev_i32_e32 v7, 31, v6
	s_delay_alu instid0(VALU_DEP_1) | instskip(NEXT) | instid1(VALU_DEP_1)
	v_lshlrev_b64 v[2:3], 3, v[6:7]
	v_add_co_u32 v2, vcc_lo, v8, v2
	s_delay_alu instid0(VALU_DEP_2) | instskip(SKIP_3) | instid1(VALU_DEP_1)
	v_add_co_ci_u32_e32 v3, vcc_lo, v9, v3, vcc_lo
	global_load_b64 v[4:5], v[2:3], off
	s_waitcnt vmcnt(0)
	v_mul_f64 v[4:5], v[4:5], s[16:17]
	v_fma_f64 v[0:1], v[0:1], s[6:7], v[4:5]
	global_store_b64 v[2:3], v[0:1], off
.LBB1496_11:
	s_nop 0
	s_sendmsg sendmsg(MSG_DEALLOC_VGPRS)
	s_endpgm
	.section	.rodata,"a",@progbits
	.p2align	6, 0x0
	.amdhsa_kernel _ZL37rocblas_syrkx_herkx_restricted_kernelIldLi16ELi32ELi8ELb0ELb0ELc67ELc76EKPKdKPdEviT_T0_PT8_S5_lS8_S5_lS6_PT9_S5_li
		.amdhsa_group_segment_fixed_size 4096
		.amdhsa_private_segment_fixed_size 0
		.amdhsa_kernarg_size 108
		.amdhsa_user_sgpr_count 13
		.amdhsa_user_sgpr_dispatch_ptr 0
		.amdhsa_user_sgpr_queue_ptr 0
		.amdhsa_user_sgpr_kernarg_segment_ptr 1
		.amdhsa_user_sgpr_dispatch_id 0
		.amdhsa_user_sgpr_private_segment_size 0
		.amdhsa_wavefront_size32 1
		.amdhsa_uses_dynamic_stack 0
		.amdhsa_enable_private_segment 0
		.amdhsa_system_sgpr_workgroup_id_x 1
		.amdhsa_system_sgpr_workgroup_id_y 1
		.amdhsa_system_sgpr_workgroup_id_z 1
		.amdhsa_system_sgpr_workgroup_info 0
		.amdhsa_system_vgpr_workitem_id 1
		.amdhsa_next_free_vgpr 38
		.amdhsa_next_free_sgpr 24
		.amdhsa_reserve_vcc 1
		.amdhsa_float_round_mode_32 0
		.amdhsa_float_round_mode_16_64 0
		.amdhsa_float_denorm_mode_32 3
		.amdhsa_float_denorm_mode_16_64 3
		.amdhsa_dx10_clamp 1
		.amdhsa_ieee_mode 1
		.amdhsa_fp16_overflow 0
		.amdhsa_workgroup_processor_mode 1
		.amdhsa_memory_ordered 1
		.amdhsa_forward_progress 0
		.amdhsa_shared_vgpr_count 0
		.amdhsa_exception_fp_ieee_invalid_op 0
		.amdhsa_exception_fp_denorm_src 0
		.amdhsa_exception_fp_ieee_div_zero 0
		.amdhsa_exception_fp_ieee_overflow 0
		.amdhsa_exception_fp_ieee_underflow 0
		.amdhsa_exception_fp_ieee_inexact 0
		.amdhsa_exception_int_div_zero 0
	.end_amdhsa_kernel
	.section	.text._ZL37rocblas_syrkx_herkx_restricted_kernelIldLi16ELi32ELi8ELb0ELb0ELc67ELc76EKPKdKPdEviT_T0_PT8_S5_lS8_S5_lS6_PT9_S5_li,"axG",@progbits,_ZL37rocblas_syrkx_herkx_restricted_kernelIldLi16ELi32ELi8ELb0ELb0ELc67ELc76EKPKdKPdEviT_T0_PT8_S5_lS8_S5_lS6_PT9_S5_li,comdat
.Lfunc_end1496:
	.size	_ZL37rocblas_syrkx_herkx_restricted_kernelIldLi16ELi32ELi8ELb0ELb0ELc67ELc76EKPKdKPdEviT_T0_PT8_S5_lS8_S5_lS6_PT9_S5_li, .Lfunc_end1496-_ZL37rocblas_syrkx_herkx_restricted_kernelIldLi16ELi32ELi8ELb0ELb0ELc67ELc76EKPKdKPdEviT_T0_PT8_S5_lS8_S5_lS6_PT9_S5_li
                                        ; -- End function
	.section	.AMDGPU.csdata,"",@progbits
; Kernel info:
; codeLenInByte = 1572
; NumSgprs: 26
; NumVgprs: 38
; ScratchSize: 0
; MemoryBound: 0
; FloatMode: 240
; IeeeMode: 1
; LDSByteSize: 4096 bytes/workgroup (compile time only)
; SGPRBlocks: 3
; VGPRBlocks: 4
; NumSGPRsForWavesPerEU: 26
; NumVGPRsForWavesPerEU: 38
; Occupancy: 16
; WaveLimiterHint : 1
; COMPUTE_PGM_RSRC2:SCRATCH_EN: 0
; COMPUTE_PGM_RSRC2:USER_SGPR: 13
; COMPUTE_PGM_RSRC2:TRAP_HANDLER: 0
; COMPUTE_PGM_RSRC2:TGID_X_EN: 1
; COMPUTE_PGM_RSRC2:TGID_Y_EN: 1
; COMPUTE_PGM_RSRC2:TGID_Z_EN: 1
; COMPUTE_PGM_RSRC2:TIDIG_COMP_CNT: 1
	.section	.text._ZL37rocblas_syrkx_herkx_restricted_kernelIldLi16ELi32ELi8ELb0ELb0ELc78ELc76EKPKdKPdEviT_T0_PT8_S5_lS8_S5_lS6_PT9_S5_li,"axG",@progbits,_ZL37rocblas_syrkx_herkx_restricted_kernelIldLi16ELi32ELi8ELb0ELb0ELc78ELc76EKPKdKPdEviT_T0_PT8_S5_lS8_S5_lS6_PT9_S5_li,comdat
	.globl	_ZL37rocblas_syrkx_herkx_restricted_kernelIldLi16ELi32ELi8ELb0ELb0ELc78ELc76EKPKdKPdEviT_T0_PT8_S5_lS8_S5_lS6_PT9_S5_li ; -- Begin function _ZL37rocblas_syrkx_herkx_restricted_kernelIldLi16ELi32ELi8ELb0ELb0ELc78ELc76EKPKdKPdEviT_T0_PT8_S5_lS8_S5_lS6_PT9_S5_li
	.p2align	8
	.type	_ZL37rocblas_syrkx_herkx_restricted_kernelIldLi16ELi32ELi8ELb0ELb0ELc78ELc76EKPKdKPdEviT_T0_PT8_S5_lS8_S5_lS6_PT9_S5_li,@function
_ZL37rocblas_syrkx_herkx_restricted_kernelIldLi16ELi32ELi8ELb0ELb0ELc78ELc76EKPKdKPdEviT_T0_PT8_S5_lS8_S5_lS6_PT9_S5_li: ; @_ZL37rocblas_syrkx_herkx_restricted_kernelIldLi16ELi32ELi8ELb0ELb0ELc78ELc76EKPKdKPdEviT_T0_PT8_S5_lS8_S5_lS6_PT9_S5_li
; %bb.0:
	s_clause 0x1
	s_load_b128 s[16:19], s[0:1], 0x48
	s_load_b256 s[4:11], s[0:1], 0x8
	s_mov_b32 s2, s15
	s_mov_b32 s3, 0
	v_mov_b32_e32 v10, 0
	s_lshl_b64 s[20:21], s[2:3], 3
	v_dual_mov_b32 v11, 0 :: v_dual_and_b32 v12, 0x3ff, v0
	v_bfe_u32 v13, v0, 10, 10
	s_delay_alu instid0(VALU_DEP_3) | instskip(NEXT) | instid1(VALU_DEP_3)
	v_mov_b32_e32 v4, v10
	v_dual_mov_b32 v2, v10 :: v_dual_mov_b32 v3, v11
	v_dual_mov_b32 v5, v11 :: v_dual_mov_b32 v0, v10
	v_mov_b32_e32 v1, v11
	s_waitcnt lgkmcnt(0)
	s_add_u32 s2, s18, s20
	s_addc_u32 s3, s19, s21
	s_load_b64 s[18:19], s[0:1], 0x58
	s_load_b64 s[2:3], s[2:3], 0x0
	v_cmp_lt_i64_e64 s12, s[4:5], 1
	s_lshl_b32 s22, s13, 5
	s_lshl_b32 s23, s14, 5
	s_delay_alu instid0(VALU_DEP_1)
	s_and_b32 vcc_lo, exec_lo, s12
	s_cbranch_vccnz .LBB1497_3
; %bb.1:
	s_load_b128 s[12:15], s[0:1], 0x30
	v_lshl_add_u32 v3, v13, 4, v12
	v_and_b32_e32 v15, 7, v12
	s_add_u32 s8, s8, s20
	s_addc_u32 s9, s9, s21
	s_delay_alu instid0(VALU_DEP_2) | instskip(SKIP_2) | instid1(VALU_DEP_2)
	v_lshrrev_b32_e32 v10, 3, v3
	v_lshrrev_b32_e32 v16, 5, v3
	s_load_b64 s[8:9], s[8:9], 0x0
	v_add_nc_u32_e32 v0, s23, v10
	s_delay_alu instid0(VALU_DEP_1) | instskip(SKIP_2) | instid1(VALU_DEP_1)
	v_ashrrev_i32_e32 v1, 31, v0
	s_waitcnt lgkmcnt(0)
	s_add_u32 s12, s12, s20
	v_mad_u64_u32 v[4:5], null, v15, s14, v[0:1]
	v_and_b32_e32 v11, 31, v3
	s_addc_u32 s13, s13, s21
	s_load_b64 s[12:13], s[12:13], 0x0
	s_delay_alu instid0(VALU_DEP_2) | instskip(NEXT) | instid1(VALU_DEP_2)
	v_mov_b32_e32 v0, v5
	v_add_nc_u32_e32 v2, s22, v11
	v_lshlrev_b32_e32 v11, 3, v11
	s_delay_alu instid0(VALU_DEP_2) | instskip(NEXT) | instid1(VALU_DEP_1)
	v_ashrrev_i32_e32 v3, 31, v2
	v_mad_u64_u32 v[6:7], null, v16, s10, v[2:3]
	s_delay_alu instid0(VALU_DEP_1) | instskip(SKIP_3) | instid1(VALU_DEP_4)
	v_mov_b32_e32 v2, v7
	v_mad_u64_u32 v[7:8], null, v15, s15, v[0:1]
	v_mov_b32_e32 v0, 0
	v_mov_b32_e32 v1, 0
	v_mad_u64_u32 v[8:9], null, v16, s11, v[2:3]
	v_lshlrev_b32_e32 v9, 3, v15
	s_delay_alu instid0(VALU_DEP_3) | instskip(SKIP_1) | instid1(VALU_DEP_3)
	v_dual_mov_b32 v3, v1 :: v_dual_lshlrev_b32 v14, 3, v12
	v_dual_mov_b32 v5, v7 :: v_dual_mov_b32 v2, v0
	v_lshl_or_b32 v10, v10, 6, v9
	v_mov_b32_e32 v7, v8
	v_lshl_or_b32 v16, v16, 8, v11
	s_delay_alu instid0(VALU_DEP_4)
	v_lshlrev_b64 v[8:9], 3, v[4:5]
	v_lshl_add_u32 v15, v13, 6, 0x800
	v_add_nc_u32_e32 v17, 0x800, v10
	v_lshlrev_b64 v[10:11], 3, v[6:7]
	v_dual_mov_b32 v5, v1 :: v_dual_mov_b32 v4, v0
	s_waitcnt lgkmcnt(0)
	v_add_co_u32 v6, vcc_lo, s12, v8
	v_add_co_ci_u32_e32 v7, vcc_lo, s13, v9, vcc_lo
	s_delay_alu instid0(VALU_DEP_4)
	v_add_co_u32 v8, vcc_lo, s8, v10
	v_add_co_ci_u32_e32 v9, vcc_lo, s9, v11, vcc_lo
	v_dual_mov_b32 v11, v1 :: v_dual_mov_b32 v10, v0
	s_lshl_b64 s[8:9], s[14:15], 6
	s_lshl_b64 s[10:11], s[10:11], 6
	s_mov_b64 s[12:13], 0
.LBB1497_2:                             ; =>This Inner Loop Header: Depth=1
	global_load_b64 v[18:19], v[8:9], off
	global_load_b64 v[20:21], v[6:7], off
	s_add_u32 s12, s12, 8
	v_add_co_u32 v6, vcc_lo, v6, s8
	s_addc_u32 s13, s13, 0
	v_add_co_ci_u32_e32 v7, vcc_lo, s9, v7, vcc_lo
	v_cmp_ge_u64_e64 s14, s[12:13], s[4:5]
	v_add_co_u32 v8, vcc_lo, v8, s10
	v_add_co_ci_u32_e32 v9, vcc_lo, s11, v9, vcc_lo
	s_waitcnt vmcnt(1)
	ds_store_b64 v16, v[18:19]
	s_waitcnt vmcnt(0)
	ds_store_b64 v17, v[20:21]
	s_waitcnt lgkmcnt(0)
	s_barrier
	buffer_gl0_inv
	ds_load_2addr_b64 v[18:21], v14 offset1:16
	ds_load_b128 v[22:25], v15
	ds_load_b128 v[26:29], v15 offset:1024
	ds_load_b128 v[30:33], v15 offset:16
	;; [unrolled: 1-line block ×3, first 2 shown]
	s_and_b32 vcc_lo, exec_lo, s14
	s_waitcnt lgkmcnt(3)
	v_fma_f64 v[10:11], v[18:19], v[22:23], v[10:11]
	v_fma_f64 v[4:5], v[20:21], v[22:23], v[4:5]
	s_waitcnt lgkmcnt(2)
	v_fma_f64 v[18:19], v[18:19], v[26:27], v[2:3]
	v_fma_f64 v[20:21], v[20:21], v[26:27], v[0:1]
	ds_load_2addr_b64 v[0:3], v14 offset0:32 offset1:48
	s_waitcnt lgkmcnt(0)
	v_fma_f64 v[10:11], v[0:1], v[24:25], v[10:11]
	v_fma_f64 v[4:5], v[2:3], v[24:25], v[4:5]
	v_fma_f64 v[18:19], v[0:1], v[28:29], v[18:19]
	v_fma_f64 v[20:21], v[2:3], v[28:29], v[20:21]
	ds_load_2addr_b64 v[0:3], v14 offset0:64 offset1:80
	s_waitcnt lgkmcnt(0)
	v_fma_f64 v[10:11], v[0:1], v[30:31], v[10:11]
	v_fma_f64 v[4:5], v[2:3], v[30:31], v[4:5]
	;; [unrolled: 6-line block ×3, first 2 shown]
	v_fma_f64 v[34:35], v[0:1], v[36:37], v[18:19]
	v_fma_f64 v[36:37], v[2:3], v[36:37], v[20:21]
	ds_load_2addr_b64 v[0:3], v14 offset0:128 offset1:144
	ds_load_b128 v[18:21], v15 offset:32
	ds_load_b128 v[22:25], v15 offset:1056
	;; [unrolled: 1-line block ×4, first 2 shown]
	s_waitcnt lgkmcnt(3)
	v_fma_f64 v[10:11], v[0:1], v[18:19], v[10:11]
	v_fma_f64 v[4:5], v[2:3], v[18:19], v[4:5]
	s_waitcnt lgkmcnt(2)
	v_fma_f64 v[18:19], v[0:1], v[22:23], v[34:35]
	v_fma_f64 v[22:23], v[2:3], v[22:23], v[36:37]
	ds_load_2addr_b64 v[0:3], v14 offset0:160 offset1:176
	s_waitcnt lgkmcnt(0)
	v_fma_f64 v[10:11], v[0:1], v[20:21], v[10:11]
	v_fma_f64 v[4:5], v[2:3], v[20:21], v[4:5]
	;; [unrolled: 1-line block ×4, first 2 shown]
	ds_load_2addr_b64 v[0:3], v14 offset0:192 offset1:208
	s_waitcnt lgkmcnt(0)
	v_fma_f64 v[10:11], v[0:1], v[26:27], v[10:11]
	v_fma_f64 v[4:5], v[2:3], v[26:27], v[4:5]
	;; [unrolled: 1-line block ×4, first 2 shown]
	ds_load_2addr_b64 v[18:21], v14 offset0:224 offset1:240
	s_waitcnt lgkmcnt(0)
	s_barrier
	buffer_gl0_inv
	v_fma_f64 v[10:11], v[18:19], v[28:29], v[10:11]
	v_fma_f64 v[4:5], v[20:21], v[28:29], v[4:5]
	;; [unrolled: 1-line block ×4, first 2 shown]
	s_cbranch_vccz .LBB1497_2
.LBB1497_3:
	v_add_nc_u32_e32 v13, s23, v13
	s_load_b32 s4, s[0:1], 0x0
	s_delay_alu instid0(VALU_DEP_1) | instskip(SKIP_3) | instid1(VALU_DEP_3)
	v_ashrrev_i32_e32 v6, 31, v13
	s_waitcnt lgkmcnt(0)
	v_mul_lo_u32 v9, v13, s19
	v_mad_u64_u32 v[7:8], null, v13, s18, 0
	v_mul_lo_u32 v6, v6, s18
	s_delay_alu instid0(VALU_DEP_1) | instskip(SKIP_1) | instid1(VALU_DEP_2)
	v_add3_u32 v8, v8, v9, v6
	v_add_nc_u32_e32 v6, s22, v12
	v_lshlrev_b64 v[7:8], 3, v[7:8]
	s_delay_alu instid0(VALU_DEP_2) | instskip(SKIP_1) | instid1(VALU_DEP_3)
	v_cmp_le_i32_e64 s0, v13, v6
	v_cmp_gt_i32_e32 vcc_lo, s4, v6
	v_add_co_u32 v12, s1, s2, v7
	s_delay_alu instid0(VALU_DEP_1) | instskip(NEXT) | instid1(VALU_DEP_4)
	v_add_co_ci_u32_e64 v14, s1, s3, v8, s1
	s_and_b32 s0, s0, vcc_lo
	s_delay_alu instid0(SALU_CYCLE_1)
	s_and_saveexec_b32 s1, s0
	s_cbranch_execz .LBB1497_5
; %bb.4:
	v_ashrrev_i32_e32 v7, 31, v6
	s_delay_alu instid0(VALU_DEP_1) | instskip(NEXT) | instid1(VALU_DEP_1)
	v_lshlrev_b64 v[7:8], 3, v[6:7]
	v_add_co_u32 v7, s0, v12, v7
	s_delay_alu instid0(VALU_DEP_1) | instskip(SKIP_3) | instid1(VALU_DEP_1)
	v_add_co_ci_u32_e64 v8, s0, v14, v8, s0
	global_load_b64 v[15:16], v[7:8], off
	s_waitcnt vmcnt(0)
	v_mul_f64 v[15:16], v[15:16], s[16:17]
	v_fma_f64 v[9:10], v[10:11], s[6:7], v[15:16]
	global_store_b64 v[7:8], v[9:10], off
.LBB1497_5:
	s_or_b32 exec_lo, exec_lo, s1
	v_add_nc_u32_e32 v8, 16, v6
	s_delay_alu instid0(VALU_DEP_1) | instskip(SKIP_1) | instid1(VALU_DEP_1)
	v_cmp_le_i32_e64 s1, v13, v8
	v_cmp_gt_i32_e64 s0, s4, v8
	s_and_b32 s1, s1, s0
	s_delay_alu instid0(SALU_CYCLE_1)
	s_and_saveexec_b32 s4, s1
	s_cbranch_execz .LBB1497_7
; %bb.6:
	v_ashrrev_i32_e32 v9, 31, v8
	s_delay_alu instid0(VALU_DEP_1) | instskip(NEXT) | instid1(VALU_DEP_1)
	v_lshlrev_b64 v[9:10], 3, v[8:9]
	v_add_co_u32 v9, s1, v12, v9
	s_delay_alu instid0(VALU_DEP_1) | instskip(SKIP_3) | instid1(VALU_DEP_1)
	v_add_co_ci_u32_e64 v10, s1, v14, v10, s1
	global_load_b64 v[11:12], v[9:10], off
	s_waitcnt vmcnt(0)
	v_mul_f64 v[11:12], v[11:12], s[16:17]
	v_fma_f64 v[4:5], v[4:5], s[6:7], v[11:12]
	global_store_b64 v[9:10], v[4:5], off
.LBB1497_7:
	s_or_b32 exec_lo, exec_lo, s4
	v_add_nc_u32_e32 v4, 16, v13
	s_delay_alu instid0(VALU_DEP_1) | instskip(SKIP_3) | instid1(VALU_DEP_4)
	v_ashrrev_i32_e32 v5, 31, v4
	v_mul_lo_u32 v7, v4, s19
	v_mad_u64_u32 v[9:10], null, v4, s18, 0
	v_cmp_le_i32_e64 s1, v4, v6
	v_mul_lo_u32 v5, v5, s18
	s_delay_alu instid0(VALU_DEP_1) | instskip(NEXT) | instid1(VALU_DEP_1)
	v_add3_u32 v10, v10, v7, v5
	v_lshlrev_b64 v[9:10], 3, v[9:10]
	s_delay_alu instid0(VALU_DEP_1) | instskip(NEXT) | instid1(VALU_DEP_1)
	v_add_co_u32 v5, s2, s2, v9
	v_add_co_ci_u32_e64 v10, s2, s3, v10, s2
	s_and_b32 s2, s1, vcc_lo
	s_delay_alu instid0(SALU_CYCLE_1)
	s_and_saveexec_b32 s1, s2
	s_cbranch_execz .LBB1497_9
; %bb.8:
	v_ashrrev_i32_e32 v7, 31, v6
	s_delay_alu instid0(VALU_DEP_1) | instskip(NEXT) | instid1(VALU_DEP_1)
	v_lshlrev_b64 v[6:7], 3, v[6:7]
	v_add_co_u32 v6, vcc_lo, v5, v6
	s_delay_alu instid0(VALU_DEP_2) | instskip(SKIP_3) | instid1(VALU_DEP_1)
	v_add_co_ci_u32_e32 v7, vcc_lo, v10, v7, vcc_lo
	global_load_b64 v[11:12], v[6:7], off
	s_waitcnt vmcnt(0)
	v_mul_f64 v[11:12], v[11:12], s[16:17]
	v_fma_f64 v[2:3], v[2:3], s[6:7], v[11:12]
	global_store_b64 v[6:7], v[2:3], off
.LBB1497_9:
	s_or_b32 exec_lo, exec_lo, s1
	v_cmp_le_i32_e32 vcc_lo, v4, v8
	s_and_b32 s0, vcc_lo, s0
	s_delay_alu instid0(SALU_CYCLE_1)
	s_and_saveexec_b32 s1, s0
	s_cbranch_execz .LBB1497_11
; %bb.10:
	v_ashrrev_i32_e32 v9, 31, v8
	s_delay_alu instid0(VALU_DEP_1) | instskip(NEXT) | instid1(VALU_DEP_1)
	v_lshlrev_b64 v[2:3], 3, v[8:9]
	v_add_co_u32 v2, vcc_lo, v5, v2
	s_delay_alu instid0(VALU_DEP_2) | instskip(SKIP_3) | instid1(VALU_DEP_1)
	v_add_co_ci_u32_e32 v3, vcc_lo, v10, v3, vcc_lo
	global_load_b64 v[4:5], v[2:3], off
	s_waitcnt vmcnt(0)
	v_mul_f64 v[4:5], v[4:5], s[16:17]
	v_fma_f64 v[0:1], v[0:1], s[6:7], v[4:5]
	global_store_b64 v[2:3], v[0:1], off
.LBB1497_11:
	s_nop 0
	s_sendmsg sendmsg(MSG_DEALLOC_VGPRS)
	s_endpgm
	.section	.rodata,"a",@progbits
	.p2align	6, 0x0
	.amdhsa_kernel _ZL37rocblas_syrkx_herkx_restricted_kernelIldLi16ELi32ELi8ELb0ELb0ELc78ELc76EKPKdKPdEviT_T0_PT8_S5_lS8_S5_lS6_PT9_S5_li
		.amdhsa_group_segment_fixed_size 4096
		.amdhsa_private_segment_fixed_size 0
		.amdhsa_kernarg_size 108
		.amdhsa_user_sgpr_count 13
		.amdhsa_user_sgpr_dispatch_ptr 0
		.amdhsa_user_sgpr_queue_ptr 0
		.amdhsa_user_sgpr_kernarg_segment_ptr 1
		.amdhsa_user_sgpr_dispatch_id 0
		.amdhsa_user_sgpr_private_segment_size 0
		.amdhsa_wavefront_size32 1
		.amdhsa_uses_dynamic_stack 0
		.amdhsa_enable_private_segment 0
		.amdhsa_system_sgpr_workgroup_id_x 1
		.amdhsa_system_sgpr_workgroup_id_y 1
		.amdhsa_system_sgpr_workgroup_id_z 1
		.amdhsa_system_sgpr_workgroup_info 0
		.amdhsa_system_vgpr_workitem_id 1
		.amdhsa_next_free_vgpr 38
		.amdhsa_next_free_sgpr 24
		.amdhsa_reserve_vcc 1
		.amdhsa_float_round_mode_32 0
		.amdhsa_float_round_mode_16_64 0
		.amdhsa_float_denorm_mode_32 3
		.amdhsa_float_denorm_mode_16_64 3
		.amdhsa_dx10_clamp 1
		.amdhsa_ieee_mode 1
		.amdhsa_fp16_overflow 0
		.amdhsa_workgroup_processor_mode 1
		.amdhsa_memory_ordered 1
		.amdhsa_forward_progress 0
		.amdhsa_shared_vgpr_count 0
		.amdhsa_exception_fp_ieee_invalid_op 0
		.amdhsa_exception_fp_denorm_src 0
		.amdhsa_exception_fp_ieee_div_zero 0
		.amdhsa_exception_fp_ieee_overflow 0
		.amdhsa_exception_fp_ieee_underflow 0
		.amdhsa_exception_fp_ieee_inexact 0
		.amdhsa_exception_int_div_zero 0
	.end_amdhsa_kernel
	.section	.text._ZL37rocblas_syrkx_herkx_restricted_kernelIldLi16ELi32ELi8ELb0ELb0ELc78ELc76EKPKdKPdEviT_T0_PT8_S5_lS8_S5_lS6_PT9_S5_li,"axG",@progbits,_ZL37rocblas_syrkx_herkx_restricted_kernelIldLi16ELi32ELi8ELb0ELb0ELc78ELc76EKPKdKPdEviT_T0_PT8_S5_lS8_S5_lS6_PT9_S5_li,comdat
.Lfunc_end1497:
	.size	_ZL37rocblas_syrkx_herkx_restricted_kernelIldLi16ELi32ELi8ELb0ELb0ELc78ELc76EKPKdKPdEviT_T0_PT8_S5_lS8_S5_lS6_PT9_S5_li, .Lfunc_end1497-_ZL37rocblas_syrkx_herkx_restricted_kernelIldLi16ELi32ELi8ELb0ELb0ELc78ELc76EKPKdKPdEviT_T0_PT8_S5_lS8_S5_lS6_PT9_S5_li
                                        ; -- End function
	.section	.AMDGPU.csdata,"",@progbits
; Kernel info:
; codeLenInByte = 1568
; NumSgprs: 26
; NumVgprs: 38
; ScratchSize: 0
; MemoryBound: 0
; FloatMode: 240
; IeeeMode: 1
; LDSByteSize: 4096 bytes/workgroup (compile time only)
; SGPRBlocks: 3
; VGPRBlocks: 4
; NumSGPRsForWavesPerEU: 26
; NumVGPRsForWavesPerEU: 38
; Occupancy: 16
; WaveLimiterHint : 1
; COMPUTE_PGM_RSRC2:SCRATCH_EN: 0
; COMPUTE_PGM_RSRC2:USER_SGPR: 13
; COMPUTE_PGM_RSRC2:TRAP_HANDLER: 0
; COMPUTE_PGM_RSRC2:TGID_X_EN: 1
; COMPUTE_PGM_RSRC2:TGID_Y_EN: 1
; COMPUTE_PGM_RSRC2:TGID_Z_EN: 1
; COMPUTE_PGM_RSRC2:TIDIG_COMP_CNT: 1
	.section	.text._ZL37rocblas_syrkx_herkx_restricted_kernelIldLi16ELi32ELi8ELb0ELb0ELc84ELc85EKPKdKPdEviT_T0_PT8_S5_lS8_S5_lS6_PT9_S5_li,"axG",@progbits,_ZL37rocblas_syrkx_herkx_restricted_kernelIldLi16ELi32ELi8ELb0ELb0ELc84ELc85EKPKdKPdEviT_T0_PT8_S5_lS8_S5_lS6_PT9_S5_li,comdat
	.globl	_ZL37rocblas_syrkx_herkx_restricted_kernelIldLi16ELi32ELi8ELb0ELb0ELc84ELc85EKPKdKPdEviT_T0_PT8_S5_lS8_S5_lS6_PT9_S5_li ; -- Begin function _ZL37rocblas_syrkx_herkx_restricted_kernelIldLi16ELi32ELi8ELb0ELb0ELc84ELc85EKPKdKPdEviT_T0_PT8_S5_lS8_S5_lS6_PT9_S5_li
	.p2align	8
	.type	_ZL37rocblas_syrkx_herkx_restricted_kernelIldLi16ELi32ELi8ELb0ELb0ELc84ELc85EKPKdKPdEviT_T0_PT8_S5_lS8_S5_lS6_PT9_S5_li,@function
_ZL37rocblas_syrkx_herkx_restricted_kernelIldLi16ELi32ELi8ELb0ELb0ELc84ELc85EKPKdKPdEviT_T0_PT8_S5_lS8_S5_lS6_PT9_S5_li: ; @_ZL37rocblas_syrkx_herkx_restricted_kernelIldLi16ELi32ELi8ELb0ELb0ELc84ELc85EKPKdKPdEviT_T0_PT8_S5_lS8_S5_lS6_PT9_S5_li
; %bb.0:
	s_clause 0x1
	s_load_b128 s[16:19], s[0:1], 0x48
	s_load_b256 s[4:11], s[0:1], 0x8
	s_mov_b32 s2, s15
	s_mov_b32 s3, 0
	v_mov_b32_e32 v10, 0
	s_lshl_b64 s[20:21], s[2:3], 3
	v_dual_mov_b32 v11, 0 :: v_dual_and_b32 v12, 0x3ff, v0
	v_bfe_u32 v13, v0, 10, 10
	s_delay_alu instid0(VALU_DEP_3) | instskip(NEXT) | instid1(VALU_DEP_3)
	v_mov_b32_e32 v8, v10
	v_dual_mov_b32 v2, v10 :: v_dual_mov_b32 v3, v11
	v_dual_mov_b32 v9, v11 :: v_dual_mov_b32 v0, v10
	v_mov_b32_e32 v1, v11
	s_waitcnt lgkmcnt(0)
	s_add_u32 s2, s18, s20
	s_addc_u32 s3, s19, s21
	s_load_b64 s[18:19], s[0:1], 0x58
	s_load_b64 s[2:3], s[2:3], 0x0
	v_cmp_lt_i64_e64 s12, s[4:5], 1
	s_lshl_b32 s22, s13, 5
	s_lshl_b32 s23, s14, 5
	s_delay_alu instid0(VALU_DEP_1)
	s_and_b32 vcc_lo, exec_lo, s12
	s_cbranch_vccnz .LBB1498_3
; %bb.1:
	s_load_b128 s[12:15], s[0:1], 0x30
	v_lshl_add_u32 v2, v13, 4, v12
	v_dual_mov_b32 v1, 0 :: v_dual_and_b32 v0, 7, v12
	s_add_u32 s8, s8, s20
	s_addc_u32 s9, s9, s21
	s_delay_alu instid0(VALU_DEP_2) | instskip(SKIP_3) | instid1(VALU_DEP_3)
	v_lshrrev_b32_e32 v8, 3, v2
	v_and_b32_e32 v9, 31, v2
	v_lshrrev_b32_e32 v2, 5, v2
	s_load_b64 s[8:9], s[8:9], 0x0
	v_dual_mov_b32 v3, v1 :: v_dual_add_nc_u32 v6, s23, v8
	s_delay_alu instid0(VALU_DEP_3) | instskip(NEXT) | instid1(VALU_DEP_2)
	v_add_nc_u32_e32 v10, s22, v9
	v_ashrrev_i32_e32 v4, 31, v6
	s_delay_alu instid0(VALU_DEP_2)
	v_ashrrev_i32_e32 v11, 31, v10
	s_waitcnt lgkmcnt(0)
	s_add_u32 s12, s12, s20
	s_addc_u32 s13, s13, s21
	v_mul_lo_u32 v15, v4, s14
	s_load_b64 s[12:13], s[12:13], 0x0
	v_mul_lo_u32 v16, v6, s15
	v_mad_u64_u32 v[4:5], null, v6, s14, v[0:1]
	v_mad_u64_u32 v[6:7], null, s10, v10, v[2:3]
	v_mul_lo_u32 v1, s11, v10
	v_mul_lo_u32 v3, s10, v11
	v_lshlrev_b32_e32 v0, 3, v0
	v_add3_u32 v5, v15, v5, v16
	v_lshl_add_u32 v15, v13, 6, 0x800
	s_delay_alu instid0(VALU_DEP_3)
	v_lshl_or_b32 v8, v8, 6, v0
	v_add3_u32 v7, v1, v7, v3
	v_mov_b32_e32 v0, 0
	v_mov_b32_e32 v1, 0
	v_lshlrev_b32_e32 v9, 3, v9
	v_lshlrev_b64 v[4:5], 3, v[4:5]
	v_lshlrev_b32_e32 v14, 3, v12
	v_add_nc_u32_e32 v17, 0x800, v8
	v_mov_b32_e32 v11, v1
	v_lshl_or_b32 v16, v2, 8, v9
	v_lshlrev_b64 v[2:3], 3, v[6:7]
	s_waitcnt lgkmcnt(0)
	v_add_co_u32 v4, vcc_lo, s12, v4
	v_add_co_ci_u32_e32 v5, vcc_lo, s13, v5, vcc_lo
	v_dual_mov_b32 v9, v1 :: v_dual_mov_b32 v10, v0
	s_delay_alu instid0(VALU_DEP_4)
	v_add_co_u32 v6, vcc_lo, s8, v2
	v_add_co_ci_u32_e32 v7, vcc_lo, s9, v3, vcc_lo
	v_dual_mov_b32 v3, v1 :: v_dual_mov_b32 v2, v0
	v_mov_b32_e32 v8, v0
	s_mov_b64 s[8:9], 0
.LBB1498_2:                             ; =>This Inner Loop Header: Depth=1
	global_load_b64 v[18:19], v[6:7], off
	global_load_b64 v[20:21], v[4:5], off
	s_add_u32 s8, s8, 8
	v_add_co_u32 v4, vcc_lo, v4, 64
	s_addc_u32 s9, s9, 0
	v_add_co_ci_u32_e32 v5, vcc_lo, 0, v5, vcc_lo
	v_cmp_ge_u64_e64 s10, s[8:9], s[4:5]
	v_add_co_u32 v6, vcc_lo, v6, 64
	v_add_co_ci_u32_e32 v7, vcc_lo, 0, v7, vcc_lo
	s_waitcnt vmcnt(1)
	ds_store_b64 v16, v[18:19]
	s_waitcnt vmcnt(0)
	ds_store_b64 v17, v[20:21]
	s_waitcnt lgkmcnt(0)
	s_barrier
	buffer_gl0_inv
	ds_load_2addr_b64 v[18:21], v14 offset1:16
	ds_load_b128 v[22:25], v15
	ds_load_b128 v[26:29], v15 offset:1024
	ds_load_b128 v[30:33], v15 offset:16
	;; [unrolled: 1-line block ×3, first 2 shown]
	s_and_b32 vcc_lo, exec_lo, s10
	s_waitcnt lgkmcnt(3)
	v_fma_f64 v[10:11], v[18:19], v[22:23], v[10:11]
	v_fma_f64 v[8:9], v[20:21], v[22:23], v[8:9]
	s_waitcnt lgkmcnt(2)
	v_fma_f64 v[18:19], v[18:19], v[26:27], v[2:3]
	v_fma_f64 v[20:21], v[20:21], v[26:27], v[0:1]
	ds_load_2addr_b64 v[0:3], v14 offset0:32 offset1:48
	s_waitcnt lgkmcnt(0)
	v_fma_f64 v[10:11], v[0:1], v[24:25], v[10:11]
	v_fma_f64 v[8:9], v[2:3], v[24:25], v[8:9]
	v_fma_f64 v[18:19], v[0:1], v[28:29], v[18:19]
	v_fma_f64 v[20:21], v[2:3], v[28:29], v[20:21]
	ds_load_2addr_b64 v[0:3], v14 offset0:64 offset1:80
	s_waitcnt lgkmcnt(0)
	v_fma_f64 v[10:11], v[0:1], v[30:31], v[10:11]
	v_fma_f64 v[8:9], v[2:3], v[30:31], v[8:9]
	;; [unrolled: 6-line block ×3, first 2 shown]
	v_fma_f64 v[34:35], v[0:1], v[36:37], v[18:19]
	v_fma_f64 v[36:37], v[2:3], v[36:37], v[20:21]
	ds_load_2addr_b64 v[0:3], v14 offset0:128 offset1:144
	ds_load_b128 v[8:11], v15 offset:32
	ds_load_b128 v[18:21], v15 offset:1056
	;; [unrolled: 1-line block ×4, first 2 shown]
	s_waitcnt lgkmcnt(3)
	v_fma_f64 v[30:31], v[0:1], v[8:9], v[30:31]
	v_fma_f64 v[8:9], v[2:3], v[8:9], v[32:33]
	s_waitcnt lgkmcnt(2)
	v_fma_f64 v[32:33], v[0:1], v[18:19], v[34:35]
	v_fma_f64 v[18:19], v[2:3], v[18:19], v[36:37]
	ds_load_2addr_b64 v[0:3], v14 offset0:160 offset1:176
	s_waitcnt lgkmcnt(0)
	v_fma_f64 v[30:31], v[0:1], v[10:11], v[30:31]
	v_fma_f64 v[8:9], v[2:3], v[10:11], v[8:9]
	;; [unrolled: 1-line block ×4, first 2 shown]
	ds_load_2addr_b64 v[0:3], v14 offset0:192 offset1:208
	s_waitcnt lgkmcnt(0)
	v_fma_f64 v[30:31], v[0:1], v[22:23], v[30:31]
	v_fma_f64 v[8:9], v[2:3], v[22:23], v[8:9]
	;; [unrolled: 1-line block ×4, first 2 shown]
	ds_load_2addr_b64 v[18:21], v14 offset0:224 offset1:240
	s_waitcnt lgkmcnt(0)
	s_barrier
	buffer_gl0_inv
	v_fma_f64 v[10:11], v[18:19], v[24:25], v[30:31]
	v_fma_f64 v[8:9], v[20:21], v[24:25], v[8:9]
	;; [unrolled: 1-line block ×4, first 2 shown]
	s_cbranch_vccz .LBB1498_2
.LBB1498_3:
	v_add_nc_u32_e32 v13, s23, v13
	s_load_b32 s4, s[0:1], 0x0
	s_delay_alu instid0(VALU_DEP_1) | instskip(SKIP_3) | instid1(VALU_DEP_3)
	v_ashrrev_i32_e32 v4, 31, v13
	s_waitcnt lgkmcnt(0)
	v_mul_lo_u32 v7, v13, s19
	v_mad_u64_u32 v[5:6], null, v13, s18, 0
	v_mul_lo_u32 v4, v4, s18
	s_delay_alu instid0(VALU_DEP_1) | instskip(SKIP_2) | instid1(VALU_DEP_3)
	v_add3_u32 v6, v6, v7, v4
	v_add_nc_u32_e32 v4, s22, v12
	v_cmp_gt_i32_e32 vcc_lo, s4, v13
	v_lshlrev_b64 v[5:6], 3, v[5:6]
	s_delay_alu instid0(VALU_DEP_3) | instskip(NEXT) | instid1(VALU_DEP_1)
	v_cmp_le_i32_e64 s0, v4, v13
	s_and_b32 s0, vcc_lo, s0
	s_delay_alu instid0(VALU_DEP_2) | instskip(NEXT) | instid1(VALU_DEP_1)
	v_add_co_u32 v12, s1, s2, v5
	v_add_co_ci_u32_e64 v14, s1, s3, v6, s1
	s_and_saveexec_b32 s1, s0
	s_cbranch_execz .LBB1498_5
; %bb.4:
	v_ashrrev_i32_e32 v5, 31, v4
	s_delay_alu instid0(VALU_DEP_1) | instskip(NEXT) | instid1(VALU_DEP_1)
	v_lshlrev_b64 v[5:6], 3, v[4:5]
	v_add_co_u32 v5, s0, v12, v5
	s_delay_alu instid0(VALU_DEP_1) | instskip(SKIP_3) | instid1(VALU_DEP_1)
	v_add_co_ci_u32_e64 v6, s0, v14, v6, s0
	global_load_b64 v[15:16], v[5:6], off
	s_waitcnt vmcnt(0)
	v_mul_f64 v[15:16], v[15:16], s[16:17]
	v_fma_f64 v[10:11], v[10:11], s[6:7], v[15:16]
	global_store_b64 v[5:6], v[10:11], off
.LBB1498_5:
	s_or_b32 exec_lo, exec_lo, s1
	v_add_nc_u32_e32 v6, 16, v4
	s_delay_alu instid0(VALU_DEP_1) | instskip(NEXT) | instid1(VALU_DEP_1)
	v_cmp_le_i32_e64 s0, v6, v13
	s_and_b32 s1, vcc_lo, s0
	s_delay_alu instid0(SALU_CYCLE_1)
	s_and_saveexec_b32 s0, s1
	s_cbranch_execz .LBB1498_7
; %bb.6:
	v_ashrrev_i32_e32 v7, 31, v6
	s_delay_alu instid0(VALU_DEP_1) | instskip(NEXT) | instid1(VALU_DEP_1)
	v_lshlrev_b64 v[10:11], 3, v[6:7]
	v_add_co_u32 v10, vcc_lo, v12, v10
	s_delay_alu instid0(VALU_DEP_2) | instskip(SKIP_3) | instid1(VALU_DEP_1)
	v_add_co_ci_u32_e32 v11, vcc_lo, v14, v11, vcc_lo
	global_load_b64 v[14:15], v[10:11], off
	s_waitcnt vmcnt(0)
	v_mul_f64 v[14:15], v[14:15], s[16:17]
	v_fma_f64 v[7:8], v[8:9], s[6:7], v[14:15]
	global_store_b64 v[10:11], v[7:8], off
.LBB1498_7:
	s_or_b32 exec_lo, exec_lo, s0
	v_add_nc_u32_e32 v7, 16, v13
	s_delay_alu instid0(VALU_DEP_1) | instskip(SKIP_3) | instid1(VALU_DEP_4)
	v_ashrrev_i32_e32 v5, 31, v7
	v_mul_lo_u32 v10, v7, s19
	v_mad_u64_u32 v[8:9], null, v7, s18, 0
	v_cmp_gt_i32_e32 vcc_lo, s4, v7
	v_mul_lo_u32 v5, v5, s18
	v_cmp_le_i32_e64 s0, v4, v7
	s_delay_alu instid0(VALU_DEP_1) | instskip(NEXT) | instid1(VALU_DEP_2)
	s_and_b32 s0, vcc_lo, s0
	v_add3_u32 v9, v9, v10, v5
	s_delay_alu instid0(VALU_DEP_1) | instskip(NEXT) | instid1(VALU_DEP_1)
	v_lshlrev_b64 v[8:9], 3, v[8:9]
	v_add_co_u32 v8, s1, s2, v8
	s_delay_alu instid0(VALU_DEP_1)
	v_add_co_ci_u32_e64 v9, s1, s3, v9, s1
	s_and_saveexec_b32 s1, s0
	s_cbranch_execz .LBB1498_9
; %bb.8:
	v_ashrrev_i32_e32 v5, 31, v4
	s_delay_alu instid0(VALU_DEP_1) | instskip(NEXT) | instid1(VALU_DEP_1)
	v_lshlrev_b64 v[4:5], 3, v[4:5]
	v_add_co_u32 v4, s0, v8, v4
	s_delay_alu instid0(VALU_DEP_1) | instskip(SKIP_3) | instid1(VALU_DEP_1)
	v_add_co_ci_u32_e64 v5, s0, v9, v5, s0
	global_load_b64 v[10:11], v[4:5], off
	s_waitcnt vmcnt(0)
	v_mul_f64 v[10:11], v[10:11], s[16:17]
	v_fma_f64 v[2:3], v[2:3], s[6:7], v[10:11]
	global_store_b64 v[4:5], v[2:3], off
.LBB1498_9:
	s_or_b32 exec_lo, exec_lo, s1
	v_cmp_le_i32_e64 s0, v6, v7
	s_delay_alu instid0(VALU_DEP_1) | instskip(NEXT) | instid1(SALU_CYCLE_1)
	s_and_b32 s0, vcc_lo, s0
	s_and_saveexec_b32 s1, s0
	s_cbranch_execz .LBB1498_11
; %bb.10:
	v_ashrrev_i32_e32 v7, 31, v6
	s_delay_alu instid0(VALU_DEP_1) | instskip(NEXT) | instid1(VALU_DEP_1)
	v_lshlrev_b64 v[2:3], 3, v[6:7]
	v_add_co_u32 v2, vcc_lo, v8, v2
	s_delay_alu instid0(VALU_DEP_2) | instskip(SKIP_3) | instid1(VALU_DEP_1)
	v_add_co_ci_u32_e32 v3, vcc_lo, v9, v3, vcc_lo
	global_load_b64 v[4:5], v[2:3], off
	s_waitcnt vmcnt(0)
	v_mul_f64 v[4:5], v[4:5], s[16:17]
	v_fma_f64 v[0:1], v[0:1], s[6:7], v[4:5]
	global_store_b64 v[2:3], v[0:1], off
.LBB1498_11:
	s_nop 0
	s_sendmsg sendmsg(MSG_DEALLOC_VGPRS)
	s_endpgm
	.section	.rodata,"a",@progbits
	.p2align	6, 0x0
	.amdhsa_kernel _ZL37rocblas_syrkx_herkx_restricted_kernelIldLi16ELi32ELi8ELb0ELb0ELc84ELc85EKPKdKPdEviT_T0_PT8_S5_lS8_S5_lS6_PT9_S5_li
		.amdhsa_group_segment_fixed_size 4096
		.amdhsa_private_segment_fixed_size 0
		.amdhsa_kernarg_size 108
		.amdhsa_user_sgpr_count 13
		.amdhsa_user_sgpr_dispatch_ptr 0
		.amdhsa_user_sgpr_queue_ptr 0
		.amdhsa_user_sgpr_kernarg_segment_ptr 1
		.amdhsa_user_sgpr_dispatch_id 0
		.amdhsa_user_sgpr_private_segment_size 0
		.amdhsa_wavefront_size32 1
		.amdhsa_uses_dynamic_stack 0
		.amdhsa_enable_private_segment 0
		.amdhsa_system_sgpr_workgroup_id_x 1
		.amdhsa_system_sgpr_workgroup_id_y 1
		.amdhsa_system_sgpr_workgroup_id_z 1
		.amdhsa_system_sgpr_workgroup_info 0
		.amdhsa_system_vgpr_workitem_id 1
		.amdhsa_next_free_vgpr 38
		.amdhsa_next_free_sgpr 24
		.amdhsa_reserve_vcc 1
		.amdhsa_float_round_mode_32 0
		.amdhsa_float_round_mode_16_64 0
		.amdhsa_float_denorm_mode_32 3
		.amdhsa_float_denorm_mode_16_64 3
		.amdhsa_dx10_clamp 1
		.amdhsa_ieee_mode 1
		.amdhsa_fp16_overflow 0
		.amdhsa_workgroup_processor_mode 1
		.amdhsa_memory_ordered 1
		.amdhsa_forward_progress 0
		.amdhsa_shared_vgpr_count 0
		.amdhsa_exception_fp_ieee_invalid_op 0
		.amdhsa_exception_fp_denorm_src 0
		.amdhsa_exception_fp_ieee_div_zero 0
		.amdhsa_exception_fp_ieee_overflow 0
		.amdhsa_exception_fp_ieee_underflow 0
		.amdhsa_exception_fp_ieee_inexact 0
		.amdhsa_exception_int_div_zero 0
	.end_amdhsa_kernel
	.section	.text._ZL37rocblas_syrkx_herkx_restricted_kernelIldLi16ELi32ELi8ELb0ELb0ELc84ELc85EKPKdKPdEviT_T0_PT8_S5_lS8_S5_lS6_PT9_S5_li,"axG",@progbits,_ZL37rocblas_syrkx_herkx_restricted_kernelIldLi16ELi32ELi8ELb0ELb0ELc84ELc85EKPKdKPdEviT_T0_PT8_S5_lS8_S5_lS6_PT9_S5_li,comdat
.Lfunc_end1498:
	.size	_ZL37rocblas_syrkx_herkx_restricted_kernelIldLi16ELi32ELi8ELb0ELb0ELc84ELc85EKPKdKPdEviT_T0_PT8_S5_lS8_S5_lS6_PT9_S5_li, .Lfunc_end1498-_ZL37rocblas_syrkx_herkx_restricted_kernelIldLi16ELi32ELi8ELb0ELb0ELc84ELc85EKPKdKPdEviT_T0_PT8_S5_lS8_S5_lS6_PT9_S5_li
                                        ; -- End function
	.section	.AMDGPU.csdata,"",@progbits
; Kernel info:
; codeLenInByte = 1568
; NumSgprs: 26
; NumVgprs: 38
; ScratchSize: 0
; MemoryBound: 0
; FloatMode: 240
; IeeeMode: 1
; LDSByteSize: 4096 bytes/workgroup (compile time only)
; SGPRBlocks: 3
; VGPRBlocks: 4
; NumSGPRsForWavesPerEU: 26
; NumVGPRsForWavesPerEU: 38
; Occupancy: 16
; WaveLimiterHint : 1
; COMPUTE_PGM_RSRC2:SCRATCH_EN: 0
; COMPUTE_PGM_RSRC2:USER_SGPR: 13
; COMPUTE_PGM_RSRC2:TRAP_HANDLER: 0
; COMPUTE_PGM_RSRC2:TGID_X_EN: 1
; COMPUTE_PGM_RSRC2:TGID_Y_EN: 1
; COMPUTE_PGM_RSRC2:TGID_Z_EN: 1
; COMPUTE_PGM_RSRC2:TIDIG_COMP_CNT: 1
	.section	.text._ZL37rocblas_syrkx_herkx_restricted_kernelIldLi16ELi32ELi8ELb0ELb0ELc67ELc85EKPKdKPdEviT_T0_PT8_S5_lS8_S5_lS6_PT9_S5_li,"axG",@progbits,_ZL37rocblas_syrkx_herkx_restricted_kernelIldLi16ELi32ELi8ELb0ELb0ELc67ELc85EKPKdKPdEviT_T0_PT8_S5_lS8_S5_lS6_PT9_S5_li,comdat
	.globl	_ZL37rocblas_syrkx_herkx_restricted_kernelIldLi16ELi32ELi8ELb0ELb0ELc67ELc85EKPKdKPdEviT_T0_PT8_S5_lS8_S5_lS6_PT9_S5_li ; -- Begin function _ZL37rocblas_syrkx_herkx_restricted_kernelIldLi16ELi32ELi8ELb0ELb0ELc67ELc85EKPKdKPdEviT_T0_PT8_S5_lS8_S5_lS6_PT9_S5_li
	.p2align	8
	.type	_ZL37rocblas_syrkx_herkx_restricted_kernelIldLi16ELi32ELi8ELb0ELb0ELc67ELc85EKPKdKPdEviT_T0_PT8_S5_lS8_S5_lS6_PT9_S5_li,@function
_ZL37rocblas_syrkx_herkx_restricted_kernelIldLi16ELi32ELi8ELb0ELb0ELc67ELc85EKPKdKPdEviT_T0_PT8_S5_lS8_S5_lS6_PT9_S5_li: ; @_ZL37rocblas_syrkx_herkx_restricted_kernelIldLi16ELi32ELi8ELb0ELb0ELc67ELc85EKPKdKPdEviT_T0_PT8_S5_lS8_S5_lS6_PT9_S5_li
; %bb.0:
	s_clause 0x1
	s_load_b128 s[16:19], s[0:1], 0x48
	s_load_b256 s[4:11], s[0:1], 0x8
	s_mov_b32 s2, s15
	s_mov_b32 s3, 0
	v_mov_b32_e32 v10, 0
	s_lshl_b64 s[20:21], s[2:3], 3
	v_dual_mov_b32 v11, 0 :: v_dual_and_b32 v12, 0x3ff, v0
	v_bfe_u32 v13, v0, 10, 10
	s_delay_alu instid0(VALU_DEP_3) | instskip(NEXT) | instid1(VALU_DEP_3)
	v_mov_b32_e32 v8, v10
	v_dual_mov_b32 v2, v10 :: v_dual_mov_b32 v3, v11
	v_dual_mov_b32 v9, v11 :: v_dual_mov_b32 v0, v10
	v_mov_b32_e32 v1, v11
	s_waitcnt lgkmcnt(0)
	s_add_u32 s2, s18, s20
	s_addc_u32 s3, s19, s21
	s_load_b64 s[18:19], s[0:1], 0x58
	s_load_b64 s[2:3], s[2:3], 0x0
	v_cmp_lt_i64_e64 s12, s[4:5], 1
	s_lshl_b32 s22, s13, 5
	s_lshl_b32 s23, s14, 5
	s_delay_alu instid0(VALU_DEP_1)
	s_and_b32 vcc_lo, exec_lo, s12
	s_cbranch_vccnz .LBB1499_3
; %bb.1:
	s_load_b128 s[12:15], s[0:1], 0x30
	v_lshl_add_u32 v2, v13, 4, v12
	v_dual_mov_b32 v1, 0 :: v_dual_and_b32 v0, 7, v12
	s_add_u32 s8, s8, s20
	s_addc_u32 s9, s9, s21
	s_delay_alu instid0(VALU_DEP_2) | instskip(SKIP_3) | instid1(VALU_DEP_3)
	v_lshrrev_b32_e32 v8, 3, v2
	v_and_b32_e32 v9, 31, v2
	v_lshrrev_b32_e32 v2, 5, v2
	s_load_b64 s[8:9], s[8:9], 0x0
	v_dual_mov_b32 v3, v1 :: v_dual_add_nc_u32 v6, s23, v8
	s_delay_alu instid0(VALU_DEP_3) | instskip(NEXT) | instid1(VALU_DEP_2)
	v_add_nc_u32_e32 v10, s22, v9
	v_ashrrev_i32_e32 v4, 31, v6
	s_delay_alu instid0(VALU_DEP_2)
	v_ashrrev_i32_e32 v11, 31, v10
	s_waitcnt lgkmcnt(0)
	s_add_u32 s12, s12, s20
	s_addc_u32 s13, s13, s21
	v_mul_lo_u32 v15, v4, s14
	s_load_b64 s[12:13], s[12:13], 0x0
	v_mul_lo_u32 v16, v6, s15
	v_mad_u64_u32 v[4:5], null, v6, s14, v[0:1]
	v_mad_u64_u32 v[6:7], null, s10, v10, v[2:3]
	v_mul_lo_u32 v1, s11, v10
	v_mul_lo_u32 v3, s10, v11
	v_lshlrev_b32_e32 v0, 3, v0
	v_add3_u32 v5, v15, v5, v16
	v_lshl_add_u32 v15, v13, 6, 0x800
	s_delay_alu instid0(VALU_DEP_3)
	v_lshl_or_b32 v8, v8, 6, v0
	v_add3_u32 v7, v1, v7, v3
	v_mov_b32_e32 v0, 0
	v_mov_b32_e32 v1, 0
	v_lshlrev_b32_e32 v9, 3, v9
	v_lshlrev_b64 v[4:5], 3, v[4:5]
	v_lshlrev_b32_e32 v14, 3, v12
	v_add_nc_u32_e32 v17, 0x800, v8
	v_mov_b32_e32 v11, v1
	v_lshl_or_b32 v16, v2, 8, v9
	v_lshlrev_b64 v[2:3], 3, v[6:7]
	s_waitcnt lgkmcnt(0)
	v_add_co_u32 v4, vcc_lo, s12, v4
	v_add_co_ci_u32_e32 v5, vcc_lo, s13, v5, vcc_lo
	v_dual_mov_b32 v9, v1 :: v_dual_mov_b32 v10, v0
	s_delay_alu instid0(VALU_DEP_4)
	v_add_co_u32 v6, vcc_lo, s8, v2
	v_add_co_ci_u32_e32 v7, vcc_lo, s9, v3, vcc_lo
	v_dual_mov_b32 v3, v1 :: v_dual_mov_b32 v2, v0
	v_mov_b32_e32 v8, v0
	s_mov_b64 s[8:9], 0
.LBB1499_2:                             ; =>This Inner Loop Header: Depth=1
	global_load_b64 v[18:19], v[6:7], off
	global_load_b64 v[20:21], v[4:5], off
	s_add_u32 s8, s8, 8
	v_add_co_u32 v4, vcc_lo, v4, 64
	s_addc_u32 s9, s9, 0
	v_add_co_ci_u32_e32 v5, vcc_lo, 0, v5, vcc_lo
	v_cmp_ge_u64_e64 s10, s[8:9], s[4:5]
	v_add_co_u32 v6, vcc_lo, v6, 64
	v_add_co_ci_u32_e32 v7, vcc_lo, 0, v7, vcc_lo
	s_waitcnt vmcnt(1)
	ds_store_b64 v16, v[18:19]
	s_waitcnt vmcnt(0)
	ds_store_b64 v17, v[20:21]
	s_waitcnt lgkmcnt(0)
	s_barrier
	buffer_gl0_inv
	ds_load_2addr_b64 v[18:21], v14 offset1:16
	ds_load_b128 v[22:25], v15
	ds_load_b128 v[26:29], v15 offset:1024
	ds_load_b128 v[30:33], v15 offset:16
	;; [unrolled: 1-line block ×3, first 2 shown]
	s_and_b32 vcc_lo, exec_lo, s10
	s_waitcnt lgkmcnt(3)
	v_fma_f64 v[10:11], v[18:19], v[22:23], v[10:11]
	v_fma_f64 v[8:9], v[20:21], v[22:23], v[8:9]
	s_waitcnt lgkmcnt(2)
	v_fma_f64 v[18:19], v[18:19], v[26:27], v[2:3]
	v_fma_f64 v[20:21], v[20:21], v[26:27], v[0:1]
	ds_load_2addr_b64 v[0:3], v14 offset0:32 offset1:48
	s_waitcnt lgkmcnt(0)
	v_fma_f64 v[10:11], v[0:1], v[24:25], v[10:11]
	v_fma_f64 v[8:9], v[2:3], v[24:25], v[8:9]
	v_fma_f64 v[18:19], v[0:1], v[28:29], v[18:19]
	v_fma_f64 v[20:21], v[2:3], v[28:29], v[20:21]
	ds_load_2addr_b64 v[0:3], v14 offset0:64 offset1:80
	s_waitcnt lgkmcnt(0)
	v_fma_f64 v[10:11], v[0:1], v[30:31], v[10:11]
	v_fma_f64 v[8:9], v[2:3], v[30:31], v[8:9]
	;; [unrolled: 6-line block ×3, first 2 shown]
	v_fma_f64 v[34:35], v[0:1], v[36:37], v[18:19]
	v_fma_f64 v[36:37], v[2:3], v[36:37], v[20:21]
	ds_load_2addr_b64 v[0:3], v14 offset0:128 offset1:144
	ds_load_b128 v[8:11], v15 offset:32
	ds_load_b128 v[18:21], v15 offset:1056
	;; [unrolled: 1-line block ×4, first 2 shown]
	s_waitcnt lgkmcnt(3)
	v_fma_f64 v[30:31], v[0:1], v[8:9], v[30:31]
	v_fma_f64 v[8:9], v[2:3], v[8:9], v[32:33]
	s_waitcnt lgkmcnt(2)
	v_fma_f64 v[32:33], v[0:1], v[18:19], v[34:35]
	v_fma_f64 v[18:19], v[2:3], v[18:19], v[36:37]
	ds_load_2addr_b64 v[0:3], v14 offset0:160 offset1:176
	s_waitcnt lgkmcnt(0)
	v_fma_f64 v[30:31], v[0:1], v[10:11], v[30:31]
	v_fma_f64 v[8:9], v[2:3], v[10:11], v[8:9]
	;; [unrolled: 1-line block ×4, first 2 shown]
	ds_load_2addr_b64 v[0:3], v14 offset0:192 offset1:208
	s_waitcnt lgkmcnt(0)
	v_fma_f64 v[30:31], v[0:1], v[22:23], v[30:31]
	v_fma_f64 v[8:9], v[2:3], v[22:23], v[8:9]
	;; [unrolled: 1-line block ×4, first 2 shown]
	ds_load_2addr_b64 v[18:21], v14 offset0:224 offset1:240
	s_waitcnt lgkmcnt(0)
	s_barrier
	buffer_gl0_inv
	v_fma_f64 v[10:11], v[18:19], v[24:25], v[30:31]
	v_fma_f64 v[8:9], v[20:21], v[24:25], v[8:9]
	;; [unrolled: 1-line block ×4, first 2 shown]
	s_cbranch_vccz .LBB1499_2
.LBB1499_3:
	v_add_nc_u32_e32 v13, s23, v13
	s_load_b32 s4, s[0:1], 0x0
	s_delay_alu instid0(VALU_DEP_1) | instskip(SKIP_3) | instid1(VALU_DEP_3)
	v_ashrrev_i32_e32 v4, 31, v13
	s_waitcnt lgkmcnt(0)
	v_mul_lo_u32 v7, v13, s19
	v_mad_u64_u32 v[5:6], null, v13, s18, 0
	v_mul_lo_u32 v4, v4, s18
	s_delay_alu instid0(VALU_DEP_1) | instskip(SKIP_2) | instid1(VALU_DEP_3)
	v_add3_u32 v6, v6, v7, v4
	v_add_nc_u32_e32 v4, s22, v12
	v_cmp_gt_i32_e32 vcc_lo, s4, v13
	v_lshlrev_b64 v[5:6], 3, v[5:6]
	s_delay_alu instid0(VALU_DEP_3) | instskip(NEXT) | instid1(VALU_DEP_1)
	v_cmp_le_i32_e64 s0, v4, v13
	s_and_b32 s0, vcc_lo, s0
	s_delay_alu instid0(VALU_DEP_2) | instskip(NEXT) | instid1(VALU_DEP_1)
	v_add_co_u32 v12, s1, s2, v5
	v_add_co_ci_u32_e64 v14, s1, s3, v6, s1
	s_and_saveexec_b32 s1, s0
	s_cbranch_execz .LBB1499_5
; %bb.4:
	v_ashrrev_i32_e32 v5, 31, v4
	s_delay_alu instid0(VALU_DEP_1) | instskip(NEXT) | instid1(VALU_DEP_1)
	v_lshlrev_b64 v[5:6], 3, v[4:5]
	v_add_co_u32 v5, s0, v12, v5
	s_delay_alu instid0(VALU_DEP_1) | instskip(SKIP_3) | instid1(VALU_DEP_1)
	v_add_co_ci_u32_e64 v6, s0, v14, v6, s0
	global_load_b64 v[15:16], v[5:6], off
	s_waitcnt vmcnt(0)
	v_mul_f64 v[15:16], v[15:16], s[16:17]
	v_fma_f64 v[10:11], v[10:11], s[6:7], v[15:16]
	global_store_b64 v[5:6], v[10:11], off
.LBB1499_5:
	s_or_b32 exec_lo, exec_lo, s1
	v_add_nc_u32_e32 v6, 16, v4
	s_delay_alu instid0(VALU_DEP_1) | instskip(NEXT) | instid1(VALU_DEP_1)
	v_cmp_le_i32_e64 s0, v6, v13
	s_and_b32 s1, vcc_lo, s0
	s_delay_alu instid0(SALU_CYCLE_1)
	s_and_saveexec_b32 s0, s1
	s_cbranch_execz .LBB1499_7
; %bb.6:
	v_ashrrev_i32_e32 v7, 31, v6
	s_delay_alu instid0(VALU_DEP_1) | instskip(NEXT) | instid1(VALU_DEP_1)
	v_lshlrev_b64 v[10:11], 3, v[6:7]
	v_add_co_u32 v10, vcc_lo, v12, v10
	s_delay_alu instid0(VALU_DEP_2) | instskip(SKIP_3) | instid1(VALU_DEP_1)
	v_add_co_ci_u32_e32 v11, vcc_lo, v14, v11, vcc_lo
	global_load_b64 v[14:15], v[10:11], off
	s_waitcnt vmcnt(0)
	v_mul_f64 v[14:15], v[14:15], s[16:17]
	v_fma_f64 v[7:8], v[8:9], s[6:7], v[14:15]
	global_store_b64 v[10:11], v[7:8], off
.LBB1499_7:
	s_or_b32 exec_lo, exec_lo, s0
	v_add_nc_u32_e32 v7, 16, v13
	s_delay_alu instid0(VALU_DEP_1) | instskip(SKIP_3) | instid1(VALU_DEP_4)
	v_ashrrev_i32_e32 v5, 31, v7
	v_mul_lo_u32 v10, v7, s19
	v_mad_u64_u32 v[8:9], null, v7, s18, 0
	v_cmp_gt_i32_e32 vcc_lo, s4, v7
	v_mul_lo_u32 v5, v5, s18
	v_cmp_le_i32_e64 s0, v4, v7
	s_delay_alu instid0(VALU_DEP_1) | instskip(NEXT) | instid1(VALU_DEP_2)
	s_and_b32 s0, vcc_lo, s0
	v_add3_u32 v9, v9, v10, v5
	s_delay_alu instid0(VALU_DEP_1) | instskip(NEXT) | instid1(VALU_DEP_1)
	v_lshlrev_b64 v[8:9], 3, v[8:9]
	v_add_co_u32 v8, s1, s2, v8
	s_delay_alu instid0(VALU_DEP_1)
	v_add_co_ci_u32_e64 v9, s1, s3, v9, s1
	s_and_saveexec_b32 s1, s0
	s_cbranch_execz .LBB1499_9
; %bb.8:
	v_ashrrev_i32_e32 v5, 31, v4
	s_delay_alu instid0(VALU_DEP_1) | instskip(NEXT) | instid1(VALU_DEP_1)
	v_lshlrev_b64 v[4:5], 3, v[4:5]
	v_add_co_u32 v4, s0, v8, v4
	s_delay_alu instid0(VALU_DEP_1) | instskip(SKIP_3) | instid1(VALU_DEP_1)
	v_add_co_ci_u32_e64 v5, s0, v9, v5, s0
	global_load_b64 v[10:11], v[4:5], off
	s_waitcnt vmcnt(0)
	v_mul_f64 v[10:11], v[10:11], s[16:17]
	v_fma_f64 v[2:3], v[2:3], s[6:7], v[10:11]
	global_store_b64 v[4:5], v[2:3], off
.LBB1499_9:
	s_or_b32 exec_lo, exec_lo, s1
	v_cmp_le_i32_e64 s0, v6, v7
	s_delay_alu instid0(VALU_DEP_1) | instskip(NEXT) | instid1(SALU_CYCLE_1)
	s_and_b32 s0, vcc_lo, s0
	s_and_saveexec_b32 s1, s0
	s_cbranch_execz .LBB1499_11
; %bb.10:
	v_ashrrev_i32_e32 v7, 31, v6
	s_delay_alu instid0(VALU_DEP_1) | instskip(NEXT) | instid1(VALU_DEP_1)
	v_lshlrev_b64 v[2:3], 3, v[6:7]
	v_add_co_u32 v2, vcc_lo, v8, v2
	s_delay_alu instid0(VALU_DEP_2) | instskip(SKIP_3) | instid1(VALU_DEP_1)
	v_add_co_ci_u32_e32 v3, vcc_lo, v9, v3, vcc_lo
	global_load_b64 v[4:5], v[2:3], off
	s_waitcnt vmcnt(0)
	v_mul_f64 v[4:5], v[4:5], s[16:17]
	v_fma_f64 v[0:1], v[0:1], s[6:7], v[4:5]
	global_store_b64 v[2:3], v[0:1], off
.LBB1499_11:
	s_nop 0
	s_sendmsg sendmsg(MSG_DEALLOC_VGPRS)
	s_endpgm
	.section	.rodata,"a",@progbits
	.p2align	6, 0x0
	.amdhsa_kernel _ZL37rocblas_syrkx_herkx_restricted_kernelIldLi16ELi32ELi8ELb0ELb0ELc67ELc85EKPKdKPdEviT_T0_PT8_S5_lS8_S5_lS6_PT9_S5_li
		.amdhsa_group_segment_fixed_size 4096
		.amdhsa_private_segment_fixed_size 0
		.amdhsa_kernarg_size 108
		.amdhsa_user_sgpr_count 13
		.amdhsa_user_sgpr_dispatch_ptr 0
		.amdhsa_user_sgpr_queue_ptr 0
		.amdhsa_user_sgpr_kernarg_segment_ptr 1
		.amdhsa_user_sgpr_dispatch_id 0
		.amdhsa_user_sgpr_private_segment_size 0
		.amdhsa_wavefront_size32 1
		.amdhsa_uses_dynamic_stack 0
		.amdhsa_enable_private_segment 0
		.amdhsa_system_sgpr_workgroup_id_x 1
		.amdhsa_system_sgpr_workgroup_id_y 1
		.amdhsa_system_sgpr_workgroup_id_z 1
		.amdhsa_system_sgpr_workgroup_info 0
		.amdhsa_system_vgpr_workitem_id 1
		.amdhsa_next_free_vgpr 38
		.amdhsa_next_free_sgpr 24
		.amdhsa_reserve_vcc 1
		.amdhsa_float_round_mode_32 0
		.amdhsa_float_round_mode_16_64 0
		.amdhsa_float_denorm_mode_32 3
		.amdhsa_float_denorm_mode_16_64 3
		.amdhsa_dx10_clamp 1
		.amdhsa_ieee_mode 1
		.amdhsa_fp16_overflow 0
		.amdhsa_workgroup_processor_mode 1
		.amdhsa_memory_ordered 1
		.amdhsa_forward_progress 0
		.amdhsa_shared_vgpr_count 0
		.amdhsa_exception_fp_ieee_invalid_op 0
		.amdhsa_exception_fp_denorm_src 0
		.amdhsa_exception_fp_ieee_div_zero 0
		.amdhsa_exception_fp_ieee_overflow 0
		.amdhsa_exception_fp_ieee_underflow 0
		.amdhsa_exception_fp_ieee_inexact 0
		.amdhsa_exception_int_div_zero 0
	.end_amdhsa_kernel
	.section	.text._ZL37rocblas_syrkx_herkx_restricted_kernelIldLi16ELi32ELi8ELb0ELb0ELc67ELc85EKPKdKPdEviT_T0_PT8_S5_lS8_S5_lS6_PT9_S5_li,"axG",@progbits,_ZL37rocblas_syrkx_herkx_restricted_kernelIldLi16ELi32ELi8ELb0ELb0ELc67ELc85EKPKdKPdEviT_T0_PT8_S5_lS8_S5_lS6_PT9_S5_li,comdat
.Lfunc_end1499:
	.size	_ZL37rocblas_syrkx_herkx_restricted_kernelIldLi16ELi32ELi8ELb0ELb0ELc67ELc85EKPKdKPdEviT_T0_PT8_S5_lS8_S5_lS6_PT9_S5_li, .Lfunc_end1499-_ZL37rocblas_syrkx_herkx_restricted_kernelIldLi16ELi32ELi8ELb0ELb0ELc67ELc85EKPKdKPdEviT_T0_PT8_S5_lS8_S5_lS6_PT9_S5_li
                                        ; -- End function
	.section	.AMDGPU.csdata,"",@progbits
; Kernel info:
; codeLenInByte = 1568
; NumSgprs: 26
; NumVgprs: 38
; ScratchSize: 0
; MemoryBound: 0
; FloatMode: 240
; IeeeMode: 1
; LDSByteSize: 4096 bytes/workgroup (compile time only)
; SGPRBlocks: 3
; VGPRBlocks: 4
; NumSGPRsForWavesPerEU: 26
; NumVGPRsForWavesPerEU: 38
; Occupancy: 16
; WaveLimiterHint : 1
; COMPUTE_PGM_RSRC2:SCRATCH_EN: 0
; COMPUTE_PGM_RSRC2:USER_SGPR: 13
; COMPUTE_PGM_RSRC2:TRAP_HANDLER: 0
; COMPUTE_PGM_RSRC2:TGID_X_EN: 1
; COMPUTE_PGM_RSRC2:TGID_Y_EN: 1
; COMPUTE_PGM_RSRC2:TGID_Z_EN: 1
; COMPUTE_PGM_RSRC2:TIDIG_COMP_CNT: 1
	.section	.text._ZL37rocblas_syrkx_herkx_restricted_kernelIldLi16ELi32ELi8ELb0ELb0ELc78ELc85EKPKdKPdEviT_T0_PT8_S5_lS8_S5_lS6_PT9_S5_li,"axG",@progbits,_ZL37rocblas_syrkx_herkx_restricted_kernelIldLi16ELi32ELi8ELb0ELb0ELc78ELc85EKPKdKPdEviT_T0_PT8_S5_lS8_S5_lS6_PT9_S5_li,comdat
	.globl	_ZL37rocblas_syrkx_herkx_restricted_kernelIldLi16ELi32ELi8ELb0ELb0ELc78ELc85EKPKdKPdEviT_T0_PT8_S5_lS8_S5_lS6_PT9_S5_li ; -- Begin function _ZL37rocblas_syrkx_herkx_restricted_kernelIldLi16ELi32ELi8ELb0ELb0ELc78ELc85EKPKdKPdEviT_T0_PT8_S5_lS8_S5_lS6_PT9_S5_li
	.p2align	8
	.type	_ZL37rocblas_syrkx_herkx_restricted_kernelIldLi16ELi32ELi8ELb0ELb0ELc78ELc85EKPKdKPdEviT_T0_PT8_S5_lS8_S5_lS6_PT9_S5_li,@function
_ZL37rocblas_syrkx_herkx_restricted_kernelIldLi16ELi32ELi8ELb0ELb0ELc78ELc85EKPKdKPdEviT_T0_PT8_S5_lS8_S5_lS6_PT9_S5_li: ; @_ZL37rocblas_syrkx_herkx_restricted_kernelIldLi16ELi32ELi8ELb0ELb0ELc78ELc85EKPKdKPdEviT_T0_PT8_S5_lS8_S5_lS6_PT9_S5_li
; %bb.0:
	s_clause 0x1
	s_load_b128 s[16:19], s[0:1], 0x48
	s_load_b256 s[4:11], s[0:1], 0x8
	s_mov_b32 s2, s15
	s_mov_b32 s3, 0
	v_mov_b32_e32 v10, 0
	s_lshl_b64 s[20:21], s[2:3], 3
	v_dual_mov_b32 v11, 0 :: v_dual_and_b32 v12, 0x3ff, v0
	v_bfe_u32 v13, v0, 10, 10
	s_delay_alu instid0(VALU_DEP_3) | instskip(NEXT) | instid1(VALU_DEP_3)
	v_mov_b32_e32 v4, v10
	v_dual_mov_b32 v2, v10 :: v_dual_mov_b32 v3, v11
	v_dual_mov_b32 v5, v11 :: v_dual_mov_b32 v0, v10
	v_mov_b32_e32 v1, v11
	s_waitcnt lgkmcnt(0)
	s_add_u32 s2, s18, s20
	s_addc_u32 s3, s19, s21
	s_load_b64 s[18:19], s[0:1], 0x58
	s_load_b64 s[2:3], s[2:3], 0x0
	v_cmp_lt_i64_e64 s12, s[4:5], 1
	s_lshl_b32 s22, s13, 5
	s_lshl_b32 s23, s14, 5
	s_delay_alu instid0(VALU_DEP_1)
	s_and_b32 vcc_lo, exec_lo, s12
	s_cbranch_vccnz .LBB1500_3
; %bb.1:
	s_load_b128 s[12:15], s[0:1], 0x30
	v_lshl_add_u32 v3, v13, 4, v12
	v_and_b32_e32 v15, 7, v12
	s_add_u32 s8, s8, s20
	s_addc_u32 s9, s9, s21
	s_delay_alu instid0(VALU_DEP_2) | instskip(SKIP_2) | instid1(VALU_DEP_2)
	v_lshrrev_b32_e32 v10, 3, v3
	v_lshrrev_b32_e32 v16, 5, v3
	s_load_b64 s[8:9], s[8:9], 0x0
	v_add_nc_u32_e32 v0, s23, v10
	s_delay_alu instid0(VALU_DEP_1) | instskip(SKIP_2) | instid1(VALU_DEP_1)
	v_ashrrev_i32_e32 v1, 31, v0
	s_waitcnt lgkmcnt(0)
	s_add_u32 s12, s12, s20
	v_mad_u64_u32 v[4:5], null, v15, s14, v[0:1]
	v_and_b32_e32 v11, 31, v3
	s_addc_u32 s13, s13, s21
	s_load_b64 s[12:13], s[12:13], 0x0
	s_delay_alu instid0(VALU_DEP_2) | instskip(NEXT) | instid1(VALU_DEP_2)
	v_mov_b32_e32 v0, v5
	v_add_nc_u32_e32 v2, s22, v11
	v_lshlrev_b32_e32 v11, 3, v11
	s_delay_alu instid0(VALU_DEP_2) | instskip(NEXT) | instid1(VALU_DEP_1)
	v_ashrrev_i32_e32 v3, 31, v2
	v_mad_u64_u32 v[6:7], null, v16, s10, v[2:3]
	s_delay_alu instid0(VALU_DEP_1) | instskip(SKIP_3) | instid1(VALU_DEP_4)
	v_mov_b32_e32 v2, v7
	v_mad_u64_u32 v[7:8], null, v15, s15, v[0:1]
	v_mov_b32_e32 v0, 0
	v_mov_b32_e32 v1, 0
	v_mad_u64_u32 v[8:9], null, v16, s11, v[2:3]
	v_lshlrev_b32_e32 v9, 3, v15
	s_delay_alu instid0(VALU_DEP_3) | instskip(SKIP_1) | instid1(VALU_DEP_3)
	v_dual_mov_b32 v3, v1 :: v_dual_lshlrev_b32 v14, 3, v12
	v_dual_mov_b32 v5, v7 :: v_dual_mov_b32 v2, v0
	v_lshl_or_b32 v10, v10, 6, v9
	v_mov_b32_e32 v7, v8
	v_lshl_or_b32 v16, v16, 8, v11
	s_delay_alu instid0(VALU_DEP_4)
	v_lshlrev_b64 v[8:9], 3, v[4:5]
	v_lshl_add_u32 v15, v13, 6, 0x800
	v_add_nc_u32_e32 v17, 0x800, v10
	v_lshlrev_b64 v[10:11], 3, v[6:7]
	v_dual_mov_b32 v5, v1 :: v_dual_mov_b32 v4, v0
	s_waitcnt lgkmcnt(0)
	v_add_co_u32 v6, vcc_lo, s12, v8
	v_add_co_ci_u32_e32 v7, vcc_lo, s13, v9, vcc_lo
	s_delay_alu instid0(VALU_DEP_4)
	v_add_co_u32 v8, vcc_lo, s8, v10
	v_add_co_ci_u32_e32 v9, vcc_lo, s9, v11, vcc_lo
	v_dual_mov_b32 v11, v1 :: v_dual_mov_b32 v10, v0
	s_lshl_b64 s[8:9], s[14:15], 6
	s_lshl_b64 s[10:11], s[10:11], 6
	s_mov_b64 s[12:13], 0
.LBB1500_2:                             ; =>This Inner Loop Header: Depth=1
	global_load_b64 v[18:19], v[8:9], off
	global_load_b64 v[20:21], v[6:7], off
	s_add_u32 s12, s12, 8
	v_add_co_u32 v6, vcc_lo, v6, s8
	s_addc_u32 s13, s13, 0
	v_add_co_ci_u32_e32 v7, vcc_lo, s9, v7, vcc_lo
	v_cmp_ge_u64_e64 s14, s[12:13], s[4:5]
	v_add_co_u32 v8, vcc_lo, v8, s10
	v_add_co_ci_u32_e32 v9, vcc_lo, s11, v9, vcc_lo
	s_waitcnt vmcnt(1)
	ds_store_b64 v16, v[18:19]
	s_waitcnt vmcnt(0)
	ds_store_b64 v17, v[20:21]
	s_waitcnt lgkmcnt(0)
	s_barrier
	buffer_gl0_inv
	ds_load_2addr_b64 v[18:21], v14 offset1:16
	ds_load_b128 v[22:25], v15
	ds_load_b128 v[26:29], v15 offset:1024
	ds_load_b128 v[30:33], v15 offset:16
	;; [unrolled: 1-line block ×3, first 2 shown]
	s_and_b32 vcc_lo, exec_lo, s14
	s_waitcnt lgkmcnt(3)
	v_fma_f64 v[10:11], v[18:19], v[22:23], v[10:11]
	v_fma_f64 v[4:5], v[20:21], v[22:23], v[4:5]
	s_waitcnt lgkmcnt(2)
	v_fma_f64 v[18:19], v[18:19], v[26:27], v[2:3]
	v_fma_f64 v[20:21], v[20:21], v[26:27], v[0:1]
	ds_load_2addr_b64 v[0:3], v14 offset0:32 offset1:48
	s_waitcnt lgkmcnt(0)
	v_fma_f64 v[10:11], v[0:1], v[24:25], v[10:11]
	v_fma_f64 v[4:5], v[2:3], v[24:25], v[4:5]
	v_fma_f64 v[18:19], v[0:1], v[28:29], v[18:19]
	v_fma_f64 v[20:21], v[2:3], v[28:29], v[20:21]
	ds_load_2addr_b64 v[0:3], v14 offset0:64 offset1:80
	s_waitcnt lgkmcnt(0)
	v_fma_f64 v[10:11], v[0:1], v[30:31], v[10:11]
	v_fma_f64 v[4:5], v[2:3], v[30:31], v[4:5]
	;; [unrolled: 6-line block ×3, first 2 shown]
	v_fma_f64 v[34:35], v[0:1], v[36:37], v[18:19]
	v_fma_f64 v[36:37], v[2:3], v[36:37], v[20:21]
	ds_load_2addr_b64 v[0:3], v14 offset0:128 offset1:144
	ds_load_b128 v[18:21], v15 offset:32
	ds_load_b128 v[22:25], v15 offset:1056
	ds_load_b128 v[26:29], v15 offset:48
	ds_load_b128 v[30:33], v15 offset:1072
	s_waitcnt lgkmcnt(3)
	v_fma_f64 v[10:11], v[0:1], v[18:19], v[10:11]
	v_fma_f64 v[4:5], v[2:3], v[18:19], v[4:5]
	s_waitcnt lgkmcnt(2)
	v_fma_f64 v[18:19], v[0:1], v[22:23], v[34:35]
	v_fma_f64 v[22:23], v[2:3], v[22:23], v[36:37]
	ds_load_2addr_b64 v[0:3], v14 offset0:160 offset1:176
	s_waitcnt lgkmcnt(0)
	v_fma_f64 v[10:11], v[0:1], v[20:21], v[10:11]
	v_fma_f64 v[4:5], v[2:3], v[20:21], v[4:5]
	;; [unrolled: 1-line block ×4, first 2 shown]
	ds_load_2addr_b64 v[0:3], v14 offset0:192 offset1:208
	s_waitcnt lgkmcnt(0)
	v_fma_f64 v[10:11], v[0:1], v[26:27], v[10:11]
	v_fma_f64 v[4:5], v[2:3], v[26:27], v[4:5]
	;; [unrolled: 1-line block ×4, first 2 shown]
	ds_load_2addr_b64 v[18:21], v14 offset0:224 offset1:240
	s_waitcnt lgkmcnt(0)
	s_barrier
	buffer_gl0_inv
	v_fma_f64 v[10:11], v[18:19], v[28:29], v[10:11]
	v_fma_f64 v[4:5], v[20:21], v[28:29], v[4:5]
	;; [unrolled: 1-line block ×4, first 2 shown]
	s_cbranch_vccz .LBB1500_2
.LBB1500_3:
	v_add_nc_u32_e32 v13, s23, v13
	s_load_b32 s4, s[0:1], 0x0
	s_delay_alu instid0(VALU_DEP_1) | instskip(SKIP_3) | instid1(VALU_DEP_3)
	v_ashrrev_i32_e32 v6, 31, v13
	s_waitcnt lgkmcnt(0)
	v_mul_lo_u32 v9, v13, s19
	v_mad_u64_u32 v[7:8], null, v13, s18, 0
	v_mul_lo_u32 v6, v6, s18
	s_delay_alu instid0(VALU_DEP_1) | instskip(SKIP_2) | instid1(VALU_DEP_3)
	v_add3_u32 v8, v8, v9, v6
	v_add_nc_u32_e32 v6, s22, v12
	v_cmp_gt_i32_e32 vcc_lo, s4, v13
	v_lshlrev_b64 v[7:8], 3, v[7:8]
	s_delay_alu instid0(VALU_DEP_3) | instskip(NEXT) | instid1(VALU_DEP_1)
	v_cmp_le_i32_e64 s0, v6, v13
	s_and_b32 s0, vcc_lo, s0
	s_delay_alu instid0(VALU_DEP_2) | instskip(NEXT) | instid1(VALU_DEP_1)
	v_add_co_u32 v12, s1, s2, v7
	v_add_co_ci_u32_e64 v14, s1, s3, v8, s1
	s_and_saveexec_b32 s1, s0
	s_cbranch_execz .LBB1500_5
; %bb.4:
	v_ashrrev_i32_e32 v7, 31, v6
	s_delay_alu instid0(VALU_DEP_1) | instskip(NEXT) | instid1(VALU_DEP_1)
	v_lshlrev_b64 v[7:8], 3, v[6:7]
	v_add_co_u32 v7, s0, v12, v7
	s_delay_alu instid0(VALU_DEP_1) | instskip(SKIP_3) | instid1(VALU_DEP_1)
	v_add_co_ci_u32_e64 v8, s0, v14, v8, s0
	global_load_b64 v[15:16], v[7:8], off
	s_waitcnt vmcnt(0)
	v_mul_f64 v[15:16], v[15:16], s[16:17]
	v_fma_f64 v[9:10], v[10:11], s[6:7], v[15:16]
	global_store_b64 v[7:8], v[9:10], off
.LBB1500_5:
	s_or_b32 exec_lo, exec_lo, s1
	v_add_nc_u32_e32 v8, 16, v6
	s_delay_alu instid0(VALU_DEP_1) | instskip(NEXT) | instid1(VALU_DEP_1)
	v_cmp_le_i32_e64 s0, v8, v13
	s_and_b32 s1, vcc_lo, s0
	s_delay_alu instid0(SALU_CYCLE_1)
	s_and_saveexec_b32 s0, s1
	s_cbranch_execz .LBB1500_7
; %bb.6:
	v_ashrrev_i32_e32 v9, 31, v8
	s_delay_alu instid0(VALU_DEP_1) | instskip(NEXT) | instid1(VALU_DEP_1)
	v_lshlrev_b64 v[9:10], 3, v[8:9]
	v_add_co_u32 v9, vcc_lo, v12, v9
	s_delay_alu instid0(VALU_DEP_2) | instskip(SKIP_3) | instid1(VALU_DEP_1)
	v_add_co_ci_u32_e32 v10, vcc_lo, v14, v10, vcc_lo
	global_load_b64 v[11:12], v[9:10], off
	s_waitcnt vmcnt(0)
	v_mul_f64 v[11:12], v[11:12], s[16:17]
	v_fma_f64 v[4:5], v[4:5], s[6:7], v[11:12]
	global_store_b64 v[9:10], v[4:5], off
.LBB1500_7:
	s_or_b32 exec_lo, exec_lo, s0
	v_add_nc_u32_e32 v4, 16, v13
	s_delay_alu instid0(VALU_DEP_1) | instskip(SKIP_3) | instid1(VALU_DEP_4)
	v_ashrrev_i32_e32 v5, 31, v4
	v_mul_lo_u32 v7, v4, s19
	v_mad_u64_u32 v[9:10], null, v4, s18, 0
	v_cmp_gt_i32_e32 vcc_lo, s4, v4
	v_mul_lo_u32 v5, v5, s18
	v_cmp_le_i32_e64 s0, v6, v4
	s_delay_alu instid0(VALU_DEP_1) | instskip(NEXT) | instid1(VALU_DEP_2)
	s_and_b32 s0, vcc_lo, s0
	v_add3_u32 v10, v10, v7, v5
	s_delay_alu instid0(VALU_DEP_1) | instskip(NEXT) | instid1(VALU_DEP_1)
	v_lshlrev_b64 v[9:10], 3, v[9:10]
	v_add_co_u32 v5, s1, s2, v9
	s_delay_alu instid0(VALU_DEP_1)
	v_add_co_ci_u32_e64 v10, s1, s3, v10, s1
	s_and_saveexec_b32 s1, s0
	s_cbranch_execz .LBB1500_9
; %bb.8:
	v_ashrrev_i32_e32 v7, 31, v6
	s_delay_alu instid0(VALU_DEP_1) | instskip(NEXT) | instid1(VALU_DEP_1)
	v_lshlrev_b64 v[6:7], 3, v[6:7]
	v_add_co_u32 v6, s0, v5, v6
	s_delay_alu instid0(VALU_DEP_1) | instskip(SKIP_3) | instid1(VALU_DEP_1)
	v_add_co_ci_u32_e64 v7, s0, v10, v7, s0
	global_load_b64 v[11:12], v[6:7], off
	s_waitcnt vmcnt(0)
	v_mul_f64 v[11:12], v[11:12], s[16:17]
	v_fma_f64 v[2:3], v[2:3], s[6:7], v[11:12]
	global_store_b64 v[6:7], v[2:3], off
.LBB1500_9:
	s_or_b32 exec_lo, exec_lo, s1
	v_cmp_le_i32_e64 s0, v8, v4
	s_delay_alu instid0(VALU_DEP_1) | instskip(NEXT) | instid1(SALU_CYCLE_1)
	s_and_b32 s0, vcc_lo, s0
	s_and_saveexec_b32 s1, s0
	s_cbranch_execz .LBB1500_11
; %bb.10:
	v_ashrrev_i32_e32 v9, 31, v8
	s_delay_alu instid0(VALU_DEP_1) | instskip(NEXT) | instid1(VALU_DEP_1)
	v_lshlrev_b64 v[2:3], 3, v[8:9]
	v_add_co_u32 v2, vcc_lo, v5, v2
	s_delay_alu instid0(VALU_DEP_2) | instskip(SKIP_3) | instid1(VALU_DEP_1)
	v_add_co_ci_u32_e32 v3, vcc_lo, v10, v3, vcc_lo
	global_load_b64 v[4:5], v[2:3], off
	s_waitcnt vmcnt(0)
	v_mul_f64 v[4:5], v[4:5], s[16:17]
	v_fma_f64 v[0:1], v[0:1], s[6:7], v[4:5]
	global_store_b64 v[2:3], v[0:1], off
.LBB1500_11:
	s_nop 0
	s_sendmsg sendmsg(MSG_DEALLOC_VGPRS)
	s_endpgm
	.section	.rodata,"a",@progbits
	.p2align	6, 0x0
	.amdhsa_kernel _ZL37rocblas_syrkx_herkx_restricted_kernelIldLi16ELi32ELi8ELb0ELb0ELc78ELc85EKPKdKPdEviT_T0_PT8_S5_lS8_S5_lS6_PT9_S5_li
		.amdhsa_group_segment_fixed_size 4096
		.amdhsa_private_segment_fixed_size 0
		.amdhsa_kernarg_size 108
		.amdhsa_user_sgpr_count 13
		.amdhsa_user_sgpr_dispatch_ptr 0
		.amdhsa_user_sgpr_queue_ptr 0
		.amdhsa_user_sgpr_kernarg_segment_ptr 1
		.amdhsa_user_sgpr_dispatch_id 0
		.amdhsa_user_sgpr_private_segment_size 0
		.amdhsa_wavefront_size32 1
		.amdhsa_uses_dynamic_stack 0
		.amdhsa_enable_private_segment 0
		.amdhsa_system_sgpr_workgroup_id_x 1
		.amdhsa_system_sgpr_workgroup_id_y 1
		.amdhsa_system_sgpr_workgroup_id_z 1
		.amdhsa_system_sgpr_workgroup_info 0
		.amdhsa_system_vgpr_workitem_id 1
		.amdhsa_next_free_vgpr 38
		.amdhsa_next_free_sgpr 24
		.amdhsa_reserve_vcc 1
		.amdhsa_float_round_mode_32 0
		.amdhsa_float_round_mode_16_64 0
		.amdhsa_float_denorm_mode_32 3
		.amdhsa_float_denorm_mode_16_64 3
		.amdhsa_dx10_clamp 1
		.amdhsa_ieee_mode 1
		.amdhsa_fp16_overflow 0
		.amdhsa_workgroup_processor_mode 1
		.amdhsa_memory_ordered 1
		.amdhsa_forward_progress 0
		.amdhsa_shared_vgpr_count 0
		.amdhsa_exception_fp_ieee_invalid_op 0
		.amdhsa_exception_fp_denorm_src 0
		.amdhsa_exception_fp_ieee_div_zero 0
		.amdhsa_exception_fp_ieee_overflow 0
		.amdhsa_exception_fp_ieee_underflow 0
		.amdhsa_exception_fp_ieee_inexact 0
		.amdhsa_exception_int_div_zero 0
	.end_amdhsa_kernel
	.section	.text._ZL37rocblas_syrkx_herkx_restricted_kernelIldLi16ELi32ELi8ELb0ELb0ELc78ELc85EKPKdKPdEviT_T0_PT8_S5_lS8_S5_lS6_PT9_S5_li,"axG",@progbits,_ZL37rocblas_syrkx_herkx_restricted_kernelIldLi16ELi32ELi8ELb0ELb0ELc78ELc85EKPKdKPdEviT_T0_PT8_S5_lS8_S5_lS6_PT9_S5_li,comdat
.Lfunc_end1500:
	.size	_ZL37rocblas_syrkx_herkx_restricted_kernelIldLi16ELi32ELi8ELb0ELb0ELc78ELc85EKPKdKPdEviT_T0_PT8_S5_lS8_S5_lS6_PT9_S5_li, .Lfunc_end1500-_ZL37rocblas_syrkx_herkx_restricted_kernelIldLi16ELi32ELi8ELb0ELb0ELc78ELc85EKPKdKPdEviT_T0_PT8_S5_lS8_S5_lS6_PT9_S5_li
                                        ; -- End function
	.section	.AMDGPU.csdata,"",@progbits
; Kernel info:
; codeLenInByte = 1564
; NumSgprs: 26
; NumVgprs: 38
; ScratchSize: 0
; MemoryBound: 0
; FloatMode: 240
; IeeeMode: 1
; LDSByteSize: 4096 bytes/workgroup (compile time only)
; SGPRBlocks: 3
; VGPRBlocks: 4
; NumSGPRsForWavesPerEU: 26
; NumVGPRsForWavesPerEU: 38
; Occupancy: 16
; WaveLimiterHint : 1
; COMPUTE_PGM_RSRC2:SCRATCH_EN: 0
; COMPUTE_PGM_RSRC2:USER_SGPR: 13
; COMPUTE_PGM_RSRC2:TRAP_HANDLER: 0
; COMPUTE_PGM_RSRC2:TGID_X_EN: 1
; COMPUTE_PGM_RSRC2:TGID_Y_EN: 1
; COMPUTE_PGM_RSRC2:TGID_Z_EN: 1
; COMPUTE_PGM_RSRC2:TIDIG_COMP_CNT: 1
	.section	.text._ZL41rocblas_syrkx_herkx_small_restrict_kernelIldLi16ELb1ELb0ELc84ELc76EKPKdKPdEviT_T0_PT6_S5_lS8_S5_lS6_PT7_S5_li,"axG",@progbits,_ZL41rocblas_syrkx_herkx_small_restrict_kernelIldLi16ELb1ELb0ELc84ELc76EKPKdKPdEviT_T0_PT6_S5_lS8_S5_lS6_PT7_S5_li,comdat
	.globl	_ZL41rocblas_syrkx_herkx_small_restrict_kernelIldLi16ELb1ELb0ELc84ELc76EKPKdKPdEviT_T0_PT6_S5_lS8_S5_lS6_PT7_S5_li ; -- Begin function _ZL41rocblas_syrkx_herkx_small_restrict_kernelIldLi16ELb1ELb0ELc84ELc76EKPKdKPdEviT_T0_PT6_S5_lS8_S5_lS6_PT7_S5_li
	.p2align	8
	.type	_ZL41rocblas_syrkx_herkx_small_restrict_kernelIldLi16ELb1ELb0ELc84ELc76EKPKdKPdEviT_T0_PT6_S5_lS8_S5_lS6_PT7_S5_li,@function
_ZL41rocblas_syrkx_herkx_small_restrict_kernelIldLi16ELb1ELb0ELc84ELc76EKPKdKPdEviT_T0_PT6_S5_lS8_S5_lS6_PT7_S5_li: ; @_ZL41rocblas_syrkx_herkx_small_restrict_kernelIldLi16ELb1ELb0ELc84ELc76EKPKdKPdEviT_T0_PT6_S5_lS8_S5_lS6_PT7_S5_li
; %bb.0:
	s_clause 0x1
	s_load_b128 s[16:19], s[0:1], 0x50
	s_load_b256 s[4:11], s[0:1], 0x8
	s_mov_b32 s2, s15
	s_mov_b32 s3, 0
	v_and_b32_e32 v2, 0x3ff, v0
	s_lshl_b64 s[20:21], s[2:3], 3
	v_bfe_u32 v3, v0, 10, 10
	s_delay_alu instid0(VALU_DEP_2) | instskip(NEXT) | instid1(VALU_DEP_2)
	v_lshl_add_u32 v0, s13, 4, v2
	v_lshl_add_u32 v8, s14, 4, v3
	s_delay_alu instid0(VALU_DEP_2) | instskip(NEXT) | instid1(VALU_DEP_2)
	v_ashrrev_i32_e32 v1, 31, v0
	v_ashrrev_i32_e32 v9, 31, v8
	s_waitcnt lgkmcnt(0)
	s_add_u32 s2, s16, s20
	s_addc_u32 s3, s17, s21
	v_cmp_lt_i64_e64 s12, s[4:5], 1
	s_load_b64 s[2:3], s[2:3], 0x0
	s_delay_alu instid0(VALU_DEP_1)
	s_and_b32 vcc_lo, exec_lo, s12
	s_cbranch_vccnz .LBB1501_6
; %bb.1:
	s_load_b128 s[12:15], s[0:1], 0x30
	v_mul_lo_u32 v6, v0, s11
	v_mul_lo_u32 v7, v1, s10
	v_mad_u64_u32 v[4:5], null, v0, s10, 0
	v_lshlrev_b32_e32 v10, 3, v2
	v_lshlrev_b32_e32 v15, 7, v3
	;; [unrolled: 1-line block ×3, first 2 shown]
	s_delay_alu instid0(VALU_DEP_4) | instskip(SKIP_2) | instid1(VALU_DEP_3)
	v_add3_u32 v5, v5, v6, v7
	v_mov_b32_e32 v6, 0
	v_mov_b32_e32 v7, 0
	v_lshlrev_b64 v[4:5], 3, v[4:5]
	s_waitcnt lgkmcnt(0)
	s_add_u32 s0, s12, s20
	s_addc_u32 s1, s13, s21
	s_add_u32 s8, s8, s20
	s_load_b64 s[0:1], s[0:1], 0x0
	s_addc_u32 s9, s9, s21
	v_mul_lo_u32 v11, v8, s15
	s_load_b64 s[8:9], s[8:9], 0x0
	v_mul_lo_u32 v12, v9, s14
	v_mad_u64_u32 v[13:14], null, v8, s14, 0
	s_delay_alu instid0(VALU_DEP_1) | instskip(SKIP_2) | instid1(VALU_DEP_3)
	v_add3_u32 v14, v14, v11, v12
	v_add_nc_u32_e32 v11, v10, v15
	v_add_nc_u32_e32 v12, 0x800, v15
	v_lshlrev_b64 v[2:3], 3, v[13:14]
	s_waitcnt lgkmcnt(0)
	v_add_co_u32 v13, s0, s0, v10
	s_delay_alu instid0(VALU_DEP_1) | instskip(SKIP_1) | instid1(VALU_DEP_1)
	v_add_co_ci_u32_e64 v14, null, s1, 0, s0
	v_add_co_u32 v15, s0, s8, v16
	v_add_co_ci_u32_e64 v16, null, s9, 0, s0
	s_delay_alu instid0(VALU_DEP_4) | instskip(NEXT) | instid1(VALU_DEP_4)
	v_add_co_u32 v2, vcc_lo, v13, v2
	v_add_co_ci_u32_e32 v3, vcc_lo, v14, v3, vcc_lo
	s_delay_alu instid0(VALU_DEP_4) | instskip(NEXT) | instid1(VALU_DEP_4)
	v_add_co_u32 v4, vcc_lo, v15, v4
	v_add_co_ci_u32_e32 v5, vcc_lo, v16, v5, vcc_lo
	v_add_nc_u32_e32 v13, v12, v10
	s_mov_b64 s[0:1], 0
.LBB1501_2:                             ; =>This Inner Loop Header: Depth=1
	global_load_b64 v[14:15], v[4:5], off
	global_load_b64 v[16:17], v[2:3], off
	s_add_u32 s0, s0, 16
	v_add_co_u32 v2, vcc_lo, 0x80, v2
	s_addc_u32 s1, s1, 0
	v_add_co_ci_u32_e32 v3, vcc_lo, 0, v3, vcc_lo
	v_cmp_lt_i64_e64 s8, s[0:1], s[4:5]
	v_add_co_u32 v4, vcc_lo, 0x80, v4
	v_add_co_ci_u32_e32 v5, vcc_lo, 0, v5, vcc_lo
	s_waitcnt vmcnt(1)
	ds_store_b64 v11, v[14:15]
	s_waitcnt vmcnt(0)
	ds_store_b64 v13, v[16:17]
	s_waitcnt lgkmcnt(0)
	s_barrier
	buffer_gl0_inv
	ds_load_2addr_b64 v[14:17], v10 offset1:16
	ds_load_b128 v[18:21], v12
	ds_load_b128 v[22:25], v12 offset:16
	s_and_b32 vcc_lo, exec_lo, s8
	s_waitcnt lgkmcnt(1)
	v_fma_f64 v[6:7], v[14:15], v[18:19], v[6:7]
	s_delay_alu instid0(VALU_DEP_1) | instskip(SKIP_3) | instid1(VALU_DEP_1)
	v_fma_f64 v[6:7], v[16:17], v[20:21], v[6:7]
	ds_load_2addr_b64 v[14:17], v10 offset0:32 offset1:48
	s_waitcnt lgkmcnt(0)
	v_fma_f64 v[6:7], v[14:15], v[22:23], v[6:7]
	v_fma_f64 v[6:7], v[16:17], v[24:25], v[6:7]
	ds_load_2addr_b64 v[14:17], v10 offset0:64 offset1:80
	ds_load_b128 v[18:21], v12 offset:32
	ds_load_b128 v[22:25], v12 offset:48
	s_waitcnt lgkmcnt(1)
	v_fma_f64 v[6:7], v[14:15], v[18:19], v[6:7]
	s_delay_alu instid0(VALU_DEP_1) | instskip(SKIP_3) | instid1(VALU_DEP_1)
	v_fma_f64 v[6:7], v[16:17], v[20:21], v[6:7]
	ds_load_2addr_b64 v[14:17], v10 offset0:96 offset1:112
	s_waitcnt lgkmcnt(0)
	v_fma_f64 v[6:7], v[14:15], v[22:23], v[6:7]
	v_fma_f64 v[6:7], v[16:17], v[24:25], v[6:7]
	ds_load_2addr_b64 v[14:17], v10 offset0:128 offset1:144
	ds_load_b128 v[18:21], v12 offset:64
	ds_load_b128 v[22:25], v12 offset:80
	s_waitcnt lgkmcnt(1)
	v_fma_f64 v[6:7], v[14:15], v[18:19], v[6:7]
	s_delay_alu instid0(VALU_DEP_1) | instskip(SKIP_3) | instid1(VALU_DEP_1)
	v_fma_f64 v[6:7], v[16:17], v[20:21], v[6:7]
	ds_load_2addr_b64 v[14:17], v10 offset0:160 offset1:176
	s_waitcnt lgkmcnt(0)
	v_fma_f64 v[6:7], v[14:15], v[22:23], v[6:7]
	v_fma_f64 v[6:7], v[16:17], v[24:25], v[6:7]
	ds_load_2addr_b64 v[14:17], v10 offset0:192 offset1:208
	ds_load_b128 v[18:21], v12 offset:96
	ds_load_b128 v[22:25], v12 offset:112
	s_waitcnt lgkmcnt(1)
	v_fma_f64 v[6:7], v[14:15], v[18:19], v[6:7]
	s_delay_alu instid0(VALU_DEP_1)
	v_fma_f64 v[6:7], v[16:17], v[20:21], v[6:7]
	ds_load_2addr_b64 v[14:17], v10 offset0:224 offset1:240
	s_waitcnt lgkmcnt(0)
	s_barrier
	buffer_gl0_inv
	v_fma_f64 v[6:7], v[14:15], v[22:23], v[6:7]
	s_delay_alu instid0(VALU_DEP_1)
	v_fma_f64 v[6:7], v[16:17], v[24:25], v[6:7]
	s_cbranch_vccnz .LBB1501_2
; %bb.3:
	s_mov_b32 s0, exec_lo
	v_cmpx_le_i32_e64 v8, v0
	s_cbranch_execz .LBB1501_5
.LBB1501_4:
	s_delay_alu instid0(VALU_DEP_2) | instskip(SKIP_4) | instid1(VALU_DEP_2)
	v_mul_f64 v[2:3], v[6:7], s[6:7]
	v_mul_lo_u32 v6, v8, s19
	v_mul_lo_u32 v7, v9, s18
	v_mad_u64_u32 v[4:5], null, v8, s18, 0
	v_lshlrev_b64 v[0:1], 3, v[0:1]
	v_add3_u32 v5, v5, v6, v7
	s_delay_alu instid0(VALU_DEP_1) | instskip(SKIP_1) | instid1(VALU_DEP_1)
	v_lshlrev_b64 v[4:5], 3, v[4:5]
	s_waitcnt lgkmcnt(0)
	v_add_co_u32 v4, vcc_lo, s2, v4
	s_delay_alu instid0(VALU_DEP_2) | instskip(NEXT) | instid1(VALU_DEP_2)
	v_add_co_ci_u32_e32 v5, vcc_lo, s3, v5, vcc_lo
	v_add_co_u32 v0, vcc_lo, v4, v0
	s_delay_alu instid0(VALU_DEP_2)
	v_add_co_ci_u32_e32 v1, vcc_lo, v5, v1, vcc_lo
	global_store_b64 v[0:1], v[2:3], off
.LBB1501_5:
	s_nop 0
	s_sendmsg sendmsg(MSG_DEALLOC_VGPRS)
	s_endpgm
.LBB1501_6:
	v_mov_b32_e32 v6, 0
	v_mov_b32_e32 v7, 0
	s_mov_b32 s0, exec_lo
	v_cmpx_le_i32_e64 v8, v0
	s_cbranch_execnz .LBB1501_4
	s_branch .LBB1501_5
	.section	.rodata,"a",@progbits
	.p2align	6, 0x0
	.amdhsa_kernel _ZL41rocblas_syrkx_herkx_small_restrict_kernelIldLi16ELb1ELb0ELc84ELc76EKPKdKPdEviT_T0_PT6_S5_lS8_S5_lS6_PT7_S5_li
		.amdhsa_group_segment_fixed_size 4096
		.amdhsa_private_segment_fixed_size 0
		.amdhsa_kernarg_size 108
		.amdhsa_user_sgpr_count 13
		.amdhsa_user_sgpr_dispatch_ptr 0
		.amdhsa_user_sgpr_queue_ptr 0
		.amdhsa_user_sgpr_kernarg_segment_ptr 1
		.amdhsa_user_sgpr_dispatch_id 0
		.amdhsa_user_sgpr_private_segment_size 0
		.amdhsa_wavefront_size32 1
		.amdhsa_uses_dynamic_stack 0
		.amdhsa_enable_private_segment 0
		.amdhsa_system_sgpr_workgroup_id_x 1
		.amdhsa_system_sgpr_workgroup_id_y 1
		.amdhsa_system_sgpr_workgroup_id_z 1
		.amdhsa_system_sgpr_workgroup_info 0
		.amdhsa_system_vgpr_workitem_id 1
		.amdhsa_next_free_vgpr 26
		.amdhsa_next_free_sgpr 22
		.amdhsa_reserve_vcc 1
		.amdhsa_float_round_mode_32 0
		.amdhsa_float_round_mode_16_64 0
		.amdhsa_float_denorm_mode_32 3
		.amdhsa_float_denorm_mode_16_64 3
		.amdhsa_dx10_clamp 1
		.amdhsa_ieee_mode 1
		.amdhsa_fp16_overflow 0
		.amdhsa_workgroup_processor_mode 1
		.amdhsa_memory_ordered 1
		.amdhsa_forward_progress 0
		.amdhsa_shared_vgpr_count 0
		.amdhsa_exception_fp_ieee_invalid_op 0
		.amdhsa_exception_fp_denorm_src 0
		.amdhsa_exception_fp_ieee_div_zero 0
		.amdhsa_exception_fp_ieee_overflow 0
		.amdhsa_exception_fp_ieee_underflow 0
		.amdhsa_exception_fp_ieee_inexact 0
		.amdhsa_exception_int_div_zero 0
	.end_amdhsa_kernel
	.section	.text._ZL41rocblas_syrkx_herkx_small_restrict_kernelIldLi16ELb1ELb0ELc84ELc76EKPKdKPdEviT_T0_PT6_S5_lS8_S5_lS6_PT7_S5_li,"axG",@progbits,_ZL41rocblas_syrkx_herkx_small_restrict_kernelIldLi16ELb1ELb0ELc84ELc76EKPKdKPdEviT_T0_PT6_S5_lS8_S5_lS6_PT7_S5_li,comdat
.Lfunc_end1501:
	.size	_ZL41rocblas_syrkx_herkx_small_restrict_kernelIldLi16ELb1ELb0ELc84ELc76EKPKdKPdEviT_T0_PT6_S5_lS8_S5_lS6_PT7_S5_li, .Lfunc_end1501-_ZL41rocblas_syrkx_herkx_small_restrict_kernelIldLi16ELb1ELb0ELc84ELc76EKPKdKPdEviT_T0_PT6_S5_lS8_S5_lS6_PT7_S5_li
                                        ; -- End function
	.section	.AMDGPU.csdata,"",@progbits
; Kernel info:
; codeLenInByte = 960
; NumSgprs: 24
; NumVgprs: 26
; ScratchSize: 0
; MemoryBound: 0
; FloatMode: 240
; IeeeMode: 1
; LDSByteSize: 4096 bytes/workgroup (compile time only)
; SGPRBlocks: 2
; VGPRBlocks: 3
; NumSGPRsForWavesPerEU: 24
; NumVGPRsForWavesPerEU: 26
; Occupancy: 16
; WaveLimiterHint : 1
; COMPUTE_PGM_RSRC2:SCRATCH_EN: 0
; COMPUTE_PGM_RSRC2:USER_SGPR: 13
; COMPUTE_PGM_RSRC2:TRAP_HANDLER: 0
; COMPUTE_PGM_RSRC2:TGID_X_EN: 1
; COMPUTE_PGM_RSRC2:TGID_Y_EN: 1
; COMPUTE_PGM_RSRC2:TGID_Z_EN: 1
; COMPUTE_PGM_RSRC2:TIDIG_COMP_CNT: 1
	.section	.text._ZL41rocblas_syrkx_herkx_small_restrict_kernelIldLi16ELb1ELb0ELc67ELc76EKPKdKPdEviT_T0_PT6_S5_lS8_S5_lS6_PT7_S5_li,"axG",@progbits,_ZL41rocblas_syrkx_herkx_small_restrict_kernelIldLi16ELb1ELb0ELc67ELc76EKPKdKPdEviT_T0_PT6_S5_lS8_S5_lS6_PT7_S5_li,comdat
	.globl	_ZL41rocblas_syrkx_herkx_small_restrict_kernelIldLi16ELb1ELb0ELc67ELc76EKPKdKPdEviT_T0_PT6_S5_lS8_S5_lS6_PT7_S5_li ; -- Begin function _ZL41rocblas_syrkx_herkx_small_restrict_kernelIldLi16ELb1ELb0ELc67ELc76EKPKdKPdEviT_T0_PT6_S5_lS8_S5_lS6_PT7_S5_li
	.p2align	8
	.type	_ZL41rocblas_syrkx_herkx_small_restrict_kernelIldLi16ELb1ELb0ELc67ELc76EKPKdKPdEviT_T0_PT6_S5_lS8_S5_lS6_PT7_S5_li,@function
_ZL41rocblas_syrkx_herkx_small_restrict_kernelIldLi16ELb1ELb0ELc67ELc76EKPKdKPdEviT_T0_PT6_S5_lS8_S5_lS6_PT7_S5_li: ; @_ZL41rocblas_syrkx_herkx_small_restrict_kernelIldLi16ELb1ELb0ELc67ELc76EKPKdKPdEviT_T0_PT6_S5_lS8_S5_lS6_PT7_S5_li
; %bb.0:
	s_clause 0x1
	s_load_b128 s[16:19], s[0:1], 0x50
	s_load_b256 s[4:11], s[0:1], 0x8
	s_mov_b32 s2, s15
	s_mov_b32 s3, 0
	v_and_b32_e32 v2, 0x3ff, v0
	s_lshl_b64 s[20:21], s[2:3], 3
	v_bfe_u32 v3, v0, 10, 10
	s_delay_alu instid0(VALU_DEP_2) | instskip(NEXT) | instid1(VALU_DEP_2)
	v_lshl_add_u32 v0, s13, 4, v2
	v_lshl_add_u32 v8, s14, 4, v3
	s_delay_alu instid0(VALU_DEP_2) | instskip(NEXT) | instid1(VALU_DEP_2)
	v_ashrrev_i32_e32 v1, 31, v0
	v_ashrrev_i32_e32 v9, 31, v8
	s_waitcnt lgkmcnt(0)
	s_add_u32 s2, s16, s20
	s_addc_u32 s3, s17, s21
	v_cmp_lt_i64_e64 s12, s[4:5], 1
	s_load_b64 s[2:3], s[2:3], 0x0
	s_delay_alu instid0(VALU_DEP_1)
	s_and_b32 vcc_lo, exec_lo, s12
	s_cbranch_vccnz .LBB1502_6
; %bb.1:
	s_load_b128 s[12:15], s[0:1], 0x30
	v_mul_lo_u32 v6, v0, s11
	v_mul_lo_u32 v7, v1, s10
	v_mad_u64_u32 v[4:5], null, v0, s10, 0
	v_lshlrev_b32_e32 v10, 3, v2
	v_lshlrev_b32_e32 v15, 7, v3
	;; [unrolled: 1-line block ×3, first 2 shown]
	s_delay_alu instid0(VALU_DEP_4) | instskip(SKIP_2) | instid1(VALU_DEP_3)
	v_add3_u32 v5, v5, v6, v7
	v_mov_b32_e32 v6, 0
	v_mov_b32_e32 v7, 0
	v_lshlrev_b64 v[4:5], 3, v[4:5]
	s_waitcnt lgkmcnt(0)
	s_add_u32 s0, s12, s20
	s_addc_u32 s1, s13, s21
	s_add_u32 s8, s8, s20
	s_load_b64 s[0:1], s[0:1], 0x0
	s_addc_u32 s9, s9, s21
	v_mul_lo_u32 v11, v8, s15
	s_load_b64 s[8:9], s[8:9], 0x0
	v_mul_lo_u32 v12, v9, s14
	v_mad_u64_u32 v[13:14], null, v8, s14, 0
	s_delay_alu instid0(VALU_DEP_1) | instskip(SKIP_2) | instid1(VALU_DEP_3)
	v_add3_u32 v14, v14, v11, v12
	v_add_nc_u32_e32 v11, v10, v15
	v_add_nc_u32_e32 v12, 0x800, v15
	v_lshlrev_b64 v[2:3], 3, v[13:14]
	s_waitcnt lgkmcnt(0)
	v_add_co_u32 v13, s0, s0, v10
	s_delay_alu instid0(VALU_DEP_1) | instskip(SKIP_1) | instid1(VALU_DEP_1)
	v_add_co_ci_u32_e64 v14, null, s1, 0, s0
	v_add_co_u32 v15, s0, s8, v16
	v_add_co_ci_u32_e64 v16, null, s9, 0, s0
	s_delay_alu instid0(VALU_DEP_4) | instskip(NEXT) | instid1(VALU_DEP_4)
	v_add_co_u32 v2, vcc_lo, v13, v2
	v_add_co_ci_u32_e32 v3, vcc_lo, v14, v3, vcc_lo
	s_delay_alu instid0(VALU_DEP_4) | instskip(NEXT) | instid1(VALU_DEP_4)
	v_add_co_u32 v4, vcc_lo, v15, v4
	v_add_co_ci_u32_e32 v5, vcc_lo, v16, v5, vcc_lo
	v_add_nc_u32_e32 v13, v12, v10
	s_mov_b64 s[0:1], 0
.LBB1502_2:                             ; =>This Inner Loop Header: Depth=1
	global_load_b64 v[14:15], v[4:5], off
	global_load_b64 v[16:17], v[2:3], off
	s_add_u32 s0, s0, 16
	v_add_co_u32 v2, vcc_lo, 0x80, v2
	s_addc_u32 s1, s1, 0
	v_add_co_ci_u32_e32 v3, vcc_lo, 0, v3, vcc_lo
	v_cmp_lt_i64_e64 s8, s[0:1], s[4:5]
	v_add_co_u32 v4, vcc_lo, 0x80, v4
	v_add_co_ci_u32_e32 v5, vcc_lo, 0, v5, vcc_lo
	s_waitcnt vmcnt(1)
	ds_store_b64 v11, v[14:15]
	s_waitcnt vmcnt(0)
	ds_store_b64 v13, v[16:17]
	s_waitcnt lgkmcnt(0)
	s_barrier
	buffer_gl0_inv
	ds_load_2addr_b64 v[14:17], v10 offset1:16
	ds_load_b128 v[18:21], v12
	ds_load_b128 v[22:25], v12 offset:16
	s_and_b32 vcc_lo, exec_lo, s8
	s_waitcnt lgkmcnt(1)
	v_fma_f64 v[6:7], v[14:15], v[18:19], v[6:7]
	s_delay_alu instid0(VALU_DEP_1) | instskip(SKIP_3) | instid1(VALU_DEP_1)
	v_fma_f64 v[6:7], v[16:17], v[20:21], v[6:7]
	ds_load_2addr_b64 v[14:17], v10 offset0:32 offset1:48
	s_waitcnt lgkmcnt(0)
	v_fma_f64 v[6:7], v[14:15], v[22:23], v[6:7]
	v_fma_f64 v[6:7], v[16:17], v[24:25], v[6:7]
	ds_load_2addr_b64 v[14:17], v10 offset0:64 offset1:80
	ds_load_b128 v[18:21], v12 offset:32
	ds_load_b128 v[22:25], v12 offset:48
	s_waitcnt lgkmcnt(1)
	v_fma_f64 v[6:7], v[14:15], v[18:19], v[6:7]
	s_delay_alu instid0(VALU_DEP_1) | instskip(SKIP_3) | instid1(VALU_DEP_1)
	v_fma_f64 v[6:7], v[16:17], v[20:21], v[6:7]
	ds_load_2addr_b64 v[14:17], v10 offset0:96 offset1:112
	s_waitcnt lgkmcnt(0)
	v_fma_f64 v[6:7], v[14:15], v[22:23], v[6:7]
	v_fma_f64 v[6:7], v[16:17], v[24:25], v[6:7]
	ds_load_2addr_b64 v[14:17], v10 offset0:128 offset1:144
	ds_load_b128 v[18:21], v12 offset:64
	ds_load_b128 v[22:25], v12 offset:80
	;; [unrolled: 11-line block ×3, first 2 shown]
	s_waitcnt lgkmcnt(1)
	v_fma_f64 v[6:7], v[14:15], v[18:19], v[6:7]
	s_delay_alu instid0(VALU_DEP_1)
	v_fma_f64 v[6:7], v[16:17], v[20:21], v[6:7]
	ds_load_2addr_b64 v[14:17], v10 offset0:224 offset1:240
	s_waitcnt lgkmcnt(0)
	s_barrier
	buffer_gl0_inv
	v_fma_f64 v[6:7], v[14:15], v[22:23], v[6:7]
	s_delay_alu instid0(VALU_DEP_1)
	v_fma_f64 v[6:7], v[16:17], v[24:25], v[6:7]
	s_cbranch_vccnz .LBB1502_2
; %bb.3:
	s_mov_b32 s0, exec_lo
	v_cmpx_le_i32_e64 v8, v0
	s_cbranch_execz .LBB1502_5
.LBB1502_4:
	s_delay_alu instid0(VALU_DEP_2) | instskip(SKIP_4) | instid1(VALU_DEP_2)
	v_mul_f64 v[2:3], v[6:7], s[6:7]
	v_mul_lo_u32 v6, v8, s19
	v_mul_lo_u32 v7, v9, s18
	v_mad_u64_u32 v[4:5], null, v8, s18, 0
	v_lshlrev_b64 v[0:1], 3, v[0:1]
	v_add3_u32 v5, v5, v6, v7
	s_delay_alu instid0(VALU_DEP_1) | instskip(SKIP_1) | instid1(VALU_DEP_1)
	v_lshlrev_b64 v[4:5], 3, v[4:5]
	s_waitcnt lgkmcnt(0)
	v_add_co_u32 v4, vcc_lo, s2, v4
	s_delay_alu instid0(VALU_DEP_2) | instskip(NEXT) | instid1(VALU_DEP_2)
	v_add_co_ci_u32_e32 v5, vcc_lo, s3, v5, vcc_lo
	v_add_co_u32 v0, vcc_lo, v4, v0
	s_delay_alu instid0(VALU_DEP_2)
	v_add_co_ci_u32_e32 v1, vcc_lo, v5, v1, vcc_lo
	global_store_b64 v[0:1], v[2:3], off
.LBB1502_5:
	s_nop 0
	s_sendmsg sendmsg(MSG_DEALLOC_VGPRS)
	s_endpgm
.LBB1502_6:
	v_mov_b32_e32 v6, 0
	v_mov_b32_e32 v7, 0
	s_mov_b32 s0, exec_lo
	v_cmpx_le_i32_e64 v8, v0
	s_cbranch_execnz .LBB1502_4
	s_branch .LBB1502_5
	.section	.rodata,"a",@progbits
	.p2align	6, 0x0
	.amdhsa_kernel _ZL41rocblas_syrkx_herkx_small_restrict_kernelIldLi16ELb1ELb0ELc67ELc76EKPKdKPdEviT_T0_PT6_S5_lS8_S5_lS6_PT7_S5_li
		.amdhsa_group_segment_fixed_size 4096
		.amdhsa_private_segment_fixed_size 0
		.amdhsa_kernarg_size 108
		.amdhsa_user_sgpr_count 13
		.amdhsa_user_sgpr_dispatch_ptr 0
		.amdhsa_user_sgpr_queue_ptr 0
		.amdhsa_user_sgpr_kernarg_segment_ptr 1
		.amdhsa_user_sgpr_dispatch_id 0
		.amdhsa_user_sgpr_private_segment_size 0
		.amdhsa_wavefront_size32 1
		.amdhsa_uses_dynamic_stack 0
		.amdhsa_enable_private_segment 0
		.amdhsa_system_sgpr_workgroup_id_x 1
		.amdhsa_system_sgpr_workgroup_id_y 1
		.amdhsa_system_sgpr_workgroup_id_z 1
		.amdhsa_system_sgpr_workgroup_info 0
		.amdhsa_system_vgpr_workitem_id 1
		.amdhsa_next_free_vgpr 26
		.amdhsa_next_free_sgpr 22
		.amdhsa_reserve_vcc 1
		.amdhsa_float_round_mode_32 0
		.amdhsa_float_round_mode_16_64 0
		.amdhsa_float_denorm_mode_32 3
		.amdhsa_float_denorm_mode_16_64 3
		.amdhsa_dx10_clamp 1
		.amdhsa_ieee_mode 1
		.amdhsa_fp16_overflow 0
		.amdhsa_workgroup_processor_mode 1
		.amdhsa_memory_ordered 1
		.amdhsa_forward_progress 0
		.amdhsa_shared_vgpr_count 0
		.amdhsa_exception_fp_ieee_invalid_op 0
		.amdhsa_exception_fp_denorm_src 0
		.amdhsa_exception_fp_ieee_div_zero 0
		.amdhsa_exception_fp_ieee_overflow 0
		.amdhsa_exception_fp_ieee_underflow 0
		.amdhsa_exception_fp_ieee_inexact 0
		.amdhsa_exception_int_div_zero 0
	.end_amdhsa_kernel
	.section	.text._ZL41rocblas_syrkx_herkx_small_restrict_kernelIldLi16ELb1ELb0ELc67ELc76EKPKdKPdEviT_T0_PT6_S5_lS8_S5_lS6_PT7_S5_li,"axG",@progbits,_ZL41rocblas_syrkx_herkx_small_restrict_kernelIldLi16ELb1ELb0ELc67ELc76EKPKdKPdEviT_T0_PT6_S5_lS8_S5_lS6_PT7_S5_li,comdat
.Lfunc_end1502:
	.size	_ZL41rocblas_syrkx_herkx_small_restrict_kernelIldLi16ELb1ELb0ELc67ELc76EKPKdKPdEviT_T0_PT6_S5_lS8_S5_lS6_PT7_S5_li, .Lfunc_end1502-_ZL41rocblas_syrkx_herkx_small_restrict_kernelIldLi16ELb1ELb0ELc67ELc76EKPKdKPdEviT_T0_PT6_S5_lS8_S5_lS6_PT7_S5_li
                                        ; -- End function
	.section	.AMDGPU.csdata,"",@progbits
; Kernel info:
; codeLenInByte = 960
; NumSgprs: 24
; NumVgprs: 26
; ScratchSize: 0
; MemoryBound: 0
; FloatMode: 240
; IeeeMode: 1
; LDSByteSize: 4096 bytes/workgroup (compile time only)
; SGPRBlocks: 2
; VGPRBlocks: 3
; NumSGPRsForWavesPerEU: 24
; NumVGPRsForWavesPerEU: 26
; Occupancy: 16
; WaveLimiterHint : 1
; COMPUTE_PGM_RSRC2:SCRATCH_EN: 0
; COMPUTE_PGM_RSRC2:USER_SGPR: 13
; COMPUTE_PGM_RSRC2:TRAP_HANDLER: 0
; COMPUTE_PGM_RSRC2:TGID_X_EN: 1
; COMPUTE_PGM_RSRC2:TGID_Y_EN: 1
; COMPUTE_PGM_RSRC2:TGID_Z_EN: 1
; COMPUTE_PGM_RSRC2:TIDIG_COMP_CNT: 1
	.section	.text._ZL41rocblas_syrkx_herkx_small_restrict_kernelIldLi16ELb1ELb0ELc78ELc76EKPKdKPdEviT_T0_PT6_S5_lS8_S5_lS6_PT7_S5_li,"axG",@progbits,_ZL41rocblas_syrkx_herkx_small_restrict_kernelIldLi16ELb1ELb0ELc78ELc76EKPKdKPdEviT_T0_PT6_S5_lS8_S5_lS6_PT7_S5_li,comdat
	.globl	_ZL41rocblas_syrkx_herkx_small_restrict_kernelIldLi16ELb1ELb0ELc78ELc76EKPKdKPdEviT_T0_PT6_S5_lS8_S5_lS6_PT7_S5_li ; -- Begin function _ZL41rocblas_syrkx_herkx_small_restrict_kernelIldLi16ELb1ELb0ELc78ELc76EKPKdKPdEviT_T0_PT6_S5_lS8_S5_lS6_PT7_S5_li
	.p2align	8
	.type	_ZL41rocblas_syrkx_herkx_small_restrict_kernelIldLi16ELb1ELb0ELc78ELc76EKPKdKPdEviT_T0_PT6_S5_lS8_S5_lS6_PT7_S5_li,@function
_ZL41rocblas_syrkx_herkx_small_restrict_kernelIldLi16ELb1ELb0ELc78ELc76EKPKdKPdEviT_T0_PT6_S5_lS8_S5_lS6_PT7_S5_li: ; @_ZL41rocblas_syrkx_herkx_small_restrict_kernelIldLi16ELb1ELb0ELc78ELc76EKPKdKPdEviT_T0_PT6_S5_lS8_S5_lS6_PT7_S5_li
; %bb.0:
	s_clause 0x1
	s_load_b128 s[16:19], s[0:1], 0x50
	s_load_b256 s[4:11], s[0:1], 0x8
	s_mov_b32 s2, s15
	s_mov_b32 s3, 0
	v_and_b32_e32 v5, 0x3ff, v0
	s_lshl_b64 s[20:21], s[2:3], 3
	v_bfe_u32 v4, v0, 10, 10
	s_delay_alu instid0(VALU_DEP_2) | instskip(NEXT) | instid1(VALU_DEP_2)
	v_lshl_add_u32 v0, s13, 4, v5
	v_lshl_add_u32 v2, s14, 4, v4
	s_delay_alu instid0(VALU_DEP_2) | instskip(NEXT) | instid1(VALU_DEP_2)
	v_ashrrev_i32_e32 v1, 31, v0
	v_ashrrev_i32_e32 v3, 31, v2
	s_waitcnt lgkmcnt(0)
	s_add_u32 s2, s16, s20
	s_addc_u32 s3, s17, s21
	s_load_b64 s[16:17], s[2:3], 0x0
	v_cmp_lt_i64_e64 s2, s[4:5], 1
	s_delay_alu instid0(VALU_DEP_1)
	s_and_b32 vcc_lo, exec_lo, s2
	s_cbranch_vccnz .LBB1503_6
; %bb.1:
	s_load_b128 s[0:3], s[0:1], 0x30
	v_mad_u64_u32 v[14:15], null, s10, v4, 0
	v_lshlrev_b64 v[16:17], 3, v[2:3]
	v_lshlrev_b64 v[18:19], 3, v[0:1]
	s_delay_alu instid0(VALU_DEP_3)
	v_mov_b32_e32 v8, v15
	s_waitcnt lgkmcnt(0)
	v_mad_u64_u32 v[6:7], null, s2, v5, 0
	s_add_u32 s0, s0, s20
	s_addc_u32 s1, s1, s21
	s_add_u32 s8, s8, s20
	s_load_b64 s[0:1], s[0:1], 0x0
	s_addc_u32 s9, s9, s21
	s_load_b64 s[8:9], s[8:9], 0x0
	s_delay_alu instid0(VALU_DEP_1) | instskip(NEXT) | instid1(VALU_DEP_1)
	v_mad_u64_u32 v[11:12], null, s3, v5, v[7:8]
	v_dual_mov_b32 v7, v11 :: v_dual_lshlrev_b32 v20, 7, v4
	s_delay_alu instid0(VALU_DEP_1) | instskip(SKIP_2) | instid1(VALU_DEP_4)
	v_add_nc_u32_e32 v11, 0x800, v20
	v_mad_u64_u32 v[12:13], null, s11, v4, v[8:9]
	v_lshlrev_b32_e32 v10, 3, v5
	v_lshlrev_b64 v[4:5], 3, v[6:7]
	s_delay_alu instid0(VALU_DEP_3) | instskip(NEXT) | instid1(VALU_DEP_2)
	v_mov_b32_e32 v15, v12
	v_add_co_u32 v4, vcc_lo, v4, v16
	s_delay_alu instid0(VALU_DEP_3) | instskip(NEXT) | instid1(VALU_DEP_3)
	v_add_co_ci_u32_e32 v5, vcc_lo, v5, v17, vcc_lo
	v_lshlrev_b64 v[6:7], 3, v[14:15]
	v_dual_mov_b32 v8, 0 :: v_dual_add_nc_u32 v13, v11, v10
	v_dual_mov_b32 v9, 0 :: v_dual_add_nc_u32 v12, v10, v20
	s_delay_alu instid0(VALU_DEP_3) | instskip(NEXT) | instid1(VALU_DEP_4)
	v_add_co_u32 v6, vcc_lo, v6, v18
	v_add_co_ci_u32_e32 v7, vcc_lo, v7, v19, vcc_lo
	s_waitcnt lgkmcnt(0)
	v_add_co_u32 v4, vcc_lo, s0, v4
	v_add_co_ci_u32_e32 v5, vcc_lo, s1, v5, vcc_lo
	v_add_co_u32 v6, vcc_lo, s8, v6
	v_add_co_ci_u32_e32 v7, vcc_lo, s9, v7, vcc_lo
	s_lshl_b64 s[0:1], s[2:3], 7
	s_lshl_b64 s[2:3], s[10:11], 7
	s_mov_b64 s[8:9], 0
.LBB1503_2:                             ; =>This Inner Loop Header: Depth=1
	global_load_b64 v[14:15], v[6:7], off
	global_load_b64 v[16:17], v[4:5], off
	s_add_u32 s8, s8, 16
	v_add_co_u32 v4, vcc_lo, v4, s0
	s_addc_u32 s9, s9, 0
	v_add_co_ci_u32_e32 v5, vcc_lo, s1, v5, vcc_lo
	v_cmp_lt_i64_e64 s10, s[8:9], s[4:5]
	v_add_co_u32 v6, vcc_lo, v6, s2
	v_add_co_ci_u32_e32 v7, vcc_lo, s3, v7, vcc_lo
	s_waitcnt vmcnt(1)
	ds_store_b64 v12, v[14:15]
	s_waitcnt vmcnt(0)
	ds_store_b64 v13, v[16:17]
	s_waitcnt lgkmcnt(0)
	s_barrier
	buffer_gl0_inv
	ds_load_2addr_b64 v[14:17], v10 offset1:16
	ds_load_b128 v[18:21], v11
	ds_load_b128 v[22:25], v11 offset:16
	s_and_b32 vcc_lo, exec_lo, s10
	s_waitcnt lgkmcnt(1)
	v_fma_f64 v[8:9], v[14:15], v[18:19], v[8:9]
	s_delay_alu instid0(VALU_DEP_1) | instskip(SKIP_3) | instid1(VALU_DEP_1)
	v_fma_f64 v[8:9], v[16:17], v[20:21], v[8:9]
	ds_load_2addr_b64 v[14:17], v10 offset0:32 offset1:48
	s_waitcnt lgkmcnt(0)
	v_fma_f64 v[8:9], v[14:15], v[22:23], v[8:9]
	v_fma_f64 v[8:9], v[16:17], v[24:25], v[8:9]
	ds_load_2addr_b64 v[14:17], v10 offset0:64 offset1:80
	ds_load_b128 v[18:21], v11 offset:32
	ds_load_b128 v[22:25], v11 offset:48
	s_waitcnt lgkmcnt(1)
	v_fma_f64 v[8:9], v[14:15], v[18:19], v[8:9]
	s_delay_alu instid0(VALU_DEP_1) | instskip(SKIP_3) | instid1(VALU_DEP_1)
	v_fma_f64 v[8:9], v[16:17], v[20:21], v[8:9]
	ds_load_2addr_b64 v[14:17], v10 offset0:96 offset1:112
	s_waitcnt lgkmcnt(0)
	v_fma_f64 v[8:9], v[14:15], v[22:23], v[8:9]
	v_fma_f64 v[8:9], v[16:17], v[24:25], v[8:9]
	ds_load_2addr_b64 v[14:17], v10 offset0:128 offset1:144
	ds_load_b128 v[18:21], v11 offset:64
	ds_load_b128 v[22:25], v11 offset:80
	;; [unrolled: 11-line block ×3, first 2 shown]
	s_waitcnt lgkmcnt(1)
	v_fma_f64 v[8:9], v[14:15], v[18:19], v[8:9]
	s_delay_alu instid0(VALU_DEP_1)
	v_fma_f64 v[8:9], v[16:17], v[20:21], v[8:9]
	ds_load_2addr_b64 v[14:17], v10 offset0:224 offset1:240
	s_waitcnt lgkmcnt(0)
	s_barrier
	buffer_gl0_inv
	v_fma_f64 v[8:9], v[14:15], v[22:23], v[8:9]
	s_delay_alu instid0(VALU_DEP_1)
	v_fma_f64 v[8:9], v[16:17], v[24:25], v[8:9]
	s_cbranch_vccnz .LBB1503_2
; %bb.3:
	s_mov_b32 s0, exec_lo
	v_cmpx_le_i32_e64 v2, v0
	s_cbranch_execz .LBB1503_5
.LBB1503_4:
	s_delay_alu instid0(VALU_DEP_2) | instskip(SKIP_4) | instid1(VALU_DEP_2)
	v_mul_f64 v[4:5], v[8:9], s[6:7]
	v_mul_lo_u32 v8, v2, s19
	v_mul_lo_u32 v3, v3, s18
	v_mad_u64_u32 v[6:7], null, v2, s18, 0
	v_lshlrev_b64 v[0:1], 3, v[0:1]
	v_add3_u32 v7, v7, v8, v3
	s_delay_alu instid0(VALU_DEP_1) | instskip(SKIP_1) | instid1(VALU_DEP_1)
	v_lshlrev_b64 v[2:3], 3, v[6:7]
	s_waitcnt lgkmcnt(0)
	v_add_co_u32 v2, vcc_lo, s16, v2
	s_delay_alu instid0(VALU_DEP_2) | instskip(NEXT) | instid1(VALU_DEP_2)
	v_add_co_ci_u32_e32 v3, vcc_lo, s17, v3, vcc_lo
	v_add_co_u32 v0, vcc_lo, v2, v0
	s_delay_alu instid0(VALU_DEP_2)
	v_add_co_ci_u32_e32 v1, vcc_lo, v3, v1, vcc_lo
	global_store_b64 v[0:1], v[4:5], off
.LBB1503_5:
	s_nop 0
	s_sendmsg sendmsg(MSG_DEALLOC_VGPRS)
	s_endpgm
.LBB1503_6:
	v_mov_b32_e32 v8, 0
	v_mov_b32_e32 v9, 0
	s_mov_b32 s0, exec_lo
	v_cmpx_le_i32_e64 v2, v0
	s_cbranch_execnz .LBB1503_4
	s_branch .LBB1503_5
	.section	.rodata,"a",@progbits
	.p2align	6, 0x0
	.amdhsa_kernel _ZL41rocblas_syrkx_herkx_small_restrict_kernelIldLi16ELb1ELb0ELc78ELc76EKPKdKPdEviT_T0_PT6_S5_lS8_S5_lS6_PT7_S5_li
		.amdhsa_group_segment_fixed_size 4096
		.amdhsa_private_segment_fixed_size 0
		.amdhsa_kernarg_size 108
		.amdhsa_user_sgpr_count 13
		.amdhsa_user_sgpr_dispatch_ptr 0
		.amdhsa_user_sgpr_queue_ptr 0
		.amdhsa_user_sgpr_kernarg_segment_ptr 1
		.amdhsa_user_sgpr_dispatch_id 0
		.amdhsa_user_sgpr_private_segment_size 0
		.amdhsa_wavefront_size32 1
		.amdhsa_uses_dynamic_stack 0
		.amdhsa_enable_private_segment 0
		.amdhsa_system_sgpr_workgroup_id_x 1
		.amdhsa_system_sgpr_workgroup_id_y 1
		.amdhsa_system_sgpr_workgroup_id_z 1
		.amdhsa_system_sgpr_workgroup_info 0
		.amdhsa_system_vgpr_workitem_id 1
		.amdhsa_next_free_vgpr 26
		.amdhsa_next_free_sgpr 22
		.amdhsa_reserve_vcc 1
		.amdhsa_float_round_mode_32 0
		.amdhsa_float_round_mode_16_64 0
		.amdhsa_float_denorm_mode_32 3
		.amdhsa_float_denorm_mode_16_64 3
		.amdhsa_dx10_clamp 1
		.amdhsa_ieee_mode 1
		.amdhsa_fp16_overflow 0
		.amdhsa_workgroup_processor_mode 1
		.amdhsa_memory_ordered 1
		.amdhsa_forward_progress 0
		.amdhsa_shared_vgpr_count 0
		.amdhsa_exception_fp_ieee_invalid_op 0
		.amdhsa_exception_fp_denorm_src 0
		.amdhsa_exception_fp_ieee_div_zero 0
		.amdhsa_exception_fp_ieee_overflow 0
		.amdhsa_exception_fp_ieee_underflow 0
		.amdhsa_exception_fp_ieee_inexact 0
		.amdhsa_exception_int_div_zero 0
	.end_amdhsa_kernel
	.section	.text._ZL41rocblas_syrkx_herkx_small_restrict_kernelIldLi16ELb1ELb0ELc78ELc76EKPKdKPdEviT_T0_PT6_S5_lS8_S5_lS6_PT7_S5_li,"axG",@progbits,_ZL41rocblas_syrkx_herkx_small_restrict_kernelIldLi16ELb1ELb0ELc78ELc76EKPKdKPdEviT_T0_PT6_S5_lS8_S5_lS6_PT7_S5_li,comdat
.Lfunc_end1503:
	.size	_ZL41rocblas_syrkx_herkx_small_restrict_kernelIldLi16ELb1ELb0ELc78ELc76EKPKdKPdEviT_T0_PT6_S5_lS8_S5_lS6_PT7_S5_li, .Lfunc_end1503-_ZL41rocblas_syrkx_herkx_small_restrict_kernelIldLi16ELb1ELb0ELc78ELc76EKPKdKPdEviT_T0_PT6_S5_lS8_S5_lS6_PT7_S5_li
                                        ; -- End function
	.section	.AMDGPU.csdata,"",@progbits
; Kernel info:
; codeLenInByte = 948
; NumSgprs: 24
; NumVgprs: 26
; ScratchSize: 0
; MemoryBound: 0
; FloatMode: 240
; IeeeMode: 1
; LDSByteSize: 4096 bytes/workgroup (compile time only)
; SGPRBlocks: 2
; VGPRBlocks: 3
; NumSGPRsForWavesPerEU: 24
; NumVGPRsForWavesPerEU: 26
; Occupancy: 16
; WaveLimiterHint : 1
; COMPUTE_PGM_RSRC2:SCRATCH_EN: 0
; COMPUTE_PGM_RSRC2:USER_SGPR: 13
; COMPUTE_PGM_RSRC2:TRAP_HANDLER: 0
; COMPUTE_PGM_RSRC2:TGID_X_EN: 1
; COMPUTE_PGM_RSRC2:TGID_Y_EN: 1
; COMPUTE_PGM_RSRC2:TGID_Z_EN: 1
; COMPUTE_PGM_RSRC2:TIDIG_COMP_CNT: 1
	.section	.text._ZL41rocblas_syrkx_herkx_small_restrict_kernelIldLi16ELb1ELb0ELc84ELc85EKPKdKPdEviT_T0_PT6_S5_lS8_S5_lS6_PT7_S5_li,"axG",@progbits,_ZL41rocblas_syrkx_herkx_small_restrict_kernelIldLi16ELb1ELb0ELc84ELc85EKPKdKPdEviT_T0_PT6_S5_lS8_S5_lS6_PT7_S5_li,comdat
	.globl	_ZL41rocblas_syrkx_herkx_small_restrict_kernelIldLi16ELb1ELb0ELc84ELc85EKPKdKPdEviT_T0_PT6_S5_lS8_S5_lS6_PT7_S5_li ; -- Begin function _ZL41rocblas_syrkx_herkx_small_restrict_kernelIldLi16ELb1ELb0ELc84ELc85EKPKdKPdEviT_T0_PT6_S5_lS8_S5_lS6_PT7_S5_li
	.p2align	8
	.type	_ZL41rocblas_syrkx_herkx_small_restrict_kernelIldLi16ELb1ELb0ELc84ELc85EKPKdKPdEviT_T0_PT6_S5_lS8_S5_lS6_PT7_S5_li,@function
_ZL41rocblas_syrkx_herkx_small_restrict_kernelIldLi16ELb1ELb0ELc84ELc85EKPKdKPdEviT_T0_PT6_S5_lS8_S5_lS6_PT7_S5_li: ; @_ZL41rocblas_syrkx_herkx_small_restrict_kernelIldLi16ELb1ELb0ELc84ELc85EKPKdKPdEviT_T0_PT6_S5_lS8_S5_lS6_PT7_S5_li
; %bb.0:
	s_clause 0x1
	s_load_b128 s[16:19], s[0:1], 0x50
	s_load_b256 s[4:11], s[0:1], 0x8
	s_mov_b32 s2, s15
	s_mov_b32 s3, 0
	v_and_b32_e32 v2, 0x3ff, v0
	s_lshl_b64 s[20:21], s[2:3], 3
	v_bfe_u32 v3, v0, 10, 10
	s_delay_alu instid0(VALU_DEP_2) | instskip(NEXT) | instid1(VALU_DEP_2)
	v_lshl_add_u32 v0, s13, 4, v2
	v_lshl_add_u32 v8, s14, 4, v3
	s_delay_alu instid0(VALU_DEP_2) | instskip(NEXT) | instid1(VALU_DEP_2)
	v_ashrrev_i32_e32 v1, 31, v0
	v_ashrrev_i32_e32 v9, 31, v8
	s_waitcnt lgkmcnt(0)
	s_add_u32 s2, s16, s20
	s_addc_u32 s3, s17, s21
	v_cmp_lt_i64_e64 s12, s[4:5], 1
	s_load_b64 s[2:3], s[2:3], 0x0
	s_delay_alu instid0(VALU_DEP_1)
	s_and_b32 vcc_lo, exec_lo, s12
	s_cbranch_vccnz .LBB1504_6
; %bb.1:
	s_load_b128 s[12:15], s[0:1], 0x30
	v_mul_lo_u32 v6, v0, s11
	v_mul_lo_u32 v7, v1, s10
	v_mad_u64_u32 v[4:5], null, v0, s10, 0
	v_lshlrev_b32_e32 v10, 3, v2
	v_lshlrev_b32_e32 v15, 7, v3
	;; [unrolled: 1-line block ×3, first 2 shown]
	s_delay_alu instid0(VALU_DEP_4) | instskip(SKIP_2) | instid1(VALU_DEP_3)
	v_add3_u32 v5, v5, v6, v7
	v_mov_b32_e32 v6, 0
	v_mov_b32_e32 v7, 0
	v_lshlrev_b64 v[4:5], 3, v[4:5]
	s_waitcnt lgkmcnt(0)
	s_add_u32 s0, s12, s20
	s_addc_u32 s1, s13, s21
	s_add_u32 s8, s8, s20
	s_load_b64 s[0:1], s[0:1], 0x0
	s_addc_u32 s9, s9, s21
	v_mul_lo_u32 v11, v8, s15
	s_load_b64 s[8:9], s[8:9], 0x0
	v_mul_lo_u32 v12, v9, s14
	v_mad_u64_u32 v[13:14], null, v8, s14, 0
	s_delay_alu instid0(VALU_DEP_1) | instskip(SKIP_2) | instid1(VALU_DEP_3)
	v_add3_u32 v14, v14, v11, v12
	v_add_nc_u32_e32 v11, v10, v15
	v_add_nc_u32_e32 v12, 0x800, v15
	v_lshlrev_b64 v[2:3], 3, v[13:14]
	s_waitcnt lgkmcnt(0)
	v_add_co_u32 v13, s0, s0, v10
	s_delay_alu instid0(VALU_DEP_1) | instskip(SKIP_1) | instid1(VALU_DEP_1)
	v_add_co_ci_u32_e64 v14, null, s1, 0, s0
	v_add_co_u32 v15, s0, s8, v16
	v_add_co_ci_u32_e64 v16, null, s9, 0, s0
	s_delay_alu instid0(VALU_DEP_4) | instskip(NEXT) | instid1(VALU_DEP_4)
	v_add_co_u32 v2, vcc_lo, v13, v2
	v_add_co_ci_u32_e32 v3, vcc_lo, v14, v3, vcc_lo
	s_delay_alu instid0(VALU_DEP_4) | instskip(NEXT) | instid1(VALU_DEP_4)
	v_add_co_u32 v4, vcc_lo, v15, v4
	v_add_co_ci_u32_e32 v5, vcc_lo, v16, v5, vcc_lo
	v_add_nc_u32_e32 v13, v12, v10
	s_mov_b64 s[0:1], 0
.LBB1504_2:                             ; =>This Inner Loop Header: Depth=1
	global_load_b64 v[14:15], v[4:5], off
	global_load_b64 v[16:17], v[2:3], off
	s_add_u32 s0, s0, 16
	v_add_co_u32 v2, vcc_lo, 0x80, v2
	s_addc_u32 s1, s1, 0
	v_add_co_ci_u32_e32 v3, vcc_lo, 0, v3, vcc_lo
	v_cmp_lt_i64_e64 s8, s[0:1], s[4:5]
	v_add_co_u32 v4, vcc_lo, 0x80, v4
	v_add_co_ci_u32_e32 v5, vcc_lo, 0, v5, vcc_lo
	s_waitcnt vmcnt(1)
	ds_store_b64 v11, v[14:15]
	s_waitcnt vmcnt(0)
	ds_store_b64 v13, v[16:17]
	s_waitcnt lgkmcnt(0)
	s_barrier
	buffer_gl0_inv
	ds_load_2addr_b64 v[14:17], v10 offset1:16
	ds_load_b128 v[18:21], v12
	ds_load_b128 v[22:25], v12 offset:16
	s_and_b32 vcc_lo, exec_lo, s8
	s_waitcnt lgkmcnt(1)
	v_fma_f64 v[6:7], v[14:15], v[18:19], v[6:7]
	s_delay_alu instid0(VALU_DEP_1) | instskip(SKIP_3) | instid1(VALU_DEP_1)
	v_fma_f64 v[6:7], v[16:17], v[20:21], v[6:7]
	ds_load_2addr_b64 v[14:17], v10 offset0:32 offset1:48
	s_waitcnt lgkmcnt(0)
	v_fma_f64 v[6:7], v[14:15], v[22:23], v[6:7]
	v_fma_f64 v[6:7], v[16:17], v[24:25], v[6:7]
	ds_load_2addr_b64 v[14:17], v10 offset0:64 offset1:80
	ds_load_b128 v[18:21], v12 offset:32
	ds_load_b128 v[22:25], v12 offset:48
	s_waitcnt lgkmcnt(1)
	v_fma_f64 v[6:7], v[14:15], v[18:19], v[6:7]
	s_delay_alu instid0(VALU_DEP_1) | instskip(SKIP_3) | instid1(VALU_DEP_1)
	v_fma_f64 v[6:7], v[16:17], v[20:21], v[6:7]
	ds_load_2addr_b64 v[14:17], v10 offset0:96 offset1:112
	s_waitcnt lgkmcnt(0)
	v_fma_f64 v[6:7], v[14:15], v[22:23], v[6:7]
	v_fma_f64 v[6:7], v[16:17], v[24:25], v[6:7]
	ds_load_2addr_b64 v[14:17], v10 offset0:128 offset1:144
	ds_load_b128 v[18:21], v12 offset:64
	ds_load_b128 v[22:25], v12 offset:80
	;; [unrolled: 11-line block ×3, first 2 shown]
	s_waitcnt lgkmcnt(1)
	v_fma_f64 v[6:7], v[14:15], v[18:19], v[6:7]
	s_delay_alu instid0(VALU_DEP_1)
	v_fma_f64 v[6:7], v[16:17], v[20:21], v[6:7]
	ds_load_2addr_b64 v[14:17], v10 offset0:224 offset1:240
	s_waitcnt lgkmcnt(0)
	s_barrier
	buffer_gl0_inv
	v_fma_f64 v[6:7], v[14:15], v[22:23], v[6:7]
	s_delay_alu instid0(VALU_DEP_1)
	v_fma_f64 v[6:7], v[16:17], v[24:25], v[6:7]
	s_cbranch_vccnz .LBB1504_2
; %bb.3:
	s_mov_b32 s0, exec_lo
	v_cmpx_le_i32_e64 v0, v8
	s_cbranch_execz .LBB1504_5
.LBB1504_4:
	s_delay_alu instid0(VALU_DEP_2) | instskip(SKIP_4) | instid1(VALU_DEP_2)
	v_mul_f64 v[2:3], v[6:7], s[6:7]
	v_mul_lo_u32 v6, v8, s19
	v_mul_lo_u32 v7, v9, s18
	v_mad_u64_u32 v[4:5], null, v8, s18, 0
	v_lshlrev_b64 v[0:1], 3, v[0:1]
	v_add3_u32 v5, v5, v6, v7
	s_delay_alu instid0(VALU_DEP_1) | instskip(SKIP_1) | instid1(VALU_DEP_1)
	v_lshlrev_b64 v[4:5], 3, v[4:5]
	s_waitcnt lgkmcnt(0)
	v_add_co_u32 v4, vcc_lo, s2, v4
	s_delay_alu instid0(VALU_DEP_2) | instskip(NEXT) | instid1(VALU_DEP_2)
	v_add_co_ci_u32_e32 v5, vcc_lo, s3, v5, vcc_lo
	v_add_co_u32 v0, vcc_lo, v4, v0
	s_delay_alu instid0(VALU_DEP_2)
	v_add_co_ci_u32_e32 v1, vcc_lo, v5, v1, vcc_lo
	global_store_b64 v[0:1], v[2:3], off
.LBB1504_5:
	s_nop 0
	s_sendmsg sendmsg(MSG_DEALLOC_VGPRS)
	s_endpgm
.LBB1504_6:
	v_mov_b32_e32 v6, 0
	v_mov_b32_e32 v7, 0
	s_mov_b32 s0, exec_lo
	v_cmpx_le_i32_e64 v0, v8
	s_cbranch_execnz .LBB1504_4
	s_branch .LBB1504_5
	.section	.rodata,"a",@progbits
	.p2align	6, 0x0
	.amdhsa_kernel _ZL41rocblas_syrkx_herkx_small_restrict_kernelIldLi16ELb1ELb0ELc84ELc85EKPKdKPdEviT_T0_PT6_S5_lS8_S5_lS6_PT7_S5_li
		.amdhsa_group_segment_fixed_size 4096
		.amdhsa_private_segment_fixed_size 0
		.amdhsa_kernarg_size 108
		.amdhsa_user_sgpr_count 13
		.amdhsa_user_sgpr_dispatch_ptr 0
		.amdhsa_user_sgpr_queue_ptr 0
		.amdhsa_user_sgpr_kernarg_segment_ptr 1
		.amdhsa_user_sgpr_dispatch_id 0
		.amdhsa_user_sgpr_private_segment_size 0
		.amdhsa_wavefront_size32 1
		.amdhsa_uses_dynamic_stack 0
		.amdhsa_enable_private_segment 0
		.amdhsa_system_sgpr_workgroup_id_x 1
		.amdhsa_system_sgpr_workgroup_id_y 1
		.amdhsa_system_sgpr_workgroup_id_z 1
		.amdhsa_system_sgpr_workgroup_info 0
		.amdhsa_system_vgpr_workitem_id 1
		.amdhsa_next_free_vgpr 26
		.amdhsa_next_free_sgpr 22
		.amdhsa_reserve_vcc 1
		.amdhsa_float_round_mode_32 0
		.amdhsa_float_round_mode_16_64 0
		.amdhsa_float_denorm_mode_32 3
		.amdhsa_float_denorm_mode_16_64 3
		.amdhsa_dx10_clamp 1
		.amdhsa_ieee_mode 1
		.amdhsa_fp16_overflow 0
		.amdhsa_workgroup_processor_mode 1
		.amdhsa_memory_ordered 1
		.amdhsa_forward_progress 0
		.amdhsa_shared_vgpr_count 0
		.amdhsa_exception_fp_ieee_invalid_op 0
		.amdhsa_exception_fp_denorm_src 0
		.amdhsa_exception_fp_ieee_div_zero 0
		.amdhsa_exception_fp_ieee_overflow 0
		.amdhsa_exception_fp_ieee_underflow 0
		.amdhsa_exception_fp_ieee_inexact 0
		.amdhsa_exception_int_div_zero 0
	.end_amdhsa_kernel
	.section	.text._ZL41rocblas_syrkx_herkx_small_restrict_kernelIldLi16ELb1ELb0ELc84ELc85EKPKdKPdEviT_T0_PT6_S5_lS8_S5_lS6_PT7_S5_li,"axG",@progbits,_ZL41rocblas_syrkx_herkx_small_restrict_kernelIldLi16ELb1ELb0ELc84ELc85EKPKdKPdEviT_T0_PT6_S5_lS8_S5_lS6_PT7_S5_li,comdat
.Lfunc_end1504:
	.size	_ZL41rocblas_syrkx_herkx_small_restrict_kernelIldLi16ELb1ELb0ELc84ELc85EKPKdKPdEviT_T0_PT6_S5_lS8_S5_lS6_PT7_S5_li, .Lfunc_end1504-_ZL41rocblas_syrkx_herkx_small_restrict_kernelIldLi16ELb1ELb0ELc84ELc85EKPKdKPdEviT_T0_PT6_S5_lS8_S5_lS6_PT7_S5_li
                                        ; -- End function
	.section	.AMDGPU.csdata,"",@progbits
; Kernel info:
; codeLenInByte = 960
; NumSgprs: 24
; NumVgprs: 26
; ScratchSize: 0
; MemoryBound: 0
; FloatMode: 240
; IeeeMode: 1
; LDSByteSize: 4096 bytes/workgroup (compile time only)
; SGPRBlocks: 2
; VGPRBlocks: 3
; NumSGPRsForWavesPerEU: 24
; NumVGPRsForWavesPerEU: 26
; Occupancy: 16
; WaveLimiterHint : 1
; COMPUTE_PGM_RSRC2:SCRATCH_EN: 0
; COMPUTE_PGM_RSRC2:USER_SGPR: 13
; COMPUTE_PGM_RSRC2:TRAP_HANDLER: 0
; COMPUTE_PGM_RSRC2:TGID_X_EN: 1
; COMPUTE_PGM_RSRC2:TGID_Y_EN: 1
; COMPUTE_PGM_RSRC2:TGID_Z_EN: 1
; COMPUTE_PGM_RSRC2:TIDIG_COMP_CNT: 1
	.section	.text._ZL41rocblas_syrkx_herkx_small_restrict_kernelIldLi16ELb1ELb0ELc67ELc85EKPKdKPdEviT_T0_PT6_S5_lS8_S5_lS6_PT7_S5_li,"axG",@progbits,_ZL41rocblas_syrkx_herkx_small_restrict_kernelIldLi16ELb1ELb0ELc67ELc85EKPKdKPdEviT_T0_PT6_S5_lS8_S5_lS6_PT7_S5_li,comdat
	.globl	_ZL41rocblas_syrkx_herkx_small_restrict_kernelIldLi16ELb1ELb0ELc67ELc85EKPKdKPdEviT_T0_PT6_S5_lS8_S5_lS6_PT7_S5_li ; -- Begin function _ZL41rocblas_syrkx_herkx_small_restrict_kernelIldLi16ELb1ELb0ELc67ELc85EKPKdKPdEviT_T0_PT6_S5_lS8_S5_lS6_PT7_S5_li
	.p2align	8
	.type	_ZL41rocblas_syrkx_herkx_small_restrict_kernelIldLi16ELb1ELb0ELc67ELc85EKPKdKPdEviT_T0_PT6_S5_lS8_S5_lS6_PT7_S5_li,@function
_ZL41rocblas_syrkx_herkx_small_restrict_kernelIldLi16ELb1ELb0ELc67ELc85EKPKdKPdEviT_T0_PT6_S5_lS8_S5_lS6_PT7_S5_li: ; @_ZL41rocblas_syrkx_herkx_small_restrict_kernelIldLi16ELb1ELb0ELc67ELc85EKPKdKPdEviT_T0_PT6_S5_lS8_S5_lS6_PT7_S5_li
; %bb.0:
	s_clause 0x1
	s_load_b128 s[16:19], s[0:1], 0x50
	s_load_b256 s[4:11], s[0:1], 0x8
	s_mov_b32 s2, s15
	s_mov_b32 s3, 0
	v_and_b32_e32 v2, 0x3ff, v0
	s_lshl_b64 s[20:21], s[2:3], 3
	v_bfe_u32 v3, v0, 10, 10
	s_delay_alu instid0(VALU_DEP_2) | instskip(NEXT) | instid1(VALU_DEP_2)
	v_lshl_add_u32 v0, s13, 4, v2
	v_lshl_add_u32 v8, s14, 4, v3
	s_delay_alu instid0(VALU_DEP_2) | instskip(NEXT) | instid1(VALU_DEP_2)
	v_ashrrev_i32_e32 v1, 31, v0
	v_ashrrev_i32_e32 v9, 31, v8
	s_waitcnt lgkmcnt(0)
	s_add_u32 s2, s16, s20
	s_addc_u32 s3, s17, s21
	v_cmp_lt_i64_e64 s12, s[4:5], 1
	s_load_b64 s[2:3], s[2:3], 0x0
	s_delay_alu instid0(VALU_DEP_1)
	s_and_b32 vcc_lo, exec_lo, s12
	s_cbranch_vccnz .LBB1505_6
; %bb.1:
	s_load_b128 s[12:15], s[0:1], 0x30
	v_mul_lo_u32 v6, v0, s11
	v_mul_lo_u32 v7, v1, s10
	v_mad_u64_u32 v[4:5], null, v0, s10, 0
	v_lshlrev_b32_e32 v10, 3, v2
	v_lshlrev_b32_e32 v15, 7, v3
	;; [unrolled: 1-line block ×3, first 2 shown]
	s_delay_alu instid0(VALU_DEP_4) | instskip(SKIP_2) | instid1(VALU_DEP_3)
	v_add3_u32 v5, v5, v6, v7
	v_mov_b32_e32 v6, 0
	v_mov_b32_e32 v7, 0
	v_lshlrev_b64 v[4:5], 3, v[4:5]
	s_waitcnt lgkmcnt(0)
	s_add_u32 s0, s12, s20
	s_addc_u32 s1, s13, s21
	s_add_u32 s8, s8, s20
	s_load_b64 s[0:1], s[0:1], 0x0
	s_addc_u32 s9, s9, s21
	v_mul_lo_u32 v11, v8, s15
	s_load_b64 s[8:9], s[8:9], 0x0
	v_mul_lo_u32 v12, v9, s14
	v_mad_u64_u32 v[13:14], null, v8, s14, 0
	s_delay_alu instid0(VALU_DEP_1) | instskip(SKIP_2) | instid1(VALU_DEP_3)
	v_add3_u32 v14, v14, v11, v12
	v_add_nc_u32_e32 v11, v10, v15
	v_add_nc_u32_e32 v12, 0x800, v15
	v_lshlrev_b64 v[2:3], 3, v[13:14]
	s_waitcnt lgkmcnt(0)
	v_add_co_u32 v13, s0, s0, v10
	s_delay_alu instid0(VALU_DEP_1) | instskip(SKIP_1) | instid1(VALU_DEP_1)
	v_add_co_ci_u32_e64 v14, null, s1, 0, s0
	v_add_co_u32 v15, s0, s8, v16
	v_add_co_ci_u32_e64 v16, null, s9, 0, s0
	s_delay_alu instid0(VALU_DEP_4) | instskip(NEXT) | instid1(VALU_DEP_4)
	v_add_co_u32 v2, vcc_lo, v13, v2
	v_add_co_ci_u32_e32 v3, vcc_lo, v14, v3, vcc_lo
	s_delay_alu instid0(VALU_DEP_4) | instskip(NEXT) | instid1(VALU_DEP_4)
	v_add_co_u32 v4, vcc_lo, v15, v4
	v_add_co_ci_u32_e32 v5, vcc_lo, v16, v5, vcc_lo
	v_add_nc_u32_e32 v13, v12, v10
	s_mov_b64 s[0:1], 0
.LBB1505_2:                             ; =>This Inner Loop Header: Depth=1
	global_load_b64 v[14:15], v[4:5], off
	global_load_b64 v[16:17], v[2:3], off
	s_add_u32 s0, s0, 16
	v_add_co_u32 v2, vcc_lo, 0x80, v2
	s_addc_u32 s1, s1, 0
	v_add_co_ci_u32_e32 v3, vcc_lo, 0, v3, vcc_lo
	v_cmp_lt_i64_e64 s8, s[0:1], s[4:5]
	v_add_co_u32 v4, vcc_lo, 0x80, v4
	v_add_co_ci_u32_e32 v5, vcc_lo, 0, v5, vcc_lo
	s_waitcnt vmcnt(1)
	ds_store_b64 v11, v[14:15]
	s_waitcnt vmcnt(0)
	ds_store_b64 v13, v[16:17]
	s_waitcnt lgkmcnt(0)
	s_barrier
	buffer_gl0_inv
	ds_load_2addr_b64 v[14:17], v10 offset1:16
	ds_load_b128 v[18:21], v12
	ds_load_b128 v[22:25], v12 offset:16
	s_and_b32 vcc_lo, exec_lo, s8
	s_waitcnt lgkmcnt(1)
	v_fma_f64 v[6:7], v[14:15], v[18:19], v[6:7]
	s_delay_alu instid0(VALU_DEP_1) | instskip(SKIP_3) | instid1(VALU_DEP_1)
	v_fma_f64 v[6:7], v[16:17], v[20:21], v[6:7]
	ds_load_2addr_b64 v[14:17], v10 offset0:32 offset1:48
	s_waitcnt lgkmcnt(0)
	v_fma_f64 v[6:7], v[14:15], v[22:23], v[6:7]
	v_fma_f64 v[6:7], v[16:17], v[24:25], v[6:7]
	ds_load_2addr_b64 v[14:17], v10 offset0:64 offset1:80
	ds_load_b128 v[18:21], v12 offset:32
	ds_load_b128 v[22:25], v12 offset:48
	s_waitcnt lgkmcnt(1)
	v_fma_f64 v[6:7], v[14:15], v[18:19], v[6:7]
	s_delay_alu instid0(VALU_DEP_1) | instskip(SKIP_3) | instid1(VALU_DEP_1)
	v_fma_f64 v[6:7], v[16:17], v[20:21], v[6:7]
	ds_load_2addr_b64 v[14:17], v10 offset0:96 offset1:112
	s_waitcnt lgkmcnt(0)
	v_fma_f64 v[6:7], v[14:15], v[22:23], v[6:7]
	v_fma_f64 v[6:7], v[16:17], v[24:25], v[6:7]
	ds_load_2addr_b64 v[14:17], v10 offset0:128 offset1:144
	ds_load_b128 v[18:21], v12 offset:64
	ds_load_b128 v[22:25], v12 offset:80
	;; [unrolled: 11-line block ×3, first 2 shown]
	s_waitcnt lgkmcnt(1)
	v_fma_f64 v[6:7], v[14:15], v[18:19], v[6:7]
	s_delay_alu instid0(VALU_DEP_1)
	v_fma_f64 v[6:7], v[16:17], v[20:21], v[6:7]
	ds_load_2addr_b64 v[14:17], v10 offset0:224 offset1:240
	s_waitcnt lgkmcnt(0)
	s_barrier
	buffer_gl0_inv
	v_fma_f64 v[6:7], v[14:15], v[22:23], v[6:7]
	s_delay_alu instid0(VALU_DEP_1)
	v_fma_f64 v[6:7], v[16:17], v[24:25], v[6:7]
	s_cbranch_vccnz .LBB1505_2
; %bb.3:
	s_mov_b32 s0, exec_lo
	v_cmpx_le_i32_e64 v0, v8
	s_cbranch_execz .LBB1505_5
.LBB1505_4:
	s_delay_alu instid0(VALU_DEP_2) | instskip(SKIP_4) | instid1(VALU_DEP_2)
	v_mul_f64 v[2:3], v[6:7], s[6:7]
	v_mul_lo_u32 v6, v8, s19
	v_mul_lo_u32 v7, v9, s18
	v_mad_u64_u32 v[4:5], null, v8, s18, 0
	v_lshlrev_b64 v[0:1], 3, v[0:1]
	v_add3_u32 v5, v5, v6, v7
	s_delay_alu instid0(VALU_DEP_1) | instskip(SKIP_1) | instid1(VALU_DEP_1)
	v_lshlrev_b64 v[4:5], 3, v[4:5]
	s_waitcnt lgkmcnt(0)
	v_add_co_u32 v4, vcc_lo, s2, v4
	s_delay_alu instid0(VALU_DEP_2) | instskip(NEXT) | instid1(VALU_DEP_2)
	v_add_co_ci_u32_e32 v5, vcc_lo, s3, v5, vcc_lo
	v_add_co_u32 v0, vcc_lo, v4, v0
	s_delay_alu instid0(VALU_DEP_2)
	v_add_co_ci_u32_e32 v1, vcc_lo, v5, v1, vcc_lo
	global_store_b64 v[0:1], v[2:3], off
.LBB1505_5:
	s_nop 0
	s_sendmsg sendmsg(MSG_DEALLOC_VGPRS)
	s_endpgm
.LBB1505_6:
	v_mov_b32_e32 v6, 0
	v_mov_b32_e32 v7, 0
	s_mov_b32 s0, exec_lo
	v_cmpx_le_i32_e64 v0, v8
	s_cbranch_execnz .LBB1505_4
	s_branch .LBB1505_5
	.section	.rodata,"a",@progbits
	.p2align	6, 0x0
	.amdhsa_kernel _ZL41rocblas_syrkx_herkx_small_restrict_kernelIldLi16ELb1ELb0ELc67ELc85EKPKdKPdEviT_T0_PT6_S5_lS8_S5_lS6_PT7_S5_li
		.amdhsa_group_segment_fixed_size 4096
		.amdhsa_private_segment_fixed_size 0
		.amdhsa_kernarg_size 108
		.amdhsa_user_sgpr_count 13
		.amdhsa_user_sgpr_dispatch_ptr 0
		.amdhsa_user_sgpr_queue_ptr 0
		.amdhsa_user_sgpr_kernarg_segment_ptr 1
		.amdhsa_user_sgpr_dispatch_id 0
		.amdhsa_user_sgpr_private_segment_size 0
		.amdhsa_wavefront_size32 1
		.amdhsa_uses_dynamic_stack 0
		.amdhsa_enable_private_segment 0
		.amdhsa_system_sgpr_workgroup_id_x 1
		.amdhsa_system_sgpr_workgroup_id_y 1
		.amdhsa_system_sgpr_workgroup_id_z 1
		.amdhsa_system_sgpr_workgroup_info 0
		.amdhsa_system_vgpr_workitem_id 1
		.amdhsa_next_free_vgpr 26
		.amdhsa_next_free_sgpr 22
		.amdhsa_reserve_vcc 1
		.amdhsa_float_round_mode_32 0
		.amdhsa_float_round_mode_16_64 0
		.amdhsa_float_denorm_mode_32 3
		.amdhsa_float_denorm_mode_16_64 3
		.amdhsa_dx10_clamp 1
		.amdhsa_ieee_mode 1
		.amdhsa_fp16_overflow 0
		.amdhsa_workgroup_processor_mode 1
		.amdhsa_memory_ordered 1
		.amdhsa_forward_progress 0
		.amdhsa_shared_vgpr_count 0
		.amdhsa_exception_fp_ieee_invalid_op 0
		.amdhsa_exception_fp_denorm_src 0
		.amdhsa_exception_fp_ieee_div_zero 0
		.amdhsa_exception_fp_ieee_overflow 0
		.amdhsa_exception_fp_ieee_underflow 0
		.amdhsa_exception_fp_ieee_inexact 0
		.amdhsa_exception_int_div_zero 0
	.end_amdhsa_kernel
	.section	.text._ZL41rocblas_syrkx_herkx_small_restrict_kernelIldLi16ELb1ELb0ELc67ELc85EKPKdKPdEviT_T0_PT6_S5_lS8_S5_lS6_PT7_S5_li,"axG",@progbits,_ZL41rocblas_syrkx_herkx_small_restrict_kernelIldLi16ELb1ELb0ELc67ELc85EKPKdKPdEviT_T0_PT6_S5_lS8_S5_lS6_PT7_S5_li,comdat
.Lfunc_end1505:
	.size	_ZL41rocblas_syrkx_herkx_small_restrict_kernelIldLi16ELb1ELb0ELc67ELc85EKPKdKPdEviT_T0_PT6_S5_lS8_S5_lS6_PT7_S5_li, .Lfunc_end1505-_ZL41rocblas_syrkx_herkx_small_restrict_kernelIldLi16ELb1ELb0ELc67ELc85EKPKdKPdEviT_T0_PT6_S5_lS8_S5_lS6_PT7_S5_li
                                        ; -- End function
	.section	.AMDGPU.csdata,"",@progbits
; Kernel info:
; codeLenInByte = 960
; NumSgprs: 24
; NumVgprs: 26
; ScratchSize: 0
; MemoryBound: 0
; FloatMode: 240
; IeeeMode: 1
; LDSByteSize: 4096 bytes/workgroup (compile time only)
; SGPRBlocks: 2
; VGPRBlocks: 3
; NumSGPRsForWavesPerEU: 24
; NumVGPRsForWavesPerEU: 26
; Occupancy: 16
; WaveLimiterHint : 1
; COMPUTE_PGM_RSRC2:SCRATCH_EN: 0
; COMPUTE_PGM_RSRC2:USER_SGPR: 13
; COMPUTE_PGM_RSRC2:TRAP_HANDLER: 0
; COMPUTE_PGM_RSRC2:TGID_X_EN: 1
; COMPUTE_PGM_RSRC2:TGID_Y_EN: 1
; COMPUTE_PGM_RSRC2:TGID_Z_EN: 1
; COMPUTE_PGM_RSRC2:TIDIG_COMP_CNT: 1
	.section	.text._ZL41rocblas_syrkx_herkx_small_restrict_kernelIldLi16ELb1ELb0ELc78ELc85EKPKdKPdEviT_T0_PT6_S5_lS8_S5_lS6_PT7_S5_li,"axG",@progbits,_ZL41rocblas_syrkx_herkx_small_restrict_kernelIldLi16ELb1ELb0ELc78ELc85EKPKdKPdEviT_T0_PT6_S5_lS8_S5_lS6_PT7_S5_li,comdat
	.globl	_ZL41rocblas_syrkx_herkx_small_restrict_kernelIldLi16ELb1ELb0ELc78ELc85EKPKdKPdEviT_T0_PT6_S5_lS8_S5_lS6_PT7_S5_li ; -- Begin function _ZL41rocblas_syrkx_herkx_small_restrict_kernelIldLi16ELb1ELb0ELc78ELc85EKPKdKPdEviT_T0_PT6_S5_lS8_S5_lS6_PT7_S5_li
	.p2align	8
	.type	_ZL41rocblas_syrkx_herkx_small_restrict_kernelIldLi16ELb1ELb0ELc78ELc85EKPKdKPdEviT_T0_PT6_S5_lS8_S5_lS6_PT7_S5_li,@function
_ZL41rocblas_syrkx_herkx_small_restrict_kernelIldLi16ELb1ELb0ELc78ELc85EKPKdKPdEviT_T0_PT6_S5_lS8_S5_lS6_PT7_S5_li: ; @_ZL41rocblas_syrkx_herkx_small_restrict_kernelIldLi16ELb1ELb0ELc78ELc85EKPKdKPdEviT_T0_PT6_S5_lS8_S5_lS6_PT7_S5_li
; %bb.0:
	s_clause 0x1
	s_load_b128 s[16:19], s[0:1], 0x50
	s_load_b256 s[4:11], s[0:1], 0x8
	s_mov_b32 s2, s15
	s_mov_b32 s3, 0
	v_and_b32_e32 v5, 0x3ff, v0
	s_lshl_b64 s[20:21], s[2:3], 3
	v_bfe_u32 v4, v0, 10, 10
	s_delay_alu instid0(VALU_DEP_2) | instskip(NEXT) | instid1(VALU_DEP_2)
	v_lshl_add_u32 v0, s13, 4, v5
	v_lshl_add_u32 v2, s14, 4, v4
	s_delay_alu instid0(VALU_DEP_2) | instskip(NEXT) | instid1(VALU_DEP_2)
	v_ashrrev_i32_e32 v1, 31, v0
	v_ashrrev_i32_e32 v3, 31, v2
	s_waitcnt lgkmcnt(0)
	s_add_u32 s2, s16, s20
	s_addc_u32 s3, s17, s21
	s_load_b64 s[16:17], s[2:3], 0x0
	v_cmp_lt_i64_e64 s2, s[4:5], 1
	s_delay_alu instid0(VALU_DEP_1)
	s_and_b32 vcc_lo, exec_lo, s2
	s_cbranch_vccnz .LBB1506_6
; %bb.1:
	s_load_b128 s[0:3], s[0:1], 0x30
	v_mad_u64_u32 v[14:15], null, s10, v4, 0
	v_lshlrev_b64 v[16:17], 3, v[2:3]
	v_lshlrev_b64 v[18:19], 3, v[0:1]
	s_delay_alu instid0(VALU_DEP_3)
	v_mov_b32_e32 v8, v15
	s_waitcnt lgkmcnt(0)
	v_mad_u64_u32 v[6:7], null, s2, v5, 0
	s_add_u32 s0, s0, s20
	s_addc_u32 s1, s1, s21
	s_add_u32 s8, s8, s20
	s_load_b64 s[0:1], s[0:1], 0x0
	s_addc_u32 s9, s9, s21
	s_load_b64 s[8:9], s[8:9], 0x0
	s_delay_alu instid0(VALU_DEP_1) | instskip(NEXT) | instid1(VALU_DEP_1)
	v_mad_u64_u32 v[11:12], null, s3, v5, v[7:8]
	v_dual_mov_b32 v7, v11 :: v_dual_lshlrev_b32 v20, 7, v4
	s_delay_alu instid0(VALU_DEP_1) | instskip(SKIP_2) | instid1(VALU_DEP_4)
	v_add_nc_u32_e32 v11, 0x800, v20
	v_mad_u64_u32 v[12:13], null, s11, v4, v[8:9]
	v_lshlrev_b32_e32 v10, 3, v5
	v_lshlrev_b64 v[4:5], 3, v[6:7]
	s_delay_alu instid0(VALU_DEP_3) | instskip(NEXT) | instid1(VALU_DEP_2)
	v_mov_b32_e32 v15, v12
	v_add_co_u32 v4, vcc_lo, v4, v16
	s_delay_alu instid0(VALU_DEP_3) | instskip(NEXT) | instid1(VALU_DEP_3)
	v_add_co_ci_u32_e32 v5, vcc_lo, v5, v17, vcc_lo
	v_lshlrev_b64 v[6:7], 3, v[14:15]
	v_dual_mov_b32 v8, 0 :: v_dual_add_nc_u32 v13, v11, v10
	v_dual_mov_b32 v9, 0 :: v_dual_add_nc_u32 v12, v10, v20
	s_delay_alu instid0(VALU_DEP_3) | instskip(NEXT) | instid1(VALU_DEP_4)
	v_add_co_u32 v6, vcc_lo, v6, v18
	v_add_co_ci_u32_e32 v7, vcc_lo, v7, v19, vcc_lo
	s_waitcnt lgkmcnt(0)
	v_add_co_u32 v4, vcc_lo, s0, v4
	v_add_co_ci_u32_e32 v5, vcc_lo, s1, v5, vcc_lo
	v_add_co_u32 v6, vcc_lo, s8, v6
	v_add_co_ci_u32_e32 v7, vcc_lo, s9, v7, vcc_lo
	s_lshl_b64 s[0:1], s[2:3], 7
	s_lshl_b64 s[2:3], s[10:11], 7
	s_mov_b64 s[8:9], 0
.LBB1506_2:                             ; =>This Inner Loop Header: Depth=1
	global_load_b64 v[14:15], v[6:7], off
	global_load_b64 v[16:17], v[4:5], off
	s_add_u32 s8, s8, 16
	v_add_co_u32 v4, vcc_lo, v4, s0
	s_addc_u32 s9, s9, 0
	v_add_co_ci_u32_e32 v5, vcc_lo, s1, v5, vcc_lo
	v_cmp_lt_i64_e64 s10, s[8:9], s[4:5]
	v_add_co_u32 v6, vcc_lo, v6, s2
	v_add_co_ci_u32_e32 v7, vcc_lo, s3, v7, vcc_lo
	s_waitcnt vmcnt(1)
	ds_store_b64 v12, v[14:15]
	s_waitcnt vmcnt(0)
	ds_store_b64 v13, v[16:17]
	s_waitcnt lgkmcnt(0)
	s_barrier
	buffer_gl0_inv
	ds_load_2addr_b64 v[14:17], v10 offset1:16
	ds_load_b128 v[18:21], v11
	ds_load_b128 v[22:25], v11 offset:16
	s_and_b32 vcc_lo, exec_lo, s10
	s_waitcnt lgkmcnt(1)
	v_fma_f64 v[8:9], v[14:15], v[18:19], v[8:9]
	s_delay_alu instid0(VALU_DEP_1) | instskip(SKIP_3) | instid1(VALU_DEP_1)
	v_fma_f64 v[8:9], v[16:17], v[20:21], v[8:9]
	ds_load_2addr_b64 v[14:17], v10 offset0:32 offset1:48
	s_waitcnt lgkmcnt(0)
	v_fma_f64 v[8:9], v[14:15], v[22:23], v[8:9]
	v_fma_f64 v[8:9], v[16:17], v[24:25], v[8:9]
	ds_load_2addr_b64 v[14:17], v10 offset0:64 offset1:80
	ds_load_b128 v[18:21], v11 offset:32
	ds_load_b128 v[22:25], v11 offset:48
	s_waitcnt lgkmcnt(1)
	v_fma_f64 v[8:9], v[14:15], v[18:19], v[8:9]
	s_delay_alu instid0(VALU_DEP_1) | instskip(SKIP_3) | instid1(VALU_DEP_1)
	v_fma_f64 v[8:9], v[16:17], v[20:21], v[8:9]
	ds_load_2addr_b64 v[14:17], v10 offset0:96 offset1:112
	s_waitcnt lgkmcnt(0)
	v_fma_f64 v[8:9], v[14:15], v[22:23], v[8:9]
	v_fma_f64 v[8:9], v[16:17], v[24:25], v[8:9]
	ds_load_2addr_b64 v[14:17], v10 offset0:128 offset1:144
	ds_load_b128 v[18:21], v11 offset:64
	ds_load_b128 v[22:25], v11 offset:80
	;; [unrolled: 11-line block ×3, first 2 shown]
	s_waitcnt lgkmcnt(1)
	v_fma_f64 v[8:9], v[14:15], v[18:19], v[8:9]
	s_delay_alu instid0(VALU_DEP_1)
	v_fma_f64 v[8:9], v[16:17], v[20:21], v[8:9]
	ds_load_2addr_b64 v[14:17], v10 offset0:224 offset1:240
	s_waitcnt lgkmcnt(0)
	s_barrier
	buffer_gl0_inv
	v_fma_f64 v[8:9], v[14:15], v[22:23], v[8:9]
	s_delay_alu instid0(VALU_DEP_1)
	v_fma_f64 v[8:9], v[16:17], v[24:25], v[8:9]
	s_cbranch_vccnz .LBB1506_2
; %bb.3:
	s_mov_b32 s0, exec_lo
	v_cmpx_le_i32_e64 v0, v2
	s_cbranch_execz .LBB1506_5
.LBB1506_4:
	s_delay_alu instid0(VALU_DEP_2) | instskip(SKIP_4) | instid1(VALU_DEP_2)
	v_mul_f64 v[4:5], v[8:9], s[6:7]
	v_mul_lo_u32 v8, v2, s19
	v_mul_lo_u32 v3, v3, s18
	v_mad_u64_u32 v[6:7], null, v2, s18, 0
	v_lshlrev_b64 v[0:1], 3, v[0:1]
	v_add3_u32 v7, v7, v8, v3
	s_delay_alu instid0(VALU_DEP_1) | instskip(SKIP_1) | instid1(VALU_DEP_1)
	v_lshlrev_b64 v[2:3], 3, v[6:7]
	s_waitcnt lgkmcnt(0)
	v_add_co_u32 v2, vcc_lo, s16, v2
	s_delay_alu instid0(VALU_DEP_2) | instskip(NEXT) | instid1(VALU_DEP_2)
	v_add_co_ci_u32_e32 v3, vcc_lo, s17, v3, vcc_lo
	v_add_co_u32 v0, vcc_lo, v2, v0
	s_delay_alu instid0(VALU_DEP_2)
	v_add_co_ci_u32_e32 v1, vcc_lo, v3, v1, vcc_lo
	global_store_b64 v[0:1], v[4:5], off
.LBB1506_5:
	s_nop 0
	s_sendmsg sendmsg(MSG_DEALLOC_VGPRS)
	s_endpgm
.LBB1506_6:
	v_mov_b32_e32 v8, 0
	v_mov_b32_e32 v9, 0
	s_mov_b32 s0, exec_lo
	v_cmpx_le_i32_e64 v0, v2
	s_cbranch_execnz .LBB1506_4
	s_branch .LBB1506_5
	.section	.rodata,"a",@progbits
	.p2align	6, 0x0
	.amdhsa_kernel _ZL41rocblas_syrkx_herkx_small_restrict_kernelIldLi16ELb1ELb0ELc78ELc85EKPKdKPdEviT_T0_PT6_S5_lS8_S5_lS6_PT7_S5_li
		.amdhsa_group_segment_fixed_size 4096
		.amdhsa_private_segment_fixed_size 0
		.amdhsa_kernarg_size 108
		.amdhsa_user_sgpr_count 13
		.amdhsa_user_sgpr_dispatch_ptr 0
		.amdhsa_user_sgpr_queue_ptr 0
		.amdhsa_user_sgpr_kernarg_segment_ptr 1
		.amdhsa_user_sgpr_dispatch_id 0
		.amdhsa_user_sgpr_private_segment_size 0
		.amdhsa_wavefront_size32 1
		.amdhsa_uses_dynamic_stack 0
		.amdhsa_enable_private_segment 0
		.amdhsa_system_sgpr_workgroup_id_x 1
		.amdhsa_system_sgpr_workgroup_id_y 1
		.amdhsa_system_sgpr_workgroup_id_z 1
		.amdhsa_system_sgpr_workgroup_info 0
		.amdhsa_system_vgpr_workitem_id 1
		.amdhsa_next_free_vgpr 26
		.amdhsa_next_free_sgpr 22
		.amdhsa_reserve_vcc 1
		.amdhsa_float_round_mode_32 0
		.amdhsa_float_round_mode_16_64 0
		.amdhsa_float_denorm_mode_32 3
		.amdhsa_float_denorm_mode_16_64 3
		.amdhsa_dx10_clamp 1
		.amdhsa_ieee_mode 1
		.amdhsa_fp16_overflow 0
		.amdhsa_workgroup_processor_mode 1
		.amdhsa_memory_ordered 1
		.amdhsa_forward_progress 0
		.amdhsa_shared_vgpr_count 0
		.amdhsa_exception_fp_ieee_invalid_op 0
		.amdhsa_exception_fp_denorm_src 0
		.amdhsa_exception_fp_ieee_div_zero 0
		.amdhsa_exception_fp_ieee_overflow 0
		.amdhsa_exception_fp_ieee_underflow 0
		.amdhsa_exception_fp_ieee_inexact 0
		.amdhsa_exception_int_div_zero 0
	.end_amdhsa_kernel
	.section	.text._ZL41rocblas_syrkx_herkx_small_restrict_kernelIldLi16ELb1ELb0ELc78ELc85EKPKdKPdEviT_T0_PT6_S5_lS8_S5_lS6_PT7_S5_li,"axG",@progbits,_ZL41rocblas_syrkx_herkx_small_restrict_kernelIldLi16ELb1ELb0ELc78ELc85EKPKdKPdEviT_T0_PT6_S5_lS8_S5_lS6_PT7_S5_li,comdat
.Lfunc_end1506:
	.size	_ZL41rocblas_syrkx_herkx_small_restrict_kernelIldLi16ELb1ELb0ELc78ELc85EKPKdKPdEviT_T0_PT6_S5_lS8_S5_lS6_PT7_S5_li, .Lfunc_end1506-_ZL41rocblas_syrkx_herkx_small_restrict_kernelIldLi16ELb1ELb0ELc78ELc85EKPKdKPdEviT_T0_PT6_S5_lS8_S5_lS6_PT7_S5_li
                                        ; -- End function
	.section	.AMDGPU.csdata,"",@progbits
; Kernel info:
; codeLenInByte = 948
; NumSgprs: 24
; NumVgprs: 26
; ScratchSize: 0
; MemoryBound: 0
; FloatMode: 240
; IeeeMode: 1
; LDSByteSize: 4096 bytes/workgroup (compile time only)
; SGPRBlocks: 2
; VGPRBlocks: 3
; NumSGPRsForWavesPerEU: 24
; NumVGPRsForWavesPerEU: 26
; Occupancy: 16
; WaveLimiterHint : 1
; COMPUTE_PGM_RSRC2:SCRATCH_EN: 0
; COMPUTE_PGM_RSRC2:USER_SGPR: 13
; COMPUTE_PGM_RSRC2:TRAP_HANDLER: 0
; COMPUTE_PGM_RSRC2:TGID_X_EN: 1
; COMPUTE_PGM_RSRC2:TGID_Y_EN: 1
; COMPUTE_PGM_RSRC2:TGID_Z_EN: 1
; COMPUTE_PGM_RSRC2:TIDIG_COMP_CNT: 1
	.section	.text._ZL41rocblas_syrkx_herkx_small_restrict_kernelIldLi16ELb0ELb0ELc84ELc76EKPKdKPdEviT_T0_PT6_S5_lS8_S5_lS6_PT7_S5_li,"axG",@progbits,_ZL41rocblas_syrkx_herkx_small_restrict_kernelIldLi16ELb0ELb0ELc84ELc76EKPKdKPdEviT_T0_PT6_S5_lS8_S5_lS6_PT7_S5_li,comdat
	.globl	_ZL41rocblas_syrkx_herkx_small_restrict_kernelIldLi16ELb0ELb0ELc84ELc76EKPKdKPdEviT_T0_PT6_S5_lS8_S5_lS6_PT7_S5_li ; -- Begin function _ZL41rocblas_syrkx_herkx_small_restrict_kernelIldLi16ELb0ELb0ELc84ELc76EKPKdKPdEviT_T0_PT6_S5_lS8_S5_lS6_PT7_S5_li
	.p2align	8
	.type	_ZL41rocblas_syrkx_herkx_small_restrict_kernelIldLi16ELb0ELb0ELc84ELc76EKPKdKPdEviT_T0_PT6_S5_lS8_S5_lS6_PT7_S5_li,@function
_ZL41rocblas_syrkx_herkx_small_restrict_kernelIldLi16ELb0ELb0ELc84ELc76EKPKdKPdEviT_T0_PT6_S5_lS8_S5_lS6_PT7_S5_li: ; @_ZL41rocblas_syrkx_herkx_small_restrict_kernelIldLi16ELb0ELb0ELc84ELc76EKPKdKPdEviT_T0_PT6_S5_lS8_S5_lS6_PT7_S5_li
; %bb.0:
	s_clause 0x1
	s_load_b128 s[16:19], s[0:1], 0x48
	s_load_b256 s[4:11], s[0:1], 0x8
	s_mov_b32 s2, s15
	s_mov_b32 s3, 0
	v_and_b32_e32 v2, 0x3ff, v0
	s_lshl_b64 s[20:21], s[2:3], 3
	v_bfe_u32 v3, v0, 10, 10
	s_delay_alu instid0(VALU_DEP_2) | instskip(NEXT) | instid1(VALU_DEP_2)
	v_lshl_add_u32 v0, s13, 4, v2
	v_lshl_add_u32 v8, s14, 4, v3
	s_delay_alu instid0(VALU_DEP_2) | instskip(NEXT) | instid1(VALU_DEP_2)
	v_ashrrev_i32_e32 v1, 31, v0
	v_ashrrev_i32_e32 v9, 31, v8
	s_waitcnt lgkmcnt(0)
	s_add_u32 s2, s18, s20
	s_addc_u32 s3, s19, s21
	s_load_b64 s[18:19], s[0:1], 0x58
	s_load_b64 s[2:3], s[2:3], 0x0
	v_cmp_lt_i64_e64 s12, s[4:5], 1
	s_delay_alu instid0(VALU_DEP_1)
	s_and_b32 vcc_lo, exec_lo, s12
	s_cbranch_vccnz .LBB1507_6
; %bb.1:
	s_load_b128 s[12:15], s[0:1], 0x30
	v_mul_lo_u32 v6, v0, s11
	v_mul_lo_u32 v7, v1, s10
	v_mad_u64_u32 v[4:5], null, v0, s10, 0
	v_lshlrev_b32_e32 v10, 3, v2
	v_lshlrev_b32_e32 v15, 7, v3
	;; [unrolled: 1-line block ×3, first 2 shown]
	s_delay_alu instid0(VALU_DEP_4) | instskip(SKIP_2) | instid1(VALU_DEP_3)
	v_add3_u32 v5, v5, v6, v7
	v_mov_b32_e32 v6, 0
	v_mov_b32_e32 v7, 0
	v_lshlrev_b64 v[4:5], 3, v[4:5]
	s_waitcnt lgkmcnt(0)
	s_add_u32 s0, s12, s20
	s_addc_u32 s1, s13, s21
	s_add_u32 s8, s8, s20
	s_load_b64 s[0:1], s[0:1], 0x0
	s_addc_u32 s9, s9, s21
	v_mul_lo_u32 v11, v8, s15
	s_load_b64 s[8:9], s[8:9], 0x0
	v_mul_lo_u32 v12, v9, s14
	v_mad_u64_u32 v[13:14], null, v8, s14, 0
	s_delay_alu instid0(VALU_DEP_1) | instskip(SKIP_2) | instid1(VALU_DEP_3)
	v_add3_u32 v14, v14, v11, v12
	v_add_nc_u32_e32 v11, v10, v15
	v_add_nc_u32_e32 v12, 0x800, v15
	v_lshlrev_b64 v[2:3], 3, v[13:14]
	s_waitcnt lgkmcnt(0)
	v_add_co_u32 v13, s0, s0, v10
	s_delay_alu instid0(VALU_DEP_1) | instskip(SKIP_1) | instid1(VALU_DEP_1)
	v_add_co_ci_u32_e64 v14, null, s1, 0, s0
	v_add_co_u32 v15, s0, s8, v16
	v_add_co_ci_u32_e64 v16, null, s9, 0, s0
	s_delay_alu instid0(VALU_DEP_4) | instskip(NEXT) | instid1(VALU_DEP_4)
	v_add_co_u32 v2, vcc_lo, v13, v2
	v_add_co_ci_u32_e32 v3, vcc_lo, v14, v3, vcc_lo
	s_delay_alu instid0(VALU_DEP_4) | instskip(NEXT) | instid1(VALU_DEP_4)
	v_add_co_u32 v4, vcc_lo, v15, v4
	v_add_co_ci_u32_e32 v5, vcc_lo, v16, v5, vcc_lo
	v_add_nc_u32_e32 v13, v12, v10
	s_mov_b64 s[0:1], 0
.LBB1507_2:                             ; =>This Inner Loop Header: Depth=1
	global_load_b64 v[14:15], v[4:5], off
	global_load_b64 v[16:17], v[2:3], off
	s_add_u32 s0, s0, 16
	v_add_co_u32 v2, vcc_lo, 0x80, v2
	s_addc_u32 s1, s1, 0
	v_add_co_ci_u32_e32 v3, vcc_lo, 0, v3, vcc_lo
	v_cmp_lt_i64_e64 s8, s[0:1], s[4:5]
	v_add_co_u32 v4, vcc_lo, 0x80, v4
	v_add_co_ci_u32_e32 v5, vcc_lo, 0, v5, vcc_lo
	s_waitcnt vmcnt(1)
	ds_store_b64 v11, v[14:15]
	s_waitcnt vmcnt(0)
	ds_store_b64 v13, v[16:17]
	s_waitcnt lgkmcnt(0)
	s_barrier
	buffer_gl0_inv
	ds_load_2addr_b64 v[14:17], v10 offset1:16
	ds_load_b128 v[18:21], v12
	ds_load_b128 v[22:25], v12 offset:16
	s_and_b32 vcc_lo, exec_lo, s8
	s_waitcnt lgkmcnt(1)
	v_fma_f64 v[6:7], v[14:15], v[18:19], v[6:7]
	s_delay_alu instid0(VALU_DEP_1) | instskip(SKIP_3) | instid1(VALU_DEP_1)
	v_fma_f64 v[6:7], v[16:17], v[20:21], v[6:7]
	ds_load_2addr_b64 v[14:17], v10 offset0:32 offset1:48
	s_waitcnt lgkmcnt(0)
	v_fma_f64 v[6:7], v[14:15], v[22:23], v[6:7]
	v_fma_f64 v[6:7], v[16:17], v[24:25], v[6:7]
	ds_load_2addr_b64 v[14:17], v10 offset0:64 offset1:80
	ds_load_b128 v[18:21], v12 offset:32
	ds_load_b128 v[22:25], v12 offset:48
	s_waitcnt lgkmcnt(1)
	v_fma_f64 v[6:7], v[14:15], v[18:19], v[6:7]
	s_delay_alu instid0(VALU_DEP_1) | instskip(SKIP_3) | instid1(VALU_DEP_1)
	v_fma_f64 v[6:7], v[16:17], v[20:21], v[6:7]
	ds_load_2addr_b64 v[14:17], v10 offset0:96 offset1:112
	s_waitcnt lgkmcnt(0)
	v_fma_f64 v[6:7], v[14:15], v[22:23], v[6:7]
	v_fma_f64 v[6:7], v[16:17], v[24:25], v[6:7]
	ds_load_2addr_b64 v[14:17], v10 offset0:128 offset1:144
	ds_load_b128 v[18:21], v12 offset:64
	ds_load_b128 v[22:25], v12 offset:80
	;; [unrolled: 11-line block ×3, first 2 shown]
	s_waitcnt lgkmcnt(1)
	v_fma_f64 v[6:7], v[14:15], v[18:19], v[6:7]
	s_delay_alu instid0(VALU_DEP_1)
	v_fma_f64 v[6:7], v[16:17], v[20:21], v[6:7]
	ds_load_2addr_b64 v[14:17], v10 offset0:224 offset1:240
	s_waitcnt lgkmcnt(0)
	s_barrier
	buffer_gl0_inv
	v_fma_f64 v[6:7], v[14:15], v[22:23], v[6:7]
	s_delay_alu instid0(VALU_DEP_1)
	v_fma_f64 v[6:7], v[16:17], v[24:25], v[6:7]
	s_cbranch_vccnz .LBB1507_2
; %bb.3:
	s_mov_b32 s0, exec_lo
	v_cmpx_le_i32_e64 v8, v0
	s_cbranch_execz .LBB1507_5
.LBB1507_4:
	s_waitcnt lgkmcnt(0)
	v_mul_lo_u32 v4, v8, s19
	v_mul_lo_u32 v5, v9, s18
	v_mad_u64_u32 v[2:3], null, v8, s18, 0
	v_lshlrev_b64 v[0:1], 3, v[0:1]
	s_delay_alu instid0(VALU_DEP_2) | instskip(NEXT) | instid1(VALU_DEP_1)
	v_add3_u32 v3, v3, v4, v5
	v_lshlrev_b64 v[2:3], 3, v[2:3]
	s_delay_alu instid0(VALU_DEP_1) | instskip(NEXT) | instid1(VALU_DEP_2)
	v_add_co_u32 v2, vcc_lo, s2, v2
	v_add_co_ci_u32_e32 v3, vcc_lo, s3, v3, vcc_lo
	s_delay_alu instid0(VALU_DEP_2) | instskip(NEXT) | instid1(VALU_DEP_2)
	v_add_co_u32 v0, vcc_lo, v2, v0
	v_add_co_ci_u32_e32 v1, vcc_lo, v3, v1, vcc_lo
	global_load_b64 v[2:3], v[0:1], off
	s_waitcnt vmcnt(0)
	v_mul_f64 v[2:3], v[2:3], s[16:17]
	s_delay_alu instid0(VALU_DEP_1)
	v_fma_f64 v[2:3], v[6:7], s[6:7], v[2:3]
	global_store_b64 v[0:1], v[2:3], off
.LBB1507_5:
	s_nop 0
	s_sendmsg sendmsg(MSG_DEALLOC_VGPRS)
	s_endpgm
.LBB1507_6:
	v_mov_b32_e32 v6, 0
	v_mov_b32_e32 v7, 0
	s_mov_b32 s0, exec_lo
	v_cmpx_le_i32_e64 v8, v0
	s_cbranch_execnz .LBB1507_4
	s_branch .LBB1507_5
	.section	.rodata,"a",@progbits
	.p2align	6, 0x0
	.amdhsa_kernel _ZL41rocblas_syrkx_herkx_small_restrict_kernelIldLi16ELb0ELb0ELc84ELc76EKPKdKPdEviT_T0_PT6_S5_lS8_S5_lS6_PT7_S5_li
		.amdhsa_group_segment_fixed_size 4096
		.amdhsa_private_segment_fixed_size 0
		.amdhsa_kernarg_size 108
		.amdhsa_user_sgpr_count 13
		.amdhsa_user_sgpr_dispatch_ptr 0
		.amdhsa_user_sgpr_queue_ptr 0
		.amdhsa_user_sgpr_kernarg_segment_ptr 1
		.amdhsa_user_sgpr_dispatch_id 0
		.amdhsa_user_sgpr_private_segment_size 0
		.amdhsa_wavefront_size32 1
		.amdhsa_uses_dynamic_stack 0
		.amdhsa_enable_private_segment 0
		.amdhsa_system_sgpr_workgroup_id_x 1
		.amdhsa_system_sgpr_workgroup_id_y 1
		.amdhsa_system_sgpr_workgroup_id_z 1
		.amdhsa_system_sgpr_workgroup_info 0
		.amdhsa_system_vgpr_workitem_id 1
		.amdhsa_next_free_vgpr 26
		.amdhsa_next_free_sgpr 22
		.amdhsa_reserve_vcc 1
		.amdhsa_float_round_mode_32 0
		.amdhsa_float_round_mode_16_64 0
		.amdhsa_float_denorm_mode_32 3
		.amdhsa_float_denorm_mode_16_64 3
		.amdhsa_dx10_clamp 1
		.amdhsa_ieee_mode 1
		.amdhsa_fp16_overflow 0
		.amdhsa_workgroup_processor_mode 1
		.amdhsa_memory_ordered 1
		.amdhsa_forward_progress 0
		.amdhsa_shared_vgpr_count 0
		.amdhsa_exception_fp_ieee_invalid_op 0
		.amdhsa_exception_fp_denorm_src 0
		.amdhsa_exception_fp_ieee_div_zero 0
		.amdhsa_exception_fp_ieee_overflow 0
		.amdhsa_exception_fp_ieee_underflow 0
		.amdhsa_exception_fp_ieee_inexact 0
		.amdhsa_exception_int_div_zero 0
	.end_amdhsa_kernel
	.section	.text._ZL41rocblas_syrkx_herkx_small_restrict_kernelIldLi16ELb0ELb0ELc84ELc76EKPKdKPdEviT_T0_PT6_S5_lS8_S5_lS6_PT7_S5_li,"axG",@progbits,_ZL41rocblas_syrkx_herkx_small_restrict_kernelIldLi16ELb0ELb0ELc84ELc76EKPKdKPdEviT_T0_PT6_S5_lS8_S5_lS6_PT7_S5_li,comdat
.Lfunc_end1507:
	.size	_ZL41rocblas_syrkx_herkx_small_restrict_kernelIldLi16ELb0ELb0ELc84ELc76EKPKdKPdEviT_T0_PT6_S5_lS8_S5_lS6_PT7_S5_li, .Lfunc_end1507-_ZL41rocblas_syrkx_herkx_small_restrict_kernelIldLi16ELb0ELb0ELc84ELc76EKPKdKPdEviT_T0_PT6_S5_lS8_S5_lS6_PT7_S5_li
                                        ; -- End function
	.section	.AMDGPU.csdata,"",@progbits
; Kernel info:
; codeLenInByte = 988
; NumSgprs: 24
; NumVgprs: 26
; ScratchSize: 0
; MemoryBound: 0
; FloatMode: 240
; IeeeMode: 1
; LDSByteSize: 4096 bytes/workgroup (compile time only)
; SGPRBlocks: 2
; VGPRBlocks: 3
; NumSGPRsForWavesPerEU: 24
; NumVGPRsForWavesPerEU: 26
; Occupancy: 16
; WaveLimiterHint : 1
; COMPUTE_PGM_RSRC2:SCRATCH_EN: 0
; COMPUTE_PGM_RSRC2:USER_SGPR: 13
; COMPUTE_PGM_RSRC2:TRAP_HANDLER: 0
; COMPUTE_PGM_RSRC2:TGID_X_EN: 1
; COMPUTE_PGM_RSRC2:TGID_Y_EN: 1
; COMPUTE_PGM_RSRC2:TGID_Z_EN: 1
; COMPUTE_PGM_RSRC2:TIDIG_COMP_CNT: 1
	.section	.text._ZL41rocblas_syrkx_herkx_small_restrict_kernelIldLi16ELb0ELb0ELc67ELc76EKPKdKPdEviT_T0_PT6_S5_lS8_S5_lS6_PT7_S5_li,"axG",@progbits,_ZL41rocblas_syrkx_herkx_small_restrict_kernelIldLi16ELb0ELb0ELc67ELc76EKPKdKPdEviT_T0_PT6_S5_lS8_S5_lS6_PT7_S5_li,comdat
	.globl	_ZL41rocblas_syrkx_herkx_small_restrict_kernelIldLi16ELb0ELb0ELc67ELc76EKPKdKPdEviT_T0_PT6_S5_lS8_S5_lS6_PT7_S5_li ; -- Begin function _ZL41rocblas_syrkx_herkx_small_restrict_kernelIldLi16ELb0ELb0ELc67ELc76EKPKdKPdEviT_T0_PT6_S5_lS8_S5_lS6_PT7_S5_li
	.p2align	8
	.type	_ZL41rocblas_syrkx_herkx_small_restrict_kernelIldLi16ELb0ELb0ELc67ELc76EKPKdKPdEviT_T0_PT6_S5_lS8_S5_lS6_PT7_S5_li,@function
_ZL41rocblas_syrkx_herkx_small_restrict_kernelIldLi16ELb0ELb0ELc67ELc76EKPKdKPdEviT_T0_PT6_S5_lS8_S5_lS6_PT7_S5_li: ; @_ZL41rocblas_syrkx_herkx_small_restrict_kernelIldLi16ELb0ELb0ELc67ELc76EKPKdKPdEviT_T0_PT6_S5_lS8_S5_lS6_PT7_S5_li
; %bb.0:
	s_clause 0x1
	s_load_b128 s[16:19], s[0:1], 0x48
	s_load_b256 s[4:11], s[0:1], 0x8
	s_mov_b32 s2, s15
	s_mov_b32 s3, 0
	v_and_b32_e32 v2, 0x3ff, v0
	s_lshl_b64 s[20:21], s[2:3], 3
	v_bfe_u32 v3, v0, 10, 10
	s_delay_alu instid0(VALU_DEP_2) | instskip(NEXT) | instid1(VALU_DEP_2)
	v_lshl_add_u32 v0, s13, 4, v2
	v_lshl_add_u32 v8, s14, 4, v3
	s_delay_alu instid0(VALU_DEP_2) | instskip(NEXT) | instid1(VALU_DEP_2)
	v_ashrrev_i32_e32 v1, 31, v0
	v_ashrrev_i32_e32 v9, 31, v8
	s_waitcnt lgkmcnt(0)
	s_add_u32 s2, s18, s20
	s_addc_u32 s3, s19, s21
	s_load_b64 s[18:19], s[0:1], 0x58
	s_load_b64 s[2:3], s[2:3], 0x0
	v_cmp_lt_i64_e64 s12, s[4:5], 1
	s_delay_alu instid0(VALU_DEP_1)
	s_and_b32 vcc_lo, exec_lo, s12
	s_cbranch_vccnz .LBB1508_6
; %bb.1:
	s_load_b128 s[12:15], s[0:1], 0x30
	v_mul_lo_u32 v6, v0, s11
	v_mul_lo_u32 v7, v1, s10
	v_mad_u64_u32 v[4:5], null, v0, s10, 0
	v_lshlrev_b32_e32 v10, 3, v2
	v_lshlrev_b32_e32 v15, 7, v3
	;; [unrolled: 1-line block ×3, first 2 shown]
	s_delay_alu instid0(VALU_DEP_4) | instskip(SKIP_2) | instid1(VALU_DEP_3)
	v_add3_u32 v5, v5, v6, v7
	v_mov_b32_e32 v6, 0
	v_mov_b32_e32 v7, 0
	v_lshlrev_b64 v[4:5], 3, v[4:5]
	s_waitcnt lgkmcnt(0)
	s_add_u32 s0, s12, s20
	s_addc_u32 s1, s13, s21
	s_add_u32 s8, s8, s20
	s_load_b64 s[0:1], s[0:1], 0x0
	s_addc_u32 s9, s9, s21
	v_mul_lo_u32 v11, v8, s15
	s_load_b64 s[8:9], s[8:9], 0x0
	v_mul_lo_u32 v12, v9, s14
	v_mad_u64_u32 v[13:14], null, v8, s14, 0
	s_delay_alu instid0(VALU_DEP_1) | instskip(SKIP_2) | instid1(VALU_DEP_3)
	v_add3_u32 v14, v14, v11, v12
	v_add_nc_u32_e32 v11, v10, v15
	v_add_nc_u32_e32 v12, 0x800, v15
	v_lshlrev_b64 v[2:3], 3, v[13:14]
	s_waitcnt lgkmcnt(0)
	v_add_co_u32 v13, s0, s0, v10
	s_delay_alu instid0(VALU_DEP_1) | instskip(SKIP_1) | instid1(VALU_DEP_1)
	v_add_co_ci_u32_e64 v14, null, s1, 0, s0
	v_add_co_u32 v15, s0, s8, v16
	v_add_co_ci_u32_e64 v16, null, s9, 0, s0
	s_delay_alu instid0(VALU_DEP_4) | instskip(NEXT) | instid1(VALU_DEP_4)
	v_add_co_u32 v2, vcc_lo, v13, v2
	v_add_co_ci_u32_e32 v3, vcc_lo, v14, v3, vcc_lo
	s_delay_alu instid0(VALU_DEP_4) | instskip(NEXT) | instid1(VALU_DEP_4)
	v_add_co_u32 v4, vcc_lo, v15, v4
	v_add_co_ci_u32_e32 v5, vcc_lo, v16, v5, vcc_lo
	v_add_nc_u32_e32 v13, v12, v10
	s_mov_b64 s[0:1], 0
.LBB1508_2:                             ; =>This Inner Loop Header: Depth=1
	global_load_b64 v[14:15], v[4:5], off
	global_load_b64 v[16:17], v[2:3], off
	s_add_u32 s0, s0, 16
	v_add_co_u32 v2, vcc_lo, 0x80, v2
	s_addc_u32 s1, s1, 0
	v_add_co_ci_u32_e32 v3, vcc_lo, 0, v3, vcc_lo
	v_cmp_lt_i64_e64 s8, s[0:1], s[4:5]
	v_add_co_u32 v4, vcc_lo, 0x80, v4
	v_add_co_ci_u32_e32 v5, vcc_lo, 0, v5, vcc_lo
	s_waitcnt vmcnt(1)
	ds_store_b64 v11, v[14:15]
	s_waitcnt vmcnt(0)
	ds_store_b64 v13, v[16:17]
	s_waitcnt lgkmcnt(0)
	s_barrier
	buffer_gl0_inv
	ds_load_2addr_b64 v[14:17], v10 offset1:16
	ds_load_b128 v[18:21], v12
	ds_load_b128 v[22:25], v12 offset:16
	s_and_b32 vcc_lo, exec_lo, s8
	s_waitcnt lgkmcnt(1)
	v_fma_f64 v[6:7], v[14:15], v[18:19], v[6:7]
	s_delay_alu instid0(VALU_DEP_1) | instskip(SKIP_3) | instid1(VALU_DEP_1)
	v_fma_f64 v[6:7], v[16:17], v[20:21], v[6:7]
	ds_load_2addr_b64 v[14:17], v10 offset0:32 offset1:48
	s_waitcnt lgkmcnt(0)
	v_fma_f64 v[6:7], v[14:15], v[22:23], v[6:7]
	v_fma_f64 v[6:7], v[16:17], v[24:25], v[6:7]
	ds_load_2addr_b64 v[14:17], v10 offset0:64 offset1:80
	ds_load_b128 v[18:21], v12 offset:32
	ds_load_b128 v[22:25], v12 offset:48
	s_waitcnt lgkmcnt(1)
	v_fma_f64 v[6:7], v[14:15], v[18:19], v[6:7]
	s_delay_alu instid0(VALU_DEP_1) | instskip(SKIP_3) | instid1(VALU_DEP_1)
	v_fma_f64 v[6:7], v[16:17], v[20:21], v[6:7]
	ds_load_2addr_b64 v[14:17], v10 offset0:96 offset1:112
	s_waitcnt lgkmcnt(0)
	v_fma_f64 v[6:7], v[14:15], v[22:23], v[6:7]
	v_fma_f64 v[6:7], v[16:17], v[24:25], v[6:7]
	ds_load_2addr_b64 v[14:17], v10 offset0:128 offset1:144
	ds_load_b128 v[18:21], v12 offset:64
	ds_load_b128 v[22:25], v12 offset:80
	;; [unrolled: 11-line block ×3, first 2 shown]
	s_waitcnt lgkmcnt(1)
	v_fma_f64 v[6:7], v[14:15], v[18:19], v[6:7]
	s_delay_alu instid0(VALU_DEP_1)
	v_fma_f64 v[6:7], v[16:17], v[20:21], v[6:7]
	ds_load_2addr_b64 v[14:17], v10 offset0:224 offset1:240
	s_waitcnt lgkmcnt(0)
	s_barrier
	buffer_gl0_inv
	v_fma_f64 v[6:7], v[14:15], v[22:23], v[6:7]
	s_delay_alu instid0(VALU_DEP_1)
	v_fma_f64 v[6:7], v[16:17], v[24:25], v[6:7]
	s_cbranch_vccnz .LBB1508_2
; %bb.3:
	s_mov_b32 s0, exec_lo
	v_cmpx_le_i32_e64 v8, v0
	s_cbranch_execz .LBB1508_5
.LBB1508_4:
	s_waitcnt lgkmcnt(0)
	v_mul_lo_u32 v4, v8, s19
	v_mul_lo_u32 v5, v9, s18
	v_mad_u64_u32 v[2:3], null, v8, s18, 0
	v_lshlrev_b64 v[0:1], 3, v[0:1]
	s_delay_alu instid0(VALU_DEP_2) | instskip(NEXT) | instid1(VALU_DEP_1)
	v_add3_u32 v3, v3, v4, v5
	v_lshlrev_b64 v[2:3], 3, v[2:3]
	s_delay_alu instid0(VALU_DEP_1) | instskip(NEXT) | instid1(VALU_DEP_2)
	v_add_co_u32 v2, vcc_lo, s2, v2
	v_add_co_ci_u32_e32 v3, vcc_lo, s3, v3, vcc_lo
	s_delay_alu instid0(VALU_DEP_2) | instskip(NEXT) | instid1(VALU_DEP_2)
	v_add_co_u32 v0, vcc_lo, v2, v0
	v_add_co_ci_u32_e32 v1, vcc_lo, v3, v1, vcc_lo
	global_load_b64 v[2:3], v[0:1], off
	s_waitcnt vmcnt(0)
	v_mul_f64 v[2:3], v[2:3], s[16:17]
	s_delay_alu instid0(VALU_DEP_1)
	v_fma_f64 v[2:3], v[6:7], s[6:7], v[2:3]
	global_store_b64 v[0:1], v[2:3], off
.LBB1508_5:
	s_nop 0
	s_sendmsg sendmsg(MSG_DEALLOC_VGPRS)
	s_endpgm
.LBB1508_6:
	v_mov_b32_e32 v6, 0
	v_mov_b32_e32 v7, 0
	s_mov_b32 s0, exec_lo
	v_cmpx_le_i32_e64 v8, v0
	s_cbranch_execnz .LBB1508_4
	s_branch .LBB1508_5
	.section	.rodata,"a",@progbits
	.p2align	6, 0x0
	.amdhsa_kernel _ZL41rocblas_syrkx_herkx_small_restrict_kernelIldLi16ELb0ELb0ELc67ELc76EKPKdKPdEviT_T0_PT6_S5_lS8_S5_lS6_PT7_S5_li
		.amdhsa_group_segment_fixed_size 4096
		.amdhsa_private_segment_fixed_size 0
		.amdhsa_kernarg_size 108
		.amdhsa_user_sgpr_count 13
		.amdhsa_user_sgpr_dispatch_ptr 0
		.amdhsa_user_sgpr_queue_ptr 0
		.amdhsa_user_sgpr_kernarg_segment_ptr 1
		.amdhsa_user_sgpr_dispatch_id 0
		.amdhsa_user_sgpr_private_segment_size 0
		.amdhsa_wavefront_size32 1
		.amdhsa_uses_dynamic_stack 0
		.amdhsa_enable_private_segment 0
		.amdhsa_system_sgpr_workgroup_id_x 1
		.amdhsa_system_sgpr_workgroup_id_y 1
		.amdhsa_system_sgpr_workgroup_id_z 1
		.amdhsa_system_sgpr_workgroup_info 0
		.amdhsa_system_vgpr_workitem_id 1
		.amdhsa_next_free_vgpr 26
		.amdhsa_next_free_sgpr 22
		.amdhsa_reserve_vcc 1
		.amdhsa_float_round_mode_32 0
		.amdhsa_float_round_mode_16_64 0
		.amdhsa_float_denorm_mode_32 3
		.amdhsa_float_denorm_mode_16_64 3
		.amdhsa_dx10_clamp 1
		.amdhsa_ieee_mode 1
		.amdhsa_fp16_overflow 0
		.amdhsa_workgroup_processor_mode 1
		.amdhsa_memory_ordered 1
		.amdhsa_forward_progress 0
		.amdhsa_shared_vgpr_count 0
		.amdhsa_exception_fp_ieee_invalid_op 0
		.amdhsa_exception_fp_denorm_src 0
		.amdhsa_exception_fp_ieee_div_zero 0
		.amdhsa_exception_fp_ieee_overflow 0
		.amdhsa_exception_fp_ieee_underflow 0
		.amdhsa_exception_fp_ieee_inexact 0
		.amdhsa_exception_int_div_zero 0
	.end_amdhsa_kernel
	.section	.text._ZL41rocblas_syrkx_herkx_small_restrict_kernelIldLi16ELb0ELb0ELc67ELc76EKPKdKPdEviT_T0_PT6_S5_lS8_S5_lS6_PT7_S5_li,"axG",@progbits,_ZL41rocblas_syrkx_herkx_small_restrict_kernelIldLi16ELb0ELb0ELc67ELc76EKPKdKPdEviT_T0_PT6_S5_lS8_S5_lS6_PT7_S5_li,comdat
.Lfunc_end1508:
	.size	_ZL41rocblas_syrkx_herkx_small_restrict_kernelIldLi16ELb0ELb0ELc67ELc76EKPKdKPdEviT_T0_PT6_S5_lS8_S5_lS6_PT7_S5_li, .Lfunc_end1508-_ZL41rocblas_syrkx_herkx_small_restrict_kernelIldLi16ELb0ELb0ELc67ELc76EKPKdKPdEviT_T0_PT6_S5_lS8_S5_lS6_PT7_S5_li
                                        ; -- End function
	.section	.AMDGPU.csdata,"",@progbits
; Kernel info:
; codeLenInByte = 988
; NumSgprs: 24
; NumVgprs: 26
; ScratchSize: 0
; MemoryBound: 0
; FloatMode: 240
; IeeeMode: 1
; LDSByteSize: 4096 bytes/workgroup (compile time only)
; SGPRBlocks: 2
; VGPRBlocks: 3
; NumSGPRsForWavesPerEU: 24
; NumVGPRsForWavesPerEU: 26
; Occupancy: 16
; WaveLimiterHint : 1
; COMPUTE_PGM_RSRC2:SCRATCH_EN: 0
; COMPUTE_PGM_RSRC2:USER_SGPR: 13
; COMPUTE_PGM_RSRC2:TRAP_HANDLER: 0
; COMPUTE_PGM_RSRC2:TGID_X_EN: 1
; COMPUTE_PGM_RSRC2:TGID_Y_EN: 1
; COMPUTE_PGM_RSRC2:TGID_Z_EN: 1
; COMPUTE_PGM_RSRC2:TIDIG_COMP_CNT: 1
	.section	.text._ZL41rocblas_syrkx_herkx_small_restrict_kernelIldLi16ELb0ELb0ELc78ELc76EKPKdKPdEviT_T0_PT6_S5_lS8_S5_lS6_PT7_S5_li,"axG",@progbits,_ZL41rocblas_syrkx_herkx_small_restrict_kernelIldLi16ELb0ELb0ELc78ELc76EKPKdKPdEviT_T0_PT6_S5_lS8_S5_lS6_PT7_S5_li,comdat
	.globl	_ZL41rocblas_syrkx_herkx_small_restrict_kernelIldLi16ELb0ELb0ELc78ELc76EKPKdKPdEviT_T0_PT6_S5_lS8_S5_lS6_PT7_S5_li ; -- Begin function _ZL41rocblas_syrkx_herkx_small_restrict_kernelIldLi16ELb0ELb0ELc78ELc76EKPKdKPdEviT_T0_PT6_S5_lS8_S5_lS6_PT7_S5_li
	.p2align	8
	.type	_ZL41rocblas_syrkx_herkx_small_restrict_kernelIldLi16ELb0ELb0ELc78ELc76EKPKdKPdEviT_T0_PT6_S5_lS8_S5_lS6_PT7_S5_li,@function
_ZL41rocblas_syrkx_herkx_small_restrict_kernelIldLi16ELb0ELb0ELc78ELc76EKPKdKPdEviT_T0_PT6_S5_lS8_S5_lS6_PT7_S5_li: ; @_ZL41rocblas_syrkx_herkx_small_restrict_kernelIldLi16ELb0ELb0ELc78ELc76EKPKdKPdEviT_T0_PT6_S5_lS8_S5_lS6_PT7_S5_li
; %bb.0:
	s_clause 0x1
	s_load_b128 s[16:19], s[0:1], 0x48
	s_load_b256 s[4:11], s[0:1], 0x8
	s_mov_b32 s2, s15
	s_mov_b32 s3, 0
	v_and_b32_e32 v5, 0x3ff, v0
	s_lshl_b64 s[22:23], s[2:3], 3
	v_bfe_u32 v4, v0, 10, 10
	s_delay_alu instid0(VALU_DEP_2) | instskip(NEXT) | instid1(VALU_DEP_2)
	v_lshl_add_u32 v0, s13, 4, v5
	v_lshl_add_u32 v2, s14, 4, v4
	s_delay_alu instid0(VALU_DEP_2) | instskip(NEXT) | instid1(VALU_DEP_2)
	v_ashrrev_i32_e32 v1, 31, v0
	v_ashrrev_i32_e32 v3, 31, v2
	s_waitcnt lgkmcnt(0)
	s_add_u32 s2, s18, s22
	s_addc_u32 s3, s19, s23
	s_load_b64 s[20:21], s[0:1], 0x58
	s_load_b64 s[18:19], s[2:3], 0x0
	v_cmp_lt_i64_e64 s2, s[4:5], 1
	s_delay_alu instid0(VALU_DEP_1)
	s_and_b32 vcc_lo, exec_lo, s2
	s_cbranch_vccnz .LBB1509_6
; %bb.1:
	s_load_b128 s[0:3], s[0:1], 0x30
	v_mad_u64_u32 v[14:15], null, s10, v4, 0
	v_lshlrev_b64 v[16:17], 3, v[2:3]
	v_lshlrev_b64 v[18:19], 3, v[0:1]
	s_delay_alu instid0(VALU_DEP_3)
	v_mov_b32_e32 v8, v15
	s_waitcnt lgkmcnt(0)
	v_mad_u64_u32 v[6:7], null, s2, v5, 0
	s_add_u32 s0, s0, s22
	s_addc_u32 s1, s1, s23
	s_add_u32 s8, s8, s22
	s_load_b64 s[0:1], s[0:1], 0x0
	s_addc_u32 s9, s9, s23
	s_load_b64 s[8:9], s[8:9], 0x0
	s_delay_alu instid0(VALU_DEP_1) | instskip(NEXT) | instid1(VALU_DEP_1)
	v_mad_u64_u32 v[11:12], null, s3, v5, v[7:8]
	v_dual_mov_b32 v7, v11 :: v_dual_lshlrev_b32 v20, 7, v4
	s_delay_alu instid0(VALU_DEP_1) | instskip(SKIP_2) | instid1(VALU_DEP_4)
	v_add_nc_u32_e32 v11, 0x800, v20
	v_mad_u64_u32 v[12:13], null, s11, v4, v[8:9]
	v_lshlrev_b32_e32 v10, 3, v5
	v_lshlrev_b64 v[4:5], 3, v[6:7]
	s_delay_alu instid0(VALU_DEP_3) | instskip(NEXT) | instid1(VALU_DEP_2)
	v_mov_b32_e32 v15, v12
	v_add_co_u32 v4, vcc_lo, v4, v16
	s_delay_alu instid0(VALU_DEP_3) | instskip(NEXT) | instid1(VALU_DEP_3)
	v_add_co_ci_u32_e32 v5, vcc_lo, v5, v17, vcc_lo
	v_lshlrev_b64 v[6:7], 3, v[14:15]
	v_dual_mov_b32 v8, 0 :: v_dual_add_nc_u32 v13, v11, v10
	v_dual_mov_b32 v9, 0 :: v_dual_add_nc_u32 v12, v10, v20
	s_delay_alu instid0(VALU_DEP_3) | instskip(NEXT) | instid1(VALU_DEP_4)
	v_add_co_u32 v6, vcc_lo, v6, v18
	v_add_co_ci_u32_e32 v7, vcc_lo, v7, v19, vcc_lo
	s_waitcnt lgkmcnt(0)
	v_add_co_u32 v4, vcc_lo, s0, v4
	v_add_co_ci_u32_e32 v5, vcc_lo, s1, v5, vcc_lo
	v_add_co_u32 v6, vcc_lo, s8, v6
	v_add_co_ci_u32_e32 v7, vcc_lo, s9, v7, vcc_lo
	s_lshl_b64 s[0:1], s[2:3], 7
	s_lshl_b64 s[2:3], s[10:11], 7
	s_mov_b64 s[8:9], 0
.LBB1509_2:                             ; =>This Inner Loop Header: Depth=1
	global_load_b64 v[14:15], v[6:7], off
	global_load_b64 v[16:17], v[4:5], off
	s_add_u32 s8, s8, 16
	v_add_co_u32 v4, vcc_lo, v4, s0
	s_addc_u32 s9, s9, 0
	v_add_co_ci_u32_e32 v5, vcc_lo, s1, v5, vcc_lo
	v_cmp_lt_i64_e64 s10, s[8:9], s[4:5]
	v_add_co_u32 v6, vcc_lo, v6, s2
	v_add_co_ci_u32_e32 v7, vcc_lo, s3, v7, vcc_lo
	s_waitcnt vmcnt(1)
	ds_store_b64 v12, v[14:15]
	s_waitcnt vmcnt(0)
	ds_store_b64 v13, v[16:17]
	s_waitcnt lgkmcnt(0)
	s_barrier
	buffer_gl0_inv
	ds_load_2addr_b64 v[14:17], v10 offset1:16
	ds_load_b128 v[18:21], v11
	ds_load_b128 v[22:25], v11 offset:16
	s_and_b32 vcc_lo, exec_lo, s10
	s_waitcnt lgkmcnt(1)
	v_fma_f64 v[8:9], v[14:15], v[18:19], v[8:9]
	s_delay_alu instid0(VALU_DEP_1) | instskip(SKIP_3) | instid1(VALU_DEP_1)
	v_fma_f64 v[8:9], v[16:17], v[20:21], v[8:9]
	ds_load_2addr_b64 v[14:17], v10 offset0:32 offset1:48
	s_waitcnt lgkmcnt(0)
	v_fma_f64 v[8:9], v[14:15], v[22:23], v[8:9]
	v_fma_f64 v[8:9], v[16:17], v[24:25], v[8:9]
	ds_load_2addr_b64 v[14:17], v10 offset0:64 offset1:80
	ds_load_b128 v[18:21], v11 offset:32
	ds_load_b128 v[22:25], v11 offset:48
	s_waitcnt lgkmcnt(1)
	v_fma_f64 v[8:9], v[14:15], v[18:19], v[8:9]
	s_delay_alu instid0(VALU_DEP_1) | instskip(SKIP_3) | instid1(VALU_DEP_1)
	v_fma_f64 v[8:9], v[16:17], v[20:21], v[8:9]
	ds_load_2addr_b64 v[14:17], v10 offset0:96 offset1:112
	s_waitcnt lgkmcnt(0)
	v_fma_f64 v[8:9], v[14:15], v[22:23], v[8:9]
	v_fma_f64 v[8:9], v[16:17], v[24:25], v[8:9]
	ds_load_2addr_b64 v[14:17], v10 offset0:128 offset1:144
	ds_load_b128 v[18:21], v11 offset:64
	ds_load_b128 v[22:25], v11 offset:80
	s_waitcnt lgkmcnt(1)
	v_fma_f64 v[8:9], v[14:15], v[18:19], v[8:9]
	s_delay_alu instid0(VALU_DEP_1) | instskip(SKIP_3) | instid1(VALU_DEP_1)
	v_fma_f64 v[8:9], v[16:17], v[20:21], v[8:9]
	ds_load_2addr_b64 v[14:17], v10 offset0:160 offset1:176
	s_waitcnt lgkmcnt(0)
	v_fma_f64 v[8:9], v[14:15], v[22:23], v[8:9]
	v_fma_f64 v[8:9], v[16:17], v[24:25], v[8:9]
	ds_load_2addr_b64 v[14:17], v10 offset0:192 offset1:208
	ds_load_b128 v[18:21], v11 offset:96
	ds_load_b128 v[22:25], v11 offset:112
	s_waitcnt lgkmcnt(1)
	v_fma_f64 v[8:9], v[14:15], v[18:19], v[8:9]
	s_delay_alu instid0(VALU_DEP_1)
	v_fma_f64 v[8:9], v[16:17], v[20:21], v[8:9]
	ds_load_2addr_b64 v[14:17], v10 offset0:224 offset1:240
	s_waitcnt lgkmcnt(0)
	s_barrier
	buffer_gl0_inv
	v_fma_f64 v[8:9], v[14:15], v[22:23], v[8:9]
	s_delay_alu instid0(VALU_DEP_1)
	v_fma_f64 v[8:9], v[16:17], v[24:25], v[8:9]
	s_cbranch_vccnz .LBB1509_2
; %bb.3:
	s_mov_b32 s0, exec_lo
	v_cmpx_le_i32_e64 v2, v0
	s_cbranch_execz .LBB1509_5
.LBB1509_4:
	s_waitcnt lgkmcnt(0)
	v_mul_lo_u32 v5, v2, s21
	v_mul_lo_u32 v6, v3, s20
	v_mad_u64_u32 v[3:4], null, v2, s20, 0
	v_lshlrev_b64 v[0:1], 3, v[0:1]
	s_delay_alu instid0(VALU_DEP_2) | instskip(NEXT) | instid1(VALU_DEP_1)
	v_add3_u32 v4, v4, v5, v6
	v_lshlrev_b64 v[2:3], 3, v[3:4]
	s_delay_alu instid0(VALU_DEP_1) | instskip(NEXT) | instid1(VALU_DEP_2)
	v_add_co_u32 v2, vcc_lo, s18, v2
	v_add_co_ci_u32_e32 v3, vcc_lo, s19, v3, vcc_lo
	s_delay_alu instid0(VALU_DEP_2) | instskip(NEXT) | instid1(VALU_DEP_2)
	v_add_co_u32 v0, vcc_lo, v2, v0
	v_add_co_ci_u32_e32 v1, vcc_lo, v3, v1, vcc_lo
	global_load_b64 v[2:3], v[0:1], off
	s_waitcnt vmcnt(0)
	v_mul_f64 v[2:3], v[2:3], s[16:17]
	s_delay_alu instid0(VALU_DEP_1)
	v_fma_f64 v[2:3], v[8:9], s[6:7], v[2:3]
	global_store_b64 v[0:1], v[2:3], off
.LBB1509_5:
	s_nop 0
	s_sendmsg sendmsg(MSG_DEALLOC_VGPRS)
	s_endpgm
.LBB1509_6:
	v_mov_b32_e32 v8, 0
	v_mov_b32_e32 v9, 0
	s_mov_b32 s0, exec_lo
	v_cmpx_le_i32_e64 v2, v0
	s_cbranch_execnz .LBB1509_4
	s_branch .LBB1509_5
	.section	.rodata,"a",@progbits
	.p2align	6, 0x0
	.amdhsa_kernel _ZL41rocblas_syrkx_herkx_small_restrict_kernelIldLi16ELb0ELb0ELc78ELc76EKPKdKPdEviT_T0_PT6_S5_lS8_S5_lS6_PT7_S5_li
		.amdhsa_group_segment_fixed_size 4096
		.amdhsa_private_segment_fixed_size 0
		.amdhsa_kernarg_size 108
		.amdhsa_user_sgpr_count 13
		.amdhsa_user_sgpr_dispatch_ptr 0
		.amdhsa_user_sgpr_queue_ptr 0
		.amdhsa_user_sgpr_kernarg_segment_ptr 1
		.amdhsa_user_sgpr_dispatch_id 0
		.amdhsa_user_sgpr_private_segment_size 0
		.amdhsa_wavefront_size32 1
		.amdhsa_uses_dynamic_stack 0
		.amdhsa_enable_private_segment 0
		.amdhsa_system_sgpr_workgroup_id_x 1
		.amdhsa_system_sgpr_workgroup_id_y 1
		.amdhsa_system_sgpr_workgroup_id_z 1
		.amdhsa_system_sgpr_workgroup_info 0
		.amdhsa_system_vgpr_workitem_id 1
		.amdhsa_next_free_vgpr 26
		.amdhsa_next_free_sgpr 24
		.amdhsa_reserve_vcc 1
		.amdhsa_float_round_mode_32 0
		.amdhsa_float_round_mode_16_64 0
		.amdhsa_float_denorm_mode_32 3
		.amdhsa_float_denorm_mode_16_64 3
		.amdhsa_dx10_clamp 1
		.amdhsa_ieee_mode 1
		.amdhsa_fp16_overflow 0
		.amdhsa_workgroup_processor_mode 1
		.amdhsa_memory_ordered 1
		.amdhsa_forward_progress 0
		.amdhsa_shared_vgpr_count 0
		.amdhsa_exception_fp_ieee_invalid_op 0
		.amdhsa_exception_fp_denorm_src 0
		.amdhsa_exception_fp_ieee_div_zero 0
		.amdhsa_exception_fp_ieee_overflow 0
		.amdhsa_exception_fp_ieee_underflow 0
		.amdhsa_exception_fp_ieee_inexact 0
		.amdhsa_exception_int_div_zero 0
	.end_amdhsa_kernel
	.section	.text._ZL41rocblas_syrkx_herkx_small_restrict_kernelIldLi16ELb0ELb0ELc78ELc76EKPKdKPdEviT_T0_PT6_S5_lS8_S5_lS6_PT7_S5_li,"axG",@progbits,_ZL41rocblas_syrkx_herkx_small_restrict_kernelIldLi16ELb0ELb0ELc78ELc76EKPKdKPdEviT_T0_PT6_S5_lS8_S5_lS6_PT7_S5_li,comdat
.Lfunc_end1509:
	.size	_ZL41rocblas_syrkx_herkx_small_restrict_kernelIldLi16ELb0ELb0ELc78ELc76EKPKdKPdEviT_T0_PT6_S5_lS8_S5_lS6_PT7_S5_li, .Lfunc_end1509-_ZL41rocblas_syrkx_herkx_small_restrict_kernelIldLi16ELb0ELb0ELc78ELc76EKPKdKPdEviT_T0_PT6_S5_lS8_S5_lS6_PT7_S5_li
                                        ; -- End function
	.section	.AMDGPU.csdata,"",@progbits
; Kernel info:
; codeLenInByte = 976
; NumSgprs: 26
; NumVgprs: 26
; ScratchSize: 0
; MemoryBound: 0
; FloatMode: 240
; IeeeMode: 1
; LDSByteSize: 4096 bytes/workgroup (compile time only)
; SGPRBlocks: 3
; VGPRBlocks: 3
; NumSGPRsForWavesPerEU: 26
; NumVGPRsForWavesPerEU: 26
; Occupancy: 16
; WaveLimiterHint : 1
; COMPUTE_PGM_RSRC2:SCRATCH_EN: 0
; COMPUTE_PGM_RSRC2:USER_SGPR: 13
; COMPUTE_PGM_RSRC2:TRAP_HANDLER: 0
; COMPUTE_PGM_RSRC2:TGID_X_EN: 1
; COMPUTE_PGM_RSRC2:TGID_Y_EN: 1
; COMPUTE_PGM_RSRC2:TGID_Z_EN: 1
; COMPUTE_PGM_RSRC2:TIDIG_COMP_CNT: 1
	.section	.text._ZL41rocblas_syrkx_herkx_small_restrict_kernelIldLi16ELb0ELb0ELc84ELc85EKPKdKPdEviT_T0_PT6_S5_lS8_S5_lS6_PT7_S5_li,"axG",@progbits,_ZL41rocblas_syrkx_herkx_small_restrict_kernelIldLi16ELb0ELb0ELc84ELc85EKPKdKPdEviT_T0_PT6_S5_lS8_S5_lS6_PT7_S5_li,comdat
	.globl	_ZL41rocblas_syrkx_herkx_small_restrict_kernelIldLi16ELb0ELb0ELc84ELc85EKPKdKPdEviT_T0_PT6_S5_lS8_S5_lS6_PT7_S5_li ; -- Begin function _ZL41rocblas_syrkx_herkx_small_restrict_kernelIldLi16ELb0ELb0ELc84ELc85EKPKdKPdEviT_T0_PT6_S5_lS8_S5_lS6_PT7_S5_li
	.p2align	8
	.type	_ZL41rocblas_syrkx_herkx_small_restrict_kernelIldLi16ELb0ELb0ELc84ELc85EKPKdKPdEviT_T0_PT6_S5_lS8_S5_lS6_PT7_S5_li,@function
_ZL41rocblas_syrkx_herkx_small_restrict_kernelIldLi16ELb0ELb0ELc84ELc85EKPKdKPdEviT_T0_PT6_S5_lS8_S5_lS6_PT7_S5_li: ; @_ZL41rocblas_syrkx_herkx_small_restrict_kernelIldLi16ELb0ELb0ELc84ELc85EKPKdKPdEviT_T0_PT6_S5_lS8_S5_lS6_PT7_S5_li
; %bb.0:
	s_clause 0x1
	s_load_b128 s[16:19], s[0:1], 0x48
	s_load_b256 s[4:11], s[0:1], 0x8
	s_mov_b32 s2, s15
	s_mov_b32 s3, 0
	v_and_b32_e32 v2, 0x3ff, v0
	s_lshl_b64 s[20:21], s[2:3], 3
	v_bfe_u32 v3, v0, 10, 10
	s_delay_alu instid0(VALU_DEP_2) | instskip(NEXT) | instid1(VALU_DEP_2)
	v_lshl_add_u32 v0, s13, 4, v2
	v_lshl_add_u32 v8, s14, 4, v3
	s_delay_alu instid0(VALU_DEP_2) | instskip(NEXT) | instid1(VALU_DEP_2)
	v_ashrrev_i32_e32 v1, 31, v0
	v_ashrrev_i32_e32 v9, 31, v8
	s_waitcnt lgkmcnt(0)
	s_add_u32 s2, s18, s20
	s_addc_u32 s3, s19, s21
	s_load_b64 s[18:19], s[0:1], 0x58
	s_load_b64 s[2:3], s[2:3], 0x0
	v_cmp_lt_i64_e64 s12, s[4:5], 1
	s_delay_alu instid0(VALU_DEP_1)
	s_and_b32 vcc_lo, exec_lo, s12
	s_cbranch_vccnz .LBB1510_6
; %bb.1:
	s_load_b128 s[12:15], s[0:1], 0x30
	v_mul_lo_u32 v6, v0, s11
	v_mul_lo_u32 v7, v1, s10
	v_mad_u64_u32 v[4:5], null, v0, s10, 0
	v_lshlrev_b32_e32 v10, 3, v2
	v_lshlrev_b32_e32 v15, 7, v3
	;; [unrolled: 1-line block ×3, first 2 shown]
	s_delay_alu instid0(VALU_DEP_4) | instskip(SKIP_2) | instid1(VALU_DEP_3)
	v_add3_u32 v5, v5, v6, v7
	v_mov_b32_e32 v6, 0
	v_mov_b32_e32 v7, 0
	v_lshlrev_b64 v[4:5], 3, v[4:5]
	s_waitcnt lgkmcnt(0)
	s_add_u32 s0, s12, s20
	s_addc_u32 s1, s13, s21
	s_add_u32 s8, s8, s20
	s_load_b64 s[0:1], s[0:1], 0x0
	s_addc_u32 s9, s9, s21
	v_mul_lo_u32 v11, v8, s15
	s_load_b64 s[8:9], s[8:9], 0x0
	v_mul_lo_u32 v12, v9, s14
	v_mad_u64_u32 v[13:14], null, v8, s14, 0
	s_delay_alu instid0(VALU_DEP_1) | instskip(SKIP_2) | instid1(VALU_DEP_3)
	v_add3_u32 v14, v14, v11, v12
	v_add_nc_u32_e32 v11, v10, v15
	v_add_nc_u32_e32 v12, 0x800, v15
	v_lshlrev_b64 v[2:3], 3, v[13:14]
	s_waitcnt lgkmcnt(0)
	v_add_co_u32 v13, s0, s0, v10
	s_delay_alu instid0(VALU_DEP_1) | instskip(SKIP_1) | instid1(VALU_DEP_1)
	v_add_co_ci_u32_e64 v14, null, s1, 0, s0
	v_add_co_u32 v15, s0, s8, v16
	v_add_co_ci_u32_e64 v16, null, s9, 0, s0
	s_delay_alu instid0(VALU_DEP_4) | instskip(NEXT) | instid1(VALU_DEP_4)
	v_add_co_u32 v2, vcc_lo, v13, v2
	v_add_co_ci_u32_e32 v3, vcc_lo, v14, v3, vcc_lo
	s_delay_alu instid0(VALU_DEP_4) | instskip(NEXT) | instid1(VALU_DEP_4)
	v_add_co_u32 v4, vcc_lo, v15, v4
	v_add_co_ci_u32_e32 v5, vcc_lo, v16, v5, vcc_lo
	v_add_nc_u32_e32 v13, v12, v10
	s_mov_b64 s[0:1], 0
.LBB1510_2:                             ; =>This Inner Loop Header: Depth=1
	global_load_b64 v[14:15], v[4:5], off
	global_load_b64 v[16:17], v[2:3], off
	s_add_u32 s0, s0, 16
	v_add_co_u32 v2, vcc_lo, 0x80, v2
	s_addc_u32 s1, s1, 0
	v_add_co_ci_u32_e32 v3, vcc_lo, 0, v3, vcc_lo
	v_cmp_lt_i64_e64 s8, s[0:1], s[4:5]
	v_add_co_u32 v4, vcc_lo, 0x80, v4
	v_add_co_ci_u32_e32 v5, vcc_lo, 0, v5, vcc_lo
	s_waitcnt vmcnt(1)
	ds_store_b64 v11, v[14:15]
	s_waitcnt vmcnt(0)
	ds_store_b64 v13, v[16:17]
	s_waitcnt lgkmcnt(0)
	s_barrier
	buffer_gl0_inv
	ds_load_2addr_b64 v[14:17], v10 offset1:16
	ds_load_b128 v[18:21], v12
	ds_load_b128 v[22:25], v12 offset:16
	s_and_b32 vcc_lo, exec_lo, s8
	s_waitcnt lgkmcnt(1)
	v_fma_f64 v[6:7], v[14:15], v[18:19], v[6:7]
	s_delay_alu instid0(VALU_DEP_1) | instskip(SKIP_3) | instid1(VALU_DEP_1)
	v_fma_f64 v[6:7], v[16:17], v[20:21], v[6:7]
	ds_load_2addr_b64 v[14:17], v10 offset0:32 offset1:48
	s_waitcnt lgkmcnt(0)
	v_fma_f64 v[6:7], v[14:15], v[22:23], v[6:7]
	v_fma_f64 v[6:7], v[16:17], v[24:25], v[6:7]
	ds_load_2addr_b64 v[14:17], v10 offset0:64 offset1:80
	ds_load_b128 v[18:21], v12 offset:32
	ds_load_b128 v[22:25], v12 offset:48
	s_waitcnt lgkmcnt(1)
	v_fma_f64 v[6:7], v[14:15], v[18:19], v[6:7]
	s_delay_alu instid0(VALU_DEP_1) | instskip(SKIP_3) | instid1(VALU_DEP_1)
	v_fma_f64 v[6:7], v[16:17], v[20:21], v[6:7]
	ds_load_2addr_b64 v[14:17], v10 offset0:96 offset1:112
	s_waitcnt lgkmcnt(0)
	v_fma_f64 v[6:7], v[14:15], v[22:23], v[6:7]
	v_fma_f64 v[6:7], v[16:17], v[24:25], v[6:7]
	ds_load_2addr_b64 v[14:17], v10 offset0:128 offset1:144
	ds_load_b128 v[18:21], v12 offset:64
	ds_load_b128 v[22:25], v12 offset:80
	;; [unrolled: 11-line block ×3, first 2 shown]
	s_waitcnt lgkmcnt(1)
	v_fma_f64 v[6:7], v[14:15], v[18:19], v[6:7]
	s_delay_alu instid0(VALU_DEP_1)
	v_fma_f64 v[6:7], v[16:17], v[20:21], v[6:7]
	ds_load_2addr_b64 v[14:17], v10 offset0:224 offset1:240
	s_waitcnt lgkmcnt(0)
	s_barrier
	buffer_gl0_inv
	v_fma_f64 v[6:7], v[14:15], v[22:23], v[6:7]
	s_delay_alu instid0(VALU_DEP_1)
	v_fma_f64 v[6:7], v[16:17], v[24:25], v[6:7]
	s_cbranch_vccnz .LBB1510_2
; %bb.3:
	s_mov_b32 s0, exec_lo
	v_cmpx_le_i32_e64 v0, v8
	s_cbranch_execz .LBB1510_5
.LBB1510_4:
	s_waitcnt lgkmcnt(0)
	v_mul_lo_u32 v4, v8, s19
	v_mul_lo_u32 v5, v9, s18
	v_mad_u64_u32 v[2:3], null, v8, s18, 0
	v_lshlrev_b64 v[0:1], 3, v[0:1]
	s_delay_alu instid0(VALU_DEP_2) | instskip(NEXT) | instid1(VALU_DEP_1)
	v_add3_u32 v3, v3, v4, v5
	v_lshlrev_b64 v[2:3], 3, v[2:3]
	s_delay_alu instid0(VALU_DEP_1) | instskip(NEXT) | instid1(VALU_DEP_2)
	v_add_co_u32 v2, vcc_lo, s2, v2
	v_add_co_ci_u32_e32 v3, vcc_lo, s3, v3, vcc_lo
	s_delay_alu instid0(VALU_DEP_2) | instskip(NEXT) | instid1(VALU_DEP_2)
	v_add_co_u32 v0, vcc_lo, v2, v0
	v_add_co_ci_u32_e32 v1, vcc_lo, v3, v1, vcc_lo
	global_load_b64 v[2:3], v[0:1], off
	s_waitcnt vmcnt(0)
	v_mul_f64 v[2:3], v[2:3], s[16:17]
	s_delay_alu instid0(VALU_DEP_1)
	v_fma_f64 v[2:3], v[6:7], s[6:7], v[2:3]
	global_store_b64 v[0:1], v[2:3], off
.LBB1510_5:
	s_nop 0
	s_sendmsg sendmsg(MSG_DEALLOC_VGPRS)
	s_endpgm
.LBB1510_6:
	v_mov_b32_e32 v6, 0
	v_mov_b32_e32 v7, 0
	s_mov_b32 s0, exec_lo
	v_cmpx_le_i32_e64 v0, v8
	s_cbranch_execnz .LBB1510_4
	s_branch .LBB1510_5
	.section	.rodata,"a",@progbits
	.p2align	6, 0x0
	.amdhsa_kernel _ZL41rocblas_syrkx_herkx_small_restrict_kernelIldLi16ELb0ELb0ELc84ELc85EKPKdKPdEviT_T0_PT6_S5_lS8_S5_lS6_PT7_S5_li
		.amdhsa_group_segment_fixed_size 4096
		.amdhsa_private_segment_fixed_size 0
		.amdhsa_kernarg_size 108
		.amdhsa_user_sgpr_count 13
		.amdhsa_user_sgpr_dispatch_ptr 0
		.amdhsa_user_sgpr_queue_ptr 0
		.amdhsa_user_sgpr_kernarg_segment_ptr 1
		.amdhsa_user_sgpr_dispatch_id 0
		.amdhsa_user_sgpr_private_segment_size 0
		.amdhsa_wavefront_size32 1
		.amdhsa_uses_dynamic_stack 0
		.amdhsa_enable_private_segment 0
		.amdhsa_system_sgpr_workgroup_id_x 1
		.amdhsa_system_sgpr_workgroup_id_y 1
		.amdhsa_system_sgpr_workgroup_id_z 1
		.amdhsa_system_sgpr_workgroup_info 0
		.amdhsa_system_vgpr_workitem_id 1
		.amdhsa_next_free_vgpr 26
		.amdhsa_next_free_sgpr 22
		.amdhsa_reserve_vcc 1
		.amdhsa_float_round_mode_32 0
		.amdhsa_float_round_mode_16_64 0
		.amdhsa_float_denorm_mode_32 3
		.amdhsa_float_denorm_mode_16_64 3
		.amdhsa_dx10_clamp 1
		.amdhsa_ieee_mode 1
		.amdhsa_fp16_overflow 0
		.amdhsa_workgroup_processor_mode 1
		.amdhsa_memory_ordered 1
		.amdhsa_forward_progress 0
		.amdhsa_shared_vgpr_count 0
		.amdhsa_exception_fp_ieee_invalid_op 0
		.amdhsa_exception_fp_denorm_src 0
		.amdhsa_exception_fp_ieee_div_zero 0
		.amdhsa_exception_fp_ieee_overflow 0
		.amdhsa_exception_fp_ieee_underflow 0
		.amdhsa_exception_fp_ieee_inexact 0
		.amdhsa_exception_int_div_zero 0
	.end_amdhsa_kernel
	.section	.text._ZL41rocblas_syrkx_herkx_small_restrict_kernelIldLi16ELb0ELb0ELc84ELc85EKPKdKPdEviT_T0_PT6_S5_lS8_S5_lS6_PT7_S5_li,"axG",@progbits,_ZL41rocblas_syrkx_herkx_small_restrict_kernelIldLi16ELb0ELb0ELc84ELc85EKPKdKPdEviT_T0_PT6_S5_lS8_S5_lS6_PT7_S5_li,comdat
.Lfunc_end1510:
	.size	_ZL41rocblas_syrkx_herkx_small_restrict_kernelIldLi16ELb0ELb0ELc84ELc85EKPKdKPdEviT_T0_PT6_S5_lS8_S5_lS6_PT7_S5_li, .Lfunc_end1510-_ZL41rocblas_syrkx_herkx_small_restrict_kernelIldLi16ELb0ELb0ELc84ELc85EKPKdKPdEviT_T0_PT6_S5_lS8_S5_lS6_PT7_S5_li
                                        ; -- End function
	.section	.AMDGPU.csdata,"",@progbits
; Kernel info:
; codeLenInByte = 988
; NumSgprs: 24
; NumVgprs: 26
; ScratchSize: 0
; MemoryBound: 0
; FloatMode: 240
; IeeeMode: 1
; LDSByteSize: 4096 bytes/workgroup (compile time only)
; SGPRBlocks: 2
; VGPRBlocks: 3
; NumSGPRsForWavesPerEU: 24
; NumVGPRsForWavesPerEU: 26
; Occupancy: 16
; WaveLimiterHint : 1
; COMPUTE_PGM_RSRC2:SCRATCH_EN: 0
; COMPUTE_PGM_RSRC2:USER_SGPR: 13
; COMPUTE_PGM_RSRC2:TRAP_HANDLER: 0
; COMPUTE_PGM_RSRC2:TGID_X_EN: 1
; COMPUTE_PGM_RSRC2:TGID_Y_EN: 1
; COMPUTE_PGM_RSRC2:TGID_Z_EN: 1
; COMPUTE_PGM_RSRC2:TIDIG_COMP_CNT: 1
	.section	.text._ZL41rocblas_syrkx_herkx_small_restrict_kernelIldLi16ELb0ELb0ELc67ELc85EKPKdKPdEviT_T0_PT6_S5_lS8_S5_lS6_PT7_S5_li,"axG",@progbits,_ZL41rocblas_syrkx_herkx_small_restrict_kernelIldLi16ELb0ELb0ELc67ELc85EKPKdKPdEviT_T0_PT6_S5_lS8_S5_lS6_PT7_S5_li,comdat
	.globl	_ZL41rocblas_syrkx_herkx_small_restrict_kernelIldLi16ELb0ELb0ELc67ELc85EKPKdKPdEviT_T0_PT6_S5_lS8_S5_lS6_PT7_S5_li ; -- Begin function _ZL41rocblas_syrkx_herkx_small_restrict_kernelIldLi16ELb0ELb0ELc67ELc85EKPKdKPdEviT_T0_PT6_S5_lS8_S5_lS6_PT7_S5_li
	.p2align	8
	.type	_ZL41rocblas_syrkx_herkx_small_restrict_kernelIldLi16ELb0ELb0ELc67ELc85EKPKdKPdEviT_T0_PT6_S5_lS8_S5_lS6_PT7_S5_li,@function
_ZL41rocblas_syrkx_herkx_small_restrict_kernelIldLi16ELb0ELb0ELc67ELc85EKPKdKPdEviT_T0_PT6_S5_lS8_S5_lS6_PT7_S5_li: ; @_ZL41rocblas_syrkx_herkx_small_restrict_kernelIldLi16ELb0ELb0ELc67ELc85EKPKdKPdEviT_T0_PT6_S5_lS8_S5_lS6_PT7_S5_li
; %bb.0:
	s_clause 0x1
	s_load_b128 s[16:19], s[0:1], 0x48
	s_load_b256 s[4:11], s[0:1], 0x8
	s_mov_b32 s2, s15
	s_mov_b32 s3, 0
	v_and_b32_e32 v2, 0x3ff, v0
	s_lshl_b64 s[20:21], s[2:3], 3
	v_bfe_u32 v3, v0, 10, 10
	s_delay_alu instid0(VALU_DEP_2) | instskip(NEXT) | instid1(VALU_DEP_2)
	v_lshl_add_u32 v0, s13, 4, v2
	v_lshl_add_u32 v8, s14, 4, v3
	s_delay_alu instid0(VALU_DEP_2) | instskip(NEXT) | instid1(VALU_DEP_2)
	v_ashrrev_i32_e32 v1, 31, v0
	v_ashrrev_i32_e32 v9, 31, v8
	s_waitcnt lgkmcnt(0)
	s_add_u32 s2, s18, s20
	s_addc_u32 s3, s19, s21
	s_load_b64 s[18:19], s[0:1], 0x58
	s_load_b64 s[2:3], s[2:3], 0x0
	v_cmp_lt_i64_e64 s12, s[4:5], 1
	s_delay_alu instid0(VALU_DEP_1)
	s_and_b32 vcc_lo, exec_lo, s12
	s_cbranch_vccnz .LBB1511_6
; %bb.1:
	s_load_b128 s[12:15], s[0:1], 0x30
	v_mul_lo_u32 v6, v0, s11
	v_mul_lo_u32 v7, v1, s10
	v_mad_u64_u32 v[4:5], null, v0, s10, 0
	v_lshlrev_b32_e32 v10, 3, v2
	v_lshlrev_b32_e32 v15, 7, v3
	;; [unrolled: 1-line block ×3, first 2 shown]
	s_delay_alu instid0(VALU_DEP_4) | instskip(SKIP_2) | instid1(VALU_DEP_3)
	v_add3_u32 v5, v5, v6, v7
	v_mov_b32_e32 v6, 0
	v_mov_b32_e32 v7, 0
	v_lshlrev_b64 v[4:5], 3, v[4:5]
	s_waitcnt lgkmcnt(0)
	s_add_u32 s0, s12, s20
	s_addc_u32 s1, s13, s21
	s_add_u32 s8, s8, s20
	s_load_b64 s[0:1], s[0:1], 0x0
	s_addc_u32 s9, s9, s21
	v_mul_lo_u32 v11, v8, s15
	s_load_b64 s[8:9], s[8:9], 0x0
	v_mul_lo_u32 v12, v9, s14
	v_mad_u64_u32 v[13:14], null, v8, s14, 0
	s_delay_alu instid0(VALU_DEP_1) | instskip(SKIP_2) | instid1(VALU_DEP_3)
	v_add3_u32 v14, v14, v11, v12
	v_add_nc_u32_e32 v11, v10, v15
	v_add_nc_u32_e32 v12, 0x800, v15
	v_lshlrev_b64 v[2:3], 3, v[13:14]
	s_waitcnt lgkmcnt(0)
	v_add_co_u32 v13, s0, s0, v10
	s_delay_alu instid0(VALU_DEP_1) | instskip(SKIP_1) | instid1(VALU_DEP_1)
	v_add_co_ci_u32_e64 v14, null, s1, 0, s0
	v_add_co_u32 v15, s0, s8, v16
	v_add_co_ci_u32_e64 v16, null, s9, 0, s0
	s_delay_alu instid0(VALU_DEP_4) | instskip(NEXT) | instid1(VALU_DEP_4)
	v_add_co_u32 v2, vcc_lo, v13, v2
	v_add_co_ci_u32_e32 v3, vcc_lo, v14, v3, vcc_lo
	s_delay_alu instid0(VALU_DEP_4) | instskip(NEXT) | instid1(VALU_DEP_4)
	v_add_co_u32 v4, vcc_lo, v15, v4
	v_add_co_ci_u32_e32 v5, vcc_lo, v16, v5, vcc_lo
	v_add_nc_u32_e32 v13, v12, v10
	s_mov_b64 s[0:1], 0
.LBB1511_2:                             ; =>This Inner Loop Header: Depth=1
	global_load_b64 v[14:15], v[4:5], off
	global_load_b64 v[16:17], v[2:3], off
	s_add_u32 s0, s0, 16
	v_add_co_u32 v2, vcc_lo, 0x80, v2
	s_addc_u32 s1, s1, 0
	v_add_co_ci_u32_e32 v3, vcc_lo, 0, v3, vcc_lo
	v_cmp_lt_i64_e64 s8, s[0:1], s[4:5]
	v_add_co_u32 v4, vcc_lo, 0x80, v4
	v_add_co_ci_u32_e32 v5, vcc_lo, 0, v5, vcc_lo
	s_waitcnt vmcnt(1)
	ds_store_b64 v11, v[14:15]
	s_waitcnt vmcnt(0)
	ds_store_b64 v13, v[16:17]
	s_waitcnt lgkmcnt(0)
	s_barrier
	buffer_gl0_inv
	ds_load_2addr_b64 v[14:17], v10 offset1:16
	ds_load_b128 v[18:21], v12
	ds_load_b128 v[22:25], v12 offset:16
	s_and_b32 vcc_lo, exec_lo, s8
	s_waitcnt lgkmcnt(1)
	v_fma_f64 v[6:7], v[14:15], v[18:19], v[6:7]
	s_delay_alu instid0(VALU_DEP_1) | instskip(SKIP_3) | instid1(VALU_DEP_1)
	v_fma_f64 v[6:7], v[16:17], v[20:21], v[6:7]
	ds_load_2addr_b64 v[14:17], v10 offset0:32 offset1:48
	s_waitcnt lgkmcnt(0)
	v_fma_f64 v[6:7], v[14:15], v[22:23], v[6:7]
	v_fma_f64 v[6:7], v[16:17], v[24:25], v[6:7]
	ds_load_2addr_b64 v[14:17], v10 offset0:64 offset1:80
	ds_load_b128 v[18:21], v12 offset:32
	ds_load_b128 v[22:25], v12 offset:48
	s_waitcnt lgkmcnt(1)
	v_fma_f64 v[6:7], v[14:15], v[18:19], v[6:7]
	s_delay_alu instid0(VALU_DEP_1) | instskip(SKIP_3) | instid1(VALU_DEP_1)
	v_fma_f64 v[6:7], v[16:17], v[20:21], v[6:7]
	ds_load_2addr_b64 v[14:17], v10 offset0:96 offset1:112
	s_waitcnt lgkmcnt(0)
	v_fma_f64 v[6:7], v[14:15], v[22:23], v[6:7]
	v_fma_f64 v[6:7], v[16:17], v[24:25], v[6:7]
	ds_load_2addr_b64 v[14:17], v10 offset0:128 offset1:144
	ds_load_b128 v[18:21], v12 offset:64
	ds_load_b128 v[22:25], v12 offset:80
	;; [unrolled: 11-line block ×3, first 2 shown]
	s_waitcnt lgkmcnt(1)
	v_fma_f64 v[6:7], v[14:15], v[18:19], v[6:7]
	s_delay_alu instid0(VALU_DEP_1)
	v_fma_f64 v[6:7], v[16:17], v[20:21], v[6:7]
	ds_load_2addr_b64 v[14:17], v10 offset0:224 offset1:240
	s_waitcnt lgkmcnt(0)
	s_barrier
	buffer_gl0_inv
	v_fma_f64 v[6:7], v[14:15], v[22:23], v[6:7]
	s_delay_alu instid0(VALU_DEP_1)
	v_fma_f64 v[6:7], v[16:17], v[24:25], v[6:7]
	s_cbranch_vccnz .LBB1511_2
; %bb.3:
	s_mov_b32 s0, exec_lo
	v_cmpx_le_i32_e64 v0, v8
	s_cbranch_execz .LBB1511_5
.LBB1511_4:
	s_waitcnt lgkmcnt(0)
	v_mul_lo_u32 v4, v8, s19
	v_mul_lo_u32 v5, v9, s18
	v_mad_u64_u32 v[2:3], null, v8, s18, 0
	v_lshlrev_b64 v[0:1], 3, v[0:1]
	s_delay_alu instid0(VALU_DEP_2) | instskip(NEXT) | instid1(VALU_DEP_1)
	v_add3_u32 v3, v3, v4, v5
	v_lshlrev_b64 v[2:3], 3, v[2:3]
	s_delay_alu instid0(VALU_DEP_1) | instskip(NEXT) | instid1(VALU_DEP_2)
	v_add_co_u32 v2, vcc_lo, s2, v2
	v_add_co_ci_u32_e32 v3, vcc_lo, s3, v3, vcc_lo
	s_delay_alu instid0(VALU_DEP_2) | instskip(NEXT) | instid1(VALU_DEP_2)
	v_add_co_u32 v0, vcc_lo, v2, v0
	v_add_co_ci_u32_e32 v1, vcc_lo, v3, v1, vcc_lo
	global_load_b64 v[2:3], v[0:1], off
	s_waitcnt vmcnt(0)
	v_mul_f64 v[2:3], v[2:3], s[16:17]
	s_delay_alu instid0(VALU_DEP_1)
	v_fma_f64 v[2:3], v[6:7], s[6:7], v[2:3]
	global_store_b64 v[0:1], v[2:3], off
.LBB1511_5:
	s_nop 0
	s_sendmsg sendmsg(MSG_DEALLOC_VGPRS)
	s_endpgm
.LBB1511_6:
	v_mov_b32_e32 v6, 0
	v_mov_b32_e32 v7, 0
	s_mov_b32 s0, exec_lo
	v_cmpx_le_i32_e64 v0, v8
	s_cbranch_execnz .LBB1511_4
	s_branch .LBB1511_5
	.section	.rodata,"a",@progbits
	.p2align	6, 0x0
	.amdhsa_kernel _ZL41rocblas_syrkx_herkx_small_restrict_kernelIldLi16ELb0ELb0ELc67ELc85EKPKdKPdEviT_T0_PT6_S5_lS8_S5_lS6_PT7_S5_li
		.amdhsa_group_segment_fixed_size 4096
		.amdhsa_private_segment_fixed_size 0
		.amdhsa_kernarg_size 108
		.amdhsa_user_sgpr_count 13
		.amdhsa_user_sgpr_dispatch_ptr 0
		.amdhsa_user_sgpr_queue_ptr 0
		.amdhsa_user_sgpr_kernarg_segment_ptr 1
		.amdhsa_user_sgpr_dispatch_id 0
		.amdhsa_user_sgpr_private_segment_size 0
		.amdhsa_wavefront_size32 1
		.amdhsa_uses_dynamic_stack 0
		.amdhsa_enable_private_segment 0
		.amdhsa_system_sgpr_workgroup_id_x 1
		.amdhsa_system_sgpr_workgroup_id_y 1
		.amdhsa_system_sgpr_workgroup_id_z 1
		.amdhsa_system_sgpr_workgroup_info 0
		.amdhsa_system_vgpr_workitem_id 1
		.amdhsa_next_free_vgpr 26
		.amdhsa_next_free_sgpr 22
		.amdhsa_reserve_vcc 1
		.amdhsa_float_round_mode_32 0
		.amdhsa_float_round_mode_16_64 0
		.amdhsa_float_denorm_mode_32 3
		.amdhsa_float_denorm_mode_16_64 3
		.amdhsa_dx10_clamp 1
		.amdhsa_ieee_mode 1
		.amdhsa_fp16_overflow 0
		.amdhsa_workgroup_processor_mode 1
		.amdhsa_memory_ordered 1
		.amdhsa_forward_progress 0
		.amdhsa_shared_vgpr_count 0
		.amdhsa_exception_fp_ieee_invalid_op 0
		.amdhsa_exception_fp_denorm_src 0
		.amdhsa_exception_fp_ieee_div_zero 0
		.amdhsa_exception_fp_ieee_overflow 0
		.amdhsa_exception_fp_ieee_underflow 0
		.amdhsa_exception_fp_ieee_inexact 0
		.amdhsa_exception_int_div_zero 0
	.end_amdhsa_kernel
	.section	.text._ZL41rocblas_syrkx_herkx_small_restrict_kernelIldLi16ELb0ELb0ELc67ELc85EKPKdKPdEviT_T0_PT6_S5_lS8_S5_lS6_PT7_S5_li,"axG",@progbits,_ZL41rocblas_syrkx_herkx_small_restrict_kernelIldLi16ELb0ELb0ELc67ELc85EKPKdKPdEviT_T0_PT6_S5_lS8_S5_lS6_PT7_S5_li,comdat
.Lfunc_end1511:
	.size	_ZL41rocblas_syrkx_herkx_small_restrict_kernelIldLi16ELb0ELb0ELc67ELc85EKPKdKPdEviT_T0_PT6_S5_lS8_S5_lS6_PT7_S5_li, .Lfunc_end1511-_ZL41rocblas_syrkx_herkx_small_restrict_kernelIldLi16ELb0ELb0ELc67ELc85EKPKdKPdEviT_T0_PT6_S5_lS8_S5_lS6_PT7_S5_li
                                        ; -- End function
	.section	.AMDGPU.csdata,"",@progbits
; Kernel info:
; codeLenInByte = 988
; NumSgprs: 24
; NumVgprs: 26
; ScratchSize: 0
; MemoryBound: 0
; FloatMode: 240
; IeeeMode: 1
; LDSByteSize: 4096 bytes/workgroup (compile time only)
; SGPRBlocks: 2
; VGPRBlocks: 3
; NumSGPRsForWavesPerEU: 24
; NumVGPRsForWavesPerEU: 26
; Occupancy: 16
; WaveLimiterHint : 1
; COMPUTE_PGM_RSRC2:SCRATCH_EN: 0
; COMPUTE_PGM_RSRC2:USER_SGPR: 13
; COMPUTE_PGM_RSRC2:TRAP_HANDLER: 0
; COMPUTE_PGM_RSRC2:TGID_X_EN: 1
; COMPUTE_PGM_RSRC2:TGID_Y_EN: 1
; COMPUTE_PGM_RSRC2:TGID_Z_EN: 1
; COMPUTE_PGM_RSRC2:TIDIG_COMP_CNT: 1
	.section	.text._ZL41rocblas_syrkx_herkx_small_restrict_kernelIldLi16ELb0ELb0ELc78ELc85EKPKdKPdEviT_T0_PT6_S5_lS8_S5_lS6_PT7_S5_li,"axG",@progbits,_ZL41rocblas_syrkx_herkx_small_restrict_kernelIldLi16ELb0ELb0ELc78ELc85EKPKdKPdEviT_T0_PT6_S5_lS8_S5_lS6_PT7_S5_li,comdat
	.globl	_ZL41rocblas_syrkx_herkx_small_restrict_kernelIldLi16ELb0ELb0ELc78ELc85EKPKdKPdEviT_T0_PT6_S5_lS8_S5_lS6_PT7_S5_li ; -- Begin function _ZL41rocblas_syrkx_herkx_small_restrict_kernelIldLi16ELb0ELb0ELc78ELc85EKPKdKPdEviT_T0_PT6_S5_lS8_S5_lS6_PT7_S5_li
	.p2align	8
	.type	_ZL41rocblas_syrkx_herkx_small_restrict_kernelIldLi16ELb0ELb0ELc78ELc85EKPKdKPdEviT_T0_PT6_S5_lS8_S5_lS6_PT7_S5_li,@function
_ZL41rocblas_syrkx_herkx_small_restrict_kernelIldLi16ELb0ELb0ELc78ELc85EKPKdKPdEviT_T0_PT6_S5_lS8_S5_lS6_PT7_S5_li: ; @_ZL41rocblas_syrkx_herkx_small_restrict_kernelIldLi16ELb0ELb0ELc78ELc85EKPKdKPdEviT_T0_PT6_S5_lS8_S5_lS6_PT7_S5_li
; %bb.0:
	s_clause 0x1
	s_load_b128 s[16:19], s[0:1], 0x48
	s_load_b256 s[4:11], s[0:1], 0x8
	s_mov_b32 s2, s15
	s_mov_b32 s3, 0
	v_and_b32_e32 v5, 0x3ff, v0
	s_lshl_b64 s[22:23], s[2:3], 3
	v_bfe_u32 v4, v0, 10, 10
	s_delay_alu instid0(VALU_DEP_2) | instskip(NEXT) | instid1(VALU_DEP_2)
	v_lshl_add_u32 v0, s13, 4, v5
	v_lshl_add_u32 v2, s14, 4, v4
	s_delay_alu instid0(VALU_DEP_2) | instskip(NEXT) | instid1(VALU_DEP_2)
	v_ashrrev_i32_e32 v1, 31, v0
	v_ashrrev_i32_e32 v3, 31, v2
	s_waitcnt lgkmcnt(0)
	s_add_u32 s2, s18, s22
	s_addc_u32 s3, s19, s23
	s_load_b64 s[20:21], s[0:1], 0x58
	s_load_b64 s[18:19], s[2:3], 0x0
	v_cmp_lt_i64_e64 s2, s[4:5], 1
	s_delay_alu instid0(VALU_DEP_1)
	s_and_b32 vcc_lo, exec_lo, s2
	s_cbranch_vccnz .LBB1512_6
; %bb.1:
	s_load_b128 s[0:3], s[0:1], 0x30
	v_mad_u64_u32 v[14:15], null, s10, v4, 0
	v_lshlrev_b64 v[16:17], 3, v[2:3]
	v_lshlrev_b64 v[18:19], 3, v[0:1]
	s_delay_alu instid0(VALU_DEP_3)
	v_mov_b32_e32 v8, v15
	s_waitcnt lgkmcnt(0)
	v_mad_u64_u32 v[6:7], null, s2, v5, 0
	s_add_u32 s0, s0, s22
	s_addc_u32 s1, s1, s23
	s_add_u32 s8, s8, s22
	s_load_b64 s[0:1], s[0:1], 0x0
	s_addc_u32 s9, s9, s23
	s_load_b64 s[8:9], s[8:9], 0x0
	s_delay_alu instid0(VALU_DEP_1) | instskip(NEXT) | instid1(VALU_DEP_1)
	v_mad_u64_u32 v[11:12], null, s3, v5, v[7:8]
	v_dual_mov_b32 v7, v11 :: v_dual_lshlrev_b32 v20, 7, v4
	s_delay_alu instid0(VALU_DEP_1) | instskip(SKIP_2) | instid1(VALU_DEP_4)
	v_add_nc_u32_e32 v11, 0x800, v20
	v_mad_u64_u32 v[12:13], null, s11, v4, v[8:9]
	v_lshlrev_b32_e32 v10, 3, v5
	v_lshlrev_b64 v[4:5], 3, v[6:7]
	s_delay_alu instid0(VALU_DEP_3) | instskip(NEXT) | instid1(VALU_DEP_2)
	v_mov_b32_e32 v15, v12
	v_add_co_u32 v4, vcc_lo, v4, v16
	s_delay_alu instid0(VALU_DEP_3) | instskip(NEXT) | instid1(VALU_DEP_3)
	v_add_co_ci_u32_e32 v5, vcc_lo, v5, v17, vcc_lo
	v_lshlrev_b64 v[6:7], 3, v[14:15]
	v_dual_mov_b32 v8, 0 :: v_dual_add_nc_u32 v13, v11, v10
	v_dual_mov_b32 v9, 0 :: v_dual_add_nc_u32 v12, v10, v20
	s_delay_alu instid0(VALU_DEP_3) | instskip(NEXT) | instid1(VALU_DEP_4)
	v_add_co_u32 v6, vcc_lo, v6, v18
	v_add_co_ci_u32_e32 v7, vcc_lo, v7, v19, vcc_lo
	s_waitcnt lgkmcnt(0)
	v_add_co_u32 v4, vcc_lo, s0, v4
	v_add_co_ci_u32_e32 v5, vcc_lo, s1, v5, vcc_lo
	v_add_co_u32 v6, vcc_lo, s8, v6
	v_add_co_ci_u32_e32 v7, vcc_lo, s9, v7, vcc_lo
	s_lshl_b64 s[0:1], s[2:3], 7
	s_lshl_b64 s[2:3], s[10:11], 7
	s_mov_b64 s[8:9], 0
.LBB1512_2:                             ; =>This Inner Loop Header: Depth=1
	global_load_b64 v[14:15], v[6:7], off
	global_load_b64 v[16:17], v[4:5], off
	s_add_u32 s8, s8, 16
	v_add_co_u32 v4, vcc_lo, v4, s0
	s_addc_u32 s9, s9, 0
	v_add_co_ci_u32_e32 v5, vcc_lo, s1, v5, vcc_lo
	v_cmp_lt_i64_e64 s10, s[8:9], s[4:5]
	v_add_co_u32 v6, vcc_lo, v6, s2
	v_add_co_ci_u32_e32 v7, vcc_lo, s3, v7, vcc_lo
	s_waitcnt vmcnt(1)
	ds_store_b64 v12, v[14:15]
	s_waitcnt vmcnt(0)
	ds_store_b64 v13, v[16:17]
	s_waitcnt lgkmcnt(0)
	s_barrier
	buffer_gl0_inv
	ds_load_2addr_b64 v[14:17], v10 offset1:16
	ds_load_b128 v[18:21], v11
	ds_load_b128 v[22:25], v11 offset:16
	s_and_b32 vcc_lo, exec_lo, s10
	s_waitcnt lgkmcnt(1)
	v_fma_f64 v[8:9], v[14:15], v[18:19], v[8:9]
	s_delay_alu instid0(VALU_DEP_1) | instskip(SKIP_3) | instid1(VALU_DEP_1)
	v_fma_f64 v[8:9], v[16:17], v[20:21], v[8:9]
	ds_load_2addr_b64 v[14:17], v10 offset0:32 offset1:48
	s_waitcnt lgkmcnt(0)
	v_fma_f64 v[8:9], v[14:15], v[22:23], v[8:9]
	v_fma_f64 v[8:9], v[16:17], v[24:25], v[8:9]
	ds_load_2addr_b64 v[14:17], v10 offset0:64 offset1:80
	ds_load_b128 v[18:21], v11 offset:32
	ds_load_b128 v[22:25], v11 offset:48
	s_waitcnt lgkmcnt(1)
	v_fma_f64 v[8:9], v[14:15], v[18:19], v[8:9]
	s_delay_alu instid0(VALU_DEP_1) | instskip(SKIP_3) | instid1(VALU_DEP_1)
	v_fma_f64 v[8:9], v[16:17], v[20:21], v[8:9]
	ds_load_2addr_b64 v[14:17], v10 offset0:96 offset1:112
	s_waitcnt lgkmcnt(0)
	v_fma_f64 v[8:9], v[14:15], v[22:23], v[8:9]
	v_fma_f64 v[8:9], v[16:17], v[24:25], v[8:9]
	ds_load_2addr_b64 v[14:17], v10 offset0:128 offset1:144
	ds_load_b128 v[18:21], v11 offset:64
	ds_load_b128 v[22:25], v11 offset:80
	;; [unrolled: 11-line block ×3, first 2 shown]
	s_waitcnt lgkmcnt(1)
	v_fma_f64 v[8:9], v[14:15], v[18:19], v[8:9]
	s_delay_alu instid0(VALU_DEP_1)
	v_fma_f64 v[8:9], v[16:17], v[20:21], v[8:9]
	ds_load_2addr_b64 v[14:17], v10 offset0:224 offset1:240
	s_waitcnt lgkmcnt(0)
	s_barrier
	buffer_gl0_inv
	v_fma_f64 v[8:9], v[14:15], v[22:23], v[8:9]
	s_delay_alu instid0(VALU_DEP_1)
	v_fma_f64 v[8:9], v[16:17], v[24:25], v[8:9]
	s_cbranch_vccnz .LBB1512_2
; %bb.3:
	s_mov_b32 s0, exec_lo
	v_cmpx_le_i32_e64 v0, v2
	s_cbranch_execz .LBB1512_5
.LBB1512_4:
	s_waitcnt lgkmcnt(0)
	v_mul_lo_u32 v5, v2, s21
	v_mul_lo_u32 v6, v3, s20
	v_mad_u64_u32 v[3:4], null, v2, s20, 0
	v_lshlrev_b64 v[0:1], 3, v[0:1]
	s_delay_alu instid0(VALU_DEP_2) | instskip(NEXT) | instid1(VALU_DEP_1)
	v_add3_u32 v4, v4, v5, v6
	v_lshlrev_b64 v[2:3], 3, v[3:4]
	s_delay_alu instid0(VALU_DEP_1) | instskip(NEXT) | instid1(VALU_DEP_2)
	v_add_co_u32 v2, vcc_lo, s18, v2
	v_add_co_ci_u32_e32 v3, vcc_lo, s19, v3, vcc_lo
	s_delay_alu instid0(VALU_DEP_2) | instskip(NEXT) | instid1(VALU_DEP_2)
	v_add_co_u32 v0, vcc_lo, v2, v0
	v_add_co_ci_u32_e32 v1, vcc_lo, v3, v1, vcc_lo
	global_load_b64 v[2:3], v[0:1], off
	s_waitcnt vmcnt(0)
	v_mul_f64 v[2:3], v[2:3], s[16:17]
	s_delay_alu instid0(VALU_DEP_1)
	v_fma_f64 v[2:3], v[8:9], s[6:7], v[2:3]
	global_store_b64 v[0:1], v[2:3], off
.LBB1512_5:
	s_nop 0
	s_sendmsg sendmsg(MSG_DEALLOC_VGPRS)
	s_endpgm
.LBB1512_6:
	v_mov_b32_e32 v8, 0
	v_mov_b32_e32 v9, 0
	s_mov_b32 s0, exec_lo
	v_cmpx_le_i32_e64 v0, v2
	s_cbranch_execnz .LBB1512_4
	s_branch .LBB1512_5
	.section	.rodata,"a",@progbits
	.p2align	6, 0x0
	.amdhsa_kernel _ZL41rocblas_syrkx_herkx_small_restrict_kernelIldLi16ELb0ELb0ELc78ELc85EKPKdKPdEviT_T0_PT6_S5_lS8_S5_lS6_PT7_S5_li
		.amdhsa_group_segment_fixed_size 4096
		.amdhsa_private_segment_fixed_size 0
		.amdhsa_kernarg_size 108
		.amdhsa_user_sgpr_count 13
		.amdhsa_user_sgpr_dispatch_ptr 0
		.amdhsa_user_sgpr_queue_ptr 0
		.amdhsa_user_sgpr_kernarg_segment_ptr 1
		.amdhsa_user_sgpr_dispatch_id 0
		.amdhsa_user_sgpr_private_segment_size 0
		.amdhsa_wavefront_size32 1
		.amdhsa_uses_dynamic_stack 0
		.amdhsa_enable_private_segment 0
		.amdhsa_system_sgpr_workgroup_id_x 1
		.amdhsa_system_sgpr_workgroup_id_y 1
		.amdhsa_system_sgpr_workgroup_id_z 1
		.amdhsa_system_sgpr_workgroup_info 0
		.amdhsa_system_vgpr_workitem_id 1
		.amdhsa_next_free_vgpr 26
		.amdhsa_next_free_sgpr 24
		.amdhsa_reserve_vcc 1
		.amdhsa_float_round_mode_32 0
		.amdhsa_float_round_mode_16_64 0
		.amdhsa_float_denorm_mode_32 3
		.amdhsa_float_denorm_mode_16_64 3
		.amdhsa_dx10_clamp 1
		.amdhsa_ieee_mode 1
		.amdhsa_fp16_overflow 0
		.amdhsa_workgroup_processor_mode 1
		.amdhsa_memory_ordered 1
		.amdhsa_forward_progress 0
		.amdhsa_shared_vgpr_count 0
		.amdhsa_exception_fp_ieee_invalid_op 0
		.amdhsa_exception_fp_denorm_src 0
		.amdhsa_exception_fp_ieee_div_zero 0
		.amdhsa_exception_fp_ieee_overflow 0
		.amdhsa_exception_fp_ieee_underflow 0
		.amdhsa_exception_fp_ieee_inexact 0
		.amdhsa_exception_int_div_zero 0
	.end_amdhsa_kernel
	.section	.text._ZL41rocblas_syrkx_herkx_small_restrict_kernelIldLi16ELb0ELb0ELc78ELc85EKPKdKPdEviT_T0_PT6_S5_lS8_S5_lS6_PT7_S5_li,"axG",@progbits,_ZL41rocblas_syrkx_herkx_small_restrict_kernelIldLi16ELb0ELb0ELc78ELc85EKPKdKPdEviT_T0_PT6_S5_lS8_S5_lS6_PT7_S5_li,comdat
.Lfunc_end1512:
	.size	_ZL41rocblas_syrkx_herkx_small_restrict_kernelIldLi16ELb0ELb0ELc78ELc85EKPKdKPdEviT_T0_PT6_S5_lS8_S5_lS6_PT7_S5_li, .Lfunc_end1512-_ZL41rocblas_syrkx_herkx_small_restrict_kernelIldLi16ELb0ELb0ELc78ELc85EKPKdKPdEviT_T0_PT6_S5_lS8_S5_lS6_PT7_S5_li
                                        ; -- End function
	.section	.AMDGPU.csdata,"",@progbits
; Kernel info:
; codeLenInByte = 976
; NumSgprs: 26
; NumVgprs: 26
; ScratchSize: 0
; MemoryBound: 0
; FloatMode: 240
; IeeeMode: 1
; LDSByteSize: 4096 bytes/workgroup (compile time only)
; SGPRBlocks: 3
; VGPRBlocks: 3
; NumSGPRsForWavesPerEU: 26
; NumVGPRsForWavesPerEU: 26
; Occupancy: 16
; WaveLimiterHint : 1
; COMPUTE_PGM_RSRC2:SCRATCH_EN: 0
; COMPUTE_PGM_RSRC2:USER_SGPR: 13
; COMPUTE_PGM_RSRC2:TRAP_HANDLER: 0
; COMPUTE_PGM_RSRC2:TGID_X_EN: 1
; COMPUTE_PGM_RSRC2:TGID_Y_EN: 1
; COMPUTE_PGM_RSRC2:TGID_Z_EN: 1
; COMPUTE_PGM_RSRC2:TIDIG_COMP_CNT: 1
	.section	.text._ZL32rocblas_syrkx_herkx_small_kernelIldLi16ELb1ELb0ELc84ELc76EKPKdKPdEviT_T0_PT6_S5_lS8_S5_lS6_PT7_S5_li,"axG",@progbits,_ZL32rocblas_syrkx_herkx_small_kernelIldLi16ELb1ELb0ELc84ELc76EKPKdKPdEviT_T0_PT6_S5_lS8_S5_lS6_PT7_S5_li,comdat
	.globl	_ZL32rocblas_syrkx_herkx_small_kernelIldLi16ELb1ELb0ELc84ELc76EKPKdKPdEviT_T0_PT6_S5_lS8_S5_lS6_PT7_S5_li ; -- Begin function _ZL32rocblas_syrkx_herkx_small_kernelIldLi16ELb1ELb0ELc84ELc76EKPKdKPdEviT_T0_PT6_S5_lS8_S5_lS6_PT7_S5_li
	.p2align	8
	.type	_ZL32rocblas_syrkx_herkx_small_kernelIldLi16ELb1ELb0ELc84ELc76EKPKdKPdEviT_T0_PT6_S5_lS8_S5_lS6_PT7_S5_li,@function
_ZL32rocblas_syrkx_herkx_small_kernelIldLi16ELb1ELb0ELc84ELc76EKPKdKPdEviT_T0_PT6_S5_lS8_S5_lS6_PT7_S5_li: ; @_ZL32rocblas_syrkx_herkx_small_kernelIldLi16ELb1ELb0ELc84ELc76EKPKdKPdEviT_T0_PT6_S5_lS8_S5_lS6_PT7_S5_li
; %bb.0:
	s_clause 0x2
	s_load_b128 s[16:19], s[0:1], 0x50
	s_load_b256 s[4:11], s[0:1], 0x8
	s_load_b32 s3, s[0:1], 0x0
	s_mov_b32 s20, s15
	s_mov_b32 s21, 0
	v_and_b32_e32 v16, 0x3ff, v0
	s_lshl_b64 s[20:21], s[20:21], 3
	v_bfe_u32 v17, v0, 10, 10
	s_delay_alu instid0(VALU_DEP_2) | instskip(NEXT) | instid1(VALU_DEP_2)
	v_lshl_add_u32 v0, s13, 4, v16
	v_lshl_add_u32 v14, s14, 4, v17
	s_delay_alu instid0(VALU_DEP_2) | instskip(NEXT) | instid1(VALU_DEP_2)
	v_ashrrev_i32_e32 v1, 31, v0
	v_ashrrev_i32_e32 v15, 31, v14
	s_waitcnt lgkmcnt(0)
	s_add_u32 s16, s16, s20
	s_addc_u32 s17, s17, s21
	v_cmp_lt_i64_e64 s2, s[4:5], 1
	s_load_b64 s[16:17], s[16:17], 0x0
	s_delay_alu instid0(VALU_DEP_1)
	s_and_b32 vcc_lo, exec_lo, s2
	v_cmp_gt_i32_e64 s2, s3, v0
	s_cbranch_vccnz .LBB1513_7
; %bb.1:
	s_load_b128 s[12:15], s[0:1], 0x30
	v_mul_lo_u32 v7, s10, v1
	v_mad_u64_u32 v[4:5], null, s10, v0, 0
	v_mul_lo_u32 v6, s11, v0
	v_lshlrev_b32_e32 v11, 3, v17
	v_lshlrev_b32_e32 v8, 7, v17
	v_cmp_gt_i32_e64 s0, s3, v14
	s_delay_alu instid0(VALU_DEP_4) | instskip(NEXT) | instid1(VALU_DEP_1)
	v_add3_u32 v5, v5, v7, v6
	v_lshlrev_b64 v[4:5], 3, v[4:5]
	s_waitcnt lgkmcnt(0)
	v_mul_lo_u32 v9, s15, v14
	v_mul_lo_u32 v10, s14, v15
	v_mad_u64_u32 v[2:3], null, s14, v14, 0
	s_add_u32 s10, s12, s20
	s_addc_u32 s11, s13, s21
	s_add_u32 s8, s8, s20
	s_load_b64 s[10:11], s[10:11], 0x0
	s_addc_u32 s9, s9, s21
	s_delay_alu instid0(VALU_DEP_1) | instskip(SKIP_1) | instid1(VALU_DEP_1)
	v_add3_u32 v3, v3, v10, v9
	s_load_b64 s[8:9], s[8:9], 0x0
	v_lshlrev_b64 v[6:7], 3, v[2:3]
	v_mov_b32_e32 v2, 0
	v_dual_mov_b32 v3, 0 :: v_dual_lshlrev_b32 v18, 3, v16
	v_add_nc_u32_e32 v19, 0x800, v8
	s_delay_alu instid0(VALU_DEP_2)
	v_add_co_u32 v6, vcc_lo, v6, v18
	v_add_co_ci_u32_e32 v7, vcc_lo, 0, v7, vcc_lo
	v_add_nc_u32_e32 v20, v18, v8
	v_add_co_u32 v8, vcc_lo, v4, v11
	v_add_co_ci_u32_e32 v9, vcc_lo, 0, v5, vcc_lo
	s_waitcnt lgkmcnt(0)
	v_add_co_u32 v4, vcc_lo, s10, v6
	v_add_co_ci_u32_e32 v5, vcc_lo, s11, v7, vcc_lo
	v_add_co_u32 v6, vcc_lo, s8, v8
	v_add_co_ci_u32_e32 v7, vcc_lo, s9, v9, vcc_lo
	v_dual_mov_b32 v9, v3 :: v_dual_mov_b32 v8, v2
	v_add_nc_u32_e32 v21, v19, v18
	s_mov_b64 s[8:9], 0
	s_branch .LBB1513_3
.LBB1513_2:                             ;   in Loop: Header=BB1513_3 Depth=1
	s_or_b32 exec_lo, exec_lo, s1
	s_waitcnt vmcnt(0)
	ds_store_b64 v21, v[12:13]
	s_waitcnt lgkmcnt(0)
	s_barrier
	buffer_gl0_inv
	ds_load_2addr_b64 v[10:13], v18 offset1:16
	ds_load_b128 v[22:25], v19
	ds_load_b128 v[26:29], v19 offset:16
	s_add_u32 s8, s8, 16
	s_addc_u32 s9, s9, 0
	v_add_co_u32 v4, vcc_lo, 0x80, v4
	v_cmp_ge_i64_e64 s1, s[8:9], s[4:5]
	v_add_co_ci_u32_e32 v5, vcc_lo, 0, v5, vcc_lo
	v_add_co_u32 v6, vcc_lo, 0x80, v6
	v_add_co_ci_u32_e32 v7, vcc_lo, 0, v7, vcc_lo
	s_delay_alu instid0(VALU_DEP_4) | instskip(SKIP_2) | instid1(VALU_DEP_1)
	s_and_b32 vcc_lo, exec_lo, s1
	s_waitcnt lgkmcnt(1)
	v_fma_f64 v[8:9], v[10:11], v[22:23], v[8:9]
	v_fma_f64 v[12:13], v[12:13], v[24:25], v[8:9]
	ds_load_2addr_b64 v[8:11], v18 offset0:32 offset1:48
	s_waitcnt lgkmcnt(0)
	v_fma_f64 v[8:9], v[8:9], v[26:27], v[12:13]
	s_delay_alu instid0(VALU_DEP_1)
	v_fma_f64 v[12:13], v[10:11], v[28:29], v[8:9]
	ds_load_2addr_b64 v[8:11], v18 offset0:64 offset1:80
	ds_load_b128 v[22:25], v19 offset:32
	ds_load_b128 v[26:29], v19 offset:48
	s_waitcnt lgkmcnt(1)
	v_fma_f64 v[8:9], v[8:9], v[22:23], v[12:13]
	s_delay_alu instid0(VALU_DEP_1) | instskip(SKIP_3) | instid1(VALU_DEP_1)
	v_fma_f64 v[12:13], v[10:11], v[24:25], v[8:9]
	ds_load_2addr_b64 v[8:11], v18 offset0:96 offset1:112
	s_waitcnt lgkmcnt(0)
	v_fma_f64 v[8:9], v[8:9], v[26:27], v[12:13]
	v_fma_f64 v[12:13], v[10:11], v[28:29], v[8:9]
	ds_load_2addr_b64 v[8:11], v18 offset0:128 offset1:144
	ds_load_b128 v[22:25], v19 offset:64
	ds_load_b128 v[26:29], v19 offset:80
	s_waitcnt lgkmcnt(1)
	v_fma_f64 v[8:9], v[8:9], v[22:23], v[12:13]
	s_delay_alu instid0(VALU_DEP_1) | instskip(SKIP_3) | instid1(VALU_DEP_1)
	v_fma_f64 v[12:13], v[10:11], v[24:25], v[8:9]
	ds_load_2addr_b64 v[8:11], v18 offset0:160 offset1:176
	s_waitcnt lgkmcnt(0)
	v_fma_f64 v[8:9], v[8:9], v[26:27], v[12:13]
	v_fma_f64 v[12:13], v[10:11], v[28:29], v[8:9]
	ds_load_2addr_b64 v[8:11], v18 offset0:192 offset1:208
	ds_load_b128 v[22:25], v19 offset:96
	ds_load_b128 v[26:29], v19 offset:112
	s_waitcnt lgkmcnt(1)
	v_fma_f64 v[8:9], v[8:9], v[22:23], v[12:13]
	s_delay_alu instid0(VALU_DEP_1)
	v_fma_f64 v[12:13], v[10:11], v[24:25], v[8:9]
	ds_load_2addr_b64 v[8:11], v18 offset0:224 offset1:240
	s_waitcnt lgkmcnt(0)
	s_barrier
	buffer_gl0_inv
	v_fma_f64 v[8:9], v[8:9], v[26:27], v[12:13]
	s_delay_alu instid0(VALU_DEP_1)
	v_fma_f64 v[8:9], v[10:11], v[28:29], v[8:9]
	s_cbranch_vccnz .LBB1513_8
.LBB1513_3:                             ; =>This Inner Loop Header: Depth=1
	v_add_co_u32 v10, s1, v17, s8
	s_delay_alu instid0(VALU_DEP_1) | instskip(NEXT) | instid1(VALU_DEP_1)
	v_add_co_ci_u32_e64 v11, null, 0, s9, s1
	v_cmp_gt_i64_e32 vcc_lo, s[4:5], v[10:11]
	v_dual_mov_b32 v11, v3 :: v_dual_mov_b32 v10, v2
	s_and_b32 s10, s2, vcc_lo
	s_delay_alu instid0(SALU_CYCLE_1)
	s_and_saveexec_b32 s1, s10
	s_cbranch_execz .LBB1513_5
; %bb.4:                                ;   in Loop: Header=BB1513_3 Depth=1
	global_load_b64 v[10:11], v[6:7], off
.LBB1513_5:                             ;   in Loop: Header=BB1513_3 Depth=1
	s_or_b32 exec_lo, exec_lo, s1
	v_add_co_u32 v12, s1, v16, s8
	s_delay_alu instid0(VALU_DEP_1)
	v_add_co_ci_u32_e64 v13, null, 0, s9, s1
	s_waitcnt vmcnt(0)
	ds_store_b64 v20, v[10:11]
	v_cmp_gt_i64_e32 vcc_lo, s[4:5], v[12:13]
	v_mov_b32_e32 v12, 0
	v_mov_b32_e32 v13, 0
	s_and_b32 s10, s0, vcc_lo
	s_delay_alu instid0(SALU_CYCLE_1)
	s_and_saveexec_b32 s1, s10
	s_cbranch_execz .LBB1513_2
; %bb.6:                                ;   in Loop: Header=BB1513_3 Depth=1
	global_load_b64 v[12:13], v[4:5], off
	s_branch .LBB1513_2
.LBB1513_7:
	v_mov_b32_e32 v8, 0
	v_mov_b32_e32 v9, 0
.LBB1513_8:
	v_cmp_le_i32_e32 vcc_lo, v14, v0
	v_cmp_gt_i32_e64 s0, s3, v0
	s_delay_alu instid0(VALU_DEP_1) | instskip(NEXT) | instid1(SALU_CYCLE_1)
	s_and_b32 s0, vcc_lo, s0
	s_and_saveexec_b32 s1, s0
	s_cbranch_execz .LBB1513_10
; %bb.9:
	s_delay_alu instid0(VALU_DEP_3) | instskip(SKIP_4) | instid1(VALU_DEP_2)
	v_mul_f64 v[2:3], v[8:9], s[6:7]
	v_mul_lo_u32 v6, v14, s19
	v_mul_lo_u32 v7, v15, s18
	v_mad_u64_u32 v[4:5], null, v14, s18, 0
	v_lshlrev_b64 v[0:1], 3, v[0:1]
	v_add3_u32 v5, v5, v6, v7
	s_delay_alu instid0(VALU_DEP_1) | instskip(SKIP_1) | instid1(VALU_DEP_1)
	v_lshlrev_b64 v[4:5], 3, v[4:5]
	s_waitcnt lgkmcnt(0)
	v_add_co_u32 v4, vcc_lo, s16, v4
	s_delay_alu instid0(VALU_DEP_2) | instskip(NEXT) | instid1(VALU_DEP_2)
	v_add_co_ci_u32_e32 v5, vcc_lo, s17, v5, vcc_lo
	v_add_co_u32 v0, vcc_lo, v4, v0
	s_delay_alu instid0(VALU_DEP_2)
	v_add_co_ci_u32_e32 v1, vcc_lo, v5, v1, vcc_lo
	global_store_b64 v[0:1], v[2:3], off
.LBB1513_10:
	s_nop 0
	s_sendmsg sendmsg(MSG_DEALLOC_VGPRS)
	s_endpgm
	.section	.rodata,"a",@progbits
	.p2align	6, 0x0
	.amdhsa_kernel _ZL32rocblas_syrkx_herkx_small_kernelIldLi16ELb1ELb0ELc84ELc76EKPKdKPdEviT_T0_PT6_S5_lS8_S5_lS6_PT7_S5_li
		.amdhsa_group_segment_fixed_size 4096
		.amdhsa_private_segment_fixed_size 0
		.amdhsa_kernarg_size 108
		.amdhsa_user_sgpr_count 13
		.amdhsa_user_sgpr_dispatch_ptr 0
		.amdhsa_user_sgpr_queue_ptr 0
		.amdhsa_user_sgpr_kernarg_segment_ptr 1
		.amdhsa_user_sgpr_dispatch_id 0
		.amdhsa_user_sgpr_private_segment_size 0
		.amdhsa_wavefront_size32 1
		.amdhsa_uses_dynamic_stack 0
		.amdhsa_enable_private_segment 0
		.amdhsa_system_sgpr_workgroup_id_x 1
		.amdhsa_system_sgpr_workgroup_id_y 1
		.amdhsa_system_sgpr_workgroup_id_z 1
		.amdhsa_system_sgpr_workgroup_info 0
		.amdhsa_system_vgpr_workitem_id 1
		.amdhsa_next_free_vgpr 30
		.amdhsa_next_free_sgpr 22
		.amdhsa_reserve_vcc 1
		.amdhsa_float_round_mode_32 0
		.amdhsa_float_round_mode_16_64 0
		.amdhsa_float_denorm_mode_32 3
		.amdhsa_float_denorm_mode_16_64 3
		.amdhsa_dx10_clamp 1
		.amdhsa_ieee_mode 1
		.amdhsa_fp16_overflow 0
		.amdhsa_workgroup_processor_mode 1
		.amdhsa_memory_ordered 1
		.amdhsa_forward_progress 0
		.amdhsa_shared_vgpr_count 0
		.amdhsa_exception_fp_ieee_invalid_op 0
		.amdhsa_exception_fp_denorm_src 0
		.amdhsa_exception_fp_ieee_div_zero 0
		.amdhsa_exception_fp_ieee_overflow 0
		.amdhsa_exception_fp_ieee_underflow 0
		.amdhsa_exception_fp_ieee_inexact 0
		.amdhsa_exception_int_div_zero 0
	.end_amdhsa_kernel
	.section	.text._ZL32rocblas_syrkx_herkx_small_kernelIldLi16ELb1ELb0ELc84ELc76EKPKdKPdEviT_T0_PT6_S5_lS8_S5_lS6_PT7_S5_li,"axG",@progbits,_ZL32rocblas_syrkx_herkx_small_kernelIldLi16ELb1ELb0ELc84ELc76EKPKdKPdEviT_T0_PT6_S5_lS8_S5_lS6_PT7_S5_li,comdat
.Lfunc_end1513:
	.size	_ZL32rocblas_syrkx_herkx_small_kernelIldLi16ELb1ELb0ELc84ELc76EKPKdKPdEviT_T0_PT6_S5_lS8_S5_lS6_PT7_S5_li, .Lfunc_end1513-_ZL32rocblas_syrkx_herkx_small_kernelIldLi16ELb1ELb0ELc84ELc76EKPKdKPdEviT_T0_PT6_S5_lS8_S5_lS6_PT7_S5_li
                                        ; -- End function
	.section	.AMDGPU.csdata,"",@progbits
; Kernel info:
; codeLenInByte = 1084
; NumSgprs: 24
; NumVgprs: 30
; ScratchSize: 0
; MemoryBound: 0
; FloatMode: 240
; IeeeMode: 1
; LDSByteSize: 4096 bytes/workgroup (compile time only)
; SGPRBlocks: 2
; VGPRBlocks: 3
; NumSGPRsForWavesPerEU: 24
; NumVGPRsForWavesPerEU: 30
; Occupancy: 16
; WaveLimiterHint : 1
; COMPUTE_PGM_RSRC2:SCRATCH_EN: 0
; COMPUTE_PGM_RSRC2:USER_SGPR: 13
; COMPUTE_PGM_RSRC2:TRAP_HANDLER: 0
; COMPUTE_PGM_RSRC2:TGID_X_EN: 1
; COMPUTE_PGM_RSRC2:TGID_Y_EN: 1
; COMPUTE_PGM_RSRC2:TGID_Z_EN: 1
; COMPUTE_PGM_RSRC2:TIDIG_COMP_CNT: 1
	.section	.text._ZL32rocblas_syrkx_herkx_small_kernelIldLi16ELb1ELb0ELc67ELc76EKPKdKPdEviT_T0_PT6_S5_lS8_S5_lS6_PT7_S5_li,"axG",@progbits,_ZL32rocblas_syrkx_herkx_small_kernelIldLi16ELb1ELb0ELc67ELc76EKPKdKPdEviT_T0_PT6_S5_lS8_S5_lS6_PT7_S5_li,comdat
	.globl	_ZL32rocblas_syrkx_herkx_small_kernelIldLi16ELb1ELb0ELc67ELc76EKPKdKPdEviT_T0_PT6_S5_lS8_S5_lS6_PT7_S5_li ; -- Begin function _ZL32rocblas_syrkx_herkx_small_kernelIldLi16ELb1ELb0ELc67ELc76EKPKdKPdEviT_T0_PT6_S5_lS8_S5_lS6_PT7_S5_li
	.p2align	8
	.type	_ZL32rocblas_syrkx_herkx_small_kernelIldLi16ELb1ELb0ELc67ELc76EKPKdKPdEviT_T0_PT6_S5_lS8_S5_lS6_PT7_S5_li,@function
_ZL32rocblas_syrkx_herkx_small_kernelIldLi16ELb1ELb0ELc67ELc76EKPKdKPdEviT_T0_PT6_S5_lS8_S5_lS6_PT7_S5_li: ; @_ZL32rocblas_syrkx_herkx_small_kernelIldLi16ELb1ELb0ELc67ELc76EKPKdKPdEviT_T0_PT6_S5_lS8_S5_lS6_PT7_S5_li
; %bb.0:
	s_clause 0x2
	s_load_b128 s[16:19], s[0:1], 0x50
	s_load_b256 s[4:11], s[0:1], 0x8
	s_load_b32 s3, s[0:1], 0x0
	s_mov_b32 s20, s15
	s_mov_b32 s21, 0
	v_and_b32_e32 v16, 0x3ff, v0
	s_lshl_b64 s[20:21], s[20:21], 3
	v_bfe_u32 v17, v0, 10, 10
	s_delay_alu instid0(VALU_DEP_2) | instskip(NEXT) | instid1(VALU_DEP_2)
	v_lshl_add_u32 v0, s13, 4, v16
	v_lshl_add_u32 v14, s14, 4, v17
	s_delay_alu instid0(VALU_DEP_2) | instskip(NEXT) | instid1(VALU_DEP_2)
	v_ashrrev_i32_e32 v1, 31, v0
	v_ashrrev_i32_e32 v15, 31, v14
	s_waitcnt lgkmcnt(0)
	s_add_u32 s16, s16, s20
	s_addc_u32 s17, s17, s21
	v_cmp_lt_i64_e64 s2, s[4:5], 1
	s_load_b64 s[16:17], s[16:17], 0x0
	s_delay_alu instid0(VALU_DEP_1)
	s_and_b32 vcc_lo, exec_lo, s2
	v_cmp_gt_i32_e64 s2, s3, v0
	s_cbranch_vccnz .LBB1514_7
; %bb.1:
	s_load_b128 s[12:15], s[0:1], 0x30
	v_mul_lo_u32 v7, s10, v1
	v_mad_u64_u32 v[4:5], null, s10, v0, 0
	v_mul_lo_u32 v6, s11, v0
	v_lshlrev_b32_e32 v11, 3, v17
	v_lshlrev_b32_e32 v8, 7, v17
	v_cmp_gt_i32_e64 s0, s3, v14
	s_delay_alu instid0(VALU_DEP_4) | instskip(NEXT) | instid1(VALU_DEP_1)
	v_add3_u32 v5, v5, v7, v6
	v_lshlrev_b64 v[4:5], 3, v[4:5]
	s_waitcnt lgkmcnt(0)
	v_mul_lo_u32 v9, s15, v14
	v_mul_lo_u32 v10, s14, v15
	v_mad_u64_u32 v[2:3], null, s14, v14, 0
	s_add_u32 s10, s12, s20
	s_addc_u32 s11, s13, s21
	s_add_u32 s8, s8, s20
	s_load_b64 s[10:11], s[10:11], 0x0
	s_addc_u32 s9, s9, s21
	s_delay_alu instid0(VALU_DEP_1) | instskip(SKIP_1) | instid1(VALU_DEP_1)
	v_add3_u32 v3, v3, v10, v9
	s_load_b64 s[8:9], s[8:9], 0x0
	v_lshlrev_b64 v[6:7], 3, v[2:3]
	v_mov_b32_e32 v2, 0
	v_dual_mov_b32 v3, 0 :: v_dual_lshlrev_b32 v18, 3, v16
	v_add_nc_u32_e32 v19, 0x800, v8
	s_delay_alu instid0(VALU_DEP_2)
	v_add_co_u32 v6, vcc_lo, v6, v18
	v_add_co_ci_u32_e32 v7, vcc_lo, 0, v7, vcc_lo
	v_add_nc_u32_e32 v20, v18, v8
	v_add_co_u32 v8, vcc_lo, v4, v11
	v_add_co_ci_u32_e32 v9, vcc_lo, 0, v5, vcc_lo
	s_waitcnt lgkmcnt(0)
	v_add_co_u32 v4, vcc_lo, s10, v6
	v_add_co_ci_u32_e32 v5, vcc_lo, s11, v7, vcc_lo
	v_add_co_u32 v6, vcc_lo, s8, v8
	v_add_co_ci_u32_e32 v7, vcc_lo, s9, v9, vcc_lo
	v_dual_mov_b32 v9, v3 :: v_dual_mov_b32 v8, v2
	v_add_nc_u32_e32 v21, v19, v18
	s_mov_b64 s[8:9], 0
	s_branch .LBB1514_3
.LBB1514_2:                             ;   in Loop: Header=BB1514_3 Depth=1
	s_or_b32 exec_lo, exec_lo, s1
	s_waitcnt vmcnt(0)
	ds_store_b64 v21, v[12:13]
	s_waitcnt lgkmcnt(0)
	s_barrier
	buffer_gl0_inv
	ds_load_2addr_b64 v[10:13], v18 offset1:16
	ds_load_b128 v[22:25], v19
	ds_load_b128 v[26:29], v19 offset:16
	s_add_u32 s8, s8, 16
	s_addc_u32 s9, s9, 0
	v_add_co_u32 v4, vcc_lo, 0x80, v4
	v_cmp_ge_i64_e64 s1, s[8:9], s[4:5]
	v_add_co_ci_u32_e32 v5, vcc_lo, 0, v5, vcc_lo
	v_add_co_u32 v6, vcc_lo, 0x80, v6
	v_add_co_ci_u32_e32 v7, vcc_lo, 0, v7, vcc_lo
	s_delay_alu instid0(VALU_DEP_4) | instskip(SKIP_2) | instid1(VALU_DEP_1)
	s_and_b32 vcc_lo, exec_lo, s1
	s_waitcnt lgkmcnt(1)
	v_fma_f64 v[8:9], v[10:11], v[22:23], v[8:9]
	v_fma_f64 v[12:13], v[12:13], v[24:25], v[8:9]
	ds_load_2addr_b64 v[8:11], v18 offset0:32 offset1:48
	s_waitcnt lgkmcnt(0)
	v_fma_f64 v[8:9], v[8:9], v[26:27], v[12:13]
	s_delay_alu instid0(VALU_DEP_1)
	v_fma_f64 v[12:13], v[10:11], v[28:29], v[8:9]
	ds_load_2addr_b64 v[8:11], v18 offset0:64 offset1:80
	ds_load_b128 v[22:25], v19 offset:32
	ds_load_b128 v[26:29], v19 offset:48
	s_waitcnt lgkmcnt(1)
	v_fma_f64 v[8:9], v[8:9], v[22:23], v[12:13]
	s_delay_alu instid0(VALU_DEP_1) | instskip(SKIP_3) | instid1(VALU_DEP_1)
	v_fma_f64 v[12:13], v[10:11], v[24:25], v[8:9]
	ds_load_2addr_b64 v[8:11], v18 offset0:96 offset1:112
	s_waitcnt lgkmcnt(0)
	v_fma_f64 v[8:9], v[8:9], v[26:27], v[12:13]
	v_fma_f64 v[12:13], v[10:11], v[28:29], v[8:9]
	ds_load_2addr_b64 v[8:11], v18 offset0:128 offset1:144
	ds_load_b128 v[22:25], v19 offset:64
	ds_load_b128 v[26:29], v19 offset:80
	s_waitcnt lgkmcnt(1)
	v_fma_f64 v[8:9], v[8:9], v[22:23], v[12:13]
	s_delay_alu instid0(VALU_DEP_1) | instskip(SKIP_3) | instid1(VALU_DEP_1)
	v_fma_f64 v[12:13], v[10:11], v[24:25], v[8:9]
	ds_load_2addr_b64 v[8:11], v18 offset0:160 offset1:176
	s_waitcnt lgkmcnt(0)
	v_fma_f64 v[8:9], v[8:9], v[26:27], v[12:13]
	v_fma_f64 v[12:13], v[10:11], v[28:29], v[8:9]
	ds_load_2addr_b64 v[8:11], v18 offset0:192 offset1:208
	ds_load_b128 v[22:25], v19 offset:96
	ds_load_b128 v[26:29], v19 offset:112
	s_waitcnt lgkmcnt(1)
	v_fma_f64 v[8:9], v[8:9], v[22:23], v[12:13]
	s_delay_alu instid0(VALU_DEP_1)
	v_fma_f64 v[12:13], v[10:11], v[24:25], v[8:9]
	ds_load_2addr_b64 v[8:11], v18 offset0:224 offset1:240
	s_waitcnt lgkmcnt(0)
	s_barrier
	buffer_gl0_inv
	v_fma_f64 v[8:9], v[8:9], v[26:27], v[12:13]
	s_delay_alu instid0(VALU_DEP_1)
	v_fma_f64 v[8:9], v[10:11], v[28:29], v[8:9]
	s_cbranch_vccnz .LBB1514_8
.LBB1514_3:                             ; =>This Inner Loop Header: Depth=1
	v_add_co_u32 v10, s1, v17, s8
	s_delay_alu instid0(VALU_DEP_1) | instskip(NEXT) | instid1(VALU_DEP_1)
	v_add_co_ci_u32_e64 v11, null, 0, s9, s1
	v_cmp_gt_i64_e32 vcc_lo, s[4:5], v[10:11]
	v_dual_mov_b32 v11, v3 :: v_dual_mov_b32 v10, v2
	s_and_b32 s10, s2, vcc_lo
	s_delay_alu instid0(SALU_CYCLE_1)
	s_and_saveexec_b32 s1, s10
	s_cbranch_execz .LBB1514_5
; %bb.4:                                ;   in Loop: Header=BB1514_3 Depth=1
	global_load_b64 v[10:11], v[6:7], off
.LBB1514_5:                             ;   in Loop: Header=BB1514_3 Depth=1
	s_or_b32 exec_lo, exec_lo, s1
	v_add_co_u32 v12, s1, v16, s8
	s_delay_alu instid0(VALU_DEP_1)
	v_add_co_ci_u32_e64 v13, null, 0, s9, s1
	s_waitcnt vmcnt(0)
	ds_store_b64 v20, v[10:11]
	v_cmp_gt_i64_e32 vcc_lo, s[4:5], v[12:13]
	v_mov_b32_e32 v12, 0
	v_mov_b32_e32 v13, 0
	s_and_b32 s10, s0, vcc_lo
	s_delay_alu instid0(SALU_CYCLE_1)
	s_and_saveexec_b32 s1, s10
	s_cbranch_execz .LBB1514_2
; %bb.6:                                ;   in Loop: Header=BB1514_3 Depth=1
	global_load_b64 v[12:13], v[4:5], off
	s_branch .LBB1514_2
.LBB1514_7:
	v_mov_b32_e32 v8, 0
	v_mov_b32_e32 v9, 0
.LBB1514_8:
	v_cmp_le_i32_e32 vcc_lo, v14, v0
	v_cmp_gt_i32_e64 s0, s3, v0
	s_delay_alu instid0(VALU_DEP_1) | instskip(NEXT) | instid1(SALU_CYCLE_1)
	s_and_b32 s0, vcc_lo, s0
	s_and_saveexec_b32 s1, s0
	s_cbranch_execz .LBB1514_10
; %bb.9:
	s_delay_alu instid0(VALU_DEP_3) | instskip(SKIP_4) | instid1(VALU_DEP_2)
	v_mul_f64 v[2:3], v[8:9], s[6:7]
	v_mul_lo_u32 v6, v14, s19
	v_mul_lo_u32 v7, v15, s18
	v_mad_u64_u32 v[4:5], null, v14, s18, 0
	v_lshlrev_b64 v[0:1], 3, v[0:1]
	v_add3_u32 v5, v5, v6, v7
	s_delay_alu instid0(VALU_DEP_1) | instskip(SKIP_1) | instid1(VALU_DEP_1)
	v_lshlrev_b64 v[4:5], 3, v[4:5]
	s_waitcnt lgkmcnt(0)
	v_add_co_u32 v4, vcc_lo, s16, v4
	s_delay_alu instid0(VALU_DEP_2) | instskip(NEXT) | instid1(VALU_DEP_2)
	v_add_co_ci_u32_e32 v5, vcc_lo, s17, v5, vcc_lo
	v_add_co_u32 v0, vcc_lo, v4, v0
	s_delay_alu instid0(VALU_DEP_2)
	v_add_co_ci_u32_e32 v1, vcc_lo, v5, v1, vcc_lo
	global_store_b64 v[0:1], v[2:3], off
.LBB1514_10:
	s_nop 0
	s_sendmsg sendmsg(MSG_DEALLOC_VGPRS)
	s_endpgm
	.section	.rodata,"a",@progbits
	.p2align	6, 0x0
	.amdhsa_kernel _ZL32rocblas_syrkx_herkx_small_kernelIldLi16ELb1ELb0ELc67ELc76EKPKdKPdEviT_T0_PT6_S5_lS8_S5_lS6_PT7_S5_li
		.amdhsa_group_segment_fixed_size 4096
		.amdhsa_private_segment_fixed_size 0
		.amdhsa_kernarg_size 108
		.amdhsa_user_sgpr_count 13
		.amdhsa_user_sgpr_dispatch_ptr 0
		.amdhsa_user_sgpr_queue_ptr 0
		.amdhsa_user_sgpr_kernarg_segment_ptr 1
		.amdhsa_user_sgpr_dispatch_id 0
		.amdhsa_user_sgpr_private_segment_size 0
		.amdhsa_wavefront_size32 1
		.amdhsa_uses_dynamic_stack 0
		.amdhsa_enable_private_segment 0
		.amdhsa_system_sgpr_workgroup_id_x 1
		.amdhsa_system_sgpr_workgroup_id_y 1
		.amdhsa_system_sgpr_workgroup_id_z 1
		.amdhsa_system_sgpr_workgroup_info 0
		.amdhsa_system_vgpr_workitem_id 1
		.amdhsa_next_free_vgpr 30
		.amdhsa_next_free_sgpr 22
		.amdhsa_reserve_vcc 1
		.amdhsa_float_round_mode_32 0
		.amdhsa_float_round_mode_16_64 0
		.amdhsa_float_denorm_mode_32 3
		.amdhsa_float_denorm_mode_16_64 3
		.amdhsa_dx10_clamp 1
		.amdhsa_ieee_mode 1
		.amdhsa_fp16_overflow 0
		.amdhsa_workgroup_processor_mode 1
		.amdhsa_memory_ordered 1
		.amdhsa_forward_progress 0
		.amdhsa_shared_vgpr_count 0
		.amdhsa_exception_fp_ieee_invalid_op 0
		.amdhsa_exception_fp_denorm_src 0
		.amdhsa_exception_fp_ieee_div_zero 0
		.amdhsa_exception_fp_ieee_overflow 0
		.amdhsa_exception_fp_ieee_underflow 0
		.amdhsa_exception_fp_ieee_inexact 0
		.amdhsa_exception_int_div_zero 0
	.end_amdhsa_kernel
	.section	.text._ZL32rocblas_syrkx_herkx_small_kernelIldLi16ELb1ELb0ELc67ELc76EKPKdKPdEviT_T0_PT6_S5_lS8_S5_lS6_PT7_S5_li,"axG",@progbits,_ZL32rocblas_syrkx_herkx_small_kernelIldLi16ELb1ELb0ELc67ELc76EKPKdKPdEviT_T0_PT6_S5_lS8_S5_lS6_PT7_S5_li,comdat
.Lfunc_end1514:
	.size	_ZL32rocblas_syrkx_herkx_small_kernelIldLi16ELb1ELb0ELc67ELc76EKPKdKPdEviT_T0_PT6_S5_lS8_S5_lS6_PT7_S5_li, .Lfunc_end1514-_ZL32rocblas_syrkx_herkx_small_kernelIldLi16ELb1ELb0ELc67ELc76EKPKdKPdEviT_T0_PT6_S5_lS8_S5_lS6_PT7_S5_li
                                        ; -- End function
	.section	.AMDGPU.csdata,"",@progbits
; Kernel info:
; codeLenInByte = 1084
; NumSgprs: 24
; NumVgprs: 30
; ScratchSize: 0
; MemoryBound: 0
; FloatMode: 240
; IeeeMode: 1
; LDSByteSize: 4096 bytes/workgroup (compile time only)
; SGPRBlocks: 2
; VGPRBlocks: 3
; NumSGPRsForWavesPerEU: 24
; NumVGPRsForWavesPerEU: 30
; Occupancy: 16
; WaveLimiterHint : 1
; COMPUTE_PGM_RSRC2:SCRATCH_EN: 0
; COMPUTE_PGM_RSRC2:USER_SGPR: 13
; COMPUTE_PGM_RSRC2:TRAP_HANDLER: 0
; COMPUTE_PGM_RSRC2:TGID_X_EN: 1
; COMPUTE_PGM_RSRC2:TGID_Y_EN: 1
; COMPUTE_PGM_RSRC2:TGID_Z_EN: 1
; COMPUTE_PGM_RSRC2:TIDIG_COMP_CNT: 1
	.section	.text._ZL32rocblas_syrkx_herkx_small_kernelIldLi16ELb1ELb0ELc78ELc76EKPKdKPdEviT_T0_PT6_S5_lS8_S5_lS6_PT7_S5_li,"axG",@progbits,_ZL32rocblas_syrkx_herkx_small_kernelIldLi16ELb1ELb0ELc78ELc76EKPKdKPdEviT_T0_PT6_S5_lS8_S5_lS6_PT7_S5_li,comdat
	.globl	_ZL32rocblas_syrkx_herkx_small_kernelIldLi16ELb1ELb0ELc78ELc76EKPKdKPdEviT_T0_PT6_S5_lS8_S5_lS6_PT7_S5_li ; -- Begin function _ZL32rocblas_syrkx_herkx_small_kernelIldLi16ELb1ELb0ELc78ELc76EKPKdKPdEviT_T0_PT6_S5_lS8_S5_lS6_PT7_S5_li
	.p2align	8
	.type	_ZL32rocblas_syrkx_herkx_small_kernelIldLi16ELb1ELb0ELc78ELc76EKPKdKPdEviT_T0_PT6_S5_lS8_S5_lS6_PT7_S5_li,@function
_ZL32rocblas_syrkx_herkx_small_kernelIldLi16ELb1ELb0ELc78ELc76EKPKdKPdEviT_T0_PT6_S5_lS8_S5_lS6_PT7_S5_li: ; @_ZL32rocblas_syrkx_herkx_small_kernelIldLi16ELb1ELb0ELc78ELc76EKPKdKPdEviT_T0_PT6_S5_lS8_S5_lS6_PT7_S5_li
; %bb.0:
	s_clause 0x2
	s_load_b128 s[16:19], s[0:1], 0x50
	s_load_b256 s[4:11], s[0:1], 0x8
	s_load_b32 s3, s[0:1], 0x0
	s_mov_b32 s20, s15
	s_mov_b32 s21, 0
	v_and_b32_e32 v16, 0x3ff, v0
	s_lshl_b64 s[20:21], s[20:21], 3
	v_bfe_u32 v17, v0, 10, 10
	s_delay_alu instid0(VALU_DEP_2) | instskip(NEXT) | instid1(VALU_DEP_2)
	v_lshl_add_u32 v0, s13, 4, v16
	v_lshl_add_u32 v2, s14, 4, v17
	s_delay_alu instid0(VALU_DEP_2) | instskip(NEXT) | instid1(VALU_DEP_2)
	v_ashrrev_i32_e32 v1, 31, v0
	v_ashrrev_i32_e32 v3, 31, v2
	s_waitcnt lgkmcnt(0)
	s_add_u32 s16, s16, s20
	s_addc_u32 s17, s17, s21
	v_cmp_lt_i64_e64 s2, s[4:5], 1
	s_load_b64 s[16:17], s[16:17], 0x0
	s_delay_alu instid0(VALU_DEP_1)
	s_and_b32 vcc_lo, exec_lo, s2
	v_cmp_gt_i32_e64 s2, s3, v0
	s_cbranch_vccnz .LBB1515_7
; %bb.1:
	s_load_b128 s[12:15], s[0:1], 0x30
	v_mad_u64_u32 v[4:5], null, s10, v17, 0
	v_lshlrev_b64 v[12:13], 3, v[0:1]
	v_cmp_gt_i32_e64 s0, s3, v2
	s_waitcnt lgkmcnt(0)
	v_mad_u64_u32 v[6:7], null, s14, v16, 0
	v_lshlrev_b32_e32 v14, 7, v17
	s_add_u32 s12, s12, s20
	s_addc_u32 s13, s13, s21
	s_add_u32 s8, s8, s20
	s_addc_u32 s9, s9, s21
	s_load_b64 s[12:13], s[12:13], 0x0
	s_delay_alu instid0(VALU_DEP_2)
	v_mad_u64_u32 v[8:9], null, s11, v17, v[5:6]
	v_mov_b32_e32 v5, v7
	s_load_b64 s[8:9], s[8:9], 0x0
	v_lshlrev_b32_e32 v18, 3, v16
	v_add_nc_u32_e32 v19, 0x800, v14
	s_lshl_b64 s[10:11], s[10:11], 7
	v_mad_u64_u32 v[9:10], null, s15, v16, v[5:6]
	v_mov_b32_e32 v5, v8
	v_lshlrev_b64 v[10:11], 3, v[2:3]
	s_delay_alu instid0(VALU_DEP_3) | instskip(NEXT) | instid1(VALU_DEP_3)
	v_dual_mov_b32 v7, v9 :: v_dual_add_nc_u32 v20, v18, v14
	v_lshlrev_b64 v[8:9], 3, v[4:5]
	v_mov_b32_e32 v4, 0
	v_mov_b32_e32 v5, 0
	v_add_nc_u32_e32 v21, v19, v18
	v_lshlrev_b64 v[6:7], 3, v[6:7]
	v_add_co_u32 v8, vcc_lo, v8, v12
	v_add_co_ci_u32_e32 v9, vcc_lo, v9, v13, vcc_lo
	s_delay_alu instid0(VALU_DEP_3) | instskip(NEXT) | instid1(VALU_DEP_4)
	v_add_co_u32 v10, vcc_lo, v6, v10
	v_add_co_ci_u32_e32 v11, vcc_lo, v7, v11, vcc_lo
	s_waitcnt lgkmcnt(0)
	v_add_co_u32 v6, vcc_lo, s8, v8
	v_add_co_ci_u32_e32 v7, vcc_lo, s9, v9, vcc_lo
	v_add_co_u32 v8, vcc_lo, s12, v10
	v_add_co_ci_u32_e32 v9, vcc_lo, s13, v11, vcc_lo
	v_dual_mov_b32 v11, v5 :: v_dual_mov_b32 v10, v4
	s_lshl_b64 s[8:9], s[14:15], 7
	s_mov_b64 s[12:13], 0
	s_branch .LBB1515_3
.LBB1515_2:                             ;   in Loop: Header=BB1515_3 Depth=1
	s_or_b32 exec_lo, exec_lo, s1
	s_waitcnt vmcnt(0)
	ds_store_b64 v21, v[14:15]
	s_waitcnt lgkmcnt(0)
	s_barrier
	buffer_gl0_inv
	ds_load_2addr_b64 v[12:15], v18 offset1:16
	ds_load_b128 v[22:25], v19
	ds_load_b128 v[26:29], v19 offset:16
	s_add_u32 s12, s12, 16
	s_addc_u32 s13, s13, 0
	v_add_co_u32 v8, vcc_lo, v8, s8
	v_cmp_ge_i64_e64 s1, s[12:13], s[4:5]
	v_add_co_ci_u32_e32 v9, vcc_lo, s9, v9, vcc_lo
	v_add_co_u32 v6, vcc_lo, v6, s10
	v_add_co_ci_u32_e32 v7, vcc_lo, s11, v7, vcc_lo
	s_delay_alu instid0(VALU_DEP_4) | instskip(SKIP_2) | instid1(VALU_DEP_1)
	s_and_b32 vcc_lo, exec_lo, s1
	s_waitcnt lgkmcnt(1)
	v_fma_f64 v[10:11], v[12:13], v[22:23], v[10:11]
	v_fma_f64 v[14:15], v[14:15], v[24:25], v[10:11]
	ds_load_2addr_b64 v[10:13], v18 offset0:32 offset1:48
	s_waitcnt lgkmcnt(0)
	v_fma_f64 v[10:11], v[10:11], v[26:27], v[14:15]
	s_delay_alu instid0(VALU_DEP_1)
	v_fma_f64 v[14:15], v[12:13], v[28:29], v[10:11]
	ds_load_2addr_b64 v[10:13], v18 offset0:64 offset1:80
	ds_load_b128 v[22:25], v19 offset:32
	ds_load_b128 v[26:29], v19 offset:48
	s_waitcnt lgkmcnt(1)
	v_fma_f64 v[10:11], v[10:11], v[22:23], v[14:15]
	s_delay_alu instid0(VALU_DEP_1) | instskip(SKIP_3) | instid1(VALU_DEP_1)
	v_fma_f64 v[14:15], v[12:13], v[24:25], v[10:11]
	ds_load_2addr_b64 v[10:13], v18 offset0:96 offset1:112
	s_waitcnt lgkmcnt(0)
	v_fma_f64 v[10:11], v[10:11], v[26:27], v[14:15]
	v_fma_f64 v[14:15], v[12:13], v[28:29], v[10:11]
	ds_load_2addr_b64 v[10:13], v18 offset0:128 offset1:144
	ds_load_b128 v[22:25], v19 offset:64
	ds_load_b128 v[26:29], v19 offset:80
	s_waitcnt lgkmcnt(1)
	v_fma_f64 v[10:11], v[10:11], v[22:23], v[14:15]
	s_delay_alu instid0(VALU_DEP_1) | instskip(SKIP_3) | instid1(VALU_DEP_1)
	v_fma_f64 v[14:15], v[12:13], v[24:25], v[10:11]
	ds_load_2addr_b64 v[10:13], v18 offset0:160 offset1:176
	s_waitcnt lgkmcnt(0)
	v_fma_f64 v[10:11], v[10:11], v[26:27], v[14:15]
	v_fma_f64 v[14:15], v[12:13], v[28:29], v[10:11]
	ds_load_2addr_b64 v[10:13], v18 offset0:192 offset1:208
	ds_load_b128 v[22:25], v19 offset:96
	ds_load_b128 v[26:29], v19 offset:112
	s_waitcnt lgkmcnt(1)
	v_fma_f64 v[10:11], v[10:11], v[22:23], v[14:15]
	s_delay_alu instid0(VALU_DEP_1)
	v_fma_f64 v[14:15], v[12:13], v[24:25], v[10:11]
	ds_load_2addr_b64 v[10:13], v18 offset0:224 offset1:240
	s_waitcnt lgkmcnt(0)
	s_barrier
	buffer_gl0_inv
	v_fma_f64 v[10:11], v[10:11], v[26:27], v[14:15]
	s_delay_alu instid0(VALU_DEP_1)
	v_fma_f64 v[10:11], v[12:13], v[28:29], v[10:11]
	s_cbranch_vccnz .LBB1515_8
.LBB1515_3:                             ; =>This Inner Loop Header: Depth=1
	v_add_co_u32 v12, s1, v17, s12
	s_delay_alu instid0(VALU_DEP_1) | instskip(NEXT) | instid1(VALU_DEP_1)
	v_add_co_ci_u32_e64 v13, null, 0, s13, s1
	v_cmp_gt_i64_e32 vcc_lo, s[4:5], v[12:13]
	v_dual_mov_b32 v13, v5 :: v_dual_mov_b32 v12, v4
	s_and_b32 s14, s2, vcc_lo
	s_delay_alu instid0(SALU_CYCLE_1)
	s_and_saveexec_b32 s1, s14
	s_cbranch_execz .LBB1515_5
; %bb.4:                                ;   in Loop: Header=BB1515_3 Depth=1
	global_load_b64 v[12:13], v[6:7], off
.LBB1515_5:                             ;   in Loop: Header=BB1515_3 Depth=1
	s_or_b32 exec_lo, exec_lo, s1
	v_add_co_u32 v14, s1, v16, s12
	s_delay_alu instid0(VALU_DEP_1)
	v_add_co_ci_u32_e64 v15, null, 0, s13, s1
	s_waitcnt vmcnt(0)
	ds_store_b64 v20, v[12:13]
	v_cmp_gt_i64_e32 vcc_lo, s[4:5], v[14:15]
	v_mov_b32_e32 v14, 0
	v_mov_b32_e32 v15, 0
	s_and_b32 s14, s0, vcc_lo
	s_delay_alu instid0(SALU_CYCLE_1)
	s_and_saveexec_b32 s1, s14
	s_cbranch_execz .LBB1515_2
; %bb.6:                                ;   in Loop: Header=BB1515_3 Depth=1
	global_load_b64 v[14:15], v[8:9], off
	s_branch .LBB1515_2
.LBB1515_7:
	v_mov_b32_e32 v10, 0
	v_mov_b32_e32 v11, 0
.LBB1515_8:
	v_cmp_le_i32_e32 vcc_lo, v2, v0
	v_cmp_gt_i32_e64 s0, s3, v0
	s_delay_alu instid0(VALU_DEP_1) | instskip(NEXT) | instid1(SALU_CYCLE_1)
	s_and_b32 s0, vcc_lo, s0
	s_and_saveexec_b32 s1, s0
	s_cbranch_execz .LBB1515_10
; %bb.9:
	s_delay_alu instid0(VALU_DEP_3) | instskip(SKIP_4) | instid1(VALU_DEP_2)
	v_mul_f64 v[4:5], v[10:11], s[6:7]
	v_mul_lo_u32 v8, v2, s19
	v_mul_lo_u32 v3, v3, s18
	v_mad_u64_u32 v[6:7], null, v2, s18, 0
	v_lshlrev_b64 v[0:1], 3, v[0:1]
	v_add3_u32 v7, v7, v8, v3
	s_delay_alu instid0(VALU_DEP_1) | instskip(SKIP_1) | instid1(VALU_DEP_1)
	v_lshlrev_b64 v[2:3], 3, v[6:7]
	s_waitcnt lgkmcnt(0)
	v_add_co_u32 v2, vcc_lo, s16, v2
	s_delay_alu instid0(VALU_DEP_2) | instskip(NEXT) | instid1(VALU_DEP_2)
	v_add_co_ci_u32_e32 v3, vcc_lo, s17, v3, vcc_lo
	v_add_co_u32 v0, vcc_lo, v2, v0
	s_delay_alu instid0(VALU_DEP_2)
	v_add_co_ci_u32_e32 v1, vcc_lo, v3, v1, vcc_lo
	global_store_b64 v[0:1], v[4:5], off
.LBB1515_10:
	s_nop 0
	s_sendmsg sendmsg(MSG_DEALLOC_VGPRS)
	s_endpgm
	.section	.rodata,"a",@progbits
	.p2align	6, 0x0
	.amdhsa_kernel _ZL32rocblas_syrkx_herkx_small_kernelIldLi16ELb1ELb0ELc78ELc76EKPKdKPdEviT_T0_PT6_S5_lS8_S5_lS6_PT7_S5_li
		.amdhsa_group_segment_fixed_size 4096
		.amdhsa_private_segment_fixed_size 0
		.amdhsa_kernarg_size 108
		.amdhsa_user_sgpr_count 13
		.amdhsa_user_sgpr_dispatch_ptr 0
		.amdhsa_user_sgpr_queue_ptr 0
		.amdhsa_user_sgpr_kernarg_segment_ptr 1
		.amdhsa_user_sgpr_dispatch_id 0
		.amdhsa_user_sgpr_private_segment_size 0
		.amdhsa_wavefront_size32 1
		.amdhsa_uses_dynamic_stack 0
		.amdhsa_enable_private_segment 0
		.amdhsa_system_sgpr_workgroup_id_x 1
		.amdhsa_system_sgpr_workgroup_id_y 1
		.amdhsa_system_sgpr_workgroup_id_z 1
		.amdhsa_system_sgpr_workgroup_info 0
		.amdhsa_system_vgpr_workitem_id 1
		.amdhsa_next_free_vgpr 30
		.amdhsa_next_free_sgpr 22
		.amdhsa_reserve_vcc 1
		.amdhsa_float_round_mode_32 0
		.amdhsa_float_round_mode_16_64 0
		.amdhsa_float_denorm_mode_32 3
		.amdhsa_float_denorm_mode_16_64 3
		.amdhsa_dx10_clamp 1
		.amdhsa_ieee_mode 1
		.amdhsa_fp16_overflow 0
		.amdhsa_workgroup_processor_mode 1
		.amdhsa_memory_ordered 1
		.amdhsa_forward_progress 0
		.amdhsa_shared_vgpr_count 0
		.amdhsa_exception_fp_ieee_invalid_op 0
		.amdhsa_exception_fp_denorm_src 0
		.amdhsa_exception_fp_ieee_div_zero 0
		.amdhsa_exception_fp_ieee_overflow 0
		.amdhsa_exception_fp_ieee_underflow 0
		.amdhsa_exception_fp_ieee_inexact 0
		.amdhsa_exception_int_div_zero 0
	.end_amdhsa_kernel
	.section	.text._ZL32rocblas_syrkx_herkx_small_kernelIldLi16ELb1ELb0ELc78ELc76EKPKdKPdEviT_T0_PT6_S5_lS8_S5_lS6_PT7_S5_li,"axG",@progbits,_ZL32rocblas_syrkx_herkx_small_kernelIldLi16ELb1ELb0ELc78ELc76EKPKdKPdEviT_T0_PT6_S5_lS8_S5_lS6_PT7_S5_li,comdat
.Lfunc_end1515:
	.size	_ZL32rocblas_syrkx_herkx_small_kernelIldLi16ELb1ELb0ELc78ELc76EKPKdKPdEviT_T0_PT6_S5_lS8_S5_lS6_PT7_S5_li, .Lfunc_end1515-_ZL32rocblas_syrkx_herkx_small_kernelIldLi16ELb1ELb0ELc78ELc76EKPKdKPdEviT_T0_PT6_S5_lS8_S5_lS6_PT7_S5_li
                                        ; -- End function
	.section	.AMDGPU.csdata,"",@progbits
; Kernel info:
; codeLenInByte = 1076
; NumSgprs: 24
; NumVgprs: 30
; ScratchSize: 0
; MemoryBound: 0
; FloatMode: 240
; IeeeMode: 1
; LDSByteSize: 4096 bytes/workgroup (compile time only)
; SGPRBlocks: 2
; VGPRBlocks: 3
; NumSGPRsForWavesPerEU: 24
; NumVGPRsForWavesPerEU: 30
; Occupancy: 16
; WaveLimiterHint : 1
; COMPUTE_PGM_RSRC2:SCRATCH_EN: 0
; COMPUTE_PGM_RSRC2:USER_SGPR: 13
; COMPUTE_PGM_RSRC2:TRAP_HANDLER: 0
; COMPUTE_PGM_RSRC2:TGID_X_EN: 1
; COMPUTE_PGM_RSRC2:TGID_Y_EN: 1
; COMPUTE_PGM_RSRC2:TGID_Z_EN: 1
; COMPUTE_PGM_RSRC2:TIDIG_COMP_CNT: 1
	.section	.text._ZL32rocblas_syrkx_herkx_small_kernelIldLi16ELb1ELb0ELc84ELc85EKPKdKPdEviT_T0_PT6_S5_lS8_S5_lS6_PT7_S5_li,"axG",@progbits,_ZL32rocblas_syrkx_herkx_small_kernelIldLi16ELb1ELb0ELc84ELc85EKPKdKPdEviT_T0_PT6_S5_lS8_S5_lS6_PT7_S5_li,comdat
	.globl	_ZL32rocblas_syrkx_herkx_small_kernelIldLi16ELb1ELb0ELc84ELc85EKPKdKPdEviT_T0_PT6_S5_lS8_S5_lS6_PT7_S5_li ; -- Begin function _ZL32rocblas_syrkx_herkx_small_kernelIldLi16ELb1ELb0ELc84ELc85EKPKdKPdEviT_T0_PT6_S5_lS8_S5_lS6_PT7_S5_li
	.p2align	8
	.type	_ZL32rocblas_syrkx_herkx_small_kernelIldLi16ELb1ELb0ELc84ELc85EKPKdKPdEviT_T0_PT6_S5_lS8_S5_lS6_PT7_S5_li,@function
_ZL32rocblas_syrkx_herkx_small_kernelIldLi16ELb1ELb0ELc84ELc85EKPKdKPdEviT_T0_PT6_S5_lS8_S5_lS6_PT7_S5_li: ; @_ZL32rocblas_syrkx_herkx_small_kernelIldLi16ELb1ELb0ELc84ELc85EKPKdKPdEviT_T0_PT6_S5_lS8_S5_lS6_PT7_S5_li
; %bb.0:
	s_clause 0x1
	s_load_b128 s[16:19], s[0:1], 0x50
	s_load_b256 s[4:11], s[0:1], 0x8
	s_mov_b32 s20, s15
	s_mov_b32 s21, 0
	s_load_b32 s3, s[0:1], 0x0
	s_lshl_b64 s[20:21], s[20:21], 3
	v_and_b32_e32 v16, 0x3ff, v0
	v_bfe_u32 v17, v0, 10, 10
	s_delay_alu instid0(VALU_DEP_2) | instskip(NEXT) | instid1(VALU_DEP_2)
	v_lshl_add_u32 v0, s13, 4, v16
	v_lshl_add_u32 v14, s14, 4, v17
	s_delay_alu instid0(VALU_DEP_2) | instskip(NEXT) | instid1(VALU_DEP_2)
	v_ashrrev_i32_e32 v1, 31, v0
	v_ashrrev_i32_e32 v15, 31, v14
	s_waitcnt lgkmcnt(0)
	s_add_u32 s16, s16, s20
	s_addc_u32 s17, s17, s21
	v_cmp_lt_i64_e64 s2, s[4:5], 1
	s_load_b64 s[16:17], s[16:17], 0x0
	s_delay_alu instid0(VALU_DEP_1)
	s_and_b32 vcc_lo, exec_lo, s2
	v_cmp_gt_i32_e64 s2, s3, v14
	s_cbranch_vccnz .LBB1516_7
; %bb.1:
	s_load_b128 s[12:15], s[0:1], 0x30
	v_mul_lo_u32 v7, s10, v1
	v_mad_u64_u32 v[4:5], null, s10, v0, 0
	v_mul_lo_u32 v6, s11, v0
	v_lshlrev_b32_e32 v11, 3, v17
	v_lshlrev_b32_e32 v8, 7, v17
	v_cmp_gt_i32_e64 s0, s3, v0
	s_delay_alu instid0(VALU_DEP_4) | instskip(NEXT) | instid1(VALU_DEP_1)
	v_add3_u32 v5, v5, v7, v6
	v_lshlrev_b64 v[4:5], 3, v[4:5]
	s_waitcnt lgkmcnt(0)
	v_mul_lo_u32 v9, s15, v14
	v_mul_lo_u32 v10, s14, v15
	v_mad_u64_u32 v[2:3], null, s14, v14, 0
	s_add_u32 s10, s12, s20
	s_addc_u32 s11, s13, s21
	s_add_u32 s8, s8, s20
	s_load_b64 s[10:11], s[10:11], 0x0
	s_addc_u32 s9, s9, s21
	s_delay_alu instid0(VALU_DEP_1) | instskip(SKIP_1) | instid1(VALU_DEP_1)
	v_add3_u32 v3, v3, v10, v9
	s_load_b64 s[8:9], s[8:9], 0x0
	v_lshlrev_b64 v[6:7], 3, v[2:3]
	v_mov_b32_e32 v2, 0
	v_dual_mov_b32 v3, 0 :: v_dual_lshlrev_b32 v18, 3, v16
	v_add_nc_u32_e32 v19, 0x800, v8
	s_delay_alu instid0(VALU_DEP_2)
	v_add_co_u32 v6, vcc_lo, v6, v18
	v_add_co_ci_u32_e32 v7, vcc_lo, 0, v7, vcc_lo
	v_add_nc_u32_e32 v20, v18, v8
	v_add_co_u32 v8, vcc_lo, v4, v11
	v_add_co_ci_u32_e32 v9, vcc_lo, 0, v5, vcc_lo
	s_waitcnt lgkmcnt(0)
	v_add_co_u32 v4, vcc_lo, s10, v6
	v_add_co_ci_u32_e32 v5, vcc_lo, s11, v7, vcc_lo
	v_add_co_u32 v6, vcc_lo, s8, v8
	v_add_co_ci_u32_e32 v7, vcc_lo, s9, v9, vcc_lo
	v_dual_mov_b32 v9, v3 :: v_dual_mov_b32 v8, v2
	v_add_nc_u32_e32 v21, v19, v18
	s_mov_b64 s[8:9], 0
	s_branch .LBB1516_3
.LBB1516_2:                             ;   in Loop: Header=BB1516_3 Depth=1
	s_or_b32 exec_lo, exec_lo, s1
	s_waitcnt vmcnt(0)
	ds_store_b64 v21, v[12:13]
	s_waitcnt lgkmcnt(0)
	s_barrier
	buffer_gl0_inv
	ds_load_2addr_b64 v[10:13], v18 offset1:16
	ds_load_b128 v[22:25], v19
	ds_load_b128 v[26:29], v19 offset:16
	s_add_u32 s8, s8, 16
	s_addc_u32 s9, s9, 0
	v_add_co_u32 v4, vcc_lo, 0x80, v4
	v_cmp_ge_i64_e64 s1, s[8:9], s[4:5]
	v_add_co_ci_u32_e32 v5, vcc_lo, 0, v5, vcc_lo
	v_add_co_u32 v6, vcc_lo, 0x80, v6
	v_add_co_ci_u32_e32 v7, vcc_lo, 0, v7, vcc_lo
	s_delay_alu instid0(VALU_DEP_4) | instskip(SKIP_2) | instid1(VALU_DEP_1)
	s_and_b32 vcc_lo, exec_lo, s1
	s_waitcnt lgkmcnt(1)
	v_fma_f64 v[8:9], v[10:11], v[22:23], v[8:9]
	v_fma_f64 v[12:13], v[12:13], v[24:25], v[8:9]
	ds_load_2addr_b64 v[8:11], v18 offset0:32 offset1:48
	s_waitcnt lgkmcnt(0)
	v_fma_f64 v[8:9], v[8:9], v[26:27], v[12:13]
	s_delay_alu instid0(VALU_DEP_1)
	v_fma_f64 v[12:13], v[10:11], v[28:29], v[8:9]
	ds_load_2addr_b64 v[8:11], v18 offset0:64 offset1:80
	ds_load_b128 v[22:25], v19 offset:32
	ds_load_b128 v[26:29], v19 offset:48
	s_waitcnt lgkmcnt(1)
	v_fma_f64 v[8:9], v[8:9], v[22:23], v[12:13]
	s_delay_alu instid0(VALU_DEP_1) | instskip(SKIP_3) | instid1(VALU_DEP_1)
	v_fma_f64 v[12:13], v[10:11], v[24:25], v[8:9]
	ds_load_2addr_b64 v[8:11], v18 offset0:96 offset1:112
	s_waitcnt lgkmcnt(0)
	v_fma_f64 v[8:9], v[8:9], v[26:27], v[12:13]
	v_fma_f64 v[12:13], v[10:11], v[28:29], v[8:9]
	ds_load_2addr_b64 v[8:11], v18 offset0:128 offset1:144
	ds_load_b128 v[22:25], v19 offset:64
	ds_load_b128 v[26:29], v19 offset:80
	s_waitcnt lgkmcnt(1)
	v_fma_f64 v[8:9], v[8:9], v[22:23], v[12:13]
	s_delay_alu instid0(VALU_DEP_1) | instskip(SKIP_3) | instid1(VALU_DEP_1)
	v_fma_f64 v[12:13], v[10:11], v[24:25], v[8:9]
	ds_load_2addr_b64 v[8:11], v18 offset0:160 offset1:176
	s_waitcnt lgkmcnt(0)
	v_fma_f64 v[8:9], v[8:9], v[26:27], v[12:13]
	v_fma_f64 v[12:13], v[10:11], v[28:29], v[8:9]
	ds_load_2addr_b64 v[8:11], v18 offset0:192 offset1:208
	ds_load_b128 v[22:25], v19 offset:96
	ds_load_b128 v[26:29], v19 offset:112
	s_waitcnt lgkmcnt(1)
	v_fma_f64 v[8:9], v[8:9], v[22:23], v[12:13]
	s_delay_alu instid0(VALU_DEP_1)
	v_fma_f64 v[12:13], v[10:11], v[24:25], v[8:9]
	ds_load_2addr_b64 v[8:11], v18 offset0:224 offset1:240
	s_waitcnt lgkmcnt(0)
	s_barrier
	buffer_gl0_inv
	v_fma_f64 v[8:9], v[8:9], v[26:27], v[12:13]
	s_delay_alu instid0(VALU_DEP_1)
	v_fma_f64 v[8:9], v[10:11], v[28:29], v[8:9]
	s_cbranch_vccnz .LBB1516_8
.LBB1516_3:                             ; =>This Inner Loop Header: Depth=1
	v_add_co_u32 v10, s1, v17, s8
	s_delay_alu instid0(VALU_DEP_1) | instskip(NEXT) | instid1(VALU_DEP_1)
	v_add_co_ci_u32_e64 v11, null, 0, s9, s1
	v_cmp_gt_i64_e32 vcc_lo, s[4:5], v[10:11]
	v_dual_mov_b32 v11, v3 :: v_dual_mov_b32 v10, v2
	s_and_b32 s10, s0, vcc_lo
	s_delay_alu instid0(SALU_CYCLE_1)
	s_and_saveexec_b32 s1, s10
	s_cbranch_execz .LBB1516_5
; %bb.4:                                ;   in Loop: Header=BB1516_3 Depth=1
	global_load_b64 v[10:11], v[6:7], off
.LBB1516_5:                             ;   in Loop: Header=BB1516_3 Depth=1
	s_or_b32 exec_lo, exec_lo, s1
	v_add_co_u32 v12, s1, v16, s8
	s_delay_alu instid0(VALU_DEP_1)
	v_add_co_ci_u32_e64 v13, null, 0, s9, s1
	s_waitcnt vmcnt(0)
	ds_store_b64 v20, v[10:11]
	v_cmp_gt_i64_e32 vcc_lo, s[4:5], v[12:13]
	v_mov_b32_e32 v12, 0
	v_mov_b32_e32 v13, 0
	s_and_b32 s10, s2, vcc_lo
	s_delay_alu instid0(SALU_CYCLE_1)
	s_and_saveexec_b32 s1, s10
	s_cbranch_execz .LBB1516_2
; %bb.6:                                ;   in Loop: Header=BB1516_3 Depth=1
	global_load_b64 v[12:13], v[4:5], off
	s_branch .LBB1516_2
.LBB1516_7:
	v_mov_b32_e32 v8, 0
	v_mov_b32_e32 v9, 0
.LBB1516_8:
	v_cmp_le_i32_e32 vcc_lo, v0, v14
	v_cmp_gt_i32_e64 s0, s3, v14
	s_delay_alu instid0(VALU_DEP_1) | instskip(NEXT) | instid1(SALU_CYCLE_1)
	s_and_b32 s0, vcc_lo, s0
	s_and_saveexec_b32 s1, s0
	s_cbranch_execz .LBB1516_10
; %bb.9:
	s_delay_alu instid0(VALU_DEP_3) | instskip(SKIP_4) | instid1(VALU_DEP_2)
	v_mul_f64 v[2:3], v[8:9], s[6:7]
	v_mul_lo_u32 v6, v14, s19
	v_mul_lo_u32 v7, v15, s18
	v_mad_u64_u32 v[4:5], null, v14, s18, 0
	v_lshlrev_b64 v[0:1], 3, v[0:1]
	v_add3_u32 v5, v5, v6, v7
	s_delay_alu instid0(VALU_DEP_1) | instskip(SKIP_1) | instid1(VALU_DEP_1)
	v_lshlrev_b64 v[4:5], 3, v[4:5]
	s_waitcnt lgkmcnt(0)
	v_add_co_u32 v4, vcc_lo, s16, v4
	s_delay_alu instid0(VALU_DEP_2) | instskip(NEXT) | instid1(VALU_DEP_2)
	v_add_co_ci_u32_e32 v5, vcc_lo, s17, v5, vcc_lo
	v_add_co_u32 v0, vcc_lo, v4, v0
	s_delay_alu instid0(VALU_DEP_2)
	v_add_co_ci_u32_e32 v1, vcc_lo, v5, v1, vcc_lo
	global_store_b64 v[0:1], v[2:3], off
.LBB1516_10:
	s_nop 0
	s_sendmsg sendmsg(MSG_DEALLOC_VGPRS)
	s_endpgm
	.section	.rodata,"a",@progbits
	.p2align	6, 0x0
	.amdhsa_kernel _ZL32rocblas_syrkx_herkx_small_kernelIldLi16ELb1ELb0ELc84ELc85EKPKdKPdEviT_T0_PT6_S5_lS8_S5_lS6_PT7_S5_li
		.amdhsa_group_segment_fixed_size 4096
		.amdhsa_private_segment_fixed_size 0
		.amdhsa_kernarg_size 108
		.amdhsa_user_sgpr_count 13
		.amdhsa_user_sgpr_dispatch_ptr 0
		.amdhsa_user_sgpr_queue_ptr 0
		.amdhsa_user_sgpr_kernarg_segment_ptr 1
		.amdhsa_user_sgpr_dispatch_id 0
		.amdhsa_user_sgpr_private_segment_size 0
		.amdhsa_wavefront_size32 1
		.amdhsa_uses_dynamic_stack 0
		.amdhsa_enable_private_segment 0
		.amdhsa_system_sgpr_workgroup_id_x 1
		.amdhsa_system_sgpr_workgroup_id_y 1
		.amdhsa_system_sgpr_workgroup_id_z 1
		.amdhsa_system_sgpr_workgroup_info 0
		.amdhsa_system_vgpr_workitem_id 1
		.amdhsa_next_free_vgpr 30
		.amdhsa_next_free_sgpr 22
		.amdhsa_reserve_vcc 1
		.amdhsa_float_round_mode_32 0
		.amdhsa_float_round_mode_16_64 0
		.amdhsa_float_denorm_mode_32 3
		.amdhsa_float_denorm_mode_16_64 3
		.amdhsa_dx10_clamp 1
		.amdhsa_ieee_mode 1
		.amdhsa_fp16_overflow 0
		.amdhsa_workgroup_processor_mode 1
		.amdhsa_memory_ordered 1
		.amdhsa_forward_progress 0
		.amdhsa_shared_vgpr_count 0
		.amdhsa_exception_fp_ieee_invalid_op 0
		.amdhsa_exception_fp_denorm_src 0
		.amdhsa_exception_fp_ieee_div_zero 0
		.amdhsa_exception_fp_ieee_overflow 0
		.amdhsa_exception_fp_ieee_underflow 0
		.amdhsa_exception_fp_ieee_inexact 0
		.amdhsa_exception_int_div_zero 0
	.end_amdhsa_kernel
	.section	.text._ZL32rocblas_syrkx_herkx_small_kernelIldLi16ELb1ELb0ELc84ELc85EKPKdKPdEviT_T0_PT6_S5_lS8_S5_lS6_PT7_S5_li,"axG",@progbits,_ZL32rocblas_syrkx_herkx_small_kernelIldLi16ELb1ELb0ELc84ELc85EKPKdKPdEviT_T0_PT6_S5_lS8_S5_lS6_PT7_S5_li,comdat
.Lfunc_end1516:
	.size	_ZL32rocblas_syrkx_herkx_small_kernelIldLi16ELb1ELb0ELc84ELc85EKPKdKPdEviT_T0_PT6_S5_lS8_S5_lS6_PT7_S5_li, .Lfunc_end1516-_ZL32rocblas_syrkx_herkx_small_kernelIldLi16ELb1ELb0ELc84ELc85EKPKdKPdEviT_T0_PT6_S5_lS8_S5_lS6_PT7_S5_li
                                        ; -- End function
	.section	.AMDGPU.csdata,"",@progbits
; Kernel info:
; codeLenInByte = 1084
; NumSgprs: 24
; NumVgprs: 30
; ScratchSize: 0
; MemoryBound: 0
; FloatMode: 240
; IeeeMode: 1
; LDSByteSize: 4096 bytes/workgroup (compile time only)
; SGPRBlocks: 2
; VGPRBlocks: 3
; NumSGPRsForWavesPerEU: 24
; NumVGPRsForWavesPerEU: 30
; Occupancy: 16
; WaveLimiterHint : 1
; COMPUTE_PGM_RSRC2:SCRATCH_EN: 0
; COMPUTE_PGM_RSRC2:USER_SGPR: 13
; COMPUTE_PGM_RSRC2:TRAP_HANDLER: 0
; COMPUTE_PGM_RSRC2:TGID_X_EN: 1
; COMPUTE_PGM_RSRC2:TGID_Y_EN: 1
; COMPUTE_PGM_RSRC2:TGID_Z_EN: 1
; COMPUTE_PGM_RSRC2:TIDIG_COMP_CNT: 1
	.section	.text._ZL32rocblas_syrkx_herkx_small_kernelIldLi16ELb1ELb0ELc67ELc85EKPKdKPdEviT_T0_PT6_S5_lS8_S5_lS6_PT7_S5_li,"axG",@progbits,_ZL32rocblas_syrkx_herkx_small_kernelIldLi16ELb1ELb0ELc67ELc85EKPKdKPdEviT_T0_PT6_S5_lS8_S5_lS6_PT7_S5_li,comdat
	.globl	_ZL32rocblas_syrkx_herkx_small_kernelIldLi16ELb1ELb0ELc67ELc85EKPKdKPdEviT_T0_PT6_S5_lS8_S5_lS6_PT7_S5_li ; -- Begin function _ZL32rocblas_syrkx_herkx_small_kernelIldLi16ELb1ELb0ELc67ELc85EKPKdKPdEviT_T0_PT6_S5_lS8_S5_lS6_PT7_S5_li
	.p2align	8
	.type	_ZL32rocblas_syrkx_herkx_small_kernelIldLi16ELb1ELb0ELc67ELc85EKPKdKPdEviT_T0_PT6_S5_lS8_S5_lS6_PT7_S5_li,@function
_ZL32rocblas_syrkx_herkx_small_kernelIldLi16ELb1ELb0ELc67ELc85EKPKdKPdEviT_T0_PT6_S5_lS8_S5_lS6_PT7_S5_li: ; @_ZL32rocblas_syrkx_herkx_small_kernelIldLi16ELb1ELb0ELc67ELc85EKPKdKPdEviT_T0_PT6_S5_lS8_S5_lS6_PT7_S5_li
; %bb.0:
	s_clause 0x1
	s_load_b128 s[16:19], s[0:1], 0x50
	s_load_b256 s[4:11], s[0:1], 0x8
	s_mov_b32 s20, s15
	s_mov_b32 s21, 0
	s_load_b32 s3, s[0:1], 0x0
	s_lshl_b64 s[20:21], s[20:21], 3
	v_and_b32_e32 v16, 0x3ff, v0
	v_bfe_u32 v17, v0, 10, 10
	s_delay_alu instid0(VALU_DEP_2) | instskip(NEXT) | instid1(VALU_DEP_2)
	v_lshl_add_u32 v0, s13, 4, v16
	v_lshl_add_u32 v14, s14, 4, v17
	s_delay_alu instid0(VALU_DEP_2) | instskip(NEXT) | instid1(VALU_DEP_2)
	v_ashrrev_i32_e32 v1, 31, v0
	v_ashrrev_i32_e32 v15, 31, v14
	s_waitcnt lgkmcnt(0)
	s_add_u32 s16, s16, s20
	s_addc_u32 s17, s17, s21
	v_cmp_lt_i64_e64 s2, s[4:5], 1
	s_load_b64 s[16:17], s[16:17], 0x0
	s_delay_alu instid0(VALU_DEP_1)
	s_and_b32 vcc_lo, exec_lo, s2
	v_cmp_gt_i32_e64 s2, s3, v14
	s_cbranch_vccnz .LBB1517_7
; %bb.1:
	s_load_b128 s[12:15], s[0:1], 0x30
	v_mul_lo_u32 v7, s10, v1
	v_mad_u64_u32 v[4:5], null, s10, v0, 0
	v_mul_lo_u32 v6, s11, v0
	v_lshlrev_b32_e32 v11, 3, v17
	v_lshlrev_b32_e32 v8, 7, v17
	v_cmp_gt_i32_e64 s0, s3, v0
	s_delay_alu instid0(VALU_DEP_4) | instskip(NEXT) | instid1(VALU_DEP_1)
	v_add3_u32 v5, v5, v7, v6
	v_lshlrev_b64 v[4:5], 3, v[4:5]
	s_waitcnt lgkmcnt(0)
	v_mul_lo_u32 v9, s15, v14
	v_mul_lo_u32 v10, s14, v15
	v_mad_u64_u32 v[2:3], null, s14, v14, 0
	s_add_u32 s10, s12, s20
	s_addc_u32 s11, s13, s21
	s_add_u32 s8, s8, s20
	s_load_b64 s[10:11], s[10:11], 0x0
	s_addc_u32 s9, s9, s21
	s_delay_alu instid0(VALU_DEP_1) | instskip(SKIP_1) | instid1(VALU_DEP_1)
	v_add3_u32 v3, v3, v10, v9
	s_load_b64 s[8:9], s[8:9], 0x0
	v_lshlrev_b64 v[6:7], 3, v[2:3]
	v_mov_b32_e32 v2, 0
	v_dual_mov_b32 v3, 0 :: v_dual_lshlrev_b32 v18, 3, v16
	v_add_nc_u32_e32 v19, 0x800, v8
	s_delay_alu instid0(VALU_DEP_2)
	v_add_co_u32 v6, vcc_lo, v6, v18
	v_add_co_ci_u32_e32 v7, vcc_lo, 0, v7, vcc_lo
	v_add_nc_u32_e32 v20, v18, v8
	v_add_co_u32 v8, vcc_lo, v4, v11
	v_add_co_ci_u32_e32 v9, vcc_lo, 0, v5, vcc_lo
	s_waitcnt lgkmcnt(0)
	v_add_co_u32 v4, vcc_lo, s10, v6
	v_add_co_ci_u32_e32 v5, vcc_lo, s11, v7, vcc_lo
	v_add_co_u32 v6, vcc_lo, s8, v8
	v_add_co_ci_u32_e32 v7, vcc_lo, s9, v9, vcc_lo
	v_dual_mov_b32 v9, v3 :: v_dual_mov_b32 v8, v2
	v_add_nc_u32_e32 v21, v19, v18
	s_mov_b64 s[8:9], 0
	s_branch .LBB1517_3
.LBB1517_2:                             ;   in Loop: Header=BB1517_3 Depth=1
	s_or_b32 exec_lo, exec_lo, s1
	s_waitcnt vmcnt(0)
	ds_store_b64 v21, v[12:13]
	s_waitcnt lgkmcnt(0)
	s_barrier
	buffer_gl0_inv
	ds_load_2addr_b64 v[10:13], v18 offset1:16
	ds_load_b128 v[22:25], v19
	ds_load_b128 v[26:29], v19 offset:16
	s_add_u32 s8, s8, 16
	s_addc_u32 s9, s9, 0
	v_add_co_u32 v4, vcc_lo, 0x80, v4
	v_cmp_ge_i64_e64 s1, s[8:9], s[4:5]
	v_add_co_ci_u32_e32 v5, vcc_lo, 0, v5, vcc_lo
	v_add_co_u32 v6, vcc_lo, 0x80, v6
	v_add_co_ci_u32_e32 v7, vcc_lo, 0, v7, vcc_lo
	s_delay_alu instid0(VALU_DEP_4) | instskip(SKIP_2) | instid1(VALU_DEP_1)
	s_and_b32 vcc_lo, exec_lo, s1
	s_waitcnt lgkmcnt(1)
	v_fma_f64 v[8:9], v[10:11], v[22:23], v[8:9]
	v_fma_f64 v[12:13], v[12:13], v[24:25], v[8:9]
	ds_load_2addr_b64 v[8:11], v18 offset0:32 offset1:48
	s_waitcnt lgkmcnt(0)
	v_fma_f64 v[8:9], v[8:9], v[26:27], v[12:13]
	s_delay_alu instid0(VALU_DEP_1)
	v_fma_f64 v[12:13], v[10:11], v[28:29], v[8:9]
	ds_load_2addr_b64 v[8:11], v18 offset0:64 offset1:80
	ds_load_b128 v[22:25], v19 offset:32
	ds_load_b128 v[26:29], v19 offset:48
	s_waitcnt lgkmcnt(1)
	v_fma_f64 v[8:9], v[8:9], v[22:23], v[12:13]
	s_delay_alu instid0(VALU_DEP_1) | instskip(SKIP_3) | instid1(VALU_DEP_1)
	v_fma_f64 v[12:13], v[10:11], v[24:25], v[8:9]
	ds_load_2addr_b64 v[8:11], v18 offset0:96 offset1:112
	s_waitcnt lgkmcnt(0)
	v_fma_f64 v[8:9], v[8:9], v[26:27], v[12:13]
	v_fma_f64 v[12:13], v[10:11], v[28:29], v[8:9]
	ds_load_2addr_b64 v[8:11], v18 offset0:128 offset1:144
	ds_load_b128 v[22:25], v19 offset:64
	ds_load_b128 v[26:29], v19 offset:80
	s_waitcnt lgkmcnt(1)
	v_fma_f64 v[8:9], v[8:9], v[22:23], v[12:13]
	s_delay_alu instid0(VALU_DEP_1) | instskip(SKIP_3) | instid1(VALU_DEP_1)
	v_fma_f64 v[12:13], v[10:11], v[24:25], v[8:9]
	ds_load_2addr_b64 v[8:11], v18 offset0:160 offset1:176
	s_waitcnt lgkmcnt(0)
	v_fma_f64 v[8:9], v[8:9], v[26:27], v[12:13]
	v_fma_f64 v[12:13], v[10:11], v[28:29], v[8:9]
	ds_load_2addr_b64 v[8:11], v18 offset0:192 offset1:208
	ds_load_b128 v[22:25], v19 offset:96
	ds_load_b128 v[26:29], v19 offset:112
	s_waitcnt lgkmcnt(1)
	v_fma_f64 v[8:9], v[8:9], v[22:23], v[12:13]
	s_delay_alu instid0(VALU_DEP_1)
	v_fma_f64 v[12:13], v[10:11], v[24:25], v[8:9]
	ds_load_2addr_b64 v[8:11], v18 offset0:224 offset1:240
	s_waitcnt lgkmcnt(0)
	s_barrier
	buffer_gl0_inv
	v_fma_f64 v[8:9], v[8:9], v[26:27], v[12:13]
	s_delay_alu instid0(VALU_DEP_1)
	v_fma_f64 v[8:9], v[10:11], v[28:29], v[8:9]
	s_cbranch_vccnz .LBB1517_8
.LBB1517_3:                             ; =>This Inner Loop Header: Depth=1
	v_add_co_u32 v10, s1, v17, s8
	s_delay_alu instid0(VALU_DEP_1) | instskip(NEXT) | instid1(VALU_DEP_1)
	v_add_co_ci_u32_e64 v11, null, 0, s9, s1
	v_cmp_gt_i64_e32 vcc_lo, s[4:5], v[10:11]
	v_dual_mov_b32 v11, v3 :: v_dual_mov_b32 v10, v2
	s_and_b32 s10, s0, vcc_lo
	s_delay_alu instid0(SALU_CYCLE_1)
	s_and_saveexec_b32 s1, s10
	s_cbranch_execz .LBB1517_5
; %bb.4:                                ;   in Loop: Header=BB1517_3 Depth=1
	global_load_b64 v[10:11], v[6:7], off
.LBB1517_5:                             ;   in Loop: Header=BB1517_3 Depth=1
	s_or_b32 exec_lo, exec_lo, s1
	v_add_co_u32 v12, s1, v16, s8
	s_delay_alu instid0(VALU_DEP_1)
	v_add_co_ci_u32_e64 v13, null, 0, s9, s1
	s_waitcnt vmcnt(0)
	ds_store_b64 v20, v[10:11]
	v_cmp_gt_i64_e32 vcc_lo, s[4:5], v[12:13]
	v_mov_b32_e32 v12, 0
	v_mov_b32_e32 v13, 0
	s_and_b32 s10, s2, vcc_lo
	s_delay_alu instid0(SALU_CYCLE_1)
	s_and_saveexec_b32 s1, s10
	s_cbranch_execz .LBB1517_2
; %bb.6:                                ;   in Loop: Header=BB1517_3 Depth=1
	global_load_b64 v[12:13], v[4:5], off
	s_branch .LBB1517_2
.LBB1517_7:
	v_mov_b32_e32 v8, 0
	v_mov_b32_e32 v9, 0
.LBB1517_8:
	v_cmp_le_i32_e32 vcc_lo, v0, v14
	v_cmp_gt_i32_e64 s0, s3, v14
	s_delay_alu instid0(VALU_DEP_1) | instskip(NEXT) | instid1(SALU_CYCLE_1)
	s_and_b32 s0, vcc_lo, s0
	s_and_saveexec_b32 s1, s0
	s_cbranch_execz .LBB1517_10
; %bb.9:
	s_delay_alu instid0(VALU_DEP_3) | instskip(SKIP_4) | instid1(VALU_DEP_2)
	v_mul_f64 v[2:3], v[8:9], s[6:7]
	v_mul_lo_u32 v6, v14, s19
	v_mul_lo_u32 v7, v15, s18
	v_mad_u64_u32 v[4:5], null, v14, s18, 0
	v_lshlrev_b64 v[0:1], 3, v[0:1]
	v_add3_u32 v5, v5, v6, v7
	s_delay_alu instid0(VALU_DEP_1) | instskip(SKIP_1) | instid1(VALU_DEP_1)
	v_lshlrev_b64 v[4:5], 3, v[4:5]
	s_waitcnt lgkmcnt(0)
	v_add_co_u32 v4, vcc_lo, s16, v4
	s_delay_alu instid0(VALU_DEP_2) | instskip(NEXT) | instid1(VALU_DEP_2)
	v_add_co_ci_u32_e32 v5, vcc_lo, s17, v5, vcc_lo
	v_add_co_u32 v0, vcc_lo, v4, v0
	s_delay_alu instid0(VALU_DEP_2)
	v_add_co_ci_u32_e32 v1, vcc_lo, v5, v1, vcc_lo
	global_store_b64 v[0:1], v[2:3], off
.LBB1517_10:
	s_nop 0
	s_sendmsg sendmsg(MSG_DEALLOC_VGPRS)
	s_endpgm
	.section	.rodata,"a",@progbits
	.p2align	6, 0x0
	.amdhsa_kernel _ZL32rocblas_syrkx_herkx_small_kernelIldLi16ELb1ELb0ELc67ELc85EKPKdKPdEviT_T0_PT6_S5_lS8_S5_lS6_PT7_S5_li
		.amdhsa_group_segment_fixed_size 4096
		.amdhsa_private_segment_fixed_size 0
		.amdhsa_kernarg_size 108
		.amdhsa_user_sgpr_count 13
		.amdhsa_user_sgpr_dispatch_ptr 0
		.amdhsa_user_sgpr_queue_ptr 0
		.amdhsa_user_sgpr_kernarg_segment_ptr 1
		.amdhsa_user_sgpr_dispatch_id 0
		.amdhsa_user_sgpr_private_segment_size 0
		.amdhsa_wavefront_size32 1
		.amdhsa_uses_dynamic_stack 0
		.amdhsa_enable_private_segment 0
		.amdhsa_system_sgpr_workgroup_id_x 1
		.amdhsa_system_sgpr_workgroup_id_y 1
		.amdhsa_system_sgpr_workgroup_id_z 1
		.amdhsa_system_sgpr_workgroup_info 0
		.amdhsa_system_vgpr_workitem_id 1
		.amdhsa_next_free_vgpr 30
		.amdhsa_next_free_sgpr 22
		.amdhsa_reserve_vcc 1
		.amdhsa_float_round_mode_32 0
		.amdhsa_float_round_mode_16_64 0
		.amdhsa_float_denorm_mode_32 3
		.amdhsa_float_denorm_mode_16_64 3
		.amdhsa_dx10_clamp 1
		.amdhsa_ieee_mode 1
		.amdhsa_fp16_overflow 0
		.amdhsa_workgroup_processor_mode 1
		.amdhsa_memory_ordered 1
		.amdhsa_forward_progress 0
		.amdhsa_shared_vgpr_count 0
		.amdhsa_exception_fp_ieee_invalid_op 0
		.amdhsa_exception_fp_denorm_src 0
		.amdhsa_exception_fp_ieee_div_zero 0
		.amdhsa_exception_fp_ieee_overflow 0
		.amdhsa_exception_fp_ieee_underflow 0
		.amdhsa_exception_fp_ieee_inexact 0
		.amdhsa_exception_int_div_zero 0
	.end_amdhsa_kernel
	.section	.text._ZL32rocblas_syrkx_herkx_small_kernelIldLi16ELb1ELb0ELc67ELc85EKPKdKPdEviT_T0_PT6_S5_lS8_S5_lS6_PT7_S5_li,"axG",@progbits,_ZL32rocblas_syrkx_herkx_small_kernelIldLi16ELb1ELb0ELc67ELc85EKPKdKPdEviT_T0_PT6_S5_lS8_S5_lS6_PT7_S5_li,comdat
.Lfunc_end1517:
	.size	_ZL32rocblas_syrkx_herkx_small_kernelIldLi16ELb1ELb0ELc67ELc85EKPKdKPdEviT_T0_PT6_S5_lS8_S5_lS6_PT7_S5_li, .Lfunc_end1517-_ZL32rocblas_syrkx_herkx_small_kernelIldLi16ELb1ELb0ELc67ELc85EKPKdKPdEviT_T0_PT6_S5_lS8_S5_lS6_PT7_S5_li
                                        ; -- End function
	.section	.AMDGPU.csdata,"",@progbits
; Kernel info:
; codeLenInByte = 1084
; NumSgprs: 24
; NumVgprs: 30
; ScratchSize: 0
; MemoryBound: 0
; FloatMode: 240
; IeeeMode: 1
; LDSByteSize: 4096 bytes/workgroup (compile time only)
; SGPRBlocks: 2
; VGPRBlocks: 3
; NumSGPRsForWavesPerEU: 24
; NumVGPRsForWavesPerEU: 30
; Occupancy: 16
; WaveLimiterHint : 1
; COMPUTE_PGM_RSRC2:SCRATCH_EN: 0
; COMPUTE_PGM_RSRC2:USER_SGPR: 13
; COMPUTE_PGM_RSRC2:TRAP_HANDLER: 0
; COMPUTE_PGM_RSRC2:TGID_X_EN: 1
; COMPUTE_PGM_RSRC2:TGID_Y_EN: 1
; COMPUTE_PGM_RSRC2:TGID_Z_EN: 1
; COMPUTE_PGM_RSRC2:TIDIG_COMP_CNT: 1
	.section	.text._ZL32rocblas_syrkx_herkx_small_kernelIldLi16ELb1ELb0ELc78ELc85EKPKdKPdEviT_T0_PT6_S5_lS8_S5_lS6_PT7_S5_li,"axG",@progbits,_ZL32rocblas_syrkx_herkx_small_kernelIldLi16ELb1ELb0ELc78ELc85EKPKdKPdEviT_T0_PT6_S5_lS8_S5_lS6_PT7_S5_li,comdat
	.globl	_ZL32rocblas_syrkx_herkx_small_kernelIldLi16ELb1ELb0ELc78ELc85EKPKdKPdEviT_T0_PT6_S5_lS8_S5_lS6_PT7_S5_li ; -- Begin function _ZL32rocblas_syrkx_herkx_small_kernelIldLi16ELb1ELb0ELc78ELc85EKPKdKPdEviT_T0_PT6_S5_lS8_S5_lS6_PT7_S5_li
	.p2align	8
	.type	_ZL32rocblas_syrkx_herkx_small_kernelIldLi16ELb1ELb0ELc78ELc85EKPKdKPdEviT_T0_PT6_S5_lS8_S5_lS6_PT7_S5_li,@function
_ZL32rocblas_syrkx_herkx_small_kernelIldLi16ELb1ELb0ELc78ELc85EKPKdKPdEviT_T0_PT6_S5_lS8_S5_lS6_PT7_S5_li: ; @_ZL32rocblas_syrkx_herkx_small_kernelIldLi16ELb1ELb0ELc78ELc85EKPKdKPdEviT_T0_PT6_S5_lS8_S5_lS6_PT7_S5_li
; %bb.0:
	s_clause 0x1
	s_load_b128 s[16:19], s[0:1], 0x50
	s_load_b256 s[4:11], s[0:1], 0x8
	s_mov_b32 s20, s15
	s_mov_b32 s21, 0
	s_load_b32 s3, s[0:1], 0x0
	s_lshl_b64 s[20:21], s[20:21], 3
	v_and_b32_e32 v16, 0x3ff, v0
	v_bfe_u32 v17, v0, 10, 10
	s_delay_alu instid0(VALU_DEP_2) | instskip(NEXT) | instid1(VALU_DEP_2)
	v_lshl_add_u32 v0, s13, 4, v16
	v_lshl_add_u32 v2, s14, 4, v17
	s_delay_alu instid0(VALU_DEP_2) | instskip(NEXT) | instid1(VALU_DEP_2)
	v_ashrrev_i32_e32 v1, 31, v0
	v_ashrrev_i32_e32 v3, 31, v2
	s_waitcnt lgkmcnt(0)
	s_add_u32 s16, s16, s20
	s_addc_u32 s17, s17, s21
	v_cmp_lt_i64_e64 s2, s[4:5], 1
	s_load_b64 s[16:17], s[16:17], 0x0
	s_delay_alu instid0(VALU_DEP_1)
	s_and_b32 vcc_lo, exec_lo, s2
	v_cmp_gt_i32_e64 s2, s3, v2
	s_cbranch_vccnz .LBB1518_7
; %bb.1:
	s_load_b128 s[12:15], s[0:1], 0x30
	v_mad_u64_u32 v[4:5], null, s10, v17, 0
	v_lshlrev_b64 v[12:13], 3, v[0:1]
	v_cmp_gt_i32_e64 s0, s3, v0
	s_waitcnt lgkmcnt(0)
	v_mad_u64_u32 v[6:7], null, s14, v16, 0
	v_lshlrev_b32_e32 v14, 7, v17
	s_add_u32 s12, s12, s20
	s_addc_u32 s13, s13, s21
	s_add_u32 s8, s8, s20
	s_addc_u32 s9, s9, s21
	s_load_b64 s[12:13], s[12:13], 0x0
	s_delay_alu instid0(VALU_DEP_2)
	v_mad_u64_u32 v[8:9], null, s11, v17, v[5:6]
	v_mov_b32_e32 v5, v7
	s_load_b64 s[8:9], s[8:9], 0x0
	v_lshlrev_b32_e32 v18, 3, v16
	v_add_nc_u32_e32 v19, 0x800, v14
	s_lshl_b64 s[10:11], s[10:11], 7
	v_mad_u64_u32 v[9:10], null, s15, v16, v[5:6]
	v_mov_b32_e32 v5, v8
	v_lshlrev_b64 v[10:11], 3, v[2:3]
	s_delay_alu instid0(VALU_DEP_3) | instskip(NEXT) | instid1(VALU_DEP_3)
	v_dual_mov_b32 v7, v9 :: v_dual_add_nc_u32 v20, v18, v14
	v_lshlrev_b64 v[8:9], 3, v[4:5]
	v_mov_b32_e32 v4, 0
	v_mov_b32_e32 v5, 0
	v_add_nc_u32_e32 v21, v19, v18
	v_lshlrev_b64 v[6:7], 3, v[6:7]
	v_add_co_u32 v8, vcc_lo, v8, v12
	v_add_co_ci_u32_e32 v9, vcc_lo, v9, v13, vcc_lo
	s_delay_alu instid0(VALU_DEP_3) | instskip(NEXT) | instid1(VALU_DEP_4)
	v_add_co_u32 v10, vcc_lo, v6, v10
	v_add_co_ci_u32_e32 v11, vcc_lo, v7, v11, vcc_lo
	s_waitcnt lgkmcnt(0)
	v_add_co_u32 v6, vcc_lo, s8, v8
	v_add_co_ci_u32_e32 v7, vcc_lo, s9, v9, vcc_lo
	v_add_co_u32 v8, vcc_lo, s12, v10
	v_add_co_ci_u32_e32 v9, vcc_lo, s13, v11, vcc_lo
	v_dual_mov_b32 v11, v5 :: v_dual_mov_b32 v10, v4
	s_lshl_b64 s[8:9], s[14:15], 7
	s_mov_b64 s[12:13], 0
	s_branch .LBB1518_3
.LBB1518_2:                             ;   in Loop: Header=BB1518_3 Depth=1
	s_or_b32 exec_lo, exec_lo, s1
	s_waitcnt vmcnt(0)
	ds_store_b64 v21, v[14:15]
	s_waitcnt lgkmcnt(0)
	s_barrier
	buffer_gl0_inv
	ds_load_2addr_b64 v[12:15], v18 offset1:16
	ds_load_b128 v[22:25], v19
	ds_load_b128 v[26:29], v19 offset:16
	s_add_u32 s12, s12, 16
	s_addc_u32 s13, s13, 0
	v_add_co_u32 v8, vcc_lo, v8, s8
	v_cmp_ge_i64_e64 s1, s[12:13], s[4:5]
	v_add_co_ci_u32_e32 v9, vcc_lo, s9, v9, vcc_lo
	v_add_co_u32 v6, vcc_lo, v6, s10
	v_add_co_ci_u32_e32 v7, vcc_lo, s11, v7, vcc_lo
	s_delay_alu instid0(VALU_DEP_4) | instskip(SKIP_2) | instid1(VALU_DEP_1)
	s_and_b32 vcc_lo, exec_lo, s1
	s_waitcnt lgkmcnt(1)
	v_fma_f64 v[10:11], v[12:13], v[22:23], v[10:11]
	v_fma_f64 v[14:15], v[14:15], v[24:25], v[10:11]
	ds_load_2addr_b64 v[10:13], v18 offset0:32 offset1:48
	s_waitcnt lgkmcnt(0)
	v_fma_f64 v[10:11], v[10:11], v[26:27], v[14:15]
	s_delay_alu instid0(VALU_DEP_1)
	v_fma_f64 v[14:15], v[12:13], v[28:29], v[10:11]
	ds_load_2addr_b64 v[10:13], v18 offset0:64 offset1:80
	ds_load_b128 v[22:25], v19 offset:32
	ds_load_b128 v[26:29], v19 offset:48
	s_waitcnt lgkmcnt(1)
	v_fma_f64 v[10:11], v[10:11], v[22:23], v[14:15]
	s_delay_alu instid0(VALU_DEP_1) | instskip(SKIP_3) | instid1(VALU_DEP_1)
	v_fma_f64 v[14:15], v[12:13], v[24:25], v[10:11]
	ds_load_2addr_b64 v[10:13], v18 offset0:96 offset1:112
	s_waitcnt lgkmcnt(0)
	v_fma_f64 v[10:11], v[10:11], v[26:27], v[14:15]
	v_fma_f64 v[14:15], v[12:13], v[28:29], v[10:11]
	ds_load_2addr_b64 v[10:13], v18 offset0:128 offset1:144
	ds_load_b128 v[22:25], v19 offset:64
	ds_load_b128 v[26:29], v19 offset:80
	s_waitcnt lgkmcnt(1)
	v_fma_f64 v[10:11], v[10:11], v[22:23], v[14:15]
	s_delay_alu instid0(VALU_DEP_1) | instskip(SKIP_3) | instid1(VALU_DEP_1)
	v_fma_f64 v[14:15], v[12:13], v[24:25], v[10:11]
	ds_load_2addr_b64 v[10:13], v18 offset0:160 offset1:176
	s_waitcnt lgkmcnt(0)
	v_fma_f64 v[10:11], v[10:11], v[26:27], v[14:15]
	v_fma_f64 v[14:15], v[12:13], v[28:29], v[10:11]
	ds_load_2addr_b64 v[10:13], v18 offset0:192 offset1:208
	ds_load_b128 v[22:25], v19 offset:96
	ds_load_b128 v[26:29], v19 offset:112
	s_waitcnt lgkmcnt(1)
	v_fma_f64 v[10:11], v[10:11], v[22:23], v[14:15]
	s_delay_alu instid0(VALU_DEP_1)
	v_fma_f64 v[14:15], v[12:13], v[24:25], v[10:11]
	ds_load_2addr_b64 v[10:13], v18 offset0:224 offset1:240
	s_waitcnt lgkmcnt(0)
	s_barrier
	buffer_gl0_inv
	v_fma_f64 v[10:11], v[10:11], v[26:27], v[14:15]
	s_delay_alu instid0(VALU_DEP_1)
	v_fma_f64 v[10:11], v[12:13], v[28:29], v[10:11]
	s_cbranch_vccnz .LBB1518_8
.LBB1518_3:                             ; =>This Inner Loop Header: Depth=1
	v_add_co_u32 v12, s1, v17, s12
	s_delay_alu instid0(VALU_DEP_1) | instskip(NEXT) | instid1(VALU_DEP_1)
	v_add_co_ci_u32_e64 v13, null, 0, s13, s1
	v_cmp_gt_i64_e32 vcc_lo, s[4:5], v[12:13]
	v_dual_mov_b32 v13, v5 :: v_dual_mov_b32 v12, v4
	s_and_b32 s14, s0, vcc_lo
	s_delay_alu instid0(SALU_CYCLE_1)
	s_and_saveexec_b32 s1, s14
	s_cbranch_execz .LBB1518_5
; %bb.4:                                ;   in Loop: Header=BB1518_3 Depth=1
	global_load_b64 v[12:13], v[6:7], off
.LBB1518_5:                             ;   in Loop: Header=BB1518_3 Depth=1
	s_or_b32 exec_lo, exec_lo, s1
	v_add_co_u32 v14, s1, v16, s12
	s_delay_alu instid0(VALU_DEP_1)
	v_add_co_ci_u32_e64 v15, null, 0, s13, s1
	s_waitcnt vmcnt(0)
	ds_store_b64 v20, v[12:13]
	v_cmp_gt_i64_e32 vcc_lo, s[4:5], v[14:15]
	v_mov_b32_e32 v14, 0
	v_mov_b32_e32 v15, 0
	s_and_b32 s14, s2, vcc_lo
	s_delay_alu instid0(SALU_CYCLE_1)
	s_and_saveexec_b32 s1, s14
	s_cbranch_execz .LBB1518_2
; %bb.6:                                ;   in Loop: Header=BB1518_3 Depth=1
	global_load_b64 v[14:15], v[8:9], off
	s_branch .LBB1518_2
.LBB1518_7:
	v_mov_b32_e32 v10, 0
	v_mov_b32_e32 v11, 0
.LBB1518_8:
	v_cmp_le_i32_e32 vcc_lo, v0, v2
	v_cmp_gt_i32_e64 s0, s3, v2
	s_delay_alu instid0(VALU_DEP_1) | instskip(NEXT) | instid1(SALU_CYCLE_1)
	s_and_b32 s0, vcc_lo, s0
	s_and_saveexec_b32 s1, s0
	s_cbranch_execz .LBB1518_10
; %bb.9:
	s_delay_alu instid0(VALU_DEP_3) | instskip(SKIP_4) | instid1(VALU_DEP_2)
	v_mul_f64 v[4:5], v[10:11], s[6:7]
	v_mul_lo_u32 v8, v2, s19
	v_mul_lo_u32 v3, v3, s18
	v_mad_u64_u32 v[6:7], null, v2, s18, 0
	v_lshlrev_b64 v[0:1], 3, v[0:1]
	v_add3_u32 v7, v7, v8, v3
	s_delay_alu instid0(VALU_DEP_1) | instskip(SKIP_1) | instid1(VALU_DEP_1)
	v_lshlrev_b64 v[2:3], 3, v[6:7]
	s_waitcnt lgkmcnt(0)
	v_add_co_u32 v2, vcc_lo, s16, v2
	s_delay_alu instid0(VALU_DEP_2) | instskip(NEXT) | instid1(VALU_DEP_2)
	v_add_co_ci_u32_e32 v3, vcc_lo, s17, v3, vcc_lo
	v_add_co_u32 v0, vcc_lo, v2, v0
	s_delay_alu instid0(VALU_DEP_2)
	v_add_co_ci_u32_e32 v1, vcc_lo, v3, v1, vcc_lo
	global_store_b64 v[0:1], v[4:5], off
.LBB1518_10:
	s_nop 0
	s_sendmsg sendmsg(MSG_DEALLOC_VGPRS)
	s_endpgm
	.section	.rodata,"a",@progbits
	.p2align	6, 0x0
	.amdhsa_kernel _ZL32rocblas_syrkx_herkx_small_kernelIldLi16ELb1ELb0ELc78ELc85EKPKdKPdEviT_T0_PT6_S5_lS8_S5_lS6_PT7_S5_li
		.amdhsa_group_segment_fixed_size 4096
		.amdhsa_private_segment_fixed_size 0
		.amdhsa_kernarg_size 108
		.amdhsa_user_sgpr_count 13
		.amdhsa_user_sgpr_dispatch_ptr 0
		.amdhsa_user_sgpr_queue_ptr 0
		.amdhsa_user_sgpr_kernarg_segment_ptr 1
		.amdhsa_user_sgpr_dispatch_id 0
		.amdhsa_user_sgpr_private_segment_size 0
		.amdhsa_wavefront_size32 1
		.amdhsa_uses_dynamic_stack 0
		.amdhsa_enable_private_segment 0
		.amdhsa_system_sgpr_workgroup_id_x 1
		.amdhsa_system_sgpr_workgroup_id_y 1
		.amdhsa_system_sgpr_workgroup_id_z 1
		.amdhsa_system_sgpr_workgroup_info 0
		.amdhsa_system_vgpr_workitem_id 1
		.amdhsa_next_free_vgpr 30
		.amdhsa_next_free_sgpr 22
		.amdhsa_reserve_vcc 1
		.amdhsa_float_round_mode_32 0
		.amdhsa_float_round_mode_16_64 0
		.amdhsa_float_denorm_mode_32 3
		.amdhsa_float_denorm_mode_16_64 3
		.amdhsa_dx10_clamp 1
		.amdhsa_ieee_mode 1
		.amdhsa_fp16_overflow 0
		.amdhsa_workgroup_processor_mode 1
		.amdhsa_memory_ordered 1
		.amdhsa_forward_progress 0
		.amdhsa_shared_vgpr_count 0
		.amdhsa_exception_fp_ieee_invalid_op 0
		.amdhsa_exception_fp_denorm_src 0
		.amdhsa_exception_fp_ieee_div_zero 0
		.amdhsa_exception_fp_ieee_overflow 0
		.amdhsa_exception_fp_ieee_underflow 0
		.amdhsa_exception_fp_ieee_inexact 0
		.amdhsa_exception_int_div_zero 0
	.end_amdhsa_kernel
	.section	.text._ZL32rocblas_syrkx_herkx_small_kernelIldLi16ELb1ELb0ELc78ELc85EKPKdKPdEviT_T0_PT6_S5_lS8_S5_lS6_PT7_S5_li,"axG",@progbits,_ZL32rocblas_syrkx_herkx_small_kernelIldLi16ELb1ELb0ELc78ELc85EKPKdKPdEviT_T0_PT6_S5_lS8_S5_lS6_PT7_S5_li,comdat
.Lfunc_end1518:
	.size	_ZL32rocblas_syrkx_herkx_small_kernelIldLi16ELb1ELb0ELc78ELc85EKPKdKPdEviT_T0_PT6_S5_lS8_S5_lS6_PT7_S5_li, .Lfunc_end1518-_ZL32rocblas_syrkx_herkx_small_kernelIldLi16ELb1ELb0ELc78ELc85EKPKdKPdEviT_T0_PT6_S5_lS8_S5_lS6_PT7_S5_li
                                        ; -- End function
	.section	.AMDGPU.csdata,"",@progbits
; Kernel info:
; codeLenInByte = 1076
; NumSgprs: 24
; NumVgprs: 30
; ScratchSize: 0
; MemoryBound: 0
; FloatMode: 240
; IeeeMode: 1
; LDSByteSize: 4096 bytes/workgroup (compile time only)
; SGPRBlocks: 2
; VGPRBlocks: 3
; NumSGPRsForWavesPerEU: 24
; NumVGPRsForWavesPerEU: 30
; Occupancy: 16
; WaveLimiterHint : 1
; COMPUTE_PGM_RSRC2:SCRATCH_EN: 0
; COMPUTE_PGM_RSRC2:USER_SGPR: 13
; COMPUTE_PGM_RSRC2:TRAP_HANDLER: 0
; COMPUTE_PGM_RSRC2:TGID_X_EN: 1
; COMPUTE_PGM_RSRC2:TGID_Y_EN: 1
; COMPUTE_PGM_RSRC2:TGID_Z_EN: 1
; COMPUTE_PGM_RSRC2:TIDIG_COMP_CNT: 1
	.section	.text._ZL32rocblas_syrkx_herkx_small_kernelIldLi16ELb0ELb0ELc84ELc76EKPKdKPdEviT_T0_PT6_S5_lS8_S5_lS6_PT7_S5_li,"axG",@progbits,_ZL32rocblas_syrkx_herkx_small_kernelIldLi16ELb0ELb0ELc84ELc76EKPKdKPdEviT_T0_PT6_S5_lS8_S5_lS6_PT7_S5_li,comdat
	.globl	_ZL32rocblas_syrkx_herkx_small_kernelIldLi16ELb0ELb0ELc84ELc76EKPKdKPdEviT_T0_PT6_S5_lS8_S5_lS6_PT7_S5_li ; -- Begin function _ZL32rocblas_syrkx_herkx_small_kernelIldLi16ELb0ELb0ELc84ELc76EKPKdKPdEviT_T0_PT6_S5_lS8_S5_lS6_PT7_S5_li
	.p2align	8
	.type	_ZL32rocblas_syrkx_herkx_small_kernelIldLi16ELb0ELb0ELc84ELc76EKPKdKPdEviT_T0_PT6_S5_lS8_S5_lS6_PT7_S5_li,@function
_ZL32rocblas_syrkx_herkx_small_kernelIldLi16ELb0ELb0ELc84ELc76EKPKdKPdEviT_T0_PT6_S5_lS8_S5_lS6_PT7_S5_li: ; @_ZL32rocblas_syrkx_herkx_small_kernelIldLi16ELb0ELb0ELc84ELc76EKPKdKPdEviT_T0_PT6_S5_lS8_S5_lS6_PT7_S5_li
; %bb.0:
	s_clause 0x2
	s_load_b128 s[16:19], s[0:1], 0x48
	s_load_b256 s[4:11], s[0:1], 0x8
	s_load_b32 s3, s[0:1], 0x0
	s_mov_b32 s20, s15
	s_mov_b32 s21, 0
	v_and_b32_e32 v16, 0x3ff, v0
	s_lshl_b64 s[22:23], s[20:21], 3
	v_bfe_u32 v17, v0, 10, 10
	s_delay_alu instid0(VALU_DEP_2) | instskip(NEXT) | instid1(VALU_DEP_2)
	v_lshl_add_u32 v0, s13, 4, v16
	v_lshl_add_u32 v14, s14, 4, v17
	s_delay_alu instid0(VALU_DEP_2) | instskip(NEXT) | instid1(VALU_DEP_2)
	v_ashrrev_i32_e32 v1, 31, v0
	v_ashrrev_i32_e32 v15, 31, v14
	s_waitcnt lgkmcnt(0)
	s_add_u32 s18, s18, s22
	s_addc_u32 s19, s19, s23
	s_load_b64 s[20:21], s[0:1], 0x58
	s_load_b64 s[18:19], s[18:19], 0x0
	v_cmp_lt_i64_e64 s2, s[4:5], 1
	s_delay_alu instid0(VALU_DEP_1)
	s_and_b32 vcc_lo, exec_lo, s2
	v_cmp_gt_i32_e64 s2, s3, v0
	s_cbranch_vccnz .LBB1519_7
; %bb.1:
	s_load_b128 s[12:15], s[0:1], 0x30
	v_mul_lo_u32 v7, s10, v1
	v_mad_u64_u32 v[4:5], null, s10, v0, 0
	v_mul_lo_u32 v6, s11, v0
	v_lshlrev_b32_e32 v11, 3, v17
	v_lshlrev_b32_e32 v8, 7, v17
	v_cmp_gt_i32_e64 s0, s3, v14
	s_delay_alu instid0(VALU_DEP_4) | instskip(NEXT) | instid1(VALU_DEP_1)
	v_add3_u32 v5, v5, v7, v6
	v_lshlrev_b64 v[4:5], 3, v[4:5]
	s_waitcnt lgkmcnt(0)
	v_mul_lo_u32 v9, s15, v14
	v_mul_lo_u32 v10, s14, v15
	v_mad_u64_u32 v[2:3], null, s14, v14, 0
	s_add_u32 s10, s12, s22
	s_addc_u32 s11, s13, s23
	s_add_u32 s8, s8, s22
	s_load_b64 s[10:11], s[10:11], 0x0
	s_addc_u32 s9, s9, s23
	s_delay_alu instid0(VALU_DEP_1) | instskip(SKIP_1) | instid1(VALU_DEP_1)
	v_add3_u32 v3, v3, v10, v9
	s_load_b64 s[8:9], s[8:9], 0x0
	v_lshlrev_b64 v[6:7], 3, v[2:3]
	v_mov_b32_e32 v2, 0
	v_dual_mov_b32 v3, 0 :: v_dual_lshlrev_b32 v18, 3, v16
	v_add_nc_u32_e32 v19, 0x800, v8
	s_delay_alu instid0(VALU_DEP_2)
	v_add_co_u32 v6, vcc_lo, v6, v18
	v_add_co_ci_u32_e32 v7, vcc_lo, 0, v7, vcc_lo
	v_add_nc_u32_e32 v20, v18, v8
	v_add_co_u32 v8, vcc_lo, v4, v11
	v_add_co_ci_u32_e32 v9, vcc_lo, 0, v5, vcc_lo
	s_waitcnt lgkmcnt(0)
	v_add_co_u32 v4, vcc_lo, s10, v6
	v_add_co_ci_u32_e32 v5, vcc_lo, s11, v7, vcc_lo
	v_add_co_u32 v6, vcc_lo, s8, v8
	v_add_co_ci_u32_e32 v7, vcc_lo, s9, v9, vcc_lo
	v_dual_mov_b32 v9, v3 :: v_dual_mov_b32 v8, v2
	v_add_nc_u32_e32 v21, v19, v18
	s_mov_b64 s[8:9], 0
	s_branch .LBB1519_3
.LBB1519_2:                             ;   in Loop: Header=BB1519_3 Depth=1
	s_or_b32 exec_lo, exec_lo, s1
	s_waitcnt vmcnt(0)
	ds_store_b64 v21, v[12:13]
	s_waitcnt lgkmcnt(0)
	s_barrier
	buffer_gl0_inv
	ds_load_2addr_b64 v[10:13], v18 offset1:16
	ds_load_b128 v[22:25], v19
	ds_load_b128 v[26:29], v19 offset:16
	s_add_u32 s8, s8, 16
	s_addc_u32 s9, s9, 0
	v_add_co_u32 v4, vcc_lo, 0x80, v4
	v_cmp_ge_i64_e64 s1, s[8:9], s[4:5]
	v_add_co_ci_u32_e32 v5, vcc_lo, 0, v5, vcc_lo
	v_add_co_u32 v6, vcc_lo, 0x80, v6
	v_add_co_ci_u32_e32 v7, vcc_lo, 0, v7, vcc_lo
	s_delay_alu instid0(VALU_DEP_4) | instskip(SKIP_2) | instid1(VALU_DEP_1)
	s_and_b32 vcc_lo, exec_lo, s1
	s_waitcnt lgkmcnt(1)
	v_fma_f64 v[8:9], v[10:11], v[22:23], v[8:9]
	v_fma_f64 v[12:13], v[12:13], v[24:25], v[8:9]
	ds_load_2addr_b64 v[8:11], v18 offset0:32 offset1:48
	s_waitcnt lgkmcnt(0)
	v_fma_f64 v[8:9], v[8:9], v[26:27], v[12:13]
	s_delay_alu instid0(VALU_DEP_1)
	v_fma_f64 v[12:13], v[10:11], v[28:29], v[8:9]
	ds_load_2addr_b64 v[8:11], v18 offset0:64 offset1:80
	ds_load_b128 v[22:25], v19 offset:32
	ds_load_b128 v[26:29], v19 offset:48
	s_waitcnt lgkmcnt(1)
	v_fma_f64 v[8:9], v[8:9], v[22:23], v[12:13]
	s_delay_alu instid0(VALU_DEP_1) | instskip(SKIP_3) | instid1(VALU_DEP_1)
	v_fma_f64 v[12:13], v[10:11], v[24:25], v[8:9]
	ds_load_2addr_b64 v[8:11], v18 offset0:96 offset1:112
	s_waitcnt lgkmcnt(0)
	v_fma_f64 v[8:9], v[8:9], v[26:27], v[12:13]
	v_fma_f64 v[12:13], v[10:11], v[28:29], v[8:9]
	ds_load_2addr_b64 v[8:11], v18 offset0:128 offset1:144
	ds_load_b128 v[22:25], v19 offset:64
	ds_load_b128 v[26:29], v19 offset:80
	s_waitcnt lgkmcnt(1)
	v_fma_f64 v[8:9], v[8:9], v[22:23], v[12:13]
	s_delay_alu instid0(VALU_DEP_1) | instskip(SKIP_3) | instid1(VALU_DEP_1)
	v_fma_f64 v[12:13], v[10:11], v[24:25], v[8:9]
	ds_load_2addr_b64 v[8:11], v18 offset0:160 offset1:176
	s_waitcnt lgkmcnt(0)
	v_fma_f64 v[8:9], v[8:9], v[26:27], v[12:13]
	v_fma_f64 v[12:13], v[10:11], v[28:29], v[8:9]
	ds_load_2addr_b64 v[8:11], v18 offset0:192 offset1:208
	ds_load_b128 v[22:25], v19 offset:96
	ds_load_b128 v[26:29], v19 offset:112
	s_waitcnt lgkmcnt(1)
	v_fma_f64 v[8:9], v[8:9], v[22:23], v[12:13]
	s_delay_alu instid0(VALU_DEP_1)
	v_fma_f64 v[12:13], v[10:11], v[24:25], v[8:9]
	ds_load_2addr_b64 v[8:11], v18 offset0:224 offset1:240
	s_waitcnt lgkmcnt(0)
	s_barrier
	buffer_gl0_inv
	v_fma_f64 v[8:9], v[8:9], v[26:27], v[12:13]
	s_delay_alu instid0(VALU_DEP_1)
	v_fma_f64 v[8:9], v[10:11], v[28:29], v[8:9]
	s_cbranch_vccnz .LBB1519_8
.LBB1519_3:                             ; =>This Inner Loop Header: Depth=1
	v_add_co_u32 v10, s1, v17, s8
	s_delay_alu instid0(VALU_DEP_1) | instskip(NEXT) | instid1(VALU_DEP_1)
	v_add_co_ci_u32_e64 v11, null, 0, s9, s1
	v_cmp_gt_i64_e32 vcc_lo, s[4:5], v[10:11]
	v_dual_mov_b32 v11, v3 :: v_dual_mov_b32 v10, v2
	s_and_b32 s10, s2, vcc_lo
	s_delay_alu instid0(SALU_CYCLE_1)
	s_and_saveexec_b32 s1, s10
	s_cbranch_execz .LBB1519_5
; %bb.4:                                ;   in Loop: Header=BB1519_3 Depth=1
	global_load_b64 v[10:11], v[6:7], off
.LBB1519_5:                             ;   in Loop: Header=BB1519_3 Depth=1
	s_or_b32 exec_lo, exec_lo, s1
	v_add_co_u32 v12, s1, v16, s8
	s_delay_alu instid0(VALU_DEP_1)
	v_add_co_ci_u32_e64 v13, null, 0, s9, s1
	s_waitcnt vmcnt(0)
	ds_store_b64 v20, v[10:11]
	v_cmp_gt_i64_e32 vcc_lo, s[4:5], v[12:13]
	v_mov_b32_e32 v12, 0
	v_mov_b32_e32 v13, 0
	s_and_b32 s10, s0, vcc_lo
	s_delay_alu instid0(SALU_CYCLE_1)
	s_and_saveexec_b32 s1, s10
	s_cbranch_execz .LBB1519_2
; %bb.6:                                ;   in Loop: Header=BB1519_3 Depth=1
	global_load_b64 v[12:13], v[4:5], off
	s_branch .LBB1519_2
.LBB1519_7:
	v_mov_b32_e32 v8, 0
	v_mov_b32_e32 v9, 0
.LBB1519_8:
	v_cmp_le_i32_e32 vcc_lo, v14, v0
	v_cmp_gt_i32_e64 s0, s3, v0
	s_delay_alu instid0(VALU_DEP_1) | instskip(NEXT) | instid1(SALU_CYCLE_1)
	s_and_b32 s0, vcc_lo, s0
	s_and_saveexec_b32 s1, s0
	s_cbranch_execz .LBB1519_10
; %bb.9:
	s_waitcnt lgkmcnt(0)
	v_mul_lo_u32 v4, v14, s21
	v_mul_lo_u32 v5, v15, s20
	v_mad_u64_u32 v[2:3], null, v14, s20, 0
	v_lshlrev_b64 v[0:1], 3, v[0:1]
	s_delay_alu instid0(VALU_DEP_2) | instskip(NEXT) | instid1(VALU_DEP_1)
	v_add3_u32 v3, v3, v4, v5
	v_lshlrev_b64 v[2:3], 3, v[2:3]
	s_delay_alu instid0(VALU_DEP_1) | instskip(NEXT) | instid1(VALU_DEP_2)
	v_add_co_u32 v2, vcc_lo, s18, v2
	v_add_co_ci_u32_e32 v3, vcc_lo, s19, v3, vcc_lo
	s_delay_alu instid0(VALU_DEP_2) | instskip(NEXT) | instid1(VALU_DEP_2)
	v_add_co_u32 v0, vcc_lo, v2, v0
	v_add_co_ci_u32_e32 v1, vcc_lo, v3, v1, vcc_lo
	global_load_b64 v[2:3], v[0:1], off
	s_waitcnt vmcnt(0)
	v_mul_f64 v[2:3], v[2:3], s[16:17]
	s_delay_alu instid0(VALU_DEP_1)
	v_fma_f64 v[2:3], v[8:9], s[6:7], v[2:3]
	global_store_b64 v[0:1], v[2:3], off
.LBB1519_10:
	s_nop 0
	s_sendmsg sendmsg(MSG_DEALLOC_VGPRS)
	s_endpgm
	.section	.rodata,"a",@progbits
	.p2align	6, 0x0
	.amdhsa_kernel _ZL32rocblas_syrkx_herkx_small_kernelIldLi16ELb0ELb0ELc84ELc76EKPKdKPdEviT_T0_PT6_S5_lS8_S5_lS6_PT7_S5_li
		.amdhsa_group_segment_fixed_size 4096
		.amdhsa_private_segment_fixed_size 0
		.amdhsa_kernarg_size 108
		.amdhsa_user_sgpr_count 13
		.amdhsa_user_sgpr_dispatch_ptr 0
		.amdhsa_user_sgpr_queue_ptr 0
		.amdhsa_user_sgpr_kernarg_segment_ptr 1
		.amdhsa_user_sgpr_dispatch_id 0
		.amdhsa_user_sgpr_private_segment_size 0
		.amdhsa_wavefront_size32 1
		.amdhsa_uses_dynamic_stack 0
		.amdhsa_enable_private_segment 0
		.amdhsa_system_sgpr_workgroup_id_x 1
		.amdhsa_system_sgpr_workgroup_id_y 1
		.amdhsa_system_sgpr_workgroup_id_z 1
		.amdhsa_system_sgpr_workgroup_info 0
		.amdhsa_system_vgpr_workitem_id 1
		.amdhsa_next_free_vgpr 30
		.amdhsa_next_free_sgpr 24
		.amdhsa_reserve_vcc 1
		.amdhsa_float_round_mode_32 0
		.amdhsa_float_round_mode_16_64 0
		.amdhsa_float_denorm_mode_32 3
		.amdhsa_float_denorm_mode_16_64 3
		.amdhsa_dx10_clamp 1
		.amdhsa_ieee_mode 1
		.amdhsa_fp16_overflow 0
		.amdhsa_workgroup_processor_mode 1
		.amdhsa_memory_ordered 1
		.amdhsa_forward_progress 0
		.amdhsa_shared_vgpr_count 0
		.amdhsa_exception_fp_ieee_invalid_op 0
		.amdhsa_exception_fp_denorm_src 0
		.amdhsa_exception_fp_ieee_div_zero 0
		.amdhsa_exception_fp_ieee_overflow 0
		.amdhsa_exception_fp_ieee_underflow 0
		.amdhsa_exception_fp_ieee_inexact 0
		.amdhsa_exception_int_div_zero 0
	.end_amdhsa_kernel
	.section	.text._ZL32rocblas_syrkx_herkx_small_kernelIldLi16ELb0ELb0ELc84ELc76EKPKdKPdEviT_T0_PT6_S5_lS8_S5_lS6_PT7_S5_li,"axG",@progbits,_ZL32rocblas_syrkx_herkx_small_kernelIldLi16ELb0ELb0ELc84ELc76EKPKdKPdEviT_T0_PT6_S5_lS8_S5_lS6_PT7_S5_li,comdat
.Lfunc_end1519:
	.size	_ZL32rocblas_syrkx_herkx_small_kernelIldLi16ELb0ELb0ELc84ELc76EKPKdKPdEviT_T0_PT6_S5_lS8_S5_lS6_PT7_S5_li, .Lfunc_end1519-_ZL32rocblas_syrkx_herkx_small_kernelIldLi16ELb0ELb0ELc84ELc76EKPKdKPdEviT_T0_PT6_S5_lS8_S5_lS6_PT7_S5_li
                                        ; -- End function
	.section	.AMDGPU.csdata,"",@progbits
; Kernel info:
; codeLenInByte = 1112
; NumSgprs: 26
; NumVgprs: 30
; ScratchSize: 0
; MemoryBound: 0
; FloatMode: 240
; IeeeMode: 1
; LDSByteSize: 4096 bytes/workgroup (compile time only)
; SGPRBlocks: 3
; VGPRBlocks: 3
; NumSGPRsForWavesPerEU: 26
; NumVGPRsForWavesPerEU: 30
; Occupancy: 16
; WaveLimiterHint : 1
; COMPUTE_PGM_RSRC2:SCRATCH_EN: 0
; COMPUTE_PGM_RSRC2:USER_SGPR: 13
; COMPUTE_PGM_RSRC2:TRAP_HANDLER: 0
; COMPUTE_PGM_RSRC2:TGID_X_EN: 1
; COMPUTE_PGM_RSRC2:TGID_Y_EN: 1
; COMPUTE_PGM_RSRC2:TGID_Z_EN: 1
; COMPUTE_PGM_RSRC2:TIDIG_COMP_CNT: 1
	.section	.text._ZL32rocblas_syrkx_herkx_small_kernelIldLi16ELb0ELb0ELc67ELc76EKPKdKPdEviT_T0_PT6_S5_lS8_S5_lS6_PT7_S5_li,"axG",@progbits,_ZL32rocblas_syrkx_herkx_small_kernelIldLi16ELb0ELb0ELc67ELc76EKPKdKPdEviT_T0_PT6_S5_lS8_S5_lS6_PT7_S5_li,comdat
	.globl	_ZL32rocblas_syrkx_herkx_small_kernelIldLi16ELb0ELb0ELc67ELc76EKPKdKPdEviT_T0_PT6_S5_lS8_S5_lS6_PT7_S5_li ; -- Begin function _ZL32rocblas_syrkx_herkx_small_kernelIldLi16ELb0ELb0ELc67ELc76EKPKdKPdEviT_T0_PT6_S5_lS8_S5_lS6_PT7_S5_li
	.p2align	8
	.type	_ZL32rocblas_syrkx_herkx_small_kernelIldLi16ELb0ELb0ELc67ELc76EKPKdKPdEviT_T0_PT6_S5_lS8_S5_lS6_PT7_S5_li,@function
_ZL32rocblas_syrkx_herkx_small_kernelIldLi16ELb0ELb0ELc67ELc76EKPKdKPdEviT_T0_PT6_S5_lS8_S5_lS6_PT7_S5_li: ; @_ZL32rocblas_syrkx_herkx_small_kernelIldLi16ELb0ELb0ELc67ELc76EKPKdKPdEviT_T0_PT6_S5_lS8_S5_lS6_PT7_S5_li
; %bb.0:
	s_clause 0x2
	s_load_b128 s[16:19], s[0:1], 0x48
	s_load_b256 s[4:11], s[0:1], 0x8
	s_load_b32 s3, s[0:1], 0x0
	s_mov_b32 s20, s15
	s_mov_b32 s21, 0
	v_and_b32_e32 v16, 0x3ff, v0
	s_lshl_b64 s[22:23], s[20:21], 3
	v_bfe_u32 v17, v0, 10, 10
	s_delay_alu instid0(VALU_DEP_2) | instskip(NEXT) | instid1(VALU_DEP_2)
	v_lshl_add_u32 v0, s13, 4, v16
	v_lshl_add_u32 v14, s14, 4, v17
	s_delay_alu instid0(VALU_DEP_2) | instskip(NEXT) | instid1(VALU_DEP_2)
	v_ashrrev_i32_e32 v1, 31, v0
	v_ashrrev_i32_e32 v15, 31, v14
	s_waitcnt lgkmcnt(0)
	s_add_u32 s18, s18, s22
	s_addc_u32 s19, s19, s23
	s_load_b64 s[20:21], s[0:1], 0x58
	s_load_b64 s[18:19], s[18:19], 0x0
	v_cmp_lt_i64_e64 s2, s[4:5], 1
	s_delay_alu instid0(VALU_DEP_1)
	s_and_b32 vcc_lo, exec_lo, s2
	v_cmp_gt_i32_e64 s2, s3, v0
	s_cbranch_vccnz .LBB1520_7
; %bb.1:
	s_load_b128 s[12:15], s[0:1], 0x30
	v_mul_lo_u32 v7, s10, v1
	v_mad_u64_u32 v[4:5], null, s10, v0, 0
	v_mul_lo_u32 v6, s11, v0
	v_lshlrev_b32_e32 v11, 3, v17
	v_lshlrev_b32_e32 v8, 7, v17
	v_cmp_gt_i32_e64 s0, s3, v14
	s_delay_alu instid0(VALU_DEP_4) | instskip(NEXT) | instid1(VALU_DEP_1)
	v_add3_u32 v5, v5, v7, v6
	v_lshlrev_b64 v[4:5], 3, v[4:5]
	s_waitcnt lgkmcnt(0)
	v_mul_lo_u32 v9, s15, v14
	v_mul_lo_u32 v10, s14, v15
	v_mad_u64_u32 v[2:3], null, s14, v14, 0
	s_add_u32 s10, s12, s22
	s_addc_u32 s11, s13, s23
	s_add_u32 s8, s8, s22
	s_load_b64 s[10:11], s[10:11], 0x0
	s_addc_u32 s9, s9, s23
	s_delay_alu instid0(VALU_DEP_1) | instskip(SKIP_1) | instid1(VALU_DEP_1)
	v_add3_u32 v3, v3, v10, v9
	s_load_b64 s[8:9], s[8:9], 0x0
	v_lshlrev_b64 v[6:7], 3, v[2:3]
	v_mov_b32_e32 v2, 0
	v_dual_mov_b32 v3, 0 :: v_dual_lshlrev_b32 v18, 3, v16
	v_add_nc_u32_e32 v19, 0x800, v8
	s_delay_alu instid0(VALU_DEP_2)
	v_add_co_u32 v6, vcc_lo, v6, v18
	v_add_co_ci_u32_e32 v7, vcc_lo, 0, v7, vcc_lo
	v_add_nc_u32_e32 v20, v18, v8
	v_add_co_u32 v8, vcc_lo, v4, v11
	v_add_co_ci_u32_e32 v9, vcc_lo, 0, v5, vcc_lo
	s_waitcnt lgkmcnt(0)
	v_add_co_u32 v4, vcc_lo, s10, v6
	v_add_co_ci_u32_e32 v5, vcc_lo, s11, v7, vcc_lo
	v_add_co_u32 v6, vcc_lo, s8, v8
	v_add_co_ci_u32_e32 v7, vcc_lo, s9, v9, vcc_lo
	v_dual_mov_b32 v9, v3 :: v_dual_mov_b32 v8, v2
	v_add_nc_u32_e32 v21, v19, v18
	s_mov_b64 s[8:9], 0
	s_branch .LBB1520_3
.LBB1520_2:                             ;   in Loop: Header=BB1520_3 Depth=1
	s_or_b32 exec_lo, exec_lo, s1
	s_waitcnt vmcnt(0)
	ds_store_b64 v21, v[12:13]
	s_waitcnt lgkmcnt(0)
	s_barrier
	buffer_gl0_inv
	ds_load_2addr_b64 v[10:13], v18 offset1:16
	ds_load_b128 v[22:25], v19
	ds_load_b128 v[26:29], v19 offset:16
	s_add_u32 s8, s8, 16
	s_addc_u32 s9, s9, 0
	v_add_co_u32 v4, vcc_lo, 0x80, v4
	v_cmp_ge_i64_e64 s1, s[8:9], s[4:5]
	v_add_co_ci_u32_e32 v5, vcc_lo, 0, v5, vcc_lo
	v_add_co_u32 v6, vcc_lo, 0x80, v6
	v_add_co_ci_u32_e32 v7, vcc_lo, 0, v7, vcc_lo
	s_delay_alu instid0(VALU_DEP_4) | instskip(SKIP_2) | instid1(VALU_DEP_1)
	s_and_b32 vcc_lo, exec_lo, s1
	s_waitcnt lgkmcnt(1)
	v_fma_f64 v[8:9], v[10:11], v[22:23], v[8:9]
	v_fma_f64 v[12:13], v[12:13], v[24:25], v[8:9]
	ds_load_2addr_b64 v[8:11], v18 offset0:32 offset1:48
	s_waitcnt lgkmcnt(0)
	v_fma_f64 v[8:9], v[8:9], v[26:27], v[12:13]
	s_delay_alu instid0(VALU_DEP_1)
	v_fma_f64 v[12:13], v[10:11], v[28:29], v[8:9]
	ds_load_2addr_b64 v[8:11], v18 offset0:64 offset1:80
	ds_load_b128 v[22:25], v19 offset:32
	ds_load_b128 v[26:29], v19 offset:48
	s_waitcnt lgkmcnt(1)
	v_fma_f64 v[8:9], v[8:9], v[22:23], v[12:13]
	s_delay_alu instid0(VALU_DEP_1) | instskip(SKIP_3) | instid1(VALU_DEP_1)
	v_fma_f64 v[12:13], v[10:11], v[24:25], v[8:9]
	ds_load_2addr_b64 v[8:11], v18 offset0:96 offset1:112
	s_waitcnt lgkmcnt(0)
	v_fma_f64 v[8:9], v[8:9], v[26:27], v[12:13]
	v_fma_f64 v[12:13], v[10:11], v[28:29], v[8:9]
	ds_load_2addr_b64 v[8:11], v18 offset0:128 offset1:144
	ds_load_b128 v[22:25], v19 offset:64
	ds_load_b128 v[26:29], v19 offset:80
	s_waitcnt lgkmcnt(1)
	v_fma_f64 v[8:9], v[8:9], v[22:23], v[12:13]
	s_delay_alu instid0(VALU_DEP_1) | instskip(SKIP_3) | instid1(VALU_DEP_1)
	v_fma_f64 v[12:13], v[10:11], v[24:25], v[8:9]
	ds_load_2addr_b64 v[8:11], v18 offset0:160 offset1:176
	s_waitcnt lgkmcnt(0)
	v_fma_f64 v[8:9], v[8:9], v[26:27], v[12:13]
	v_fma_f64 v[12:13], v[10:11], v[28:29], v[8:9]
	ds_load_2addr_b64 v[8:11], v18 offset0:192 offset1:208
	ds_load_b128 v[22:25], v19 offset:96
	ds_load_b128 v[26:29], v19 offset:112
	s_waitcnt lgkmcnt(1)
	v_fma_f64 v[8:9], v[8:9], v[22:23], v[12:13]
	s_delay_alu instid0(VALU_DEP_1)
	v_fma_f64 v[12:13], v[10:11], v[24:25], v[8:9]
	ds_load_2addr_b64 v[8:11], v18 offset0:224 offset1:240
	s_waitcnt lgkmcnt(0)
	s_barrier
	buffer_gl0_inv
	v_fma_f64 v[8:9], v[8:9], v[26:27], v[12:13]
	s_delay_alu instid0(VALU_DEP_1)
	v_fma_f64 v[8:9], v[10:11], v[28:29], v[8:9]
	s_cbranch_vccnz .LBB1520_8
.LBB1520_3:                             ; =>This Inner Loop Header: Depth=1
	v_add_co_u32 v10, s1, v17, s8
	s_delay_alu instid0(VALU_DEP_1) | instskip(NEXT) | instid1(VALU_DEP_1)
	v_add_co_ci_u32_e64 v11, null, 0, s9, s1
	v_cmp_gt_i64_e32 vcc_lo, s[4:5], v[10:11]
	v_dual_mov_b32 v11, v3 :: v_dual_mov_b32 v10, v2
	s_and_b32 s10, s2, vcc_lo
	s_delay_alu instid0(SALU_CYCLE_1)
	s_and_saveexec_b32 s1, s10
	s_cbranch_execz .LBB1520_5
; %bb.4:                                ;   in Loop: Header=BB1520_3 Depth=1
	global_load_b64 v[10:11], v[6:7], off
.LBB1520_5:                             ;   in Loop: Header=BB1520_3 Depth=1
	s_or_b32 exec_lo, exec_lo, s1
	v_add_co_u32 v12, s1, v16, s8
	s_delay_alu instid0(VALU_DEP_1)
	v_add_co_ci_u32_e64 v13, null, 0, s9, s1
	s_waitcnt vmcnt(0)
	ds_store_b64 v20, v[10:11]
	v_cmp_gt_i64_e32 vcc_lo, s[4:5], v[12:13]
	v_mov_b32_e32 v12, 0
	v_mov_b32_e32 v13, 0
	s_and_b32 s10, s0, vcc_lo
	s_delay_alu instid0(SALU_CYCLE_1)
	s_and_saveexec_b32 s1, s10
	s_cbranch_execz .LBB1520_2
; %bb.6:                                ;   in Loop: Header=BB1520_3 Depth=1
	global_load_b64 v[12:13], v[4:5], off
	s_branch .LBB1520_2
.LBB1520_7:
	v_mov_b32_e32 v8, 0
	v_mov_b32_e32 v9, 0
.LBB1520_8:
	v_cmp_le_i32_e32 vcc_lo, v14, v0
	v_cmp_gt_i32_e64 s0, s3, v0
	s_delay_alu instid0(VALU_DEP_1) | instskip(NEXT) | instid1(SALU_CYCLE_1)
	s_and_b32 s0, vcc_lo, s0
	s_and_saveexec_b32 s1, s0
	s_cbranch_execz .LBB1520_10
; %bb.9:
	s_waitcnt lgkmcnt(0)
	v_mul_lo_u32 v4, v14, s21
	v_mul_lo_u32 v5, v15, s20
	v_mad_u64_u32 v[2:3], null, v14, s20, 0
	v_lshlrev_b64 v[0:1], 3, v[0:1]
	s_delay_alu instid0(VALU_DEP_2) | instskip(NEXT) | instid1(VALU_DEP_1)
	v_add3_u32 v3, v3, v4, v5
	v_lshlrev_b64 v[2:3], 3, v[2:3]
	s_delay_alu instid0(VALU_DEP_1) | instskip(NEXT) | instid1(VALU_DEP_2)
	v_add_co_u32 v2, vcc_lo, s18, v2
	v_add_co_ci_u32_e32 v3, vcc_lo, s19, v3, vcc_lo
	s_delay_alu instid0(VALU_DEP_2) | instskip(NEXT) | instid1(VALU_DEP_2)
	v_add_co_u32 v0, vcc_lo, v2, v0
	v_add_co_ci_u32_e32 v1, vcc_lo, v3, v1, vcc_lo
	global_load_b64 v[2:3], v[0:1], off
	s_waitcnt vmcnt(0)
	v_mul_f64 v[2:3], v[2:3], s[16:17]
	s_delay_alu instid0(VALU_DEP_1)
	v_fma_f64 v[2:3], v[8:9], s[6:7], v[2:3]
	global_store_b64 v[0:1], v[2:3], off
.LBB1520_10:
	s_nop 0
	s_sendmsg sendmsg(MSG_DEALLOC_VGPRS)
	s_endpgm
	.section	.rodata,"a",@progbits
	.p2align	6, 0x0
	.amdhsa_kernel _ZL32rocblas_syrkx_herkx_small_kernelIldLi16ELb0ELb0ELc67ELc76EKPKdKPdEviT_T0_PT6_S5_lS8_S5_lS6_PT7_S5_li
		.amdhsa_group_segment_fixed_size 4096
		.amdhsa_private_segment_fixed_size 0
		.amdhsa_kernarg_size 108
		.amdhsa_user_sgpr_count 13
		.amdhsa_user_sgpr_dispatch_ptr 0
		.amdhsa_user_sgpr_queue_ptr 0
		.amdhsa_user_sgpr_kernarg_segment_ptr 1
		.amdhsa_user_sgpr_dispatch_id 0
		.amdhsa_user_sgpr_private_segment_size 0
		.amdhsa_wavefront_size32 1
		.amdhsa_uses_dynamic_stack 0
		.amdhsa_enable_private_segment 0
		.amdhsa_system_sgpr_workgroup_id_x 1
		.amdhsa_system_sgpr_workgroup_id_y 1
		.amdhsa_system_sgpr_workgroup_id_z 1
		.amdhsa_system_sgpr_workgroup_info 0
		.amdhsa_system_vgpr_workitem_id 1
		.amdhsa_next_free_vgpr 30
		.amdhsa_next_free_sgpr 24
		.amdhsa_reserve_vcc 1
		.amdhsa_float_round_mode_32 0
		.amdhsa_float_round_mode_16_64 0
		.amdhsa_float_denorm_mode_32 3
		.amdhsa_float_denorm_mode_16_64 3
		.amdhsa_dx10_clamp 1
		.amdhsa_ieee_mode 1
		.amdhsa_fp16_overflow 0
		.amdhsa_workgroup_processor_mode 1
		.amdhsa_memory_ordered 1
		.amdhsa_forward_progress 0
		.amdhsa_shared_vgpr_count 0
		.amdhsa_exception_fp_ieee_invalid_op 0
		.amdhsa_exception_fp_denorm_src 0
		.amdhsa_exception_fp_ieee_div_zero 0
		.amdhsa_exception_fp_ieee_overflow 0
		.amdhsa_exception_fp_ieee_underflow 0
		.amdhsa_exception_fp_ieee_inexact 0
		.amdhsa_exception_int_div_zero 0
	.end_amdhsa_kernel
	.section	.text._ZL32rocblas_syrkx_herkx_small_kernelIldLi16ELb0ELb0ELc67ELc76EKPKdKPdEviT_T0_PT6_S5_lS8_S5_lS6_PT7_S5_li,"axG",@progbits,_ZL32rocblas_syrkx_herkx_small_kernelIldLi16ELb0ELb0ELc67ELc76EKPKdKPdEviT_T0_PT6_S5_lS8_S5_lS6_PT7_S5_li,comdat
.Lfunc_end1520:
	.size	_ZL32rocblas_syrkx_herkx_small_kernelIldLi16ELb0ELb0ELc67ELc76EKPKdKPdEviT_T0_PT6_S5_lS8_S5_lS6_PT7_S5_li, .Lfunc_end1520-_ZL32rocblas_syrkx_herkx_small_kernelIldLi16ELb0ELb0ELc67ELc76EKPKdKPdEviT_T0_PT6_S5_lS8_S5_lS6_PT7_S5_li
                                        ; -- End function
	.section	.AMDGPU.csdata,"",@progbits
; Kernel info:
; codeLenInByte = 1112
; NumSgprs: 26
; NumVgprs: 30
; ScratchSize: 0
; MemoryBound: 0
; FloatMode: 240
; IeeeMode: 1
; LDSByteSize: 4096 bytes/workgroup (compile time only)
; SGPRBlocks: 3
; VGPRBlocks: 3
; NumSGPRsForWavesPerEU: 26
; NumVGPRsForWavesPerEU: 30
; Occupancy: 16
; WaveLimiterHint : 1
; COMPUTE_PGM_RSRC2:SCRATCH_EN: 0
; COMPUTE_PGM_RSRC2:USER_SGPR: 13
; COMPUTE_PGM_RSRC2:TRAP_HANDLER: 0
; COMPUTE_PGM_RSRC2:TGID_X_EN: 1
; COMPUTE_PGM_RSRC2:TGID_Y_EN: 1
; COMPUTE_PGM_RSRC2:TGID_Z_EN: 1
; COMPUTE_PGM_RSRC2:TIDIG_COMP_CNT: 1
	.section	.text._ZL32rocblas_syrkx_herkx_small_kernelIldLi16ELb0ELb0ELc78ELc76EKPKdKPdEviT_T0_PT6_S5_lS8_S5_lS6_PT7_S5_li,"axG",@progbits,_ZL32rocblas_syrkx_herkx_small_kernelIldLi16ELb0ELb0ELc78ELc76EKPKdKPdEviT_T0_PT6_S5_lS8_S5_lS6_PT7_S5_li,comdat
	.globl	_ZL32rocblas_syrkx_herkx_small_kernelIldLi16ELb0ELb0ELc78ELc76EKPKdKPdEviT_T0_PT6_S5_lS8_S5_lS6_PT7_S5_li ; -- Begin function _ZL32rocblas_syrkx_herkx_small_kernelIldLi16ELb0ELb0ELc78ELc76EKPKdKPdEviT_T0_PT6_S5_lS8_S5_lS6_PT7_S5_li
	.p2align	8
	.type	_ZL32rocblas_syrkx_herkx_small_kernelIldLi16ELb0ELb0ELc78ELc76EKPKdKPdEviT_T0_PT6_S5_lS8_S5_lS6_PT7_S5_li,@function
_ZL32rocblas_syrkx_herkx_small_kernelIldLi16ELb0ELb0ELc78ELc76EKPKdKPdEviT_T0_PT6_S5_lS8_S5_lS6_PT7_S5_li: ; @_ZL32rocblas_syrkx_herkx_small_kernelIldLi16ELb0ELb0ELc78ELc76EKPKdKPdEviT_T0_PT6_S5_lS8_S5_lS6_PT7_S5_li
; %bb.0:
	s_clause 0x2
	s_load_b128 s[16:19], s[0:1], 0x48
	s_load_b256 s[4:11], s[0:1], 0x8
	s_load_b32 s3, s[0:1], 0x0
	s_mov_b32 s20, s15
	s_mov_b32 s21, 0
	v_and_b32_e32 v16, 0x3ff, v0
	s_lshl_b64 s[22:23], s[20:21], 3
	v_bfe_u32 v17, v0, 10, 10
	s_delay_alu instid0(VALU_DEP_2) | instskip(NEXT) | instid1(VALU_DEP_2)
	v_lshl_add_u32 v0, s13, 4, v16
	v_lshl_add_u32 v2, s14, 4, v17
	s_delay_alu instid0(VALU_DEP_2) | instskip(NEXT) | instid1(VALU_DEP_2)
	v_ashrrev_i32_e32 v1, 31, v0
	v_ashrrev_i32_e32 v3, 31, v2
	s_waitcnt lgkmcnt(0)
	s_add_u32 s18, s18, s22
	s_addc_u32 s19, s19, s23
	s_load_b64 s[20:21], s[0:1], 0x58
	s_load_b64 s[18:19], s[18:19], 0x0
	v_cmp_lt_i64_e64 s2, s[4:5], 1
	s_delay_alu instid0(VALU_DEP_1)
	s_and_b32 vcc_lo, exec_lo, s2
	v_cmp_gt_i32_e64 s2, s3, v0
	s_cbranch_vccnz .LBB1521_7
; %bb.1:
	s_load_b128 s[12:15], s[0:1], 0x30
	v_mad_u64_u32 v[4:5], null, s10, v17, 0
	v_lshlrev_b64 v[12:13], 3, v[0:1]
	v_cmp_gt_i32_e64 s0, s3, v2
	s_waitcnt lgkmcnt(0)
	v_mad_u64_u32 v[6:7], null, s14, v16, 0
	v_lshlrev_b32_e32 v14, 7, v17
	s_add_u32 s12, s12, s22
	s_addc_u32 s13, s13, s23
	s_add_u32 s8, s8, s22
	s_addc_u32 s9, s9, s23
	s_load_b64 s[12:13], s[12:13], 0x0
	s_delay_alu instid0(VALU_DEP_2)
	v_mad_u64_u32 v[8:9], null, s11, v17, v[5:6]
	v_mov_b32_e32 v5, v7
	s_load_b64 s[8:9], s[8:9], 0x0
	v_lshlrev_b32_e32 v18, 3, v16
	v_add_nc_u32_e32 v19, 0x800, v14
	s_lshl_b64 s[10:11], s[10:11], 7
	v_mad_u64_u32 v[9:10], null, s15, v16, v[5:6]
	v_mov_b32_e32 v5, v8
	v_lshlrev_b64 v[10:11], 3, v[2:3]
	s_delay_alu instid0(VALU_DEP_3) | instskip(NEXT) | instid1(VALU_DEP_3)
	v_dual_mov_b32 v7, v9 :: v_dual_add_nc_u32 v20, v18, v14
	v_lshlrev_b64 v[8:9], 3, v[4:5]
	v_mov_b32_e32 v4, 0
	v_mov_b32_e32 v5, 0
	v_add_nc_u32_e32 v21, v19, v18
	v_lshlrev_b64 v[6:7], 3, v[6:7]
	v_add_co_u32 v8, vcc_lo, v8, v12
	v_add_co_ci_u32_e32 v9, vcc_lo, v9, v13, vcc_lo
	s_delay_alu instid0(VALU_DEP_3) | instskip(NEXT) | instid1(VALU_DEP_4)
	v_add_co_u32 v10, vcc_lo, v6, v10
	v_add_co_ci_u32_e32 v11, vcc_lo, v7, v11, vcc_lo
	s_waitcnt lgkmcnt(0)
	v_add_co_u32 v6, vcc_lo, s8, v8
	v_add_co_ci_u32_e32 v7, vcc_lo, s9, v9, vcc_lo
	v_add_co_u32 v8, vcc_lo, s12, v10
	v_add_co_ci_u32_e32 v9, vcc_lo, s13, v11, vcc_lo
	v_dual_mov_b32 v11, v5 :: v_dual_mov_b32 v10, v4
	s_lshl_b64 s[8:9], s[14:15], 7
	s_mov_b64 s[12:13], 0
	s_branch .LBB1521_3
.LBB1521_2:                             ;   in Loop: Header=BB1521_3 Depth=1
	s_or_b32 exec_lo, exec_lo, s1
	s_waitcnt vmcnt(0)
	ds_store_b64 v21, v[14:15]
	s_waitcnt lgkmcnt(0)
	s_barrier
	buffer_gl0_inv
	ds_load_2addr_b64 v[12:15], v18 offset1:16
	ds_load_b128 v[22:25], v19
	ds_load_b128 v[26:29], v19 offset:16
	s_add_u32 s12, s12, 16
	s_addc_u32 s13, s13, 0
	v_add_co_u32 v8, vcc_lo, v8, s8
	v_cmp_ge_i64_e64 s1, s[12:13], s[4:5]
	v_add_co_ci_u32_e32 v9, vcc_lo, s9, v9, vcc_lo
	v_add_co_u32 v6, vcc_lo, v6, s10
	v_add_co_ci_u32_e32 v7, vcc_lo, s11, v7, vcc_lo
	s_delay_alu instid0(VALU_DEP_4) | instskip(SKIP_2) | instid1(VALU_DEP_1)
	s_and_b32 vcc_lo, exec_lo, s1
	s_waitcnt lgkmcnt(1)
	v_fma_f64 v[10:11], v[12:13], v[22:23], v[10:11]
	v_fma_f64 v[14:15], v[14:15], v[24:25], v[10:11]
	ds_load_2addr_b64 v[10:13], v18 offset0:32 offset1:48
	s_waitcnt lgkmcnt(0)
	v_fma_f64 v[10:11], v[10:11], v[26:27], v[14:15]
	s_delay_alu instid0(VALU_DEP_1)
	v_fma_f64 v[14:15], v[12:13], v[28:29], v[10:11]
	ds_load_2addr_b64 v[10:13], v18 offset0:64 offset1:80
	ds_load_b128 v[22:25], v19 offset:32
	ds_load_b128 v[26:29], v19 offset:48
	s_waitcnt lgkmcnt(1)
	v_fma_f64 v[10:11], v[10:11], v[22:23], v[14:15]
	s_delay_alu instid0(VALU_DEP_1) | instskip(SKIP_3) | instid1(VALU_DEP_1)
	v_fma_f64 v[14:15], v[12:13], v[24:25], v[10:11]
	ds_load_2addr_b64 v[10:13], v18 offset0:96 offset1:112
	s_waitcnt lgkmcnt(0)
	v_fma_f64 v[10:11], v[10:11], v[26:27], v[14:15]
	v_fma_f64 v[14:15], v[12:13], v[28:29], v[10:11]
	ds_load_2addr_b64 v[10:13], v18 offset0:128 offset1:144
	ds_load_b128 v[22:25], v19 offset:64
	ds_load_b128 v[26:29], v19 offset:80
	s_waitcnt lgkmcnt(1)
	v_fma_f64 v[10:11], v[10:11], v[22:23], v[14:15]
	s_delay_alu instid0(VALU_DEP_1) | instskip(SKIP_3) | instid1(VALU_DEP_1)
	v_fma_f64 v[14:15], v[12:13], v[24:25], v[10:11]
	ds_load_2addr_b64 v[10:13], v18 offset0:160 offset1:176
	s_waitcnt lgkmcnt(0)
	v_fma_f64 v[10:11], v[10:11], v[26:27], v[14:15]
	v_fma_f64 v[14:15], v[12:13], v[28:29], v[10:11]
	ds_load_2addr_b64 v[10:13], v18 offset0:192 offset1:208
	ds_load_b128 v[22:25], v19 offset:96
	ds_load_b128 v[26:29], v19 offset:112
	s_waitcnt lgkmcnt(1)
	v_fma_f64 v[10:11], v[10:11], v[22:23], v[14:15]
	s_delay_alu instid0(VALU_DEP_1)
	v_fma_f64 v[14:15], v[12:13], v[24:25], v[10:11]
	ds_load_2addr_b64 v[10:13], v18 offset0:224 offset1:240
	s_waitcnt lgkmcnt(0)
	s_barrier
	buffer_gl0_inv
	v_fma_f64 v[10:11], v[10:11], v[26:27], v[14:15]
	s_delay_alu instid0(VALU_DEP_1)
	v_fma_f64 v[10:11], v[12:13], v[28:29], v[10:11]
	s_cbranch_vccnz .LBB1521_8
.LBB1521_3:                             ; =>This Inner Loop Header: Depth=1
	v_add_co_u32 v12, s1, v17, s12
	s_delay_alu instid0(VALU_DEP_1) | instskip(NEXT) | instid1(VALU_DEP_1)
	v_add_co_ci_u32_e64 v13, null, 0, s13, s1
	v_cmp_gt_i64_e32 vcc_lo, s[4:5], v[12:13]
	v_dual_mov_b32 v13, v5 :: v_dual_mov_b32 v12, v4
	s_and_b32 s14, s2, vcc_lo
	s_delay_alu instid0(SALU_CYCLE_1)
	s_and_saveexec_b32 s1, s14
	s_cbranch_execz .LBB1521_5
; %bb.4:                                ;   in Loop: Header=BB1521_3 Depth=1
	global_load_b64 v[12:13], v[6:7], off
.LBB1521_5:                             ;   in Loop: Header=BB1521_3 Depth=1
	s_or_b32 exec_lo, exec_lo, s1
	v_add_co_u32 v14, s1, v16, s12
	s_delay_alu instid0(VALU_DEP_1)
	v_add_co_ci_u32_e64 v15, null, 0, s13, s1
	s_waitcnt vmcnt(0)
	ds_store_b64 v20, v[12:13]
	v_cmp_gt_i64_e32 vcc_lo, s[4:5], v[14:15]
	v_mov_b32_e32 v14, 0
	v_mov_b32_e32 v15, 0
	s_and_b32 s14, s0, vcc_lo
	s_delay_alu instid0(SALU_CYCLE_1)
	s_and_saveexec_b32 s1, s14
	s_cbranch_execz .LBB1521_2
; %bb.6:                                ;   in Loop: Header=BB1521_3 Depth=1
	global_load_b64 v[14:15], v[8:9], off
	s_branch .LBB1521_2
.LBB1521_7:
	v_mov_b32_e32 v10, 0
	v_mov_b32_e32 v11, 0
.LBB1521_8:
	v_cmp_le_i32_e32 vcc_lo, v2, v0
	v_cmp_gt_i32_e64 s0, s3, v0
	s_delay_alu instid0(VALU_DEP_1) | instskip(NEXT) | instid1(SALU_CYCLE_1)
	s_and_b32 s0, vcc_lo, s0
	s_and_saveexec_b32 s1, s0
	s_cbranch_execz .LBB1521_10
; %bb.9:
	s_waitcnt lgkmcnt(0)
	v_mul_lo_u32 v5, v2, s21
	v_mul_lo_u32 v6, v3, s20
	v_mad_u64_u32 v[3:4], null, v2, s20, 0
	v_lshlrev_b64 v[0:1], 3, v[0:1]
	s_delay_alu instid0(VALU_DEP_2) | instskip(NEXT) | instid1(VALU_DEP_1)
	v_add3_u32 v4, v4, v5, v6
	v_lshlrev_b64 v[2:3], 3, v[3:4]
	s_delay_alu instid0(VALU_DEP_1) | instskip(NEXT) | instid1(VALU_DEP_2)
	v_add_co_u32 v2, vcc_lo, s18, v2
	v_add_co_ci_u32_e32 v3, vcc_lo, s19, v3, vcc_lo
	s_delay_alu instid0(VALU_DEP_2) | instskip(NEXT) | instid1(VALU_DEP_2)
	v_add_co_u32 v0, vcc_lo, v2, v0
	v_add_co_ci_u32_e32 v1, vcc_lo, v3, v1, vcc_lo
	global_load_b64 v[2:3], v[0:1], off
	s_waitcnt vmcnt(0)
	v_mul_f64 v[2:3], v[2:3], s[16:17]
	s_delay_alu instid0(VALU_DEP_1)
	v_fma_f64 v[2:3], v[10:11], s[6:7], v[2:3]
	global_store_b64 v[0:1], v[2:3], off
.LBB1521_10:
	s_nop 0
	s_sendmsg sendmsg(MSG_DEALLOC_VGPRS)
	s_endpgm
	.section	.rodata,"a",@progbits
	.p2align	6, 0x0
	.amdhsa_kernel _ZL32rocblas_syrkx_herkx_small_kernelIldLi16ELb0ELb0ELc78ELc76EKPKdKPdEviT_T0_PT6_S5_lS8_S5_lS6_PT7_S5_li
		.amdhsa_group_segment_fixed_size 4096
		.amdhsa_private_segment_fixed_size 0
		.amdhsa_kernarg_size 108
		.amdhsa_user_sgpr_count 13
		.amdhsa_user_sgpr_dispatch_ptr 0
		.amdhsa_user_sgpr_queue_ptr 0
		.amdhsa_user_sgpr_kernarg_segment_ptr 1
		.amdhsa_user_sgpr_dispatch_id 0
		.amdhsa_user_sgpr_private_segment_size 0
		.amdhsa_wavefront_size32 1
		.amdhsa_uses_dynamic_stack 0
		.amdhsa_enable_private_segment 0
		.amdhsa_system_sgpr_workgroup_id_x 1
		.amdhsa_system_sgpr_workgroup_id_y 1
		.amdhsa_system_sgpr_workgroup_id_z 1
		.amdhsa_system_sgpr_workgroup_info 0
		.amdhsa_system_vgpr_workitem_id 1
		.amdhsa_next_free_vgpr 30
		.amdhsa_next_free_sgpr 24
		.amdhsa_reserve_vcc 1
		.amdhsa_float_round_mode_32 0
		.amdhsa_float_round_mode_16_64 0
		.amdhsa_float_denorm_mode_32 3
		.amdhsa_float_denorm_mode_16_64 3
		.amdhsa_dx10_clamp 1
		.amdhsa_ieee_mode 1
		.amdhsa_fp16_overflow 0
		.amdhsa_workgroup_processor_mode 1
		.amdhsa_memory_ordered 1
		.amdhsa_forward_progress 0
		.amdhsa_shared_vgpr_count 0
		.amdhsa_exception_fp_ieee_invalid_op 0
		.amdhsa_exception_fp_denorm_src 0
		.amdhsa_exception_fp_ieee_div_zero 0
		.amdhsa_exception_fp_ieee_overflow 0
		.amdhsa_exception_fp_ieee_underflow 0
		.amdhsa_exception_fp_ieee_inexact 0
		.amdhsa_exception_int_div_zero 0
	.end_amdhsa_kernel
	.section	.text._ZL32rocblas_syrkx_herkx_small_kernelIldLi16ELb0ELb0ELc78ELc76EKPKdKPdEviT_T0_PT6_S5_lS8_S5_lS6_PT7_S5_li,"axG",@progbits,_ZL32rocblas_syrkx_herkx_small_kernelIldLi16ELb0ELb0ELc78ELc76EKPKdKPdEviT_T0_PT6_S5_lS8_S5_lS6_PT7_S5_li,comdat
.Lfunc_end1521:
	.size	_ZL32rocblas_syrkx_herkx_small_kernelIldLi16ELb0ELb0ELc78ELc76EKPKdKPdEviT_T0_PT6_S5_lS8_S5_lS6_PT7_S5_li, .Lfunc_end1521-_ZL32rocblas_syrkx_herkx_small_kernelIldLi16ELb0ELb0ELc78ELc76EKPKdKPdEviT_T0_PT6_S5_lS8_S5_lS6_PT7_S5_li
                                        ; -- End function
	.section	.AMDGPU.csdata,"",@progbits
; Kernel info:
; codeLenInByte = 1104
; NumSgprs: 26
; NumVgprs: 30
; ScratchSize: 0
; MemoryBound: 0
; FloatMode: 240
; IeeeMode: 1
; LDSByteSize: 4096 bytes/workgroup (compile time only)
; SGPRBlocks: 3
; VGPRBlocks: 3
; NumSGPRsForWavesPerEU: 26
; NumVGPRsForWavesPerEU: 30
; Occupancy: 16
; WaveLimiterHint : 1
; COMPUTE_PGM_RSRC2:SCRATCH_EN: 0
; COMPUTE_PGM_RSRC2:USER_SGPR: 13
; COMPUTE_PGM_RSRC2:TRAP_HANDLER: 0
; COMPUTE_PGM_RSRC2:TGID_X_EN: 1
; COMPUTE_PGM_RSRC2:TGID_Y_EN: 1
; COMPUTE_PGM_RSRC2:TGID_Z_EN: 1
; COMPUTE_PGM_RSRC2:TIDIG_COMP_CNT: 1
	.section	.text._ZL32rocblas_syrkx_herkx_small_kernelIldLi16ELb0ELb0ELc84ELc85EKPKdKPdEviT_T0_PT6_S5_lS8_S5_lS6_PT7_S5_li,"axG",@progbits,_ZL32rocblas_syrkx_herkx_small_kernelIldLi16ELb0ELb0ELc84ELc85EKPKdKPdEviT_T0_PT6_S5_lS8_S5_lS6_PT7_S5_li,comdat
	.globl	_ZL32rocblas_syrkx_herkx_small_kernelIldLi16ELb0ELb0ELc84ELc85EKPKdKPdEviT_T0_PT6_S5_lS8_S5_lS6_PT7_S5_li ; -- Begin function _ZL32rocblas_syrkx_herkx_small_kernelIldLi16ELb0ELb0ELc84ELc85EKPKdKPdEviT_T0_PT6_S5_lS8_S5_lS6_PT7_S5_li
	.p2align	8
	.type	_ZL32rocblas_syrkx_herkx_small_kernelIldLi16ELb0ELb0ELc84ELc85EKPKdKPdEviT_T0_PT6_S5_lS8_S5_lS6_PT7_S5_li,@function
_ZL32rocblas_syrkx_herkx_small_kernelIldLi16ELb0ELb0ELc84ELc85EKPKdKPdEviT_T0_PT6_S5_lS8_S5_lS6_PT7_S5_li: ; @_ZL32rocblas_syrkx_herkx_small_kernelIldLi16ELb0ELb0ELc84ELc85EKPKdKPdEviT_T0_PT6_S5_lS8_S5_lS6_PT7_S5_li
; %bb.0:
	s_clause 0x1
	s_load_b128 s[16:19], s[0:1], 0x48
	s_load_b256 s[4:11], s[0:1], 0x8
	s_mov_b32 s20, s15
	s_mov_b32 s21, 0
	s_load_b32 s3, s[0:1], 0x0
	s_lshl_b64 s[22:23], s[20:21], 3
	v_and_b32_e32 v16, 0x3ff, v0
	v_bfe_u32 v17, v0, 10, 10
	s_delay_alu instid0(VALU_DEP_2) | instskip(NEXT) | instid1(VALU_DEP_2)
	v_lshl_add_u32 v0, s13, 4, v16
	v_lshl_add_u32 v14, s14, 4, v17
	s_delay_alu instid0(VALU_DEP_2) | instskip(NEXT) | instid1(VALU_DEP_2)
	v_ashrrev_i32_e32 v1, 31, v0
	v_ashrrev_i32_e32 v15, 31, v14
	s_waitcnt lgkmcnt(0)
	s_add_u32 s18, s18, s22
	s_addc_u32 s19, s19, s23
	s_load_b64 s[20:21], s[0:1], 0x58
	s_load_b64 s[18:19], s[18:19], 0x0
	v_cmp_lt_i64_e64 s2, s[4:5], 1
	s_delay_alu instid0(VALU_DEP_1)
	s_and_b32 vcc_lo, exec_lo, s2
	v_cmp_gt_i32_e64 s2, s3, v14
	s_cbranch_vccnz .LBB1522_7
; %bb.1:
	s_load_b128 s[12:15], s[0:1], 0x30
	v_mul_lo_u32 v7, s10, v1
	v_mad_u64_u32 v[4:5], null, s10, v0, 0
	v_mul_lo_u32 v6, s11, v0
	v_lshlrev_b32_e32 v11, 3, v17
	v_lshlrev_b32_e32 v8, 7, v17
	v_cmp_gt_i32_e64 s0, s3, v0
	s_delay_alu instid0(VALU_DEP_4) | instskip(NEXT) | instid1(VALU_DEP_1)
	v_add3_u32 v5, v5, v7, v6
	v_lshlrev_b64 v[4:5], 3, v[4:5]
	s_waitcnt lgkmcnt(0)
	v_mul_lo_u32 v9, s15, v14
	v_mul_lo_u32 v10, s14, v15
	v_mad_u64_u32 v[2:3], null, s14, v14, 0
	s_add_u32 s10, s12, s22
	s_addc_u32 s11, s13, s23
	s_add_u32 s8, s8, s22
	s_load_b64 s[10:11], s[10:11], 0x0
	s_addc_u32 s9, s9, s23
	s_delay_alu instid0(VALU_DEP_1) | instskip(SKIP_1) | instid1(VALU_DEP_1)
	v_add3_u32 v3, v3, v10, v9
	s_load_b64 s[8:9], s[8:9], 0x0
	v_lshlrev_b64 v[6:7], 3, v[2:3]
	v_mov_b32_e32 v2, 0
	v_dual_mov_b32 v3, 0 :: v_dual_lshlrev_b32 v18, 3, v16
	v_add_nc_u32_e32 v19, 0x800, v8
	s_delay_alu instid0(VALU_DEP_2)
	v_add_co_u32 v6, vcc_lo, v6, v18
	v_add_co_ci_u32_e32 v7, vcc_lo, 0, v7, vcc_lo
	v_add_nc_u32_e32 v20, v18, v8
	v_add_co_u32 v8, vcc_lo, v4, v11
	v_add_co_ci_u32_e32 v9, vcc_lo, 0, v5, vcc_lo
	s_waitcnt lgkmcnt(0)
	v_add_co_u32 v4, vcc_lo, s10, v6
	v_add_co_ci_u32_e32 v5, vcc_lo, s11, v7, vcc_lo
	v_add_co_u32 v6, vcc_lo, s8, v8
	v_add_co_ci_u32_e32 v7, vcc_lo, s9, v9, vcc_lo
	v_dual_mov_b32 v9, v3 :: v_dual_mov_b32 v8, v2
	v_add_nc_u32_e32 v21, v19, v18
	s_mov_b64 s[8:9], 0
	s_branch .LBB1522_3
.LBB1522_2:                             ;   in Loop: Header=BB1522_3 Depth=1
	s_or_b32 exec_lo, exec_lo, s1
	s_waitcnt vmcnt(0)
	ds_store_b64 v21, v[12:13]
	s_waitcnt lgkmcnt(0)
	s_barrier
	buffer_gl0_inv
	ds_load_2addr_b64 v[10:13], v18 offset1:16
	ds_load_b128 v[22:25], v19
	ds_load_b128 v[26:29], v19 offset:16
	s_add_u32 s8, s8, 16
	s_addc_u32 s9, s9, 0
	v_add_co_u32 v4, vcc_lo, 0x80, v4
	v_cmp_ge_i64_e64 s1, s[8:9], s[4:5]
	v_add_co_ci_u32_e32 v5, vcc_lo, 0, v5, vcc_lo
	v_add_co_u32 v6, vcc_lo, 0x80, v6
	v_add_co_ci_u32_e32 v7, vcc_lo, 0, v7, vcc_lo
	s_delay_alu instid0(VALU_DEP_4) | instskip(SKIP_2) | instid1(VALU_DEP_1)
	s_and_b32 vcc_lo, exec_lo, s1
	s_waitcnt lgkmcnt(1)
	v_fma_f64 v[8:9], v[10:11], v[22:23], v[8:9]
	v_fma_f64 v[12:13], v[12:13], v[24:25], v[8:9]
	ds_load_2addr_b64 v[8:11], v18 offset0:32 offset1:48
	s_waitcnt lgkmcnt(0)
	v_fma_f64 v[8:9], v[8:9], v[26:27], v[12:13]
	s_delay_alu instid0(VALU_DEP_1)
	v_fma_f64 v[12:13], v[10:11], v[28:29], v[8:9]
	ds_load_2addr_b64 v[8:11], v18 offset0:64 offset1:80
	ds_load_b128 v[22:25], v19 offset:32
	ds_load_b128 v[26:29], v19 offset:48
	s_waitcnt lgkmcnt(1)
	v_fma_f64 v[8:9], v[8:9], v[22:23], v[12:13]
	s_delay_alu instid0(VALU_DEP_1) | instskip(SKIP_3) | instid1(VALU_DEP_1)
	v_fma_f64 v[12:13], v[10:11], v[24:25], v[8:9]
	ds_load_2addr_b64 v[8:11], v18 offset0:96 offset1:112
	s_waitcnt lgkmcnt(0)
	v_fma_f64 v[8:9], v[8:9], v[26:27], v[12:13]
	v_fma_f64 v[12:13], v[10:11], v[28:29], v[8:9]
	ds_load_2addr_b64 v[8:11], v18 offset0:128 offset1:144
	ds_load_b128 v[22:25], v19 offset:64
	ds_load_b128 v[26:29], v19 offset:80
	s_waitcnt lgkmcnt(1)
	v_fma_f64 v[8:9], v[8:9], v[22:23], v[12:13]
	s_delay_alu instid0(VALU_DEP_1) | instskip(SKIP_3) | instid1(VALU_DEP_1)
	v_fma_f64 v[12:13], v[10:11], v[24:25], v[8:9]
	ds_load_2addr_b64 v[8:11], v18 offset0:160 offset1:176
	s_waitcnt lgkmcnt(0)
	v_fma_f64 v[8:9], v[8:9], v[26:27], v[12:13]
	v_fma_f64 v[12:13], v[10:11], v[28:29], v[8:9]
	ds_load_2addr_b64 v[8:11], v18 offset0:192 offset1:208
	ds_load_b128 v[22:25], v19 offset:96
	ds_load_b128 v[26:29], v19 offset:112
	s_waitcnt lgkmcnt(1)
	v_fma_f64 v[8:9], v[8:9], v[22:23], v[12:13]
	s_delay_alu instid0(VALU_DEP_1)
	v_fma_f64 v[12:13], v[10:11], v[24:25], v[8:9]
	ds_load_2addr_b64 v[8:11], v18 offset0:224 offset1:240
	s_waitcnt lgkmcnt(0)
	s_barrier
	buffer_gl0_inv
	v_fma_f64 v[8:9], v[8:9], v[26:27], v[12:13]
	s_delay_alu instid0(VALU_DEP_1)
	v_fma_f64 v[8:9], v[10:11], v[28:29], v[8:9]
	s_cbranch_vccnz .LBB1522_8
.LBB1522_3:                             ; =>This Inner Loop Header: Depth=1
	v_add_co_u32 v10, s1, v17, s8
	s_delay_alu instid0(VALU_DEP_1) | instskip(NEXT) | instid1(VALU_DEP_1)
	v_add_co_ci_u32_e64 v11, null, 0, s9, s1
	v_cmp_gt_i64_e32 vcc_lo, s[4:5], v[10:11]
	v_dual_mov_b32 v11, v3 :: v_dual_mov_b32 v10, v2
	s_and_b32 s10, s0, vcc_lo
	s_delay_alu instid0(SALU_CYCLE_1)
	s_and_saveexec_b32 s1, s10
	s_cbranch_execz .LBB1522_5
; %bb.4:                                ;   in Loop: Header=BB1522_3 Depth=1
	global_load_b64 v[10:11], v[6:7], off
.LBB1522_5:                             ;   in Loop: Header=BB1522_3 Depth=1
	s_or_b32 exec_lo, exec_lo, s1
	v_add_co_u32 v12, s1, v16, s8
	s_delay_alu instid0(VALU_DEP_1)
	v_add_co_ci_u32_e64 v13, null, 0, s9, s1
	s_waitcnt vmcnt(0)
	ds_store_b64 v20, v[10:11]
	v_cmp_gt_i64_e32 vcc_lo, s[4:5], v[12:13]
	v_mov_b32_e32 v12, 0
	v_mov_b32_e32 v13, 0
	s_and_b32 s10, s2, vcc_lo
	s_delay_alu instid0(SALU_CYCLE_1)
	s_and_saveexec_b32 s1, s10
	s_cbranch_execz .LBB1522_2
; %bb.6:                                ;   in Loop: Header=BB1522_3 Depth=1
	global_load_b64 v[12:13], v[4:5], off
	s_branch .LBB1522_2
.LBB1522_7:
	v_mov_b32_e32 v8, 0
	v_mov_b32_e32 v9, 0
.LBB1522_8:
	v_cmp_le_i32_e32 vcc_lo, v0, v14
	v_cmp_gt_i32_e64 s0, s3, v14
	s_delay_alu instid0(VALU_DEP_1) | instskip(NEXT) | instid1(SALU_CYCLE_1)
	s_and_b32 s0, vcc_lo, s0
	s_and_saveexec_b32 s1, s0
	s_cbranch_execz .LBB1522_10
; %bb.9:
	s_waitcnt lgkmcnt(0)
	v_mul_lo_u32 v4, v14, s21
	v_mul_lo_u32 v5, v15, s20
	v_mad_u64_u32 v[2:3], null, v14, s20, 0
	v_lshlrev_b64 v[0:1], 3, v[0:1]
	s_delay_alu instid0(VALU_DEP_2) | instskip(NEXT) | instid1(VALU_DEP_1)
	v_add3_u32 v3, v3, v4, v5
	v_lshlrev_b64 v[2:3], 3, v[2:3]
	s_delay_alu instid0(VALU_DEP_1) | instskip(NEXT) | instid1(VALU_DEP_2)
	v_add_co_u32 v2, vcc_lo, s18, v2
	v_add_co_ci_u32_e32 v3, vcc_lo, s19, v3, vcc_lo
	s_delay_alu instid0(VALU_DEP_2) | instskip(NEXT) | instid1(VALU_DEP_2)
	v_add_co_u32 v0, vcc_lo, v2, v0
	v_add_co_ci_u32_e32 v1, vcc_lo, v3, v1, vcc_lo
	global_load_b64 v[2:3], v[0:1], off
	s_waitcnt vmcnt(0)
	v_mul_f64 v[2:3], v[2:3], s[16:17]
	s_delay_alu instid0(VALU_DEP_1)
	v_fma_f64 v[2:3], v[8:9], s[6:7], v[2:3]
	global_store_b64 v[0:1], v[2:3], off
.LBB1522_10:
	s_nop 0
	s_sendmsg sendmsg(MSG_DEALLOC_VGPRS)
	s_endpgm
	.section	.rodata,"a",@progbits
	.p2align	6, 0x0
	.amdhsa_kernel _ZL32rocblas_syrkx_herkx_small_kernelIldLi16ELb0ELb0ELc84ELc85EKPKdKPdEviT_T0_PT6_S5_lS8_S5_lS6_PT7_S5_li
		.amdhsa_group_segment_fixed_size 4096
		.amdhsa_private_segment_fixed_size 0
		.amdhsa_kernarg_size 108
		.amdhsa_user_sgpr_count 13
		.amdhsa_user_sgpr_dispatch_ptr 0
		.amdhsa_user_sgpr_queue_ptr 0
		.amdhsa_user_sgpr_kernarg_segment_ptr 1
		.amdhsa_user_sgpr_dispatch_id 0
		.amdhsa_user_sgpr_private_segment_size 0
		.amdhsa_wavefront_size32 1
		.amdhsa_uses_dynamic_stack 0
		.amdhsa_enable_private_segment 0
		.amdhsa_system_sgpr_workgroup_id_x 1
		.amdhsa_system_sgpr_workgroup_id_y 1
		.amdhsa_system_sgpr_workgroup_id_z 1
		.amdhsa_system_sgpr_workgroup_info 0
		.amdhsa_system_vgpr_workitem_id 1
		.amdhsa_next_free_vgpr 30
		.amdhsa_next_free_sgpr 24
		.amdhsa_reserve_vcc 1
		.amdhsa_float_round_mode_32 0
		.amdhsa_float_round_mode_16_64 0
		.amdhsa_float_denorm_mode_32 3
		.amdhsa_float_denorm_mode_16_64 3
		.amdhsa_dx10_clamp 1
		.amdhsa_ieee_mode 1
		.amdhsa_fp16_overflow 0
		.amdhsa_workgroup_processor_mode 1
		.amdhsa_memory_ordered 1
		.amdhsa_forward_progress 0
		.amdhsa_shared_vgpr_count 0
		.amdhsa_exception_fp_ieee_invalid_op 0
		.amdhsa_exception_fp_denorm_src 0
		.amdhsa_exception_fp_ieee_div_zero 0
		.amdhsa_exception_fp_ieee_overflow 0
		.amdhsa_exception_fp_ieee_underflow 0
		.amdhsa_exception_fp_ieee_inexact 0
		.amdhsa_exception_int_div_zero 0
	.end_amdhsa_kernel
	.section	.text._ZL32rocblas_syrkx_herkx_small_kernelIldLi16ELb0ELb0ELc84ELc85EKPKdKPdEviT_T0_PT6_S5_lS8_S5_lS6_PT7_S5_li,"axG",@progbits,_ZL32rocblas_syrkx_herkx_small_kernelIldLi16ELb0ELb0ELc84ELc85EKPKdKPdEviT_T0_PT6_S5_lS8_S5_lS6_PT7_S5_li,comdat
.Lfunc_end1522:
	.size	_ZL32rocblas_syrkx_herkx_small_kernelIldLi16ELb0ELb0ELc84ELc85EKPKdKPdEviT_T0_PT6_S5_lS8_S5_lS6_PT7_S5_li, .Lfunc_end1522-_ZL32rocblas_syrkx_herkx_small_kernelIldLi16ELb0ELb0ELc84ELc85EKPKdKPdEviT_T0_PT6_S5_lS8_S5_lS6_PT7_S5_li
                                        ; -- End function
	.section	.AMDGPU.csdata,"",@progbits
; Kernel info:
; codeLenInByte = 1112
; NumSgprs: 26
; NumVgprs: 30
; ScratchSize: 0
; MemoryBound: 0
; FloatMode: 240
; IeeeMode: 1
; LDSByteSize: 4096 bytes/workgroup (compile time only)
; SGPRBlocks: 3
; VGPRBlocks: 3
; NumSGPRsForWavesPerEU: 26
; NumVGPRsForWavesPerEU: 30
; Occupancy: 16
; WaveLimiterHint : 1
; COMPUTE_PGM_RSRC2:SCRATCH_EN: 0
; COMPUTE_PGM_RSRC2:USER_SGPR: 13
; COMPUTE_PGM_RSRC2:TRAP_HANDLER: 0
; COMPUTE_PGM_RSRC2:TGID_X_EN: 1
; COMPUTE_PGM_RSRC2:TGID_Y_EN: 1
; COMPUTE_PGM_RSRC2:TGID_Z_EN: 1
; COMPUTE_PGM_RSRC2:TIDIG_COMP_CNT: 1
	.section	.text._ZL32rocblas_syrkx_herkx_small_kernelIldLi16ELb0ELb0ELc67ELc85EKPKdKPdEviT_T0_PT6_S5_lS8_S5_lS6_PT7_S5_li,"axG",@progbits,_ZL32rocblas_syrkx_herkx_small_kernelIldLi16ELb0ELb0ELc67ELc85EKPKdKPdEviT_T0_PT6_S5_lS8_S5_lS6_PT7_S5_li,comdat
	.globl	_ZL32rocblas_syrkx_herkx_small_kernelIldLi16ELb0ELb0ELc67ELc85EKPKdKPdEviT_T0_PT6_S5_lS8_S5_lS6_PT7_S5_li ; -- Begin function _ZL32rocblas_syrkx_herkx_small_kernelIldLi16ELb0ELb0ELc67ELc85EKPKdKPdEviT_T0_PT6_S5_lS8_S5_lS6_PT7_S5_li
	.p2align	8
	.type	_ZL32rocblas_syrkx_herkx_small_kernelIldLi16ELb0ELb0ELc67ELc85EKPKdKPdEviT_T0_PT6_S5_lS8_S5_lS6_PT7_S5_li,@function
_ZL32rocblas_syrkx_herkx_small_kernelIldLi16ELb0ELb0ELc67ELc85EKPKdKPdEviT_T0_PT6_S5_lS8_S5_lS6_PT7_S5_li: ; @_ZL32rocblas_syrkx_herkx_small_kernelIldLi16ELb0ELb0ELc67ELc85EKPKdKPdEviT_T0_PT6_S5_lS8_S5_lS6_PT7_S5_li
; %bb.0:
	s_clause 0x1
	s_load_b128 s[16:19], s[0:1], 0x48
	s_load_b256 s[4:11], s[0:1], 0x8
	s_mov_b32 s20, s15
	s_mov_b32 s21, 0
	s_load_b32 s3, s[0:1], 0x0
	s_lshl_b64 s[22:23], s[20:21], 3
	v_and_b32_e32 v16, 0x3ff, v0
	v_bfe_u32 v17, v0, 10, 10
	s_delay_alu instid0(VALU_DEP_2) | instskip(NEXT) | instid1(VALU_DEP_2)
	v_lshl_add_u32 v0, s13, 4, v16
	v_lshl_add_u32 v14, s14, 4, v17
	s_delay_alu instid0(VALU_DEP_2) | instskip(NEXT) | instid1(VALU_DEP_2)
	v_ashrrev_i32_e32 v1, 31, v0
	v_ashrrev_i32_e32 v15, 31, v14
	s_waitcnt lgkmcnt(0)
	s_add_u32 s18, s18, s22
	s_addc_u32 s19, s19, s23
	s_load_b64 s[20:21], s[0:1], 0x58
	s_load_b64 s[18:19], s[18:19], 0x0
	v_cmp_lt_i64_e64 s2, s[4:5], 1
	s_delay_alu instid0(VALU_DEP_1)
	s_and_b32 vcc_lo, exec_lo, s2
	v_cmp_gt_i32_e64 s2, s3, v14
	s_cbranch_vccnz .LBB1523_7
; %bb.1:
	s_load_b128 s[12:15], s[0:1], 0x30
	v_mul_lo_u32 v7, s10, v1
	v_mad_u64_u32 v[4:5], null, s10, v0, 0
	v_mul_lo_u32 v6, s11, v0
	v_lshlrev_b32_e32 v11, 3, v17
	v_lshlrev_b32_e32 v8, 7, v17
	v_cmp_gt_i32_e64 s0, s3, v0
	s_delay_alu instid0(VALU_DEP_4) | instskip(NEXT) | instid1(VALU_DEP_1)
	v_add3_u32 v5, v5, v7, v6
	v_lshlrev_b64 v[4:5], 3, v[4:5]
	s_waitcnt lgkmcnt(0)
	v_mul_lo_u32 v9, s15, v14
	v_mul_lo_u32 v10, s14, v15
	v_mad_u64_u32 v[2:3], null, s14, v14, 0
	s_add_u32 s10, s12, s22
	s_addc_u32 s11, s13, s23
	s_add_u32 s8, s8, s22
	s_load_b64 s[10:11], s[10:11], 0x0
	s_addc_u32 s9, s9, s23
	s_delay_alu instid0(VALU_DEP_1) | instskip(SKIP_1) | instid1(VALU_DEP_1)
	v_add3_u32 v3, v3, v10, v9
	s_load_b64 s[8:9], s[8:9], 0x0
	v_lshlrev_b64 v[6:7], 3, v[2:3]
	v_mov_b32_e32 v2, 0
	v_dual_mov_b32 v3, 0 :: v_dual_lshlrev_b32 v18, 3, v16
	v_add_nc_u32_e32 v19, 0x800, v8
	s_delay_alu instid0(VALU_DEP_2)
	v_add_co_u32 v6, vcc_lo, v6, v18
	v_add_co_ci_u32_e32 v7, vcc_lo, 0, v7, vcc_lo
	v_add_nc_u32_e32 v20, v18, v8
	v_add_co_u32 v8, vcc_lo, v4, v11
	v_add_co_ci_u32_e32 v9, vcc_lo, 0, v5, vcc_lo
	s_waitcnt lgkmcnt(0)
	v_add_co_u32 v4, vcc_lo, s10, v6
	v_add_co_ci_u32_e32 v5, vcc_lo, s11, v7, vcc_lo
	v_add_co_u32 v6, vcc_lo, s8, v8
	v_add_co_ci_u32_e32 v7, vcc_lo, s9, v9, vcc_lo
	v_dual_mov_b32 v9, v3 :: v_dual_mov_b32 v8, v2
	v_add_nc_u32_e32 v21, v19, v18
	s_mov_b64 s[8:9], 0
	s_branch .LBB1523_3
.LBB1523_2:                             ;   in Loop: Header=BB1523_3 Depth=1
	s_or_b32 exec_lo, exec_lo, s1
	s_waitcnt vmcnt(0)
	ds_store_b64 v21, v[12:13]
	s_waitcnt lgkmcnt(0)
	s_barrier
	buffer_gl0_inv
	ds_load_2addr_b64 v[10:13], v18 offset1:16
	ds_load_b128 v[22:25], v19
	ds_load_b128 v[26:29], v19 offset:16
	s_add_u32 s8, s8, 16
	s_addc_u32 s9, s9, 0
	v_add_co_u32 v4, vcc_lo, 0x80, v4
	v_cmp_ge_i64_e64 s1, s[8:9], s[4:5]
	v_add_co_ci_u32_e32 v5, vcc_lo, 0, v5, vcc_lo
	v_add_co_u32 v6, vcc_lo, 0x80, v6
	v_add_co_ci_u32_e32 v7, vcc_lo, 0, v7, vcc_lo
	s_delay_alu instid0(VALU_DEP_4) | instskip(SKIP_2) | instid1(VALU_DEP_1)
	s_and_b32 vcc_lo, exec_lo, s1
	s_waitcnt lgkmcnt(1)
	v_fma_f64 v[8:9], v[10:11], v[22:23], v[8:9]
	v_fma_f64 v[12:13], v[12:13], v[24:25], v[8:9]
	ds_load_2addr_b64 v[8:11], v18 offset0:32 offset1:48
	s_waitcnt lgkmcnt(0)
	v_fma_f64 v[8:9], v[8:9], v[26:27], v[12:13]
	s_delay_alu instid0(VALU_DEP_1)
	v_fma_f64 v[12:13], v[10:11], v[28:29], v[8:9]
	ds_load_2addr_b64 v[8:11], v18 offset0:64 offset1:80
	ds_load_b128 v[22:25], v19 offset:32
	ds_load_b128 v[26:29], v19 offset:48
	s_waitcnt lgkmcnt(1)
	v_fma_f64 v[8:9], v[8:9], v[22:23], v[12:13]
	s_delay_alu instid0(VALU_DEP_1) | instskip(SKIP_3) | instid1(VALU_DEP_1)
	v_fma_f64 v[12:13], v[10:11], v[24:25], v[8:9]
	ds_load_2addr_b64 v[8:11], v18 offset0:96 offset1:112
	s_waitcnt lgkmcnt(0)
	v_fma_f64 v[8:9], v[8:9], v[26:27], v[12:13]
	v_fma_f64 v[12:13], v[10:11], v[28:29], v[8:9]
	ds_load_2addr_b64 v[8:11], v18 offset0:128 offset1:144
	ds_load_b128 v[22:25], v19 offset:64
	ds_load_b128 v[26:29], v19 offset:80
	s_waitcnt lgkmcnt(1)
	v_fma_f64 v[8:9], v[8:9], v[22:23], v[12:13]
	s_delay_alu instid0(VALU_DEP_1) | instskip(SKIP_3) | instid1(VALU_DEP_1)
	v_fma_f64 v[12:13], v[10:11], v[24:25], v[8:9]
	ds_load_2addr_b64 v[8:11], v18 offset0:160 offset1:176
	s_waitcnt lgkmcnt(0)
	v_fma_f64 v[8:9], v[8:9], v[26:27], v[12:13]
	v_fma_f64 v[12:13], v[10:11], v[28:29], v[8:9]
	ds_load_2addr_b64 v[8:11], v18 offset0:192 offset1:208
	ds_load_b128 v[22:25], v19 offset:96
	ds_load_b128 v[26:29], v19 offset:112
	s_waitcnt lgkmcnt(1)
	v_fma_f64 v[8:9], v[8:9], v[22:23], v[12:13]
	s_delay_alu instid0(VALU_DEP_1)
	v_fma_f64 v[12:13], v[10:11], v[24:25], v[8:9]
	ds_load_2addr_b64 v[8:11], v18 offset0:224 offset1:240
	s_waitcnt lgkmcnt(0)
	s_barrier
	buffer_gl0_inv
	v_fma_f64 v[8:9], v[8:9], v[26:27], v[12:13]
	s_delay_alu instid0(VALU_DEP_1)
	v_fma_f64 v[8:9], v[10:11], v[28:29], v[8:9]
	s_cbranch_vccnz .LBB1523_8
.LBB1523_3:                             ; =>This Inner Loop Header: Depth=1
	v_add_co_u32 v10, s1, v17, s8
	s_delay_alu instid0(VALU_DEP_1) | instskip(NEXT) | instid1(VALU_DEP_1)
	v_add_co_ci_u32_e64 v11, null, 0, s9, s1
	v_cmp_gt_i64_e32 vcc_lo, s[4:5], v[10:11]
	v_dual_mov_b32 v11, v3 :: v_dual_mov_b32 v10, v2
	s_and_b32 s10, s0, vcc_lo
	s_delay_alu instid0(SALU_CYCLE_1)
	s_and_saveexec_b32 s1, s10
	s_cbranch_execz .LBB1523_5
; %bb.4:                                ;   in Loop: Header=BB1523_3 Depth=1
	global_load_b64 v[10:11], v[6:7], off
.LBB1523_5:                             ;   in Loop: Header=BB1523_3 Depth=1
	s_or_b32 exec_lo, exec_lo, s1
	v_add_co_u32 v12, s1, v16, s8
	s_delay_alu instid0(VALU_DEP_1)
	v_add_co_ci_u32_e64 v13, null, 0, s9, s1
	s_waitcnt vmcnt(0)
	ds_store_b64 v20, v[10:11]
	v_cmp_gt_i64_e32 vcc_lo, s[4:5], v[12:13]
	v_mov_b32_e32 v12, 0
	v_mov_b32_e32 v13, 0
	s_and_b32 s10, s2, vcc_lo
	s_delay_alu instid0(SALU_CYCLE_1)
	s_and_saveexec_b32 s1, s10
	s_cbranch_execz .LBB1523_2
; %bb.6:                                ;   in Loop: Header=BB1523_3 Depth=1
	global_load_b64 v[12:13], v[4:5], off
	s_branch .LBB1523_2
.LBB1523_7:
	v_mov_b32_e32 v8, 0
	v_mov_b32_e32 v9, 0
.LBB1523_8:
	v_cmp_le_i32_e32 vcc_lo, v0, v14
	v_cmp_gt_i32_e64 s0, s3, v14
	s_delay_alu instid0(VALU_DEP_1) | instskip(NEXT) | instid1(SALU_CYCLE_1)
	s_and_b32 s0, vcc_lo, s0
	s_and_saveexec_b32 s1, s0
	s_cbranch_execz .LBB1523_10
; %bb.9:
	s_waitcnt lgkmcnt(0)
	v_mul_lo_u32 v4, v14, s21
	v_mul_lo_u32 v5, v15, s20
	v_mad_u64_u32 v[2:3], null, v14, s20, 0
	v_lshlrev_b64 v[0:1], 3, v[0:1]
	s_delay_alu instid0(VALU_DEP_2) | instskip(NEXT) | instid1(VALU_DEP_1)
	v_add3_u32 v3, v3, v4, v5
	v_lshlrev_b64 v[2:3], 3, v[2:3]
	s_delay_alu instid0(VALU_DEP_1) | instskip(NEXT) | instid1(VALU_DEP_2)
	v_add_co_u32 v2, vcc_lo, s18, v2
	v_add_co_ci_u32_e32 v3, vcc_lo, s19, v3, vcc_lo
	s_delay_alu instid0(VALU_DEP_2) | instskip(NEXT) | instid1(VALU_DEP_2)
	v_add_co_u32 v0, vcc_lo, v2, v0
	v_add_co_ci_u32_e32 v1, vcc_lo, v3, v1, vcc_lo
	global_load_b64 v[2:3], v[0:1], off
	s_waitcnt vmcnt(0)
	v_mul_f64 v[2:3], v[2:3], s[16:17]
	s_delay_alu instid0(VALU_DEP_1)
	v_fma_f64 v[2:3], v[8:9], s[6:7], v[2:3]
	global_store_b64 v[0:1], v[2:3], off
.LBB1523_10:
	s_nop 0
	s_sendmsg sendmsg(MSG_DEALLOC_VGPRS)
	s_endpgm
	.section	.rodata,"a",@progbits
	.p2align	6, 0x0
	.amdhsa_kernel _ZL32rocblas_syrkx_herkx_small_kernelIldLi16ELb0ELb0ELc67ELc85EKPKdKPdEviT_T0_PT6_S5_lS8_S5_lS6_PT7_S5_li
		.amdhsa_group_segment_fixed_size 4096
		.amdhsa_private_segment_fixed_size 0
		.amdhsa_kernarg_size 108
		.amdhsa_user_sgpr_count 13
		.amdhsa_user_sgpr_dispatch_ptr 0
		.amdhsa_user_sgpr_queue_ptr 0
		.amdhsa_user_sgpr_kernarg_segment_ptr 1
		.amdhsa_user_sgpr_dispatch_id 0
		.amdhsa_user_sgpr_private_segment_size 0
		.amdhsa_wavefront_size32 1
		.amdhsa_uses_dynamic_stack 0
		.amdhsa_enable_private_segment 0
		.amdhsa_system_sgpr_workgroup_id_x 1
		.amdhsa_system_sgpr_workgroup_id_y 1
		.amdhsa_system_sgpr_workgroup_id_z 1
		.amdhsa_system_sgpr_workgroup_info 0
		.amdhsa_system_vgpr_workitem_id 1
		.amdhsa_next_free_vgpr 30
		.amdhsa_next_free_sgpr 24
		.amdhsa_reserve_vcc 1
		.amdhsa_float_round_mode_32 0
		.amdhsa_float_round_mode_16_64 0
		.amdhsa_float_denorm_mode_32 3
		.amdhsa_float_denorm_mode_16_64 3
		.amdhsa_dx10_clamp 1
		.amdhsa_ieee_mode 1
		.amdhsa_fp16_overflow 0
		.amdhsa_workgroup_processor_mode 1
		.amdhsa_memory_ordered 1
		.amdhsa_forward_progress 0
		.amdhsa_shared_vgpr_count 0
		.amdhsa_exception_fp_ieee_invalid_op 0
		.amdhsa_exception_fp_denorm_src 0
		.amdhsa_exception_fp_ieee_div_zero 0
		.amdhsa_exception_fp_ieee_overflow 0
		.amdhsa_exception_fp_ieee_underflow 0
		.amdhsa_exception_fp_ieee_inexact 0
		.amdhsa_exception_int_div_zero 0
	.end_amdhsa_kernel
	.section	.text._ZL32rocblas_syrkx_herkx_small_kernelIldLi16ELb0ELb0ELc67ELc85EKPKdKPdEviT_T0_PT6_S5_lS8_S5_lS6_PT7_S5_li,"axG",@progbits,_ZL32rocblas_syrkx_herkx_small_kernelIldLi16ELb0ELb0ELc67ELc85EKPKdKPdEviT_T0_PT6_S5_lS8_S5_lS6_PT7_S5_li,comdat
.Lfunc_end1523:
	.size	_ZL32rocblas_syrkx_herkx_small_kernelIldLi16ELb0ELb0ELc67ELc85EKPKdKPdEviT_T0_PT6_S5_lS8_S5_lS6_PT7_S5_li, .Lfunc_end1523-_ZL32rocblas_syrkx_herkx_small_kernelIldLi16ELb0ELb0ELc67ELc85EKPKdKPdEviT_T0_PT6_S5_lS8_S5_lS6_PT7_S5_li
                                        ; -- End function
	.section	.AMDGPU.csdata,"",@progbits
; Kernel info:
; codeLenInByte = 1112
; NumSgprs: 26
; NumVgprs: 30
; ScratchSize: 0
; MemoryBound: 0
; FloatMode: 240
; IeeeMode: 1
; LDSByteSize: 4096 bytes/workgroup (compile time only)
; SGPRBlocks: 3
; VGPRBlocks: 3
; NumSGPRsForWavesPerEU: 26
; NumVGPRsForWavesPerEU: 30
; Occupancy: 16
; WaveLimiterHint : 1
; COMPUTE_PGM_RSRC2:SCRATCH_EN: 0
; COMPUTE_PGM_RSRC2:USER_SGPR: 13
; COMPUTE_PGM_RSRC2:TRAP_HANDLER: 0
; COMPUTE_PGM_RSRC2:TGID_X_EN: 1
; COMPUTE_PGM_RSRC2:TGID_Y_EN: 1
; COMPUTE_PGM_RSRC2:TGID_Z_EN: 1
; COMPUTE_PGM_RSRC2:TIDIG_COMP_CNT: 1
	.section	.text._ZL32rocblas_syrkx_herkx_small_kernelIldLi16ELb0ELb0ELc78ELc85EKPKdKPdEviT_T0_PT6_S5_lS8_S5_lS6_PT7_S5_li,"axG",@progbits,_ZL32rocblas_syrkx_herkx_small_kernelIldLi16ELb0ELb0ELc78ELc85EKPKdKPdEviT_T0_PT6_S5_lS8_S5_lS6_PT7_S5_li,comdat
	.globl	_ZL32rocblas_syrkx_herkx_small_kernelIldLi16ELb0ELb0ELc78ELc85EKPKdKPdEviT_T0_PT6_S5_lS8_S5_lS6_PT7_S5_li ; -- Begin function _ZL32rocblas_syrkx_herkx_small_kernelIldLi16ELb0ELb0ELc78ELc85EKPKdKPdEviT_T0_PT6_S5_lS8_S5_lS6_PT7_S5_li
	.p2align	8
	.type	_ZL32rocblas_syrkx_herkx_small_kernelIldLi16ELb0ELb0ELc78ELc85EKPKdKPdEviT_T0_PT6_S5_lS8_S5_lS6_PT7_S5_li,@function
_ZL32rocblas_syrkx_herkx_small_kernelIldLi16ELb0ELb0ELc78ELc85EKPKdKPdEviT_T0_PT6_S5_lS8_S5_lS6_PT7_S5_li: ; @_ZL32rocblas_syrkx_herkx_small_kernelIldLi16ELb0ELb0ELc78ELc85EKPKdKPdEviT_T0_PT6_S5_lS8_S5_lS6_PT7_S5_li
; %bb.0:
	s_clause 0x1
	s_load_b128 s[16:19], s[0:1], 0x48
	s_load_b256 s[4:11], s[0:1], 0x8
	s_mov_b32 s20, s15
	s_mov_b32 s21, 0
	s_load_b32 s3, s[0:1], 0x0
	s_lshl_b64 s[22:23], s[20:21], 3
	v_and_b32_e32 v16, 0x3ff, v0
	v_bfe_u32 v17, v0, 10, 10
	s_delay_alu instid0(VALU_DEP_2) | instskip(NEXT) | instid1(VALU_DEP_2)
	v_lshl_add_u32 v0, s13, 4, v16
	v_lshl_add_u32 v2, s14, 4, v17
	s_delay_alu instid0(VALU_DEP_2) | instskip(NEXT) | instid1(VALU_DEP_2)
	v_ashrrev_i32_e32 v1, 31, v0
	v_ashrrev_i32_e32 v3, 31, v2
	s_waitcnt lgkmcnt(0)
	s_add_u32 s18, s18, s22
	s_addc_u32 s19, s19, s23
	s_load_b64 s[20:21], s[0:1], 0x58
	s_load_b64 s[18:19], s[18:19], 0x0
	v_cmp_lt_i64_e64 s2, s[4:5], 1
	s_delay_alu instid0(VALU_DEP_1)
	s_and_b32 vcc_lo, exec_lo, s2
	v_cmp_gt_i32_e64 s2, s3, v2
	s_cbranch_vccnz .LBB1524_7
; %bb.1:
	s_load_b128 s[12:15], s[0:1], 0x30
	v_mad_u64_u32 v[4:5], null, s10, v17, 0
	v_lshlrev_b64 v[12:13], 3, v[0:1]
	v_cmp_gt_i32_e64 s0, s3, v0
	s_waitcnt lgkmcnt(0)
	v_mad_u64_u32 v[6:7], null, s14, v16, 0
	v_lshlrev_b32_e32 v14, 7, v17
	s_add_u32 s12, s12, s22
	s_addc_u32 s13, s13, s23
	s_add_u32 s8, s8, s22
	s_addc_u32 s9, s9, s23
	s_load_b64 s[12:13], s[12:13], 0x0
	s_delay_alu instid0(VALU_DEP_2)
	v_mad_u64_u32 v[8:9], null, s11, v17, v[5:6]
	v_mov_b32_e32 v5, v7
	s_load_b64 s[8:9], s[8:9], 0x0
	v_lshlrev_b32_e32 v18, 3, v16
	v_add_nc_u32_e32 v19, 0x800, v14
	s_lshl_b64 s[10:11], s[10:11], 7
	v_mad_u64_u32 v[9:10], null, s15, v16, v[5:6]
	v_mov_b32_e32 v5, v8
	v_lshlrev_b64 v[10:11], 3, v[2:3]
	s_delay_alu instid0(VALU_DEP_3) | instskip(NEXT) | instid1(VALU_DEP_3)
	v_dual_mov_b32 v7, v9 :: v_dual_add_nc_u32 v20, v18, v14
	v_lshlrev_b64 v[8:9], 3, v[4:5]
	v_mov_b32_e32 v4, 0
	v_mov_b32_e32 v5, 0
	v_add_nc_u32_e32 v21, v19, v18
	v_lshlrev_b64 v[6:7], 3, v[6:7]
	v_add_co_u32 v8, vcc_lo, v8, v12
	v_add_co_ci_u32_e32 v9, vcc_lo, v9, v13, vcc_lo
	s_delay_alu instid0(VALU_DEP_3) | instskip(NEXT) | instid1(VALU_DEP_4)
	v_add_co_u32 v10, vcc_lo, v6, v10
	v_add_co_ci_u32_e32 v11, vcc_lo, v7, v11, vcc_lo
	s_waitcnt lgkmcnt(0)
	v_add_co_u32 v6, vcc_lo, s8, v8
	v_add_co_ci_u32_e32 v7, vcc_lo, s9, v9, vcc_lo
	v_add_co_u32 v8, vcc_lo, s12, v10
	v_add_co_ci_u32_e32 v9, vcc_lo, s13, v11, vcc_lo
	v_dual_mov_b32 v11, v5 :: v_dual_mov_b32 v10, v4
	s_lshl_b64 s[8:9], s[14:15], 7
	s_mov_b64 s[12:13], 0
	s_branch .LBB1524_3
.LBB1524_2:                             ;   in Loop: Header=BB1524_3 Depth=1
	s_or_b32 exec_lo, exec_lo, s1
	s_waitcnt vmcnt(0)
	ds_store_b64 v21, v[14:15]
	s_waitcnt lgkmcnt(0)
	s_barrier
	buffer_gl0_inv
	ds_load_2addr_b64 v[12:15], v18 offset1:16
	ds_load_b128 v[22:25], v19
	ds_load_b128 v[26:29], v19 offset:16
	s_add_u32 s12, s12, 16
	s_addc_u32 s13, s13, 0
	v_add_co_u32 v8, vcc_lo, v8, s8
	v_cmp_ge_i64_e64 s1, s[12:13], s[4:5]
	v_add_co_ci_u32_e32 v9, vcc_lo, s9, v9, vcc_lo
	v_add_co_u32 v6, vcc_lo, v6, s10
	v_add_co_ci_u32_e32 v7, vcc_lo, s11, v7, vcc_lo
	s_delay_alu instid0(VALU_DEP_4) | instskip(SKIP_2) | instid1(VALU_DEP_1)
	s_and_b32 vcc_lo, exec_lo, s1
	s_waitcnt lgkmcnt(1)
	v_fma_f64 v[10:11], v[12:13], v[22:23], v[10:11]
	v_fma_f64 v[14:15], v[14:15], v[24:25], v[10:11]
	ds_load_2addr_b64 v[10:13], v18 offset0:32 offset1:48
	s_waitcnt lgkmcnt(0)
	v_fma_f64 v[10:11], v[10:11], v[26:27], v[14:15]
	s_delay_alu instid0(VALU_DEP_1)
	v_fma_f64 v[14:15], v[12:13], v[28:29], v[10:11]
	ds_load_2addr_b64 v[10:13], v18 offset0:64 offset1:80
	ds_load_b128 v[22:25], v19 offset:32
	ds_load_b128 v[26:29], v19 offset:48
	s_waitcnt lgkmcnt(1)
	v_fma_f64 v[10:11], v[10:11], v[22:23], v[14:15]
	s_delay_alu instid0(VALU_DEP_1) | instskip(SKIP_3) | instid1(VALU_DEP_1)
	v_fma_f64 v[14:15], v[12:13], v[24:25], v[10:11]
	ds_load_2addr_b64 v[10:13], v18 offset0:96 offset1:112
	s_waitcnt lgkmcnt(0)
	v_fma_f64 v[10:11], v[10:11], v[26:27], v[14:15]
	v_fma_f64 v[14:15], v[12:13], v[28:29], v[10:11]
	ds_load_2addr_b64 v[10:13], v18 offset0:128 offset1:144
	ds_load_b128 v[22:25], v19 offset:64
	ds_load_b128 v[26:29], v19 offset:80
	s_waitcnt lgkmcnt(1)
	v_fma_f64 v[10:11], v[10:11], v[22:23], v[14:15]
	s_delay_alu instid0(VALU_DEP_1) | instskip(SKIP_3) | instid1(VALU_DEP_1)
	v_fma_f64 v[14:15], v[12:13], v[24:25], v[10:11]
	ds_load_2addr_b64 v[10:13], v18 offset0:160 offset1:176
	s_waitcnt lgkmcnt(0)
	v_fma_f64 v[10:11], v[10:11], v[26:27], v[14:15]
	v_fma_f64 v[14:15], v[12:13], v[28:29], v[10:11]
	ds_load_2addr_b64 v[10:13], v18 offset0:192 offset1:208
	ds_load_b128 v[22:25], v19 offset:96
	ds_load_b128 v[26:29], v19 offset:112
	s_waitcnt lgkmcnt(1)
	v_fma_f64 v[10:11], v[10:11], v[22:23], v[14:15]
	s_delay_alu instid0(VALU_DEP_1)
	v_fma_f64 v[14:15], v[12:13], v[24:25], v[10:11]
	ds_load_2addr_b64 v[10:13], v18 offset0:224 offset1:240
	s_waitcnt lgkmcnt(0)
	s_barrier
	buffer_gl0_inv
	v_fma_f64 v[10:11], v[10:11], v[26:27], v[14:15]
	s_delay_alu instid0(VALU_DEP_1)
	v_fma_f64 v[10:11], v[12:13], v[28:29], v[10:11]
	s_cbranch_vccnz .LBB1524_8
.LBB1524_3:                             ; =>This Inner Loop Header: Depth=1
	v_add_co_u32 v12, s1, v17, s12
	s_delay_alu instid0(VALU_DEP_1) | instskip(NEXT) | instid1(VALU_DEP_1)
	v_add_co_ci_u32_e64 v13, null, 0, s13, s1
	v_cmp_gt_i64_e32 vcc_lo, s[4:5], v[12:13]
	v_dual_mov_b32 v13, v5 :: v_dual_mov_b32 v12, v4
	s_and_b32 s14, s0, vcc_lo
	s_delay_alu instid0(SALU_CYCLE_1)
	s_and_saveexec_b32 s1, s14
	s_cbranch_execz .LBB1524_5
; %bb.4:                                ;   in Loop: Header=BB1524_3 Depth=1
	global_load_b64 v[12:13], v[6:7], off
.LBB1524_5:                             ;   in Loop: Header=BB1524_3 Depth=1
	s_or_b32 exec_lo, exec_lo, s1
	v_add_co_u32 v14, s1, v16, s12
	s_delay_alu instid0(VALU_DEP_1)
	v_add_co_ci_u32_e64 v15, null, 0, s13, s1
	s_waitcnt vmcnt(0)
	ds_store_b64 v20, v[12:13]
	v_cmp_gt_i64_e32 vcc_lo, s[4:5], v[14:15]
	v_mov_b32_e32 v14, 0
	v_mov_b32_e32 v15, 0
	s_and_b32 s14, s2, vcc_lo
	s_delay_alu instid0(SALU_CYCLE_1)
	s_and_saveexec_b32 s1, s14
	s_cbranch_execz .LBB1524_2
; %bb.6:                                ;   in Loop: Header=BB1524_3 Depth=1
	global_load_b64 v[14:15], v[8:9], off
	s_branch .LBB1524_2
.LBB1524_7:
	v_mov_b32_e32 v10, 0
	v_mov_b32_e32 v11, 0
.LBB1524_8:
	v_cmp_le_i32_e32 vcc_lo, v0, v2
	v_cmp_gt_i32_e64 s0, s3, v2
	s_delay_alu instid0(VALU_DEP_1) | instskip(NEXT) | instid1(SALU_CYCLE_1)
	s_and_b32 s0, vcc_lo, s0
	s_and_saveexec_b32 s1, s0
	s_cbranch_execz .LBB1524_10
; %bb.9:
	s_waitcnt lgkmcnt(0)
	v_mul_lo_u32 v5, v2, s21
	v_mul_lo_u32 v6, v3, s20
	v_mad_u64_u32 v[3:4], null, v2, s20, 0
	v_lshlrev_b64 v[0:1], 3, v[0:1]
	s_delay_alu instid0(VALU_DEP_2) | instskip(NEXT) | instid1(VALU_DEP_1)
	v_add3_u32 v4, v4, v5, v6
	v_lshlrev_b64 v[2:3], 3, v[3:4]
	s_delay_alu instid0(VALU_DEP_1) | instskip(NEXT) | instid1(VALU_DEP_2)
	v_add_co_u32 v2, vcc_lo, s18, v2
	v_add_co_ci_u32_e32 v3, vcc_lo, s19, v3, vcc_lo
	s_delay_alu instid0(VALU_DEP_2) | instskip(NEXT) | instid1(VALU_DEP_2)
	v_add_co_u32 v0, vcc_lo, v2, v0
	v_add_co_ci_u32_e32 v1, vcc_lo, v3, v1, vcc_lo
	global_load_b64 v[2:3], v[0:1], off
	s_waitcnt vmcnt(0)
	v_mul_f64 v[2:3], v[2:3], s[16:17]
	s_delay_alu instid0(VALU_DEP_1)
	v_fma_f64 v[2:3], v[10:11], s[6:7], v[2:3]
	global_store_b64 v[0:1], v[2:3], off
.LBB1524_10:
	s_nop 0
	s_sendmsg sendmsg(MSG_DEALLOC_VGPRS)
	s_endpgm
	.section	.rodata,"a",@progbits
	.p2align	6, 0x0
	.amdhsa_kernel _ZL32rocblas_syrkx_herkx_small_kernelIldLi16ELb0ELb0ELc78ELc85EKPKdKPdEviT_T0_PT6_S5_lS8_S5_lS6_PT7_S5_li
		.amdhsa_group_segment_fixed_size 4096
		.amdhsa_private_segment_fixed_size 0
		.amdhsa_kernarg_size 108
		.amdhsa_user_sgpr_count 13
		.amdhsa_user_sgpr_dispatch_ptr 0
		.amdhsa_user_sgpr_queue_ptr 0
		.amdhsa_user_sgpr_kernarg_segment_ptr 1
		.amdhsa_user_sgpr_dispatch_id 0
		.amdhsa_user_sgpr_private_segment_size 0
		.amdhsa_wavefront_size32 1
		.amdhsa_uses_dynamic_stack 0
		.amdhsa_enable_private_segment 0
		.amdhsa_system_sgpr_workgroup_id_x 1
		.amdhsa_system_sgpr_workgroup_id_y 1
		.amdhsa_system_sgpr_workgroup_id_z 1
		.amdhsa_system_sgpr_workgroup_info 0
		.amdhsa_system_vgpr_workitem_id 1
		.amdhsa_next_free_vgpr 30
		.amdhsa_next_free_sgpr 24
		.amdhsa_reserve_vcc 1
		.amdhsa_float_round_mode_32 0
		.amdhsa_float_round_mode_16_64 0
		.amdhsa_float_denorm_mode_32 3
		.amdhsa_float_denorm_mode_16_64 3
		.amdhsa_dx10_clamp 1
		.amdhsa_ieee_mode 1
		.amdhsa_fp16_overflow 0
		.amdhsa_workgroup_processor_mode 1
		.amdhsa_memory_ordered 1
		.amdhsa_forward_progress 0
		.amdhsa_shared_vgpr_count 0
		.amdhsa_exception_fp_ieee_invalid_op 0
		.amdhsa_exception_fp_denorm_src 0
		.amdhsa_exception_fp_ieee_div_zero 0
		.amdhsa_exception_fp_ieee_overflow 0
		.amdhsa_exception_fp_ieee_underflow 0
		.amdhsa_exception_fp_ieee_inexact 0
		.amdhsa_exception_int_div_zero 0
	.end_amdhsa_kernel
	.section	.text._ZL32rocblas_syrkx_herkx_small_kernelIldLi16ELb0ELb0ELc78ELc85EKPKdKPdEviT_T0_PT6_S5_lS8_S5_lS6_PT7_S5_li,"axG",@progbits,_ZL32rocblas_syrkx_herkx_small_kernelIldLi16ELb0ELb0ELc78ELc85EKPKdKPdEviT_T0_PT6_S5_lS8_S5_lS6_PT7_S5_li,comdat
.Lfunc_end1524:
	.size	_ZL32rocblas_syrkx_herkx_small_kernelIldLi16ELb0ELb0ELc78ELc85EKPKdKPdEviT_T0_PT6_S5_lS8_S5_lS6_PT7_S5_li, .Lfunc_end1524-_ZL32rocblas_syrkx_herkx_small_kernelIldLi16ELb0ELb0ELc78ELc85EKPKdKPdEviT_T0_PT6_S5_lS8_S5_lS6_PT7_S5_li
                                        ; -- End function
	.section	.AMDGPU.csdata,"",@progbits
; Kernel info:
; codeLenInByte = 1104
; NumSgprs: 26
; NumVgprs: 30
; ScratchSize: 0
; MemoryBound: 0
; FloatMode: 240
; IeeeMode: 1
; LDSByteSize: 4096 bytes/workgroup (compile time only)
; SGPRBlocks: 3
; VGPRBlocks: 3
; NumSGPRsForWavesPerEU: 26
; NumVGPRsForWavesPerEU: 30
; Occupancy: 16
; WaveLimiterHint : 1
; COMPUTE_PGM_RSRC2:SCRATCH_EN: 0
; COMPUTE_PGM_RSRC2:USER_SGPR: 13
; COMPUTE_PGM_RSRC2:TRAP_HANDLER: 0
; COMPUTE_PGM_RSRC2:TGID_X_EN: 1
; COMPUTE_PGM_RSRC2:TGID_Y_EN: 1
; COMPUTE_PGM_RSRC2:TGID_Z_EN: 1
; COMPUTE_PGM_RSRC2:TIDIG_COMP_CNT: 1
	.section	.text._ZL34rocblas_syrkx_herkx_general_kernelIldLi16ELi32ELi8ELb1ELb0ELc84ELc76EKPKdKPdEviT_T0_PT8_S5_lS8_S5_lS6_PT9_S5_li,"axG",@progbits,_ZL34rocblas_syrkx_herkx_general_kernelIldLi16ELi32ELi8ELb1ELb0ELc84ELc76EKPKdKPdEviT_T0_PT8_S5_lS8_S5_lS6_PT9_S5_li,comdat
	.globl	_ZL34rocblas_syrkx_herkx_general_kernelIldLi16ELi32ELi8ELb1ELb0ELc84ELc76EKPKdKPdEviT_T0_PT8_S5_lS8_S5_lS6_PT9_S5_li ; -- Begin function _ZL34rocblas_syrkx_herkx_general_kernelIldLi16ELi32ELi8ELb1ELb0ELc84ELc76EKPKdKPdEviT_T0_PT8_S5_lS8_S5_lS6_PT9_S5_li
	.p2align	8
	.type	_ZL34rocblas_syrkx_herkx_general_kernelIldLi16ELi32ELi8ELb1ELb0ELc84ELc76EKPKdKPdEviT_T0_PT8_S5_lS8_S5_lS6_PT9_S5_li,@function
_ZL34rocblas_syrkx_herkx_general_kernelIldLi16ELi32ELi8ELb1ELb0ELc84ELc76EKPKdKPdEviT_T0_PT8_S5_lS8_S5_lS6_PT9_S5_li: ; @_ZL34rocblas_syrkx_herkx_general_kernelIldLi16ELi32ELi8ELb1ELb0ELc84ELc76EKPKdKPdEviT_T0_PT8_S5_lS8_S5_lS6_PT9_S5_li
; %bb.0:
	s_clause 0x1
	s_load_b128 s[16:19], s[0:1], 0x50
	s_load_b256 s[4:11], s[0:1], 0x8
	s_mov_b32 s2, s15
	s_mov_b32 s3, 0
	v_mov_b32_e32 v12, 0
	s_lshl_b64 s[20:21], s[2:3], 3
	v_dual_mov_b32 v13, 0 :: v_dual_and_b32 v18, 0x3ff, v0
	v_bfe_u32 v19, v0, 10, 10
	s_delay_alu instid0(VALU_DEP_3) | instskip(NEXT) | instid1(VALU_DEP_3)
	v_mov_b32_e32 v10, v12
	v_dual_mov_b32 v2, v12 :: v_dual_mov_b32 v3, v13
	v_dual_mov_b32 v11, v13 :: v_dual_mov_b32 v0, v12
	v_mov_b32_e32 v1, v13
	s_waitcnt lgkmcnt(0)
	s_add_u32 s2, s16, s20
	s_addc_u32 s3, s17, s21
	s_load_b32 s15, s[0:1], 0x0
	s_load_b64 s[16:17], s[2:3], 0x0
	v_cmp_lt_i64_e64 s2, s[4:5], 1
	s_lshl_b32 s22, s13, 5
	s_lshl_b32 s14, s14, 5
	s_mov_b64 s[12:13], 0
	s_delay_alu instid0(VALU_DEP_1)
	s_and_b32 vcc_lo, exec_lo, s2
	s_cbranch_vccnz .LBB1525_7
; %bb.1:
	s_load_b128 s[0:3], s[0:1], 0x30
	v_lshl_add_u32 v0, v19, 4, v18
	v_and_b32_e32 v20, 7, v18
	v_lshl_add_u32 v25, v19, 6, 0x800
	s_delay_alu instid0(VALU_DEP_3) | instskip(SKIP_3) | instid1(VALU_DEP_4)
	v_and_b32_e32 v1, 31, v0
	v_lshrrev_b32_e32 v4, 3, v0
	v_lshrrev_b32_e32 v21, 5, v0
	v_lshlrev_b32_e32 v6, 3, v20
	v_add_nc_u32_e32 v2, s22, v1
	s_delay_alu instid0(VALU_DEP_4)
	v_add_nc_u32_e32 v5, s14, v4
	v_or_b32_e32 v7, s22, v1
	v_lshlrev_b32_e32 v8, 3, v1
	v_lshl_or_b32 v4, v4, 6, v6
	v_ashrrev_i32_e32 v9, 31, v2
	v_ashrrev_i32_e32 v3, 31, v5
	v_mul_lo_u32 v10, s11, v2
	v_mad_u64_u32 v[0:1], null, s10, v2, 0
	s_waitcnt lgkmcnt(0)
	s_add_u32 s0, s0, s20
	v_mul_lo_u32 v9, s10, v9
	s_addc_u32 s1, s1, s21
	s_add_u32 s8, s8, s20
	v_mul_lo_u32 v11, s2, v3
	v_mul_lo_u32 v12, s3, v5
	s_addc_u32 s9, s9, s21
	v_mad_u64_u32 v[2:3], null, s2, v5, 0
	s_load_b64 s[2:3], s[8:9], 0x0
	s_load_b64 s[10:11], s[0:1], 0x0
	v_add3_u32 v1, v1, v9, v10
	v_add_nc_u32_e32 v23, 0x800, v4
	v_lshlrev_b32_e32 v4, 3, v21
	v_cmp_gt_i32_e64 s1, s15, v5
	v_add3_u32 v3, v3, v11, v12
	v_lshlrev_b64 v[0:1], 3, v[0:1]
	v_cmp_gt_i32_e64 s0, s15, v7
	s_delay_alu instid0(VALU_DEP_3) | instskip(NEXT) | instid1(VALU_DEP_3)
	v_lshlrev_b64 v[2:3], 3, v[2:3]
	v_add_co_u32 v0, vcc_lo, v0, v4
	s_delay_alu instid0(VALU_DEP_4) | instskip(NEXT) | instid1(VALU_DEP_3)
	v_add_co_ci_u32_e32 v1, vcc_lo, 0, v1, vcc_lo
	v_add_co_u32 v2, vcc_lo, v2, v6
	v_mov_b32_e32 v4, 0
	v_mov_b32_e32 v5, 0
	v_add_co_ci_u32_e32 v3, vcc_lo, 0, v3, vcc_lo
	s_waitcnt lgkmcnt(0)
	v_add_co_u32 v6, vcc_lo, s2, v0
	v_add_co_ci_u32_e32 v7, vcc_lo, s3, v1, vcc_lo
	v_dual_mov_b32 v0, v4 :: v_dual_mov_b32 v11, v5
	v_lshl_or_b32 v22, v21, 8, v8
	v_add_co_u32 v8, vcc_lo, s10, v2
	v_dual_mov_b32 v13, v5 :: v_dual_lshlrev_b32 v24, 3, v18
	v_add_co_ci_u32_e32 v9, vcc_lo, s11, v3, vcc_lo
	v_dual_mov_b32 v2, v4 :: v_dual_mov_b32 v1, v5
	v_dual_mov_b32 v3, v5 :: v_dual_mov_b32 v10, v4
	v_mov_b32_e32 v12, v4
	s_branch .LBB1525_3
.LBB1525_2:                             ;   in Loop: Header=BB1525_3 Depth=1
	s_or_b32 exec_lo, exec_lo, s2
	s_waitcnt vmcnt(0)
	ds_store_b64 v23, v[16:17]
	s_waitcnt lgkmcnt(0)
	s_barrier
	buffer_gl0_inv
	ds_load_2addr_b64 v[14:17], v24 offset1:16
	ds_load_b128 v[26:29], v25
	ds_load_b128 v[30:33], v25 offset:1024
	ds_load_b128 v[34:37], v25 offset:16
	;; [unrolled: 1-line block ×3, first 2 shown]
	s_add_u32 s12, s12, 8
	s_addc_u32 s13, s13, 0
	v_add_co_u32 v6, vcc_lo, v6, 64
	v_cmp_ge_i64_e64 s2, s[12:13], s[4:5]
	v_add_co_ci_u32_e32 v7, vcc_lo, 0, v7, vcc_lo
	v_add_co_u32 v8, vcc_lo, v8, 64
	v_add_co_ci_u32_e32 v9, vcc_lo, 0, v9, vcc_lo
	s_delay_alu instid0(VALU_DEP_4)
	s_and_b32 vcc_lo, exec_lo, s2
	s_waitcnt lgkmcnt(3)
	v_fma_f64 v[12:13], v[14:15], v[26:27], v[12:13]
	v_fma_f64 v[10:11], v[16:17], v[26:27], v[10:11]
	s_waitcnt lgkmcnt(2)
	v_fma_f64 v[14:15], v[14:15], v[30:31], v[2:3]
	v_fma_f64 v[16:17], v[16:17], v[30:31], v[0:1]
	ds_load_2addr_b64 v[0:3], v24 offset0:32 offset1:48
	s_waitcnt lgkmcnt(0)
	v_fma_f64 v[12:13], v[0:1], v[28:29], v[12:13]
	v_fma_f64 v[10:11], v[2:3], v[28:29], v[10:11]
	v_fma_f64 v[14:15], v[0:1], v[32:33], v[14:15]
	v_fma_f64 v[16:17], v[2:3], v[32:33], v[16:17]
	ds_load_2addr_b64 v[0:3], v24 offset0:64 offset1:80
	s_waitcnt lgkmcnt(0)
	v_fma_f64 v[12:13], v[0:1], v[34:35], v[12:13]
	v_fma_f64 v[10:11], v[2:3], v[34:35], v[10:11]
	;; [unrolled: 6-line block ×3, first 2 shown]
	v_fma_f64 v[38:39], v[0:1], v[40:41], v[14:15]
	v_fma_f64 v[40:41], v[2:3], v[40:41], v[16:17]
	ds_load_2addr_b64 v[0:3], v24 offset0:128 offset1:144
	ds_load_b128 v[10:13], v25 offset:32
	ds_load_b128 v[14:17], v25 offset:1056
	;; [unrolled: 1-line block ×4, first 2 shown]
	s_waitcnt lgkmcnt(3)
	v_fma_f64 v[34:35], v[0:1], v[10:11], v[34:35]
	v_fma_f64 v[10:11], v[2:3], v[10:11], v[36:37]
	s_waitcnt lgkmcnt(2)
	v_fma_f64 v[36:37], v[0:1], v[14:15], v[38:39]
	v_fma_f64 v[14:15], v[2:3], v[14:15], v[40:41]
	ds_load_2addr_b64 v[0:3], v24 offset0:160 offset1:176
	s_waitcnt lgkmcnt(0)
	v_fma_f64 v[34:35], v[0:1], v[12:13], v[34:35]
	v_fma_f64 v[10:11], v[2:3], v[12:13], v[10:11]
	;; [unrolled: 1-line block ×4, first 2 shown]
	ds_load_2addr_b64 v[0:3], v24 offset0:192 offset1:208
	s_waitcnt lgkmcnt(0)
	v_fma_f64 v[34:35], v[0:1], v[26:27], v[34:35]
	v_fma_f64 v[10:11], v[2:3], v[26:27], v[10:11]
	;; [unrolled: 1-line block ×4, first 2 shown]
	ds_load_2addr_b64 v[14:17], v24 offset0:224 offset1:240
	s_waitcnt lgkmcnt(0)
	s_barrier
	buffer_gl0_inv
	v_fma_f64 v[12:13], v[14:15], v[28:29], v[34:35]
	v_fma_f64 v[10:11], v[16:17], v[28:29], v[10:11]
	;; [unrolled: 1-line block ×4, first 2 shown]
	s_cbranch_vccnz .LBB1525_7
.LBB1525_3:                             ; =>This Inner Loop Header: Depth=1
	v_add_co_u32 v14, s2, v21, s12
	s_delay_alu instid0(VALU_DEP_1) | instskip(NEXT) | instid1(VALU_DEP_1)
	v_add_co_ci_u32_e64 v15, null, 0, s13, s2
	v_cmp_gt_i64_e32 vcc_lo, s[4:5], v[14:15]
	v_dual_mov_b32 v15, v5 :: v_dual_mov_b32 v14, v4
	s_and_b32 s3, s0, vcc_lo
	s_delay_alu instid0(SALU_CYCLE_1)
	s_and_saveexec_b32 s2, s3
	s_cbranch_execz .LBB1525_5
; %bb.4:                                ;   in Loop: Header=BB1525_3 Depth=1
	global_load_b64 v[14:15], v[6:7], off
.LBB1525_5:                             ;   in Loop: Header=BB1525_3 Depth=1
	s_or_b32 exec_lo, exec_lo, s2
	v_add_co_u32 v16, s2, v20, s12
	s_delay_alu instid0(VALU_DEP_1)
	v_add_co_ci_u32_e64 v17, null, 0, s13, s2
	s_waitcnt vmcnt(0)
	ds_store_b64 v22, v[14:15]
	v_cmp_gt_i64_e32 vcc_lo, s[4:5], v[16:17]
	v_dual_mov_b32 v17, v5 :: v_dual_mov_b32 v16, v4
	s_and_b32 s3, vcc_lo, s1
	s_delay_alu instid0(SALU_CYCLE_1)
	s_and_saveexec_b32 s2, s3
	s_cbranch_execz .LBB1525_2
; %bb.6:                                ;   in Loop: Header=BB1525_3 Depth=1
	global_load_b64 v[16:17], v[8:9], off
	s_branch .LBB1525_2
.LBB1525_7:
	v_add_nc_u32_e32 v8, s14, v19
	s_delay_alu instid0(VALU_DEP_1) | instskip(SKIP_2) | instid1(VALU_DEP_3)
	v_ashrrev_i32_e32 v4, 31, v8
	v_mul_lo_u32 v7, v8, s19
	v_mad_u64_u32 v[5:6], null, v8, s18, 0
	v_mul_lo_u32 v4, v4, s18
	s_delay_alu instid0(VALU_DEP_1) | instskip(SKIP_1) | instid1(VALU_DEP_2)
	v_add3_u32 v6, v6, v7, v4
	v_add_nc_u32_e32 v4, s22, v18
	v_lshlrev_b64 v[5:6], 3, v[5:6]
	s_delay_alu instid0(VALU_DEP_2) | instskip(SKIP_2) | instid1(VALU_DEP_3)
	v_cmp_le_i32_e64 s0, v8, v4
	s_waitcnt lgkmcnt(0)
	v_cmp_gt_i32_e32 vcc_lo, s15, v4
	v_add_co_u32 v9, s1, s16, v5
	s_delay_alu instid0(VALU_DEP_1) | instskip(SKIP_1) | instid1(SALU_CYCLE_1)
	v_add_co_ci_u32_e64 v14, s1, s17, v6, s1
	s_and_b32 s0, s0, vcc_lo
	s_and_saveexec_b32 s1, s0
	s_cbranch_execz .LBB1525_9
; %bb.8:
	v_mul_f64 v[6:7], v[12:13], s[6:7]
	v_ashrrev_i32_e32 v5, 31, v4
	s_delay_alu instid0(VALU_DEP_1) | instskip(NEXT) | instid1(VALU_DEP_1)
	v_lshlrev_b64 v[12:13], 3, v[4:5]
	v_add_co_u32 v12, s0, v9, v12
	s_delay_alu instid0(VALU_DEP_1)
	v_add_co_ci_u32_e64 v13, s0, v14, v13, s0
	global_store_b64 v[12:13], v[6:7], off
.LBB1525_9:
	s_or_b32 exec_lo, exec_lo, s1
	v_add_nc_u32_e32 v6, 16, v4
	s_delay_alu instid0(VALU_DEP_1) | instskip(SKIP_1) | instid1(VALU_DEP_1)
	v_cmp_le_i32_e64 s1, v8, v6
	v_cmp_gt_i32_e64 s0, s15, v6
	s_and_b32 s1, s1, s0
	s_delay_alu instid0(SALU_CYCLE_1)
	s_and_saveexec_b32 s2, s1
	s_cbranch_execz .LBB1525_11
; %bb.10:
	v_mul_f64 v[10:11], v[10:11], s[6:7]
	v_ashrrev_i32_e32 v7, 31, v6
	s_delay_alu instid0(VALU_DEP_1) | instskip(NEXT) | instid1(VALU_DEP_1)
	v_lshlrev_b64 v[12:13], 3, v[6:7]
	v_add_co_u32 v12, s1, v9, v12
	s_delay_alu instid0(VALU_DEP_1)
	v_add_co_ci_u32_e64 v13, s1, v14, v13, s1
	global_store_b64 v[12:13], v[10:11], off
.LBB1525_11:
	s_or_b32 exec_lo, exec_lo, s2
	v_add_nc_u32_e32 v7, 16, v8
	s_delay_alu instid0(VALU_DEP_1) | instskip(SKIP_3) | instid1(VALU_DEP_4)
	v_ashrrev_i32_e32 v5, 31, v7
	v_mul_lo_u32 v10, v7, s19
	v_mad_u64_u32 v[8:9], null, v7, s18, 0
	v_cmp_le_i32_e64 s1, v7, v4
	v_mul_lo_u32 v5, v5, s18
	s_delay_alu instid0(VALU_DEP_1) | instskip(NEXT) | instid1(VALU_DEP_1)
	v_add3_u32 v9, v9, v10, v5
	v_lshlrev_b64 v[8:9], 3, v[8:9]
	s_delay_alu instid0(VALU_DEP_1) | instskip(NEXT) | instid1(VALU_DEP_1)
	v_add_co_u32 v8, s2, s16, v8
	v_add_co_ci_u32_e64 v9, s2, s17, v9, s2
	s_and_b32 s2, s1, vcc_lo
	s_delay_alu instid0(SALU_CYCLE_1)
	s_and_saveexec_b32 s1, s2
	s_cbranch_execz .LBB1525_13
; %bb.12:
	v_mul_f64 v[2:3], v[2:3], s[6:7]
	v_ashrrev_i32_e32 v5, 31, v4
	s_delay_alu instid0(VALU_DEP_1) | instskip(NEXT) | instid1(VALU_DEP_1)
	v_lshlrev_b64 v[4:5], 3, v[4:5]
	v_add_co_u32 v4, vcc_lo, v8, v4
	s_delay_alu instid0(VALU_DEP_2)
	v_add_co_ci_u32_e32 v5, vcc_lo, v9, v5, vcc_lo
	global_store_b64 v[4:5], v[2:3], off
.LBB1525_13:
	s_or_b32 exec_lo, exec_lo, s1
	v_cmp_le_i32_e32 vcc_lo, v7, v6
	s_and_b32 s0, vcc_lo, s0
	s_delay_alu instid0(SALU_CYCLE_1)
	s_and_saveexec_b32 s1, s0
	s_cbranch_execz .LBB1525_15
; %bb.14:
	v_mul_f64 v[0:1], v[0:1], s[6:7]
	v_ashrrev_i32_e32 v7, 31, v6
	s_delay_alu instid0(VALU_DEP_1) | instskip(NEXT) | instid1(VALU_DEP_1)
	v_lshlrev_b64 v[2:3], 3, v[6:7]
	v_add_co_u32 v2, vcc_lo, v8, v2
	s_delay_alu instid0(VALU_DEP_2)
	v_add_co_ci_u32_e32 v3, vcc_lo, v9, v3, vcc_lo
	global_store_b64 v[2:3], v[0:1], off
.LBB1525_15:
	s_nop 0
	s_sendmsg sendmsg(MSG_DEALLOC_VGPRS)
	s_endpgm
	.section	.rodata,"a",@progbits
	.p2align	6, 0x0
	.amdhsa_kernel _ZL34rocblas_syrkx_herkx_general_kernelIldLi16ELi32ELi8ELb1ELb0ELc84ELc76EKPKdKPdEviT_T0_PT8_S5_lS8_S5_lS6_PT9_S5_li
		.amdhsa_group_segment_fixed_size 4096
		.amdhsa_private_segment_fixed_size 0
		.amdhsa_kernarg_size 108
		.amdhsa_user_sgpr_count 13
		.amdhsa_user_sgpr_dispatch_ptr 0
		.amdhsa_user_sgpr_queue_ptr 0
		.amdhsa_user_sgpr_kernarg_segment_ptr 1
		.amdhsa_user_sgpr_dispatch_id 0
		.amdhsa_user_sgpr_private_segment_size 0
		.amdhsa_wavefront_size32 1
		.amdhsa_uses_dynamic_stack 0
		.amdhsa_enable_private_segment 0
		.amdhsa_system_sgpr_workgroup_id_x 1
		.amdhsa_system_sgpr_workgroup_id_y 1
		.amdhsa_system_sgpr_workgroup_id_z 1
		.amdhsa_system_sgpr_workgroup_info 0
		.amdhsa_system_vgpr_workitem_id 1
		.amdhsa_next_free_vgpr 42
		.amdhsa_next_free_sgpr 23
		.amdhsa_reserve_vcc 1
		.amdhsa_float_round_mode_32 0
		.amdhsa_float_round_mode_16_64 0
		.amdhsa_float_denorm_mode_32 3
		.amdhsa_float_denorm_mode_16_64 3
		.amdhsa_dx10_clamp 1
		.amdhsa_ieee_mode 1
		.amdhsa_fp16_overflow 0
		.amdhsa_workgroup_processor_mode 1
		.amdhsa_memory_ordered 1
		.amdhsa_forward_progress 0
		.amdhsa_shared_vgpr_count 0
		.amdhsa_exception_fp_ieee_invalid_op 0
		.amdhsa_exception_fp_denorm_src 0
		.amdhsa_exception_fp_ieee_div_zero 0
		.amdhsa_exception_fp_ieee_overflow 0
		.amdhsa_exception_fp_ieee_underflow 0
		.amdhsa_exception_fp_ieee_inexact 0
		.amdhsa_exception_int_div_zero 0
	.end_amdhsa_kernel
	.section	.text._ZL34rocblas_syrkx_herkx_general_kernelIldLi16ELi32ELi8ELb1ELb0ELc84ELc76EKPKdKPdEviT_T0_PT8_S5_lS8_S5_lS6_PT9_S5_li,"axG",@progbits,_ZL34rocblas_syrkx_herkx_general_kernelIldLi16ELi32ELi8ELb1ELb0ELc84ELc76EKPKdKPdEviT_T0_PT8_S5_lS8_S5_lS6_PT9_S5_li,comdat
.Lfunc_end1525:
	.size	_ZL34rocblas_syrkx_herkx_general_kernelIldLi16ELi32ELi8ELb1ELb0ELc84ELc76EKPKdKPdEviT_T0_PT8_S5_lS8_S5_lS6_PT9_S5_li, .Lfunc_end1525-_ZL34rocblas_syrkx_herkx_general_kernelIldLi16ELi32ELi8ELb1ELb0ELc84ELc76EKPKdKPdEviT_T0_PT8_S5_lS8_S5_lS6_PT9_S5_li
                                        ; -- End function
	.section	.AMDGPU.csdata,"",@progbits
; Kernel info:
; codeLenInByte = 1640
; NumSgprs: 25
; NumVgprs: 42
; ScratchSize: 0
; MemoryBound: 0
; FloatMode: 240
; IeeeMode: 1
; LDSByteSize: 4096 bytes/workgroup (compile time only)
; SGPRBlocks: 3
; VGPRBlocks: 5
; NumSGPRsForWavesPerEU: 25
; NumVGPRsForWavesPerEU: 42
; Occupancy: 16
; WaveLimiterHint : 1
; COMPUTE_PGM_RSRC2:SCRATCH_EN: 0
; COMPUTE_PGM_RSRC2:USER_SGPR: 13
; COMPUTE_PGM_RSRC2:TRAP_HANDLER: 0
; COMPUTE_PGM_RSRC2:TGID_X_EN: 1
; COMPUTE_PGM_RSRC2:TGID_Y_EN: 1
; COMPUTE_PGM_RSRC2:TGID_Z_EN: 1
; COMPUTE_PGM_RSRC2:TIDIG_COMP_CNT: 1
	.section	.text._ZL34rocblas_syrkx_herkx_general_kernelIldLi16ELi32ELi8ELb1ELb0ELc67ELc76EKPKdKPdEviT_T0_PT8_S5_lS8_S5_lS6_PT9_S5_li,"axG",@progbits,_ZL34rocblas_syrkx_herkx_general_kernelIldLi16ELi32ELi8ELb1ELb0ELc67ELc76EKPKdKPdEviT_T0_PT8_S5_lS8_S5_lS6_PT9_S5_li,comdat
	.globl	_ZL34rocblas_syrkx_herkx_general_kernelIldLi16ELi32ELi8ELb1ELb0ELc67ELc76EKPKdKPdEviT_T0_PT8_S5_lS8_S5_lS6_PT9_S5_li ; -- Begin function _ZL34rocblas_syrkx_herkx_general_kernelIldLi16ELi32ELi8ELb1ELb0ELc67ELc76EKPKdKPdEviT_T0_PT8_S5_lS8_S5_lS6_PT9_S5_li
	.p2align	8
	.type	_ZL34rocblas_syrkx_herkx_general_kernelIldLi16ELi32ELi8ELb1ELb0ELc67ELc76EKPKdKPdEviT_T0_PT8_S5_lS8_S5_lS6_PT9_S5_li,@function
_ZL34rocblas_syrkx_herkx_general_kernelIldLi16ELi32ELi8ELb1ELb0ELc67ELc76EKPKdKPdEviT_T0_PT8_S5_lS8_S5_lS6_PT9_S5_li: ; @_ZL34rocblas_syrkx_herkx_general_kernelIldLi16ELi32ELi8ELb1ELb0ELc67ELc76EKPKdKPdEviT_T0_PT8_S5_lS8_S5_lS6_PT9_S5_li
; %bb.0:
	s_clause 0x1
	s_load_b128 s[16:19], s[0:1], 0x50
	s_load_b256 s[4:11], s[0:1], 0x8
	s_mov_b32 s2, s15
	s_mov_b32 s3, 0
	v_mov_b32_e32 v12, 0
	s_lshl_b64 s[20:21], s[2:3], 3
	v_dual_mov_b32 v13, 0 :: v_dual_and_b32 v18, 0x3ff, v0
	v_bfe_u32 v19, v0, 10, 10
	s_delay_alu instid0(VALU_DEP_3) | instskip(NEXT) | instid1(VALU_DEP_3)
	v_mov_b32_e32 v10, v12
	v_dual_mov_b32 v2, v12 :: v_dual_mov_b32 v3, v13
	v_dual_mov_b32 v11, v13 :: v_dual_mov_b32 v0, v12
	v_mov_b32_e32 v1, v13
	s_waitcnt lgkmcnt(0)
	s_add_u32 s2, s16, s20
	s_addc_u32 s3, s17, s21
	s_load_b32 s15, s[0:1], 0x0
	s_load_b64 s[16:17], s[2:3], 0x0
	v_cmp_lt_i64_e64 s2, s[4:5], 1
	s_lshl_b32 s22, s13, 5
	s_lshl_b32 s14, s14, 5
	s_mov_b64 s[12:13], 0
	s_delay_alu instid0(VALU_DEP_1)
	s_and_b32 vcc_lo, exec_lo, s2
	s_cbranch_vccnz .LBB1526_7
; %bb.1:
	s_load_b128 s[0:3], s[0:1], 0x30
	v_lshl_add_u32 v0, v19, 4, v18
	v_and_b32_e32 v20, 7, v18
	v_lshl_add_u32 v25, v19, 6, 0x800
	s_delay_alu instid0(VALU_DEP_3) | instskip(SKIP_3) | instid1(VALU_DEP_4)
	v_and_b32_e32 v1, 31, v0
	v_lshrrev_b32_e32 v4, 3, v0
	v_lshrrev_b32_e32 v21, 5, v0
	v_lshlrev_b32_e32 v6, 3, v20
	v_add_nc_u32_e32 v2, s22, v1
	s_delay_alu instid0(VALU_DEP_4)
	v_add_nc_u32_e32 v5, s14, v4
	v_or_b32_e32 v7, s22, v1
	v_lshlrev_b32_e32 v8, 3, v1
	v_lshl_or_b32 v4, v4, 6, v6
	v_ashrrev_i32_e32 v9, 31, v2
	v_ashrrev_i32_e32 v3, 31, v5
	v_mul_lo_u32 v10, s11, v2
	v_mad_u64_u32 v[0:1], null, s10, v2, 0
	s_waitcnt lgkmcnt(0)
	s_add_u32 s0, s0, s20
	v_mul_lo_u32 v9, s10, v9
	s_addc_u32 s1, s1, s21
	s_add_u32 s8, s8, s20
	v_mul_lo_u32 v11, s2, v3
	v_mul_lo_u32 v12, s3, v5
	s_addc_u32 s9, s9, s21
	v_mad_u64_u32 v[2:3], null, s2, v5, 0
	s_load_b64 s[2:3], s[8:9], 0x0
	s_load_b64 s[10:11], s[0:1], 0x0
	v_add3_u32 v1, v1, v9, v10
	v_add_nc_u32_e32 v23, 0x800, v4
	v_lshlrev_b32_e32 v4, 3, v21
	v_cmp_gt_i32_e64 s1, s15, v5
	v_add3_u32 v3, v3, v11, v12
	v_lshlrev_b64 v[0:1], 3, v[0:1]
	v_cmp_gt_i32_e64 s0, s15, v7
	s_delay_alu instid0(VALU_DEP_3) | instskip(NEXT) | instid1(VALU_DEP_3)
	v_lshlrev_b64 v[2:3], 3, v[2:3]
	v_add_co_u32 v0, vcc_lo, v0, v4
	s_delay_alu instid0(VALU_DEP_4) | instskip(NEXT) | instid1(VALU_DEP_3)
	v_add_co_ci_u32_e32 v1, vcc_lo, 0, v1, vcc_lo
	v_add_co_u32 v2, vcc_lo, v2, v6
	v_mov_b32_e32 v4, 0
	v_mov_b32_e32 v5, 0
	v_add_co_ci_u32_e32 v3, vcc_lo, 0, v3, vcc_lo
	s_waitcnt lgkmcnt(0)
	v_add_co_u32 v6, vcc_lo, s2, v0
	v_add_co_ci_u32_e32 v7, vcc_lo, s3, v1, vcc_lo
	v_dual_mov_b32 v0, v4 :: v_dual_mov_b32 v11, v5
	v_lshl_or_b32 v22, v21, 8, v8
	v_add_co_u32 v8, vcc_lo, s10, v2
	v_dual_mov_b32 v13, v5 :: v_dual_lshlrev_b32 v24, 3, v18
	v_add_co_ci_u32_e32 v9, vcc_lo, s11, v3, vcc_lo
	v_dual_mov_b32 v2, v4 :: v_dual_mov_b32 v1, v5
	v_dual_mov_b32 v3, v5 :: v_dual_mov_b32 v10, v4
	v_mov_b32_e32 v12, v4
	s_branch .LBB1526_3
.LBB1526_2:                             ;   in Loop: Header=BB1526_3 Depth=1
	s_or_b32 exec_lo, exec_lo, s2
	s_waitcnt vmcnt(0)
	ds_store_b64 v23, v[16:17]
	s_waitcnt lgkmcnt(0)
	s_barrier
	buffer_gl0_inv
	ds_load_2addr_b64 v[14:17], v24 offset1:16
	ds_load_b128 v[26:29], v25
	ds_load_b128 v[30:33], v25 offset:1024
	ds_load_b128 v[34:37], v25 offset:16
	ds_load_b128 v[38:41], v25 offset:1040
	s_add_u32 s12, s12, 8
	s_addc_u32 s13, s13, 0
	v_add_co_u32 v6, vcc_lo, v6, 64
	v_cmp_ge_i64_e64 s2, s[12:13], s[4:5]
	v_add_co_ci_u32_e32 v7, vcc_lo, 0, v7, vcc_lo
	v_add_co_u32 v8, vcc_lo, v8, 64
	v_add_co_ci_u32_e32 v9, vcc_lo, 0, v9, vcc_lo
	s_delay_alu instid0(VALU_DEP_4)
	s_and_b32 vcc_lo, exec_lo, s2
	s_waitcnt lgkmcnt(3)
	v_fma_f64 v[12:13], v[14:15], v[26:27], v[12:13]
	v_fma_f64 v[10:11], v[16:17], v[26:27], v[10:11]
	s_waitcnt lgkmcnt(2)
	v_fma_f64 v[14:15], v[14:15], v[30:31], v[2:3]
	v_fma_f64 v[16:17], v[16:17], v[30:31], v[0:1]
	ds_load_2addr_b64 v[0:3], v24 offset0:32 offset1:48
	s_waitcnt lgkmcnt(0)
	v_fma_f64 v[12:13], v[0:1], v[28:29], v[12:13]
	v_fma_f64 v[10:11], v[2:3], v[28:29], v[10:11]
	v_fma_f64 v[14:15], v[0:1], v[32:33], v[14:15]
	v_fma_f64 v[16:17], v[2:3], v[32:33], v[16:17]
	ds_load_2addr_b64 v[0:3], v24 offset0:64 offset1:80
	s_waitcnt lgkmcnt(0)
	v_fma_f64 v[12:13], v[0:1], v[34:35], v[12:13]
	v_fma_f64 v[10:11], v[2:3], v[34:35], v[10:11]
	;; [unrolled: 6-line block ×3, first 2 shown]
	v_fma_f64 v[38:39], v[0:1], v[40:41], v[14:15]
	v_fma_f64 v[40:41], v[2:3], v[40:41], v[16:17]
	ds_load_2addr_b64 v[0:3], v24 offset0:128 offset1:144
	ds_load_b128 v[10:13], v25 offset:32
	ds_load_b128 v[14:17], v25 offset:1056
	;; [unrolled: 1-line block ×4, first 2 shown]
	s_waitcnt lgkmcnt(3)
	v_fma_f64 v[34:35], v[0:1], v[10:11], v[34:35]
	v_fma_f64 v[10:11], v[2:3], v[10:11], v[36:37]
	s_waitcnt lgkmcnt(2)
	v_fma_f64 v[36:37], v[0:1], v[14:15], v[38:39]
	v_fma_f64 v[14:15], v[2:3], v[14:15], v[40:41]
	ds_load_2addr_b64 v[0:3], v24 offset0:160 offset1:176
	s_waitcnt lgkmcnt(0)
	v_fma_f64 v[34:35], v[0:1], v[12:13], v[34:35]
	v_fma_f64 v[10:11], v[2:3], v[12:13], v[10:11]
	;; [unrolled: 1-line block ×4, first 2 shown]
	ds_load_2addr_b64 v[0:3], v24 offset0:192 offset1:208
	s_waitcnt lgkmcnt(0)
	v_fma_f64 v[34:35], v[0:1], v[26:27], v[34:35]
	v_fma_f64 v[10:11], v[2:3], v[26:27], v[10:11]
	v_fma_f64 v[0:1], v[0:1], v[30:31], v[12:13]
	v_fma_f64 v[26:27], v[2:3], v[30:31], v[14:15]
	ds_load_2addr_b64 v[14:17], v24 offset0:224 offset1:240
	s_waitcnt lgkmcnt(0)
	s_barrier
	buffer_gl0_inv
	v_fma_f64 v[12:13], v[14:15], v[28:29], v[34:35]
	v_fma_f64 v[10:11], v[16:17], v[28:29], v[10:11]
	;; [unrolled: 1-line block ×4, first 2 shown]
	s_cbranch_vccnz .LBB1526_7
.LBB1526_3:                             ; =>This Inner Loop Header: Depth=1
	v_add_co_u32 v14, s2, v21, s12
	s_delay_alu instid0(VALU_DEP_1) | instskip(NEXT) | instid1(VALU_DEP_1)
	v_add_co_ci_u32_e64 v15, null, 0, s13, s2
	v_cmp_gt_i64_e32 vcc_lo, s[4:5], v[14:15]
	v_dual_mov_b32 v15, v5 :: v_dual_mov_b32 v14, v4
	s_and_b32 s3, s0, vcc_lo
	s_delay_alu instid0(SALU_CYCLE_1)
	s_and_saveexec_b32 s2, s3
	s_cbranch_execz .LBB1526_5
; %bb.4:                                ;   in Loop: Header=BB1526_3 Depth=1
	global_load_b64 v[14:15], v[6:7], off
.LBB1526_5:                             ;   in Loop: Header=BB1526_3 Depth=1
	s_or_b32 exec_lo, exec_lo, s2
	v_add_co_u32 v16, s2, v20, s12
	s_delay_alu instid0(VALU_DEP_1)
	v_add_co_ci_u32_e64 v17, null, 0, s13, s2
	s_waitcnt vmcnt(0)
	ds_store_b64 v22, v[14:15]
	v_cmp_gt_i64_e32 vcc_lo, s[4:5], v[16:17]
	v_dual_mov_b32 v17, v5 :: v_dual_mov_b32 v16, v4
	s_and_b32 s3, vcc_lo, s1
	s_delay_alu instid0(SALU_CYCLE_1)
	s_and_saveexec_b32 s2, s3
	s_cbranch_execz .LBB1526_2
; %bb.6:                                ;   in Loop: Header=BB1526_3 Depth=1
	global_load_b64 v[16:17], v[8:9], off
	s_branch .LBB1526_2
.LBB1526_7:
	v_add_nc_u32_e32 v8, s14, v19
	s_delay_alu instid0(VALU_DEP_1) | instskip(SKIP_2) | instid1(VALU_DEP_3)
	v_ashrrev_i32_e32 v4, 31, v8
	v_mul_lo_u32 v7, v8, s19
	v_mad_u64_u32 v[5:6], null, v8, s18, 0
	v_mul_lo_u32 v4, v4, s18
	s_delay_alu instid0(VALU_DEP_1) | instskip(SKIP_1) | instid1(VALU_DEP_2)
	v_add3_u32 v6, v6, v7, v4
	v_add_nc_u32_e32 v4, s22, v18
	v_lshlrev_b64 v[5:6], 3, v[5:6]
	s_delay_alu instid0(VALU_DEP_2) | instskip(SKIP_2) | instid1(VALU_DEP_3)
	v_cmp_le_i32_e64 s0, v8, v4
	s_waitcnt lgkmcnt(0)
	v_cmp_gt_i32_e32 vcc_lo, s15, v4
	v_add_co_u32 v9, s1, s16, v5
	s_delay_alu instid0(VALU_DEP_1) | instskip(SKIP_1) | instid1(SALU_CYCLE_1)
	v_add_co_ci_u32_e64 v14, s1, s17, v6, s1
	s_and_b32 s0, s0, vcc_lo
	s_and_saveexec_b32 s1, s0
	s_cbranch_execz .LBB1526_9
; %bb.8:
	v_mul_f64 v[6:7], v[12:13], s[6:7]
	v_ashrrev_i32_e32 v5, 31, v4
	s_delay_alu instid0(VALU_DEP_1) | instskip(NEXT) | instid1(VALU_DEP_1)
	v_lshlrev_b64 v[12:13], 3, v[4:5]
	v_add_co_u32 v12, s0, v9, v12
	s_delay_alu instid0(VALU_DEP_1)
	v_add_co_ci_u32_e64 v13, s0, v14, v13, s0
	global_store_b64 v[12:13], v[6:7], off
.LBB1526_9:
	s_or_b32 exec_lo, exec_lo, s1
	v_add_nc_u32_e32 v6, 16, v4
	s_delay_alu instid0(VALU_DEP_1) | instskip(SKIP_1) | instid1(VALU_DEP_1)
	v_cmp_le_i32_e64 s1, v8, v6
	v_cmp_gt_i32_e64 s0, s15, v6
	s_and_b32 s1, s1, s0
	s_delay_alu instid0(SALU_CYCLE_1)
	s_and_saveexec_b32 s2, s1
	s_cbranch_execz .LBB1526_11
; %bb.10:
	v_mul_f64 v[10:11], v[10:11], s[6:7]
	v_ashrrev_i32_e32 v7, 31, v6
	s_delay_alu instid0(VALU_DEP_1) | instskip(NEXT) | instid1(VALU_DEP_1)
	v_lshlrev_b64 v[12:13], 3, v[6:7]
	v_add_co_u32 v12, s1, v9, v12
	s_delay_alu instid0(VALU_DEP_1)
	v_add_co_ci_u32_e64 v13, s1, v14, v13, s1
	global_store_b64 v[12:13], v[10:11], off
.LBB1526_11:
	s_or_b32 exec_lo, exec_lo, s2
	v_add_nc_u32_e32 v7, 16, v8
	s_delay_alu instid0(VALU_DEP_1) | instskip(SKIP_3) | instid1(VALU_DEP_4)
	v_ashrrev_i32_e32 v5, 31, v7
	v_mul_lo_u32 v10, v7, s19
	v_mad_u64_u32 v[8:9], null, v7, s18, 0
	v_cmp_le_i32_e64 s1, v7, v4
	v_mul_lo_u32 v5, v5, s18
	s_delay_alu instid0(VALU_DEP_1) | instskip(NEXT) | instid1(VALU_DEP_1)
	v_add3_u32 v9, v9, v10, v5
	v_lshlrev_b64 v[8:9], 3, v[8:9]
	s_delay_alu instid0(VALU_DEP_1) | instskip(NEXT) | instid1(VALU_DEP_1)
	v_add_co_u32 v8, s2, s16, v8
	v_add_co_ci_u32_e64 v9, s2, s17, v9, s2
	s_and_b32 s2, s1, vcc_lo
	s_delay_alu instid0(SALU_CYCLE_1)
	s_and_saveexec_b32 s1, s2
	s_cbranch_execz .LBB1526_13
; %bb.12:
	v_mul_f64 v[2:3], v[2:3], s[6:7]
	v_ashrrev_i32_e32 v5, 31, v4
	s_delay_alu instid0(VALU_DEP_1) | instskip(NEXT) | instid1(VALU_DEP_1)
	v_lshlrev_b64 v[4:5], 3, v[4:5]
	v_add_co_u32 v4, vcc_lo, v8, v4
	s_delay_alu instid0(VALU_DEP_2)
	v_add_co_ci_u32_e32 v5, vcc_lo, v9, v5, vcc_lo
	global_store_b64 v[4:5], v[2:3], off
.LBB1526_13:
	s_or_b32 exec_lo, exec_lo, s1
	v_cmp_le_i32_e32 vcc_lo, v7, v6
	s_and_b32 s0, vcc_lo, s0
	s_delay_alu instid0(SALU_CYCLE_1)
	s_and_saveexec_b32 s1, s0
	s_cbranch_execz .LBB1526_15
; %bb.14:
	v_mul_f64 v[0:1], v[0:1], s[6:7]
	v_ashrrev_i32_e32 v7, 31, v6
	s_delay_alu instid0(VALU_DEP_1) | instskip(NEXT) | instid1(VALU_DEP_1)
	v_lshlrev_b64 v[2:3], 3, v[6:7]
	v_add_co_u32 v2, vcc_lo, v8, v2
	s_delay_alu instid0(VALU_DEP_2)
	v_add_co_ci_u32_e32 v3, vcc_lo, v9, v3, vcc_lo
	global_store_b64 v[2:3], v[0:1], off
.LBB1526_15:
	s_nop 0
	s_sendmsg sendmsg(MSG_DEALLOC_VGPRS)
	s_endpgm
	.section	.rodata,"a",@progbits
	.p2align	6, 0x0
	.amdhsa_kernel _ZL34rocblas_syrkx_herkx_general_kernelIldLi16ELi32ELi8ELb1ELb0ELc67ELc76EKPKdKPdEviT_T0_PT8_S5_lS8_S5_lS6_PT9_S5_li
		.amdhsa_group_segment_fixed_size 4096
		.amdhsa_private_segment_fixed_size 0
		.amdhsa_kernarg_size 108
		.amdhsa_user_sgpr_count 13
		.amdhsa_user_sgpr_dispatch_ptr 0
		.amdhsa_user_sgpr_queue_ptr 0
		.amdhsa_user_sgpr_kernarg_segment_ptr 1
		.amdhsa_user_sgpr_dispatch_id 0
		.amdhsa_user_sgpr_private_segment_size 0
		.amdhsa_wavefront_size32 1
		.amdhsa_uses_dynamic_stack 0
		.amdhsa_enable_private_segment 0
		.amdhsa_system_sgpr_workgroup_id_x 1
		.amdhsa_system_sgpr_workgroup_id_y 1
		.amdhsa_system_sgpr_workgroup_id_z 1
		.amdhsa_system_sgpr_workgroup_info 0
		.amdhsa_system_vgpr_workitem_id 1
		.amdhsa_next_free_vgpr 42
		.amdhsa_next_free_sgpr 23
		.amdhsa_reserve_vcc 1
		.amdhsa_float_round_mode_32 0
		.amdhsa_float_round_mode_16_64 0
		.amdhsa_float_denorm_mode_32 3
		.amdhsa_float_denorm_mode_16_64 3
		.amdhsa_dx10_clamp 1
		.amdhsa_ieee_mode 1
		.amdhsa_fp16_overflow 0
		.amdhsa_workgroup_processor_mode 1
		.amdhsa_memory_ordered 1
		.amdhsa_forward_progress 0
		.amdhsa_shared_vgpr_count 0
		.amdhsa_exception_fp_ieee_invalid_op 0
		.amdhsa_exception_fp_denorm_src 0
		.amdhsa_exception_fp_ieee_div_zero 0
		.amdhsa_exception_fp_ieee_overflow 0
		.amdhsa_exception_fp_ieee_underflow 0
		.amdhsa_exception_fp_ieee_inexact 0
		.amdhsa_exception_int_div_zero 0
	.end_amdhsa_kernel
	.section	.text._ZL34rocblas_syrkx_herkx_general_kernelIldLi16ELi32ELi8ELb1ELb0ELc67ELc76EKPKdKPdEviT_T0_PT8_S5_lS8_S5_lS6_PT9_S5_li,"axG",@progbits,_ZL34rocblas_syrkx_herkx_general_kernelIldLi16ELi32ELi8ELb1ELb0ELc67ELc76EKPKdKPdEviT_T0_PT8_S5_lS8_S5_lS6_PT9_S5_li,comdat
.Lfunc_end1526:
	.size	_ZL34rocblas_syrkx_herkx_general_kernelIldLi16ELi32ELi8ELb1ELb0ELc67ELc76EKPKdKPdEviT_T0_PT8_S5_lS8_S5_lS6_PT9_S5_li, .Lfunc_end1526-_ZL34rocblas_syrkx_herkx_general_kernelIldLi16ELi32ELi8ELb1ELb0ELc67ELc76EKPKdKPdEviT_T0_PT8_S5_lS8_S5_lS6_PT9_S5_li
                                        ; -- End function
	.section	.AMDGPU.csdata,"",@progbits
; Kernel info:
; codeLenInByte = 1640
; NumSgprs: 25
; NumVgprs: 42
; ScratchSize: 0
; MemoryBound: 0
; FloatMode: 240
; IeeeMode: 1
; LDSByteSize: 4096 bytes/workgroup (compile time only)
; SGPRBlocks: 3
; VGPRBlocks: 5
; NumSGPRsForWavesPerEU: 25
; NumVGPRsForWavesPerEU: 42
; Occupancy: 16
; WaveLimiterHint : 1
; COMPUTE_PGM_RSRC2:SCRATCH_EN: 0
; COMPUTE_PGM_RSRC2:USER_SGPR: 13
; COMPUTE_PGM_RSRC2:TRAP_HANDLER: 0
; COMPUTE_PGM_RSRC2:TGID_X_EN: 1
; COMPUTE_PGM_RSRC2:TGID_Y_EN: 1
; COMPUTE_PGM_RSRC2:TGID_Z_EN: 1
; COMPUTE_PGM_RSRC2:TIDIG_COMP_CNT: 1
	.section	.text._ZL34rocblas_syrkx_herkx_general_kernelIldLi16ELi32ELi8ELb1ELb0ELc78ELc76EKPKdKPdEviT_T0_PT8_S5_lS8_S5_lS6_PT9_S5_li,"axG",@progbits,_ZL34rocblas_syrkx_herkx_general_kernelIldLi16ELi32ELi8ELb1ELb0ELc78ELc76EKPKdKPdEviT_T0_PT8_S5_lS8_S5_lS6_PT9_S5_li,comdat
	.globl	_ZL34rocblas_syrkx_herkx_general_kernelIldLi16ELi32ELi8ELb1ELb0ELc78ELc76EKPKdKPdEviT_T0_PT8_S5_lS8_S5_lS6_PT9_S5_li ; -- Begin function _ZL34rocblas_syrkx_herkx_general_kernelIldLi16ELi32ELi8ELb1ELb0ELc78ELc76EKPKdKPdEviT_T0_PT8_S5_lS8_S5_lS6_PT9_S5_li
	.p2align	8
	.type	_ZL34rocblas_syrkx_herkx_general_kernelIldLi16ELi32ELi8ELb1ELb0ELc78ELc76EKPKdKPdEviT_T0_PT8_S5_lS8_S5_lS6_PT9_S5_li,@function
_ZL34rocblas_syrkx_herkx_general_kernelIldLi16ELi32ELi8ELb1ELb0ELc78ELc76EKPKdKPdEviT_T0_PT8_S5_lS8_S5_lS6_PT9_S5_li: ; @_ZL34rocblas_syrkx_herkx_general_kernelIldLi16ELi32ELi8ELb1ELb0ELc78ELc76EKPKdKPdEviT_T0_PT8_S5_lS8_S5_lS6_PT9_S5_li
; %bb.0:
	s_clause 0x1
	s_load_b128 s[16:19], s[0:1], 0x50
	s_load_b256 s[4:11], s[0:1], 0x8
	s_mov_b32 s2, s15
	s_mov_b32 s3, 0
	v_mov_b32_e32 v12, 0
	s_lshl_b64 s[20:21], s[2:3], 3
	v_dual_mov_b32 v13, 0 :: v_dual_and_b32 v18, 0x3ff, v0
	v_bfe_u32 v19, v0, 10, 10
	s_delay_alu instid0(VALU_DEP_3) | instskip(NEXT) | instid1(VALU_DEP_3)
	v_mov_b32_e32 v10, v12
	v_dual_mov_b32 v4, v12 :: v_dual_mov_b32 v5, v13
	v_dual_mov_b32 v11, v13 :: v_dual_mov_b32 v2, v12
	v_mov_b32_e32 v3, v13
	s_waitcnt lgkmcnt(0)
	s_add_u32 s2, s16, s20
	s_addc_u32 s3, s17, s21
	s_load_b32 s22, s[0:1], 0x0
	s_load_b64 s[2:3], s[2:3], 0x0
	v_cmp_lt_i64_e64 s12, s[4:5], 1
	s_lshl_b32 s23, s13, 5
	s_lshl_b32 s24, s14, 5
	s_mov_b64 s[16:17], 0
	s_delay_alu instid0(VALU_DEP_1)
	s_and_b32 vcc_lo, exec_lo, s12
	s_cbranch_vccnz .LBB1527_7
; %bb.1:
	s_load_b128 s[12:15], s[0:1], 0x30
	v_lshl_add_u32 v2, v19, 4, v18
	v_and_b32_e32 v20, 7, v18
	v_dual_mov_b32 v0, 0 :: v_dual_lshlrev_b32 v21, 3, v18
	v_mov_b32_e32 v1, 0
	s_delay_alu instid0(VALU_DEP_4) | instskip(SKIP_3) | instid1(VALU_DEP_4)
	v_lshrrev_b32_e32 v23, 5, v2
	v_lshrrev_b32_e32 v3, 3, v2
	v_and_b32_e32 v9, 31, v2
	v_lshl_add_u32 v22, v19, 6, 0x800
	v_mad_u64_u32 v[4:5], null, s10, v23, 0
	v_lshlrev_b32_e32 v10, 3, v20
	s_delay_alu instid0(VALU_DEP_4) | instskip(SKIP_1) | instid1(VALU_DEP_3)
	v_or_b32_e32 v11, s23, v9
	v_lshlrev_b32_e32 v13, 3, v9
	v_lshl_or_b32 v14, v3, 6, v10
	s_waitcnt lgkmcnt(0)
	s_delay_alu instid0(VALU_DEP_3)
	v_cmp_gt_i32_e64 s0, s22, v11
	v_mad_u64_u32 v[6:7], null, s14, v20, 0
	v_dual_mov_b32 v3, v5 :: v_dual_add_nc_u32 v2, s24, v3
	s_add_u32 s12, s12, s20
	s_addc_u32 s13, s13, s21
	s_add_u32 s8, s8, s20
	s_addc_u32 s9, s9, s21
	s_delay_alu instid0(VALU_DEP_2) | instskip(SKIP_3) | instid1(VALU_DEP_3)
	v_mov_b32_e32 v5, v7
	v_mad_u64_u32 v[10:11], null, s11, v23, v[3:4]
	v_add_nc_u32_e32 v8, s23, v9
	s_load_b64 s[8:9], s[8:9], 0x0
	v_mad_u64_u32 v[11:12], null, s15, v20, v[5:6]
	s_load_b64 s[12:13], s[12:13], 0x0
	v_ashrrev_i32_e32 v3, 31, v2
	s_delay_alu instid0(VALU_DEP_4)
	v_mov_b32_e32 v5, v10
	v_ashrrev_i32_e32 v9, 31, v8
	v_cmp_gt_i32_e64 s1, s22, v2
	v_add_nc_u32_e32 v25, 0x800, v14
	v_mov_b32_e32 v7, v11
	v_lshlrev_b64 v[4:5], 3, v[4:5]
	v_lshlrev_b64 v[8:9], 3, v[8:9]
	v_dual_mov_b32 v11, v1 :: v_dual_mov_b32 v10, v0
	v_lshlrev_b64 v[2:3], 3, v[2:3]
	v_lshlrev_b64 v[6:7], 3, v[6:7]
	s_delay_alu instid0(VALU_DEP_4) | instskip(SKIP_1) | instid1(VALU_DEP_3)
	v_add_co_u32 v4, vcc_lo, v4, v8
	v_add_co_ci_u32_e32 v5, vcc_lo, v5, v9, vcc_lo
	v_add_co_u32 v2, vcc_lo, v6, v2
	s_delay_alu instid0(VALU_DEP_4)
	v_add_co_ci_u32_e32 v3, vcc_lo, v7, v3, vcc_lo
	s_waitcnt lgkmcnt(0)
	v_add_co_u32 v6, vcc_lo, s8, v4
	v_add_co_ci_u32_e32 v7, vcc_lo, s9, v5, vcc_lo
	v_add_co_u32 v8, vcc_lo, s12, v2
	v_mov_b32_e32 v5, v1
	v_add_co_ci_u32_e32 v9, vcc_lo, s13, v3, vcc_lo
	v_dual_mov_b32 v3, v1 :: v_dual_mov_b32 v4, v0
	v_lshl_or_b32 v24, v23, 8, v13
	v_dual_mov_b32 v13, v1 :: v_dual_mov_b32 v2, v0
	v_mov_b32_e32 v12, v0
	s_lshl_b64 s[8:9], s[10:11], 6
	s_lshl_b64 s[10:11], s[14:15], 6
	s_branch .LBB1527_3
.LBB1527_2:                             ;   in Loop: Header=BB1527_3 Depth=1
	s_or_b32 exec_lo, exec_lo, s12
	s_waitcnt vmcnt(0)
	ds_store_b64 v25, v[16:17]
	s_waitcnt lgkmcnt(0)
	s_barrier
	buffer_gl0_inv
	ds_load_2addr_b64 v[14:17], v21 offset1:16
	ds_load_b128 v[26:29], v22
	ds_load_b128 v[30:33], v22 offset:1024
	ds_load_b128 v[34:37], v22 offset:16
	;; [unrolled: 1-line block ×3, first 2 shown]
	s_add_u32 s16, s16, 8
	s_addc_u32 s17, s17, 0
	v_add_co_u32 v6, vcc_lo, v6, s8
	v_cmp_ge_i64_e64 s12, s[16:17], s[4:5]
	v_add_co_ci_u32_e32 v7, vcc_lo, s9, v7, vcc_lo
	v_add_co_u32 v8, vcc_lo, v8, s10
	v_add_co_ci_u32_e32 v9, vcc_lo, s11, v9, vcc_lo
	s_delay_alu instid0(VALU_DEP_4)
	s_and_b32 vcc_lo, exec_lo, s12
	s_waitcnt lgkmcnt(3)
	v_fma_f64 v[12:13], v[14:15], v[26:27], v[12:13]
	v_fma_f64 v[10:11], v[16:17], v[26:27], v[10:11]
	s_waitcnt lgkmcnt(2)
	v_fma_f64 v[14:15], v[14:15], v[30:31], v[4:5]
	v_fma_f64 v[16:17], v[16:17], v[30:31], v[2:3]
	ds_load_2addr_b64 v[2:5], v21 offset0:32 offset1:48
	s_waitcnt lgkmcnt(0)
	v_fma_f64 v[12:13], v[2:3], v[28:29], v[12:13]
	v_fma_f64 v[10:11], v[4:5], v[28:29], v[10:11]
	v_fma_f64 v[14:15], v[2:3], v[32:33], v[14:15]
	v_fma_f64 v[16:17], v[4:5], v[32:33], v[16:17]
	ds_load_2addr_b64 v[2:5], v21 offset0:64 offset1:80
	s_waitcnt lgkmcnt(0)
	v_fma_f64 v[12:13], v[2:3], v[34:35], v[12:13]
	v_fma_f64 v[10:11], v[4:5], v[34:35], v[10:11]
	;; [unrolled: 6-line block ×3, first 2 shown]
	v_fma_f64 v[38:39], v[2:3], v[40:41], v[14:15]
	v_fma_f64 v[40:41], v[4:5], v[40:41], v[16:17]
	ds_load_2addr_b64 v[2:5], v21 offset0:128 offset1:144
	ds_load_b128 v[10:13], v22 offset:32
	ds_load_b128 v[14:17], v22 offset:1056
	;; [unrolled: 1-line block ×4, first 2 shown]
	s_waitcnt lgkmcnt(3)
	v_fma_f64 v[34:35], v[2:3], v[10:11], v[34:35]
	v_fma_f64 v[10:11], v[4:5], v[10:11], v[36:37]
	s_waitcnt lgkmcnt(2)
	v_fma_f64 v[36:37], v[2:3], v[14:15], v[38:39]
	v_fma_f64 v[14:15], v[4:5], v[14:15], v[40:41]
	ds_load_2addr_b64 v[2:5], v21 offset0:160 offset1:176
	s_waitcnt lgkmcnt(0)
	v_fma_f64 v[34:35], v[2:3], v[12:13], v[34:35]
	v_fma_f64 v[10:11], v[4:5], v[12:13], v[10:11]
	v_fma_f64 v[12:13], v[2:3], v[16:17], v[36:37]
	v_fma_f64 v[14:15], v[4:5], v[16:17], v[14:15]
	ds_load_2addr_b64 v[2:5], v21 offset0:192 offset1:208
	s_waitcnt lgkmcnt(0)
	v_fma_f64 v[34:35], v[2:3], v[26:27], v[34:35]
	v_fma_f64 v[10:11], v[4:5], v[26:27], v[10:11]
	;; [unrolled: 1-line block ×4, first 2 shown]
	ds_load_2addr_b64 v[14:17], v21 offset0:224 offset1:240
	s_waitcnt lgkmcnt(0)
	s_barrier
	buffer_gl0_inv
	v_fma_f64 v[12:13], v[14:15], v[28:29], v[34:35]
	v_fma_f64 v[10:11], v[16:17], v[28:29], v[10:11]
	;; [unrolled: 1-line block ×4, first 2 shown]
	s_cbranch_vccnz .LBB1527_7
.LBB1527_3:                             ; =>This Inner Loop Header: Depth=1
	v_add_co_u32 v14, s12, v23, s16
	s_delay_alu instid0(VALU_DEP_1) | instskip(NEXT) | instid1(VALU_DEP_1)
	v_add_co_ci_u32_e64 v15, null, 0, s17, s12
	v_cmp_gt_i64_e32 vcc_lo, s[4:5], v[14:15]
	v_dual_mov_b32 v15, v1 :: v_dual_mov_b32 v14, v0
	s_and_b32 s13, s0, vcc_lo
	s_delay_alu instid0(SALU_CYCLE_1)
	s_and_saveexec_b32 s12, s13
	s_cbranch_execz .LBB1527_5
; %bb.4:                                ;   in Loop: Header=BB1527_3 Depth=1
	global_load_b64 v[14:15], v[6:7], off
.LBB1527_5:                             ;   in Loop: Header=BB1527_3 Depth=1
	s_or_b32 exec_lo, exec_lo, s12
	v_add_co_u32 v16, s12, v20, s16
	s_delay_alu instid0(VALU_DEP_1)
	v_add_co_ci_u32_e64 v17, null, 0, s17, s12
	s_waitcnt vmcnt(0)
	ds_store_b64 v24, v[14:15]
	v_cmp_gt_i64_e32 vcc_lo, s[4:5], v[16:17]
	v_dual_mov_b32 v17, v1 :: v_dual_mov_b32 v16, v0
	s_and_b32 s13, vcc_lo, s1
	s_delay_alu instid0(SALU_CYCLE_1)
	s_and_saveexec_b32 s12, s13
	s_cbranch_execz .LBB1527_2
; %bb.6:                                ;   in Loop: Header=BB1527_3 Depth=1
	global_load_b64 v[16:17], v[8:9], off
	s_branch .LBB1527_2
.LBB1527_7:
	v_add_nc_u32_e32 v8, s24, v19
	s_delay_alu instid0(VALU_DEP_1) | instskip(SKIP_2) | instid1(VALU_DEP_3)
	v_ashrrev_i32_e32 v0, 31, v8
	v_mul_lo_u32 v1, v8, s19
	v_mad_u64_u32 v[6:7], null, v8, s18, 0
	v_mul_lo_u32 v0, v0, s18
	s_delay_alu instid0(VALU_DEP_1) | instskip(SKIP_1) | instid1(VALU_DEP_2)
	v_add3_u32 v7, v7, v1, v0
	v_add_nc_u32_e32 v0, s23, v18
	v_lshlrev_b64 v[6:7], 3, v[6:7]
	s_delay_alu instid0(VALU_DEP_2) | instskip(SKIP_2) | instid1(VALU_DEP_3)
	v_cmp_le_i32_e64 s0, v8, v0
	s_waitcnt lgkmcnt(0)
	v_cmp_gt_i32_e32 vcc_lo, s22, v0
	v_add_co_u32 v9, s1, s2, v6
	s_delay_alu instid0(VALU_DEP_1) | instskip(SKIP_1) | instid1(SALU_CYCLE_1)
	v_add_co_ci_u32_e64 v14, s1, s3, v7, s1
	s_and_b32 s0, s0, vcc_lo
	s_and_saveexec_b32 s1, s0
	s_cbranch_execz .LBB1527_9
; %bb.8:
	v_mul_f64 v[6:7], v[12:13], s[6:7]
	v_ashrrev_i32_e32 v1, 31, v0
	s_delay_alu instid0(VALU_DEP_1) | instskip(NEXT) | instid1(VALU_DEP_1)
	v_lshlrev_b64 v[12:13], 3, v[0:1]
	v_add_co_u32 v12, s0, v9, v12
	s_delay_alu instid0(VALU_DEP_1)
	v_add_co_ci_u32_e64 v13, s0, v14, v13, s0
	global_store_b64 v[12:13], v[6:7], off
.LBB1527_9:
	s_or_b32 exec_lo, exec_lo, s1
	v_add_nc_u32_e32 v6, 16, v0
	s_delay_alu instid0(VALU_DEP_1) | instskip(SKIP_1) | instid1(VALU_DEP_1)
	v_cmp_le_i32_e64 s1, v8, v6
	v_cmp_gt_i32_e64 s0, s22, v6
	s_and_b32 s1, s1, s0
	s_delay_alu instid0(SALU_CYCLE_1)
	s_and_saveexec_b32 s4, s1
	s_cbranch_execz .LBB1527_11
; %bb.10:
	v_mul_f64 v[10:11], v[10:11], s[6:7]
	v_ashrrev_i32_e32 v7, 31, v6
	s_delay_alu instid0(VALU_DEP_1) | instskip(NEXT) | instid1(VALU_DEP_1)
	v_lshlrev_b64 v[12:13], 3, v[6:7]
	v_add_co_u32 v12, s1, v9, v12
	s_delay_alu instid0(VALU_DEP_1)
	v_add_co_ci_u32_e64 v13, s1, v14, v13, s1
	global_store_b64 v[12:13], v[10:11], off
.LBB1527_11:
	s_or_b32 exec_lo, exec_lo, s4
	v_add_nc_u32_e32 v7, 16, v8
	s_delay_alu instid0(VALU_DEP_1) | instskip(SKIP_3) | instid1(VALU_DEP_4)
	v_ashrrev_i32_e32 v1, 31, v7
	v_mul_lo_u32 v10, v7, s19
	v_mad_u64_u32 v[8:9], null, v7, s18, 0
	v_cmp_le_i32_e64 s1, v7, v0
	v_mul_lo_u32 v1, v1, s18
	s_delay_alu instid0(VALU_DEP_1) | instskip(NEXT) | instid1(VALU_DEP_1)
	v_add3_u32 v9, v9, v10, v1
	v_lshlrev_b64 v[8:9], 3, v[8:9]
	s_delay_alu instid0(VALU_DEP_1) | instskip(NEXT) | instid1(VALU_DEP_1)
	v_add_co_u32 v8, s2, s2, v8
	v_add_co_ci_u32_e64 v9, s2, s3, v9, s2
	s_and_b32 s2, s1, vcc_lo
	s_delay_alu instid0(SALU_CYCLE_1)
	s_and_saveexec_b32 s1, s2
	s_cbranch_execz .LBB1527_13
; %bb.12:
	v_mul_f64 v[4:5], v[4:5], s[6:7]
	v_ashrrev_i32_e32 v1, 31, v0
	s_delay_alu instid0(VALU_DEP_1) | instskip(NEXT) | instid1(VALU_DEP_1)
	v_lshlrev_b64 v[0:1], 3, v[0:1]
	v_add_co_u32 v0, vcc_lo, v8, v0
	s_delay_alu instid0(VALU_DEP_2)
	v_add_co_ci_u32_e32 v1, vcc_lo, v9, v1, vcc_lo
	global_store_b64 v[0:1], v[4:5], off
.LBB1527_13:
	s_or_b32 exec_lo, exec_lo, s1
	v_cmp_le_i32_e32 vcc_lo, v7, v6
	s_and_b32 s0, vcc_lo, s0
	s_delay_alu instid0(SALU_CYCLE_1)
	s_and_saveexec_b32 s1, s0
	s_cbranch_execz .LBB1527_15
; %bb.14:
	v_mul_f64 v[0:1], v[2:3], s[6:7]
	v_ashrrev_i32_e32 v7, 31, v6
	s_delay_alu instid0(VALU_DEP_1) | instskip(NEXT) | instid1(VALU_DEP_1)
	v_lshlrev_b64 v[2:3], 3, v[6:7]
	v_add_co_u32 v2, vcc_lo, v8, v2
	s_delay_alu instid0(VALU_DEP_2)
	v_add_co_ci_u32_e32 v3, vcc_lo, v9, v3, vcc_lo
	global_store_b64 v[2:3], v[0:1], off
.LBB1527_15:
	s_nop 0
	s_sendmsg sendmsg(MSG_DEALLOC_VGPRS)
	s_endpgm
	.section	.rodata,"a",@progbits
	.p2align	6, 0x0
	.amdhsa_kernel _ZL34rocblas_syrkx_herkx_general_kernelIldLi16ELi32ELi8ELb1ELb0ELc78ELc76EKPKdKPdEviT_T0_PT8_S5_lS8_S5_lS6_PT9_S5_li
		.amdhsa_group_segment_fixed_size 4096
		.amdhsa_private_segment_fixed_size 0
		.amdhsa_kernarg_size 108
		.amdhsa_user_sgpr_count 13
		.amdhsa_user_sgpr_dispatch_ptr 0
		.amdhsa_user_sgpr_queue_ptr 0
		.amdhsa_user_sgpr_kernarg_segment_ptr 1
		.amdhsa_user_sgpr_dispatch_id 0
		.amdhsa_user_sgpr_private_segment_size 0
		.amdhsa_wavefront_size32 1
		.amdhsa_uses_dynamic_stack 0
		.amdhsa_enable_private_segment 0
		.amdhsa_system_sgpr_workgroup_id_x 1
		.amdhsa_system_sgpr_workgroup_id_y 1
		.amdhsa_system_sgpr_workgroup_id_z 1
		.amdhsa_system_sgpr_workgroup_info 0
		.amdhsa_system_vgpr_workitem_id 1
		.amdhsa_next_free_vgpr 42
		.amdhsa_next_free_sgpr 25
		.amdhsa_reserve_vcc 1
		.amdhsa_float_round_mode_32 0
		.amdhsa_float_round_mode_16_64 0
		.amdhsa_float_denorm_mode_32 3
		.amdhsa_float_denorm_mode_16_64 3
		.amdhsa_dx10_clamp 1
		.amdhsa_ieee_mode 1
		.amdhsa_fp16_overflow 0
		.amdhsa_workgroup_processor_mode 1
		.amdhsa_memory_ordered 1
		.amdhsa_forward_progress 0
		.amdhsa_shared_vgpr_count 0
		.amdhsa_exception_fp_ieee_invalid_op 0
		.amdhsa_exception_fp_denorm_src 0
		.amdhsa_exception_fp_ieee_div_zero 0
		.amdhsa_exception_fp_ieee_overflow 0
		.amdhsa_exception_fp_ieee_underflow 0
		.amdhsa_exception_fp_ieee_inexact 0
		.amdhsa_exception_int_div_zero 0
	.end_amdhsa_kernel
	.section	.text._ZL34rocblas_syrkx_herkx_general_kernelIldLi16ELi32ELi8ELb1ELb0ELc78ELc76EKPKdKPdEviT_T0_PT8_S5_lS8_S5_lS6_PT9_S5_li,"axG",@progbits,_ZL34rocblas_syrkx_herkx_general_kernelIldLi16ELi32ELi8ELb1ELb0ELc78ELc76EKPKdKPdEviT_T0_PT8_S5_lS8_S5_lS6_PT9_S5_li,comdat
.Lfunc_end1527:
	.size	_ZL34rocblas_syrkx_herkx_general_kernelIldLi16ELi32ELi8ELb1ELb0ELc78ELc76EKPKdKPdEviT_T0_PT8_S5_lS8_S5_lS6_PT9_S5_li, .Lfunc_end1527-_ZL34rocblas_syrkx_herkx_general_kernelIldLi16ELi32ELi8ELb1ELb0ELc78ELc76EKPKdKPdEviT_T0_PT8_S5_lS8_S5_lS6_PT9_S5_li
                                        ; -- End function
	.section	.AMDGPU.csdata,"",@progbits
; Kernel info:
; codeLenInByte = 1656
; NumSgprs: 27
; NumVgprs: 42
; ScratchSize: 0
; MemoryBound: 0
; FloatMode: 240
; IeeeMode: 1
; LDSByteSize: 4096 bytes/workgroup (compile time only)
; SGPRBlocks: 3
; VGPRBlocks: 5
; NumSGPRsForWavesPerEU: 27
; NumVGPRsForWavesPerEU: 42
; Occupancy: 16
; WaveLimiterHint : 1
; COMPUTE_PGM_RSRC2:SCRATCH_EN: 0
; COMPUTE_PGM_RSRC2:USER_SGPR: 13
; COMPUTE_PGM_RSRC2:TRAP_HANDLER: 0
; COMPUTE_PGM_RSRC2:TGID_X_EN: 1
; COMPUTE_PGM_RSRC2:TGID_Y_EN: 1
; COMPUTE_PGM_RSRC2:TGID_Z_EN: 1
; COMPUTE_PGM_RSRC2:TIDIG_COMP_CNT: 1
	.section	.text._ZL34rocblas_syrkx_herkx_general_kernelIldLi16ELi32ELi8ELb1ELb0ELc84ELc85EKPKdKPdEviT_T0_PT8_S5_lS8_S5_lS6_PT9_S5_li,"axG",@progbits,_ZL34rocblas_syrkx_herkx_general_kernelIldLi16ELi32ELi8ELb1ELb0ELc84ELc85EKPKdKPdEviT_T0_PT8_S5_lS8_S5_lS6_PT9_S5_li,comdat
	.globl	_ZL34rocblas_syrkx_herkx_general_kernelIldLi16ELi32ELi8ELb1ELb0ELc84ELc85EKPKdKPdEviT_T0_PT8_S5_lS8_S5_lS6_PT9_S5_li ; -- Begin function _ZL34rocblas_syrkx_herkx_general_kernelIldLi16ELi32ELi8ELb1ELb0ELc84ELc85EKPKdKPdEviT_T0_PT8_S5_lS8_S5_lS6_PT9_S5_li
	.p2align	8
	.type	_ZL34rocblas_syrkx_herkx_general_kernelIldLi16ELi32ELi8ELb1ELb0ELc84ELc85EKPKdKPdEviT_T0_PT8_S5_lS8_S5_lS6_PT9_S5_li,@function
_ZL34rocblas_syrkx_herkx_general_kernelIldLi16ELi32ELi8ELb1ELb0ELc84ELc85EKPKdKPdEviT_T0_PT8_S5_lS8_S5_lS6_PT9_S5_li: ; @_ZL34rocblas_syrkx_herkx_general_kernelIldLi16ELi32ELi8ELb1ELb0ELc84ELc85EKPKdKPdEviT_T0_PT8_S5_lS8_S5_lS6_PT9_S5_li
; %bb.0:
	s_clause 0x1
	s_load_b128 s[16:19], s[0:1], 0x50
	s_load_b256 s[4:11], s[0:1], 0x8
	s_mov_b32 s2, s15
	s_mov_b32 s3, 0
	v_mov_b32_e32 v12, 0
	s_lshl_b64 s[20:21], s[2:3], 3
	v_dual_mov_b32 v13, 0 :: v_dual_and_b32 v18, 0x3ff, v0
	v_bfe_u32 v19, v0, 10, 10
	s_delay_alu instid0(VALU_DEP_3) | instskip(NEXT) | instid1(VALU_DEP_3)
	v_mov_b32_e32 v10, v12
	v_dual_mov_b32 v2, v12 :: v_dual_mov_b32 v3, v13
	v_dual_mov_b32 v11, v13 :: v_dual_mov_b32 v0, v12
	v_mov_b32_e32 v1, v13
	s_waitcnt lgkmcnt(0)
	s_add_u32 s2, s16, s20
	s_addc_u32 s3, s17, s21
	s_load_b32 s15, s[0:1], 0x0
	s_load_b64 s[16:17], s[2:3], 0x0
	v_cmp_lt_i64_e64 s2, s[4:5], 1
	s_lshl_b32 s22, s13, 5
	s_lshl_b32 s14, s14, 5
	s_mov_b64 s[12:13], 0
	s_delay_alu instid0(VALU_DEP_1)
	s_and_b32 vcc_lo, exec_lo, s2
	s_cbranch_vccnz .LBB1528_7
; %bb.1:
	s_load_b128 s[0:3], s[0:1], 0x30
	v_lshl_add_u32 v0, v19, 4, v18
	v_and_b32_e32 v20, 7, v18
	v_lshl_add_u32 v25, v19, 6, 0x800
	s_delay_alu instid0(VALU_DEP_3) | instskip(SKIP_3) | instid1(VALU_DEP_4)
	v_and_b32_e32 v1, 31, v0
	v_lshrrev_b32_e32 v4, 3, v0
	v_lshrrev_b32_e32 v21, 5, v0
	v_lshlrev_b32_e32 v6, 3, v20
	v_add_nc_u32_e32 v2, s22, v1
	s_delay_alu instid0(VALU_DEP_4)
	v_add_nc_u32_e32 v5, s14, v4
	v_or_b32_e32 v7, s22, v1
	v_lshlrev_b32_e32 v8, 3, v1
	v_lshl_or_b32 v4, v4, 6, v6
	v_ashrrev_i32_e32 v9, 31, v2
	v_ashrrev_i32_e32 v3, 31, v5
	v_mul_lo_u32 v10, s11, v2
	v_mad_u64_u32 v[0:1], null, s10, v2, 0
	s_waitcnt lgkmcnt(0)
	s_add_u32 s0, s0, s20
	v_mul_lo_u32 v9, s10, v9
	s_addc_u32 s1, s1, s21
	s_add_u32 s8, s8, s20
	v_mul_lo_u32 v11, s2, v3
	v_mul_lo_u32 v12, s3, v5
	s_addc_u32 s9, s9, s21
	v_mad_u64_u32 v[2:3], null, s2, v5, 0
	s_load_b64 s[2:3], s[8:9], 0x0
	s_load_b64 s[10:11], s[0:1], 0x0
	v_add3_u32 v1, v1, v9, v10
	v_add_nc_u32_e32 v23, 0x800, v4
	v_lshlrev_b32_e32 v4, 3, v21
	v_cmp_gt_i32_e64 s1, s15, v5
	v_add3_u32 v3, v3, v11, v12
	v_lshlrev_b64 v[0:1], 3, v[0:1]
	v_cmp_gt_i32_e64 s0, s15, v7
	s_delay_alu instid0(VALU_DEP_3) | instskip(NEXT) | instid1(VALU_DEP_3)
	v_lshlrev_b64 v[2:3], 3, v[2:3]
	v_add_co_u32 v0, vcc_lo, v0, v4
	s_delay_alu instid0(VALU_DEP_4) | instskip(NEXT) | instid1(VALU_DEP_3)
	v_add_co_ci_u32_e32 v1, vcc_lo, 0, v1, vcc_lo
	v_add_co_u32 v2, vcc_lo, v2, v6
	v_mov_b32_e32 v4, 0
	v_mov_b32_e32 v5, 0
	v_add_co_ci_u32_e32 v3, vcc_lo, 0, v3, vcc_lo
	s_waitcnt lgkmcnt(0)
	v_add_co_u32 v6, vcc_lo, s2, v0
	v_add_co_ci_u32_e32 v7, vcc_lo, s3, v1, vcc_lo
	v_dual_mov_b32 v0, v4 :: v_dual_mov_b32 v11, v5
	v_lshl_or_b32 v22, v21, 8, v8
	v_add_co_u32 v8, vcc_lo, s10, v2
	v_dual_mov_b32 v13, v5 :: v_dual_lshlrev_b32 v24, 3, v18
	v_add_co_ci_u32_e32 v9, vcc_lo, s11, v3, vcc_lo
	v_dual_mov_b32 v2, v4 :: v_dual_mov_b32 v1, v5
	v_dual_mov_b32 v3, v5 :: v_dual_mov_b32 v10, v4
	v_mov_b32_e32 v12, v4
	s_branch .LBB1528_3
.LBB1528_2:                             ;   in Loop: Header=BB1528_3 Depth=1
	s_or_b32 exec_lo, exec_lo, s2
	s_waitcnt vmcnt(0)
	ds_store_b64 v23, v[16:17]
	s_waitcnt lgkmcnt(0)
	s_barrier
	buffer_gl0_inv
	ds_load_2addr_b64 v[14:17], v24 offset1:16
	ds_load_b128 v[26:29], v25
	ds_load_b128 v[30:33], v25 offset:1024
	ds_load_b128 v[34:37], v25 offset:16
	;; [unrolled: 1-line block ×3, first 2 shown]
	s_add_u32 s12, s12, 8
	s_addc_u32 s13, s13, 0
	v_add_co_u32 v6, vcc_lo, v6, 64
	v_cmp_ge_i64_e64 s2, s[12:13], s[4:5]
	v_add_co_ci_u32_e32 v7, vcc_lo, 0, v7, vcc_lo
	v_add_co_u32 v8, vcc_lo, v8, 64
	v_add_co_ci_u32_e32 v9, vcc_lo, 0, v9, vcc_lo
	s_delay_alu instid0(VALU_DEP_4)
	s_and_b32 vcc_lo, exec_lo, s2
	s_waitcnt lgkmcnt(3)
	v_fma_f64 v[12:13], v[14:15], v[26:27], v[12:13]
	v_fma_f64 v[10:11], v[16:17], v[26:27], v[10:11]
	s_waitcnt lgkmcnt(2)
	v_fma_f64 v[14:15], v[14:15], v[30:31], v[2:3]
	v_fma_f64 v[16:17], v[16:17], v[30:31], v[0:1]
	ds_load_2addr_b64 v[0:3], v24 offset0:32 offset1:48
	s_waitcnt lgkmcnt(0)
	v_fma_f64 v[12:13], v[0:1], v[28:29], v[12:13]
	v_fma_f64 v[10:11], v[2:3], v[28:29], v[10:11]
	v_fma_f64 v[14:15], v[0:1], v[32:33], v[14:15]
	v_fma_f64 v[16:17], v[2:3], v[32:33], v[16:17]
	ds_load_2addr_b64 v[0:3], v24 offset0:64 offset1:80
	s_waitcnt lgkmcnt(0)
	v_fma_f64 v[12:13], v[0:1], v[34:35], v[12:13]
	v_fma_f64 v[10:11], v[2:3], v[34:35], v[10:11]
	;; [unrolled: 6-line block ×3, first 2 shown]
	v_fma_f64 v[38:39], v[0:1], v[40:41], v[14:15]
	v_fma_f64 v[40:41], v[2:3], v[40:41], v[16:17]
	ds_load_2addr_b64 v[0:3], v24 offset0:128 offset1:144
	ds_load_b128 v[10:13], v25 offset:32
	ds_load_b128 v[14:17], v25 offset:1056
	;; [unrolled: 1-line block ×4, first 2 shown]
	s_waitcnt lgkmcnt(3)
	v_fma_f64 v[34:35], v[0:1], v[10:11], v[34:35]
	v_fma_f64 v[10:11], v[2:3], v[10:11], v[36:37]
	s_waitcnt lgkmcnt(2)
	v_fma_f64 v[36:37], v[0:1], v[14:15], v[38:39]
	v_fma_f64 v[14:15], v[2:3], v[14:15], v[40:41]
	ds_load_2addr_b64 v[0:3], v24 offset0:160 offset1:176
	s_waitcnt lgkmcnt(0)
	v_fma_f64 v[34:35], v[0:1], v[12:13], v[34:35]
	v_fma_f64 v[10:11], v[2:3], v[12:13], v[10:11]
	;; [unrolled: 1-line block ×4, first 2 shown]
	ds_load_2addr_b64 v[0:3], v24 offset0:192 offset1:208
	s_waitcnt lgkmcnt(0)
	v_fma_f64 v[34:35], v[0:1], v[26:27], v[34:35]
	v_fma_f64 v[10:11], v[2:3], v[26:27], v[10:11]
	;; [unrolled: 1-line block ×4, first 2 shown]
	ds_load_2addr_b64 v[14:17], v24 offset0:224 offset1:240
	s_waitcnt lgkmcnt(0)
	s_barrier
	buffer_gl0_inv
	v_fma_f64 v[12:13], v[14:15], v[28:29], v[34:35]
	v_fma_f64 v[10:11], v[16:17], v[28:29], v[10:11]
	;; [unrolled: 1-line block ×4, first 2 shown]
	s_cbranch_vccnz .LBB1528_7
.LBB1528_3:                             ; =>This Inner Loop Header: Depth=1
	v_add_co_u32 v14, s2, v21, s12
	s_delay_alu instid0(VALU_DEP_1) | instskip(NEXT) | instid1(VALU_DEP_1)
	v_add_co_ci_u32_e64 v15, null, 0, s13, s2
	v_cmp_gt_i64_e32 vcc_lo, s[4:5], v[14:15]
	v_dual_mov_b32 v15, v5 :: v_dual_mov_b32 v14, v4
	s_and_b32 s3, s0, vcc_lo
	s_delay_alu instid0(SALU_CYCLE_1)
	s_and_saveexec_b32 s2, s3
	s_cbranch_execz .LBB1528_5
; %bb.4:                                ;   in Loop: Header=BB1528_3 Depth=1
	global_load_b64 v[14:15], v[6:7], off
.LBB1528_5:                             ;   in Loop: Header=BB1528_3 Depth=1
	s_or_b32 exec_lo, exec_lo, s2
	v_add_co_u32 v16, s2, v20, s12
	s_delay_alu instid0(VALU_DEP_1)
	v_add_co_ci_u32_e64 v17, null, 0, s13, s2
	s_waitcnt vmcnt(0)
	ds_store_b64 v22, v[14:15]
	v_cmp_gt_i64_e32 vcc_lo, s[4:5], v[16:17]
	v_dual_mov_b32 v17, v5 :: v_dual_mov_b32 v16, v4
	s_and_b32 s3, vcc_lo, s1
	s_delay_alu instid0(SALU_CYCLE_1)
	s_and_saveexec_b32 s2, s3
	s_cbranch_execz .LBB1528_2
; %bb.6:                                ;   in Loop: Header=BB1528_3 Depth=1
	global_load_b64 v[16:17], v[8:9], off
	s_branch .LBB1528_2
.LBB1528_7:
	v_add_nc_u32_e32 v8, s14, v19
	s_delay_alu instid0(VALU_DEP_1)
	v_ashrrev_i32_e32 v4, 31, v8
	v_mul_lo_u32 v7, v8, s19
	v_mad_u64_u32 v[5:6], null, v8, s18, 0
	s_waitcnt lgkmcnt(0)
	v_cmp_gt_i32_e32 vcc_lo, s15, v8
	v_mul_lo_u32 v4, v4, s18
	s_delay_alu instid0(VALU_DEP_1) | instskip(SKIP_1) | instid1(VALU_DEP_2)
	v_add3_u32 v6, v6, v7, v4
	v_add_nc_u32_e32 v4, s22, v18
	v_lshlrev_b64 v[5:6], 3, v[5:6]
	s_delay_alu instid0(VALU_DEP_2) | instskip(NEXT) | instid1(VALU_DEP_1)
	v_cmp_le_i32_e64 s0, v4, v8
	s_and_b32 s0, vcc_lo, s0
	s_delay_alu instid0(VALU_DEP_2) | instskip(NEXT) | instid1(VALU_DEP_1)
	v_add_co_u32 v9, s1, s16, v5
	v_add_co_ci_u32_e64 v14, s1, s17, v6, s1
	s_and_saveexec_b32 s1, s0
	s_cbranch_execz .LBB1528_9
; %bb.8:
	v_mul_f64 v[6:7], v[12:13], s[6:7]
	v_ashrrev_i32_e32 v5, 31, v4
	s_delay_alu instid0(VALU_DEP_1) | instskip(NEXT) | instid1(VALU_DEP_1)
	v_lshlrev_b64 v[12:13], 3, v[4:5]
	v_add_co_u32 v12, s0, v9, v12
	s_delay_alu instid0(VALU_DEP_1)
	v_add_co_ci_u32_e64 v13, s0, v14, v13, s0
	global_store_b64 v[12:13], v[6:7], off
.LBB1528_9:
	s_or_b32 exec_lo, exec_lo, s1
	v_add_nc_u32_e32 v6, 16, v4
	s_delay_alu instid0(VALU_DEP_1) | instskip(NEXT) | instid1(VALU_DEP_1)
	v_cmp_le_i32_e64 s0, v6, v8
	s_and_b32 s1, vcc_lo, s0
	s_delay_alu instid0(SALU_CYCLE_1)
	s_and_saveexec_b32 s0, s1
	s_cbranch_execz .LBB1528_11
; %bb.10:
	v_mul_f64 v[10:11], v[10:11], s[6:7]
	v_ashrrev_i32_e32 v7, 31, v6
	s_delay_alu instid0(VALU_DEP_1) | instskip(NEXT) | instid1(VALU_DEP_1)
	v_lshlrev_b64 v[12:13], 3, v[6:7]
	v_add_co_u32 v12, vcc_lo, v9, v12
	s_delay_alu instid0(VALU_DEP_2)
	v_add_co_ci_u32_e32 v13, vcc_lo, v14, v13, vcc_lo
	global_store_b64 v[12:13], v[10:11], off
.LBB1528_11:
	s_or_b32 exec_lo, exec_lo, s0
	v_add_nc_u32_e32 v7, 16, v8
	s_delay_alu instid0(VALU_DEP_1) | instskip(SKIP_3) | instid1(VALU_DEP_4)
	v_ashrrev_i32_e32 v5, 31, v7
	v_mul_lo_u32 v10, v7, s19
	v_mad_u64_u32 v[8:9], null, v7, s18, 0
	v_cmp_gt_i32_e32 vcc_lo, s15, v7
	v_mul_lo_u32 v5, v5, s18
	v_cmp_le_i32_e64 s0, v4, v7
	s_delay_alu instid0(VALU_DEP_1) | instskip(NEXT) | instid1(VALU_DEP_2)
	s_and_b32 s0, vcc_lo, s0
	v_add3_u32 v9, v9, v10, v5
	s_delay_alu instid0(VALU_DEP_1) | instskip(NEXT) | instid1(VALU_DEP_1)
	v_lshlrev_b64 v[8:9], 3, v[8:9]
	v_add_co_u32 v8, s1, s16, v8
	s_delay_alu instid0(VALU_DEP_1)
	v_add_co_ci_u32_e64 v9, s1, s17, v9, s1
	s_and_saveexec_b32 s1, s0
	s_cbranch_execz .LBB1528_13
; %bb.12:
	v_mul_f64 v[2:3], v[2:3], s[6:7]
	v_ashrrev_i32_e32 v5, 31, v4
	s_delay_alu instid0(VALU_DEP_1) | instskip(NEXT) | instid1(VALU_DEP_1)
	v_lshlrev_b64 v[4:5], 3, v[4:5]
	v_add_co_u32 v4, s0, v8, v4
	s_delay_alu instid0(VALU_DEP_1)
	v_add_co_ci_u32_e64 v5, s0, v9, v5, s0
	global_store_b64 v[4:5], v[2:3], off
.LBB1528_13:
	s_or_b32 exec_lo, exec_lo, s1
	v_cmp_le_i32_e64 s0, v6, v7
	s_delay_alu instid0(VALU_DEP_1) | instskip(NEXT) | instid1(SALU_CYCLE_1)
	s_and_b32 s0, vcc_lo, s0
	s_and_saveexec_b32 s1, s0
	s_cbranch_execz .LBB1528_15
; %bb.14:
	v_mul_f64 v[0:1], v[0:1], s[6:7]
	v_ashrrev_i32_e32 v7, 31, v6
	s_delay_alu instid0(VALU_DEP_1) | instskip(NEXT) | instid1(VALU_DEP_1)
	v_lshlrev_b64 v[2:3], 3, v[6:7]
	v_add_co_u32 v2, vcc_lo, v8, v2
	s_delay_alu instid0(VALU_DEP_2)
	v_add_co_ci_u32_e32 v3, vcc_lo, v9, v3, vcc_lo
	global_store_b64 v[2:3], v[0:1], off
.LBB1528_15:
	s_nop 0
	s_sendmsg sendmsg(MSG_DEALLOC_VGPRS)
	s_endpgm
	.section	.rodata,"a",@progbits
	.p2align	6, 0x0
	.amdhsa_kernel _ZL34rocblas_syrkx_herkx_general_kernelIldLi16ELi32ELi8ELb1ELb0ELc84ELc85EKPKdKPdEviT_T0_PT8_S5_lS8_S5_lS6_PT9_S5_li
		.amdhsa_group_segment_fixed_size 4096
		.amdhsa_private_segment_fixed_size 0
		.amdhsa_kernarg_size 108
		.amdhsa_user_sgpr_count 13
		.amdhsa_user_sgpr_dispatch_ptr 0
		.amdhsa_user_sgpr_queue_ptr 0
		.amdhsa_user_sgpr_kernarg_segment_ptr 1
		.amdhsa_user_sgpr_dispatch_id 0
		.amdhsa_user_sgpr_private_segment_size 0
		.amdhsa_wavefront_size32 1
		.amdhsa_uses_dynamic_stack 0
		.amdhsa_enable_private_segment 0
		.amdhsa_system_sgpr_workgroup_id_x 1
		.amdhsa_system_sgpr_workgroup_id_y 1
		.amdhsa_system_sgpr_workgroup_id_z 1
		.amdhsa_system_sgpr_workgroup_info 0
		.amdhsa_system_vgpr_workitem_id 1
		.amdhsa_next_free_vgpr 42
		.amdhsa_next_free_sgpr 23
		.amdhsa_reserve_vcc 1
		.amdhsa_float_round_mode_32 0
		.amdhsa_float_round_mode_16_64 0
		.amdhsa_float_denorm_mode_32 3
		.amdhsa_float_denorm_mode_16_64 3
		.amdhsa_dx10_clamp 1
		.amdhsa_ieee_mode 1
		.amdhsa_fp16_overflow 0
		.amdhsa_workgroup_processor_mode 1
		.amdhsa_memory_ordered 1
		.amdhsa_forward_progress 0
		.amdhsa_shared_vgpr_count 0
		.amdhsa_exception_fp_ieee_invalid_op 0
		.amdhsa_exception_fp_denorm_src 0
		.amdhsa_exception_fp_ieee_div_zero 0
		.amdhsa_exception_fp_ieee_overflow 0
		.amdhsa_exception_fp_ieee_underflow 0
		.amdhsa_exception_fp_ieee_inexact 0
		.amdhsa_exception_int_div_zero 0
	.end_amdhsa_kernel
	.section	.text._ZL34rocblas_syrkx_herkx_general_kernelIldLi16ELi32ELi8ELb1ELb0ELc84ELc85EKPKdKPdEviT_T0_PT8_S5_lS8_S5_lS6_PT9_S5_li,"axG",@progbits,_ZL34rocblas_syrkx_herkx_general_kernelIldLi16ELi32ELi8ELb1ELb0ELc84ELc85EKPKdKPdEviT_T0_PT8_S5_lS8_S5_lS6_PT9_S5_li,comdat
.Lfunc_end1528:
	.size	_ZL34rocblas_syrkx_herkx_general_kernelIldLi16ELi32ELi8ELb1ELb0ELc84ELc85EKPKdKPdEviT_T0_PT8_S5_lS8_S5_lS6_PT9_S5_li, .Lfunc_end1528-_ZL34rocblas_syrkx_herkx_general_kernelIldLi16ELi32ELi8ELb1ELb0ELc84ELc85EKPKdKPdEviT_T0_PT8_S5_lS8_S5_lS6_PT9_S5_li
                                        ; -- End function
	.section	.AMDGPU.csdata,"",@progbits
; Kernel info:
; codeLenInByte = 1640
; NumSgprs: 25
; NumVgprs: 42
; ScratchSize: 0
; MemoryBound: 0
; FloatMode: 240
; IeeeMode: 1
; LDSByteSize: 4096 bytes/workgroup (compile time only)
; SGPRBlocks: 3
; VGPRBlocks: 5
; NumSGPRsForWavesPerEU: 25
; NumVGPRsForWavesPerEU: 42
; Occupancy: 16
; WaveLimiterHint : 1
; COMPUTE_PGM_RSRC2:SCRATCH_EN: 0
; COMPUTE_PGM_RSRC2:USER_SGPR: 13
; COMPUTE_PGM_RSRC2:TRAP_HANDLER: 0
; COMPUTE_PGM_RSRC2:TGID_X_EN: 1
; COMPUTE_PGM_RSRC2:TGID_Y_EN: 1
; COMPUTE_PGM_RSRC2:TGID_Z_EN: 1
; COMPUTE_PGM_RSRC2:TIDIG_COMP_CNT: 1
	.section	.text._ZL34rocblas_syrkx_herkx_general_kernelIldLi16ELi32ELi8ELb1ELb0ELc67ELc85EKPKdKPdEviT_T0_PT8_S5_lS8_S5_lS6_PT9_S5_li,"axG",@progbits,_ZL34rocblas_syrkx_herkx_general_kernelIldLi16ELi32ELi8ELb1ELb0ELc67ELc85EKPKdKPdEviT_T0_PT8_S5_lS8_S5_lS6_PT9_S5_li,comdat
	.globl	_ZL34rocblas_syrkx_herkx_general_kernelIldLi16ELi32ELi8ELb1ELb0ELc67ELc85EKPKdKPdEviT_T0_PT8_S5_lS8_S5_lS6_PT9_S5_li ; -- Begin function _ZL34rocblas_syrkx_herkx_general_kernelIldLi16ELi32ELi8ELb1ELb0ELc67ELc85EKPKdKPdEviT_T0_PT8_S5_lS8_S5_lS6_PT9_S5_li
	.p2align	8
	.type	_ZL34rocblas_syrkx_herkx_general_kernelIldLi16ELi32ELi8ELb1ELb0ELc67ELc85EKPKdKPdEviT_T0_PT8_S5_lS8_S5_lS6_PT9_S5_li,@function
_ZL34rocblas_syrkx_herkx_general_kernelIldLi16ELi32ELi8ELb1ELb0ELc67ELc85EKPKdKPdEviT_T0_PT8_S5_lS8_S5_lS6_PT9_S5_li: ; @_ZL34rocblas_syrkx_herkx_general_kernelIldLi16ELi32ELi8ELb1ELb0ELc67ELc85EKPKdKPdEviT_T0_PT8_S5_lS8_S5_lS6_PT9_S5_li
; %bb.0:
	s_clause 0x1
	s_load_b128 s[16:19], s[0:1], 0x50
	s_load_b256 s[4:11], s[0:1], 0x8
	s_mov_b32 s2, s15
	s_mov_b32 s3, 0
	v_mov_b32_e32 v12, 0
	s_lshl_b64 s[20:21], s[2:3], 3
	v_dual_mov_b32 v13, 0 :: v_dual_and_b32 v18, 0x3ff, v0
	v_bfe_u32 v19, v0, 10, 10
	s_delay_alu instid0(VALU_DEP_3) | instskip(NEXT) | instid1(VALU_DEP_3)
	v_mov_b32_e32 v10, v12
	v_dual_mov_b32 v2, v12 :: v_dual_mov_b32 v3, v13
	v_dual_mov_b32 v11, v13 :: v_dual_mov_b32 v0, v12
	v_mov_b32_e32 v1, v13
	s_waitcnt lgkmcnt(0)
	s_add_u32 s2, s16, s20
	s_addc_u32 s3, s17, s21
	s_load_b32 s15, s[0:1], 0x0
	s_load_b64 s[16:17], s[2:3], 0x0
	v_cmp_lt_i64_e64 s2, s[4:5], 1
	s_lshl_b32 s22, s13, 5
	s_lshl_b32 s14, s14, 5
	s_mov_b64 s[12:13], 0
	s_delay_alu instid0(VALU_DEP_1)
	s_and_b32 vcc_lo, exec_lo, s2
	s_cbranch_vccnz .LBB1529_7
; %bb.1:
	s_load_b128 s[0:3], s[0:1], 0x30
	v_lshl_add_u32 v0, v19, 4, v18
	v_and_b32_e32 v20, 7, v18
	v_lshl_add_u32 v25, v19, 6, 0x800
	s_delay_alu instid0(VALU_DEP_3) | instskip(SKIP_3) | instid1(VALU_DEP_4)
	v_and_b32_e32 v1, 31, v0
	v_lshrrev_b32_e32 v4, 3, v0
	v_lshrrev_b32_e32 v21, 5, v0
	v_lshlrev_b32_e32 v6, 3, v20
	v_add_nc_u32_e32 v2, s22, v1
	s_delay_alu instid0(VALU_DEP_4)
	v_add_nc_u32_e32 v5, s14, v4
	v_or_b32_e32 v7, s22, v1
	v_lshlrev_b32_e32 v8, 3, v1
	v_lshl_or_b32 v4, v4, 6, v6
	v_ashrrev_i32_e32 v9, 31, v2
	v_ashrrev_i32_e32 v3, 31, v5
	v_mul_lo_u32 v10, s11, v2
	v_mad_u64_u32 v[0:1], null, s10, v2, 0
	s_waitcnt lgkmcnt(0)
	s_add_u32 s0, s0, s20
	v_mul_lo_u32 v9, s10, v9
	s_addc_u32 s1, s1, s21
	s_add_u32 s8, s8, s20
	v_mul_lo_u32 v11, s2, v3
	v_mul_lo_u32 v12, s3, v5
	s_addc_u32 s9, s9, s21
	v_mad_u64_u32 v[2:3], null, s2, v5, 0
	s_load_b64 s[2:3], s[8:9], 0x0
	s_load_b64 s[10:11], s[0:1], 0x0
	v_add3_u32 v1, v1, v9, v10
	v_add_nc_u32_e32 v23, 0x800, v4
	v_lshlrev_b32_e32 v4, 3, v21
	v_cmp_gt_i32_e64 s1, s15, v5
	v_add3_u32 v3, v3, v11, v12
	v_lshlrev_b64 v[0:1], 3, v[0:1]
	v_cmp_gt_i32_e64 s0, s15, v7
	s_delay_alu instid0(VALU_DEP_3) | instskip(NEXT) | instid1(VALU_DEP_3)
	v_lshlrev_b64 v[2:3], 3, v[2:3]
	v_add_co_u32 v0, vcc_lo, v0, v4
	s_delay_alu instid0(VALU_DEP_4) | instskip(NEXT) | instid1(VALU_DEP_3)
	v_add_co_ci_u32_e32 v1, vcc_lo, 0, v1, vcc_lo
	v_add_co_u32 v2, vcc_lo, v2, v6
	v_mov_b32_e32 v4, 0
	v_mov_b32_e32 v5, 0
	v_add_co_ci_u32_e32 v3, vcc_lo, 0, v3, vcc_lo
	s_waitcnt lgkmcnt(0)
	v_add_co_u32 v6, vcc_lo, s2, v0
	v_add_co_ci_u32_e32 v7, vcc_lo, s3, v1, vcc_lo
	v_dual_mov_b32 v0, v4 :: v_dual_mov_b32 v11, v5
	v_lshl_or_b32 v22, v21, 8, v8
	v_add_co_u32 v8, vcc_lo, s10, v2
	v_dual_mov_b32 v13, v5 :: v_dual_lshlrev_b32 v24, 3, v18
	v_add_co_ci_u32_e32 v9, vcc_lo, s11, v3, vcc_lo
	v_dual_mov_b32 v2, v4 :: v_dual_mov_b32 v1, v5
	v_dual_mov_b32 v3, v5 :: v_dual_mov_b32 v10, v4
	v_mov_b32_e32 v12, v4
	s_branch .LBB1529_3
.LBB1529_2:                             ;   in Loop: Header=BB1529_3 Depth=1
	s_or_b32 exec_lo, exec_lo, s2
	s_waitcnt vmcnt(0)
	ds_store_b64 v23, v[16:17]
	s_waitcnt lgkmcnt(0)
	s_barrier
	buffer_gl0_inv
	ds_load_2addr_b64 v[14:17], v24 offset1:16
	ds_load_b128 v[26:29], v25
	ds_load_b128 v[30:33], v25 offset:1024
	ds_load_b128 v[34:37], v25 offset:16
	;; [unrolled: 1-line block ×3, first 2 shown]
	s_add_u32 s12, s12, 8
	s_addc_u32 s13, s13, 0
	v_add_co_u32 v6, vcc_lo, v6, 64
	v_cmp_ge_i64_e64 s2, s[12:13], s[4:5]
	v_add_co_ci_u32_e32 v7, vcc_lo, 0, v7, vcc_lo
	v_add_co_u32 v8, vcc_lo, v8, 64
	v_add_co_ci_u32_e32 v9, vcc_lo, 0, v9, vcc_lo
	s_delay_alu instid0(VALU_DEP_4)
	s_and_b32 vcc_lo, exec_lo, s2
	s_waitcnt lgkmcnt(3)
	v_fma_f64 v[12:13], v[14:15], v[26:27], v[12:13]
	v_fma_f64 v[10:11], v[16:17], v[26:27], v[10:11]
	s_waitcnt lgkmcnt(2)
	v_fma_f64 v[14:15], v[14:15], v[30:31], v[2:3]
	v_fma_f64 v[16:17], v[16:17], v[30:31], v[0:1]
	ds_load_2addr_b64 v[0:3], v24 offset0:32 offset1:48
	s_waitcnt lgkmcnt(0)
	v_fma_f64 v[12:13], v[0:1], v[28:29], v[12:13]
	v_fma_f64 v[10:11], v[2:3], v[28:29], v[10:11]
	v_fma_f64 v[14:15], v[0:1], v[32:33], v[14:15]
	v_fma_f64 v[16:17], v[2:3], v[32:33], v[16:17]
	ds_load_2addr_b64 v[0:3], v24 offset0:64 offset1:80
	s_waitcnt lgkmcnt(0)
	v_fma_f64 v[12:13], v[0:1], v[34:35], v[12:13]
	v_fma_f64 v[10:11], v[2:3], v[34:35], v[10:11]
	;; [unrolled: 6-line block ×3, first 2 shown]
	v_fma_f64 v[38:39], v[0:1], v[40:41], v[14:15]
	v_fma_f64 v[40:41], v[2:3], v[40:41], v[16:17]
	ds_load_2addr_b64 v[0:3], v24 offset0:128 offset1:144
	ds_load_b128 v[10:13], v25 offset:32
	ds_load_b128 v[14:17], v25 offset:1056
	;; [unrolled: 1-line block ×4, first 2 shown]
	s_waitcnt lgkmcnt(3)
	v_fma_f64 v[34:35], v[0:1], v[10:11], v[34:35]
	v_fma_f64 v[10:11], v[2:3], v[10:11], v[36:37]
	s_waitcnt lgkmcnt(2)
	v_fma_f64 v[36:37], v[0:1], v[14:15], v[38:39]
	v_fma_f64 v[14:15], v[2:3], v[14:15], v[40:41]
	ds_load_2addr_b64 v[0:3], v24 offset0:160 offset1:176
	s_waitcnt lgkmcnt(0)
	v_fma_f64 v[34:35], v[0:1], v[12:13], v[34:35]
	v_fma_f64 v[10:11], v[2:3], v[12:13], v[10:11]
	;; [unrolled: 1-line block ×4, first 2 shown]
	ds_load_2addr_b64 v[0:3], v24 offset0:192 offset1:208
	s_waitcnt lgkmcnt(0)
	v_fma_f64 v[34:35], v[0:1], v[26:27], v[34:35]
	v_fma_f64 v[10:11], v[2:3], v[26:27], v[10:11]
	;; [unrolled: 1-line block ×4, first 2 shown]
	ds_load_2addr_b64 v[14:17], v24 offset0:224 offset1:240
	s_waitcnt lgkmcnt(0)
	s_barrier
	buffer_gl0_inv
	v_fma_f64 v[12:13], v[14:15], v[28:29], v[34:35]
	v_fma_f64 v[10:11], v[16:17], v[28:29], v[10:11]
	;; [unrolled: 1-line block ×4, first 2 shown]
	s_cbranch_vccnz .LBB1529_7
.LBB1529_3:                             ; =>This Inner Loop Header: Depth=1
	v_add_co_u32 v14, s2, v21, s12
	s_delay_alu instid0(VALU_DEP_1) | instskip(NEXT) | instid1(VALU_DEP_1)
	v_add_co_ci_u32_e64 v15, null, 0, s13, s2
	v_cmp_gt_i64_e32 vcc_lo, s[4:5], v[14:15]
	v_dual_mov_b32 v15, v5 :: v_dual_mov_b32 v14, v4
	s_and_b32 s3, s0, vcc_lo
	s_delay_alu instid0(SALU_CYCLE_1)
	s_and_saveexec_b32 s2, s3
	s_cbranch_execz .LBB1529_5
; %bb.4:                                ;   in Loop: Header=BB1529_3 Depth=1
	global_load_b64 v[14:15], v[6:7], off
.LBB1529_5:                             ;   in Loop: Header=BB1529_3 Depth=1
	s_or_b32 exec_lo, exec_lo, s2
	v_add_co_u32 v16, s2, v20, s12
	s_delay_alu instid0(VALU_DEP_1)
	v_add_co_ci_u32_e64 v17, null, 0, s13, s2
	s_waitcnt vmcnt(0)
	ds_store_b64 v22, v[14:15]
	v_cmp_gt_i64_e32 vcc_lo, s[4:5], v[16:17]
	v_dual_mov_b32 v17, v5 :: v_dual_mov_b32 v16, v4
	s_and_b32 s3, vcc_lo, s1
	s_delay_alu instid0(SALU_CYCLE_1)
	s_and_saveexec_b32 s2, s3
	s_cbranch_execz .LBB1529_2
; %bb.6:                                ;   in Loop: Header=BB1529_3 Depth=1
	global_load_b64 v[16:17], v[8:9], off
	s_branch .LBB1529_2
.LBB1529_7:
	v_add_nc_u32_e32 v8, s14, v19
	s_delay_alu instid0(VALU_DEP_1)
	v_ashrrev_i32_e32 v4, 31, v8
	v_mul_lo_u32 v7, v8, s19
	v_mad_u64_u32 v[5:6], null, v8, s18, 0
	s_waitcnt lgkmcnt(0)
	v_cmp_gt_i32_e32 vcc_lo, s15, v8
	v_mul_lo_u32 v4, v4, s18
	s_delay_alu instid0(VALU_DEP_1) | instskip(SKIP_1) | instid1(VALU_DEP_2)
	v_add3_u32 v6, v6, v7, v4
	v_add_nc_u32_e32 v4, s22, v18
	v_lshlrev_b64 v[5:6], 3, v[5:6]
	s_delay_alu instid0(VALU_DEP_2) | instskip(NEXT) | instid1(VALU_DEP_1)
	v_cmp_le_i32_e64 s0, v4, v8
	s_and_b32 s0, vcc_lo, s0
	s_delay_alu instid0(VALU_DEP_2) | instskip(NEXT) | instid1(VALU_DEP_1)
	v_add_co_u32 v9, s1, s16, v5
	v_add_co_ci_u32_e64 v14, s1, s17, v6, s1
	s_and_saveexec_b32 s1, s0
	s_cbranch_execz .LBB1529_9
; %bb.8:
	v_mul_f64 v[6:7], v[12:13], s[6:7]
	v_ashrrev_i32_e32 v5, 31, v4
	s_delay_alu instid0(VALU_DEP_1) | instskip(NEXT) | instid1(VALU_DEP_1)
	v_lshlrev_b64 v[12:13], 3, v[4:5]
	v_add_co_u32 v12, s0, v9, v12
	s_delay_alu instid0(VALU_DEP_1)
	v_add_co_ci_u32_e64 v13, s0, v14, v13, s0
	global_store_b64 v[12:13], v[6:7], off
.LBB1529_9:
	s_or_b32 exec_lo, exec_lo, s1
	v_add_nc_u32_e32 v6, 16, v4
	s_delay_alu instid0(VALU_DEP_1) | instskip(NEXT) | instid1(VALU_DEP_1)
	v_cmp_le_i32_e64 s0, v6, v8
	s_and_b32 s1, vcc_lo, s0
	s_delay_alu instid0(SALU_CYCLE_1)
	s_and_saveexec_b32 s0, s1
	s_cbranch_execz .LBB1529_11
; %bb.10:
	v_mul_f64 v[10:11], v[10:11], s[6:7]
	v_ashrrev_i32_e32 v7, 31, v6
	s_delay_alu instid0(VALU_DEP_1) | instskip(NEXT) | instid1(VALU_DEP_1)
	v_lshlrev_b64 v[12:13], 3, v[6:7]
	v_add_co_u32 v12, vcc_lo, v9, v12
	s_delay_alu instid0(VALU_DEP_2)
	v_add_co_ci_u32_e32 v13, vcc_lo, v14, v13, vcc_lo
	global_store_b64 v[12:13], v[10:11], off
.LBB1529_11:
	s_or_b32 exec_lo, exec_lo, s0
	v_add_nc_u32_e32 v7, 16, v8
	s_delay_alu instid0(VALU_DEP_1) | instskip(SKIP_3) | instid1(VALU_DEP_4)
	v_ashrrev_i32_e32 v5, 31, v7
	v_mul_lo_u32 v10, v7, s19
	v_mad_u64_u32 v[8:9], null, v7, s18, 0
	v_cmp_gt_i32_e32 vcc_lo, s15, v7
	v_mul_lo_u32 v5, v5, s18
	v_cmp_le_i32_e64 s0, v4, v7
	s_delay_alu instid0(VALU_DEP_1) | instskip(NEXT) | instid1(VALU_DEP_2)
	s_and_b32 s0, vcc_lo, s0
	v_add3_u32 v9, v9, v10, v5
	s_delay_alu instid0(VALU_DEP_1) | instskip(NEXT) | instid1(VALU_DEP_1)
	v_lshlrev_b64 v[8:9], 3, v[8:9]
	v_add_co_u32 v8, s1, s16, v8
	s_delay_alu instid0(VALU_DEP_1)
	v_add_co_ci_u32_e64 v9, s1, s17, v9, s1
	s_and_saveexec_b32 s1, s0
	s_cbranch_execz .LBB1529_13
; %bb.12:
	v_mul_f64 v[2:3], v[2:3], s[6:7]
	v_ashrrev_i32_e32 v5, 31, v4
	s_delay_alu instid0(VALU_DEP_1) | instskip(NEXT) | instid1(VALU_DEP_1)
	v_lshlrev_b64 v[4:5], 3, v[4:5]
	v_add_co_u32 v4, s0, v8, v4
	s_delay_alu instid0(VALU_DEP_1)
	v_add_co_ci_u32_e64 v5, s0, v9, v5, s0
	global_store_b64 v[4:5], v[2:3], off
.LBB1529_13:
	s_or_b32 exec_lo, exec_lo, s1
	v_cmp_le_i32_e64 s0, v6, v7
	s_delay_alu instid0(VALU_DEP_1) | instskip(NEXT) | instid1(SALU_CYCLE_1)
	s_and_b32 s0, vcc_lo, s0
	s_and_saveexec_b32 s1, s0
	s_cbranch_execz .LBB1529_15
; %bb.14:
	v_mul_f64 v[0:1], v[0:1], s[6:7]
	v_ashrrev_i32_e32 v7, 31, v6
	s_delay_alu instid0(VALU_DEP_1) | instskip(NEXT) | instid1(VALU_DEP_1)
	v_lshlrev_b64 v[2:3], 3, v[6:7]
	v_add_co_u32 v2, vcc_lo, v8, v2
	s_delay_alu instid0(VALU_DEP_2)
	v_add_co_ci_u32_e32 v3, vcc_lo, v9, v3, vcc_lo
	global_store_b64 v[2:3], v[0:1], off
.LBB1529_15:
	s_nop 0
	s_sendmsg sendmsg(MSG_DEALLOC_VGPRS)
	s_endpgm
	.section	.rodata,"a",@progbits
	.p2align	6, 0x0
	.amdhsa_kernel _ZL34rocblas_syrkx_herkx_general_kernelIldLi16ELi32ELi8ELb1ELb0ELc67ELc85EKPKdKPdEviT_T0_PT8_S5_lS8_S5_lS6_PT9_S5_li
		.amdhsa_group_segment_fixed_size 4096
		.amdhsa_private_segment_fixed_size 0
		.amdhsa_kernarg_size 108
		.amdhsa_user_sgpr_count 13
		.amdhsa_user_sgpr_dispatch_ptr 0
		.amdhsa_user_sgpr_queue_ptr 0
		.amdhsa_user_sgpr_kernarg_segment_ptr 1
		.amdhsa_user_sgpr_dispatch_id 0
		.amdhsa_user_sgpr_private_segment_size 0
		.amdhsa_wavefront_size32 1
		.amdhsa_uses_dynamic_stack 0
		.amdhsa_enable_private_segment 0
		.amdhsa_system_sgpr_workgroup_id_x 1
		.amdhsa_system_sgpr_workgroup_id_y 1
		.amdhsa_system_sgpr_workgroup_id_z 1
		.amdhsa_system_sgpr_workgroup_info 0
		.amdhsa_system_vgpr_workitem_id 1
		.amdhsa_next_free_vgpr 42
		.amdhsa_next_free_sgpr 23
		.amdhsa_reserve_vcc 1
		.amdhsa_float_round_mode_32 0
		.amdhsa_float_round_mode_16_64 0
		.amdhsa_float_denorm_mode_32 3
		.amdhsa_float_denorm_mode_16_64 3
		.amdhsa_dx10_clamp 1
		.amdhsa_ieee_mode 1
		.amdhsa_fp16_overflow 0
		.amdhsa_workgroup_processor_mode 1
		.amdhsa_memory_ordered 1
		.amdhsa_forward_progress 0
		.amdhsa_shared_vgpr_count 0
		.amdhsa_exception_fp_ieee_invalid_op 0
		.amdhsa_exception_fp_denorm_src 0
		.amdhsa_exception_fp_ieee_div_zero 0
		.amdhsa_exception_fp_ieee_overflow 0
		.amdhsa_exception_fp_ieee_underflow 0
		.amdhsa_exception_fp_ieee_inexact 0
		.amdhsa_exception_int_div_zero 0
	.end_amdhsa_kernel
	.section	.text._ZL34rocblas_syrkx_herkx_general_kernelIldLi16ELi32ELi8ELb1ELb0ELc67ELc85EKPKdKPdEviT_T0_PT8_S5_lS8_S5_lS6_PT9_S5_li,"axG",@progbits,_ZL34rocblas_syrkx_herkx_general_kernelIldLi16ELi32ELi8ELb1ELb0ELc67ELc85EKPKdKPdEviT_T0_PT8_S5_lS8_S5_lS6_PT9_S5_li,comdat
.Lfunc_end1529:
	.size	_ZL34rocblas_syrkx_herkx_general_kernelIldLi16ELi32ELi8ELb1ELb0ELc67ELc85EKPKdKPdEviT_T0_PT8_S5_lS8_S5_lS6_PT9_S5_li, .Lfunc_end1529-_ZL34rocblas_syrkx_herkx_general_kernelIldLi16ELi32ELi8ELb1ELb0ELc67ELc85EKPKdKPdEviT_T0_PT8_S5_lS8_S5_lS6_PT9_S5_li
                                        ; -- End function
	.section	.AMDGPU.csdata,"",@progbits
; Kernel info:
; codeLenInByte = 1640
; NumSgprs: 25
; NumVgprs: 42
; ScratchSize: 0
; MemoryBound: 0
; FloatMode: 240
; IeeeMode: 1
; LDSByteSize: 4096 bytes/workgroup (compile time only)
; SGPRBlocks: 3
; VGPRBlocks: 5
; NumSGPRsForWavesPerEU: 25
; NumVGPRsForWavesPerEU: 42
; Occupancy: 16
; WaveLimiterHint : 1
; COMPUTE_PGM_RSRC2:SCRATCH_EN: 0
; COMPUTE_PGM_RSRC2:USER_SGPR: 13
; COMPUTE_PGM_RSRC2:TRAP_HANDLER: 0
; COMPUTE_PGM_RSRC2:TGID_X_EN: 1
; COMPUTE_PGM_RSRC2:TGID_Y_EN: 1
; COMPUTE_PGM_RSRC2:TGID_Z_EN: 1
; COMPUTE_PGM_RSRC2:TIDIG_COMP_CNT: 1
	.section	.text._ZL34rocblas_syrkx_herkx_general_kernelIldLi16ELi32ELi8ELb1ELb0ELc78ELc85EKPKdKPdEviT_T0_PT8_S5_lS8_S5_lS6_PT9_S5_li,"axG",@progbits,_ZL34rocblas_syrkx_herkx_general_kernelIldLi16ELi32ELi8ELb1ELb0ELc78ELc85EKPKdKPdEviT_T0_PT8_S5_lS8_S5_lS6_PT9_S5_li,comdat
	.globl	_ZL34rocblas_syrkx_herkx_general_kernelIldLi16ELi32ELi8ELb1ELb0ELc78ELc85EKPKdKPdEviT_T0_PT8_S5_lS8_S5_lS6_PT9_S5_li ; -- Begin function _ZL34rocblas_syrkx_herkx_general_kernelIldLi16ELi32ELi8ELb1ELb0ELc78ELc85EKPKdKPdEviT_T0_PT8_S5_lS8_S5_lS6_PT9_S5_li
	.p2align	8
	.type	_ZL34rocblas_syrkx_herkx_general_kernelIldLi16ELi32ELi8ELb1ELb0ELc78ELc85EKPKdKPdEviT_T0_PT8_S5_lS8_S5_lS6_PT9_S5_li,@function
_ZL34rocblas_syrkx_herkx_general_kernelIldLi16ELi32ELi8ELb1ELb0ELc78ELc85EKPKdKPdEviT_T0_PT8_S5_lS8_S5_lS6_PT9_S5_li: ; @_ZL34rocblas_syrkx_herkx_general_kernelIldLi16ELi32ELi8ELb1ELb0ELc78ELc85EKPKdKPdEviT_T0_PT8_S5_lS8_S5_lS6_PT9_S5_li
; %bb.0:
	s_clause 0x1
	s_load_b128 s[16:19], s[0:1], 0x50
	s_load_b256 s[4:11], s[0:1], 0x8
	s_mov_b32 s2, s15
	s_mov_b32 s3, 0
	v_mov_b32_e32 v12, 0
	s_lshl_b64 s[20:21], s[2:3], 3
	v_dual_mov_b32 v13, 0 :: v_dual_and_b32 v18, 0x3ff, v0
	v_bfe_u32 v19, v0, 10, 10
	s_delay_alu instid0(VALU_DEP_3) | instskip(NEXT) | instid1(VALU_DEP_3)
	v_mov_b32_e32 v10, v12
	v_dual_mov_b32 v4, v12 :: v_dual_mov_b32 v5, v13
	v_dual_mov_b32 v11, v13 :: v_dual_mov_b32 v2, v12
	v_mov_b32_e32 v3, v13
	s_waitcnt lgkmcnt(0)
	s_add_u32 s2, s16, s20
	s_addc_u32 s3, s17, s21
	s_load_b32 s22, s[0:1], 0x0
	s_load_b64 s[2:3], s[2:3], 0x0
	v_cmp_lt_i64_e64 s12, s[4:5], 1
	s_lshl_b32 s23, s13, 5
	s_lshl_b32 s24, s14, 5
	s_mov_b64 s[16:17], 0
	s_delay_alu instid0(VALU_DEP_1)
	s_and_b32 vcc_lo, exec_lo, s12
	s_cbranch_vccnz .LBB1530_7
; %bb.1:
	s_load_b128 s[12:15], s[0:1], 0x30
	v_lshl_add_u32 v2, v19, 4, v18
	v_and_b32_e32 v20, 7, v18
	v_dual_mov_b32 v0, 0 :: v_dual_lshlrev_b32 v21, 3, v18
	v_mov_b32_e32 v1, 0
	s_delay_alu instid0(VALU_DEP_4) | instskip(SKIP_3) | instid1(VALU_DEP_4)
	v_lshrrev_b32_e32 v23, 5, v2
	v_lshrrev_b32_e32 v3, 3, v2
	v_and_b32_e32 v9, 31, v2
	v_lshl_add_u32 v22, v19, 6, 0x800
	v_mad_u64_u32 v[4:5], null, s10, v23, 0
	v_lshlrev_b32_e32 v10, 3, v20
	s_delay_alu instid0(VALU_DEP_4) | instskip(SKIP_1) | instid1(VALU_DEP_3)
	v_or_b32_e32 v11, s23, v9
	v_lshlrev_b32_e32 v13, 3, v9
	v_lshl_or_b32 v14, v3, 6, v10
	s_waitcnt lgkmcnt(0)
	s_delay_alu instid0(VALU_DEP_3)
	v_cmp_gt_i32_e64 s0, s22, v11
	v_mad_u64_u32 v[6:7], null, s14, v20, 0
	v_dual_mov_b32 v3, v5 :: v_dual_add_nc_u32 v2, s24, v3
	s_add_u32 s12, s12, s20
	s_addc_u32 s13, s13, s21
	s_add_u32 s8, s8, s20
	s_addc_u32 s9, s9, s21
	s_delay_alu instid0(VALU_DEP_2) | instskip(SKIP_3) | instid1(VALU_DEP_3)
	v_mov_b32_e32 v5, v7
	v_mad_u64_u32 v[10:11], null, s11, v23, v[3:4]
	v_add_nc_u32_e32 v8, s23, v9
	s_load_b64 s[8:9], s[8:9], 0x0
	v_mad_u64_u32 v[11:12], null, s15, v20, v[5:6]
	s_load_b64 s[12:13], s[12:13], 0x0
	v_ashrrev_i32_e32 v3, 31, v2
	s_delay_alu instid0(VALU_DEP_4)
	v_mov_b32_e32 v5, v10
	v_ashrrev_i32_e32 v9, 31, v8
	v_cmp_gt_i32_e64 s1, s22, v2
	v_add_nc_u32_e32 v25, 0x800, v14
	v_mov_b32_e32 v7, v11
	v_lshlrev_b64 v[4:5], 3, v[4:5]
	v_lshlrev_b64 v[8:9], 3, v[8:9]
	v_dual_mov_b32 v11, v1 :: v_dual_mov_b32 v10, v0
	v_lshlrev_b64 v[2:3], 3, v[2:3]
	v_lshlrev_b64 v[6:7], 3, v[6:7]
	s_delay_alu instid0(VALU_DEP_4) | instskip(SKIP_1) | instid1(VALU_DEP_3)
	v_add_co_u32 v4, vcc_lo, v4, v8
	v_add_co_ci_u32_e32 v5, vcc_lo, v5, v9, vcc_lo
	v_add_co_u32 v2, vcc_lo, v6, v2
	s_delay_alu instid0(VALU_DEP_4)
	v_add_co_ci_u32_e32 v3, vcc_lo, v7, v3, vcc_lo
	s_waitcnt lgkmcnt(0)
	v_add_co_u32 v6, vcc_lo, s8, v4
	v_add_co_ci_u32_e32 v7, vcc_lo, s9, v5, vcc_lo
	v_add_co_u32 v8, vcc_lo, s12, v2
	v_mov_b32_e32 v5, v1
	v_add_co_ci_u32_e32 v9, vcc_lo, s13, v3, vcc_lo
	v_dual_mov_b32 v3, v1 :: v_dual_mov_b32 v4, v0
	v_lshl_or_b32 v24, v23, 8, v13
	v_dual_mov_b32 v13, v1 :: v_dual_mov_b32 v2, v0
	v_mov_b32_e32 v12, v0
	s_lshl_b64 s[8:9], s[10:11], 6
	s_lshl_b64 s[10:11], s[14:15], 6
	s_branch .LBB1530_3
.LBB1530_2:                             ;   in Loop: Header=BB1530_3 Depth=1
	s_or_b32 exec_lo, exec_lo, s12
	s_waitcnt vmcnt(0)
	ds_store_b64 v25, v[16:17]
	s_waitcnt lgkmcnt(0)
	s_barrier
	buffer_gl0_inv
	ds_load_2addr_b64 v[14:17], v21 offset1:16
	ds_load_b128 v[26:29], v22
	ds_load_b128 v[30:33], v22 offset:1024
	ds_load_b128 v[34:37], v22 offset:16
	;; [unrolled: 1-line block ×3, first 2 shown]
	s_add_u32 s16, s16, 8
	s_addc_u32 s17, s17, 0
	v_add_co_u32 v6, vcc_lo, v6, s8
	v_cmp_ge_i64_e64 s12, s[16:17], s[4:5]
	v_add_co_ci_u32_e32 v7, vcc_lo, s9, v7, vcc_lo
	v_add_co_u32 v8, vcc_lo, v8, s10
	v_add_co_ci_u32_e32 v9, vcc_lo, s11, v9, vcc_lo
	s_delay_alu instid0(VALU_DEP_4)
	s_and_b32 vcc_lo, exec_lo, s12
	s_waitcnt lgkmcnt(3)
	v_fma_f64 v[12:13], v[14:15], v[26:27], v[12:13]
	v_fma_f64 v[10:11], v[16:17], v[26:27], v[10:11]
	s_waitcnt lgkmcnt(2)
	v_fma_f64 v[14:15], v[14:15], v[30:31], v[4:5]
	v_fma_f64 v[16:17], v[16:17], v[30:31], v[2:3]
	ds_load_2addr_b64 v[2:5], v21 offset0:32 offset1:48
	s_waitcnt lgkmcnt(0)
	v_fma_f64 v[12:13], v[2:3], v[28:29], v[12:13]
	v_fma_f64 v[10:11], v[4:5], v[28:29], v[10:11]
	v_fma_f64 v[14:15], v[2:3], v[32:33], v[14:15]
	v_fma_f64 v[16:17], v[4:5], v[32:33], v[16:17]
	ds_load_2addr_b64 v[2:5], v21 offset0:64 offset1:80
	s_waitcnt lgkmcnt(0)
	v_fma_f64 v[12:13], v[2:3], v[34:35], v[12:13]
	v_fma_f64 v[10:11], v[4:5], v[34:35], v[10:11]
	;; [unrolled: 6-line block ×3, first 2 shown]
	v_fma_f64 v[38:39], v[2:3], v[40:41], v[14:15]
	v_fma_f64 v[40:41], v[4:5], v[40:41], v[16:17]
	ds_load_2addr_b64 v[2:5], v21 offset0:128 offset1:144
	ds_load_b128 v[10:13], v22 offset:32
	ds_load_b128 v[14:17], v22 offset:1056
	;; [unrolled: 1-line block ×4, first 2 shown]
	s_waitcnt lgkmcnt(3)
	v_fma_f64 v[34:35], v[2:3], v[10:11], v[34:35]
	v_fma_f64 v[10:11], v[4:5], v[10:11], v[36:37]
	s_waitcnt lgkmcnt(2)
	v_fma_f64 v[36:37], v[2:3], v[14:15], v[38:39]
	v_fma_f64 v[14:15], v[4:5], v[14:15], v[40:41]
	ds_load_2addr_b64 v[2:5], v21 offset0:160 offset1:176
	s_waitcnt lgkmcnt(0)
	v_fma_f64 v[34:35], v[2:3], v[12:13], v[34:35]
	v_fma_f64 v[10:11], v[4:5], v[12:13], v[10:11]
	;; [unrolled: 1-line block ×4, first 2 shown]
	ds_load_2addr_b64 v[2:5], v21 offset0:192 offset1:208
	s_waitcnt lgkmcnt(0)
	v_fma_f64 v[34:35], v[2:3], v[26:27], v[34:35]
	v_fma_f64 v[10:11], v[4:5], v[26:27], v[10:11]
	;; [unrolled: 1-line block ×4, first 2 shown]
	ds_load_2addr_b64 v[14:17], v21 offset0:224 offset1:240
	s_waitcnt lgkmcnt(0)
	s_barrier
	buffer_gl0_inv
	v_fma_f64 v[12:13], v[14:15], v[28:29], v[34:35]
	v_fma_f64 v[10:11], v[16:17], v[28:29], v[10:11]
	;; [unrolled: 1-line block ×4, first 2 shown]
	s_cbranch_vccnz .LBB1530_7
.LBB1530_3:                             ; =>This Inner Loop Header: Depth=1
	v_add_co_u32 v14, s12, v23, s16
	s_delay_alu instid0(VALU_DEP_1) | instskip(NEXT) | instid1(VALU_DEP_1)
	v_add_co_ci_u32_e64 v15, null, 0, s17, s12
	v_cmp_gt_i64_e32 vcc_lo, s[4:5], v[14:15]
	v_dual_mov_b32 v15, v1 :: v_dual_mov_b32 v14, v0
	s_and_b32 s13, s0, vcc_lo
	s_delay_alu instid0(SALU_CYCLE_1)
	s_and_saveexec_b32 s12, s13
	s_cbranch_execz .LBB1530_5
; %bb.4:                                ;   in Loop: Header=BB1530_3 Depth=1
	global_load_b64 v[14:15], v[6:7], off
.LBB1530_5:                             ;   in Loop: Header=BB1530_3 Depth=1
	s_or_b32 exec_lo, exec_lo, s12
	v_add_co_u32 v16, s12, v20, s16
	s_delay_alu instid0(VALU_DEP_1)
	v_add_co_ci_u32_e64 v17, null, 0, s17, s12
	s_waitcnt vmcnt(0)
	ds_store_b64 v24, v[14:15]
	v_cmp_gt_i64_e32 vcc_lo, s[4:5], v[16:17]
	v_dual_mov_b32 v17, v1 :: v_dual_mov_b32 v16, v0
	s_and_b32 s13, vcc_lo, s1
	s_delay_alu instid0(SALU_CYCLE_1)
	s_and_saveexec_b32 s12, s13
	s_cbranch_execz .LBB1530_2
; %bb.6:                                ;   in Loop: Header=BB1530_3 Depth=1
	global_load_b64 v[16:17], v[8:9], off
	s_branch .LBB1530_2
.LBB1530_7:
	v_add_nc_u32_e32 v8, s24, v19
	s_delay_alu instid0(VALU_DEP_1)
	v_ashrrev_i32_e32 v0, 31, v8
	v_mul_lo_u32 v1, v8, s19
	v_mad_u64_u32 v[6:7], null, v8, s18, 0
	s_waitcnt lgkmcnt(0)
	v_cmp_gt_i32_e32 vcc_lo, s22, v8
	v_mul_lo_u32 v0, v0, s18
	s_delay_alu instid0(VALU_DEP_1) | instskip(SKIP_1) | instid1(VALU_DEP_2)
	v_add3_u32 v7, v7, v1, v0
	v_add_nc_u32_e32 v0, s23, v18
	v_lshlrev_b64 v[6:7], 3, v[6:7]
	s_delay_alu instid0(VALU_DEP_2) | instskip(NEXT) | instid1(VALU_DEP_1)
	v_cmp_le_i32_e64 s0, v0, v8
	s_and_b32 s0, vcc_lo, s0
	s_delay_alu instid0(VALU_DEP_2) | instskip(NEXT) | instid1(VALU_DEP_1)
	v_add_co_u32 v9, s1, s2, v6
	v_add_co_ci_u32_e64 v14, s1, s3, v7, s1
	s_and_saveexec_b32 s1, s0
	s_cbranch_execz .LBB1530_9
; %bb.8:
	v_mul_f64 v[6:7], v[12:13], s[6:7]
	v_ashrrev_i32_e32 v1, 31, v0
	s_delay_alu instid0(VALU_DEP_1) | instskip(NEXT) | instid1(VALU_DEP_1)
	v_lshlrev_b64 v[12:13], 3, v[0:1]
	v_add_co_u32 v12, s0, v9, v12
	s_delay_alu instid0(VALU_DEP_1)
	v_add_co_ci_u32_e64 v13, s0, v14, v13, s0
	global_store_b64 v[12:13], v[6:7], off
.LBB1530_9:
	s_or_b32 exec_lo, exec_lo, s1
	v_add_nc_u32_e32 v6, 16, v0
	s_delay_alu instid0(VALU_DEP_1) | instskip(NEXT) | instid1(VALU_DEP_1)
	v_cmp_le_i32_e64 s0, v6, v8
	s_and_b32 s1, vcc_lo, s0
	s_delay_alu instid0(SALU_CYCLE_1)
	s_and_saveexec_b32 s0, s1
	s_cbranch_execz .LBB1530_11
; %bb.10:
	v_mul_f64 v[10:11], v[10:11], s[6:7]
	v_ashrrev_i32_e32 v7, 31, v6
	s_delay_alu instid0(VALU_DEP_1) | instskip(NEXT) | instid1(VALU_DEP_1)
	v_lshlrev_b64 v[12:13], 3, v[6:7]
	v_add_co_u32 v12, vcc_lo, v9, v12
	s_delay_alu instid0(VALU_DEP_2)
	v_add_co_ci_u32_e32 v13, vcc_lo, v14, v13, vcc_lo
	global_store_b64 v[12:13], v[10:11], off
.LBB1530_11:
	s_or_b32 exec_lo, exec_lo, s0
	v_add_nc_u32_e32 v7, 16, v8
	s_delay_alu instid0(VALU_DEP_1) | instskip(SKIP_3) | instid1(VALU_DEP_4)
	v_ashrrev_i32_e32 v1, 31, v7
	v_mul_lo_u32 v10, v7, s19
	v_mad_u64_u32 v[8:9], null, v7, s18, 0
	v_cmp_gt_i32_e32 vcc_lo, s22, v7
	v_mul_lo_u32 v1, v1, s18
	v_cmp_le_i32_e64 s0, v0, v7
	s_delay_alu instid0(VALU_DEP_1) | instskip(NEXT) | instid1(VALU_DEP_2)
	s_and_b32 s0, vcc_lo, s0
	v_add3_u32 v9, v9, v10, v1
	s_delay_alu instid0(VALU_DEP_1) | instskip(NEXT) | instid1(VALU_DEP_1)
	v_lshlrev_b64 v[8:9], 3, v[8:9]
	v_add_co_u32 v8, s1, s2, v8
	s_delay_alu instid0(VALU_DEP_1)
	v_add_co_ci_u32_e64 v9, s1, s3, v9, s1
	s_and_saveexec_b32 s1, s0
	s_cbranch_execz .LBB1530_13
; %bb.12:
	v_mul_f64 v[4:5], v[4:5], s[6:7]
	v_ashrrev_i32_e32 v1, 31, v0
	s_delay_alu instid0(VALU_DEP_1) | instskip(NEXT) | instid1(VALU_DEP_1)
	v_lshlrev_b64 v[0:1], 3, v[0:1]
	v_add_co_u32 v0, s0, v8, v0
	s_delay_alu instid0(VALU_DEP_1)
	v_add_co_ci_u32_e64 v1, s0, v9, v1, s0
	global_store_b64 v[0:1], v[4:5], off
.LBB1530_13:
	s_or_b32 exec_lo, exec_lo, s1
	v_cmp_le_i32_e64 s0, v6, v7
	s_delay_alu instid0(VALU_DEP_1) | instskip(NEXT) | instid1(SALU_CYCLE_1)
	s_and_b32 s0, vcc_lo, s0
	s_and_saveexec_b32 s1, s0
	s_cbranch_execz .LBB1530_15
; %bb.14:
	v_mul_f64 v[0:1], v[2:3], s[6:7]
	v_ashrrev_i32_e32 v7, 31, v6
	s_delay_alu instid0(VALU_DEP_1) | instskip(NEXT) | instid1(VALU_DEP_1)
	v_lshlrev_b64 v[2:3], 3, v[6:7]
	v_add_co_u32 v2, vcc_lo, v8, v2
	s_delay_alu instid0(VALU_DEP_2)
	v_add_co_ci_u32_e32 v3, vcc_lo, v9, v3, vcc_lo
	global_store_b64 v[2:3], v[0:1], off
.LBB1530_15:
	s_nop 0
	s_sendmsg sendmsg(MSG_DEALLOC_VGPRS)
	s_endpgm
	.section	.rodata,"a",@progbits
	.p2align	6, 0x0
	.amdhsa_kernel _ZL34rocblas_syrkx_herkx_general_kernelIldLi16ELi32ELi8ELb1ELb0ELc78ELc85EKPKdKPdEviT_T0_PT8_S5_lS8_S5_lS6_PT9_S5_li
		.amdhsa_group_segment_fixed_size 4096
		.amdhsa_private_segment_fixed_size 0
		.amdhsa_kernarg_size 108
		.amdhsa_user_sgpr_count 13
		.amdhsa_user_sgpr_dispatch_ptr 0
		.amdhsa_user_sgpr_queue_ptr 0
		.amdhsa_user_sgpr_kernarg_segment_ptr 1
		.amdhsa_user_sgpr_dispatch_id 0
		.amdhsa_user_sgpr_private_segment_size 0
		.amdhsa_wavefront_size32 1
		.amdhsa_uses_dynamic_stack 0
		.amdhsa_enable_private_segment 0
		.amdhsa_system_sgpr_workgroup_id_x 1
		.amdhsa_system_sgpr_workgroup_id_y 1
		.amdhsa_system_sgpr_workgroup_id_z 1
		.amdhsa_system_sgpr_workgroup_info 0
		.amdhsa_system_vgpr_workitem_id 1
		.amdhsa_next_free_vgpr 42
		.amdhsa_next_free_sgpr 25
		.amdhsa_reserve_vcc 1
		.amdhsa_float_round_mode_32 0
		.amdhsa_float_round_mode_16_64 0
		.amdhsa_float_denorm_mode_32 3
		.amdhsa_float_denorm_mode_16_64 3
		.amdhsa_dx10_clamp 1
		.amdhsa_ieee_mode 1
		.amdhsa_fp16_overflow 0
		.amdhsa_workgroup_processor_mode 1
		.amdhsa_memory_ordered 1
		.amdhsa_forward_progress 0
		.amdhsa_shared_vgpr_count 0
		.amdhsa_exception_fp_ieee_invalid_op 0
		.amdhsa_exception_fp_denorm_src 0
		.amdhsa_exception_fp_ieee_div_zero 0
		.amdhsa_exception_fp_ieee_overflow 0
		.amdhsa_exception_fp_ieee_underflow 0
		.amdhsa_exception_fp_ieee_inexact 0
		.amdhsa_exception_int_div_zero 0
	.end_amdhsa_kernel
	.section	.text._ZL34rocblas_syrkx_herkx_general_kernelIldLi16ELi32ELi8ELb1ELb0ELc78ELc85EKPKdKPdEviT_T0_PT8_S5_lS8_S5_lS6_PT9_S5_li,"axG",@progbits,_ZL34rocblas_syrkx_herkx_general_kernelIldLi16ELi32ELi8ELb1ELb0ELc78ELc85EKPKdKPdEviT_T0_PT8_S5_lS8_S5_lS6_PT9_S5_li,comdat
.Lfunc_end1530:
	.size	_ZL34rocblas_syrkx_herkx_general_kernelIldLi16ELi32ELi8ELb1ELb0ELc78ELc85EKPKdKPdEviT_T0_PT8_S5_lS8_S5_lS6_PT9_S5_li, .Lfunc_end1530-_ZL34rocblas_syrkx_herkx_general_kernelIldLi16ELi32ELi8ELb1ELb0ELc78ELc85EKPKdKPdEviT_T0_PT8_S5_lS8_S5_lS6_PT9_S5_li
                                        ; -- End function
	.section	.AMDGPU.csdata,"",@progbits
; Kernel info:
; codeLenInByte = 1656
; NumSgprs: 27
; NumVgprs: 42
; ScratchSize: 0
; MemoryBound: 0
; FloatMode: 240
; IeeeMode: 1
; LDSByteSize: 4096 bytes/workgroup (compile time only)
; SGPRBlocks: 3
; VGPRBlocks: 5
; NumSGPRsForWavesPerEU: 27
; NumVGPRsForWavesPerEU: 42
; Occupancy: 16
; WaveLimiterHint : 1
; COMPUTE_PGM_RSRC2:SCRATCH_EN: 0
; COMPUTE_PGM_RSRC2:USER_SGPR: 13
; COMPUTE_PGM_RSRC2:TRAP_HANDLER: 0
; COMPUTE_PGM_RSRC2:TGID_X_EN: 1
; COMPUTE_PGM_RSRC2:TGID_Y_EN: 1
; COMPUTE_PGM_RSRC2:TGID_Z_EN: 1
; COMPUTE_PGM_RSRC2:TIDIG_COMP_CNT: 1
	.section	.text._ZL34rocblas_syrkx_herkx_general_kernelIldLi16ELi32ELi8ELb0ELb0ELc84ELc76EKPKdKPdEviT_T0_PT8_S5_lS8_S5_lS6_PT9_S5_li,"axG",@progbits,_ZL34rocblas_syrkx_herkx_general_kernelIldLi16ELi32ELi8ELb0ELb0ELc84ELc76EKPKdKPdEviT_T0_PT8_S5_lS8_S5_lS6_PT9_S5_li,comdat
	.globl	_ZL34rocblas_syrkx_herkx_general_kernelIldLi16ELi32ELi8ELb0ELb0ELc84ELc76EKPKdKPdEviT_T0_PT8_S5_lS8_S5_lS6_PT9_S5_li ; -- Begin function _ZL34rocblas_syrkx_herkx_general_kernelIldLi16ELi32ELi8ELb0ELb0ELc84ELc76EKPKdKPdEviT_T0_PT8_S5_lS8_S5_lS6_PT9_S5_li
	.p2align	8
	.type	_ZL34rocblas_syrkx_herkx_general_kernelIldLi16ELi32ELi8ELb0ELb0ELc84ELc76EKPKdKPdEviT_T0_PT8_S5_lS8_S5_lS6_PT9_S5_li,@function
_ZL34rocblas_syrkx_herkx_general_kernelIldLi16ELi32ELi8ELb0ELb0ELc84ELc76EKPKdKPdEviT_T0_PT8_S5_lS8_S5_lS6_PT9_S5_li: ; @_ZL34rocblas_syrkx_herkx_general_kernelIldLi16ELi32ELi8ELb0ELb0ELc84ELc76EKPKdKPdEviT_T0_PT8_S5_lS8_S5_lS6_PT9_S5_li
; %bb.0:
	s_clause 0x1
	s_load_b128 s[16:19], s[0:1], 0x48
	s_load_b256 s[4:11], s[0:1], 0x8
	s_mov_b32 s2, s15
	s_mov_b32 s3, 0
	s_load_b64 s[20:21], s[0:1], 0x58
	s_lshl_b64 s[22:23], s[2:3], 3
	v_mov_b32_e32 v12, 0
	v_dual_mov_b32 v13, 0 :: v_dual_and_b32 v18, 0x3ff, v0
	v_bfe_u32 v19, v0, 10, 10
	s_delay_alu instid0(VALU_DEP_3) | instskip(NEXT) | instid1(VALU_DEP_3)
	v_mov_b32_e32 v10, v12
	v_dual_mov_b32 v2, v12 :: v_dual_mov_b32 v3, v13
	v_dual_mov_b32 v11, v13 :: v_dual_mov_b32 v0, v12
	v_mov_b32_e32 v1, v13
	s_waitcnt lgkmcnt(0)
	s_add_u32 s2, s18, s22
	s_addc_u32 s3, s19, s23
	s_load_b32 s15, s[0:1], 0x0
	s_load_b64 s[18:19], s[2:3], 0x0
	v_cmp_lt_i64_e64 s2, s[4:5], 1
	s_lshl_b32 s24, s13, 5
	s_lshl_b32 s14, s14, 5
	s_mov_b64 s[12:13], 0
	s_delay_alu instid0(VALU_DEP_1)
	s_and_b32 vcc_lo, exec_lo, s2
	s_cbranch_vccnz .LBB1531_7
; %bb.1:
	s_load_b128 s[0:3], s[0:1], 0x30
	v_lshl_add_u32 v0, v19, 4, v18
	v_and_b32_e32 v20, 7, v18
	v_lshl_add_u32 v25, v19, 6, 0x800
	s_delay_alu instid0(VALU_DEP_3) | instskip(SKIP_3) | instid1(VALU_DEP_4)
	v_and_b32_e32 v1, 31, v0
	v_lshrrev_b32_e32 v4, 3, v0
	v_lshrrev_b32_e32 v21, 5, v0
	v_lshlrev_b32_e32 v6, 3, v20
	v_add_nc_u32_e32 v2, s24, v1
	s_delay_alu instid0(VALU_DEP_4)
	v_add_nc_u32_e32 v5, s14, v4
	v_or_b32_e32 v7, s24, v1
	v_lshlrev_b32_e32 v8, 3, v1
	v_lshl_or_b32 v4, v4, 6, v6
	v_ashrrev_i32_e32 v9, 31, v2
	v_ashrrev_i32_e32 v3, 31, v5
	v_mul_lo_u32 v10, s11, v2
	v_mad_u64_u32 v[0:1], null, s10, v2, 0
	s_waitcnt lgkmcnt(0)
	s_add_u32 s0, s0, s22
	v_mul_lo_u32 v9, s10, v9
	s_addc_u32 s1, s1, s23
	s_add_u32 s8, s8, s22
	v_mul_lo_u32 v11, s2, v3
	v_mul_lo_u32 v12, s3, v5
	s_addc_u32 s9, s9, s23
	v_mad_u64_u32 v[2:3], null, s2, v5, 0
	s_load_b64 s[2:3], s[8:9], 0x0
	s_load_b64 s[10:11], s[0:1], 0x0
	v_add3_u32 v1, v1, v9, v10
	v_add_nc_u32_e32 v23, 0x800, v4
	v_lshlrev_b32_e32 v4, 3, v21
	v_cmp_gt_i32_e64 s1, s15, v5
	v_add3_u32 v3, v3, v11, v12
	v_lshlrev_b64 v[0:1], 3, v[0:1]
	v_cmp_gt_i32_e64 s0, s15, v7
	s_delay_alu instid0(VALU_DEP_3) | instskip(NEXT) | instid1(VALU_DEP_3)
	v_lshlrev_b64 v[2:3], 3, v[2:3]
	v_add_co_u32 v0, vcc_lo, v0, v4
	s_delay_alu instid0(VALU_DEP_4) | instskip(NEXT) | instid1(VALU_DEP_3)
	v_add_co_ci_u32_e32 v1, vcc_lo, 0, v1, vcc_lo
	v_add_co_u32 v2, vcc_lo, v2, v6
	v_mov_b32_e32 v4, 0
	v_mov_b32_e32 v5, 0
	v_add_co_ci_u32_e32 v3, vcc_lo, 0, v3, vcc_lo
	s_waitcnt lgkmcnt(0)
	v_add_co_u32 v6, vcc_lo, s2, v0
	v_add_co_ci_u32_e32 v7, vcc_lo, s3, v1, vcc_lo
	v_dual_mov_b32 v0, v4 :: v_dual_mov_b32 v11, v5
	v_lshl_or_b32 v22, v21, 8, v8
	v_add_co_u32 v8, vcc_lo, s10, v2
	v_dual_mov_b32 v13, v5 :: v_dual_lshlrev_b32 v24, 3, v18
	v_add_co_ci_u32_e32 v9, vcc_lo, s11, v3, vcc_lo
	v_dual_mov_b32 v2, v4 :: v_dual_mov_b32 v1, v5
	v_dual_mov_b32 v3, v5 :: v_dual_mov_b32 v10, v4
	v_mov_b32_e32 v12, v4
	s_branch .LBB1531_3
.LBB1531_2:                             ;   in Loop: Header=BB1531_3 Depth=1
	s_or_b32 exec_lo, exec_lo, s2
	s_waitcnt vmcnt(0)
	ds_store_b64 v23, v[16:17]
	s_waitcnt lgkmcnt(0)
	s_barrier
	buffer_gl0_inv
	ds_load_2addr_b64 v[14:17], v24 offset1:16
	ds_load_b128 v[26:29], v25
	ds_load_b128 v[30:33], v25 offset:1024
	ds_load_b128 v[34:37], v25 offset:16
	;; [unrolled: 1-line block ×3, first 2 shown]
	s_add_u32 s12, s12, 8
	s_addc_u32 s13, s13, 0
	v_add_co_u32 v6, vcc_lo, v6, 64
	v_cmp_ge_i64_e64 s2, s[12:13], s[4:5]
	v_add_co_ci_u32_e32 v7, vcc_lo, 0, v7, vcc_lo
	v_add_co_u32 v8, vcc_lo, v8, 64
	v_add_co_ci_u32_e32 v9, vcc_lo, 0, v9, vcc_lo
	s_delay_alu instid0(VALU_DEP_4)
	s_and_b32 vcc_lo, exec_lo, s2
	s_waitcnt lgkmcnt(3)
	v_fma_f64 v[12:13], v[14:15], v[26:27], v[12:13]
	v_fma_f64 v[10:11], v[16:17], v[26:27], v[10:11]
	s_waitcnt lgkmcnt(2)
	v_fma_f64 v[14:15], v[14:15], v[30:31], v[2:3]
	v_fma_f64 v[16:17], v[16:17], v[30:31], v[0:1]
	ds_load_2addr_b64 v[0:3], v24 offset0:32 offset1:48
	s_waitcnt lgkmcnt(0)
	v_fma_f64 v[12:13], v[0:1], v[28:29], v[12:13]
	v_fma_f64 v[10:11], v[2:3], v[28:29], v[10:11]
	v_fma_f64 v[14:15], v[0:1], v[32:33], v[14:15]
	v_fma_f64 v[16:17], v[2:3], v[32:33], v[16:17]
	ds_load_2addr_b64 v[0:3], v24 offset0:64 offset1:80
	s_waitcnt lgkmcnt(0)
	v_fma_f64 v[12:13], v[0:1], v[34:35], v[12:13]
	v_fma_f64 v[10:11], v[2:3], v[34:35], v[10:11]
	;; [unrolled: 6-line block ×3, first 2 shown]
	v_fma_f64 v[38:39], v[0:1], v[40:41], v[14:15]
	v_fma_f64 v[40:41], v[2:3], v[40:41], v[16:17]
	ds_load_2addr_b64 v[0:3], v24 offset0:128 offset1:144
	ds_load_b128 v[10:13], v25 offset:32
	ds_load_b128 v[14:17], v25 offset:1056
	;; [unrolled: 1-line block ×4, first 2 shown]
	s_waitcnt lgkmcnt(3)
	v_fma_f64 v[34:35], v[0:1], v[10:11], v[34:35]
	v_fma_f64 v[10:11], v[2:3], v[10:11], v[36:37]
	s_waitcnt lgkmcnt(2)
	v_fma_f64 v[36:37], v[0:1], v[14:15], v[38:39]
	v_fma_f64 v[14:15], v[2:3], v[14:15], v[40:41]
	ds_load_2addr_b64 v[0:3], v24 offset0:160 offset1:176
	s_waitcnt lgkmcnt(0)
	v_fma_f64 v[34:35], v[0:1], v[12:13], v[34:35]
	v_fma_f64 v[10:11], v[2:3], v[12:13], v[10:11]
	;; [unrolled: 1-line block ×4, first 2 shown]
	ds_load_2addr_b64 v[0:3], v24 offset0:192 offset1:208
	s_waitcnt lgkmcnt(0)
	v_fma_f64 v[34:35], v[0:1], v[26:27], v[34:35]
	v_fma_f64 v[10:11], v[2:3], v[26:27], v[10:11]
	;; [unrolled: 1-line block ×4, first 2 shown]
	ds_load_2addr_b64 v[14:17], v24 offset0:224 offset1:240
	s_waitcnt lgkmcnt(0)
	s_barrier
	buffer_gl0_inv
	v_fma_f64 v[12:13], v[14:15], v[28:29], v[34:35]
	v_fma_f64 v[10:11], v[16:17], v[28:29], v[10:11]
	;; [unrolled: 1-line block ×4, first 2 shown]
	s_cbranch_vccnz .LBB1531_7
.LBB1531_3:                             ; =>This Inner Loop Header: Depth=1
	v_add_co_u32 v14, s2, v21, s12
	s_delay_alu instid0(VALU_DEP_1) | instskip(NEXT) | instid1(VALU_DEP_1)
	v_add_co_ci_u32_e64 v15, null, 0, s13, s2
	v_cmp_gt_i64_e32 vcc_lo, s[4:5], v[14:15]
	v_dual_mov_b32 v15, v5 :: v_dual_mov_b32 v14, v4
	s_and_b32 s3, s0, vcc_lo
	s_delay_alu instid0(SALU_CYCLE_1)
	s_and_saveexec_b32 s2, s3
	s_cbranch_execz .LBB1531_5
; %bb.4:                                ;   in Loop: Header=BB1531_3 Depth=1
	global_load_b64 v[14:15], v[6:7], off
.LBB1531_5:                             ;   in Loop: Header=BB1531_3 Depth=1
	s_or_b32 exec_lo, exec_lo, s2
	v_add_co_u32 v16, s2, v20, s12
	s_delay_alu instid0(VALU_DEP_1)
	v_add_co_ci_u32_e64 v17, null, 0, s13, s2
	s_waitcnt vmcnt(0)
	ds_store_b64 v22, v[14:15]
	v_cmp_gt_i64_e32 vcc_lo, s[4:5], v[16:17]
	v_dual_mov_b32 v17, v5 :: v_dual_mov_b32 v16, v4
	s_and_b32 s3, vcc_lo, s1
	s_delay_alu instid0(SALU_CYCLE_1)
	s_and_saveexec_b32 s2, s3
	s_cbranch_execz .LBB1531_2
; %bb.6:                                ;   in Loop: Header=BB1531_3 Depth=1
	global_load_b64 v[16:17], v[8:9], off
	s_branch .LBB1531_2
.LBB1531_7:
	v_add_nc_u32_e32 v8, s14, v19
	s_delay_alu instid0(VALU_DEP_1) | instskip(SKIP_2) | instid1(VALU_DEP_3)
	v_ashrrev_i32_e32 v4, 31, v8
	v_mul_lo_u32 v7, v8, s21
	v_mad_u64_u32 v[5:6], null, v8, s20, 0
	v_mul_lo_u32 v4, v4, s20
	s_delay_alu instid0(VALU_DEP_1) | instskip(SKIP_1) | instid1(VALU_DEP_2)
	v_add3_u32 v6, v6, v7, v4
	v_add_nc_u32_e32 v4, s24, v18
	v_lshlrev_b64 v[5:6], 3, v[5:6]
	s_delay_alu instid0(VALU_DEP_2) | instskip(SKIP_2) | instid1(VALU_DEP_3)
	v_cmp_le_i32_e64 s0, v8, v4
	s_waitcnt lgkmcnt(0)
	v_cmp_gt_i32_e32 vcc_lo, s15, v4
	v_add_co_u32 v9, s1, s18, v5
	s_delay_alu instid0(VALU_DEP_1) | instskip(SKIP_1) | instid1(SALU_CYCLE_1)
	v_add_co_ci_u32_e64 v14, s1, s19, v6, s1
	s_and_b32 s0, s0, vcc_lo
	s_and_saveexec_b32 s1, s0
	s_cbranch_execz .LBB1531_9
; %bb.8:
	v_ashrrev_i32_e32 v5, 31, v4
	s_delay_alu instid0(VALU_DEP_1) | instskip(NEXT) | instid1(VALU_DEP_1)
	v_lshlrev_b64 v[5:6], 3, v[4:5]
	v_add_co_u32 v5, s0, v9, v5
	s_delay_alu instid0(VALU_DEP_1) | instskip(SKIP_3) | instid1(VALU_DEP_1)
	v_add_co_ci_u32_e64 v6, s0, v14, v6, s0
	global_load_b64 v[15:16], v[5:6], off
	s_waitcnt vmcnt(0)
	v_mul_f64 v[15:16], v[15:16], s[16:17]
	v_fma_f64 v[12:13], v[12:13], s[6:7], v[15:16]
	global_store_b64 v[5:6], v[12:13], off
.LBB1531_9:
	s_or_b32 exec_lo, exec_lo, s1
	v_add_nc_u32_e32 v6, 16, v4
	s_delay_alu instid0(VALU_DEP_1) | instskip(SKIP_1) | instid1(VALU_DEP_1)
	v_cmp_le_i32_e64 s1, v8, v6
	v_cmp_gt_i32_e64 s0, s15, v6
	s_and_b32 s1, s1, s0
	s_delay_alu instid0(SALU_CYCLE_1)
	s_and_saveexec_b32 s2, s1
	s_cbranch_execz .LBB1531_11
; %bb.10:
	v_ashrrev_i32_e32 v7, 31, v6
	s_delay_alu instid0(VALU_DEP_1) | instskip(NEXT) | instid1(VALU_DEP_1)
	v_lshlrev_b64 v[12:13], 3, v[6:7]
	v_add_co_u32 v12, s1, v9, v12
	s_delay_alu instid0(VALU_DEP_1) | instskip(SKIP_3) | instid1(VALU_DEP_1)
	v_add_co_ci_u32_e64 v13, s1, v14, v13, s1
	global_load_b64 v[14:15], v[12:13], off
	s_waitcnt vmcnt(0)
	v_mul_f64 v[14:15], v[14:15], s[16:17]
	v_fma_f64 v[9:10], v[10:11], s[6:7], v[14:15]
	global_store_b64 v[12:13], v[9:10], off
.LBB1531_11:
	s_or_b32 exec_lo, exec_lo, s2
	v_add_nc_u32_e32 v7, 16, v8
	s_delay_alu instid0(VALU_DEP_1) | instskip(SKIP_3) | instid1(VALU_DEP_4)
	v_ashrrev_i32_e32 v5, 31, v7
	v_mul_lo_u32 v10, v7, s21
	v_mad_u64_u32 v[8:9], null, v7, s20, 0
	v_cmp_le_i32_e64 s1, v7, v4
	v_mul_lo_u32 v5, v5, s20
	s_delay_alu instid0(VALU_DEP_1) | instskip(NEXT) | instid1(VALU_DEP_1)
	v_add3_u32 v9, v9, v10, v5
	v_lshlrev_b64 v[8:9], 3, v[8:9]
	s_delay_alu instid0(VALU_DEP_1) | instskip(NEXT) | instid1(VALU_DEP_1)
	v_add_co_u32 v8, s2, s18, v8
	v_add_co_ci_u32_e64 v9, s2, s19, v9, s2
	s_and_b32 s2, s1, vcc_lo
	s_delay_alu instid0(SALU_CYCLE_1)
	s_and_saveexec_b32 s1, s2
	s_cbranch_execz .LBB1531_13
; %bb.12:
	v_ashrrev_i32_e32 v5, 31, v4
	s_delay_alu instid0(VALU_DEP_1) | instskip(NEXT) | instid1(VALU_DEP_1)
	v_lshlrev_b64 v[4:5], 3, v[4:5]
	v_add_co_u32 v4, vcc_lo, v8, v4
	s_delay_alu instid0(VALU_DEP_2) | instskip(SKIP_3) | instid1(VALU_DEP_1)
	v_add_co_ci_u32_e32 v5, vcc_lo, v9, v5, vcc_lo
	global_load_b64 v[10:11], v[4:5], off
	s_waitcnt vmcnt(0)
	v_mul_f64 v[10:11], v[10:11], s[16:17]
	v_fma_f64 v[2:3], v[2:3], s[6:7], v[10:11]
	global_store_b64 v[4:5], v[2:3], off
.LBB1531_13:
	s_or_b32 exec_lo, exec_lo, s1
	v_cmp_le_i32_e32 vcc_lo, v7, v6
	s_and_b32 s0, vcc_lo, s0
	s_delay_alu instid0(SALU_CYCLE_1)
	s_and_saveexec_b32 s1, s0
	s_cbranch_execz .LBB1531_15
; %bb.14:
	v_ashrrev_i32_e32 v7, 31, v6
	s_delay_alu instid0(VALU_DEP_1) | instskip(NEXT) | instid1(VALU_DEP_1)
	v_lshlrev_b64 v[2:3], 3, v[6:7]
	v_add_co_u32 v2, vcc_lo, v8, v2
	s_delay_alu instid0(VALU_DEP_2) | instskip(SKIP_3) | instid1(VALU_DEP_1)
	v_add_co_ci_u32_e32 v3, vcc_lo, v9, v3, vcc_lo
	global_load_b64 v[4:5], v[2:3], off
	s_waitcnt vmcnt(0)
	v_mul_f64 v[4:5], v[4:5], s[16:17]
	v_fma_f64 v[0:1], v[0:1], s[6:7], v[4:5]
	global_store_b64 v[2:3], v[0:1], off
.LBB1531_15:
	s_nop 0
	s_sendmsg sendmsg(MSG_DEALLOC_VGPRS)
	s_endpgm
	.section	.rodata,"a",@progbits
	.p2align	6, 0x0
	.amdhsa_kernel _ZL34rocblas_syrkx_herkx_general_kernelIldLi16ELi32ELi8ELb0ELb0ELc84ELc76EKPKdKPdEviT_T0_PT8_S5_lS8_S5_lS6_PT9_S5_li
		.amdhsa_group_segment_fixed_size 4096
		.amdhsa_private_segment_fixed_size 0
		.amdhsa_kernarg_size 108
		.amdhsa_user_sgpr_count 13
		.amdhsa_user_sgpr_dispatch_ptr 0
		.amdhsa_user_sgpr_queue_ptr 0
		.amdhsa_user_sgpr_kernarg_segment_ptr 1
		.amdhsa_user_sgpr_dispatch_id 0
		.amdhsa_user_sgpr_private_segment_size 0
		.amdhsa_wavefront_size32 1
		.amdhsa_uses_dynamic_stack 0
		.amdhsa_enable_private_segment 0
		.amdhsa_system_sgpr_workgroup_id_x 1
		.amdhsa_system_sgpr_workgroup_id_y 1
		.amdhsa_system_sgpr_workgroup_id_z 1
		.amdhsa_system_sgpr_workgroup_info 0
		.amdhsa_system_vgpr_workitem_id 1
		.amdhsa_next_free_vgpr 42
		.amdhsa_next_free_sgpr 25
		.amdhsa_reserve_vcc 1
		.amdhsa_float_round_mode_32 0
		.amdhsa_float_round_mode_16_64 0
		.amdhsa_float_denorm_mode_32 3
		.amdhsa_float_denorm_mode_16_64 3
		.amdhsa_dx10_clamp 1
		.amdhsa_ieee_mode 1
		.amdhsa_fp16_overflow 0
		.amdhsa_workgroup_processor_mode 1
		.amdhsa_memory_ordered 1
		.amdhsa_forward_progress 0
		.amdhsa_shared_vgpr_count 0
		.amdhsa_exception_fp_ieee_invalid_op 0
		.amdhsa_exception_fp_denorm_src 0
		.amdhsa_exception_fp_ieee_div_zero 0
		.amdhsa_exception_fp_ieee_overflow 0
		.amdhsa_exception_fp_ieee_underflow 0
		.amdhsa_exception_fp_ieee_inexact 0
		.amdhsa_exception_int_div_zero 0
	.end_amdhsa_kernel
	.section	.text._ZL34rocblas_syrkx_herkx_general_kernelIldLi16ELi32ELi8ELb0ELb0ELc84ELc76EKPKdKPdEviT_T0_PT8_S5_lS8_S5_lS6_PT9_S5_li,"axG",@progbits,_ZL34rocblas_syrkx_herkx_general_kernelIldLi16ELi32ELi8ELb0ELb0ELc84ELc76EKPKdKPdEviT_T0_PT8_S5_lS8_S5_lS6_PT9_S5_li,comdat
.Lfunc_end1531:
	.size	_ZL34rocblas_syrkx_herkx_general_kernelIldLi16ELi32ELi8ELb0ELb0ELc84ELc76EKPKdKPdEviT_T0_PT8_S5_lS8_S5_lS6_PT9_S5_li, .Lfunc_end1531-_ZL34rocblas_syrkx_herkx_general_kernelIldLi16ELi32ELi8ELb0ELb0ELc84ELc76EKPKdKPdEviT_T0_PT8_S5_lS8_S5_lS6_PT9_S5_li
                                        ; -- End function
	.section	.AMDGPU.csdata,"",@progbits
; Kernel info:
; codeLenInByte = 1728
; NumSgprs: 27
; NumVgprs: 42
; ScratchSize: 0
; MemoryBound: 0
; FloatMode: 240
; IeeeMode: 1
; LDSByteSize: 4096 bytes/workgroup (compile time only)
; SGPRBlocks: 3
; VGPRBlocks: 5
; NumSGPRsForWavesPerEU: 27
; NumVGPRsForWavesPerEU: 42
; Occupancy: 16
; WaveLimiterHint : 1
; COMPUTE_PGM_RSRC2:SCRATCH_EN: 0
; COMPUTE_PGM_RSRC2:USER_SGPR: 13
; COMPUTE_PGM_RSRC2:TRAP_HANDLER: 0
; COMPUTE_PGM_RSRC2:TGID_X_EN: 1
; COMPUTE_PGM_RSRC2:TGID_Y_EN: 1
; COMPUTE_PGM_RSRC2:TGID_Z_EN: 1
; COMPUTE_PGM_RSRC2:TIDIG_COMP_CNT: 1
	.section	.text._ZL34rocblas_syrkx_herkx_general_kernelIldLi16ELi32ELi8ELb0ELb0ELc67ELc76EKPKdKPdEviT_T0_PT8_S5_lS8_S5_lS6_PT9_S5_li,"axG",@progbits,_ZL34rocblas_syrkx_herkx_general_kernelIldLi16ELi32ELi8ELb0ELb0ELc67ELc76EKPKdKPdEviT_T0_PT8_S5_lS8_S5_lS6_PT9_S5_li,comdat
	.globl	_ZL34rocblas_syrkx_herkx_general_kernelIldLi16ELi32ELi8ELb0ELb0ELc67ELc76EKPKdKPdEviT_T0_PT8_S5_lS8_S5_lS6_PT9_S5_li ; -- Begin function _ZL34rocblas_syrkx_herkx_general_kernelIldLi16ELi32ELi8ELb0ELb0ELc67ELc76EKPKdKPdEviT_T0_PT8_S5_lS8_S5_lS6_PT9_S5_li
	.p2align	8
	.type	_ZL34rocblas_syrkx_herkx_general_kernelIldLi16ELi32ELi8ELb0ELb0ELc67ELc76EKPKdKPdEviT_T0_PT8_S5_lS8_S5_lS6_PT9_S5_li,@function
_ZL34rocblas_syrkx_herkx_general_kernelIldLi16ELi32ELi8ELb0ELb0ELc67ELc76EKPKdKPdEviT_T0_PT8_S5_lS8_S5_lS6_PT9_S5_li: ; @_ZL34rocblas_syrkx_herkx_general_kernelIldLi16ELi32ELi8ELb0ELb0ELc67ELc76EKPKdKPdEviT_T0_PT8_S5_lS8_S5_lS6_PT9_S5_li
; %bb.0:
	s_clause 0x1
	s_load_b128 s[16:19], s[0:1], 0x48
	s_load_b256 s[4:11], s[0:1], 0x8
	s_mov_b32 s2, s15
	s_mov_b32 s3, 0
	s_load_b64 s[20:21], s[0:1], 0x58
	s_lshl_b64 s[22:23], s[2:3], 3
	v_mov_b32_e32 v12, 0
	v_dual_mov_b32 v13, 0 :: v_dual_and_b32 v18, 0x3ff, v0
	v_bfe_u32 v19, v0, 10, 10
	s_delay_alu instid0(VALU_DEP_3) | instskip(NEXT) | instid1(VALU_DEP_3)
	v_mov_b32_e32 v10, v12
	v_dual_mov_b32 v2, v12 :: v_dual_mov_b32 v3, v13
	v_dual_mov_b32 v11, v13 :: v_dual_mov_b32 v0, v12
	v_mov_b32_e32 v1, v13
	s_waitcnt lgkmcnt(0)
	s_add_u32 s2, s18, s22
	s_addc_u32 s3, s19, s23
	s_load_b32 s15, s[0:1], 0x0
	s_load_b64 s[18:19], s[2:3], 0x0
	v_cmp_lt_i64_e64 s2, s[4:5], 1
	s_lshl_b32 s24, s13, 5
	s_lshl_b32 s14, s14, 5
	s_mov_b64 s[12:13], 0
	s_delay_alu instid0(VALU_DEP_1)
	s_and_b32 vcc_lo, exec_lo, s2
	s_cbranch_vccnz .LBB1532_7
; %bb.1:
	s_load_b128 s[0:3], s[0:1], 0x30
	v_lshl_add_u32 v0, v19, 4, v18
	v_and_b32_e32 v20, 7, v18
	v_lshl_add_u32 v25, v19, 6, 0x800
	s_delay_alu instid0(VALU_DEP_3) | instskip(SKIP_3) | instid1(VALU_DEP_4)
	v_and_b32_e32 v1, 31, v0
	v_lshrrev_b32_e32 v4, 3, v0
	v_lshrrev_b32_e32 v21, 5, v0
	v_lshlrev_b32_e32 v6, 3, v20
	v_add_nc_u32_e32 v2, s24, v1
	s_delay_alu instid0(VALU_DEP_4)
	v_add_nc_u32_e32 v5, s14, v4
	v_or_b32_e32 v7, s24, v1
	v_lshlrev_b32_e32 v8, 3, v1
	v_lshl_or_b32 v4, v4, 6, v6
	v_ashrrev_i32_e32 v9, 31, v2
	v_ashrrev_i32_e32 v3, 31, v5
	v_mul_lo_u32 v10, s11, v2
	v_mad_u64_u32 v[0:1], null, s10, v2, 0
	s_waitcnt lgkmcnt(0)
	s_add_u32 s0, s0, s22
	v_mul_lo_u32 v9, s10, v9
	s_addc_u32 s1, s1, s23
	s_add_u32 s8, s8, s22
	v_mul_lo_u32 v11, s2, v3
	v_mul_lo_u32 v12, s3, v5
	s_addc_u32 s9, s9, s23
	v_mad_u64_u32 v[2:3], null, s2, v5, 0
	s_load_b64 s[2:3], s[8:9], 0x0
	s_load_b64 s[10:11], s[0:1], 0x0
	v_add3_u32 v1, v1, v9, v10
	v_add_nc_u32_e32 v23, 0x800, v4
	v_lshlrev_b32_e32 v4, 3, v21
	v_cmp_gt_i32_e64 s1, s15, v5
	v_add3_u32 v3, v3, v11, v12
	v_lshlrev_b64 v[0:1], 3, v[0:1]
	v_cmp_gt_i32_e64 s0, s15, v7
	s_delay_alu instid0(VALU_DEP_3) | instskip(NEXT) | instid1(VALU_DEP_3)
	v_lshlrev_b64 v[2:3], 3, v[2:3]
	v_add_co_u32 v0, vcc_lo, v0, v4
	s_delay_alu instid0(VALU_DEP_4) | instskip(NEXT) | instid1(VALU_DEP_3)
	v_add_co_ci_u32_e32 v1, vcc_lo, 0, v1, vcc_lo
	v_add_co_u32 v2, vcc_lo, v2, v6
	v_mov_b32_e32 v4, 0
	v_mov_b32_e32 v5, 0
	v_add_co_ci_u32_e32 v3, vcc_lo, 0, v3, vcc_lo
	s_waitcnt lgkmcnt(0)
	v_add_co_u32 v6, vcc_lo, s2, v0
	v_add_co_ci_u32_e32 v7, vcc_lo, s3, v1, vcc_lo
	v_dual_mov_b32 v0, v4 :: v_dual_mov_b32 v11, v5
	v_lshl_or_b32 v22, v21, 8, v8
	v_add_co_u32 v8, vcc_lo, s10, v2
	v_dual_mov_b32 v13, v5 :: v_dual_lshlrev_b32 v24, 3, v18
	v_add_co_ci_u32_e32 v9, vcc_lo, s11, v3, vcc_lo
	v_dual_mov_b32 v2, v4 :: v_dual_mov_b32 v1, v5
	v_dual_mov_b32 v3, v5 :: v_dual_mov_b32 v10, v4
	v_mov_b32_e32 v12, v4
	s_branch .LBB1532_3
.LBB1532_2:                             ;   in Loop: Header=BB1532_3 Depth=1
	s_or_b32 exec_lo, exec_lo, s2
	s_waitcnt vmcnt(0)
	ds_store_b64 v23, v[16:17]
	s_waitcnt lgkmcnt(0)
	s_barrier
	buffer_gl0_inv
	ds_load_2addr_b64 v[14:17], v24 offset1:16
	ds_load_b128 v[26:29], v25
	ds_load_b128 v[30:33], v25 offset:1024
	ds_load_b128 v[34:37], v25 offset:16
	;; [unrolled: 1-line block ×3, first 2 shown]
	s_add_u32 s12, s12, 8
	s_addc_u32 s13, s13, 0
	v_add_co_u32 v6, vcc_lo, v6, 64
	v_cmp_ge_i64_e64 s2, s[12:13], s[4:5]
	v_add_co_ci_u32_e32 v7, vcc_lo, 0, v7, vcc_lo
	v_add_co_u32 v8, vcc_lo, v8, 64
	v_add_co_ci_u32_e32 v9, vcc_lo, 0, v9, vcc_lo
	s_delay_alu instid0(VALU_DEP_4)
	s_and_b32 vcc_lo, exec_lo, s2
	s_waitcnt lgkmcnt(3)
	v_fma_f64 v[12:13], v[14:15], v[26:27], v[12:13]
	v_fma_f64 v[10:11], v[16:17], v[26:27], v[10:11]
	s_waitcnt lgkmcnt(2)
	v_fma_f64 v[14:15], v[14:15], v[30:31], v[2:3]
	v_fma_f64 v[16:17], v[16:17], v[30:31], v[0:1]
	ds_load_2addr_b64 v[0:3], v24 offset0:32 offset1:48
	s_waitcnt lgkmcnt(0)
	v_fma_f64 v[12:13], v[0:1], v[28:29], v[12:13]
	v_fma_f64 v[10:11], v[2:3], v[28:29], v[10:11]
	v_fma_f64 v[14:15], v[0:1], v[32:33], v[14:15]
	v_fma_f64 v[16:17], v[2:3], v[32:33], v[16:17]
	ds_load_2addr_b64 v[0:3], v24 offset0:64 offset1:80
	s_waitcnt lgkmcnt(0)
	v_fma_f64 v[12:13], v[0:1], v[34:35], v[12:13]
	v_fma_f64 v[10:11], v[2:3], v[34:35], v[10:11]
	;; [unrolled: 6-line block ×3, first 2 shown]
	v_fma_f64 v[38:39], v[0:1], v[40:41], v[14:15]
	v_fma_f64 v[40:41], v[2:3], v[40:41], v[16:17]
	ds_load_2addr_b64 v[0:3], v24 offset0:128 offset1:144
	ds_load_b128 v[10:13], v25 offset:32
	ds_load_b128 v[14:17], v25 offset:1056
	;; [unrolled: 1-line block ×4, first 2 shown]
	s_waitcnt lgkmcnt(3)
	v_fma_f64 v[34:35], v[0:1], v[10:11], v[34:35]
	v_fma_f64 v[10:11], v[2:3], v[10:11], v[36:37]
	s_waitcnt lgkmcnt(2)
	v_fma_f64 v[36:37], v[0:1], v[14:15], v[38:39]
	v_fma_f64 v[14:15], v[2:3], v[14:15], v[40:41]
	ds_load_2addr_b64 v[0:3], v24 offset0:160 offset1:176
	s_waitcnt lgkmcnt(0)
	v_fma_f64 v[34:35], v[0:1], v[12:13], v[34:35]
	v_fma_f64 v[10:11], v[2:3], v[12:13], v[10:11]
	;; [unrolled: 1-line block ×4, first 2 shown]
	ds_load_2addr_b64 v[0:3], v24 offset0:192 offset1:208
	s_waitcnt lgkmcnt(0)
	v_fma_f64 v[34:35], v[0:1], v[26:27], v[34:35]
	v_fma_f64 v[10:11], v[2:3], v[26:27], v[10:11]
	;; [unrolled: 1-line block ×4, first 2 shown]
	ds_load_2addr_b64 v[14:17], v24 offset0:224 offset1:240
	s_waitcnt lgkmcnt(0)
	s_barrier
	buffer_gl0_inv
	v_fma_f64 v[12:13], v[14:15], v[28:29], v[34:35]
	v_fma_f64 v[10:11], v[16:17], v[28:29], v[10:11]
	v_fma_f64 v[2:3], v[14:15], v[32:33], v[0:1]
	v_fma_f64 v[0:1], v[16:17], v[32:33], v[26:27]
	s_cbranch_vccnz .LBB1532_7
.LBB1532_3:                             ; =>This Inner Loop Header: Depth=1
	v_add_co_u32 v14, s2, v21, s12
	s_delay_alu instid0(VALU_DEP_1) | instskip(NEXT) | instid1(VALU_DEP_1)
	v_add_co_ci_u32_e64 v15, null, 0, s13, s2
	v_cmp_gt_i64_e32 vcc_lo, s[4:5], v[14:15]
	v_dual_mov_b32 v15, v5 :: v_dual_mov_b32 v14, v4
	s_and_b32 s3, s0, vcc_lo
	s_delay_alu instid0(SALU_CYCLE_1)
	s_and_saveexec_b32 s2, s3
	s_cbranch_execz .LBB1532_5
; %bb.4:                                ;   in Loop: Header=BB1532_3 Depth=1
	global_load_b64 v[14:15], v[6:7], off
.LBB1532_5:                             ;   in Loop: Header=BB1532_3 Depth=1
	s_or_b32 exec_lo, exec_lo, s2
	v_add_co_u32 v16, s2, v20, s12
	s_delay_alu instid0(VALU_DEP_1)
	v_add_co_ci_u32_e64 v17, null, 0, s13, s2
	s_waitcnt vmcnt(0)
	ds_store_b64 v22, v[14:15]
	v_cmp_gt_i64_e32 vcc_lo, s[4:5], v[16:17]
	v_dual_mov_b32 v17, v5 :: v_dual_mov_b32 v16, v4
	s_and_b32 s3, vcc_lo, s1
	s_delay_alu instid0(SALU_CYCLE_1)
	s_and_saveexec_b32 s2, s3
	s_cbranch_execz .LBB1532_2
; %bb.6:                                ;   in Loop: Header=BB1532_3 Depth=1
	global_load_b64 v[16:17], v[8:9], off
	s_branch .LBB1532_2
.LBB1532_7:
	v_add_nc_u32_e32 v8, s14, v19
	s_delay_alu instid0(VALU_DEP_1) | instskip(SKIP_2) | instid1(VALU_DEP_3)
	v_ashrrev_i32_e32 v4, 31, v8
	v_mul_lo_u32 v7, v8, s21
	v_mad_u64_u32 v[5:6], null, v8, s20, 0
	v_mul_lo_u32 v4, v4, s20
	s_delay_alu instid0(VALU_DEP_1) | instskip(SKIP_1) | instid1(VALU_DEP_2)
	v_add3_u32 v6, v6, v7, v4
	v_add_nc_u32_e32 v4, s24, v18
	v_lshlrev_b64 v[5:6], 3, v[5:6]
	s_delay_alu instid0(VALU_DEP_2) | instskip(SKIP_2) | instid1(VALU_DEP_3)
	v_cmp_le_i32_e64 s0, v8, v4
	s_waitcnt lgkmcnt(0)
	v_cmp_gt_i32_e32 vcc_lo, s15, v4
	v_add_co_u32 v9, s1, s18, v5
	s_delay_alu instid0(VALU_DEP_1) | instskip(SKIP_1) | instid1(SALU_CYCLE_1)
	v_add_co_ci_u32_e64 v14, s1, s19, v6, s1
	s_and_b32 s0, s0, vcc_lo
	s_and_saveexec_b32 s1, s0
	s_cbranch_execz .LBB1532_9
; %bb.8:
	v_ashrrev_i32_e32 v5, 31, v4
	s_delay_alu instid0(VALU_DEP_1) | instskip(NEXT) | instid1(VALU_DEP_1)
	v_lshlrev_b64 v[5:6], 3, v[4:5]
	v_add_co_u32 v5, s0, v9, v5
	s_delay_alu instid0(VALU_DEP_1) | instskip(SKIP_3) | instid1(VALU_DEP_1)
	v_add_co_ci_u32_e64 v6, s0, v14, v6, s0
	global_load_b64 v[15:16], v[5:6], off
	s_waitcnt vmcnt(0)
	v_mul_f64 v[15:16], v[15:16], s[16:17]
	v_fma_f64 v[12:13], v[12:13], s[6:7], v[15:16]
	global_store_b64 v[5:6], v[12:13], off
.LBB1532_9:
	s_or_b32 exec_lo, exec_lo, s1
	v_add_nc_u32_e32 v6, 16, v4
	s_delay_alu instid0(VALU_DEP_1) | instskip(SKIP_1) | instid1(VALU_DEP_1)
	v_cmp_le_i32_e64 s1, v8, v6
	v_cmp_gt_i32_e64 s0, s15, v6
	s_and_b32 s1, s1, s0
	s_delay_alu instid0(SALU_CYCLE_1)
	s_and_saveexec_b32 s2, s1
	s_cbranch_execz .LBB1532_11
; %bb.10:
	v_ashrrev_i32_e32 v7, 31, v6
	s_delay_alu instid0(VALU_DEP_1) | instskip(NEXT) | instid1(VALU_DEP_1)
	v_lshlrev_b64 v[12:13], 3, v[6:7]
	v_add_co_u32 v12, s1, v9, v12
	s_delay_alu instid0(VALU_DEP_1) | instskip(SKIP_3) | instid1(VALU_DEP_1)
	v_add_co_ci_u32_e64 v13, s1, v14, v13, s1
	global_load_b64 v[14:15], v[12:13], off
	s_waitcnt vmcnt(0)
	v_mul_f64 v[14:15], v[14:15], s[16:17]
	v_fma_f64 v[9:10], v[10:11], s[6:7], v[14:15]
	global_store_b64 v[12:13], v[9:10], off
.LBB1532_11:
	s_or_b32 exec_lo, exec_lo, s2
	v_add_nc_u32_e32 v7, 16, v8
	s_delay_alu instid0(VALU_DEP_1) | instskip(SKIP_3) | instid1(VALU_DEP_4)
	v_ashrrev_i32_e32 v5, 31, v7
	v_mul_lo_u32 v10, v7, s21
	v_mad_u64_u32 v[8:9], null, v7, s20, 0
	v_cmp_le_i32_e64 s1, v7, v4
	v_mul_lo_u32 v5, v5, s20
	s_delay_alu instid0(VALU_DEP_1) | instskip(NEXT) | instid1(VALU_DEP_1)
	v_add3_u32 v9, v9, v10, v5
	v_lshlrev_b64 v[8:9], 3, v[8:9]
	s_delay_alu instid0(VALU_DEP_1) | instskip(NEXT) | instid1(VALU_DEP_1)
	v_add_co_u32 v8, s2, s18, v8
	v_add_co_ci_u32_e64 v9, s2, s19, v9, s2
	s_and_b32 s2, s1, vcc_lo
	s_delay_alu instid0(SALU_CYCLE_1)
	s_and_saveexec_b32 s1, s2
	s_cbranch_execz .LBB1532_13
; %bb.12:
	v_ashrrev_i32_e32 v5, 31, v4
	s_delay_alu instid0(VALU_DEP_1) | instskip(NEXT) | instid1(VALU_DEP_1)
	v_lshlrev_b64 v[4:5], 3, v[4:5]
	v_add_co_u32 v4, vcc_lo, v8, v4
	s_delay_alu instid0(VALU_DEP_2) | instskip(SKIP_3) | instid1(VALU_DEP_1)
	v_add_co_ci_u32_e32 v5, vcc_lo, v9, v5, vcc_lo
	global_load_b64 v[10:11], v[4:5], off
	s_waitcnt vmcnt(0)
	v_mul_f64 v[10:11], v[10:11], s[16:17]
	v_fma_f64 v[2:3], v[2:3], s[6:7], v[10:11]
	global_store_b64 v[4:5], v[2:3], off
.LBB1532_13:
	s_or_b32 exec_lo, exec_lo, s1
	v_cmp_le_i32_e32 vcc_lo, v7, v6
	s_and_b32 s0, vcc_lo, s0
	s_delay_alu instid0(SALU_CYCLE_1)
	s_and_saveexec_b32 s1, s0
	s_cbranch_execz .LBB1532_15
; %bb.14:
	v_ashrrev_i32_e32 v7, 31, v6
	s_delay_alu instid0(VALU_DEP_1) | instskip(NEXT) | instid1(VALU_DEP_1)
	v_lshlrev_b64 v[2:3], 3, v[6:7]
	v_add_co_u32 v2, vcc_lo, v8, v2
	s_delay_alu instid0(VALU_DEP_2) | instskip(SKIP_3) | instid1(VALU_DEP_1)
	v_add_co_ci_u32_e32 v3, vcc_lo, v9, v3, vcc_lo
	global_load_b64 v[4:5], v[2:3], off
	s_waitcnt vmcnt(0)
	v_mul_f64 v[4:5], v[4:5], s[16:17]
	v_fma_f64 v[0:1], v[0:1], s[6:7], v[4:5]
	global_store_b64 v[2:3], v[0:1], off
.LBB1532_15:
	s_nop 0
	s_sendmsg sendmsg(MSG_DEALLOC_VGPRS)
	s_endpgm
	.section	.rodata,"a",@progbits
	.p2align	6, 0x0
	.amdhsa_kernel _ZL34rocblas_syrkx_herkx_general_kernelIldLi16ELi32ELi8ELb0ELb0ELc67ELc76EKPKdKPdEviT_T0_PT8_S5_lS8_S5_lS6_PT9_S5_li
		.amdhsa_group_segment_fixed_size 4096
		.amdhsa_private_segment_fixed_size 0
		.amdhsa_kernarg_size 108
		.amdhsa_user_sgpr_count 13
		.amdhsa_user_sgpr_dispatch_ptr 0
		.amdhsa_user_sgpr_queue_ptr 0
		.amdhsa_user_sgpr_kernarg_segment_ptr 1
		.amdhsa_user_sgpr_dispatch_id 0
		.amdhsa_user_sgpr_private_segment_size 0
		.amdhsa_wavefront_size32 1
		.amdhsa_uses_dynamic_stack 0
		.amdhsa_enable_private_segment 0
		.amdhsa_system_sgpr_workgroup_id_x 1
		.amdhsa_system_sgpr_workgroup_id_y 1
		.amdhsa_system_sgpr_workgroup_id_z 1
		.amdhsa_system_sgpr_workgroup_info 0
		.amdhsa_system_vgpr_workitem_id 1
		.amdhsa_next_free_vgpr 42
		.amdhsa_next_free_sgpr 25
		.amdhsa_reserve_vcc 1
		.amdhsa_float_round_mode_32 0
		.amdhsa_float_round_mode_16_64 0
		.amdhsa_float_denorm_mode_32 3
		.amdhsa_float_denorm_mode_16_64 3
		.amdhsa_dx10_clamp 1
		.amdhsa_ieee_mode 1
		.amdhsa_fp16_overflow 0
		.amdhsa_workgroup_processor_mode 1
		.amdhsa_memory_ordered 1
		.amdhsa_forward_progress 0
		.amdhsa_shared_vgpr_count 0
		.amdhsa_exception_fp_ieee_invalid_op 0
		.amdhsa_exception_fp_denorm_src 0
		.amdhsa_exception_fp_ieee_div_zero 0
		.amdhsa_exception_fp_ieee_overflow 0
		.amdhsa_exception_fp_ieee_underflow 0
		.amdhsa_exception_fp_ieee_inexact 0
		.amdhsa_exception_int_div_zero 0
	.end_amdhsa_kernel
	.section	.text._ZL34rocblas_syrkx_herkx_general_kernelIldLi16ELi32ELi8ELb0ELb0ELc67ELc76EKPKdKPdEviT_T0_PT8_S5_lS8_S5_lS6_PT9_S5_li,"axG",@progbits,_ZL34rocblas_syrkx_herkx_general_kernelIldLi16ELi32ELi8ELb0ELb0ELc67ELc76EKPKdKPdEviT_T0_PT8_S5_lS8_S5_lS6_PT9_S5_li,comdat
.Lfunc_end1532:
	.size	_ZL34rocblas_syrkx_herkx_general_kernelIldLi16ELi32ELi8ELb0ELb0ELc67ELc76EKPKdKPdEviT_T0_PT8_S5_lS8_S5_lS6_PT9_S5_li, .Lfunc_end1532-_ZL34rocblas_syrkx_herkx_general_kernelIldLi16ELi32ELi8ELb0ELb0ELc67ELc76EKPKdKPdEviT_T0_PT8_S5_lS8_S5_lS6_PT9_S5_li
                                        ; -- End function
	.section	.AMDGPU.csdata,"",@progbits
; Kernel info:
; codeLenInByte = 1728
; NumSgprs: 27
; NumVgprs: 42
; ScratchSize: 0
; MemoryBound: 0
; FloatMode: 240
; IeeeMode: 1
; LDSByteSize: 4096 bytes/workgroup (compile time only)
; SGPRBlocks: 3
; VGPRBlocks: 5
; NumSGPRsForWavesPerEU: 27
; NumVGPRsForWavesPerEU: 42
; Occupancy: 16
; WaveLimiterHint : 1
; COMPUTE_PGM_RSRC2:SCRATCH_EN: 0
; COMPUTE_PGM_RSRC2:USER_SGPR: 13
; COMPUTE_PGM_RSRC2:TRAP_HANDLER: 0
; COMPUTE_PGM_RSRC2:TGID_X_EN: 1
; COMPUTE_PGM_RSRC2:TGID_Y_EN: 1
; COMPUTE_PGM_RSRC2:TGID_Z_EN: 1
; COMPUTE_PGM_RSRC2:TIDIG_COMP_CNT: 1
	.section	.text._ZL34rocblas_syrkx_herkx_general_kernelIldLi16ELi32ELi8ELb0ELb0ELc78ELc76EKPKdKPdEviT_T0_PT8_S5_lS8_S5_lS6_PT9_S5_li,"axG",@progbits,_ZL34rocblas_syrkx_herkx_general_kernelIldLi16ELi32ELi8ELb0ELb0ELc78ELc76EKPKdKPdEviT_T0_PT8_S5_lS8_S5_lS6_PT9_S5_li,comdat
	.globl	_ZL34rocblas_syrkx_herkx_general_kernelIldLi16ELi32ELi8ELb0ELb0ELc78ELc76EKPKdKPdEviT_T0_PT8_S5_lS8_S5_lS6_PT9_S5_li ; -- Begin function _ZL34rocblas_syrkx_herkx_general_kernelIldLi16ELi32ELi8ELb0ELb0ELc78ELc76EKPKdKPdEviT_T0_PT8_S5_lS8_S5_lS6_PT9_S5_li
	.p2align	8
	.type	_ZL34rocblas_syrkx_herkx_general_kernelIldLi16ELi32ELi8ELb0ELb0ELc78ELc76EKPKdKPdEviT_T0_PT8_S5_lS8_S5_lS6_PT9_S5_li,@function
_ZL34rocblas_syrkx_herkx_general_kernelIldLi16ELi32ELi8ELb0ELb0ELc78ELc76EKPKdKPdEviT_T0_PT8_S5_lS8_S5_lS6_PT9_S5_li: ; @_ZL34rocblas_syrkx_herkx_general_kernelIldLi16ELi32ELi8ELb0ELb0ELc78ELc76EKPKdKPdEviT_T0_PT8_S5_lS8_S5_lS6_PT9_S5_li
; %bb.0:
	s_clause 0x1
	s_load_b128 s[16:19], s[0:1], 0x48
	s_load_b256 s[4:11], s[0:1], 0x8
	s_mov_b32 s2, s15
	s_mov_b32 s3, 0
	s_load_b64 s[20:21], s[0:1], 0x58
	s_lshl_b64 s[22:23], s[2:3], 3
	v_mov_b32_e32 v12, 0
	v_dual_mov_b32 v13, 0 :: v_dual_and_b32 v18, 0x3ff, v0
	v_bfe_u32 v19, v0, 10, 10
	s_delay_alu instid0(VALU_DEP_3) | instskip(NEXT) | instid1(VALU_DEP_3)
	v_mov_b32_e32 v10, v12
	v_dual_mov_b32 v4, v12 :: v_dual_mov_b32 v5, v13
	v_dual_mov_b32 v11, v13 :: v_dual_mov_b32 v0, v12
	v_mov_b32_e32 v1, v13
	s_waitcnt lgkmcnt(0)
	s_add_u32 s2, s18, s22
	s_addc_u32 s3, s19, s23
	s_load_b32 s24, s[0:1], 0x0
	s_load_b64 s[2:3], s[2:3], 0x0
	v_cmp_lt_i64_e64 s12, s[4:5], 1
	s_lshl_b32 s25, s13, 5
	s_lshl_b32 s26, s14, 5
	s_mov_b64 s[18:19], 0
	s_delay_alu instid0(VALU_DEP_1)
	s_and_b32 vcc_lo, exec_lo, s12
	s_cbranch_vccnz .LBB1533_7
; %bb.1:
	s_load_b128 s[12:15], s[0:1], 0x30
	v_lshl_add_u32 v0, v19, 4, v18
	v_and_b32_e32 v20, 7, v18
	v_dual_mov_b32 v2, 0 :: v_dual_lshlrev_b32 v21, 3, v18
	v_mov_b32_e32 v3, 0
	s_delay_alu instid0(VALU_DEP_4) | instskip(SKIP_3) | instid1(VALU_DEP_4)
	v_lshrrev_b32_e32 v23, 5, v0
	v_lshrrev_b32_e32 v1, 3, v0
	v_and_b32_e32 v9, 31, v0
	v_lshl_add_u32 v22, v19, 6, 0x800
	v_mad_u64_u32 v[4:5], null, s10, v23, 0
	v_lshlrev_b32_e32 v10, 3, v20
	s_delay_alu instid0(VALU_DEP_4) | instskip(SKIP_1) | instid1(VALU_DEP_3)
	v_or_b32_e32 v11, s25, v9
	v_lshlrev_b32_e32 v13, 3, v9
	v_lshl_or_b32 v14, v1, 6, v10
	s_waitcnt lgkmcnt(0)
	s_delay_alu instid0(VALU_DEP_3)
	v_cmp_gt_i32_e64 s0, s24, v11
	v_mad_u64_u32 v[6:7], null, s14, v20, 0
	v_dual_mov_b32 v1, v5 :: v_dual_add_nc_u32 v0, s26, v1
	s_add_u32 s12, s12, s22
	s_addc_u32 s13, s13, s23
	s_add_u32 s8, s8, s22
	s_addc_u32 s9, s9, s23
	s_delay_alu instid0(VALU_DEP_2) | instskip(SKIP_3) | instid1(VALU_DEP_3)
	v_mov_b32_e32 v5, v7
	v_mad_u64_u32 v[10:11], null, s11, v23, v[1:2]
	v_add_nc_u32_e32 v8, s25, v9
	s_load_b64 s[8:9], s[8:9], 0x0
	v_mad_u64_u32 v[11:12], null, s15, v20, v[5:6]
	s_load_b64 s[12:13], s[12:13], 0x0
	v_ashrrev_i32_e32 v1, 31, v0
	s_delay_alu instid0(VALU_DEP_4)
	v_mov_b32_e32 v5, v10
	v_ashrrev_i32_e32 v9, 31, v8
	v_cmp_gt_i32_e64 s1, s24, v0
	v_add_nc_u32_e32 v25, 0x800, v14
	v_mov_b32_e32 v7, v11
	v_lshlrev_b64 v[4:5], 3, v[4:5]
	v_lshlrev_b64 v[8:9], 3, v[8:9]
	v_dual_mov_b32 v11, v3 :: v_dual_mov_b32 v10, v2
	v_lshlrev_b64 v[0:1], 3, v[0:1]
	v_lshlrev_b64 v[6:7], 3, v[6:7]
	s_delay_alu instid0(VALU_DEP_4) | instskip(SKIP_1) | instid1(VALU_DEP_3)
	v_add_co_u32 v4, vcc_lo, v4, v8
	v_add_co_ci_u32_e32 v5, vcc_lo, v5, v9, vcc_lo
	v_add_co_u32 v0, vcc_lo, v6, v0
	s_delay_alu instid0(VALU_DEP_4)
	v_add_co_ci_u32_e32 v1, vcc_lo, v7, v1, vcc_lo
	s_waitcnt lgkmcnt(0)
	v_add_co_u32 v6, vcc_lo, s8, v4
	v_add_co_ci_u32_e32 v7, vcc_lo, s9, v5, vcc_lo
	v_add_co_u32 v8, vcc_lo, s12, v0
	v_mov_b32_e32 v5, v3
	v_add_co_ci_u32_e32 v9, vcc_lo, s13, v1, vcc_lo
	v_mov_b32_e32 v0, v2
	v_mov_b32_e32 v4, v2
	v_lshl_or_b32 v24, v23, 8, v13
	v_mov_b32_e32 v13, v3
	v_dual_mov_b32 v1, v3 :: v_dual_mov_b32 v12, v2
	s_lshl_b64 s[8:9], s[10:11], 6
	s_lshl_b64 s[10:11], s[14:15], 6
	s_branch .LBB1533_3
.LBB1533_2:                             ;   in Loop: Header=BB1533_3 Depth=1
	s_or_b32 exec_lo, exec_lo, s12
	s_waitcnt vmcnt(0)
	ds_store_b64 v25, v[16:17]
	s_waitcnt lgkmcnt(0)
	s_barrier
	buffer_gl0_inv
	ds_load_2addr_b64 v[14:17], v21 offset1:16
	ds_load_b128 v[26:29], v22
	ds_load_b128 v[30:33], v22 offset:1024
	ds_load_b128 v[34:37], v22 offset:16
	;; [unrolled: 1-line block ×3, first 2 shown]
	s_add_u32 s18, s18, 8
	s_addc_u32 s19, s19, 0
	v_add_co_u32 v6, vcc_lo, v6, s8
	v_cmp_ge_i64_e64 s12, s[18:19], s[4:5]
	v_add_co_ci_u32_e32 v7, vcc_lo, s9, v7, vcc_lo
	v_add_co_u32 v8, vcc_lo, v8, s10
	v_add_co_ci_u32_e32 v9, vcc_lo, s11, v9, vcc_lo
	s_delay_alu instid0(VALU_DEP_4)
	s_and_b32 vcc_lo, exec_lo, s12
	s_waitcnt lgkmcnt(3)
	v_fma_f64 v[42:43], v[14:15], v[26:27], v[12:13]
	v_fma_f64 v[26:27], v[16:17], v[26:27], v[10:11]
	s_waitcnt lgkmcnt(2)
	v_fma_f64 v[4:5], v[14:15], v[30:31], v[4:5]
	v_fma_f64 v[0:1], v[16:17], v[30:31], v[0:1]
	ds_load_2addr_b64 v[10:13], v21 offset0:32 offset1:48
	s_waitcnt lgkmcnt(0)
	v_fma_f64 v[14:15], v[10:11], v[28:29], v[42:43]
	v_fma_f64 v[16:17], v[12:13], v[28:29], v[26:27]
	v_fma_f64 v[4:5], v[10:11], v[32:33], v[4:5]
	v_fma_f64 v[0:1], v[12:13], v[32:33], v[0:1]
	ds_load_2addr_b64 v[10:13], v21 offset0:64 offset1:80
	s_waitcnt lgkmcnt(0)
	v_fma_f64 v[14:15], v[10:11], v[34:35], v[14:15]
	v_fma_f64 v[16:17], v[12:13], v[34:35], v[16:17]
	;; [unrolled: 6-line block ×3, first 2 shown]
	v_fma_f64 v[4:5], v[10:11], v[40:41], v[4:5]
	v_fma_f64 v[0:1], v[12:13], v[40:41], v[0:1]
	ds_load_2addr_b64 v[10:13], v21 offset0:128 offset1:144
	ds_load_b128 v[14:17], v22 offset:32
	ds_load_b128 v[26:29], v22 offset:1056
	;; [unrolled: 1-line block ×4, first 2 shown]
	s_waitcnt lgkmcnt(3)
	v_fma_f64 v[38:39], v[10:11], v[14:15], v[38:39]
	v_fma_f64 v[14:15], v[12:13], v[14:15], v[42:43]
	s_waitcnt lgkmcnt(2)
	v_fma_f64 v[4:5], v[10:11], v[26:27], v[4:5]
	v_fma_f64 v[0:1], v[12:13], v[26:27], v[0:1]
	ds_load_2addr_b64 v[10:13], v21 offset0:160 offset1:176
	s_waitcnt lgkmcnt(0)
	v_fma_f64 v[26:27], v[10:11], v[16:17], v[38:39]
	v_fma_f64 v[14:15], v[12:13], v[16:17], v[14:15]
	;; [unrolled: 1-line block ×4, first 2 shown]
	ds_load_2addr_b64 v[10:13], v21 offset0:192 offset1:208
	s_waitcnt lgkmcnt(0)
	v_fma_f64 v[26:27], v[10:11], v[30:31], v[26:27]
	v_fma_f64 v[28:29], v[12:13], v[30:31], v[14:15]
	;; [unrolled: 1-line block ×4, first 2 shown]
	ds_load_2addr_b64 v[14:17], v21 offset0:224 offset1:240
	s_waitcnt lgkmcnt(0)
	s_barrier
	buffer_gl0_inv
	v_fma_f64 v[12:13], v[14:15], v[32:33], v[26:27]
	v_fma_f64 v[10:11], v[16:17], v[32:33], v[28:29]
	;; [unrolled: 1-line block ×4, first 2 shown]
	s_cbranch_vccnz .LBB1533_7
.LBB1533_3:                             ; =>This Inner Loop Header: Depth=1
	v_add_co_u32 v14, s12, v23, s18
	s_delay_alu instid0(VALU_DEP_1) | instskip(NEXT) | instid1(VALU_DEP_1)
	v_add_co_ci_u32_e64 v15, null, 0, s19, s12
	v_cmp_gt_i64_e32 vcc_lo, s[4:5], v[14:15]
	v_dual_mov_b32 v15, v3 :: v_dual_mov_b32 v14, v2
	s_and_b32 s13, s0, vcc_lo
	s_delay_alu instid0(SALU_CYCLE_1)
	s_and_saveexec_b32 s12, s13
	s_cbranch_execz .LBB1533_5
; %bb.4:                                ;   in Loop: Header=BB1533_3 Depth=1
	global_load_b64 v[14:15], v[6:7], off
.LBB1533_5:                             ;   in Loop: Header=BB1533_3 Depth=1
	s_or_b32 exec_lo, exec_lo, s12
	v_add_co_u32 v16, s12, v20, s18
	s_delay_alu instid0(VALU_DEP_1)
	v_add_co_ci_u32_e64 v17, null, 0, s19, s12
	s_waitcnt vmcnt(0)
	ds_store_b64 v24, v[14:15]
	v_cmp_gt_i64_e32 vcc_lo, s[4:5], v[16:17]
	v_dual_mov_b32 v17, v3 :: v_dual_mov_b32 v16, v2
	s_and_b32 s13, vcc_lo, s1
	s_delay_alu instid0(SALU_CYCLE_1)
	s_and_saveexec_b32 s12, s13
	s_cbranch_execz .LBB1533_2
; %bb.6:                                ;   in Loop: Header=BB1533_3 Depth=1
	global_load_b64 v[16:17], v[8:9], off
	s_branch .LBB1533_2
.LBB1533_7:
	v_add_nc_u32_e32 v8, s26, v19
	s_delay_alu instid0(VALU_DEP_1) | instskip(SKIP_2) | instid1(VALU_DEP_3)
	v_ashrrev_i32_e32 v2, 31, v8
	v_mul_lo_u32 v3, v8, s21
	v_mad_u64_u32 v[6:7], null, v8, s20, 0
	v_mul_lo_u32 v2, v2, s20
	s_delay_alu instid0(VALU_DEP_1) | instskip(SKIP_1) | instid1(VALU_DEP_2)
	v_add3_u32 v7, v7, v3, v2
	v_add_nc_u32_e32 v2, s25, v18
	v_lshlrev_b64 v[6:7], 3, v[6:7]
	s_delay_alu instid0(VALU_DEP_2) | instskip(SKIP_2) | instid1(VALU_DEP_3)
	v_cmp_le_i32_e64 s0, v8, v2
	s_waitcnt lgkmcnt(0)
	v_cmp_gt_i32_e32 vcc_lo, s24, v2
	v_add_co_u32 v9, s1, s2, v6
	s_delay_alu instid0(VALU_DEP_1) | instskip(SKIP_1) | instid1(SALU_CYCLE_1)
	v_add_co_ci_u32_e64 v14, s1, s3, v7, s1
	s_and_b32 s0, s0, vcc_lo
	s_and_saveexec_b32 s1, s0
	s_cbranch_execz .LBB1533_9
; %bb.8:
	v_ashrrev_i32_e32 v3, 31, v2
	s_delay_alu instid0(VALU_DEP_1) | instskip(NEXT) | instid1(VALU_DEP_1)
	v_lshlrev_b64 v[6:7], 3, v[2:3]
	v_add_co_u32 v6, s0, v9, v6
	s_delay_alu instid0(VALU_DEP_1) | instskip(SKIP_3) | instid1(VALU_DEP_1)
	v_add_co_ci_u32_e64 v7, s0, v14, v7, s0
	global_load_b64 v[15:16], v[6:7], off
	s_waitcnt vmcnt(0)
	v_mul_f64 v[15:16], v[15:16], s[16:17]
	v_fma_f64 v[12:13], v[12:13], s[6:7], v[15:16]
	global_store_b64 v[6:7], v[12:13], off
.LBB1533_9:
	s_or_b32 exec_lo, exec_lo, s1
	v_add_nc_u32_e32 v6, 16, v2
	s_delay_alu instid0(VALU_DEP_1) | instskip(SKIP_1) | instid1(VALU_DEP_1)
	v_cmp_le_i32_e64 s1, v8, v6
	v_cmp_gt_i32_e64 s0, s24, v6
	s_and_b32 s1, s1, s0
	s_delay_alu instid0(SALU_CYCLE_1)
	s_and_saveexec_b32 s4, s1
	s_cbranch_execz .LBB1533_11
; %bb.10:
	v_ashrrev_i32_e32 v7, 31, v6
	s_delay_alu instid0(VALU_DEP_1) | instskip(NEXT) | instid1(VALU_DEP_1)
	v_lshlrev_b64 v[12:13], 3, v[6:7]
	v_add_co_u32 v12, s1, v9, v12
	s_delay_alu instid0(VALU_DEP_1) | instskip(SKIP_3) | instid1(VALU_DEP_1)
	v_add_co_ci_u32_e64 v13, s1, v14, v13, s1
	global_load_b64 v[14:15], v[12:13], off
	s_waitcnt vmcnt(0)
	v_mul_f64 v[14:15], v[14:15], s[16:17]
	v_fma_f64 v[9:10], v[10:11], s[6:7], v[14:15]
	global_store_b64 v[12:13], v[9:10], off
.LBB1533_11:
	s_or_b32 exec_lo, exec_lo, s4
	v_add_nc_u32_e32 v7, 16, v8
	s_delay_alu instid0(VALU_DEP_1) | instskip(SKIP_3) | instid1(VALU_DEP_4)
	v_ashrrev_i32_e32 v3, 31, v7
	v_mul_lo_u32 v10, v7, s21
	v_mad_u64_u32 v[8:9], null, v7, s20, 0
	v_cmp_le_i32_e64 s1, v7, v2
	v_mul_lo_u32 v3, v3, s20
	s_delay_alu instid0(VALU_DEP_1) | instskip(NEXT) | instid1(VALU_DEP_1)
	v_add3_u32 v9, v9, v10, v3
	v_lshlrev_b64 v[8:9], 3, v[8:9]
	s_delay_alu instid0(VALU_DEP_1) | instskip(NEXT) | instid1(VALU_DEP_1)
	v_add_co_u32 v8, s2, s2, v8
	v_add_co_ci_u32_e64 v9, s2, s3, v9, s2
	s_and_b32 s2, s1, vcc_lo
	s_delay_alu instid0(SALU_CYCLE_1)
	s_and_saveexec_b32 s1, s2
	s_cbranch_execz .LBB1533_13
; %bb.12:
	v_ashrrev_i32_e32 v3, 31, v2
	s_delay_alu instid0(VALU_DEP_1) | instskip(NEXT) | instid1(VALU_DEP_1)
	v_lshlrev_b64 v[2:3], 3, v[2:3]
	v_add_co_u32 v2, vcc_lo, v8, v2
	s_delay_alu instid0(VALU_DEP_2) | instskip(SKIP_3) | instid1(VALU_DEP_1)
	v_add_co_ci_u32_e32 v3, vcc_lo, v9, v3, vcc_lo
	global_load_b64 v[10:11], v[2:3], off
	s_waitcnt vmcnt(0)
	v_mul_f64 v[10:11], v[10:11], s[16:17]
	v_fma_f64 v[4:5], v[4:5], s[6:7], v[10:11]
	global_store_b64 v[2:3], v[4:5], off
.LBB1533_13:
	s_or_b32 exec_lo, exec_lo, s1
	v_cmp_le_i32_e32 vcc_lo, v7, v6
	s_and_b32 s0, vcc_lo, s0
	s_delay_alu instid0(SALU_CYCLE_1)
	s_and_saveexec_b32 s1, s0
	s_cbranch_execz .LBB1533_15
; %bb.14:
	v_ashrrev_i32_e32 v7, 31, v6
	s_delay_alu instid0(VALU_DEP_1) | instskip(NEXT) | instid1(VALU_DEP_1)
	v_lshlrev_b64 v[2:3], 3, v[6:7]
	v_add_co_u32 v2, vcc_lo, v8, v2
	s_delay_alu instid0(VALU_DEP_2) | instskip(SKIP_3) | instid1(VALU_DEP_1)
	v_add_co_ci_u32_e32 v3, vcc_lo, v9, v3, vcc_lo
	global_load_b64 v[4:5], v[2:3], off
	s_waitcnt vmcnt(0)
	v_mul_f64 v[4:5], v[4:5], s[16:17]
	v_fma_f64 v[0:1], v[0:1], s[6:7], v[4:5]
	global_store_b64 v[2:3], v[0:1], off
.LBB1533_15:
	s_nop 0
	s_sendmsg sendmsg(MSG_DEALLOC_VGPRS)
	s_endpgm
	.section	.rodata,"a",@progbits
	.p2align	6, 0x0
	.amdhsa_kernel _ZL34rocblas_syrkx_herkx_general_kernelIldLi16ELi32ELi8ELb0ELb0ELc78ELc76EKPKdKPdEviT_T0_PT8_S5_lS8_S5_lS6_PT9_S5_li
		.amdhsa_group_segment_fixed_size 4096
		.amdhsa_private_segment_fixed_size 0
		.amdhsa_kernarg_size 108
		.amdhsa_user_sgpr_count 13
		.amdhsa_user_sgpr_dispatch_ptr 0
		.amdhsa_user_sgpr_queue_ptr 0
		.amdhsa_user_sgpr_kernarg_segment_ptr 1
		.amdhsa_user_sgpr_dispatch_id 0
		.amdhsa_user_sgpr_private_segment_size 0
		.amdhsa_wavefront_size32 1
		.amdhsa_uses_dynamic_stack 0
		.amdhsa_enable_private_segment 0
		.amdhsa_system_sgpr_workgroup_id_x 1
		.amdhsa_system_sgpr_workgroup_id_y 1
		.amdhsa_system_sgpr_workgroup_id_z 1
		.amdhsa_system_sgpr_workgroup_info 0
		.amdhsa_system_vgpr_workitem_id 1
		.amdhsa_next_free_vgpr 44
		.amdhsa_next_free_sgpr 27
		.amdhsa_reserve_vcc 1
		.amdhsa_float_round_mode_32 0
		.amdhsa_float_round_mode_16_64 0
		.amdhsa_float_denorm_mode_32 3
		.amdhsa_float_denorm_mode_16_64 3
		.amdhsa_dx10_clamp 1
		.amdhsa_ieee_mode 1
		.amdhsa_fp16_overflow 0
		.amdhsa_workgroup_processor_mode 1
		.amdhsa_memory_ordered 1
		.amdhsa_forward_progress 0
		.amdhsa_shared_vgpr_count 0
		.amdhsa_exception_fp_ieee_invalid_op 0
		.amdhsa_exception_fp_denorm_src 0
		.amdhsa_exception_fp_ieee_div_zero 0
		.amdhsa_exception_fp_ieee_overflow 0
		.amdhsa_exception_fp_ieee_underflow 0
		.amdhsa_exception_fp_ieee_inexact 0
		.amdhsa_exception_int_div_zero 0
	.end_amdhsa_kernel
	.section	.text._ZL34rocblas_syrkx_herkx_general_kernelIldLi16ELi32ELi8ELb0ELb0ELc78ELc76EKPKdKPdEviT_T0_PT8_S5_lS8_S5_lS6_PT9_S5_li,"axG",@progbits,_ZL34rocblas_syrkx_herkx_general_kernelIldLi16ELi32ELi8ELb0ELb0ELc78ELc76EKPKdKPdEviT_T0_PT8_S5_lS8_S5_lS6_PT9_S5_li,comdat
.Lfunc_end1533:
	.size	_ZL34rocblas_syrkx_herkx_general_kernelIldLi16ELi32ELi8ELb0ELb0ELc78ELc76EKPKdKPdEviT_T0_PT8_S5_lS8_S5_lS6_PT9_S5_li, .Lfunc_end1533-_ZL34rocblas_syrkx_herkx_general_kernelIldLi16ELi32ELi8ELb0ELb0ELc78ELc76EKPKdKPdEviT_T0_PT8_S5_lS8_S5_lS6_PT9_S5_li
                                        ; -- End function
	.section	.AMDGPU.csdata,"",@progbits
; Kernel info:
; codeLenInByte = 1744
; NumSgprs: 29
; NumVgprs: 44
; ScratchSize: 0
; MemoryBound: 0
; FloatMode: 240
; IeeeMode: 1
; LDSByteSize: 4096 bytes/workgroup (compile time only)
; SGPRBlocks: 3
; VGPRBlocks: 5
; NumSGPRsForWavesPerEU: 29
; NumVGPRsForWavesPerEU: 44
; Occupancy: 16
; WaveLimiterHint : 1
; COMPUTE_PGM_RSRC2:SCRATCH_EN: 0
; COMPUTE_PGM_RSRC2:USER_SGPR: 13
; COMPUTE_PGM_RSRC2:TRAP_HANDLER: 0
; COMPUTE_PGM_RSRC2:TGID_X_EN: 1
; COMPUTE_PGM_RSRC2:TGID_Y_EN: 1
; COMPUTE_PGM_RSRC2:TGID_Z_EN: 1
; COMPUTE_PGM_RSRC2:TIDIG_COMP_CNT: 1
	.section	.text._ZL34rocblas_syrkx_herkx_general_kernelIldLi16ELi32ELi8ELb0ELb0ELc84ELc85EKPKdKPdEviT_T0_PT8_S5_lS8_S5_lS6_PT9_S5_li,"axG",@progbits,_ZL34rocblas_syrkx_herkx_general_kernelIldLi16ELi32ELi8ELb0ELb0ELc84ELc85EKPKdKPdEviT_T0_PT8_S5_lS8_S5_lS6_PT9_S5_li,comdat
	.globl	_ZL34rocblas_syrkx_herkx_general_kernelIldLi16ELi32ELi8ELb0ELb0ELc84ELc85EKPKdKPdEviT_T0_PT8_S5_lS8_S5_lS6_PT9_S5_li ; -- Begin function _ZL34rocblas_syrkx_herkx_general_kernelIldLi16ELi32ELi8ELb0ELb0ELc84ELc85EKPKdKPdEviT_T0_PT8_S5_lS8_S5_lS6_PT9_S5_li
	.p2align	8
	.type	_ZL34rocblas_syrkx_herkx_general_kernelIldLi16ELi32ELi8ELb0ELb0ELc84ELc85EKPKdKPdEviT_T0_PT8_S5_lS8_S5_lS6_PT9_S5_li,@function
_ZL34rocblas_syrkx_herkx_general_kernelIldLi16ELi32ELi8ELb0ELb0ELc84ELc85EKPKdKPdEviT_T0_PT8_S5_lS8_S5_lS6_PT9_S5_li: ; @_ZL34rocblas_syrkx_herkx_general_kernelIldLi16ELi32ELi8ELb0ELb0ELc84ELc85EKPKdKPdEviT_T0_PT8_S5_lS8_S5_lS6_PT9_S5_li
; %bb.0:
	s_clause 0x1
	s_load_b128 s[16:19], s[0:1], 0x48
	s_load_b256 s[4:11], s[0:1], 0x8
	s_mov_b32 s2, s15
	s_mov_b32 s3, 0
	s_load_b64 s[20:21], s[0:1], 0x58
	s_lshl_b64 s[22:23], s[2:3], 3
	v_mov_b32_e32 v12, 0
	v_dual_mov_b32 v13, 0 :: v_dual_and_b32 v18, 0x3ff, v0
	v_bfe_u32 v19, v0, 10, 10
	s_delay_alu instid0(VALU_DEP_3) | instskip(NEXT) | instid1(VALU_DEP_3)
	v_mov_b32_e32 v10, v12
	v_dual_mov_b32 v2, v12 :: v_dual_mov_b32 v3, v13
	v_dual_mov_b32 v11, v13 :: v_dual_mov_b32 v0, v12
	v_mov_b32_e32 v1, v13
	s_waitcnt lgkmcnt(0)
	s_add_u32 s2, s18, s22
	s_addc_u32 s3, s19, s23
	s_load_b32 s15, s[0:1], 0x0
	s_load_b64 s[18:19], s[2:3], 0x0
	v_cmp_lt_i64_e64 s2, s[4:5], 1
	s_lshl_b32 s24, s13, 5
	s_lshl_b32 s14, s14, 5
	s_mov_b64 s[12:13], 0
	s_delay_alu instid0(VALU_DEP_1)
	s_and_b32 vcc_lo, exec_lo, s2
	s_cbranch_vccnz .LBB1534_7
; %bb.1:
	s_load_b128 s[0:3], s[0:1], 0x30
	v_lshl_add_u32 v0, v19, 4, v18
	v_and_b32_e32 v20, 7, v18
	v_lshl_add_u32 v25, v19, 6, 0x800
	s_delay_alu instid0(VALU_DEP_3) | instskip(SKIP_3) | instid1(VALU_DEP_4)
	v_and_b32_e32 v1, 31, v0
	v_lshrrev_b32_e32 v4, 3, v0
	v_lshrrev_b32_e32 v21, 5, v0
	v_lshlrev_b32_e32 v6, 3, v20
	v_add_nc_u32_e32 v2, s24, v1
	s_delay_alu instid0(VALU_DEP_4)
	v_add_nc_u32_e32 v5, s14, v4
	v_or_b32_e32 v7, s24, v1
	v_lshlrev_b32_e32 v8, 3, v1
	v_lshl_or_b32 v4, v4, 6, v6
	v_ashrrev_i32_e32 v9, 31, v2
	v_ashrrev_i32_e32 v3, 31, v5
	v_mul_lo_u32 v10, s11, v2
	v_mad_u64_u32 v[0:1], null, s10, v2, 0
	s_waitcnt lgkmcnt(0)
	s_add_u32 s0, s0, s22
	v_mul_lo_u32 v9, s10, v9
	s_addc_u32 s1, s1, s23
	s_add_u32 s8, s8, s22
	v_mul_lo_u32 v11, s2, v3
	v_mul_lo_u32 v12, s3, v5
	s_addc_u32 s9, s9, s23
	v_mad_u64_u32 v[2:3], null, s2, v5, 0
	s_load_b64 s[2:3], s[8:9], 0x0
	s_load_b64 s[10:11], s[0:1], 0x0
	v_add3_u32 v1, v1, v9, v10
	v_add_nc_u32_e32 v23, 0x800, v4
	v_lshlrev_b32_e32 v4, 3, v21
	v_cmp_gt_i32_e64 s1, s15, v5
	v_add3_u32 v3, v3, v11, v12
	v_lshlrev_b64 v[0:1], 3, v[0:1]
	v_cmp_gt_i32_e64 s0, s15, v7
	s_delay_alu instid0(VALU_DEP_3) | instskip(NEXT) | instid1(VALU_DEP_3)
	v_lshlrev_b64 v[2:3], 3, v[2:3]
	v_add_co_u32 v0, vcc_lo, v0, v4
	s_delay_alu instid0(VALU_DEP_4) | instskip(NEXT) | instid1(VALU_DEP_3)
	v_add_co_ci_u32_e32 v1, vcc_lo, 0, v1, vcc_lo
	v_add_co_u32 v2, vcc_lo, v2, v6
	v_mov_b32_e32 v4, 0
	v_mov_b32_e32 v5, 0
	v_add_co_ci_u32_e32 v3, vcc_lo, 0, v3, vcc_lo
	s_waitcnt lgkmcnt(0)
	v_add_co_u32 v6, vcc_lo, s2, v0
	v_add_co_ci_u32_e32 v7, vcc_lo, s3, v1, vcc_lo
	v_dual_mov_b32 v0, v4 :: v_dual_mov_b32 v11, v5
	v_lshl_or_b32 v22, v21, 8, v8
	v_add_co_u32 v8, vcc_lo, s10, v2
	v_dual_mov_b32 v13, v5 :: v_dual_lshlrev_b32 v24, 3, v18
	v_add_co_ci_u32_e32 v9, vcc_lo, s11, v3, vcc_lo
	v_dual_mov_b32 v2, v4 :: v_dual_mov_b32 v1, v5
	v_dual_mov_b32 v3, v5 :: v_dual_mov_b32 v10, v4
	v_mov_b32_e32 v12, v4
	s_branch .LBB1534_3
.LBB1534_2:                             ;   in Loop: Header=BB1534_3 Depth=1
	s_or_b32 exec_lo, exec_lo, s2
	s_waitcnt vmcnt(0)
	ds_store_b64 v23, v[16:17]
	s_waitcnt lgkmcnt(0)
	s_barrier
	buffer_gl0_inv
	ds_load_2addr_b64 v[14:17], v24 offset1:16
	ds_load_b128 v[26:29], v25
	ds_load_b128 v[30:33], v25 offset:1024
	ds_load_b128 v[34:37], v25 offset:16
	;; [unrolled: 1-line block ×3, first 2 shown]
	s_add_u32 s12, s12, 8
	s_addc_u32 s13, s13, 0
	v_add_co_u32 v6, vcc_lo, v6, 64
	v_cmp_ge_i64_e64 s2, s[12:13], s[4:5]
	v_add_co_ci_u32_e32 v7, vcc_lo, 0, v7, vcc_lo
	v_add_co_u32 v8, vcc_lo, v8, 64
	v_add_co_ci_u32_e32 v9, vcc_lo, 0, v9, vcc_lo
	s_delay_alu instid0(VALU_DEP_4)
	s_and_b32 vcc_lo, exec_lo, s2
	s_waitcnt lgkmcnt(3)
	v_fma_f64 v[12:13], v[14:15], v[26:27], v[12:13]
	v_fma_f64 v[10:11], v[16:17], v[26:27], v[10:11]
	s_waitcnt lgkmcnt(2)
	v_fma_f64 v[14:15], v[14:15], v[30:31], v[2:3]
	v_fma_f64 v[16:17], v[16:17], v[30:31], v[0:1]
	ds_load_2addr_b64 v[0:3], v24 offset0:32 offset1:48
	s_waitcnt lgkmcnt(0)
	v_fma_f64 v[12:13], v[0:1], v[28:29], v[12:13]
	v_fma_f64 v[10:11], v[2:3], v[28:29], v[10:11]
	v_fma_f64 v[14:15], v[0:1], v[32:33], v[14:15]
	v_fma_f64 v[16:17], v[2:3], v[32:33], v[16:17]
	ds_load_2addr_b64 v[0:3], v24 offset0:64 offset1:80
	s_waitcnt lgkmcnt(0)
	v_fma_f64 v[12:13], v[0:1], v[34:35], v[12:13]
	v_fma_f64 v[10:11], v[2:3], v[34:35], v[10:11]
	v_fma_f64 v[14:15], v[0:1], v[38:39], v[14:15]
	v_fma_f64 v[16:17], v[2:3], v[38:39], v[16:17]
	ds_load_2addr_b64 v[0:3], v24 offset0:96 offset1:112
	s_waitcnt lgkmcnt(0)
	v_fma_f64 v[34:35], v[0:1], v[36:37], v[12:13]
	v_fma_f64 v[36:37], v[2:3], v[36:37], v[10:11]
	v_fma_f64 v[38:39], v[0:1], v[40:41], v[14:15]
	v_fma_f64 v[40:41], v[2:3], v[40:41], v[16:17]
	ds_load_2addr_b64 v[0:3], v24 offset0:128 offset1:144
	ds_load_b128 v[10:13], v25 offset:32
	ds_load_b128 v[14:17], v25 offset:1056
	;; [unrolled: 1-line block ×4, first 2 shown]
	s_waitcnt lgkmcnt(3)
	v_fma_f64 v[34:35], v[0:1], v[10:11], v[34:35]
	v_fma_f64 v[10:11], v[2:3], v[10:11], v[36:37]
	s_waitcnt lgkmcnt(2)
	v_fma_f64 v[36:37], v[0:1], v[14:15], v[38:39]
	v_fma_f64 v[14:15], v[2:3], v[14:15], v[40:41]
	ds_load_2addr_b64 v[0:3], v24 offset0:160 offset1:176
	s_waitcnt lgkmcnt(0)
	v_fma_f64 v[34:35], v[0:1], v[12:13], v[34:35]
	v_fma_f64 v[10:11], v[2:3], v[12:13], v[10:11]
	;; [unrolled: 1-line block ×4, first 2 shown]
	ds_load_2addr_b64 v[0:3], v24 offset0:192 offset1:208
	s_waitcnt lgkmcnt(0)
	v_fma_f64 v[34:35], v[0:1], v[26:27], v[34:35]
	v_fma_f64 v[10:11], v[2:3], v[26:27], v[10:11]
	;; [unrolled: 1-line block ×4, first 2 shown]
	ds_load_2addr_b64 v[14:17], v24 offset0:224 offset1:240
	s_waitcnt lgkmcnt(0)
	s_barrier
	buffer_gl0_inv
	v_fma_f64 v[12:13], v[14:15], v[28:29], v[34:35]
	v_fma_f64 v[10:11], v[16:17], v[28:29], v[10:11]
	;; [unrolled: 1-line block ×4, first 2 shown]
	s_cbranch_vccnz .LBB1534_7
.LBB1534_3:                             ; =>This Inner Loop Header: Depth=1
	v_add_co_u32 v14, s2, v21, s12
	s_delay_alu instid0(VALU_DEP_1) | instskip(NEXT) | instid1(VALU_DEP_1)
	v_add_co_ci_u32_e64 v15, null, 0, s13, s2
	v_cmp_gt_i64_e32 vcc_lo, s[4:5], v[14:15]
	v_dual_mov_b32 v15, v5 :: v_dual_mov_b32 v14, v4
	s_and_b32 s3, s0, vcc_lo
	s_delay_alu instid0(SALU_CYCLE_1)
	s_and_saveexec_b32 s2, s3
	s_cbranch_execz .LBB1534_5
; %bb.4:                                ;   in Loop: Header=BB1534_3 Depth=1
	global_load_b64 v[14:15], v[6:7], off
.LBB1534_5:                             ;   in Loop: Header=BB1534_3 Depth=1
	s_or_b32 exec_lo, exec_lo, s2
	v_add_co_u32 v16, s2, v20, s12
	s_delay_alu instid0(VALU_DEP_1)
	v_add_co_ci_u32_e64 v17, null, 0, s13, s2
	s_waitcnt vmcnt(0)
	ds_store_b64 v22, v[14:15]
	v_cmp_gt_i64_e32 vcc_lo, s[4:5], v[16:17]
	v_dual_mov_b32 v17, v5 :: v_dual_mov_b32 v16, v4
	s_and_b32 s3, vcc_lo, s1
	s_delay_alu instid0(SALU_CYCLE_1)
	s_and_saveexec_b32 s2, s3
	s_cbranch_execz .LBB1534_2
; %bb.6:                                ;   in Loop: Header=BB1534_3 Depth=1
	global_load_b64 v[16:17], v[8:9], off
	s_branch .LBB1534_2
.LBB1534_7:
	v_add_nc_u32_e32 v8, s14, v19
	s_delay_alu instid0(VALU_DEP_1)
	v_ashrrev_i32_e32 v4, 31, v8
	v_mul_lo_u32 v7, v8, s21
	v_mad_u64_u32 v[5:6], null, v8, s20, 0
	s_waitcnt lgkmcnt(0)
	v_cmp_gt_i32_e32 vcc_lo, s15, v8
	v_mul_lo_u32 v4, v4, s20
	s_delay_alu instid0(VALU_DEP_1) | instskip(SKIP_1) | instid1(VALU_DEP_2)
	v_add3_u32 v6, v6, v7, v4
	v_add_nc_u32_e32 v4, s24, v18
	v_lshlrev_b64 v[5:6], 3, v[5:6]
	s_delay_alu instid0(VALU_DEP_2) | instskip(NEXT) | instid1(VALU_DEP_1)
	v_cmp_le_i32_e64 s0, v4, v8
	s_and_b32 s0, vcc_lo, s0
	s_delay_alu instid0(VALU_DEP_2) | instskip(NEXT) | instid1(VALU_DEP_1)
	v_add_co_u32 v9, s1, s18, v5
	v_add_co_ci_u32_e64 v14, s1, s19, v6, s1
	s_and_saveexec_b32 s1, s0
	s_cbranch_execz .LBB1534_9
; %bb.8:
	v_ashrrev_i32_e32 v5, 31, v4
	s_delay_alu instid0(VALU_DEP_1) | instskip(NEXT) | instid1(VALU_DEP_1)
	v_lshlrev_b64 v[5:6], 3, v[4:5]
	v_add_co_u32 v5, s0, v9, v5
	s_delay_alu instid0(VALU_DEP_1) | instskip(SKIP_3) | instid1(VALU_DEP_1)
	v_add_co_ci_u32_e64 v6, s0, v14, v6, s0
	global_load_b64 v[15:16], v[5:6], off
	s_waitcnt vmcnt(0)
	v_mul_f64 v[15:16], v[15:16], s[16:17]
	v_fma_f64 v[12:13], v[12:13], s[6:7], v[15:16]
	global_store_b64 v[5:6], v[12:13], off
.LBB1534_9:
	s_or_b32 exec_lo, exec_lo, s1
	v_add_nc_u32_e32 v6, 16, v4
	s_delay_alu instid0(VALU_DEP_1) | instskip(NEXT) | instid1(VALU_DEP_1)
	v_cmp_le_i32_e64 s0, v6, v8
	s_and_b32 s1, vcc_lo, s0
	s_delay_alu instid0(SALU_CYCLE_1)
	s_and_saveexec_b32 s0, s1
	s_cbranch_execz .LBB1534_11
; %bb.10:
	v_ashrrev_i32_e32 v7, 31, v6
	s_delay_alu instid0(VALU_DEP_1) | instskip(NEXT) | instid1(VALU_DEP_1)
	v_lshlrev_b64 v[12:13], 3, v[6:7]
	v_add_co_u32 v12, vcc_lo, v9, v12
	s_delay_alu instid0(VALU_DEP_2) | instskip(SKIP_3) | instid1(VALU_DEP_1)
	v_add_co_ci_u32_e32 v13, vcc_lo, v14, v13, vcc_lo
	global_load_b64 v[14:15], v[12:13], off
	s_waitcnt vmcnt(0)
	v_mul_f64 v[14:15], v[14:15], s[16:17]
	v_fma_f64 v[9:10], v[10:11], s[6:7], v[14:15]
	global_store_b64 v[12:13], v[9:10], off
.LBB1534_11:
	s_or_b32 exec_lo, exec_lo, s0
	v_add_nc_u32_e32 v7, 16, v8
	s_delay_alu instid0(VALU_DEP_1) | instskip(SKIP_3) | instid1(VALU_DEP_4)
	v_ashrrev_i32_e32 v5, 31, v7
	v_mul_lo_u32 v10, v7, s21
	v_mad_u64_u32 v[8:9], null, v7, s20, 0
	v_cmp_gt_i32_e32 vcc_lo, s15, v7
	v_mul_lo_u32 v5, v5, s20
	v_cmp_le_i32_e64 s0, v4, v7
	s_delay_alu instid0(VALU_DEP_1) | instskip(NEXT) | instid1(VALU_DEP_2)
	s_and_b32 s0, vcc_lo, s0
	v_add3_u32 v9, v9, v10, v5
	s_delay_alu instid0(VALU_DEP_1) | instskip(NEXT) | instid1(VALU_DEP_1)
	v_lshlrev_b64 v[8:9], 3, v[8:9]
	v_add_co_u32 v8, s1, s18, v8
	s_delay_alu instid0(VALU_DEP_1)
	v_add_co_ci_u32_e64 v9, s1, s19, v9, s1
	s_and_saveexec_b32 s1, s0
	s_cbranch_execz .LBB1534_13
; %bb.12:
	v_ashrrev_i32_e32 v5, 31, v4
	s_delay_alu instid0(VALU_DEP_1) | instskip(NEXT) | instid1(VALU_DEP_1)
	v_lshlrev_b64 v[4:5], 3, v[4:5]
	v_add_co_u32 v4, s0, v8, v4
	s_delay_alu instid0(VALU_DEP_1) | instskip(SKIP_3) | instid1(VALU_DEP_1)
	v_add_co_ci_u32_e64 v5, s0, v9, v5, s0
	global_load_b64 v[10:11], v[4:5], off
	s_waitcnt vmcnt(0)
	v_mul_f64 v[10:11], v[10:11], s[16:17]
	v_fma_f64 v[2:3], v[2:3], s[6:7], v[10:11]
	global_store_b64 v[4:5], v[2:3], off
.LBB1534_13:
	s_or_b32 exec_lo, exec_lo, s1
	v_cmp_le_i32_e64 s0, v6, v7
	s_delay_alu instid0(VALU_DEP_1) | instskip(NEXT) | instid1(SALU_CYCLE_1)
	s_and_b32 s0, vcc_lo, s0
	s_and_saveexec_b32 s1, s0
	s_cbranch_execz .LBB1534_15
; %bb.14:
	v_ashrrev_i32_e32 v7, 31, v6
	s_delay_alu instid0(VALU_DEP_1) | instskip(NEXT) | instid1(VALU_DEP_1)
	v_lshlrev_b64 v[2:3], 3, v[6:7]
	v_add_co_u32 v2, vcc_lo, v8, v2
	s_delay_alu instid0(VALU_DEP_2) | instskip(SKIP_3) | instid1(VALU_DEP_1)
	v_add_co_ci_u32_e32 v3, vcc_lo, v9, v3, vcc_lo
	global_load_b64 v[4:5], v[2:3], off
	s_waitcnt vmcnt(0)
	v_mul_f64 v[4:5], v[4:5], s[16:17]
	v_fma_f64 v[0:1], v[0:1], s[6:7], v[4:5]
	global_store_b64 v[2:3], v[0:1], off
.LBB1534_15:
	s_nop 0
	s_sendmsg sendmsg(MSG_DEALLOC_VGPRS)
	s_endpgm
	.section	.rodata,"a",@progbits
	.p2align	6, 0x0
	.amdhsa_kernel _ZL34rocblas_syrkx_herkx_general_kernelIldLi16ELi32ELi8ELb0ELb0ELc84ELc85EKPKdKPdEviT_T0_PT8_S5_lS8_S5_lS6_PT9_S5_li
		.amdhsa_group_segment_fixed_size 4096
		.amdhsa_private_segment_fixed_size 0
		.amdhsa_kernarg_size 108
		.amdhsa_user_sgpr_count 13
		.amdhsa_user_sgpr_dispatch_ptr 0
		.amdhsa_user_sgpr_queue_ptr 0
		.amdhsa_user_sgpr_kernarg_segment_ptr 1
		.amdhsa_user_sgpr_dispatch_id 0
		.amdhsa_user_sgpr_private_segment_size 0
		.amdhsa_wavefront_size32 1
		.amdhsa_uses_dynamic_stack 0
		.amdhsa_enable_private_segment 0
		.amdhsa_system_sgpr_workgroup_id_x 1
		.amdhsa_system_sgpr_workgroup_id_y 1
		.amdhsa_system_sgpr_workgroup_id_z 1
		.amdhsa_system_sgpr_workgroup_info 0
		.amdhsa_system_vgpr_workitem_id 1
		.amdhsa_next_free_vgpr 42
		.amdhsa_next_free_sgpr 25
		.amdhsa_reserve_vcc 1
		.amdhsa_float_round_mode_32 0
		.amdhsa_float_round_mode_16_64 0
		.amdhsa_float_denorm_mode_32 3
		.amdhsa_float_denorm_mode_16_64 3
		.amdhsa_dx10_clamp 1
		.amdhsa_ieee_mode 1
		.amdhsa_fp16_overflow 0
		.amdhsa_workgroup_processor_mode 1
		.amdhsa_memory_ordered 1
		.amdhsa_forward_progress 0
		.amdhsa_shared_vgpr_count 0
		.amdhsa_exception_fp_ieee_invalid_op 0
		.amdhsa_exception_fp_denorm_src 0
		.amdhsa_exception_fp_ieee_div_zero 0
		.amdhsa_exception_fp_ieee_overflow 0
		.amdhsa_exception_fp_ieee_underflow 0
		.amdhsa_exception_fp_ieee_inexact 0
		.amdhsa_exception_int_div_zero 0
	.end_amdhsa_kernel
	.section	.text._ZL34rocblas_syrkx_herkx_general_kernelIldLi16ELi32ELi8ELb0ELb0ELc84ELc85EKPKdKPdEviT_T0_PT8_S5_lS8_S5_lS6_PT9_S5_li,"axG",@progbits,_ZL34rocblas_syrkx_herkx_general_kernelIldLi16ELi32ELi8ELb0ELb0ELc84ELc85EKPKdKPdEviT_T0_PT8_S5_lS8_S5_lS6_PT9_S5_li,comdat
.Lfunc_end1534:
	.size	_ZL34rocblas_syrkx_herkx_general_kernelIldLi16ELi32ELi8ELb0ELb0ELc84ELc85EKPKdKPdEviT_T0_PT8_S5_lS8_S5_lS6_PT9_S5_li, .Lfunc_end1534-_ZL34rocblas_syrkx_herkx_general_kernelIldLi16ELi32ELi8ELb0ELb0ELc84ELc85EKPKdKPdEviT_T0_PT8_S5_lS8_S5_lS6_PT9_S5_li
                                        ; -- End function
	.section	.AMDGPU.csdata,"",@progbits
; Kernel info:
; codeLenInByte = 1728
; NumSgprs: 27
; NumVgprs: 42
; ScratchSize: 0
; MemoryBound: 0
; FloatMode: 240
; IeeeMode: 1
; LDSByteSize: 4096 bytes/workgroup (compile time only)
; SGPRBlocks: 3
; VGPRBlocks: 5
; NumSGPRsForWavesPerEU: 27
; NumVGPRsForWavesPerEU: 42
; Occupancy: 16
; WaveLimiterHint : 1
; COMPUTE_PGM_RSRC2:SCRATCH_EN: 0
; COMPUTE_PGM_RSRC2:USER_SGPR: 13
; COMPUTE_PGM_RSRC2:TRAP_HANDLER: 0
; COMPUTE_PGM_RSRC2:TGID_X_EN: 1
; COMPUTE_PGM_RSRC2:TGID_Y_EN: 1
; COMPUTE_PGM_RSRC2:TGID_Z_EN: 1
; COMPUTE_PGM_RSRC2:TIDIG_COMP_CNT: 1
	.section	.text._ZL34rocblas_syrkx_herkx_general_kernelIldLi16ELi32ELi8ELb0ELb0ELc67ELc85EKPKdKPdEviT_T0_PT8_S5_lS8_S5_lS6_PT9_S5_li,"axG",@progbits,_ZL34rocblas_syrkx_herkx_general_kernelIldLi16ELi32ELi8ELb0ELb0ELc67ELc85EKPKdKPdEviT_T0_PT8_S5_lS8_S5_lS6_PT9_S5_li,comdat
	.globl	_ZL34rocblas_syrkx_herkx_general_kernelIldLi16ELi32ELi8ELb0ELb0ELc67ELc85EKPKdKPdEviT_T0_PT8_S5_lS8_S5_lS6_PT9_S5_li ; -- Begin function _ZL34rocblas_syrkx_herkx_general_kernelIldLi16ELi32ELi8ELb0ELb0ELc67ELc85EKPKdKPdEviT_T0_PT8_S5_lS8_S5_lS6_PT9_S5_li
	.p2align	8
	.type	_ZL34rocblas_syrkx_herkx_general_kernelIldLi16ELi32ELi8ELb0ELb0ELc67ELc85EKPKdKPdEviT_T0_PT8_S5_lS8_S5_lS6_PT9_S5_li,@function
_ZL34rocblas_syrkx_herkx_general_kernelIldLi16ELi32ELi8ELb0ELb0ELc67ELc85EKPKdKPdEviT_T0_PT8_S5_lS8_S5_lS6_PT9_S5_li: ; @_ZL34rocblas_syrkx_herkx_general_kernelIldLi16ELi32ELi8ELb0ELb0ELc67ELc85EKPKdKPdEviT_T0_PT8_S5_lS8_S5_lS6_PT9_S5_li
; %bb.0:
	s_clause 0x1
	s_load_b128 s[16:19], s[0:1], 0x48
	s_load_b256 s[4:11], s[0:1], 0x8
	s_mov_b32 s2, s15
	s_mov_b32 s3, 0
	s_load_b64 s[20:21], s[0:1], 0x58
	s_lshl_b64 s[22:23], s[2:3], 3
	v_mov_b32_e32 v12, 0
	v_dual_mov_b32 v13, 0 :: v_dual_and_b32 v18, 0x3ff, v0
	v_bfe_u32 v19, v0, 10, 10
	s_delay_alu instid0(VALU_DEP_3) | instskip(NEXT) | instid1(VALU_DEP_3)
	v_mov_b32_e32 v10, v12
	v_dual_mov_b32 v2, v12 :: v_dual_mov_b32 v3, v13
	v_dual_mov_b32 v11, v13 :: v_dual_mov_b32 v0, v12
	v_mov_b32_e32 v1, v13
	s_waitcnt lgkmcnt(0)
	s_add_u32 s2, s18, s22
	s_addc_u32 s3, s19, s23
	s_load_b32 s15, s[0:1], 0x0
	s_load_b64 s[18:19], s[2:3], 0x0
	v_cmp_lt_i64_e64 s2, s[4:5], 1
	s_lshl_b32 s24, s13, 5
	s_lshl_b32 s14, s14, 5
	s_mov_b64 s[12:13], 0
	s_delay_alu instid0(VALU_DEP_1)
	s_and_b32 vcc_lo, exec_lo, s2
	s_cbranch_vccnz .LBB1535_7
; %bb.1:
	s_load_b128 s[0:3], s[0:1], 0x30
	v_lshl_add_u32 v0, v19, 4, v18
	v_and_b32_e32 v20, 7, v18
	v_lshl_add_u32 v25, v19, 6, 0x800
	s_delay_alu instid0(VALU_DEP_3) | instskip(SKIP_3) | instid1(VALU_DEP_4)
	v_and_b32_e32 v1, 31, v0
	v_lshrrev_b32_e32 v4, 3, v0
	v_lshrrev_b32_e32 v21, 5, v0
	v_lshlrev_b32_e32 v6, 3, v20
	v_add_nc_u32_e32 v2, s24, v1
	s_delay_alu instid0(VALU_DEP_4)
	v_add_nc_u32_e32 v5, s14, v4
	v_or_b32_e32 v7, s24, v1
	v_lshlrev_b32_e32 v8, 3, v1
	v_lshl_or_b32 v4, v4, 6, v6
	v_ashrrev_i32_e32 v9, 31, v2
	v_ashrrev_i32_e32 v3, 31, v5
	v_mul_lo_u32 v10, s11, v2
	v_mad_u64_u32 v[0:1], null, s10, v2, 0
	s_waitcnt lgkmcnt(0)
	s_add_u32 s0, s0, s22
	v_mul_lo_u32 v9, s10, v9
	s_addc_u32 s1, s1, s23
	s_add_u32 s8, s8, s22
	v_mul_lo_u32 v11, s2, v3
	v_mul_lo_u32 v12, s3, v5
	s_addc_u32 s9, s9, s23
	v_mad_u64_u32 v[2:3], null, s2, v5, 0
	s_load_b64 s[2:3], s[8:9], 0x0
	s_load_b64 s[10:11], s[0:1], 0x0
	v_add3_u32 v1, v1, v9, v10
	v_add_nc_u32_e32 v23, 0x800, v4
	v_lshlrev_b32_e32 v4, 3, v21
	v_cmp_gt_i32_e64 s1, s15, v5
	v_add3_u32 v3, v3, v11, v12
	v_lshlrev_b64 v[0:1], 3, v[0:1]
	v_cmp_gt_i32_e64 s0, s15, v7
	s_delay_alu instid0(VALU_DEP_3) | instskip(NEXT) | instid1(VALU_DEP_3)
	v_lshlrev_b64 v[2:3], 3, v[2:3]
	v_add_co_u32 v0, vcc_lo, v0, v4
	s_delay_alu instid0(VALU_DEP_4) | instskip(NEXT) | instid1(VALU_DEP_3)
	v_add_co_ci_u32_e32 v1, vcc_lo, 0, v1, vcc_lo
	v_add_co_u32 v2, vcc_lo, v2, v6
	v_mov_b32_e32 v4, 0
	v_mov_b32_e32 v5, 0
	v_add_co_ci_u32_e32 v3, vcc_lo, 0, v3, vcc_lo
	s_waitcnt lgkmcnt(0)
	v_add_co_u32 v6, vcc_lo, s2, v0
	v_add_co_ci_u32_e32 v7, vcc_lo, s3, v1, vcc_lo
	v_dual_mov_b32 v0, v4 :: v_dual_mov_b32 v11, v5
	v_lshl_or_b32 v22, v21, 8, v8
	v_add_co_u32 v8, vcc_lo, s10, v2
	v_dual_mov_b32 v13, v5 :: v_dual_lshlrev_b32 v24, 3, v18
	v_add_co_ci_u32_e32 v9, vcc_lo, s11, v3, vcc_lo
	v_dual_mov_b32 v2, v4 :: v_dual_mov_b32 v1, v5
	v_dual_mov_b32 v3, v5 :: v_dual_mov_b32 v10, v4
	v_mov_b32_e32 v12, v4
	s_branch .LBB1535_3
.LBB1535_2:                             ;   in Loop: Header=BB1535_3 Depth=1
	s_or_b32 exec_lo, exec_lo, s2
	s_waitcnt vmcnt(0)
	ds_store_b64 v23, v[16:17]
	s_waitcnt lgkmcnt(0)
	s_barrier
	buffer_gl0_inv
	ds_load_2addr_b64 v[14:17], v24 offset1:16
	ds_load_b128 v[26:29], v25
	ds_load_b128 v[30:33], v25 offset:1024
	ds_load_b128 v[34:37], v25 offset:16
	ds_load_b128 v[38:41], v25 offset:1040
	s_add_u32 s12, s12, 8
	s_addc_u32 s13, s13, 0
	v_add_co_u32 v6, vcc_lo, v6, 64
	v_cmp_ge_i64_e64 s2, s[12:13], s[4:5]
	v_add_co_ci_u32_e32 v7, vcc_lo, 0, v7, vcc_lo
	v_add_co_u32 v8, vcc_lo, v8, 64
	v_add_co_ci_u32_e32 v9, vcc_lo, 0, v9, vcc_lo
	s_delay_alu instid0(VALU_DEP_4)
	s_and_b32 vcc_lo, exec_lo, s2
	s_waitcnt lgkmcnt(3)
	v_fma_f64 v[12:13], v[14:15], v[26:27], v[12:13]
	v_fma_f64 v[10:11], v[16:17], v[26:27], v[10:11]
	s_waitcnt lgkmcnt(2)
	v_fma_f64 v[14:15], v[14:15], v[30:31], v[2:3]
	v_fma_f64 v[16:17], v[16:17], v[30:31], v[0:1]
	ds_load_2addr_b64 v[0:3], v24 offset0:32 offset1:48
	s_waitcnt lgkmcnt(0)
	v_fma_f64 v[12:13], v[0:1], v[28:29], v[12:13]
	v_fma_f64 v[10:11], v[2:3], v[28:29], v[10:11]
	v_fma_f64 v[14:15], v[0:1], v[32:33], v[14:15]
	v_fma_f64 v[16:17], v[2:3], v[32:33], v[16:17]
	ds_load_2addr_b64 v[0:3], v24 offset0:64 offset1:80
	s_waitcnt lgkmcnt(0)
	v_fma_f64 v[12:13], v[0:1], v[34:35], v[12:13]
	v_fma_f64 v[10:11], v[2:3], v[34:35], v[10:11]
	;; [unrolled: 6-line block ×3, first 2 shown]
	v_fma_f64 v[38:39], v[0:1], v[40:41], v[14:15]
	v_fma_f64 v[40:41], v[2:3], v[40:41], v[16:17]
	ds_load_2addr_b64 v[0:3], v24 offset0:128 offset1:144
	ds_load_b128 v[10:13], v25 offset:32
	ds_load_b128 v[14:17], v25 offset:1056
	;; [unrolled: 1-line block ×4, first 2 shown]
	s_waitcnt lgkmcnt(3)
	v_fma_f64 v[34:35], v[0:1], v[10:11], v[34:35]
	v_fma_f64 v[10:11], v[2:3], v[10:11], v[36:37]
	s_waitcnt lgkmcnt(2)
	v_fma_f64 v[36:37], v[0:1], v[14:15], v[38:39]
	v_fma_f64 v[14:15], v[2:3], v[14:15], v[40:41]
	ds_load_2addr_b64 v[0:3], v24 offset0:160 offset1:176
	s_waitcnt lgkmcnt(0)
	v_fma_f64 v[34:35], v[0:1], v[12:13], v[34:35]
	v_fma_f64 v[10:11], v[2:3], v[12:13], v[10:11]
	;; [unrolled: 1-line block ×4, first 2 shown]
	ds_load_2addr_b64 v[0:3], v24 offset0:192 offset1:208
	s_waitcnt lgkmcnt(0)
	v_fma_f64 v[34:35], v[0:1], v[26:27], v[34:35]
	v_fma_f64 v[10:11], v[2:3], v[26:27], v[10:11]
	;; [unrolled: 1-line block ×4, first 2 shown]
	ds_load_2addr_b64 v[14:17], v24 offset0:224 offset1:240
	s_waitcnt lgkmcnt(0)
	s_barrier
	buffer_gl0_inv
	v_fma_f64 v[12:13], v[14:15], v[28:29], v[34:35]
	v_fma_f64 v[10:11], v[16:17], v[28:29], v[10:11]
	;; [unrolled: 1-line block ×4, first 2 shown]
	s_cbranch_vccnz .LBB1535_7
.LBB1535_3:                             ; =>This Inner Loop Header: Depth=1
	v_add_co_u32 v14, s2, v21, s12
	s_delay_alu instid0(VALU_DEP_1) | instskip(NEXT) | instid1(VALU_DEP_1)
	v_add_co_ci_u32_e64 v15, null, 0, s13, s2
	v_cmp_gt_i64_e32 vcc_lo, s[4:5], v[14:15]
	v_dual_mov_b32 v15, v5 :: v_dual_mov_b32 v14, v4
	s_and_b32 s3, s0, vcc_lo
	s_delay_alu instid0(SALU_CYCLE_1)
	s_and_saveexec_b32 s2, s3
	s_cbranch_execz .LBB1535_5
; %bb.4:                                ;   in Loop: Header=BB1535_3 Depth=1
	global_load_b64 v[14:15], v[6:7], off
.LBB1535_5:                             ;   in Loop: Header=BB1535_3 Depth=1
	s_or_b32 exec_lo, exec_lo, s2
	v_add_co_u32 v16, s2, v20, s12
	s_delay_alu instid0(VALU_DEP_1)
	v_add_co_ci_u32_e64 v17, null, 0, s13, s2
	s_waitcnt vmcnt(0)
	ds_store_b64 v22, v[14:15]
	v_cmp_gt_i64_e32 vcc_lo, s[4:5], v[16:17]
	v_dual_mov_b32 v17, v5 :: v_dual_mov_b32 v16, v4
	s_and_b32 s3, vcc_lo, s1
	s_delay_alu instid0(SALU_CYCLE_1)
	s_and_saveexec_b32 s2, s3
	s_cbranch_execz .LBB1535_2
; %bb.6:                                ;   in Loop: Header=BB1535_3 Depth=1
	global_load_b64 v[16:17], v[8:9], off
	s_branch .LBB1535_2
.LBB1535_7:
	v_add_nc_u32_e32 v8, s14, v19
	s_delay_alu instid0(VALU_DEP_1)
	v_ashrrev_i32_e32 v4, 31, v8
	v_mul_lo_u32 v7, v8, s21
	v_mad_u64_u32 v[5:6], null, v8, s20, 0
	s_waitcnt lgkmcnt(0)
	v_cmp_gt_i32_e32 vcc_lo, s15, v8
	v_mul_lo_u32 v4, v4, s20
	s_delay_alu instid0(VALU_DEP_1) | instskip(SKIP_1) | instid1(VALU_DEP_2)
	v_add3_u32 v6, v6, v7, v4
	v_add_nc_u32_e32 v4, s24, v18
	v_lshlrev_b64 v[5:6], 3, v[5:6]
	s_delay_alu instid0(VALU_DEP_2) | instskip(NEXT) | instid1(VALU_DEP_1)
	v_cmp_le_i32_e64 s0, v4, v8
	s_and_b32 s0, vcc_lo, s0
	s_delay_alu instid0(VALU_DEP_2) | instskip(NEXT) | instid1(VALU_DEP_1)
	v_add_co_u32 v9, s1, s18, v5
	v_add_co_ci_u32_e64 v14, s1, s19, v6, s1
	s_and_saveexec_b32 s1, s0
	s_cbranch_execz .LBB1535_9
; %bb.8:
	v_ashrrev_i32_e32 v5, 31, v4
	s_delay_alu instid0(VALU_DEP_1) | instskip(NEXT) | instid1(VALU_DEP_1)
	v_lshlrev_b64 v[5:6], 3, v[4:5]
	v_add_co_u32 v5, s0, v9, v5
	s_delay_alu instid0(VALU_DEP_1) | instskip(SKIP_3) | instid1(VALU_DEP_1)
	v_add_co_ci_u32_e64 v6, s0, v14, v6, s0
	global_load_b64 v[15:16], v[5:6], off
	s_waitcnt vmcnt(0)
	v_mul_f64 v[15:16], v[15:16], s[16:17]
	v_fma_f64 v[12:13], v[12:13], s[6:7], v[15:16]
	global_store_b64 v[5:6], v[12:13], off
.LBB1535_9:
	s_or_b32 exec_lo, exec_lo, s1
	v_add_nc_u32_e32 v6, 16, v4
	s_delay_alu instid0(VALU_DEP_1) | instskip(NEXT) | instid1(VALU_DEP_1)
	v_cmp_le_i32_e64 s0, v6, v8
	s_and_b32 s1, vcc_lo, s0
	s_delay_alu instid0(SALU_CYCLE_1)
	s_and_saveexec_b32 s0, s1
	s_cbranch_execz .LBB1535_11
; %bb.10:
	v_ashrrev_i32_e32 v7, 31, v6
	s_delay_alu instid0(VALU_DEP_1) | instskip(NEXT) | instid1(VALU_DEP_1)
	v_lshlrev_b64 v[12:13], 3, v[6:7]
	v_add_co_u32 v12, vcc_lo, v9, v12
	s_delay_alu instid0(VALU_DEP_2) | instskip(SKIP_3) | instid1(VALU_DEP_1)
	v_add_co_ci_u32_e32 v13, vcc_lo, v14, v13, vcc_lo
	global_load_b64 v[14:15], v[12:13], off
	s_waitcnt vmcnt(0)
	v_mul_f64 v[14:15], v[14:15], s[16:17]
	v_fma_f64 v[9:10], v[10:11], s[6:7], v[14:15]
	global_store_b64 v[12:13], v[9:10], off
.LBB1535_11:
	s_or_b32 exec_lo, exec_lo, s0
	v_add_nc_u32_e32 v7, 16, v8
	s_delay_alu instid0(VALU_DEP_1) | instskip(SKIP_3) | instid1(VALU_DEP_4)
	v_ashrrev_i32_e32 v5, 31, v7
	v_mul_lo_u32 v10, v7, s21
	v_mad_u64_u32 v[8:9], null, v7, s20, 0
	v_cmp_gt_i32_e32 vcc_lo, s15, v7
	v_mul_lo_u32 v5, v5, s20
	v_cmp_le_i32_e64 s0, v4, v7
	s_delay_alu instid0(VALU_DEP_1) | instskip(NEXT) | instid1(VALU_DEP_2)
	s_and_b32 s0, vcc_lo, s0
	v_add3_u32 v9, v9, v10, v5
	s_delay_alu instid0(VALU_DEP_1) | instskip(NEXT) | instid1(VALU_DEP_1)
	v_lshlrev_b64 v[8:9], 3, v[8:9]
	v_add_co_u32 v8, s1, s18, v8
	s_delay_alu instid0(VALU_DEP_1)
	v_add_co_ci_u32_e64 v9, s1, s19, v9, s1
	s_and_saveexec_b32 s1, s0
	s_cbranch_execz .LBB1535_13
; %bb.12:
	v_ashrrev_i32_e32 v5, 31, v4
	s_delay_alu instid0(VALU_DEP_1) | instskip(NEXT) | instid1(VALU_DEP_1)
	v_lshlrev_b64 v[4:5], 3, v[4:5]
	v_add_co_u32 v4, s0, v8, v4
	s_delay_alu instid0(VALU_DEP_1) | instskip(SKIP_3) | instid1(VALU_DEP_1)
	v_add_co_ci_u32_e64 v5, s0, v9, v5, s0
	global_load_b64 v[10:11], v[4:5], off
	s_waitcnt vmcnt(0)
	v_mul_f64 v[10:11], v[10:11], s[16:17]
	v_fma_f64 v[2:3], v[2:3], s[6:7], v[10:11]
	global_store_b64 v[4:5], v[2:3], off
.LBB1535_13:
	s_or_b32 exec_lo, exec_lo, s1
	v_cmp_le_i32_e64 s0, v6, v7
	s_delay_alu instid0(VALU_DEP_1) | instskip(NEXT) | instid1(SALU_CYCLE_1)
	s_and_b32 s0, vcc_lo, s0
	s_and_saveexec_b32 s1, s0
	s_cbranch_execz .LBB1535_15
; %bb.14:
	v_ashrrev_i32_e32 v7, 31, v6
	s_delay_alu instid0(VALU_DEP_1) | instskip(NEXT) | instid1(VALU_DEP_1)
	v_lshlrev_b64 v[2:3], 3, v[6:7]
	v_add_co_u32 v2, vcc_lo, v8, v2
	s_delay_alu instid0(VALU_DEP_2) | instskip(SKIP_3) | instid1(VALU_DEP_1)
	v_add_co_ci_u32_e32 v3, vcc_lo, v9, v3, vcc_lo
	global_load_b64 v[4:5], v[2:3], off
	s_waitcnt vmcnt(0)
	v_mul_f64 v[4:5], v[4:5], s[16:17]
	v_fma_f64 v[0:1], v[0:1], s[6:7], v[4:5]
	global_store_b64 v[2:3], v[0:1], off
.LBB1535_15:
	s_nop 0
	s_sendmsg sendmsg(MSG_DEALLOC_VGPRS)
	s_endpgm
	.section	.rodata,"a",@progbits
	.p2align	6, 0x0
	.amdhsa_kernel _ZL34rocblas_syrkx_herkx_general_kernelIldLi16ELi32ELi8ELb0ELb0ELc67ELc85EKPKdKPdEviT_T0_PT8_S5_lS8_S5_lS6_PT9_S5_li
		.amdhsa_group_segment_fixed_size 4096
		.amdhsa_private_segment_fixed_size 0
		.amdhsa_kernarg_size 108
		.amdhsa_user_sgpr_count 13
		.amdhsa_user_sgpr_dispatch_ptr 0
		.amdhsa_user_sgpr_queue_ptr 0
		.amdhsa_user_sgpr_kernarg_segment_ptr 1
		.amdhsa_user_sgpr_dispatch_id 0
		.amdhsa_user_sgpr_private_segment_size 0
		.amdhsa_wavefront_size32 1
		.amdhsa_uses_dynamic_stack 0
		.amdhsa_enable_private_segment 0
		.amdhsa_system_sgpr_workgroup_id_x 1
		.amdhsa_system_sgpr_workgroup_id_y 1
		.amdhsa_system_sgpr_workgroup_id_z 1
		.amdhsa_system_sgpr_workgroup_info 0
		.amdhsa_system_vgpr_workitem_id 1
		.amdhsa_next_free_vgpr 42
		.amdhsa_next_free_sgpr 25
		.amdhsa_reserve_vcc 1
		.amdhsa_float_round_mode_32 0
		.amdhsa_float_round_mode_16_64 0
		.amdhsa_float_denorm_mode_32 3
		.amdhsa_float_denorm_mode_16_64 3
		.amdhsa_dx10_clamp 1
		.amdhsa_ieee_mode 1
		.amdhsa_fp16_overflow 0
		.amdhsa_workgroup_processor_mode 1
		.amdhsa_memory_ordered 1
		.amdhsa_forward_progress 0
		.amdhsa_shared_vgpr_count 0
		.amdhsa_exception_fp_ieee_invalid_op 0
		.amdhsa_exception_fp_denorm_src 0
		.amdhsa_exception_fp_ieee_div_zero 0
		.amdhsa_exception_fp_ieee_overflow 0
		.amdhsa_exception_fp_ieee_underflow 0
		.amdhsa_exception_fp_ieee_inexact 0
		.amdhsa_exception_int_div_zero 0
	.end_amdhsa_kernel
	.section	.text._ZL34rocblas_syrkx_herkx_general_kernelIldLi16ELi32ELi8ELb0ELb0ELc67ELc85EKPKdKPdEviT_T0_PT8_S5_lS8_S5_lS6_PT9_S5_li,"axG",@progbits,_ZL34rocblas_syrkx_herkx_general_kernelIldLi16ELi32ELi8ELb0ELb0ELc67ELc85EKPKdKPdEviT_T0_PT8_S5_lS8_S5_lS6_PT9_S5_li,comdat
.Lfunc_end1535:
	.size	_ZL34rocblas_syrkx_herkx_general_kernelIldLi16ELi32ELi8ELb0ELb0ELc67ELc85EKPKdKPdEviT_T0_PT8_S5_lS8_S5_lS6_PT9_S5_li, .Lfunc_end1535-_ZL34rocblas_syrkx_herkx_general_kernelIldLi16ELi32ELi8ELb0ELb0ELc67ELc85EKPKdKPdEviT_T0_PT8_S5_lS8_S5_lS6_PT9_S5_li
                                        ; -- End function
	.section	.AMDGPU.csdata,"",@progbits
; Kernel info:
; codeLenInByte = 1728
; NumSgprs: 27
; NumVgprs: 42
; ScratchSize: 0
; MemoryBound: 0
; FloatMode: 240
; IeeeMode: 1
; LDSByteSize: 4096 bytes/workgroup (compile time only)
; SGPRBlocks: 3
; VGPRBlocks: 5
; NumSGPRsForWavesPerEU: 27
; NumVGPRsForWavesPerEU: 42
; Occupancy: 16
; WaveLimiterHint : 1
; COMPUTE_PGM_RSRC2:SCRATCH_EN: 0
; COMPUTE_PGM_RSRC2:USER_SGPR: 13
; COMPUTE_PGM_RSRC2:TRAP_HANDLER: 0
; COMPUTE_PGM_RSRC2:TGID_X_EN: 1
; COMPUTE_PGM_RSRC2:TGID_Y_EN: 1
; COMPUTE_PGM_RSRC2:TGID_Z_EN: 1
; COMPUTE_PGM_RSRC2:TIDIG_COMP_CNT: 1
	.section	.text._ZL34rocblas_syrkx_herkx_general_kernelIldLi16ELi32ELi8ELb0ELb0ELc78ELc85EKPKdKPdEviT_T0_PT8_S5_lS8_S5_lS6_PT9_S5_li,"axG",@progbits,_ZL34rocblas_syrkx_herkx_general_kernelIldLi16ELi32ELi8ELb0ELb0ELc78ELc85EKPKdKPdEviT_T0_PT8_S5_lS8_S5_lS6_PT9_S5_li,comdat
	.globl	_ZL34rocblas_syrkx_herkx_general_kernelIldLi16ELi32ELi8ELb0ELb0ELc78ELc85EKPKdKPdEviT_T0_PT8_S5_lS8_S5_lS6_PT9_S5_li ; -- Begin function _ZL34rocblas_syrkx_herkx_general_kernelIldLi16ELi32ELi8ELb0ELb0ELc78ELc85EKPKdKPdEviT_T0_PT8_S5_lS8_S5_lS6_PT9_S5_li
	.p2align	8
	.type	_ZL34rocblas_syrkx_herkx_general_kernelIldLi16ELi32ELi8ELb0ELb0ELc78ELc85EKPKdKPdEviT_T0_PT8_S5_lS8_S5_lS6_PT9_S5_li,@function
_ZL34rocblas_syrkx_herkx_general_kernelIldLi16ELi32ELi8ELb0ELb0ELc78ELc85EKPKdKPdEviT_T0_PT8_S5_lS8_S5_lS6_PT9_S5_li: ; @_ZL34rocblas_syrkx_herkx_general_kernelIldLi16ELi32ELi8ELb0ELb0ELc78ELc85EKPKdKPdEviT_T0_PT8_S5_lS8_S5_lS6_PT9_S5_li
; %bb.0:
	s_clause 0x1
	s_load_b128 s[16:19], s[0:1], 0x48
	s_load_b256 s[4:11], s[0:1], 0x8
	s_mov_b32 s2, s15
	s_mov_b32 s3, 0
	s_load_b64 s[20:21], s[0:1], 0x58
	s_lshl_b64 s[22:23], s[2:3], 3
	v_mov_b32_e32 v12, 0
	v_dual_mov_b32 v13, 0 :: v_dual_and_b32 v18, 0x3ff, v0
	v_bfe_u32 v19, v0, 10, 10
	s_delay_alu instid0(VALU_DEP_3) | instskip(NEXT) | instid1(VALU_DEP_3)
	v_mov_b32_e32 v10, v12
	v_dual_mov_b32 v4, v12 :: v_dual_mov_b32 v5, v13
	v_dual_mov_b32 v11, v13 :: v_dual_mov_b32 v0, v12
	v_mov_b32_e32 v1, v13
	s_waitcnt lgkmcnt(0)
	s_add_u32 s2, s18, s22
	s_addc_u32 s3, s19, s23
	s_load_b32 s24, s[0:1], 0x0
	s_load_b64 s[2:3], s[2:3], 0x0
	v_cmp_lt_i64_e64 s12, s[4:5], 1
	s_lshl_b32 s25, s13, 5
	s_lshl_b32 s26, s14, 5
	s_mov_b64 s[18:19], 0
	s_delay_alu instid0(VALU_DEP_1)
	s_and_b32 vcc_lo, exec_lo, s12
	s_cbranch_vccnz .LBB1536_7
; %bb.1:
	s_load_b128 s[12:15], s[0:1], 0x30
	v_lshl_add_u32 v0, v19, 4, v18
	v_and_b32_e32 v20, 7, v18
	v_dual_mov_b32 v2, 0 :: v_dual_lshlrev_b32 v21, 3, v18
	v_mov_b32_e32 v3, 0
	s_delay_alu instid0(VALU_DEP_4) | instskip(SKIP_3) | instid1(VALU_DEP_4)
	v_lshrrev_b32_e32 v23, 5, v0
	v_lshrrev_b32_e32 v1, 3, v0
	v_and_b32_e32 v9, 31, v0
	v_lshl_add_u32 v22, v19, 6, 0x800
	v_mad_u64_u32 v[4:5], null, s10, v23, 0
	v_lshlrev_b32_e32 v10, 3, v20
	s_delay_alu instid0(VALU_DEP_4) | instskip(SKIP_1) | instid1(VALU_DEP_3)
	v_or_b32_e32 v11, s25, v9
	v_lshlrev_b32_e32 v13, 3, v9
	v_lshl_or_b32 v14, v1, 6, v10
	s_waitcnt lgkmcnt(0)
	s_delay_alu instid0(VALU_DEP_3)
	v_cmp_gt_i32_e64 s0, s24, v11
	v_mad_u64_u32 v[6:7], null, s14, v20, 0
	v_dual_mov_b32 v1, v5 :: v_dual_add_nc_u32 v0, s26, v1
	s_add_u32 s12, s12, s22
	s_addc_u32 s13, s13, s23
	s_add_u32 s8, s8, s22
	s_addc_u32 s9, s9, s23
	s_delay_alu instid0(VALU_DEP_2) | instskip(SKIP_3) | instid1(VALU_DEP_3)
	v_mov_b32_e32 v5, v7
	v_mad_u64_u32 v[10:11], null, s11, v23, v[1:2]
	v_add_nc_u32_e32 v8, s25, v9
	s_load_b64 s[8:9], s[8:9], 0x0
	v_mad_u64_u32 v[11:12], null, s15, v20, v[5:6]
	s_load_b64 s[12:13], s[12:13], 0x0
	v_ashrrev_i32_e32 v1, 31, v0
	s_delay_alu instid0(VALU_DEP_4)
	v_mov_b32_e32 v5, v10
	v_ashrrev_i32_e32 v9, 31, v8
	v_cmp_gt_i32_e64 s1, s24, v0
	v_add_nc_u32_e32 v25, 0x800, v14
	v_mov_b32_e32 v7, v11
	v_lshlrev_b64 v[4:5], 3, v[4:5]
	v_lshlrev_b64 v[8:9], 3, v[8:9]
	v_dual_mov_b32 v11, v3 :: v_dual_mov_b32 v10, v2
	v_lshlrev_b64 v[0:1], 3, v[0:1]
	v_lshlrev_b64 v[6:7], 3, v[6:7]
	s_delay_alu instid0(VALU_DEP_4) | instskip(SKIP_1) | instid1(VALU_DEP_3)
	v_add_co_u32 v4, vcc_lo, v4, v8
	v_add_co_ci_u32_e32 v5, vcc_lo, v5, v9, vcc_lo
	v_add_co_u32 v0, vcc_lo, v6, v0
	s_delay_alu instid0(VALU_DEP_4)
	v_add_co_ci_u32_e32 v1, vcc_lo, v7, v1, vcc_lo
	s_waitcnt lgkmcnt(0)
	v_add_co_u32 v6, vcc_lo, s8, v4
	v_add_co_ci_u32_e32 v7, vcc_lo, s9, v5, vcc_lo
	v_add_co_u32 v8, vcc_lo, s12, v0
	v_mov_b32_e32 v5, v3
	v_add_co_ci_u32_e32 v9, vcc_lo, s13, v1, vcc_lo
	v_mov_b32_e32 v0, v2
	v_mov_b32_e32 v4, v2
	v_lshl_or_b32 v24, v23, 8, v13
	v_mov_b32_e32 v13, v3
	v_dual_mov_b32 v1, v3 :: v_dual_mov_b32 v12, v2
	s_lshl_b64 s[8:9], s[10:11], 6
	s_lshl_b64 s[10:11], s[14:15], 6
	s_branch .LBB1536_3
.LBB1536_2:                             ;   in Loop: Header=BB1536_3 Depth=1
	s_or_b32 exec_lo, exec_lo, s12
	s_waitcnt vmcnt(0)
	ds_store_b64 v25, v[16:17]
	s_waitcnt lgkmcnt(0)
	s_barrier
	buffer_gl0_inv
	ds_load_2addr_b64 v[14:17], v21 offset1:16
	ds_load_b128 v[26:29], v22
	ds_load_b128 v[30:33], v22 offset:1024
	ds_load_b128 v[34:37], v22 offset:16
	;; [unrolled: 1-line block ×3, first 2 shown]
	s_add_u32 s18, s18, 8
	s_addc_u32 s19, s19, 0
	v_add_co_u32 v6, vcc_lo, v6, s8
	v_cmp_ge_i64_e64 s12, s[18:19], s[4:5]
	v_add_co_ci_u32_e32 v7, vcc_lo, s9, v7, vcc_lo
	v_add_co_u32 v8, vcc_lo, v8, s10
	v_add_co_ci_u32_e32 v9, vcc_lo, s11, v9, vcc_lo
	s_delay_alu instid0(VALU_DEP_4)
	s_and_b32 vcc_lo, exec_lo, s12
	s_waitcnt lgkmcnt(3)
	v_fma_f64 v[42:43], v[14:15], v[26:27], v[12:13]
	v_fma_f64 v[26:27], v[16:17], v[26:27], v[10:11]
	s_waitcnt lgkmcnt(2)
	v_fma_f64 v[4:5], v[14:15], v[30:31], v[4:5]
	v_fma_f64 v[0:1], v[16:17], v[30:31], v[0:1]
	ds_load_2addr_b64 v[10:13], v21 offset0:32 offset1:48
	s_waitcnt lgkmcnt(0)
	v_fma_f64 v[14:15], v[10:11], v[28:29], v[42:43]
	v_fma_f64 v[16:17], v[12:13], v[28:29], v[26:27]
	v_fma_f64 v[4:5], v[10:11], v[32:33], v[4:5]
	v_fma_f64 v[0:1], v[12:13], v[32:33], v[0:1]
	ds_load_2addr_b64 v[10:13], v21 offset0:64 offset1:80
	s_waitcnt lgkmcnt(0)
	v_fma_f64 v[14:15], v[10:11], v[34:35], v[14:15]
	v_fma_f64 v[16:17], v[12:13], v[34:35], v[16:17]
	;; [unrolled: 6-line block ×3, first 2 shown]
	v_fma_f64 v[4:5], v[10:11], v[40:41], v[4:5]
	v_fma_f64 v[0:1], v[12:13], v[40:41], v[0:1]
	ds_load_2addr_b64 v[10:13], v21 offset0:128 offset1:144
	ds_load_b128 v[14:17], v22 offset:32
	ds_load_b128 v[26:29], v22 offset:1056
	;; [unrolled: 1-line block ×4, first 2 shown]
	s_waitcnt lgkmcnt(3)
	v_fma_f64 v[38:39], v[10:11], v[14:15], v[38:39]
	v_fma_f64 v[14:15], v[12:13], v[14:15], v[42:43]
	s_waitcnt lgkmcnt(2)
	v_fma_f64 v[4:5], v[10:11], v[26:27], v[4:5]
	v_fma_f64 v[0:1], v[12:13], v[26:27], v[0:1]
	ds_load_2addr_b64 v[10:13], v21 offset0:160 offset1:176
	s_waitcnt lgkmcnt(0)
	v_fma_f64 v[26:27], v[10:11], v[16:17], v[38:39]
	v_fma_f64 v[14:15], v[12:13], v[16:17], v[14:15]
	;; [unrolled: 1-line block ×4, first 2 shown]
	ds_load_2addr_b64 v[10:13], v21 offset0:192 offset1:208
	s_waitcnt lgkmcnt(0)
	v_fma_f64 v[26:27], v[10:11], v[30:31], v[26:27]
	v_fma_f64 v[28:29], v[12:13], v[30:31], v[14:15]
	;; [unrolled: 1-line block ×4, first 2 shown]
	ds_load_2addr_b64 v[14:17], v21 offset0:224 offset1:240
	s_waitcnt lgkmcnt(0)
	s_barrier
	buffer_gl0_inv
	v_fma_f64 v[12:13], v[14:15], v[32:33], v[26:27]
	v_fma_f64 v[10:11], v[16:17], v[32:33], v[28:29]
	;; [unrolled: 1-line block ×4, first 2 shown]
	s_cbranch_vccnz .LBB1536_7
.LBB1536_3:                             ; =>This Inner Loop Header: Depth=1
	v_add_co_u32 v14, s12, v23, s18
	s_delay_alu instid0(VALU_DEP_1) | instskip(NEXT) | instid1(VALU_DEP_1)
	v_add_co_ci_u32_e64 v15, null, 0, s19, s12
	v_cmp_gt_i64_e32 vcc_lo, s[4:5], v[14:15]
	v_dual_mov_b32 v15, v3 :: v_dual_mov_b32 v14, v2
	s_and_b32 s13, s0, vcc_lo
	s_delay_alu instid0(SALU_CYCLE_1)
	s_and_saveexec_b32 s12, s13
	s_cbranch_execz .LBB1536_5
; %bb.4:                                ;   in Loop: Header=BB1536_3 Depth=1
	global_load_b64 v[14:15], v[6:7], off
.LBB1536_5:                             ;   in Loop: Header=BB1536_3 Depth=1
	s_or_b32 exec_lo, exec_lo, s12
	v_add_co_u32 v16, s12, v20, s18
	s_delay_alu instid0(VALU_DEP_1)
	v_add_co_ci_u32_e64 v17, null, 0, s19, s12
	s_waitcnt vmcnt(0)
	ds_store_b64 v24, v[14:15]
	v_cmp_gt_i64_e32 vcc_lo, s[4:5], v[16:17]
	v_dual_mov_b32 v17, v3 :: v_dual_mov_b32 v16, v2
	s_and_b32 s13, vcc_lo, s1
	s_delay_alu instid0(SALU_CYCLE_1)
	s_and_saveexec_b32 s12, s13
	s_cbranch_execz .LBB1536_2
; %bb.6:                                ;   in Loop: Header=BB1536_3 Depth=1
	global_load_b64 v[16:17], v[8:9], off
	s_branch .LBB1536_2
.LBB1536_7:
	v_add_nc_u32_e32 v8, s26, v19
	s_delay_alu instid0(VALU_DEP_1)
	v_ashrrev_i32_e32 v2, 31, v8
	v_mul_lo_u32 v3, v8, s21
	v_mad_u64_u32 v[6:7], null, v8, s20, 0
	s_waitcnt lgkmcnt(0)
	v_cmp_gt_i32_e32 vcc_lo, s24, v8
	v_mul_lo_u32 v2, v2, s20
	s_delay_alu instid0(VALU_DEP_1) | instskip(SKIP_1) | instid1(VALU_DEP_2)
	v_add3_u32 v7, v7, v3, v2
	v_add_nc_u32_e32 v2, s25, v18
	v_lshlrev_b64 v[6:7], 3, v[6:7]
	s_delay_alu instid0(VALU_DEP_2) | instskip(NEXT) | instid1(VALU_DEP_1)
	v_cmp_le_i32_e64 s0, v2, v8
	s_and_b32 s0, vcc_lo, s0
	s_delay_alu instid0(VALU_DEP_2) | instskip(NEXT) | instid1(VALU_DEP_1)
	v_add_co_u32 v9, s1, s2, v6
	v_add_co_ci_u32_e64 v14, s1, s3, v7, s1
	s_and_saveexec_b32 s1, s0
	s_cbranch_execz .LBB1536_9
; %bb.8:
	v_ashrrev_i32_e32 v3, 31, v2
	s_delay_alu instid0(VALU_DEP_1) | instskip(NEXT) | instid1(VALU_DEP_1)
	v_lshlrev_b64 v[6:7], 3, v[2:3]
	v_add_co_u32 v6, s0, v9, v6
	s_delay_alu instid0(VALU_DEP_1) | instskip(SKIP_3) | instid1(VALU_DEP_1)
	v_add_co_ci_u32_e64 v7, s0, v14, v7, s0
	global_load_b64 v[15:16], v[6:7], off
	s_waitcnt vmcnt(0)
	v_mul_f64 v[15:16], v[15:16], s[16:17]
	v_fma_f64 v[12:13], v[12:13], s[6:7], v[15:16]
	global_store_b64 v[6:7], v[12:13], off
.LBB1536_9:
	s_or_b32 exec_lo, exec_lo, s1
	v_add_nc_u32_e32 v6, 16, v2
	s_delay_alu instid0(VALU_DEP_1) | instskip(NEXT) | instid1(VALU_DEP_1)
	v_cmp_le_i32_e64 s0, v6, v8
	s_and_b32 s1, vcc_lo, s0
	s_delay_alu instid0(SALU_CYCLE_1)
	s_and_saveexec_b32 s0, s1
	s_cbranch_execz .LBB1536_11
; %bb.10:
	v_ashrrev_i32_e32 v7, 31, v6
	s_delay_alu instid0(VALU_DEP_1) | instskip(NEXT) | instid1(VALU_DEP_1)
	v_lshlrev_b64 v[12:13], 3, v[6:7]
	v_add_co_u32 v12, vcc_lo, v9, v12
	s_delay_alu instid0(VALU_DEP_2) | instskip(SKIP_3) | instid1(VALU_DEP_1)
	v_add_co_ci_u32_e32 v13, vcc_lo, v14, v13, vcc_lo
	global_load_b64 v[14:15], v[12:13], off
	s_waitcnt vmcnt(0)
	v_mul_f64 v[14:15], v[14:15], s[16:17]
	v_fma_f64 v[9:10], v[10:11], s[6:7], v[14:15]
	global_store_b64 v[12:13], v[9:10], off
.LBB1536_11:
	s_or_b32 exec_lo, exec_lo, s0
	v_add_nc_u32_e32 v7, 16, v8
	s_delay_alu instid0(VALU_DEP_1) | instskip(SKIP_3) | instid1(VALU_DEP_4)
	v_ashrrev_i32_e32 v3, 31, v7
	v_mul_lo_u32 v10, v7, s21
	v_mad_u64_u32 v[8:9], null, v7, s20, 0
	v_cmp_gt_i32_e32 vcc_lo, s24, v7
	v_mul_lo_u32 v3, v3, s20
	v_cmp_le_i32_e64 s0, v2, v7
	s_delay_alu instid0(VALU_DEP_1) | instskip(NEXT) | instid1(VALU_DEP_2)
	s_and_b32 s0, vcc_lo, s0
	v_add3_u32 v9, v9, v10, v3
	s_delay_alu instid0(VALU_DEP_1) | instskip(NEXT) | instid1(VALU_DEP_1)
	v_lshlrev_b64 v[8:9], 3, v[8:9]
	v_add_co_u32 v8, s1, s2, v8
	s_delay_alu instid0(VALU_DEP_1)
	v_add_co_ci_u32_e64 v9, s1, s3, v9, s1
	s_and_saveexec_b32 s1, s0
	s_cbranch_execz .LBB1536_13
; %bb.12:
	v_ashrrev_i32_e32 v3, 31, v2
	s_delay_alu instid0(VALU_DEP_1) | instskip(NEXT) | instid1(VALU_DEP_1)
	v_lshlrev_b64 v[2:3], 3, v[2:3]
	v_add_co_u32 v2, s0, v8, v2
	s_delay_alu instid0(VALU_DEP_1) | instskip(SKIP_3) | instid1(VALU_DEP_1)
	v_add_co_ci_u32_e64 v3, s0, v9, v3, s0
	global_load_b64 v[10:11], v[2:3], off
	s_waitcnt vmcnt(0)
	v_mul_f64 v[10:11], v[10:11], s[16:17]
	v_fma_f64 v[4:5], v[4:5], s[6:7], v[10:11]
	global_store_b64 v[2:3], v[4:5], off
.LBB1536_13:
	s_or_b32 exec_lo, exec_lo, s1
	v_cmp_le_i32_e64 s0, v6, v7
	s_delay_alu instid0(VALU_DEP_1) | instskip(NEXT) | instid1(SALU_CYCLE_1)
	s_and_b32 s0, vcc_lo, s0
	s_and_saveexec_b32 s1, s0
	s_cbranch_execz .LBB1536_15
; %bb.14:
	v_ashrrev_i32_e32 v7, 31, v6
	s_delay_alu instid0(VALU_DEP_1) | instskip(NEXT) | instid1(VALU_DEP_1)
	v_lshlrev_b64 v[2:3], 3, v[6:7]
	v_add_co_u32 v2, vcc_lo, v8, v2
	s_delay_alu instid0(VALU_DEP_2) | instskip(SKIP_3) | instid1(VALU_DEP_1)
	v_add_co_ci_u32_e32 v3, vcc_lo, v9, v3, vcc_lo
	global_load_b64 v[4:5], v[2:3], off
	s_waitcnt vmcnt(0)
	v_mul_f64 v[4:5], v[4:5], s[16:17]
	v_fma_f64 v[0:1], v[0:1], s[6:7], v[4:5]
	global_store_b64 v[2:3], v[0:1], off
.LBB1536_15:
	s_nop 0
	s_sendmsg sendmsg(MSG_DEALLOC_VGPRS)
	s_endpgm
	.section	.rodata,"a",@progbits
	.p2align	6, 0x0
	.amdhsa_kernel _ZL34rocblas_syrkx_herkx_general_kernelIldLi16ELi32ELi8ELb0ELb0ELc78ELc85EKPKdKPdEviT_T0_PT8_S5_lS8_S5_lS6_PT9_S5_li
		.amdhsa_group_segment_fixed_size 4096
		.amdhsa_private_segment_fixed_size 0
		.amdhsa_kernarg_size 108
		.amdhsa_user_sgpr_count 13
		.amdhsa_user_sgpr_dispatch_ptr 0
		.amdhsa_user_sgpr_queue_ptr 0
		.amdhsa_user_sgpr_kernarg_segment_ptr 1
		.amdhsa_user_sgpr_dispatch_id 0
		.amdhsa_user_sgpr_private_segment_size 0
		.amdhsa_wavefront_size32 1
		.amdhsa_uses_dynamic_stack 0
		.amdhsa_enable_private_segment 0
		.amdhsa_system_sgpr_workgroup_id_x 1
		.amdhsa_system_sgpr_workgroup_id_y 1
		.amdhsa_system_sgpr_workgroup_id_z 1
		.amdhsa_system_sgpr_workgroup_info 0
		.amdhsa_system_vgpr_workitem_id 1
		.amdhsa_next_free_vgpr 44
		.amdhsa_next_free_sgpr 27
		.amdhsa_reserve_vcc 1
		.amdhsa_float_round_mode_32 0
		.amdhsa_float_round_mode_16_64 0
		.amdhsa_float_denorm_mode_32 3
		.amdhsa_float_denorm_mode_16_64 3
		.amdhsa_dx10_clamp 1
		.amdhsa_ieee_mode 1
		.amdhsa_fp16_overflow 0
		.amdhsa_workgroup_processor_mode 1
		.amdhsa_memory_ordered 1
		.amdhsa_forward_progress 0
		.amdhsa_shared_vgpr_count 0
		.amdhsa_exception_fp_ieee_invalid_op 0
		.amdhsa_exception_fp_denorm_src 0
		.amdhsa_exception_fp_ieee_div_zero 0
		.amdhsa_exception_fp_ieee_overflow 0
		.amdhsa_exception_fp_ieee_underflow 0
		.amdhsa_exception_fp_ieee_inexact 0
		.amdhsa_exception_int_div_zero 0
	.end_amdhsa_kernel
	.section	.text._ZL34rocblas_syrkx_herkx_general_kernelIldLi16ELi32ELi8ELb0ELb0ELc78ELc85EKPKdKPdEviT_T0_PT8_S5_lS8_S5_lS6_PT9_S5_li,"axG",@progbits,_ZL34rocblas_syrkx_herkx_general_kernelIldLi16ELi32ELi8ELb0ELb0ELc78ELc85EKPKdKPdEviT_T0_PT8_S5_lS8_S5_lS6_PT9_S5_li,comdat
.Lfunc_end1536:
	.size	_ZL34rocblas_syrkx_herkx_general_kernelIldLi16ELi32ELi8ELb0ELb0ELc78ELc85EKPKdKPdEviT_T0_PT8_S5_lS8_S5_lS6_PT9_S5_li, .Lfunc_end1536-_ZL34rocblas_syrkx_herkx_general_kernelIldLi16ELi32ELi8ELb0ELb0ELc78ELc85EKPKdKPdEviT_T0_PT8_S5_lS8_S5_lS6_PT9_S5_li
                                        ; -- End function
	.section	.AMDGPU.csdata,"",@progbits
; Kernel info:
; codeLenInByte = 1744
; NumSgprs: 29
; NumVgprs: 44
; ScratchSize: 0
; MemoryBound: 0
; FloatMode: 240
; IeeeMode: 1
; LDSByteSize: 4096 bytes/workgroup (compile time only)
; SGPRBlocks: 3
; VGPRBlocks: 5
; NumSGPRsForWavesPerEU: 29
; NumVGPRsForWavesPerEU: 44
; Occupancy: 16
; WaveLimiterHint : 1
; COMPUTE_PGM_RSRC2:SCRATCH_EN: 0
; COMPUTE_PGM_RSRC2:USER_SGPR: 13
; COMPUTE_PGM_RSRC2:TRAP_HANDLER: 0
; COMPUTE_PGM_RSRC2:TGID_X_EN: 1
; COMPUTE_PGM_RSRC2:TGID_Y_EN: 1
; COMPUTE_PGM_RSRC2:TGID_Z_EN: 1
; COMPUTE_PGM_RSRC2:TIDIG_COMP_CNT: 1
	.section	.text._ZL26rocblas_syr2k_scale_kernelIlLi128ELi8ELb0EddPKPdEvbiT_T3_T4_T5_S3_li,"axG",@progbits,_ZL26rocblas_syr2k_scale_kernelIlLi128ELi8ELb0EddPKPdEvbiT_T3_T4_T5_S3_li,comdat
	.globl	_ZL26rocblas_syr2k_scale_kernelIlLi128ELi8ELb0EddPKPdEvbiT_T3_T4_T5_S3_li ; -- Begin function _ZL26rocblas_syr2k_scale_kernelIlLi128ELi8ELb0EddPKPdEvbiT_T3_T4_T5_S3_li
	.p2align	8
	.type	_ZL26rocblas_syr2k_scale_kernelIlLi128ELi8ELb0EddPKPdEvbiT_T3_T4_T5_S3_li,@function
_ZL26rocblas_syr2k_scale_kernelIlLi128ELi8ELb0EddPKPdEvbiT_T3_T4_T5_S3_li: ; @_ZL26rocblas_syr2k_scale_kernelIlLi128ELi8ELb0EddPKPdEvbiT_T3_T4_T5_S3_li
; %bb.0:
	s_load_b256 s[4:11], s[0:1], 0x18
	s_waitcnt lgkmcnt(0)
	v_cmp_eq_f64_e64 s3, s[4:5], 1.0
	s_delay_alu instid0(VALU_DEP_1)
	s_and_b32 vcc_lo, exec_lo, s3
	s_cbranch_vccnz .LBB1537_5
; %bb.1:
	s_clause 0x1
	s_load_b64 s[16:17], s[0:1], 0x0
	s_load_b32 s0, s[0:1], 0x4c
	v_and_b32_e32 v2, 0x3ff, v0
	v_bfe_u32 v3, v0, 10, 10
	s_waitcnt lgkmcnt(0)
	s_bitcmp1_b32 s16, 0
	s_cselect_b32 vcc_lo, -1, 0
	s_lshr_b32 s1, s0, 16
	s_and_b32 s0, s0, 0xffff
	s_delay_alu instid0(SALU_CYCLE_1) | instskip(SKIP_1) | instid1(VALU_DEP_1)
	v_mad_u64_u32 v[0:1], null, s13, s0, v[2:3]
	v_mad_u64_u32 v[1:2], null, s14, s1, v[3:4]
	v_cndmask_b32_e32 v2, v1, v0, vcc_lo
	v_max_u32_e32 v3, v0, v1
	v_cndmask_b32_e32 v4, v0, v1, vcc_lo
	s_delay_alu instid0(VALU_DEP_2) | instskip(NEXT) | instid1(VALU_DEP_2)
	v_cmp_gt_u32_e32 vcc_lo, s17, v3
	v_cmp_le_i32_e64 s0, v2, v4
	s_delay_alu instid0(VALU_DEP_1) | instskip(NEXT) | instid1(SALU_CYCLE_1)
	s_and_b32 s0, vcc_lo, s0
	s_and_saveexec_b32 s1, s0
	s_cbranch_execz .LBB1537_5
; %bb.2:
	s_mov_b32 s2, s15
	s_mov_b32 s3, 0
	v_mad_u64_u32 v[2:3], null, v1, s8, 0
	v_cmp_eq_f64_e64 s8, s[4:5], 0
	s_lshl_b64 s[0:1], s[2:3], 3
	s_delay_alu instid0(SALU_CYCLE_1) | instskip(SKIP_3) | instid1(VALU_DEP_2)
	s_add_u32 s0, s6, s0
	s_addc_u32 s1, s7, s1
	s_lshl_b64 s[2:3], s[10:11], 3
	s_load_b64 s[0:1], s[0:1], 0x0
	v_mad_u64_u32 v[4:5], null, v1, s9, v[3:4]
	v_mov_b32_e32 v1, 0
	s_delay_alu instid0(VALU_DEP_1) | instskip(NEXT) | instid1(VALU_DEP_3)
	v_lshlrev_b64 v[0:1], 3, v[0:1]
	v_mov_b32_e32 v3, v4
	s_delay_alu instid0(VALU_DEP_1) | instskip(SKIP_3) | instid1(VALU_DEP_1)
	v_lshlrev_b64 v[2:3], 3, v[2:3]
	s_waitcnt lgkmcnt(0)
	s_add_u32 s0, s0, s2
	s_addc_u32 s1, s1, s3
	v_add_co_u32 v2, vcc_lo, s0, v2
	s_delay_alu instid0(VALU_DEP_2) | instskip(NEXT) | instid1(VALU_DEP_2)
	v_add_co_ci_u32_e32 v3, vcc_lo, s1, v3, vcc_lo
	v_add_co_u32 v0, vcc_lo, v2, v0
	s_delay_alu instid0(VALU_DEP_2)
	v_add_co_ci_u32_e32 v1, vcc_lo, v3, v1, vcc_lo
	v_mov_b32_e32 v2, 0
	v_mov_b32_e32 v3, 0
	s_and_b32 vcc_lo, exec_lo, s8
	s_cbranch_vccnz .LBB1537_4
; %bb.3:
	global_load_b64 v[2:3], v[0:1], off
	s_waitcnt vmcnt(0)
	v_mul_f64 v[2:3], v[2:3], s[4:5]
.LBB1537_4:
	global_store_b64 v[0:1], v[2:3], off
.LBB1537_5:
	s_nop 0
	s_sendmsg sendmsg(MSG_DEALLOC_VGPRS)
	s_endpgm
	.section	.rodata,"a",@progbits
	.p2align	6, 0x0
	.amdhsa_kernel _ZL26rocblas_syr2k_scale_kernelIlLi128ELi8ELb0EddPKPdEvbiT_T3_T4_T5_S3_li
		.amdhsa_group_segment_fixed_size 0
		.amdhsa_private_segment_fixed_size 0
		.amdhsa_kernarg_size 320
		.amdhsa_user_sgpr_count 13
		.amdhsa_user_sgpr_dispatch_ptr 0
		.amdhsa_user_sgpr_queue_ptr 0
		.amdhsa_user_sgpr_kernarg_segment_ptr 1
		.amdhsa_user_sgpr_dispatch_id 0
		.amdhsa_user_sgpr_private_segment_size 0
		.amdhsa_wavefront_size32 1
		.amdhsa_uses_dynamic_stack 0
		.amdhsa_enable_private_segment 0
		.amdhsa_system_sgpr_workgroup_id_x 1
		.amdhsa_system_sgpr_workgroup_id_y 1
		.amdhsa_system_sgpr_workgroup_id_z 1
		.amdhsa_system_sgpr_workgroup_info 0
		.amdhsa_system_vgpr_workitem_id 1
		.amdhsa_next_free_vgpr 6
		.amdhsa_next_free_sgpr 18
		.amdhsa_reserve_vcc 1
		.amdhsa_float_round_mode_32 0
		.amdhsa_float_round_mode_16_64 0
		.amdhsa_float_denorm_mode_32 3
		.amdhsa_float_denorm_mode_16_64 3
		.amdhsa_dx10_clamp 1
		.amdhsa_ieee_mode 1
		.amdhsa_fp16_overflow 0
		.amdhsa_workgroup_processor_mode 1
		.amdhsa_memory_ordered 1
		.amdhsa_forward_progress 0
		.amdhsa_shared_vgpr_count 0
		.amdhsa_exception_fp_ieee_invalid_op 0
		.amdhsa_exception_fp_denorm_src 0
		.amdhsa_exception_fp_ieee_div_zero 0
		.amdhsa_exception_fp_ieee_overflow 0
		.amdhsa_exception_fp_ieee_underflow 0
		.amdhsa_exception_fp_ieee_inexact 0
		.amdhsa_exception_int_div_zero 0
	.end_amdhsa_kernel
	.section	.text._ZL26rocblas_syr2k_scale_kernelIlLi128ELi8ELb0EddPKPdEvbiT_T3_T4_T5_S3_li,"axG",@progbits,_ZL26rocblas_syr2k_scale_kernelIlLi128ELi8ELb0EddPKPdEvbiT_T3_T4_T5_S3_li,comdat
.Lfunc_end1537:
	.size	_ZL26rocblas_syr2k_scale_kernelIlLi128ELi8ELb0EddPKPdEvbiT_T3_T4_T5_S3_li, .Lfunc_end1537-_ZL26rocblas_syr2k_scale_kernelIlLi128ELi8ELb0EddPKPdEvbiT_T3_T4_T5_S3_li
                                        ; -- End function
	.section	.AMDGPU.csdata,"",@progbits
; Kernel info:
; codeLenInByte = 348
; NumSgprs: 20
; NumVgprs: 6
; ScratchSize: 0
; MemoryBound: 1
; FloatMode: 240
; IeeeMode: 1
; LDSByteSize: 0 bytes/workgroup (compile time only)
; SGPRBlocks: 2
; VGPRBlocks: 0
; NumSGPRsForWavesPerEU: 20
; NumVGPRsForWavesPerEU: 6
; Occupancy: 16
; WaveLimiterHint : 1
; COMPUTE_PGM_RSRC2:SCRATCH_EN: 0
; COMPUTE_PGM_RSRC2:USER_SGPR: 13
; COMPUTE_PGM_RSRC2:TRAP_HANDLER: 0
; COMPUTE_PGM_RSRC2:TGID_X_EN: 1
; COMPUTE_PGM_RSRC2:TGID_Y_EN: 1
; COMPUTE_PGM_RSRC2:TGID_Z_EN: 1
; COMPUTE_PGM_RSRC2:TIDIG_COMP_CNT: 1
	.section	.text._ZL26rocblas_syr2k_her2k_kernelIlLb0ELb0ELb0ELi32EPKdPKS1_PKPdEvbiT_T4_T5_S7_lS9_S7_lT6_S7_li,"axG",@progbits,_ZL26rocblas_syr2k_her2k_kernelIlLb0ELb0ELb0ELi32EPKdPKS1_PKPdEvbiT_T4_T5_S7_lS9_S7_lT6_S7_li,comdat
	.globl	_ZL26rocblas_syr2k_her2k_kernelIlLb0ELb0ELb0ELi32EPKdPKS1_PKPdEvbiT_T4_T5_S7_lS9_S7_lT6_S7_li ; -- Begin function _ZL26rocblas_syr2k_her2k_kernelIlLb0ELb0ELb0ELi32EPKdPKS1_PKPdEvbiT_T4_T5_S7_lS9_S7_lT6_S7_li
	.p2align	8
	.type	_ZL26rocblas_syr2k_her2k_kernelIlLb0ELb0ELb0ELi32EPKdPKS1_PKPdEvbiT_T4_T5_S7_lS9_S7_lT6_S7_li,@function
_ZL26rocblas_syr2k_her2k_kernelIlLb0ELb0ELb0ELi32EPKdPKS1_PKPdEvbiT_T4_T5_S7_lS9_S7_lT6_S7_li: ; @_ZL26rocblas_syr2k_her2k_kernelIlLb0ELb0ELb0ELi32EPKdPKS1_PKPdEvbiT_T4_T5_S7_lS9_S7_lT6_S7_li
; %bb.0:
	s_load_b512 s[16:31], s[0:1], 0x8
	s_waitcnt lgkmcnt(0)
	s_load_b64 s[8:9], s[18:19], 0x0
	s_waitcnt lgkmcnt(0)
	v_cmp_eq_f64_e64 s2, s[8:9], 0
	s_delay_alu instid0(VALU_DEP_1)
	s_and_b32 vcc_lo, exec_lo, s2
	s_cbranch_vccnz .LBB1538_11
; %bb.1:
	s_load_b64 s[2:3], s[0:1], 0x0
	s_lshl_b32 s12, s14, 5
	s_lshl_b32 s13, s13, 5
	s_waitcnt lgkmcnt(0)
	s_and_b32 s2, 1, s2
	s_delay_alu instid0(SALU_CYCLE_1) | instskip(SKIP_1) | instid1(SALU_CYCLE_1)
	s_cmp_eq_u32 s2, 1
	s_cselect_b32 s2, -1, 0
	s_and_b32 s4, s2, exec_lo
	s_cselect_b32 s4, s13, s12
	s_cselect_b32 s5, s12, s13
	s_delay_alu instid0(SALU_CYCLE_1)
	s_cmp_gt_i32 s4, s5
	s_cbranch_scc1 .LBB1538_11
; %bb.2:
	v_cmp_lt_i64_e64 s4, s[16:17], 1
	s_delay_alu instid0(VALU_DEP_1)
	s_and_b32 vcc_lo, exec_lo, s4
	s_cbranch_vccnz .LBB1538_11
; %bb.3:
	s_clause 0x1
	s_load_b128 s[4:7], s[0:1], 0x48
	s_load_b64 s[0:1], s[0:1], 0x58
	v_bfe_u32 v10, v0, 10, 10
	v_and_b32_e32 v11, 0x3ff, v0
	v_mov_b32_e32 v3, 0
	s_mov_b32 s10, s15
	s_mov_b32 s11, 0
	v_add_nc_u32_e32 v4, s12, v10
	s_delay_alu instid0(VALU_DEP_2) | instskip(SKIP_2) | instid1(VALU_DEP_2)
	v_dual_mov_b32 v5, v3 :: v_dual_add_nc_u32 v2, s13, v11
	s_lshl_b64 s[10:11], s[10:11], 3
	v_mad_u64_u32 v[6:7], null, s22, v10, 0
	v_cndmask_b32_e64 v16, v2, v4, s2
	v_cndmask_b32_e64 v17, v4, v2, s2
	s_add_u32 s18, s20, s10
	s_addc_u32 s19, s21, s11
	s_add_u32 s12, s26, s10
	s_addc_u32 s13, s27, s11
	v_lshlrev_b32_e32 v8, 3, v10
	s_waitcnt lgkmcnt(0)
	s_add_u32 s4, s4, s10
	v_ashrrev_i32_e32 v9, 31, v4
	v_cmp_le_i32_e64 s2, v17, v16
	v_mov_b32_e32 v16, v2
	v_lshlrev_b32_e32 v12, 8, v11
	s_addc_u32 s5, s5, s11
	v_mad_u64_u32 v[0:1], null, s28, v11, 0
	s_load_b64 s[4:5], s[4:5], 0x0
	s_delay_alu instid0(VALU_DEP_2)
	v_add_nc_u32_e32 v13, v12, v8
	v_or_b32_e32 v14, 0x2000, v8
	v_mul_lo_u32 v19, v9, s6
	v_mul_lo_u32 v20, v4, s7
	v_mad_u64_u32 v[8:9], null, v4, s6, 0
	v_max_i32_e32 v18, v2, v4
	v_ashrrev_i32_e32 v17, 31, v2
	s_lshl_b64 s[0:1], s[0:1], 3
	s_load_b64 s[18:19], s[18:19], 0x0
	s_load_b64 s[12:13], s[12:13], 0x0
	s_mov_b32 s14, s3
	v_cmp_gt_i32_e32 vcc_lo, s3, v18
	v_add3_u32 v9, v9, v20, v19
	v_mad_u64_u32 v[18:19], null, s29, v11, v[1:2]
	v_mov_b32_e32 v1, v7
	v_lshlrev_b64 v[16:17], 3, v[16:17]
	s_delay_alu instid0(VALU_DEP_4)
	v_lshlrev_b64 v[7:8], 3, v[8:9]
	s_mov_b64 s[6:7], 0
	s_waitcnt lgkmcnt(0)
	s_add_u32 s4, s4, s0
	v_mad_u64_u32 v[19:20], null, s23, v10, v[1:2]
	v_mov_b32_e32 v1, v18
	s_addc_u32 s5, s5, s1
	s_and_b32 s10, s2, vcc_lo
	v_add_co_u32 v18, vcc_lo, s4, v7
	v_add_co_ci_u32_e32 v20, vcc_lo, s5, v8, vcc_lo
	s_delay_alu instid0(VALU_DEP_4) | instskip(SKIP_1) | instid1(VALU_DEP_4)
	v_mov_b32_e32 v7, v19
	v_lshlrev_b64 v[8:9], 3, v[0:1]
	v_add_co_u32 v0, vcc_lo, v18, v16
	v_add_nc_u32_e32 v16, 0x800, v14
	s_ashr_i32 s15, s3, 31
	s_lshl_b64 s[2:3], s[30:31], 3
	v_lshlrev_b64 v[6:7], 3, v[6:7]
	v_add_co_ci_u32_e32 v1, vcc_lo, v20, v17, vcc_lo
	v_add_co_u32 v8, vcc_lo, v8, s2
	v_cmp_gt_i64_e64 s1, s[14:15], v[4:5]
	v_lshlrev_b64 v[4:5], 3, v[4:5]
	v_add_co_ci_u32_e32 v9, vcc_lo, s3, v9, vcc_lo
	s_lshl_b64 s[2:3], s[24:25], 3
	v_cmp_gt_i64_e64 s0, s[14:15], v[2:3]
	v_add_co_u32 v6, vcc_lo, v6, s2
	v_lshlrev_b64 v[2:3], 3, v[2:3]
	v_add_co_ci_u32_e32 v7, vcc_lo, s3, v7, vcc_lo
	v_add_co_u32 v4, vcc_lo, v8, v4
	v_add_co_ci_u32_e32 v5, vcc_lo, v9, v5, vcc_lo
	s_delay_alu instid0(VALU_DEP_4) | instskip(NEXT) | instid1(VALU_DEP_4)
	v_add_co_u32 v6, vcc_lo, v6, v2
	v_add_co_ci_u32_e32 v7, vcc_lo, v7, v3, vcc_lo
	s_delay_alu instid0(VALU_DEP_4) | instskip(NEXT) | instid1(VALU_DEP_4)
	v_add_co_u32 v2, vcc_lo, s12, v4
	v_add_co_ci_u32_e32 v3, vcc_lo, s13, v5, vcc_lo
	s_delay_alu instid0(VALU_DEP_4)
	v_add_co_u32 v4, vcc_lo, s18, v6
	v_add_nc_u32_e32 v15, v14, v12
	v_add_co_ci_u32_e32 v5, vcc_lo, s19, v7, vcc_lo
	v_add_nc_u32_e32 v17, 0x1000, v14
	v_add_nc_u32_e32 v18, 0x1800, v14
	s_lshl_b64 s[2:3], s[28:29], 8
	s_lshl_b64 s[4:5], s[22:23], 8
	s_branch .LBB1538_5
.LBB1538_4:                             ;   in Loop: Header=BB1538_5 Depth=1
	s_or_b32 exec_lo, exec_lo, s11
	s_add_u32 s6, s6, 32
	s_addc_u32 s7, s7, 0
	v_add_co_u32 v2, vcc_lo, v2, s2
	v_cmp_lt_i64_e64 s11, s[6:7], s[16:17]
	v_add_co_ci_u32_e32 v3, vcc_lo, s3, v3, vcc_lo
	v_add_co_u32 v4, vcc_lo, v4, s4
	v_add_co_ci_u32_e32 v5, vcc_lo, s5, v5, vcc_lo
	s_delay_alu instid0(VALU_DEP_4)
	s_and_b32 vcc_lo, exec_lo, s11
	s_waitcnt_vscnt null, 0x0
	s_barrier
	buffer_gl0_inv
	s_cbranch_vccz .LBB1538_11
.LBB1538_5:                             ; =>This Inner Loop Header: Depth=1
	v_add_co_u32 v8, s11, v10, s6
	s_delay_alu instid0(VALU_DEP_1) | instskip(SKIP_2) | instid1(VALU_DEP_3)
	v_add_co_ci_u32_e64 v9, null, 0, s7, s11
	v_mov_b32_e32 v6, 0
	v_mov_b32_e32 v7, 0
	v_cmp_gt_i64_e32 vcc_lo, s[16:17], v[8:9]
	s_delay_alu instid0(VALU_DEP_2) | instskip(SKIP_1) | instid1(SALU_CYCLE_1)
	v_dual_mov_b32 v9, v7 :: v_dual_mov_b32 v8, v6
	s_and_b32 s12, s0, vcc_lo
	s_and_saveexec_b32 s11, s12
	s_cbranch_execz .LBB1538_7
; %bb.6:                                ;   in Loop: Header=BB1538_5 Depth=1
	global_load_b64 v[8:9], v[4:5], off
.LBB1538_7:                             ;   in Loop: Header=BB1538_5 Depth=1
	s_or_b32 exec_lo, exec_lo, s11
	v_add_co_u32 v19, s11, v11, s6
	s_delay_alu instid0(VALU_DEP_1) | instskip(SKIP_4) | instid1(SALU_CYCLE_1)
	v_add_co_ci_u32_e64 v20, null, 0, s7, s11
	s_waitcnt vmcnt(0)
	ds_store_b64 v13, v[8:9]
	v_cmp_gt_i64_e32 vcc_lo, s[16:17], v[19:20]
	s_and_b32 s12, s1, vcc_lo
	s_and_saveexec_b32 s11, s12
	s_cbranch_execz .LBB1538_9
; %bb.8:                                ;   in Loop: Header=BB1538_5 Depth=1
	global_load_b64 v[6:7], v[2:3], off
.LBB1538_9:                             ;   in Loop: Header=BB1538_5 Depth=1
	s_or_b32 exec_lo, exec_lo, s11
	s_waitcnt vmcnt(0)
	ds_store_b64 v15, v[6:7]
	s_waitcnt lgkmcnt(0)
	s_barrier
	buffer_gl0_inv
	s_and_saveexec_b32 s11, s10
	s_cbranch_execz .LBB1538_4
; %bb.10:                               ;   in Loop: Header=BB1538_5 Depth=1
	ds_load_2addr_b64 v[6:9], v14 offset1:32
	ds_load_b128 v[19:22], v12
	ds_load_b128 v[23:26], v12 offset:16
	s_waitcnt lgkmcnt(1)
	v_fma_f64 v[6:7], v[19:20], v[6:7], 0
	s_delay_alu instid0(VALU_DEP_1) | instskip(SKIP_3) | instid1(VALU_DEP_1)
	v_fma_f64 v[19:20], v[21:22], v[8:9], v[6:7]
	ds_load_2addr_b64 v[6:9], v14 offset0:64 offset1:96
	s_waitcnt lgkmcnt(0)
	v_fma_f64 v[6:7], v[23:24], v[6:7], v[19:20]
	v_fma_f64 v[27:28], v[25:26], v[8:9], v[6:7]
	ds_load_2addr_b64 v[6:9], v14 offset0:128 offset1:160
	ds_load_b128 v[19:22], v12 offset:32
	ds_load_b128 v[23:26], v12 offset:48
	s_waitcnt lgkmcnt(1)
	v_fma_f64 v[6:7], v[19:20], v[6:7], v[27:28]
	s_delay_alu instid0(VALU_DEP_1) | instskip(SKIP_3) | instid1(VALU_DEP_1)
	v_fma_f64 v[19:20], v[21:22], v[8:9], v[6:7]
	ds_load_2addr_b64 v[6:9], v14 offset0:192 offset1:224
	s_waitcnt lgkmcnt(0)
	v_fma_f64 v[6:7], v[23:24], v[6:7], v[19:20]
	v_fma_f64 v[27:28], v[25:26], v[8:9], v[6:7]
	ds_load_2addr_b64 v[6:9], v16 offset1:32
	ds_load_b128 v[19:22], v12 offset:64
	ds_load_b128 v[23:26], v12 offset:80
	s_waitcnt lgkmcnt(1)
	v_fma_f64 v[6:7], v[19:20], v[6:7], v[27:28]
	s_delay_alu instid0(VALU_DEP_1) | instskip(SKIP_3) | instid1(VALU_DEP_1)
	v_fma_f64 v[19:20], v[21:22], v[8:9], v[6:7]
	ds_load_2addr_b64 v[6:9], v16 offset0:64 offset1:96
	s_waitcnt lgkmcnt(0)
	v_fma_f64 v[6:7], v[23:24], v[6:7], v[19:20]
	v_fma_f64 v[27:28], v[25:26], v[8:9], v[6:7]
	ds_load_2addr_b64 v[6:9], v16 offset0:128 offset1:160
	ds_load_b128 v[19:22], v12 offset:96
	ds_load_b128 v[23:26], v12 offset:112
	s_waitcnt lgkmcnt(1)
	v_fma_f64 v[6:7], v[19:20], v[6:7], v[27:28]
	s_delay_alu instid0(VALU_DEP_1) | instskip(SKIP_3) | instid1(VALU_DEP_1)
	v_fma_f64 v[19:20], v[21:22], v[8:9], v[6:7]
	ds_load_2addr_b64 v[6:9], v16 offset0:192 offset1:224
	s_waitcnt lgkmcnt(0)
	v_fma_f64 v[6:7], v[23:24], v[6:7], v[19:20]
	v_fma_f64 v[27:28], v[25:26], v[8:9], v[6:7]
	ds_load_2addr_b64 v[6:9], v17 offset1:32
	ds_load_b128 v[19:22], v12 offset:128
	;; [unrolled: 22-line block ×3, first 2 shown]
	global_load_b64 v[29:30], v[0:1], off
	ds_load_b128 v[23:26], v12 offset:208
	s_waitcnt lgkmcnt(1)
	v_fma_f64 v[6:7], v[19:20], v[6:7], v[27:28]
	s_delay_alu instid0(VALU_DEP_1) | instskip(SKIP_3) | instid1(VALU_DEP_1)
	v_fma_f64 v[19:20], v[21:22], v[8:9], v[6:7]
	ds_load_2addr_b64 v[6:9], v18 offset0:64 offset1:96
	s_waitcnt lgkmcnt(0)
	v_fma_f64 v[6:7], v[23:24], v[6:7], v[19:20]
	v_fma_f64 v[27:28], v[25:26], v[8:9], v[6:7]
	ds_load_2addr_b64 v[6:9], v18 offset0:128 offset1:160
	ds_load_b128 v[19:22], v12 offset:224
	ds_load_b128 v[23:26], v12 offset:240
	s_waitcnt lgkmcnt(1)
	v_fma_f64 v[6:7], v[19:20], v[6:7], v[27:28]
	s_delay_alu instid0(VALU_DEP_1) | instskip(SKIP_3) | instid1(VALU_DEP_1)
	v_fma_f64 v[19:20], v[21:22], v[8:9], v[6:7]
	ds_load_2addr_b64 v[6:9], v18 offset0:192 offset1:224
	s_waitcnt lgkmcnt(0)
	v_fma_f64 v[6:7], v[23:24], v[6:7], v[19:20]
	v_fma_f64 v[6:7], v[25:26], v[8:9], v[6:7]
	s_waitcnt vmcnt(0)
	s_delay_alu instid0(VALU_DEP_1)
	v_fma_f64 v[6:7], s[8:9], v[6:7], v[29:30]
	global_store_b64 v[0:1], v[6:7], off
	s_branch .LBB1538_4
.LBB1538_11:
	s_endpgm
	.section	.rodata,"a",@progbits
	.p2align	6, 0x0
	.amdhsa_kernel _ZL26rocblas_syr2k_her2k_kernelIlLb0ELb0ELb0ELi32EPKdPKS1_PKPdEvbiT_T4_T5_S7_lS9_S7_lT6_S7_li
		.amdhsa_group_segment_fixed_size 16384
		.amdhsa_private_segment_fixed_size 0
		.amdhsa_kernarg_size 100
		.amdhsa_user_sgpr_count 13
		.amdhsa_user_sgpr_dispatch_ptr 0
		.amdhsa_user_sgpr_queue_ptr 0
		.amdhsa_user_sgpr_kernarg_segment_ptr 1
		.amdhsa_user_sgpr_dispatch_id 0
		.amdhsa_user_sgpr_private_segment_size 0
		.amdhsa_wavefront_size32 1
		.amdhsa_uses_dynamic_stack 0
		.amdhsa_enable_private_segment 0
		.amdhsa_system_sgpr_workgroup_id_x 1
		.amdhsa_system_sgpr_workgroup_id_y 1
		.amdhsa_system_sgpr_workgroup_id_z 1
		.amdhsa_system_sgpr_workgroup_info 0
		.amdhsa_system_vgpr_workitem_id 1
		.amdhsa_next_free_vgpr 31
		.amdhsa_next_free_sgpr 32
		.amdhsa_reserve_vcc 1
		.amdhsa_float_round_mode_32 0
		.amdhsa_float_round_mode_16_64 0
		.amdhsa_float_denorm_mode_32 3
		.amdhsa_float_denorm_mode_16_64 3
		.amdhsa_dx10_clamp 1
		.amdhsa_ieee_mode 1
		.amdhsa_fp16_overflow 0
		.amdhsa_workgroup_processor_mode 1
		.amdhsa_memory_ordered 1
		.amdhsa_forward_progress 0
		.amdhsa_shared_vgpr_count 0
		.amdhsa_exception_fp_ieee_invalid_op 0
		.amdhsa_exception_fp_denorm_src 0
		.amdhsa_exception_fp_ieee_div_zero 0
		.amdhsa_exception_fp_ieee_overflow 0
		.amdhsa_exception_fp_ieee_underflow 0
		.amdhsa_exception_fp_ieee_inexact 0
		.amdhsa_exception_int_div_zero 0
	.end_amdhsa_kernel
	.section	.text._ZL26rocblas_syr2k_her2k_kernelIlLb0ELb0ELb0ELi32EPKdPKS1_PKPdEvbiT_T4_T5_S7_lS9_S7_lT6_S7_li,"axG",@progbits,_ZL26rocblas_syr2k_her2k_kernelIlLb0ELb0ELb0ELi32EPKdPKS1_PKPdEvbiT_T4_T5_S7_lS9_S7_lT6_S7_li,comdat
.Lfunc_end1538:
	.size	_ZL26rocblas_syr2k_her2k_kernelIlLb0ELb0ELb0ELi32EPKdPKS1_PKPdEvbiT_T4_T5_S7_lS9_S7_lT6_S7_li, .Lfunc_end1538-_ZL26rocblas_syr2k_her2k_kernelIlLb0ELb0ELb0ELi32EPKdPKS1_PKPdEvbiT_T4_T5_S7_lS9_S7_lT6_S7_li
                                        ; -- End function
	.section	.AMDGPU.csdata,"",@progbits
; Kernel info:
; codeLenInByte = 1532
; NumSgprs: 34
; NumVgprs: 31
; ScratchSize: 0
; MemoryBound: 0
; FloatMode: 240
; IeeeMode: 1
; LDSByteSize: 16384 bytes/workgroup (compile time only)
; SGPRBlocks: 4
; VGPRBlocks: 3
; NumSGPRsForWavesPerEU: 34
; NumVGPRsForWavesPerEU: 31
; Occupancy: 16
; WaveLimiterHint : 1
; COMPUTE_PGM_RSRC2:SCRATCH_EN: 0
; COMPUTE_PGM_RSRC2:USER_SGPR: 13
; COMPUTE_PGM_RSRC2:TRAP_HANDLER: 0
; COMPUTE_PGM_RSRC2:TGID_X_EN: 1
; COMPUTE_PGM_RSRC2:TGID_Y_EN: 1
; COMPUTE_PGM_RSRC2:TGID_Z_EN: 1
; COMPUTE_PGM_RSRC2:TIDIG_COMP_CNT: 1
	.section	.text._ZL26rocblas_syr2k_her2k_kernelIlLb0ELb0ELb1ELi32EPKdPKS1_PKPdEvbiT_T4_T5_S7_lS9_S7_lT6_S7_li,"axG",@progbits,_ZL26rocblas_syr2k_her2k_kernelIlLb0ELb0ELb1ELi32EPKdPKS1_PKPdEvbiT_T4_T5_S7_lS9_S7_lT6_S7_li,comdat
	.globl	_ZL26rocblas_syr2k_her2k_kernelIlLb0ELb0ELb1ELi32EPKdPKS1_PKPdEvbiT_T4_T5_S7_lS9_S7_lT6_S7_li ; -- Begin function _ZL26rocblas_syr2k_her2k_kernelIlLb0ELb0ELb1ELi32EPKdPKS1_PKPdEvbiT_T4_T5_S7_lS9_S7_lT6_S7_li
	.p2align	8
	.type	_ZL26rocblas_syr2k_her2k_kernelIlLb0ELb0ELb1ELi32EPKdPKS1_PKPdEvbiT_T4_T5_S7_lS9_S7_lT6_S7_li,@function
_ZL26rocblas_syr2k_her2k_kernelIlLb0ELb0ELb1ELi32EPKdPKS1_PKPdEvbiT_T4_T5_S7_lS9_S7_lT6_S7_li: ; @_ZL26rocblas_syr2k_her2k_kernelIlLb0ELb0ELb1ELi32EPKdPKS1_PKPdEvbiT_T4_T5_S7_lS9_S7_lT6_S7_li
; %bb.0:
	s_load_b512 s[16:31], s[0:1], 0x8
	s_waitcnt lgkmcnt(0)
	s_load_b64 s[8:9], s[18:19], 0x0
	s_waitcnt lgkmcnt(0)
	v_cmp_eq_f64_e64 s2, s[8:9], 0
	s_delay_alu instid0(VALU_DEP_1)
	s_and_b32 vcc_lo, exec_lo, s2
	s_cbranch_vccnz .LBB1539_11
; %bb.1:
	s_load_b64 s[2:3], s[0:1], 0x0
	s_lshl_b32 s12, s14, 5
	s_lshl_b32 s13, s13, 5
	s_waitcnt lgkmcnt(0)
	s_and_b32 s2, 1, s2
	s_delay_alu instid0(SALU_CYCLE_1) | instskip(SKIP_1) | instid1(SALU_CYCLE_1)
	s_cmp_eq_u32 s2, 1
	s_cselect_b32 s2, -1, 0
	s_and_b32 s4, s2, exec_lo
	s_cselect_b32 s4, s13, s12
	s_cselect_b32 s5, s12, s13
	s_delay_alu instid0(SALU_CYCLE_1)
	s_cmp_gt_i32 s4, s5
	s_cbranch_scc1 .LBB1539_11
; %bb.2:
	v_cmp_lt_i64_e64 s4, s[16:17], 1
	s_delay_alu instid0(VALU_DEP_1)
	s_and_b32 vcc_lo, exec_lo, s4
	s_cbranch_vccnz .LBB1539_11
; %bb.3:
	s_clause 0x1
	s_load_b128 s[4:7], s[0:1], 0x48
	s_load_b64 s[0:1], s[0:1], 0x58
	s_mov_b32 s10, s15
	s_mov_b32 s11, 0
	v_bfe_u32 v10, v0, 10, 10
	v_and_b32_e32 v11, 0x3ff, v0
	s_lshl_b64 s[10:11], s[10:11], 3
	v_mov_b32_e32 v1, 0
	s_add_u32 s18, s20, s10
	v_add_nc_u32_e32 v2, s12, v10
	s_addc_u32 s19, s21, s11
	s_add_u32 s12, s26, s10
	v_dual_mov_b32 v3, v1 :: v_dual_add_nc_u32 v0, s13, v11
	s_addc_u32 s13, s27, s11
	v_ashrrev_i32_e32 v8, 31, v2
	v_mad_u64_u32 v[4:5], null, s28, v2, 0
	s_delay_alu instid0(VALU_DEP_3)
	v_mad_u64_u32 v[6:7], null, s22, v0, 0
	s_waitcnt lgkmcnt(0)
	s_add_u32 s4, s4, s10
	s_addc_u32 s5, s5, s11
	s_load_b64 s[10:11], s[18:19], 0x0
	s_load_b64 s[4:5], s[4:5], 0x0
	;; [unrolled: 1-line block ×3, first 2 shown]
	v_mul_lo_u32 v17, v8, s6
	v_mul_lo_u32 v21, v2, s7
	v_mad_u64_u32 v[8:9], null, v2, s6, 0
	v_max_i32_e32 v16, v0, v2
	s_lshl_b64 s[0:1], s[0:1], 3
	s_mov_b32 s14, s3
	v_cndmask_b32_e64 v18, v0, v2, s2
	v_cndmask_b32_e64 v20, v2, v0, s2
	v_cmp_gt_i32_e32 vcc_lo, s3, v16
	v_add3_u32 v9, v9, v21, v17
	v_mad_u64_u32 v[16:17], null, s29, v2, v[5:6]
	s_delay_alu instid0(VALU_DEP_4)
	v_cmp_le_i32_e64 s2, v20, v18
	v_lshlrev_b32_e32 v19, 3, v10
	s_waitcnt lgkmcnt(0)
	s_add_u32 s4, s4, s0
	s_addc_u32 s5, s5, s1
	s_ashr_i32 s15, s3, 31
	s_delay_alu instid0(VALU_DEP_3)
	v_mov_b32_e32 v5, v16
	v_cmp_gt_i64_e64 s1, s[14:15], v[2:3]
	v_mov_b32_e32 v2, v7
	v_cmp_gt_i64_e64 s0, s[14:15], v[0:1]
	v_ashrrev_i32_e32 v1, 31, v0
	v_lshlrev_b64 v[7:8], 3, v[8:9]
	v_lshlrev_b32_e32 v12, 8, v11
	v_mad_u64_u32 v[17:18], null, s23, v0, v[2:3]
	s_delay_alu instid0(VALU_DEP_4) | instskip(SKIP_2) | instid1(VALU_DEP_1)
	v_lshlrev_b64 v[0:1], 3, v[0:1]
	v_lshlrev_b64 v[2:3], 3, v[4:5]
	v_add_co_u32 v9, s3, s4, v7
	v_add_co_ci_u32_e64 v8, s3, s5, v8, s3
	v_mov_b32_e32 v7, v17
	s_delay_alu instid0(VALU_DEP_3) | instskip(SKIP_1) | instid1(VALU_DEP_3)
	v_add_co_u32 v0, s3, v9, v0
	s_lshl_b64 s[4:5], s[30:31], 3
	v_add_co_ci_u32_e64 v1, s3, v8, v1, s3
	s_delay_alu instid0(VALU_DEP_3) | instskip(SKIP_2) | instid1(VALU_DEP_1)
	v_lshlrev_b64 v[4:5], 3, v[6:7]
	v_lshlrev_b32_e32 v6, 3, v11
	v_add_co_u32 v2, s3, v2, s4
	v_add_co_ci_u32_e64 v3, s3, s5, v3, s3
	s_lshl_b64 s[4:5], s[24:25], 3
	v_or_b32_e32 v14, 0x2000, v19
	v_add_co_u32 v4, s3, v4, s4
	s_delay_alu instid0(VALU_DEP_1) | instskip(SKIP_1) | instid1(VALU_DEP_1)
	v_add_co_ci_u32_e64 v5, s3, s5, v5, s3
	v_add_co_u32 v2, s3, v2, v6
	v_add_co_ci_u32_e64 v3, s3, 0, v3, s3
	s_delay_alu instid0(VALU_DEP_4) | instskip(NEXT) | instid1(VALU_DEP_1)
	v_add_co_u32 v4, s3, v4, v19
	v_add_co_ci_u32_e64 v5, s3, 0, v5, s3
	s_delay_alu instid0(VALU_DEP_4) | instskip(NEXT) | instid1(VALU_DEP_1)
	v_add_co_u32 v2, s3, s12, v2
	v_add_co_ci_u32_e64 v3, s3, s13, v3, s3
	s_delay_alu instid0(VALU_DEP_4)
	v_add_co_u32 v4, s3, s10, v4
	v_add_nc_u32_e32 v13, v12, v19
	v_add_nc_u32_e32 v15, v14, v12
	v_add_co_ci_u32_e64 v5, s3, s11, v5, s3
	v_add_nc_u32_e32 v16, 0x800, v14
	v_add_nc_u32_e32 v17, 0x1000, v14
	;; [unrolled: 1-line block ×3, first 2 shown]
	s_and_b32 s4, s2, vcc_lo
	s_mov_b64 s[2:3], 0
	s_branch .LBB1539_5
.LBB1539_4:                             ;   in Loop: Header=BB1539_5 Depth=1
	s_or_b32 exec_lo, exec_lo, s5
	s_add_u32 s2, s2, 32
	s_addc_u32 s3, s3, 0
	v_add_co_u32 v2, vcc_lo, 0x100, v2
	v_cmp_lt_i64_e64 s5, s[2:3], s[16:17]
	v_add_co_ci_u32_e32 v3, vcc_lo, 0, v3, vcc_lo
	v_add_co_u32 v4, vcc_lo, 0x100, v4
	v_add_co_ci_u32_e32 v5, vcc_lo, 0, v5, vcc_lo
	s_delay_alu instid0(VALU_DEP_4)
	s_and_b32 vcc_lo, exec_lo, s5
	s_waitcnt_vscnt null, 0x0
	s_barrier
	buffer_gl0_inv
	s_cbranch_vccz .LBB1539_11
.LBB1539_5:                             ; =>This Inner Loop Header: Depth=1
	v_add_co_u32 v8, s5, v10, s2
	s_delay_alu instid0(VALU_DEP_1) | instskip(SKIP_2) | instid1(VALU_DEP_3)
	v_add_co_ci_u32_e64 v9, null, 0, s3, s5
	v_mov_b32_e32 v6, 0
	v_mov_b32_e32 v7, 0
	v_cmp_gt_i64_e32 vcc_lo, s[16:17], v[8:9]
	s_delay_alu instid0(VALU_DEP_2) | instskip(SKIP_1) | instid1(SALU_CYCLE_1)
	v_dual_mov_b32 v9, v7 :: v_dual_mov_b32 v8, v6
	s_and_b32 s6, s0, vcc_lo
	s_and_saveexec_b32 s5, s6
	s_cbranch_execz .LBB1539_7
; %bb.6:                                ;   in Loop: Header=BB1539_5 Depth=1
	global_load_b64 v[8:9], v[4:5], off
.LBB1539_7:                             ;   in Loop: Header=BB1539_5 Depth=1
	s_or_b32 exec_lo, exec_lo, s5
	v_add_co_u32 v19, s5, v11, s2
	s_delay_alu instid0(VALU_DEP_1) | instskip(SKIP_4) | instid1(SALU_CYCLE_1)
	v_add_co_ci_u32_e64 v20, null, 0, s3, s5
	s_waitcnt vmcnt(0)
	ds_store_b64 v13, v[8:9]
	v_cmp_gt_i64_e32 vcc_lo, s[16:17], v[19:20]
	s_and_b32 s6, s1, vcc_lo
	s_and_saveexec_b32 s5, s6
	s_cbranch_execz .LBB1539_9
; %bb.8:                                ;   in Loop: Header=BB1539_5 Depth=1
	global_load_b64 v[6:7], v[2:3], off
.LBB1539_9:                             ;   in Loop: Header=BB1539_5 Depth=1
	s_or_b32 exec_lo, exec_lo, s5
	s_waitcnt vmcnt(0)
	ds_store_b64 v15, v[6:7]
	s_waitcnt lgkmcnt(0)
	s_barrier
	buffer_gl0_inv
	s_and_saveexec_b32 s5, s4
	s_cbranch_execz .LBB1539_4
; %bb.10:                               ;   in Loop: Header=BB1539_5 Depth=1
	ds_load_2addr_b64 v[6:9], v14 offset1:32
	ds_load_b128 v[19:22], v12
	ds_load_b128 v[23:26], v12 offset:16
	s_waitcnt lgkmcnt(1)
	v_fma_f64 v[6:7], v[19:20], v[6:7], 0
	s_delay_alu instid0(VALU_DEP_1) | instskip(SKIP_3) | instid1(VALU_DEP_1)
	v_fma_f64 v[19:20], v[21:22], v[8:9], v[6:7]
	ds_load_2addr_b64 v[6:9], v14 offset0:64 offset1:96
	s_waitcnt lgkmcnt(0)
	v_fma_f64 v[6:7], v[23:24], v[6:7], v[19:20]
	v_fma_f64 v[27:28], v[25:26], v[8:9], v[6:7]
	ds_load_2addr_b64 v[6:9], v14 offset0:128 offset1:160
	ds_load_b128 v[19:22], v12 offset:32
	ds_load_b128 v[23:26], v12 offset:48
	s_waitcnt lgkmcnt(1)
	v_fma_f64 v[6:7], v[19:20], v[6:7], v[27:28]
	s_delay_alu instid0(VALU_DEP_1) | instskip(SKIP_3) | instid1(VALU_DEP_1)
	v_fma_f64 v[19:20], v[21:22], v[8:9], v[6:7]
	ds_load_2addr_b64 v[6:9], v14 offset0:192 offset1:224
	s_waitcnt lgkmcnt(0)
	v_fma_f64 v[6:7], v[23:24], v[6:7], v[19:20]
	v_fma_f64 v[27:28], v[25:26], v[8:9], v[6:7]
	ds_load_2addr_b64 v[6:9], v16 offset1:32
	ds_load_b128 v[19:22], v12 offset:64
	ds_load_b128 v[23:26], v12 offset:80
	s_waitcnt lgkmcnt(1)
	v_fma_f64 v[6:7], v[19:20], v[6:7], v[27:28]
	s_delay_alu instid0(VALU_DEP_1) | instskip(SKIP_3) | instid1(VALU_DEP_1)
	v_fma_f64 v[19:20], v[21:22], v[8:9], v[6:7]
	ds_load_2addr_b64 v[6:9], v16 offset0:64 offset1:96
	s_waitcnt lgkmcnt(0)
	v_fma_f64 v[6:7], v[23:24], v[6:7], v[19:20]
	v_fma_f64 v[27:28], v[25:26], v[8:9], v[6:7]
	ds_load_2addr_b64 v[6:9], v16 offset0:128 offset1:160
	ds_load_b128 v[19:22], v12 offset:96
	ds_load_b128 v[23:26], v12 offset:112
	s_waitcnt lgkmcnt(1)
	v_fma_f64 v[6:7], v[19:20], v[6:7], v[27:28]
	s_delay_alu instid0(VALU_DEP_1) | instskip(SKIP_3) | instid1(VALU_DEP_1)
	v_fma_f64 v[19:20], v[21:22], v[8:9], v[6:7]
	ds_load_2addr_b64 v[6:9], v16 offset0:192 offset1:224
	s_waitcnt lgkmcnt(0)
	v_fma_f64 v[6:7], v[23:24], v[6:7], v[19:20]
	v_fma_f64 v[27:28], v[25:26], v[8:9], v[6:7]
	ds_load_2addr_b64 v[6:9], v17 offset1:32
	ds_load_b128 v[19:22], v12 offset:128
	;; [unrolled: 22-line block ×3, first 2 shown]
	global_load_b64 v[29:30], v[0:1], off
	ds_load_b128 v[23:26], v12 offset:208
	s_waitcnt lgkmcnt(1)
	v_fma_f64 v[6:7], v[19:20], v[6:7], v[27:28]
	s_delay_alu instid0(VALU_DEP_1) | instskip(SKIP_3) | instid1(VALU_DEP_1)
	v_fma_f64 v[19:20], v[21:22], v[8:9], v[6:7]
	ds_load_2addr_b64 v[6:9], v18 offset0:64 offset1:96
	s_waitcnt lgkmcnt(0)
	v_fma_f64 v[6:7], v[23:24], v[6:7], v[19:20]
	v_fma_f64 v[27:28], v[25:26], v[8:9], v[6:7]
	ds_load_2addr_b64 v[6:9], v18 offset0:128 offset1:160
	ds_load_b128 v[19:22], v12 offset:224
	ds_load_b128 v[23:26], v12 offset:240
	s_waitcnt lgkmcnt(1)
	v_fma_f64 v[6:7], v[19:20], v[6:7], v[27:28]
	s_delay_alu instid0(VALU_DEP_1) | instskip(SKIP_3) | instid1(VALU_DEP_1)
	v_fma_f64 v[19:20], v[21:22], v[8:9], v[6:7]
	ds_load_2addr_b64 v[6:9], v18 offset0:192 offset1:224
	s_waitcnt lgkmcnt(0)
	v_fma_f64 v[6:7], v[23:24], v[6:7], v[19:20]
	v_fma_f64 v[6:7], v[25:26], v[8:9], v[6:7]
	s_waitcnt vmcnt(0)
	s_delay_alu instid0(VALU_DEP_1)
	v_fma_f64 v[6:7], s[8:9], v[6:7], v[29:30]
	global_store_b64 v[0:1], v[6:7], off
	s_branch .LBB1539_4
.LBB1539_11:
	s_endpgm
	.section	.rodata,"a",@progbits
	.p2align	6, 0x0
	.amdhsa_kernel _ZL26rocblas_syr2k_her2k_kernelIlLb0ELb0ELb1ELi32EPKdPKS1_PKPdEvbiT_T4_T5_S7_lS9_S7_lT6_S7_li
		.amdhsa_group_segment_fixed_size 16384
		.amdhsa_private_segment_fixed_size 0
		.amdhsa_kernarg_size 100
		.amdhsa_user_sgpr_count 13
		.amdhsa_user_sgpr_dispatch_ptr 0
		.amdhsa_user_sgpr_queue_ptr 0
		.amdhsa_user_sgpr_kernarg_segment_ptr 1
		.amdhsa_user_sgpr_dispatch_id 0
		.amdhsa_user_sgpr_private_segment_size 0
		.amdhsa_wavefront_size32 1
		.amdhsa_uses_dynamic_stack 0
		.amdhsa_enable_private_segment 0
		.amdhsa_system_sgpr_workgroup_id_x 1
		.amdhsa_system_sgpr_workgroup_id_y 1
		.amdhsa_system_sgpr_workgroup_id_z 1
		.amdhsa_system_sgpr_workgroup_info 0
		.amdhsa_system_vgpr_workitem_id 1
		.amdhsa_next_free_vgpr 31
		.amdhsa_next_free_sgpr 32
		.amdhsa_reserve_vcc 1
		.amdhsa_float_round_mode_32 0
		.amdhsa_float_round_mode_16_64 0
		.amdhsa_float_denorm_mode_32 3
		.amdhsa_float_denorm_mode_16_64 3
		.amdhsa_dx10_clamp 1
		.amdhsa_ieee_mode 1
		.amdhsa_fp16_overflow 0
		.amdhsa_workgroup_processor_mode 1
		.amdhsa_memory_ordered 1
		.amdhsa_forward_progress 0
		.amdhsa_shared_vgpr_count 0
		.amdhsa_exception_fp_ieee_invalid_op 0
		.amdhsa_exception_fp_denorm_src 0
		.amdhsa_exception_fp_ieee_div_zero 0
		.amdhsa_exception_fp_ieee_overflow 0
		.amdhsa_exception_fp_ieee_underflow 0
		.amdhsa_exception_fp_ieee_inexact 0
		.amdhsa_exception_int_div_zero 0
	.end_amdhsa_kernel
	.section	.text._ZL26rocblas_syr2k_her2k_kernelIlLb0ELb0ELb1ELi32EPKdPKS1_PKPdEvbiT_T4_T5_S7_lS9_S7_lT6_S7_li,"axG",@progbits,_ZL26rocblas_syr2k_her2k_kernelIlLb0ELb0ELb1ELi32EPKdPKS1_PKPdEvbiT_T4_T5_S7_lS9_S7_lT6_S7_li,comdat
.Lfunc_end1539:
	.size	_ZL26rocblas_syr2k_her2k_kernelIlLb0ELb0ELb1ELi32EPKdPKS1_PKPdEvbiT_T4_T5_S7_lS9_S7_lT6_S7_li, .Lfunc_end1539-_ZL26rocblas_syr2k_her2k_kernelIlLb0ELb0ELb1ELi32EPKdPKS1_PKPdEvbiT_T4_T5_S7_lS9_S7_lT6_S7_li
                                        ; -- End function
	.section	.AMDGPU.csdata,"",@progbits
; Kernel info:
; codeLenInByte = 1560
; NumSgprs: 34
; NumVgprs: 31
; ScratchSize: 0
; MemoryBound: 0
; FloatMode: 240
; IeeeMode: 1
; LDSByteSize: 16384 bytes/workgroup (compile time only)
; SGPRBlocks: 4
; VGPRBlocks: 3
; NumSGPRsForWavesPerEU: 34
; NumVGPRsForWavesPerEU: 31
; Occupancy: 16
; WaveLimiterHint : 1
; COMPUTE_PGM_RSRC2:SCRATCH_EN: 0
; COMPUTE_PGM_RSRC2:USER_SGPR: 13
; COMPUTE_PGM_RSRC2:TRAP_HANDLER: 0
; COMPUTE_PGM_RSRC2:TGID_X_EN: 1
; COMPUTE_PGM_RSRC2:TGID_Y_EN: 1
; COMPUTE_PGM_RSRC2:TGID_Z_EN: 1
; COMPUTE_PGM_RSRC2:TIDIG_COMP_CNT: 1
	.section	.text._ZL26rocblas_syr2k_her2k_kernelIlLb0ELb0ELb0ELi32E19rocblas_complex_numIfEPKPKS1_PKPS1_EvbiT_T4_T5_S9_lSB_S9_lT6_S9_li,"axG",@progbits,_ZL26rocblas_syr2k_her2k_kernelIlLb0ELb0ELb0ELi32E19rocblas_complex_numIfEPKPKS1_PKPS1_EvbiT_T4_T5_S9_lSB_S9_lT6_S9_li,comdat
	.globl	_ZL26rocblas_syr2k_her2k_kernelIlLb0ELb0ELb0ELi32E19rocblas_complex_numIfEPKPKS1_PKPS1_EvbiT_T4_T5_S9_lSB_S9_lT6_S9_li ; -- Begin function _ZL26rocblas_syr2k_her2k_kernelIlLb0ELb0ELb0ELi32E19rocblas_complex_numIfEPKPKS1_PKPS1_EvbiT_T4_T5_S9_lSB_S9_lT6_S9_li
	.p2align	8
	.type	_ZL26rocblas_syr2k_her2k_kernelIlLb0ELb0ELb0ELi32E19rocblas_complex_numIfEPKPKS1_PKPS1_EvbiT_T4_T5_S9_lSB_S9_lT6_S9_li,@function
_ZL26rocblas_syr2k_her2k_kernelIlLb0ELb0ELb0ELi32E19rocblas_complex_numIfEPKPKS1_PKPS1_EvbiT_T4_T5_S9_lSB_S9_lT6_S9_li: ; @_ZL26rocblas_syr2k_her2k_kernelIlLb0ELb0ELb0ELi32E19rocblas_complex_numIfEPKPKS1_PKPS1_EvbiT_T4_T5_S9_lSB_S9_lT6_S9_li
; %bb.0:
	s_load_b64 s[20:21], s[0:1], 0x10
	s_waitcnt lgkmcnt(0)
	v_cmp_eq_f32_e64 s2, s20, 0
	v_cmp_eq_f32_e64 s3, s21, 0
	s_delay_alu instid0(VALU_DEP_1) | instskip(NEXT) | instid1(SALU_CYCLE_1)
	s_and_b32 s2, s2, s3
	s_and_b32 vcc_lo, exec_lo, s2
	s_cbranch_vccnz .LBB1540_11
; %bb.1:
	s_load_b64 s[2:3], s[0:1], 0x0
	s_lshl_b32 s26, s14, 5
	s_lshl_b32 s27, s13, 5
	s_waitcnt lgkmcnt(0)
	s_and_b32 s2, 1, s2
	s_delay_alu instid0(SALU_CYCLE_1) | instskip(SKIP_1) | instid1(SALU_CYCLE_1)
	s_cmp_eq_u32 s2, 1
	s_cselect_b32 s2, -1, 0
	s_and_b32 s4, s2, exec_lo
	s_cselect_b32 s4, s27, s26
	s_cselect_b32 s5, s26, s27
	s_delay_alu instid0(SALU_CYCLE_1)
	s_cmp_gt_i32 s4, s5
	s_cbranch_scc1 .LBB1540_11
; %bb.2:
	s_load_b64 s[22:23], s[0:1], 0x8
	s_waitcnt lgkmcnt(0)
	v_cmp_lt_i64_e64 s4, s[22:23], 1
	s_delay_alu instid0(VALU_DEP_1)
	s_and_b32 vcc_lo, exec_lo, s4
	s_cbranch_vccnz .LBB1540_11
; %bb.3:
	s_mov_b32 s24, s15
	s_load_b512 s[4:19], s[0:1], 0x18
	v_bfe_u32 v10, v0, 10, 10
	v_and_b32_e32 v11, 0x3ff, v0
	v_mov_b32_e32 v3, 0
	s_mov_b32 s25, 0
	s_load_b64 s[0:1], s[0:1], 0x58
	v_add_nc_u32_e32 v4, s26, v10
	v_lshlrev_b32_e32 v12, 8, v11
	s_lshl_b64 s[24:25], s[24:25], 3
	s_mov_b32 s28, s3
	v_mov_b32_e32 v5, v3
	s_waitcnt lgkmcnt(0)
	v_mad_u64_u32 v[16:17], null, s6, v10, 0
	v_lshlrev_b32_e32 v0, 3, v10
	s_add_u32 s4, s4, s24
	v_mul_lo_u32 v21, v4, s19
	v_mad_u64_u32 v[6:7], null, v4, s18, 0
	s_delay_alu instid0(VALU_DEP_3)
	v_add_nc_u32_e32 v13, v12, v0
	v_or_b32_e32 v14, 0x2000, v0
	v_ashrrev_i32_e32 v0, 31, v4
	v_mad_u64_u32 v[8:9], null, s12, v11, 0
	s_addc_u32 s5, s5, s25
	s_add_u32 s10, s10, s24
	s_delay_alu instid0(VALU_DEP_2)
	v_mul_lo_u32 v0, v0, s18
	s_addc_u32 s11, s11, s25
	s_add_u32 s16, s16, s24
	s_addc_u32 s17, s17, s25
	s_lshl_b64 s[0:1], s[0:1], 3
	s_load_b64 s[16:17], s[16:17], 0x0
	s_load_b64 s[4:5], s[4:5], 0x0
	;; [unrolled: 1-line block ×3, first 2 shown]
	v_add3_u32 v7, v7, v21, v0
	v_mov_b32_e32 v0, v9
	v_dual_mov_b32 v9, v17 :: v_dual_add_nc_u32 v2, s27, v11
	s_delay_alu instid0(VALU_DEP_3) | instskip(NEXT) | instid1(VALU_DEP_2)
	v_lshlrev_b64 v[6:7], 3, v[6:7]
	v_cndmask_b32_e64 v18, v2, v4, s2
	v_cndmask_b32_e64 v19, v4, v2, s2
	v_ashrrev_i32_e32 v1, 31, v2
	v_max_i32_e32 v20, v2, v4
	s_delay_alu instid0(VALU_DEP_3) | instskip(NEXT) | instid1(VALU_DEP_3)
	v_cmp_le_i32_e64 s2, v19, v18
	v_mad_u64_u32 v[17:18], null, s13, v11, v[0:1]
	v_mad_u64_u32 v[18:19], null, s7, v10, v[9:10]
	v_mov_b32_e32 v0, v2
	v_cmp_gt_i32_e32 vcc_lo, s3, v20
	s_waitcnt lgkmcnt(0)
	s_add_u32 s11, s16, s0
	s_addc_u32 s16, s17, s1
	s_delay_alu instid0(VALU_DEP_4)
	v_mov_b32_e32 v9, v17
	v_lshlrev_b64 v[0:1], 3, v[0:1]
	s_and_b32 s10, s2, vcc_lo
	v_add_co_u32 v19, vcc_lo, s11, v6
	v_mov_b32_e32 v17, v18
	v_add_co_ci_u32_e32 v20, vcc_lo, s16, v7, vcc_lo
	v_lshlrev_b64 v[6:7], 3, v[8:9]
	s_delay_alu instid0(VALU_DEP_4)
	v_add_co_u32 v0, vcc_lo, v19, v0
	s_ashr_i32 s29, s3, 31
	s_lshl_b64 s[2:3], s[14:15], 3
	v_lshlrev_b64 v[8:9], 3, v[16:17]
	v_add_nc_u32_e32 v16, 0x800, v14
	v_add_co_ci_u32_e32 v1, vcc_lo, v20, v1, vcc_lo
	v_add_co_u32 v6, vcc_lo, v6, s2
	v_cmp_gt_i64_e64 s1, s[28:29], v[4:5]
	v_lshlrev_b64 v[4:5], 3, v[4:5]
	v_add_co_ci_u32_e32 v7, vcc_lo, s3, v7, vcc_lo
	s_lshl_b64 s[2:3], s[8:9], 3
	v_cmp_gt_i64_e64 s0, s[28:29], v[2:3]
	v_add_co_u32 v8, vcc_lo, v8, s2
	v_lshlrev_b64 v[2:3], 3, v[2:3]
	v_add_co_ci_u32_e32 v9, vcc_lo, s3, v9, vcc_lo
	v_add_co_u32 v4, vcc_lo, v6, v4
	v_add_co_ci_u32_e32 v5, vcc_lo, v7, v5, vcc_lo
	s_delay_alu instid0(VALU_DEP_4) | instskip(NEXT) | instid1(VALU_DEP_4)
	v_add_co_u32 v2, vcc_lo, v8, v2
	v_add_co_ci_u32_e32 v3, vcc_lo, v9, v3, vcc_lo
	s_delay_alu instid0(VALU_DEP_4) | instskip(NEXT) | instid1(VALU_DEP_4)
	;; [unrolled: 3-line block ×4, first 2 shown]
	v_add_co_u32 v2, vcc_lo, v4, 4
	v_add_co_ci_u32_e32 v3, vcc_lo, 0, v5, vcc_lo
	s_delay_alu instid0(VALU_DEP_4)
	v_add_co_u32 v4, vcc_lo, v6, 4
	v_add_nc_u32_e32 v15, v14, v12
	v_add_co_ci_u32_e32 v5, vcc_lo, 0, v7, vcc_lo
	v_add_nc_u32_e32 v17, 0x1000, v14
	v_add_nc_u32_e32 v18, 0x1800, v14
	s_lshl_b64 s[2:3], s[12:13], 8
	s_lshl_b64 s[4:5], s[6:7], 8
	s_mov_b64 s[6:7], 0
	s_branch .LBB1540_5
.LBB1540_4:                             ;   in Loop: Header=BB1540_5 Depth=1
	s_or_b32 exec_lo, exec_lo, s8
	s_add_u32 s6, s6, 32
	s_addc_u32 s7, s7, 0
	v_add_co_u32 v2, vcc_lo, v2, s2
	v_cmp_lt_i64_e64 s8, s[6:7], s[22:23]
	v_add_co_ci_u32_e32 v3, vcc_lo, s3, v3, vcc_lo
	v_add_co_u32 v4, vcc_lo, v4, s4
	v_add_co_ci_u32_e32 v5, vcc_lo, s5, v5, vcc_lo
	s_delay_alu instid0(VALU_DEP_4)
	s_and_b32 vcc_lo, exec_lo, s8
	s_waitcnt_vscnt null, 0x0
	s_barrier
	buffer_gl0_inv
	s_cbranch_vccz .LBB1540_11
.LBB1540_5:                             ; =>This Inner Loop Header: Depth=1
	v_add_co_u32 v6, s8, v10, s6
	s_delay_alu instid0(VALU_DEP_1) | instskip(NEXT) | instid1(VALU_DEP_1)
	v_add_co_ci_u32_e64 v7, null, 0, s7, s8
	v_cmp_gt_i64_e32 vcc_lo, s[22:23], v[6:7]
	v_dual_mov_b32 v6, 0 :: v_dual_mov_b32 v7, 0
	s_and_b32 s9, s0, vcc_lo
	s_delay_alu instid0(SALU_CYCLE_1)
	s_and_saveexec_b32 s8, s9
	s_cbranch_execz .LBB1540_7
; %bb.6:                                ;   in Loop: Header=BB1540_5 Depth=1
	global_load_b64 v[6:7], v[4:5], off offset:-4
.LBB1540_7:                             ;   in Loop: Header=BB1540_5 Depth=1
	s_or_b32 exec_lo, exec_lo, s8
	v_add_co_u32 v8, s8, v11, s6
	s_delay_alu instid0(VALU_DEP_1)
	v_add_co_ci_u32_e64 v9, null, 0, s7, s8
	s_waitcnt vmcnt(0)
	ds_store_b64 v13, v[6:7]
	v_cmp_gt_i64_e32 vcc_lo, s[22:23], v[8:9]
	v_dual_mov_b32 v8, 0 :: v_dual_mov_b32 v9, 0
	s_and_b32 s9, s1, vcc_lo
	s_delay_alu instid0(SALU_CYCLE_1)
	s_and_saveexec_b32 s8, s9
	s_cbranch_execz .LBB1540_9
; %bb.8:                                ;   in Loop: Header=BB1540_5 Depth=1
	global_load_b64 v[8:9], v[2:3], off offset:-4
.LBB1540_9:                             ;   in Loop: Header=BB1540_5 Depth=1
	s_or_b32 exec_lo, exec_lo, s8
	s_waitcnt vmcnt(0)
	ds_store_b64 v15, v[8:9]
	s_waitcnt lgkmcnt(0)
	s_barrier
	buffer_gl0_inv
	s_and_saveexec_b32 s8, s10
	s_cbranch_execz .LBB1540_4
; %bb.10:                               ;   in Loop: Header=BB1540_5 Depth=1
	global_load_b64 v[91:92], v[0:1], off
	ds_load_2addr_b64 v[6:9], v14 offset1:32
	ds_load_b128 v[19:22], v12
	ds_load_b128 v[23:26], v12 offset:16
	ds_load_b128 v[27:30], v12 offset:32
	;; [unrolled: 1-line block ×3, first 2 shown]
	ds_load_2addr_b64 v[35:38], v14 offset0:64 offset1:96
	ds_load_2addr_b64 v[39:42], v14 offset0:128 offset1:160
	;; [unrolled: 1-line block ×3, first 2 shown]
	ds_load_2addr_b64 v[47:50], v16 offset1:32
	ds_load_b128 v[51:54], v12 offset:64
	ds_load_b128 v[55:58], v12 offset:80
	ds_load_2addr_b64 v[59:62], v16 offset0:64 offset1:96
	ds_load_2addr_b64 v[63:66], v16 offset0:128 offset1:160
	ds_load_b128 v[67:70], v12 offset:96
	ds_load_b128 v[71:74], v12 offset:112
	ds_load_2addr_b64 v[75:78], v16 offset0:192 offset1:224
	ds_load_2addr_b64 v[79:82], v17 offset1:32
	ds_load_b128 v[83:86], v12 offset:128
	ds_load_b128 v[87:90], v12 offset:144
	s_waitcnt lgkmcnt(17)
	v_mul_f32_e32 v93, v7, v20
	v_dual_mul_f32 v94, v6, v20 :: v_dual_mul_f32 v95, v8, v22
	s_waitcnt lgkmcnt(13)
	v_dual_mul_f32 v20, v9, v22 :: v_dual_mul_f32 v97, v35, v24
	v_mul_f32_e32 v98, v37, v26
	v_fma_f32 v93, v6, v19, -v93
	v_dual_fmac_f32 v94, v7, v19 :: v_dual_fmac_f32 v95, v9, v21
	v_mul_f32_e32 v19, v36, v24
	v_fma_f32 v96, v8, v21, -v20
	v_mul_f32_e32 v20, v38, v26
	s_waitcnt lgkmcnt(12)
	v_mul_f32_e32 v24, v40, v28
	v_dual_mul_f32 v99, v39, v28 :: v_dual_mul_f32 v26, v42, v30
	v_fma_f32 v100, v35, v23, -v19
	v_mul_f32_e32 v102, v41, v30
	v_add_f32_e32 v35, 0, v94
	s_delay_alu instid0(VALU_DEP_4) | instskip(SKIP_1) | instid1(VALU_DEP_3)
	v_fmac_f32_e32 v99, v40, v27
	v_dual_fmac_f32 v97, v36, v23 :: v_dual_fmac_f32 v98, v38, v25
	v_dual_fmac_f32 v102, v42, v29 :: v_dual_add_f32 v35, v35, v95
	v_fma_f32 v103, v41, v29, -v26
	s_waitcnt lgkmcnt(11)
	v_dual_mul_f32 v36, v44, v32 :: v_dual_mul_f32 v95, v45, v34
	v_mul_f32_e32 v94, v43, v32
	v_dual_mul_f32 v32, v46, v34 :: v_dual_add_f32 v41, v35, v97
	v_add_f32_e32 v34, 0, v93
	v_fma_f32 v101, v37, v25, -v20
	s_waitcnt lgkmcnt(9)
	v_mul_f32_e32 v97, v49, v54
	v_fma_f32 v39, v39, v27, -v24
	v_dual_add_f32 v41, v41, v98 :: v_dual_add_f32 v40, v34, v96
	v_mul_f32_e32 v42, v48, v52
	s_delay_alu instid0(VALU_DEP_4) | instskip(SKIP_1) | instid1(VALU_DEP_4)
	v_dual_mul_f32 v96, v47, v52 :: v_dual_fmac_f32 v97, v50, v53
	v_fma_f32 v93, v43, v31, -v36
	v_dual_add_f32 v40, v40, v100 :: v_dual_fmac_f32 v95, v46, v33
	v_dual_fmac_f32 v94, v44, v31 :: v_dual_mul_f32 v43, v50, v54
	s_delay_alu instid0(VALU_DEP_2) | instskip(SKIP_4) | instid1(VALU_DEP_3)
	v_dual_add_f32 v41, v41, v99 :: v_dual_add_f32 v40, v40, v101
	s_waitcnt lgkmcnt(7)
	v_dual_mul_f32 v101, v61, v58 :: v_dual_mul_f32 v98, v59, v56
	v_fma_f32 v99, v47, v51, -v42
	v_dual_mul_f32 v47, v62, v58 :: v_dual_fmac_f32 v96, v48, v51
	v_fmac_f32_e32 v101, v62, v57
	v_add_f32_e32 v51, v40, v39
	v_mul_f32_e32 v52, v60, v56
	v_fma_f32 v100, v49, v53, -v43
	v_add_f32_e32 v53, v41, v102
	v_fma_f32 v104, v45, v33, -v32
	s_waitcnt lgkmcnt(5)
	v_dual_add_f32 v51, v51, v103 :: v_dual_mul_f32 v56, v66, v70
	v_fma_f32 v102, v59, v55, -v52
	v_fmac_f32_e32 v98, v60, v55
	v_fma_f32 v105, v61, v57, -v47
	s_delay_alu instid0(VALU_DEP_4)
	v_add_f32_e32 v57, v51, v93
	v_dual_mul_f32 v55, v64, v68 :: v_dual_add_f32 v52, v53, v94
	v_mul_f32_e32 v68, v63, v68
	v_mul_f32_e32 v70, v65, v70
	ds_load_2addr_b64 v[6:9], v17 offset0:64 offset1:96
	v_fma_f32 v94, v63, v67, -v55
	v_add_f32_e32 v93, v52, v95
	v_dual_fmac_f32 v68, v64, v67 :: v_dual_add_f32 v63, v57, v104
	v_fma_f32 v67, v65, v69, -v56
	s_waitcnt lgkmcnt(4)
	v_dual_mul_f32 v65, v76, v72 :: v_dual_fmac_f32 v70, v66, v69
	v_mul_f32_e32 v69, v75, v72
	v_dual_add_f32 v64, v93, v96 :: v_dual_add_f32 v63, v63, v99
	ds_load_2addr_b64 v[19:22], v17 offset0:128 offset1:160
	ds_load_b128 v[23:26], v12 offset:160
	ds_load_b128 v[27:30], v12 offset:176
	ds_load_2addr_b64 v[31:34], v17 offset0:192 offset1:224
	v_dual_mul_f32 v66, v78, v74 :: v_dual_fmac_f32 v69, v76, v71
	v_add_f32_e32 v76, v63, v100
	v_fma_f32 v75, v75, v71, -v65
	ds_load_2addr_b64 v[35:38], v18 offset1:32
	v_fma_f32 v71, v77, v73, -v66
	ds_load_b128 v[39:42], v12 offset:192
	ds_load_b128 v[43:46], v12 offset:208
	v_add_f32_e32 v76, v76, v102
	ds_load_2addr_b64 v[47:50], v18 offset0:64 offset1:96
	v_mul_f32_e32 v74, v77, v74
	s_waitcnt lgkmcnt(10)
	v_dual_add_f32 v72, v64, v97 :: v_dual_mul_f32 v77, v79, v84
	v_add_f32_e32 v76, v76, v105
	ds_load_2addr_b64 v[51:54], v18 offset0:128 offset1:160
	v_dual_fmac_f32 v74, v78, v73 :: v_dual_mul_f32 v73, v80, v84
	v_mul_f32_e32 v84, v81, v86
	v_add_f32_e32 v76, v76, v94
	v_mul_f32_e32 v78, v82, v86
	s_waitcnt lgkmcnt(9)
	v_dual_mul_f32 v86, v7, v88 :: v_dual_fmac_f32 v77, v80, v83
	v_fma_f32 v73, v79, v83, -v73
	v_add_f32_e32 v67, v76, v67
	v_add_f32_e32 v72, v72, v98
	s_waitcnt lgkmcnt(7)
	v_mul_f32_e32 v93, v20, v24
	v_mul_f32_e32 v24, v19, v24
	ds_load_b128 v[55:58], v12 offset:224
	ds_load_b128 v[59:62], v12 offset:240
	v_add_f32_e32 v67, v67, v75
	ds_load_2addr_b64 v[63:66], v18 offset0:192 offset1:224
	s_waitcnt lgkmcnt(8)
	v_dual_mul_f32 v75, v34, v30 :: v_dual_fmac_f32 v24, v20, v23
	v_fma_f32 v19, v19, v23, -v93
	v_dual_add_f32 v67, v67, v71 :: v_dual_mul_f32 v88, v6, v88
	s_waitcnt lgkmcnt(6)
	v_mul_f32_e32 v71, v36, v40
	v_mul_f32_e32 v40, v35, v40
	v_fma_f32 v6, v6, v87, -v86
	v_add_f32_e32 v67, v67, v73
	v_add_f32_e32 v72, v72, v101
	v_fmac_f32_e32 v88, v7, v87
	v_fmac_f32_e32 v40, v36, v39
	v_fma_f32 v23, v35, v39, -v71
	s_delay_alu instid0(VALU_DEP_4) | instskip(SKIP_2) | instid1(VALU_DEP_3)
	v_add_f32_e32 v68, v72, v68
	v_mul_f32_e32 v72, v9, v90
	v_mul_f32_e32 v90, v8, v90
	v_add_f32_e32 v68, v68, v70
	s_delay_alu instid0(VALU_DEP_3) | instskip(SKIP_1) | instid1(VALU_DEP_3)
	v_fma_f32 v8, v8, v89, -v72
	s_waitcnt lgkmcnt(4)
	v_dual_fmac_f32 v90, v9, v89 :: v_dual_mul_f32 v9, v47, v44
	v_mul_f32_e32 v30, v33, v30
	v_add_f32_e32 v68, v68, v69
	v_mul_f32_e32 v69, v32, v28
	s_delay_alu instid0(VALU_DEP_4) | instskip(SKIP_1) | instid1(VALU_DEP_4)
	v_dual_mul_f32 v28, v31, v28 :: v_dual_fmac_f32 v9, v48, v43
	v_mul_f32_e32 v76, v38, v42
	v_add_f32_e32 v68, v68, v74
	v_fma_f32 v74, v81, v85, -v78
	v_mul_f32_e32 v42, v37, v42
	v_fmac_f32_e32 v30, v34, v29
	s_delay_alu instid0(VALU_DEP_3) | instskip(NEXT) | instid1(VALU_DEP_3)
	v_dual_fmac_f32 v84, v82, v85 :: v_dual_add_f32 v67, v67, v74
	v_fmac_f32_e32 v42, v38, v41
	v_add_f32_e32 v68, v68, v77
	v_mul_f32_e32 v70, v22, v26
	v_mul_f32_e32 v26, v21, v26
	s_delay_alu instid0(VALU_DEP_3) | instskip(NEXT) | instid1(VALU_DEP_3)
	v_dual_add_f32 v6, v67, v6 :: v_dual_add_f32 v7, v68, v84
	v_fma_f32 v20, v21, v25, -v70
	v_fma_f32 v21, v31, v27, -v69
	s_delay_alu instid0(VALU_DEP_3) | instskip(NEXT) | instid1(VALU_DEP_1)
	v_add_f32_e32 v6, v6, v8
	v_dual_add_f32 v6, v6, v19 :: v_dual_mul_f32 v19, v49, v46
	s_delay_alu instid0(VALU_DEP_1) | instskip(SKIP_1) | instid1(VALU_DEP_2)
	v_add_f32_e32 v6, v6, v20
	s_waitcnt lgkmcnt(2)
	v_dual_fmac_f32 v19, v50, v45 :: v_dual_mul_f32 v20, v52, v56
	s_delay_alu instid0(VALU_DEP_2) | instskip(SKIP_2) | instid1(VALU_DEP_4)
	v_dual_add_f32 v6, v6, v21 :: v_dual_mul_f32 v21, v51, v56
	v_fmac_f32_e32 v26, v22, v25
	v_fma_f32 v22, v33, v29, -v75
	v_fma_f32 v20, v51, v55, -v20
	s_delay_alu instid0(VALU_DEP_2) | instskip(SKIP_1) | instid1(VALU_DEP_2)
	v_dual_fmac_f32 v21, v52, v55 :: v_dual_add_f32 v6, v6, v22
	v_mul_f32_e32 v22, v54, v58
	v_dual_add_f32 v6, v6, v23 :: v_dual_mul_f32 v23, v53, v58
	s_delay_alu instid0(VALU_DEP_1) | instskip(SKIP_1) | instid1(VALU_DEP_1)
	v_dual_fmac_f32 v28, v32, v27 :: v_dual_fmac_f32 v23, v54, v57
	v_add_f32_e32 v7, v7, v88
	v_add_f32_e32 v7, v7, v90
	s_delay_alu instid0(VALU_DEP_1) | instskip(NEXT) | instid1(VALU_DEP_1)
	v_add_f32_e32 v7, v7, v24
	v_add_f32_e32 v7, v7, v26
	s_delay_alu instid0(VALU_DEP_1) | instskip(NEXT) | instid1(VALU_DEP_1)
	;; [unrolled: 3-line block ×3, first 2 shown]
	v_add_f32_e32 v7, v7, v40
	v_add_f32_e32 v7, v7, v42
	s_delay_alu instid0(VALU_DEP_1) | instskip(SKIP_3) | instid1(VALU_DEP_3)
	v_dual_add_f32 v7, v7, v9 :: v_dual_mul_f32 v68, v48, v44
	v_fma_f32 v24, v37, v41, -v76
	s_waitcnt lgkmcnt(0)
	v_mul_f32_e32 v9, v63, v60
	v_add_f32_e32 v7, v7, v19
	v_fma_f32 v25, v47, v43, -v68
	s_delay_alu instid0(VALU_DEP_3) | instskip(NEXT) | instid1(VALU_DEP_3)
	v_dual_add_f32 v6, v6, v24 :: v_dual_fmac_f32 v9, v64, v59
	v_dual_mul_f32 v24, v64, v60 :: v_dual_add_f32 v7, v7, v21
	v_fma_f32 v19, v53, v57, -v22
	s_delay_alu instid0(VALU_DEP_3) | instskip(NEXT) | instid1(VALU_DEP_3)
	v_add_f32_e32 v6, v6, v25
	v_fma_f32 v21, v63, v59, -v24
	s_delay_alu instid0(VALU_DEP_4) | instskip(NEXT) | instid1(VALU_DEP_1)
	v_dual_add_f32 v7, v7, v23 :: v_dual_mul_f32 v8, v50, v46
	v_add_f32_e32 v7, v7, v9
	s_delay_alu instid0(VALU_DEP_2) | instskip(NEXT) | instid1(VALU_DEP_1)
	v_fma_f32 v8, v49, v45, -v8
	v_add_f32_e32 v6, v6, v8
	v_mul_f32_e32 v8, v66, v62
	s_delay_alu instid0(VALU_DEP_2) | instskip(SKIP_1) | instid1(VALU_DEP_3)
	v_add_f32_e32 v6, v6, v20
	v_mul_f32_e32 v20, v65, v62
	v_fma_f32 v8, v65, v61, -v8
	s_delay_alu instid0(VALU_DEP_3) | instskip(NEXT) | instid1(VALU_DEP_3)
	v_add_f32_e32 v6, v6, v19
	v_fmac_f32_e32 v20, v66, v61
	s_delay_alu instid0(VALU_DEP_1) | instskip(NEXT) | instid1(VALU_DEP_1)
	v_dual_add_f32 v6, v6, v21 :: v_dual_add_f32 v7, v7, v20
	v_add_f32_e32 v6, v6, v8
	s_delay_alu instid0(VALU_DEP_1) | instskip(NEXT) | instid1(VALU_DEP_1)
	v_dual_mul_f32 v8, s21, v7 :: v_dual_mul_f32 v9, s21, v6
	v_fma_f32 v6, s20, v6, -v8
	s_waitcnt vmcnt(0)
	s_delay_alu instid0(VALU_DEP_1) | instskip(NEXT) | instid1(VALU_DEP_1)
	v_dual_fmac_f32 v9, s20, v7 :: v_dual_add_f32 v6, v91, v6
	v_add_f32_e32 v7, v92, v9
	global_store_b64 v[0:1], v[6:7], off
	s_branch .LBB1540_4
.LBB1540_11:
	s_endpgm
	.section	.rodata,"a",@progbits
	.p2align	6, 0x0
	.amdhsa_kernel _ZL26rocblas_syr2k_her2k_kernelIlLb0ELb0ELb0ELi32E19rocblas_complex_numIfEPKPKS1_PKPS1_EvbiT_T4_T5_S9_lSB_S9_lT6_S9_li
		.amdhsa_group_segment_fixed_size 16384
		.amdhsa_private_segment_fixed_size 0
		.amdhsa_kernarg_size 100
		.amdhsa_user_sgpr_count 13
		.amdhsa_user_sgpr_dispatch_ptr 0
		.amdhsa_user_sgpr_queue_ptr 0
		.amdhsa_user_sgpr_kernarg_segment_ptr 1
		.amdhsa_user_sgpr_dispatch_id 0
		.amdhsa_user_sgpr_private_segment_size 0
		.amdhsa_wavefront_size32 1
		.amdhsa_uses_dynamic_stack 0
		.amdhsa_enable_private_segment 0
		.amdhsa_system_sgpr_workgroup_id_x 1
		.amdhsa_system_sgpr_workgroup_id_y 1
		.amdhsa_system_sgpr_workgroup_id_z 1
		.amdhsa_system_sgpr_workgroup_info 0
		.amdhsa_system_vgpr_workitem_id 1
		.amdhsa_next_free_vgpr 106
		.amdhsa_next_free_sgpr 30
		.amdhsa_reserve_vcc 1
		.amdhsa_float_round_mode_32 0
		.amdhsa_float_round_mode_16_64 0
		.amdhsa_float_denorm_mode_32 3
		.amdhsa_float_denorm_mode_16_64 3
		.amdhsa_dx10_clamp 1
		.amdhsa_ieee_mode 1
		.amdhsa_fp16_overflow 0
		.amdhsa_workgroup_processor_mode 1
		.amdhsa_memory_ordered 1
		.amdhsa_forward_progress 0
		.amdhsa_shared_vgpr_count 0
		.amdhsa_exception_fp_ieee_invalid_op 0
		.amdhsa_exception_fp_denorm_src 0
		.amdhsa_exception_fp_ieee_div_zero 0
		.amdhsa_exception_fp_ieee_overflow 0
		.amdhsa_exception_fp_ieee_underflow 0
		.amdhsa_exception_fp_ieee_inexact 0
		.amdhsa_exception_int_div_zero 0
	.end_amdhsa_kernel
	.section	.text._ZL26rocblas_syr2k_her2k_kernelIlLb0ELb0ELb0ELi32E19rocblas_complex_numIfEPKPKS1_PKPS1_EvbiT_T4_T5_S9_lSB_S9_lT6_S9_li,"axG",@progbits,_ZL26rocblas_syr2k_her2k_kernelIlLb0ELb0ELb0ELi32E19rocblas_complex_numIfEPKPKS1_PKPS1_EvbiT_T4_T5_S9_lSB_S9_lT6_S9_li,comdat
.Lfunc_end1540:
	.size	_ZL26rocblas_syr2k_her2k_kernelIlLb0ELb0ELb0ELi32E19rocblas_complex_numIfEPKPKS1_PKPS1_EvbiT_T4_T5_S9_lSB_S9_lT6_S9_li, .Lfunc_end1540-_ZL26rocblas_syr2k_her2k_kernelIlLb0ELb0ELb0ELi32E19rocblas_complex_numIfEPKPKS1_PKPS1_EvbiT_T4_T5_S9_lSB_S9_lT6_S9_li
                                        ; -- End function
	.section	.AMDGPU.csdata,"",@progbits
; Kernel info:
; codeLenInByte = 2320
; NumSgprs: 32
; NumVgprs: 106
; ScratchSize: 0
; MemoryBound: 0
; FloatMode: 240
; IeeeMode: 1
; LDSByteSize: 16384 bytes/workgroup (compile time only)
; SGPRBlocks: 3
; VGPRBlocks: 13
; NumSGPRsForWavesPerEU: 32
; NumVGPRsForWavesPerEU: 106
; Occupancy: 12
; WaveLimiterHint : 1
; COMPUTE_PGM_RSRC2:SCRATCH_EN: 0
; COMPUTE_PGM_RSRC2:USER_SGPR: 13
; COMPUTE_PGM_RSRC2:TRAP_HANDLER: 0
; COMPUTE_PGM_RSRC2:TGID_X_EN: 1
; COMPUTE_PGM_RSRC2:TGID_Y_EN: 1
; COMPUTE_PGM_RSRC2:TGID_Z_EN: 1
; COMPUTE_PGM_RSRC2:TIDIG_COMP_CNT: 1
	.section	.text._ZL26rocblas_syr2k_her2k_kernelIlLb0ELb0ELb1ELi32E19rocblas_complex_numIfEPKPKS1_PKPS1_EvbiT_T4_T5_S9_lSB_S9_lT6_S9_li,"axG",@progbits,_ZL26rocblas_syr2k_her2k_kernelIlLb0ELb0ELb1ELi32E19rocblas_complex_numIfEPKPKS1_PKPS1_EvbiT_T4_T5_S9_lSB_S9_lT6_S9_li,comdat
	.globl	_ZL26rocblas_syr2k_her2k_kernelIlLb0ELb0ELb1ELi32E19rocblas_complex_numIfEPKPKS1_PKPS1_EvbiT_T4_T5_S9_lSB_S9_lT6_S9_li ; -- Begin function _ZL26rocblas_syr2k_her2k_kernelIlLb0ELb0ELb1ELi32E19rocblas_complex_numIfEPKPKS1_PKPS1_EvbiT_T4_T5_S9_lSB_S9_lT6_S9_li
	.p2align	8
	.type	_ZL26rocblas_syr2k_her2k_kernelIlLb0ELb0ELb1ELi32E19rocblas_complex_numIfEPKPKS1_PKPS1_EvbiT_T4_T5_S9_lSB_S9_lT6_S9_li,@function
_ZL26rocblas_syr2k_her2k_kernelIlLb0ELb0ELb1ELi32E19rocblas_complex_numIfEPKPKS1_PKPS1_EvbiT_T4_T5_S9_lSB_S9_lT6_S9_li: ; @_ZL26rocblas_syr2k_her2k_kernelIlLb0ELb0ELb1ELi32E19rocblas_complex_numIfEPKPKS1_PKPS1_EvbiT_T4_T5_S9_lSB_S9_lT6_S9_li
; %bb.0:
	s_load_b64 s[20:21], s[0:1], 0x10
	s_waitcnt lgkmcnt(0)
	v_cmp_eq_f32_e64 s2, s20, 0
	v_cmp_eq_f32_e64 s3, s21, 0
	s_delay_alu instid0(VALU_DEP_1) | instskip(NEXT) | instid1(SALU_CYCLE_1)
	s_and_b32 s2, s2, s3
	s_and_b32 vcc_lo, exec_lo, s2
	s_cbranch_vccnz .LBB1541_11
; %bb.1:
	s_load_b64 s[2:3], s[0:1], 0x0
	s_lshl_b32 s26, s14, 5
	s_lshl_b32 s27, s13, 5
	s_waitcnt lgkmcnt(0)
	s_and_b32 s2, 1, s2
	s_delay_alu instid0(SALU_CYCLE_1) | instskip(SKIP_1) | instid1(SALU_CYCLE_1)
	s_cmp_eq_u32 s2, 1
	s_cselect_b32 s2, -1, 0
	s_and_b32 s4, s2, exec_lo
	s_cselect_b32 s4, s27, s26
	s_cselect_b32 s5, s26, s27
	s_delay_alu instid0(SALU_CYCLE_1)
	s_cmp_gt_i32 s4, s5
	s_cbranch_scc1 .LBB1541_11
; %bb.2:
	s_load_b64 s[22:23], s[0:1], 0x8
	s_waitcnt lgkmcnt(0)
	v_cmp_lt_i64_e64 s4, s[22:23], 1
	s_delay_alu instid0(VALU_DEP_1)
	s_and_b32 vcc_lo, exec_lo, s4
	s_cbranch_vccnz .LBB1541_11
; %bb.3:
	s_mov_b32 s24, s15
	s_load_b512 s[4:19], s[0:1], 0x18
	s_mov_b32 s25, 0
	v_bfe_u32 v10, v0, 10, 10
	s_lshl_b64 s[24:25], s[24:25], 3
	s_load_b64 s[0:1], s[0:1], 0x58
	v_mov_b32_e32 v1, 0
	v_and_b32_e32 v11, 0x3ff, v0
	v_add_nc_u32_e32 v2, s26, v10
	s_mov_b32 s28, s3
	v_lshlrev_b32_e32 v19, 3, v10
	s_delay_alu instid0(VALU_DEP_3) | instskip(NEXT) | instid1(VALU_DEP_3)
	v_dual_mov_b32 v3, v1 :: v_dual_add_nc_u32 v0, s27, v11
	v_ashrrev_i32_e32 v4, 31, v2
	s_delay_alu instid0(VALU_DEP_3) | instskip(NEXT) | instid1(VALU_DEP_3)
	v_or_b32_e32 v14, 0x2000, v19
	v_cndmask_b32_e64 v16, v0, v2, s2
	v_cndmask_b32_e64 v17, v2, v0, s2
	v_max_i32_e32 v18, v0, v2
	s_waitcnt lgkmcnt(0)
	s_add_u32 s4, s4, s24
	s_addc_u32 s5, s5, s25
	s_add_u32 s10, s10, s24
	s_addc_u32 s11, s11, s25
	;; [unrolled: 2-line block ×3, first 2 shown]
	v_mul_lo_u32 v20, v4, s18
	s_load_b64 s[16:17], s[16:17], 0x0
	v_mul_lo_u32 v21, v2, s19
	v_mad_u64_u32 v[4:5], null, s12, v2, 0
	v_mad_u64_u32 v[6:7], null, v2, s18, 0
	;; [unrolled: 1-line block ×3, first 2 shown]
	v_cmp_le_i32_e64 s2, v17, v16
	s_lshl_b64 s[0:1], s[0:1], 3
	v_cmp_gt_i32_e32 vcc_lo, s3, v18
	s_load_b64 s[4:5], s[4:5], 0x0
	s_load_b64 s[10:11], s[10:11], 0x0
	s_delay_alu instid0(VALU_DEP_4) | instskip(SKIP_2) | instid1(VALU_DEP_3)
	v_add3_u32 v7, v7, v21, v20
	v_mad_u64_u32 v[16:17], null, s13, v2, v[5:6]
	v_mad_u64_u32 v[17:18], null, s7, v0, v[9:10]
	v_lshlrev_b64 v[6:7], 3, v[6:7]
	v_lshlrev_b32_e32 v12, 8, v11
	v_add_nc_u32_e32 v18, 0x1800, v14
	s_waitcnt lgkmcnt(0)
	s_add_u32 s6, s16, s0
	v_mov_b32_e32 v5, v16
	s_addc_u32 s12, s17, s1
	s_ashr_i32 s29, s3, 31
	v_add_co_u32 v6, s3, s6, v6
	v_cmp_gt_i64_e64 s0, s[28:29], v[0:1]
	v_ashrrev_i32_e32 v1, 31, v0
	v_mov_b32_e32 v9, v17
	v_cmp_gt_i64_e64 s1, s[28:29], v[2:3]
	v_add_co_ci_u32_e64 v7, s3, s12, v7, s3
	s_delay_alu instid0(VALU_DEP_4)
	v_lshlrev_b64 v[0:1], 3, v[0:1]
	v_lshlrev_b64 v[2:3], 3, v[4:5]
	s_lshl_b64 s[6:7], s[14:15], 3
	v_add_nc_u32_e32 v13, v12, v19
	v_add_nc_u32_e32 v15, v14, v12
	;; [unrolled: 1-line block ×3, first 2 shown]
	v_add_co_u32 v0, s3, v6, v0
	v_lshlrev_b32_e32 v6, 3, v11
	v_lshlrev_b64 v[4:5], 3, v[8:9]
	v_add_co_ci_u32_e64 v1, s3, v7, v1, s3
	v_add_co_u32 v2, s3, v2, s6
	s_delay_alu instid0(VALU_DEP_1) | instskip(SKIP_3) | instid1(VALU_DEP_1)
	v_add_co_ci_u32_e64 v3, s3, s7, v3, s3
	s_lshl_b64 s[6:7], s[8:9], 3
	v_add_nc_u32_e32 v17, 0x1000, v14
	v_add_co_u32 v4, s3, v4, s6
	v_add_co_ci_u32_e64 v5, s3, s7, v5, s3
	v_add_co_u32 v2, s3, v2, v6
	s_delay_alu instid0(VALU_DEP_1) | instskip(NEXT) | instid1(VALU_DEP_4)
	v_add_co_ci_u32_e64 v3, s3, 0, v3, s3
	v_add_co_u32 v4, s3, v4, v19
	s_delay_alu instid0(VALU_DEP_1) | instskip(NEXT) | instid1(VALU_DEP_4)
	v_add_co_ci_u32_e64 v5, s3, 0, v5, s3
	v_add_co_u32 v2, s3, v2, s10
	s_delay_alu instid0(VALU_DEP_1) | instskip(NEXT) | instid1(VALU_DEP_4)
	v_add_co_ci_u32_e64 v3, s3, s11, v3, s3
	v_add_co_u32 v4, s3, v4, s4
	s_delay_alu instid0(VALU_DEP_1) | instskip(NEXT) | instid1(VALU_DEP_4)
	v_add_co_ci_u32_e64 v5, s3, s5, v5, s3
	v_add_co_u32 v2, s3, v2, 4
	s_delay_alu instid0(VALU_DEP_1) | instskip(NEXT) | instid1(VALU_DEP_4)
	v_add_co_ci_u32_e64 v3, s3, 0, v3, s3
	v_add_co_u32 v4, s3, v4, 4
	s_delay_alu instid0(VALU_DEP_1)
	v_add_co_ci_u32_e64 v5, s3, 0, v5, s3
	s_and_b32 s4, s2, vcc_lo
	s_mov_b64 s[2:3], 0
	s_branch .LBB1541_5
.LBB1541_4:                             ;   in Loop: Header=BB1541_5 Depth=1
	s_or_b32 exec_lo, exec_lo, s5
	s_add_u32 s2, s2, 32
	s_addc_u32 s3, s3, 0
	v_add_co_u32 v2, vcc_lo, 0x100, v2
	v_cmp_lt_i64_e64 s5, s[2:3], s[22:23]
	v_add_co_ci_u32_e32 v3, vcc_lo, 0, v3, vcc_lo
	v_add_co_u32 v4, vcc_lo, 0x100, v4
	v_add_co_ci_u32_e32 v5, vcc_lo, 0, v5, vcc_lo
	s_delay_alu instid0(VALU_DEP_4)
	s_and_b32 vcc_lo, exec_lo, s5
	s_waitcnt_vscnt null, 0x0
	s_barrier
	buffer_gl0_inv
	s_cbranch_vccz .LBB1541_11
.LBB1541_5:                             ; =>This Inner Loop Header: Depth=1
	v_add_co_u32 v6, s5, v10, s2
	s_delay_alu instid0(VALU_DEP_1) | instskip(NEXT) | instid1(VALU_DEP_1)
	v_add_co_ci_u32_e64 v7, null, 0, s3, s5
	v_cmp_gt_i64_e32 vcc_lo, s[22:23], v[6:7]
	v_dual_mov_b32 v6, 0 :: v_dual_mov_b32 v7, 0
	s_and_b32 s6, s0, vcc_lo
	s_delay_alu instid0(SALU_CYCLE_1)
	s_and_saveexec_b32 s5, s6
	s_cbranch_execz .LBB1541_7
; %bb.6:                                ;   in Loop: Header=BB1541_5 Depth=1
	global_load_b64 v[6:7], v[4:5], off offset:-4
.LBB1541_7:                             ;   in Loop: Header=BB1541_5 Depth=1
	s_or_b32 exec_lo, exec_lo, s5
	v_add_co_u32 v8, s5, v11, s2
	s_delay_alu instid0(VALU_DEP_1)
	v_add_co_ci_u32_e64 v9, null, 0, s3, s5
	s_waitcnt vmcnt(0)
	ds_store_b64 v13, v[6:7]
	v_cmp_gt_i64_e32 vcc_lo, s[22:23], v[8:9]
	v_dual_mov_b32 v8, 0 :: v_dual_mov_b32 v9, 0
	s_and_b32 s6, s1, vcc_lo
	s_delay_alu instid0(SALU_CYCLE_1)
	s_and_saveexec_b32 s5, s6
	s_cbranch_execz .LBB1541_9
; %bb.8:                                ;   in Loop: Header=BB1541_5 Depth=1
	global_load_b64 v[8:9], v[2:3], off offset:-4
.LBB1541_9:                             ;   in Loop: Header=BB1541_5 Depth=1
	s_or_b32 exec_lo, exec_lo, s5
	s_waitcnt vmcnt(0)
	ds_store_b64 v15, v[8:9]
	s_waitcnt lgkmcnt(0)
	s_barrier
	buffer_gl0_inv
	s_and_saveexec_b32 s5, s4
	s_cbranch_execz .LBB1541_4
; %bb.10:                               ;   in Loop: Header=BB1541_5 Depth=1
	global_load_b64 v[91:92], v[0:1], off
	ds_load_2addr_b64 v[6:9], v14 offset1:32
	ds_load_b128 v[19:22], v12
	ds_load_b128 v[23:26], v12 offset:16
	ds_load_b128 v[27:30], v12 offset:32
	;; [unrolled: 1-line block ×3, first 2 shown]
	ds_load_2addr_b64 v[35:38], v14 offset0:64 offset1:96
	ds_load_2addr_b64 v[39:42], v14 offset0:128 offset1:160
	;; [unrolled: 1-line block ×3, first 2 shown]
	ds_load_2addr_b64 v[47:50], v16 offset1:32
	ds_load_b128 v[51:54], v12 offset:64
	ds_load_b128 v[55:58], v12 offset:80
	ds_load_2addr_b64 v[59:62], v16 offset0:64 offset1:96
	ds_load_2addr_b64 v[63:66], v16 offset0:128 offset1:160
	ds_load_b128 v[67:70], v12 offset:96
	ds_load_b128 v[71:74], v12 offset:112
	ds_load_2addr_b64 v[75:78], v16 offset0:192 offset1:224
	ds_load_2addr_b64 v[79:82], v17 offset1:32
	ds_load_b128 v[83:86], v12 offset:128
	ds_load_b128 v[87:90], v12 offset:144
	s_waitcnt lgkmcnt(17)
	v_mul_f32_e32 v93, v7, v20
	v_dual_mul_f32 v94, v6, v20 :: v_dual_mul_f32 v95, v8, v22
	s_waitcnt lgkmcnt(13)
	v_dual_mul_f32 v20, v9, v22 :: v_dual_mul_f32 v97, v35, v24
	v_mul_f32_e32 v98, v37, v26
	v_fma_f32 v93, v6, v19, -v93
	v_dual_fmac_f32 v94, v7, v19 :: v_dual_fmac_f32 v95, v9, v21
	v_mul_f32_e32 v19, v36, v24
	v_fma_f32 v96, v8, v21, -v20
	v_mul_f32_e32 v20, v38, v26
	s_waitcnt lgkmcnt(12)
	v_mul_f32_e32 v24, v40, v28
	v_dual_mul_f32 v99, v39, v28 :: v_dual_mul_f32 v26, v42, v30
	v_fma_f32 v100, v35, v23, -v19
	v_mul_f32_e32 v102, v41, v30
	v_add_f32_e32 v35, 0, v94
	s_delay_alu instid0(VALU_DEP_4) | instskip(SKIP_1) | instid1(VALU_DEP_3)
	v_fmac_f32_e32 v99, v40, v27
	v_dual_fmac_f32 v97, v36, v23 :: v_dual_fmac_f32 v98, v38, v25
	v_dual_fmac_f32 v102, v42, v29 :: v_dual_add_f32 v35, v35, v95
	v_fma_f32 v103, v41, v29, -v26
	s_waitcnt lgkmcnt(11)
	v_dual_mul_f32 v36, v44, v32 :: v_dual_mul_f32 v95, v45, v34
	v_mul_f32_e32 v94, v43, v32
	v_dual_mul_f32 v32, v46, v34 :: v_dual_add_f32 v41, v35, v97
	v_add_f32_e32 v34, 0, v93
	v_fma_f32 v101, v37, v25, -v20
	s_waitcnt lgkmcnt(9)
	v_mul_f32_e32 v97, v49, v54
	v_fma_f32 v39, v39, v27, -v24
	v_dual_add_f32 v41, v41, v98 :: v_dual_add_f32 v40, v34, v96
	v_mul_f32_e32 v42, v48, v52
	s_delay_alu instid0(VALU_DEP_4) | instskip(SKIP_1) | instid1(VALU_DEP_4)
	v_dual_mul_f32 v96, v47, v52 :: v_dual_fmac_f32 v97, v50, v53
	v_fma_f32 v93, v43, v31, -v36
	v_dual_add_f32 v40, v40, v100 :: v_dual_fmac_f32 v95, v46, v33
	v_dual_fmac_f32 v94, v44, v31 :: v_dual_mul_f32 v43, v50, v54
	s_delay_alu instid0(VALU_DEP_2) | instskip(SKIP_4) | instid1(VALU_DEP_3)
	v_dual_add_f32 v41, v41, v99 :: v_dual_add_f32 v40, v40, v101
	s_waitcnt lgkmcnt(7)
	v_dual_mul_f32 v101, v61, v58 :: v_dual_mul_f32 v98, v59, v56
	v_fma_f32 v99, v47, v51, -v42
	v_dual_mul_f32 v47, v62, v58 :: v_dual_fmac_f32 v96, v48, v51
	v_fmac_f32_e32 v101, v62, v57
	v_add_f32_e32 v51, v40, v39
	v_mul_f32_e32 v52, v60, v56
	v_fma_f32 v100, v49, v53, -v43
	v_add_f32_e32 v53, v41, v102
	v_fma_f32 v104, v45, v33, -v32
	s_waitcnt lgkmcnt(5)
	v_dual_add_f32 v51, v51, v103 :: v_dual_mul_f32 v56, v66, v70
	v_fma_f32 v102, v59, v55, -v52
	v_fmac_f32_e32 v98, v60, v55
	v_fma_f32 v105, v61, v57, -v47
	s_delay_alu instid0(VALU_DEP_4)
	v_add_f32_e32 v57, v51, v93
	v_dual_mul_f32 v55, v64, v68 :: v_dual_add_f32 v52, v53, v94
	v_mul_f32_e32 v68, v63, v68
	v_mul_f32_e32 v70, v65, v70
	ds_load_2addr_b64 v[6:9], v17 offset0:64 offset1:96
	v_fma_f32 v94, v63, v67, -v55
	v_add_f32_e32 v93, v52, v95
	v_dual_fmac_f32 v68, v64, v67 :: v_dual_add_f32 v63, v57, v104
	v_fma_f32 v67, v65, v69, -v56
	s_waitcnt lgkmcnt(4)
	v_dual_mul_f32 v65, v76, v72 :: v_dual_fmac_f32 v70, v66, v69
	v_mul_f32_e32 v69, v75, v72
	v_dual_add_f32 v64, v93, v96 :: v_dual_add_f32 v63, v63, v99
	ds_load_2addr_b64 v[19:22], v17 offset0:128 offset1:160
	ds_load_b128 v[23:26], v12 offset:160
	ds_load_b128 v[27:30], v12 offset:176
	ds_load_2addr_b64 v[31:34], v17 offset0:192 offset1:224
	v_dual_mul_f32 v66, v78, v74 :: v_dual_fmac_f32 v69, v76, v71
	v_add_f32_e32 v76, v63, v100
	v_fma_f32 v75, v75, v71, -v65
	ds_load_2addr_b64 v[35:38], v18 offset1:32
	v_fma_f32 v71, v77, v73, -v66
	ds_load_b128 v[39:42], v12 offset:192
	ds_load_b128 v[43:46], v12 offset:208
	v_add_f32_e32 v76, v76, v102
	ds_load_2addr_b64 v[47:50], v18 offset0:64 offset1:96
	v_mul_f32_e32 v74, v77, v74
	s_waitcnt lgkmcnt(10)
	v_dual_add_f32 v72, v64, v97 :: v_dual_mul_f32 v77, v79, v84
	v_add_f32_e32 v76, v76, v105
	ds_load_2addr_b64 v[51:54], v18 offset0:128 offset1:160
	v_dual_fmac_f32 v74, v78, v73 :: v_dual_mul_f32 v73, v80, v84
	v_mul_f32_e32 v84, v81, v86
	v_add_f32_e32 v76, v76, v94
	v_mul_f32_e32 v78, v82, v86
	s_waitcnt lgkmcnt(9)
	v_dual_mul_f32 v86, v7, v88 :: v_dual_fmac_f32 v77, v80, v83
	v_fma_f32 v73, v79, v83, -v73
	v_add_f32_e32 v67, v76, v67
	v_add_f32_e32 v72, v72, v98
	s_waitcnt lgkmcnt(7)
	v_mul_f32_e32 v93, v20, v24
	v_mul_f32_e32 v24, v19, v24
	ds_load_b128 v[55:58], v12 offset:224
	ds_load_b128 v[59:62], v12 offset:240
	v_add_f32_e32 v67, v67, v75
	ds_load_2addr_b64 v[63:66], v18 offset0:192 offset1:224
	s_waitcnt lgkmcnt(8)
	v_dual_mul_f32 v75, v34, v30 :: v_dual_fmac_f32 v24, v20, v23
	v_fma_f32 v19, v19, v23, -v93
	v_dual_add_f32 v67, v67, v71 :: v_dual_mul_f32 v88, v6, v88
	s_waitcnt lgkmcnt(6)
	v_mul_f32_e32 v71, v36, v40
	v_mul_f32_e32 v40, v35, v40
	v_fma_f32 v6, v6, v87, -v86
	v_add_f32_e32 v67, v67, v73
	v_add_f32_e32 v72, v72, v101
	v_fmac_f32_e32 v88, v7, v87
	v_fmac_f32_e32 v40, v36, v39
	v_fma_f32 v23, v35, v39, -v71
	s_delay_alu instid0(VALU_DEP_4) | instskip(SKIP_2) | instid1(VALU_DEP_3)
	v_add_f32_e32 v68, v72, v68
	v_mul_f32_e32 v72, v9, v90
	v_mul_f32_e32 v90, v8, v90
	v_add_f32_e32 v68, v68, v70
	s_delay_alu instid0(VALU_DEP_3) | instskip(SKIP_1) | instid1(VALU_DEP_3)
	v_fma_f32 v8, v8, v89, -v72
	s_waitcnt lgkmcnt(4)
	v_dual_fmac_f32 v90, v9, v89 :: v_dual_mul_f32 v9, v47, v44
	v_mul_f32_e32 v30, v33, v30
	v_add_f32_e32 v68, v68, v69
	v_mul_f32_e32 v69, v32, v28
	s_delay_alu instid0(VALU_DEP_4) | instskip(SKIP_1) | instid1(VALU_DEP_4)
	v_dual_mul_f32 v28, v31, v28 :: v_dual_fmac_f32 v9, v48, v43
	v_mul_f32_e32 v76, v38, v42
	v_add_f32_e32 v68, v68, v74
	v_fma_f32 v74, v81, v85, -v78
	v_mul_f32_e32 v42, v37, v42
	v_fmac_f32_e32 v30, v34, v29
	s_delay_alu instid0(VALU_DEP_3) | instskip(NEXT) | instid1(VALU_DEP_3)
	v_dual_fmac_f32 v84, v82, v85 :: v_dual_add_f32 v67, v67, v74
	v_fmac_f32_e32 v42, v38, v41
	v_add_f32_e32 v68, v68, v77
	v_mul_f32_e32 v70, v22, v26
	v_mul_f32_e32 v26, v21, v26
	s_delay_alu instid0(VALU_DEP_3) | instskip(NEXT) | instid1(VALU_DEP_3)
	v_dual_add_f32 v6, v67, v6 :: v_dual_add_f32 v7, v68, v84
	v_fma_f32 v20, v21, v25, -v70
	v_fma_f32 v21, v31, v27, -v69
	s_delay_alu instid0(VALU_DEP_3) | instskip(NEXT) | instid1(VALU_DEP_1)
	v_add_f32_e32 v6, v6, v8
	v_dual_add_f32 v6, v6, v19 :: v_dual_mul_f32 v19, v49, v46
	s_delay_alu instid0(VALU_DEP_1) | instskip(SKIP_1) | instid1(VALU_DEP_2)
	v_add_f32_e32 v6, v6, v20
	s_waitcnt lgkmcnt(2)
	v_dual_fmac_f32 v19, v50, v45 :: v_dual_mul_f32 v20, v52, v56
	s_delay_alu instid0(VALU_DEP_2) | instskip(SKIP_2) | instid1(VALU_DEP_4)
	v_dual_add_f32 v6, v6, v21 :: v_dual_mul_f32 v21, v51, v56
	v_fmac_f32_e32 v26, v22, v25
	v_fma_f32 v22, v33, v29, -v75
	v_fma_f32 v20, v51, v55, -v20
	s_delay_alu instid0(VALU_DEP_2) | instskip(SKIP_1) | instid1(VALU_DEP_2)
	v_dual_fmac_f32 v21, v52, v55 :: v_dual_add_f32 v6, v6, v22
	v_mul_f32_e32 v22, v54, v58
	v_dual_add_f32 v6, v6, v23 :: v_dual_mul_f32 v23, v53, v58
	s_delay_alu instid0(VALU_DEP_1) | instskip(SKIP_1) | instid1(VALU_DEP_1)
	v_dual_fmac_f32 v28, v32, v27 :: v_dual_fmac_f32 v23, v54, v57
	v_add_f32_e32 v7, v7, v88
	v_add_f32_e32 v7, v7, v90
	s_delay_alu instid0(VALU_DEP_1) | instskip(NEXT) | instid1(VALU_DEP_1)
	v_add_f32_e32 v7, v7, v24
	v_add_f32_e32 v7, v7, v26
	s_delay_alu instid0(VALU_DEP_1) | instskip(NEXT) | instid1(VALU_DEP_1)
	;; [unrolled: 3-line block ×3, first 2 shown]
	v_add_f32_e32 v7, v7, v40
	v_add_f32_e32 v7, v7, v42
	s_delay_alu instid0(VALU_DEP_1) | instskip(SKIP_3) | instid1(VALU_DEP_3)
	v_dual_add_f32 v7, v7, v9 :: v_dual_mul_f32 v68, v48, v44
	v_fma_f32 v24, v37, v41, -v76
	s_waitcnt lgkmcnt(0)
	v_mul_f32_e32 v9, v63, v60
	v_add_f32_e32 v7, v7, v19
	v_fma_f32 v25, v47, v43, -v68
	s_delay_alu instid0(VALU_DEP_3) | instskip(NEXT) | instid1(VALU_DEP_3)
	v_dual_add_f32 v6, v6, v24 :: v_dual_fmac_f32 v9, v64, v59
	v_dual_mul_f32 v24, v64, v60 :: v_dual_add_f32 v7, v7, v21
	v_fma_f32 v19, v53, v57, -v22
	s_delay_alu instid0(VALU_DEP_3) | instskip(NEXT) | instid1(VALU_DEP_3)
	v_add_f32_e32 v6, v6, v25
	v_fma_f32 v21, v63, v59, -v24
	s_delay_alu instid0(VALU_DEP_4) | instskip(NEXT) | instid1(VALU_DEP_1)
	v_dual_add_f32 v7, v7, v23 :: v_dual_mul_f32 v8, v50, v46
	v_add_f32_e32 v7, v7, v9
	s_delay_alu instid0(VALU_DEP_2) | instskip(NEXT) | instid1(VALU_DEP_1)
	v_fma_f32 v8, v49, v45, -v8
	v_add_f32_e32 v6, v6, v8
	v_mul_f32_e32 v8, v66, v62
	s_delay_alu instid0(VALU_DEP_2) | instskip(SKIP_1) | instid1(VALU_DEP_3)
	v_add_f32_e32 v6, v6, v20
	v_mul_f32_e32 v20, v65, v62
	v_fma_f32 v8, v65, v61, -v8
	s_delay_alu instid0(VALU_DEP_3) | instskip(NEXT) | instid1(VALU_DEP_3)
	v_add_f32_e32 v6, v6, v19
	v_fmac_f32_e32 v20, v66, v61
	s_delay_alu instid0(VALU_DEP_1) | instskip(NEXT) | instid1(VALU_DEP_1)
	v_dual_add_f32 v6, v6, v21 :: v_dual_add_f32 v7, v7, v20
	v_add_f32_e32 v6, v6, v8
	s_delay_alu instid0(VALU_DEP_1) | instskip(NEXT) | instid1(VALU_DEP_1)
	v_dual_mul_f32 v8, s21, v7 :: v_dual_mul_f32 v9, s21, v6
	v_fma_f32 v6, s20, v6, -v8
	s_waitcnt vmcnt(0)
	s_delay_alu instid0(VALU_DEP_1) | instskip(NEXT) | instid1(VALU_DEP_1)
	v_dual_fmac_f32 v9, s20, v7 :: v_dual_add_f32 v6, v91, v6
	v_add_f32_e32 v7, v92, v9
	global_store_b64 v[0:1], v[6:7], off
	s_branch .LBB1541_4
.LBB1541_11:
	s_endpgm
	.section	.rodata,"a",@progbits
	.p2align	6, 0x0
	.amdhsa_kernel _ZL26rocblas_syr2k_her2k_kernelIlLb0ELb0ELb1ELi32E19rocblas_complex_numIfEPKPKS1_PKPS1_EvbiT_T4_T5_S9_lSB_S9_lT6_S9_li
		.amdhsa_group_segment_fixed_size 16384
		.amdhsa_private_segment_fixed_size 0
		.amdhsa_kernarg_size 100
		.amdhsa_user_sgpr_count 13
		.amdhsa_user_sgpr_dispatch_ptr 0
		.amdhsa_user_sgpr_queue_ptr 0
		.amdhsa_user_sgpr_kernarg_segment_ptr 1
		.amdhsa_user_sgpr_dispatch_id 0
		.amdhsa_user_sgpr_private_segment_size 0
		.amdhsa_wavefront_size32 1
		.amdhsa_uses_dynamic_stack 0
		.amdhsa_enable_private_segment 0
		.amdhsa_system_sgpr_workgroup_id_x 1
		.amdhsa_system_sgpr_workgroup_id_y 1
		.amdhsa_system_sgpr_workgroup_id_z 1
		.amdhsa_system_sgpr_workgroup_info 0
		.amdhsa_system_vgpr_workitem_id 1
		.amdhsa_next_free_vgpr 106
		.amdhsa_next_free_sgpr 30
		.amdhsa_reserve_vcc 1
		.amdhsa_float_round_mode_32 0
		.amdhsa_float_round_mode_16_64 0
		.amdhsa_float_denorm_mode_32 3
		.amdhsa_float_denorm_mode_16_64 3
		.amdhsa_dx10_clamp 1
		.amdhsa_ieee_mode 1
		.amdhsa_fp16_overflow 0
		.amdhsa_workgroup_processor_mode 1
		.amdhsa_memory_ordered 1
		.amdhsa_forward_progress 0
		.amdhsa_shared_vgpr_count 0
		.amdhsa_exception_fp_ieee_invalid_op 0
		.amdhsa_exception_fp_denorm_src 0
		.amdhsa_exception_fp_ieee_div_zero 0
		.amdhsa_exception_fp_ieee_overflow 0
		.amdhsa_exception_fp_ieee_underflow 0
		.amdhsa_exception_fp_ieee_inexact 0
		.amdhsa_exception_int_div_zero 0
	.end_amdhsa_kernel
	.section	.text._ZL26rocblas_syr2k_her2k_kernelIlLb0ELb0ELb1ELi32E19rocblas_complex_numIfEPKPKS1_PKPS1_EvbiT_T4_T5_S9_lSB_S9_lT6_S9_li,"axG",@progbits,_ZL26rocblas_syr2k_her2k_kernelIlLb0ELb0ELb1ELi32E19rocblas_complex_numIfEPKPKS1_PKPS1_EvbiT_T4_T5_S9_lSB_S9_lT6_S9_li,comdat
.Lfunc_end1541:
	.size	_ZL26rocblas_syr2k_her2k_kernelIlLb0ELb0ELb1ELi32E19rocblas_complex_numIfEPKPKS1_PKPS1_EvbiT_T4_T5_S9_lSB_S9_lT6_S9_li, .Lfunc_end1541-_ZL26rocblas_syr2k_her2k_kernelIlLb0ELb0ELb1ELi32E19rocblas_complex_numIfEPKPKS1_PKPS1_EvbiT_T4_T5_S9_lSB_S9_lT6_S9_li
                                        ; -- End function
	.section	.AMDGPU.csdata,"",@progbits
; Kernel info:
; codeLenInByte = 2336
; NumSgprs: 32
; NumVgprs: 106
; ScratchSize: 0
; MemoryBound: 0
; FloatMode: 240
; IeeeMode: 1
; LDSByteSize: 16384 bytes/workgroup (compile time only)
; SGPRBlocks: 3
; VGPRBlocks: 13
; NumSGPRsForWavesPerEU: 32
; NumVGPRsForWavesPerEU: 106
; Occupancy: 12
; WaveLimiterHint : 1
; COMPUTE_PGM_RSRC2:SCRATCH_EN: 0
; COMPUTE_PGM_RSRC2:USER_SGPR: 13
; COMPUTE_PGM_RSRC2:TRAP_HANDLER: 0
; COMPUTE_PGM_RSRC2:TGID_X_EN: 1
; COMPUTE_PGM_RSRC2:TGID_Y_EN: 1
; COMPUTE_PGM_RSRC2:TGID_Z_EN: 1
; COMPUTE_PGM_RSRC2:TIDIG_COMP_CNT: 1
	.section	.text._ZL37rocblas_syrkx_herkx_restricted_kernelIl19rocblas_complex_numIfELi16ELi32ELi8ELi1ELi1ELb0ELc84ELc76EKPKS1_KPS1_EviT_PT9_S7_lS9_S7_lPT10_S7_li,"axG",@progbits,_ZL37rocblas_syrkx_herkx_restricted_kernelIl19rocblas_complex_numIfELi16ELi32ELi8ELi1ELi1ELb0ELc84ELc76EKPKS1_KPS1_EviT_PT9_S7_lS9_S7_lPT10_S7_li,comdat
	.globl	_ZL37rocblas_syrkx_herkx_restricted_kernelIl19rocblas_complex_numIfELi16ELi32ELi8ELi1ELi1ELb0ELc84ELc76EKPKS1_KPS1_EviT_PT9_S7_lS9_S7_lPT10_S7_li ; -- Begin function _ZL37rocblas_syrkx_herkx_restricted_kernelIl19rocblas_complex_numIfELi16ELi32ELi8ELi1ELi1ELb0ELc84ELc76EKPKS1_KPS1_EviT_PT9_S7_lS9_S7_lPT10_S7_li
	.p2align	8
	.type	_ZL37rocblas_syrkx_herkx_restricted_kernelIl19rocblas_complex_numIfELi16ELi32ELi8ELi1ELi1ELb0ELc84ELc76EKPKS1_KPS1_EviT_PT9_S7_lS9_S7_lPT10_S7_li,@function
_ZL37rocblas_syrkx_herkx_restricted_kernelIl19rocblas_complex_numIfELi16ELi32ELi8ELi1ELi1ELb0ELc84ELc76EKPKS1_KPS1_EviT_PT9_S7_lS9_S7_lPT10_S7_li: ; @_ZL37rocblas_syrkx_herkx_restricted_kernelIl19rocblas_complex_numIfELi16ELi32ELi8ELi1ELi1ELb0ELc84ELc76EKPKS1_KPS1_EviT_PT9_S7_lS9_S7_lPT10_S7_li
; %bb.0:
	s_clause 0x1
	s_load_b128 s[4:7], s[0:1], 0x40
	s_load_b128 s[8:11], s[0:1], 0x8
	s_mov_b32 s2, s15
	s_mov_b32 s3, 0
	v_dual_mov_b32 v17, 0 :: v_dual_and_b32 v6, 0x3ff, v0
	s_lshl_b64 s[16:17], s[2:3], 3
	v_bfe_u32 v7, v0, 10, 10
	v_dual_mov_b32 v16, 0 :: v_dual_mov_b32 v11, 0
	v_dual_mov_b32 v10, 0 :: v_dual_mov_b32 v9, 0
	;; [unrolled: 1-line block ×3, first 2 shown]
	v_mov_b32_e32 v0, 0
	s_waitcnt lgkmcnt(0)
	s_add_u32 s2, s4, s16
	s_addc_u32 s3, s5, s17
	v_cmp_lt_i64_e64 s4, s[8:9], 1
	s_load_b64 s[2:3], s[2:3], 0x0
	s_lshl_b32 s18, s13, 5
	s_lshl_b32 s19, s14, 5
	s_delay_alu instid0(VALU_DEP_1)
	s_and_b32 vcc_lo, exec_lo, s4
	s_cbranch_vccnz .LBB1542_3
; %bb.1:
	s_clause 0x1
	s_load_b128 s[12:15], s[0:1], 0x28
	s_load_b64 s[4:5], s[0:1], 0x18
	v_lshl_add_u32 v2, v7, 4, v6
	v_dual_mov_b32 v1, 0 :: v_dual_and_b32 v0, 7, v6
	s_add_u32 s10, s10, s16
	s_addc_u32 s11, s11, s17
	s_delay_alu instid0(VALU_DEP_2)
	v_lshrrev_b32_e32 v10, 3, v2
	v_and_b32_e32 v11, 31, v2
	v_lshrrev_b32_e32 v2, 5, v2
	v_mov_b32_e32 v3, v1
	s_load_b64 s[10:11], s[10:11], 0x0
	v_add_nc_u32_e32 v12, s19, v10
	v_add_nc_u32_e32 v8, s18, v11
	v_dual_mov_b32 v16, v1 :: v_dual_lshlrev_b32 v11, 3, v11
	v_mov_b32_e32 v17, v1
	s_delay_alu instid0(VALU_DEP_4) | instskip(NEXT) | instid1(VALU_DEP_4)
	v_ashrrev_i32_e32 v4, 31, v12
	v_ashrrev_i32_e32 v5, 31, v8
	s_waitcnt lgkmcnt(0)
	s_add_u32 s12, s12, s16
	s_addc_u32 s13, s13, s17
	v_mul_lo_u32 v13, v4, s14
	v_mul_lo_u32 v14, s4, v5
	v_mad_u64_u32 v[4:5], null, s4, v8, v[2:3]
	v_mul_lo_u32 v3, s5, v8
	s_load_b64 s[4:5], s[12:13], 0x0
	v_mul_lo_u32 v15, v12, s15
	v_mad_u64_u32 v[8:9], null, v12, s14, v[0:1]
	v_lshlrev_b32_e32 v0, 3, v0
	v_lshlrev_b32_e32 v12, 3, v6
	v_add3_u32 v5, v3, v5, v14
	v_lshl_or_b32 v14, v2, 8, v11
	v_mov_b32_e32 v11, v1
	v_add3_u32 v9, v13, v9, v15
	v_lshl_or_b32 v0, v10, 6, v0
	v_lshlrev_b64 v[3:4], 3, v[4:5]
	v_lshl_add_u32 v13, v7, 6, 0x800
	v_mov_b32_e32 v10, v1
	v_lshlrev_b64 v[8:9], 3, v[8:9]
	v_add_nc_u32_e32 v15, 0x800, v0
	v_add_co_u32 v0, vcc_lo, v3, s10
	v_add_co_ci_u32_e32 v3, vcc_lo, s11, v4, vcc_lo
	s_waitcnt lgkmcnt(0)
	s_delay_alu instid0(VALU_DEP_4) | instskip(SKIP_3) | instid1(VALU_DEP_4)
	v_add_co_u32 v4, vcc_lo, v8, s4
	v_add_co_ci_u32_e32 v5, vcc_lo, s5, v9, vcc_lo
	v_add_co_u32 v2, vcc_lo, v0, 4
	v_add_co_ci_u32_e32 v3, vcc_lo, 0, v3, vcc_lo
	v_add_co_u32 v4, vcc_lo, v4, 4
	s_delay_alu instid0(VALU_DEP_4)
	v_add_co_ci_u32_e32 v5, vcc_lo, 0, v5, vcc_lo
	v_mov_b32_e32 v0, v1
	v_mov_b32_e32 v8, v1
	;; [unrolled: 1-line block ×3, first 2 shown]
	s_mov_b64 s[4:5], 0
.LBB1542_2:                             ; =>This Inner Loop Header: Depth=1
	global_load_b64 v[18:19], v[2:3], off offset:-4
	global_load_b64 v[20:21], v[4:5], off offset:-4
	s_add_u32 s4, s4, 8
	v_add_co_u32 v2, vcc_lo, v2, 64
	s_addc_u32 s5, s5, 0
	v_add_co_ci_u32_e32 v3, vcc_lo, 0, v3, vcc_lo
	v_cmp_ge_u64_e64 s10, s[4:5], s[8:9]
	v_add_co_u32 v4, vcc_lo, v4, 64
	v_add_co_ci_u32_e32 v5, vcc_lo, 0, v5, vcc_lo
	s_waitcnt vmcnt(1)
	ds_store_b64 v14, v[18:19]
	s_waitcnt vmcnt(0)
	ds_store_b64 v15, v[20:21]
	s_waitcnt lgkmcnt(0)
	s_barrier
	buffer_gl0_inv
	ds_load_2addr_b64 v[18:21], v12 offset1:16
	ds_load_b128 v[22:25], v13
	ds_load_b128 v[26:29], v13 offset:1024
	ds_load_b128 v[30:33], v13 offset:16
	;; [unrolled: 1-line block ×4, first 2 shown]
	ds_load_2addr_b64 v[42:45], v12 offset0:32 offset1:48
	ds_load_2addr_b64 v[46:49], v12 offset0:64 offset1:80
	ds_load_b128 v[50:53], v13 offset:1040
	ds_load_2addr_b64 v[54:57], v12 offset0:96 offset1:112
	ds_load_2addr_b64 v[58:61], v12 offset0:128 offset1:144
	;; [unrolled: 1-line block ×4, first 2 shown]
	ds_load_b128 v[70:73], v13 offset:1056
	ds_load_b128 v[74:77], v13 offset:1072
	ds_load_2addr_b64 v[78:81], v12 offset0:224 offset1:240
	s_and_b32 vcc_lo, exec_lo, s10
	s_waitcnt lgkmcnt(0)
	s_barrier
	buffer_gl0_inv
	v_dual_mul_f32 v82, v23, v19 :: v_dual_mul_f32 v85, v22, v21
	v_dual_mul_f32 v83, v22, v19 :: v_dual_mul_f32 v84, v23, v21
	v_mul_f32_e32 v86, v27, v19
	v_dual_mul_f32 v19, v26, v19 :: v_dual_mul_f32 v90, v25, v45
	v_dual_mul_f32 v87, v27, v21 :: v_dual_mul_f32 v88, v25, v43
	v_mul_f32_e32 v21, v26, v21
	v_fma_f32 v82, v22, v18, -v82
	v_fmac_f32_e32 v83, v23, v18
	v_fma_f32 v22, v22, v20, -v84
	v_fmac_f32_e32 v85, v23, v20
	v_fma_f32 v23, v26, v18, -v86
	v_dual_fmac_f32 v19, v27, v18 :: v_dual_mul_f32 v86, v30, v47
	v_fma_f32 v18, v26, v20, -v87
	v_dual_fmac_f32 v21, v27, v20 :: v_dual_mul_f32 v20, v24, v45
	v_mul_f32_e32 v89, v24, v43
	v_mul_f32_e32 v26, v29, v43
	;; [unrolled: 1-line block ×4, first 2 shown]
	v_fmac_f32_e32 v20, v25, v44
	v_fmac_f32_e32 v89, v25, v42
	v_dual_mul_f32 v25, v28, v45 :: v_dual_fmac_f32 v86, v31, v46
	v_fma_f32 v84, v24, v42, -v88
	v_fma_f32 v24, v24, v44, -v90
	v_dual_mul_f32 v45, v31, v47 :: v_dual_mul_f32 v90, v33, v57
	v_fma_f32 v26, v28, v42, -v26
	v_fma_f32 v28, v28, v44, -v43
	v_fmac_f32_e32 v25, v29, v44
	v_dual_mul_f32 v43, v50, v47 :: v_dual_mul_f32 v44, v51, v49
	v_dual_fmac_f32 v27, v29, v42 :: v_dual_mul_f32 v42, v51, v47
	v_dual_mul_f32 v88, v32, v55 :: v_dual_mul_f32 v29, v30, v49
	v_mul_f32_e32 v87, v31, v49
	v_fma_f32 v45, v30, v46, -v45
	v_add_f32_e32 v10, v10, v85
	s_delay_alu instid0(VALU_DEP_4)
	v_dual_fmac_f32 v88, v33, v54 :: v_dual_fmac_f32 v29, v31, v48
	v_fma_f32 v31, v50, v46, -v42
	v_fma_f32 v42, v50, v48, -v44
	v_mul_f32_e32 v44, v32, v57
	v_mul_f32_e32 v47, v50, v49
	v_dual_mul_f32 v50, v53, v57 :: v_dual_fmac_f32 v43, v51, v46
	v_mul_f32_e32 v46, v53, v55
	v_mul_f32_e32 v49, v33, v55
	v_fma_f32 v30, v30, v48, -v87
	v_fmac_f32_e32 v44, v33, v56
	v_dual_fmac_f32 v47, v51, v48 :: v_dual_mul_f32 v48, v52, v55
	v_mul_f32_e32 v33, v52, v57
	v_fma_f32 v46, v52, v54, -v46
	v_fma_f32 v50, v52, v56, -v50
	v_mul_f32_e32 v52, v34, v61
	v_fma_f32 v49, v32, v54, -v49
	v_fma_f32 v32, v32, v56, -v90
	v_dual_mul_f32 v51, v35, v59 :: v_dual_fmac_f32 v48, v53, v54
	v_mul_f32_e32 v54, v70, v59
	v_dual_mul_f32 v55, v34, v59 :: v_dual_fmac_f32 v52, v35, v60
	v_fmac_f32_e32 v33, v53, v56
	v_mul_f32_e32 v53, v71, v59
	v_mul_f32_e32 v56, v71, v61
	;; [unrolled: 1-line block ×3, first 2 shown]
	v_fmac_f32_e32 v54, v71, v58
	v_fmac_f32_e32 v55, v35, v58
	v_fma_f32 v35, v70, v58, -v53
	v_fma_f32 v53, v70, v60, -v56
	v_mul_f32_e32 v56, v36, v65
	v_mul_f32_e32 v59, v70, v61
	v_fma_f32 v51, v34, v58, -v51
	v_mul_f32_e32 v58, v72, v63
	v_mul_f32_e32 v87, v36, v63
	v_mul_f32_e32 v61, v37, v63
	v_mul_f32_e32 v90, v37, v65
	v_fma_f32 v34, v34, v60, -v57
	v_mul_f32_e32 v57, v73, v63
	v_fmac_f32_e32 v56, v37, v64
	v_dual_fmac_f32 v59, v71, v60 :: v_dual_mul_f32 v60, v73, v65
	v_mul_f32_e32 v63, v39, v67
	v_mul_f32_e32 v70, v39, v69
	v_fmac_f32_e32 v58, v73, v62
	v_fmac_f32_e32 v87, v37, v62
	v_mul_f32_e32 v37, v72, v65
	v_fma_f32 v61, v36, v62, -v61
	v_fma_f32 v36, v36, v64, -v90
	v_mul_f32_e32 v65, v38, v67
	v_fma_f32 v57, v72, v62, -v57
	v_fma_f32 v60, v72, v64, -v60
	v_dual_fmac_f32 v37, v73, v64 :: v_dual_mul_f32 v62, v38, v69
	v_mul_f32_e32 v64, v75, v67
	v_mul_f32_e32 v73, v40, v79
	v_fma_f32 v63, v38, v66, -v63
	v_fma_f32 v38, v38, v68, -v70
	v_mul_f32_e32 v70, v76, v79
	v_mul_f32_e32 v67, v74, v67
	v_dual_mul_f32 v71, v75, v69 :: v_dual_add_f32 v16, v16, v82
	v_dual_mul_f32 v69, v74, v69 :: v_dual_add_f32 v8, v8, v19
	v_fmac_f32_e32 v65, v39, v66
	v_fmac_f32_e32 v62, v39, v68
	s_delay_alu instid0(VALU_DEP_4)
	v_add_f32_e32 v16, v16, v84
	v_fma_f32 v39, v74, v66, -v64
	v_fmac_f32_e32 v70, v77, v78
	v_dual_fmac_f32 v67, v75, v66 :: v_dual_add_f32 v10, v10, v20
	v_mul_f32_e32 v66, v40, v81
	v_mul_f32_e32 v72, v41, v79
	v_mul_f32_e32 v90, v41, v81
	v_fma_f32 v64, v74, v68, -v71
	v_dual_fmac_f32 v69, v75, v68 :: v_dual_add_f32 v0, v0, v18
	v_dual_mul_f32 v71, v77, v81 :: v_dual_add_f32 v8, v8, v27
	v_fmac_f32_e32 v73, v41, v78
	v_fmac_f32_e32 v66, v41, v80
	s_delay_alu instid0(VALU_DEP_4) | instskip(SKIP_3) | instid1(VALU_DEP_4)
	v_dual_add_f32 v0, v0, v28 :: v_dual_add_f32 v17, v17, v83
	v_add_f32_e32 v10, v10, v29
	v_mul_f32_e32 v41, v76, v81
	v_dual_add_f32 v11, v11, v22 :: v_dual_add_f32 v8, v8, v43
	v_dual_add_f32 v9, v9, v23 :: v_dual_add_f32 v0, v0, v42
	v_add_f32_e32 v1, v1, v21
	v_add_f32_e32 v16, v16, v45
	s_delay_alu instid0(VALU_DEP_4)
	v_add_f32_e32 v8, v8, v48
	v_add_f32_e32 v10, v10, v44
	v_fmac_f32_e32 v41, v77, v80
	v_dual_add_f32 v17, v17, v89 :: v_dual_add_f32 v0, v0, v50
	v_dual_add_f32 v11, v11, v24 :: v_dual_add_f32 v16, v16, v49
	v_add_f32_e32 v9, v9, v26
	v_dual_add_f32 v1, v1, v25 :: v_dual_add_f32 v10, v10, v52
	s_delay_alu instid0(VALU_DEP_4) | instskip(NEXT) | instid1(VALU_DEP_4)
	v_dual_add_f32 v17, v17, v86 :: v_dual_add_f32 v0, v0, v53
	v_dual_add_f32 v16, v16, v51 :: v_dual_add_f32 v11, v11, v30
	s_delay_alu instid0(VALU_DEP_4) | instskip(NEXT) | instid1(VALU_DEP_4)
	v_dual_add_f32 v9, v9, v31 :: v_dual_add_f32 v8, v8, v54
	v_dual_add_f32 v1, v1, v47 :: v_dual_add_f32 v10, v10, v56
	s_delay_alu instid0(VALU_DEP_4) | instskip(NEXT) | instid1(VALU_DEP_3)
	v_add_f32_e32 v17, v17, v88
	v_dual_add_f32 v9, v9, v46 :: v_dual_add_f32 v0, v0, v60
	s_delay_alu instid0(VALU_DEP_3) | instskip(SKIP_2) | instid1(VALU_DEP_3)
	v_dual_add_f32 v1, v1, v33 :: v_dual_add_f32 v10, v10, v62
	v_dual_add_f32 v16, v16, v61 :: v_dual_add_f32 v11, v11, v32
	v_fma_f32 v72, v40, v78, -v72
	v_dual_add_f32 v1, v1, v59 :: v_dual_add_f32 v10, v10, v66
	v_dual_add_f32 v8, v8, v58 :: v_dual_add_f32 v17, v17, v55
	v_add_f32_e32 v0, v0, v64
	v_dual_add_f32 v16, v16, v63 :: v_dual_add_f32 v11, v11, v34
	s_delay_alu instid0(VALU_DEP_3) | instskip(SKIP_2) | instid1(VALU_DEP_4)
	v_add_f32_e32 v8, v8, v67
	v_add_f32_e32 v9, v9, v35
	v_mul_f32_e32 v68, v77, v79
	v_add_f32_e32 v16, v16, v72
	v_fma_f32 v71, v76, v80, -v71
	v_dual_add_f32 v17, v17, v87 :: v_dual_add_f32 v8, v8, v70
	v_add_f32_e32 v11, v11, v36
	s_delay_alu instid0(VALU_DEP_3)
	v_dual_add_f32 v9, v9, v57 :: v_dual_add_f32 v0, v0, v71
	v_add_f32_e32 v1, v1, v37
	v_fma_f32 v40, v40, v80, -v90
	v_fma_f32 v68, v76, v78, -v68
	v_add_f32_e32 v17, v17, v65
	v_add_f32_e32 v11, v11, v38
	v_add_f32_e32 v9, v9, v39
	v_add_f32_e32 v1, v1, v69
	s_delay_alu instid0(VALU_DEP_4) | instskip(NEXT) | instid1(VALU_DEP_4)
	v_add_f32_e32 v17, v17, v73
	v_add_f32_e32 v11, v11, v40
	s_delay_alu instid0(VALU_DEP_4) | instskip(NEXT) | instid1(VALU_DEP_4)
	v_add_f32_e32 v9, v9, v68
	v_add_f32_e32 v1, v1, v41
	s_cbranch_vccz .LBB1542_2
.LBB1542_3:
	v_add_nc_u32_e32 v7, s19, v7
	s_load_b32 s4, s[0:1], 0x0
	s_delay_alu instid0(VALU_DEP_1) | instskip(SKIP_2) | instid1(VALU_DEP_3)
	v_ashrrev_i32_e32 v2, 31, v7
	v_mul_lo_u32 v5, v7, s7
	v_mad_u64_u32 v[3:4], null, v7, s6, 0
	v_mul_lo_u32 v2, v2, s6
	s_delay_alu instid0(VALU_DEP_1) | instskip(SKIP_1) | instid1(VALU_DEP_2)
	v_add3_u32 v4, v4, v5, v2
	v_add_nc_u32_e32 v2, s18, v6
	v_lshlrev_b64 v[3:4], 3, v[3:4]
	s_delay_alu instid0(VALU_DEP_2) | instskip(SKIP_2) | instid1(VALU_DEP_3)
	v_cmp_le_i32_e64 s0, v7, v2
	s_waitcnt lgkmcnt(0)
	v_cmp_gt_i32_e32 vcc_lo, s4, v2
	v_add_co_u32 v6, s1, s2, v3
	s_delay_alu instid0(VALU_DEP_1) | instskip(SKIP_1) | instid1(SALU_CYCLE_1)
	v_add_co_ci_u32_e64 v12, s1, s3, v4, s1
	s_and_b32 s0, s0, vcc_lo
	s_and_saveexec_b32 s1, s0
	s_cbranch_execz .LBB1542_5
; %bb.4:
	v_ashrrev_i32_e32 v3, 31, v2
	s_delay_alu instid0(VALU_DEP_1) | instskip(NEXT) | instid1(VALU_DEP_1)
	v_lshlrev_b64 v[3:4], 3, v[2:3]
	v_add_co_u32 v3, s0, v6, v3
	s_delay_alu instid0(VALU_DEP_1)
	v_add_co_ci_u32_e64 v4, s0, v12, v4, s0
	global_load_b64 v[13:14], v[3:4], off
	s_waitcnt vmcnt(0)
	v_dual_add_f32 v13, v16, v13 :: v_dual_add_f32 v14, v17, v14
	global_store_b64 v[3:4], v[13:14], off
.LBB1542_5:
	s_or_b32 exec_lo, exec_lo, s1
	v_add_nc_u32_e32 v4, 16, v2
	s_delay_alu instid0(VALU_DEP_1) | instskip(SKIP_1) | instid1(VALU_DEP_1)
	v_cmp_le_i32_e64 s1, v7, v4
	v_cmp_gt_i32_e64 s0, s4, v4
	s_and_b32 s1, s1, s0
	s_delay_alu instid0(SALU_CYCLE_1)
	s_and_saveexec_b32 s4, s1
	s_cbranch_execz .LBB1542_7
; %bb.6:
	v_ashrrev_i32_e32 v5, 31, v4
	s_delay_alu instid0(VALU_DEP_1) | instskip(NEXT) | instid1(VALU_DEP_1)
	v_lshlrev_b64 v[13:14], 3, v[4:5]
	v_add_co_u32 v5, s1, v6, v13
	s_delay_alu instid0(VALU_DEP_1)
	v_add_co_ci_u32_e64 v6, s1, v12, v14, s1
	global_load_b64 v[12:13], v[5:6], off
	s_waitcnt vmcnt(0)
	v_dual_add_f32 v11, v11, v12 :: v_dual_add_f32 v12, v10, v13
	global_store_b64 v[5:6], v[11:12], off
.LBB1542_7:
	s_or_b32 exec_lo, exec_lo, s4
	v_add_nc_u32_e32 v5, 16, v7
	s_delay_alu instid0(VALU_DEP_1) | instskip(SKIP_3) | instid1(VALU_DEP_4)
	v_ashrrev_i32_e32 v3, 31, v5
	v_mul_lo_u32 v10, v5, s7
	v_mad_u64_u32 v[6:7], null, v5, s6, 0
	v_cmp_le_i32_e64 s1, v5, v2
	v_mul_lo_u32 v3, v3, s6
	s_delay_alu instid0(VALU_DEP_1) | instskip(NEXT) | instid1(VALU_DEP_1)
	v_add3_u32 v7, v7, v10, v3
	v_lshlrev_b64 v[6:7], 3, v[6:7]
	s_delay_alu instid0(VALU_DEP_1) | instskip(NEXT) | instid1(VALU_DEP_1)
	v_add_co_u32 v6, s2, s2, v6
	v_add_co_ci_u32_e64 v7, s2, s3, v7, s2
	s_and_b32 s2, s1, vcc_lo
	s_delay_alu instid0(SALU_CYCLE_1)
	s_and_saveexec_b32 s1, s2
	s_cbranch_execz .LBB1542_9
; %bb.8:
	v_ashrrev_i32_e32 v3, 31, v2
	s_delay_alu instid0(VALU_DEP_1) | instskip(NEXT) | instid1(VALU_DEP_1)
	v_lshlrev_b64 v[2:3], 3, v[2:3]
	v_add_co_u32 v2, vcc_lo, v6, v2
	s_delay_alu instid0(VALU_DEP_2)
	v_add_co_ci_u32_e32 v3, vcc_lo, v7, v3, vcc_lo
	global_load_b64 v[10:11], v[2:3], off
	s_waitcnt vmcnt(0)
	v_dual_add_f32 v9, v9, v10 :: v_dual_add_f32 v10, v8, v11
	global_store_b64 v[2:3], v[9:10], off
.LBB1542_9:
	s_or_b32 exec_lo, exec_lo, s1
	v_cmp_le_i32_e32 vcc_lo, v5, v4
	s_and_b32 s0, vcc_lo, s0
	s_delay_alu instid0(SALU_CYCLE_1)
	s_and_saveexec_b32 s1, s0
	s_cbranch_execz .LBB1542_11
; %bb.10:
	v_ashrrev_i32_e32 v5, 31, v4
	s_delay_alu instid0(VALU_DEP_1) | instskip(NEXT) | instid1(VALU_DEP_1)
	v_lshlrev_b64 v[2:3], 3, v[4:5]
	v_add_co_u32 v2, vcc_lo, v6, v2
	s_delay_alu instid0(VALU_DEP_2)
	v_add_co_ci_u32_e32 v3, vcc_lo, v7, v3, vcc_lo
	global_load_b64 v[4:5], v[2:3], off
	s_waitcnt vmcnt(0)
	v_dual_add_f32 v0, v0, v4 :: v_dual_add_f32 v1, v1, v5
	global_store_b64 v[2:3], v[0:1], off
.LBB1542_11:
	s_nop 0
	s_sendmsg sendmsg(MSG_DEALLOC_VGPRS)
	s_endpgm
	.section	.rodata,"a",@progbits
	.p2align	6, 0x0
	.amdhsa_kernel _ZL37rocblas_syrkx_herkx_restricted_kernelIl19rocblas_complex_numIfELi16ELi32ELi8ELi1ELi1ELb0ELc84ELc76EKPKS1_KPS1_EviT_PT9_S7_lS9_S7_lPT10_S7_li
		.amdhsa_group_segment_fixed_size 4096
		.amdhsa_private_segment_fixed_size 0
		.amdhsa_kernarg_size 92
		.amdhsa_user_sgpr_count 13
		.amdhsa_user_sgpr_dispatch_ptr 0
		.amdhsa_user_sgpr_queue_ptr 0
		.amdhsa_user_sgpr_kernarg_segment_ptr 1
		.amdhsa_user_sgpr_dispatch_id 0
		.amdhsa_user_sgpr_private_segment_size 0
		.amdhsa_wavefront_size32 1
		.amdhsa_uses_dynamic_stack 0
		.amdhsa_enable_private_segment 0
		.amdhsa_system_sgpr_workgroup_id_x 1
		.amdhsa_system_sgpr_workgroup_id_y 1
		.amdhsa_system_sgpr_workgroup_id_z 1
		.amdhsa_system_sgpr_workgroup_info 0
		.amdhsa_system_vgpr_workitem_id 1
		.amdhsa_next_free_vgpr 91
		.amdhsa_next_free_sgpr 20
		.amdhsa_reserve_vcc 1
		.amdhsa_float_round_mode_32 0
		.amdhsa_float_round_mode_16_64 0
		.amdhsa_float_denorm_mode_32 3
		.amdhsa_float_denorm_mode_16_64 3
		.amdhsa_dx10_clamp 1
		.amdhsa_ieee_mode 1
		.amdhsa_fp16_overflow 0
		.amdhsa_workgroup_processor_mode 1
		.amdhsa_memory_ordered 1
		.amdhsa_forward_progress 0
		.amdhsa_shared_vgpr_count 0
		.amdhsa_exception_fp_ieee_invalid_op 0
		.amdhsa_exception_fp_denorm_src 0
		.amdhsa_exception_fp_ieee_div_zero 0
		.amdhsa_exception_fp_ieee_overflow 0
		.amdhsa_exception_fp_ieee_underflow 0
		.amdhsa_exception_fp_ieee_inexact 0
		.amdhsa_exception_int_div_zero 0
	.end_amdhsa_kernel
	.section	.text._ZL37rocblas_syrkx_herkx_restricted_kernelIl19rocblas_complex_numIfELi16ELi32ELi8ELi1ELi1ELb0ELc84ELc76EKPKS1_KPS1_EviT_PT9_S7_lS9_S7_lPT10_S7_li,"axG",@progbits,_ZL37rocblas_syrkx_herkx_restricted_kernelIl19rocblas_complex_numIfELi16ELi32ELi8ELi1ELi1ELb0ELc84ELc76EKPKS1_KPS1_EviT_PT9_S7_lS9_S7_lPT10_S7_li,comdat
.Lfunc_end1542:
	.size	_ZL37rocblas_syrkx_herkx_restricted_kernelIl19rocblas_complex_numIfELi16ELi32ELi8ELi1ELi1ELb0ELc84ELc76EKPKS1_KPS1_EviT_PT9_S7_lS9_S7_lPT10_S7_li, .Lfunc_end1542-_ZL37rocblas_syrkx_herkx_restricted_kernelIl19rocblas_complex_numIfELi16ELi32ELi8ELi1ELi1ELb0ELc84ELc76EKPKS1_KPS1_EviT_PT9_S7_lS9_S7_lPT10_S7_li
                                        ; -- End function
	.section	.AMDGPU.csdata,"",@progbits
; Kernel info:
; codeLenInByte = 2204
; NumSgprs: 22
; NumVgprs: 91
; ScratchSize: 0
; MemoryBound: 0
; FloatMode: 240
; IeeeMode: 1
; LDSByteSize: 4096 bytes/workgroup (compile time only)
; SGPRBlocks: 2
; VGPRBlocks: 11
; NumSGPRsForWavesPerEU: 22
; NumVGPRsForWavesPerEU: 91
; Occupancy: 16
; WaveLimiterHint : 1
; COMPUTE_PGM_RSRC2:SCRATCH_EN: 0
; COMPUTE_PGM_RSRC2:USER_SGPR: 13
; COMPUTE_PGM_RSRC2:TRAP_HANDLER: 0
; COMPUTE_PGM_RSRC2:TGID_X_EN: 1
; COMPUTE_PGM_RSRC2:TGID_Y_EN: 1
; COMPUTE_PGM_RSRC2:TGID_Z_EN: 1
; COMPUTE_PGM_RSRC2:TIDIG_COMP_CNT: 1
	.section	.text._ZL37rocblas_syrkx_herkx_restricted_kernelIl19rocblas_complex_numIfELi16ELi32ELi8ELi1ELi1ELb0ELc67ELc76EKPKS1_KPS1_EviT_PT9_S7_lS9_S7_lPT10_S7_li,"axG",@progbits,_ZL37rocblas_syrkx_herkx_restricted_kernelIl19rocblas_complex_numIfELi16ELi32ELi8ELi1ELi1ELb0ELc67ELc76EKPKS1_KPS1_EviT_PT9_S7_lS9_S7_lPT10_S7_li,comdat
	.globl	_ZL37rocblas_syrkx_herkx_restricted_kernelIl19rocblas_complex_numIfELi16ELi32ELi8ELi1ELi1ELb0ELc67ELc76EKPKS1_KPS1_EviT_PT9_S7_lS9_S7_lPT10_S7_li ; -- Begin function _ZL37rocblas_syrkx_herkx_restricted_kernelIl19rocblas_complex_numIfELi16ELi32ELi8ELi1ELi1ELb0ELc67ELc76EKPKS1_KPS1_EviT_PT9_S7_lS9_S7_lPT10_S7_li
	.p2align	8
	.type	_ZL37rocblas_syrkx_herkx_restricted_kernelIl19rocblas_complex_numIfELi16ELi32ELi8ELi1ELi1ELb0ELc67ELc76EKPKS1_KPS1_EviT_PT9_S7_lS9_S7_lPT10_S7_li,@function
_ZL37rocblas_syrkx_herkx_restricted_kernelIl19rocblas_complex_numIfELi16ELi32ELi8ELi1ELi1ELb0ELc67ELc76EKPKS1_KPS1_EviT_PT9_S7_lS9_S7_lPT10_S7_li: ; @_ZL37rocblas_syrkx_herkx_restricted_kernelIl19rocblas_complex_numIfELi16ELi32ELi8ELi1ELi1ELb0ELc67ELc76EKPKS1_KPS1_EviT_PT9_S7_lS9_S7_lPT10_S7_li
; %bb.0:
	s_clause 0x1
	s_load_b128 s[4:7], s[0:1], 0x40
	s_load_b128 s[8:11], s[0:1], 0x8
	s_mov_b32 s2, s15
	s_mov_b32 s3, 0
	v_dual_mov_b32 v17, 0 :: v_dual_and_b32 v6, 0x3ff, v0
	s_lshl_b64 s[16:17], s[2:3], 3
	v_bfe_u32 v7, v0, 10, 10
	v_dual_mov_b32 v16, 0 :: v_dual_mov_b32 v11, 0
	v_dual_mov_b32 v10, 0 :: v_dual_mov_b32 v9, 0
	;; [unrolled: 1-line block ×3, first 2 shown]
	v_mov_b32_e32 v0, 0
	s_waitcnt lgkmcnt(0)
	s_add_u32 s2, s4, s16
	s_addc_u32 s3, s5, s17
	v_cmp_lt_i64_e64 s4, s[8:9], 1
	s_load_b64 s[2:3], s[2:3], 0x0
	s_lshl_b32 s18, s13, 5
	s_lshl_b32 s19, s14, 5
	s_delay_alu instid0(VALU_DEP_1)
	s_and_b32 vcc_lo, exec_lo, s4
	s_cbranch_vccnz .LBB1543_3
; %bb.1:
	s_clause 0x1
	s_load_b128 s[12:15], s[0:1], 0x28
	s_load_b64 s[4:5], s[0:1], 0x18
	v_lshl_add_u32 v2, v7, 4, v6
	v_dual_mov_b32 v1, 0 :: v_dual_and_b32 v0, 7, v6
	s_add_u32 s10, s10, s16
	s_addc_u32 s11, s11, s17
	s_delay_alu instid0(VALU_DEP_2)
	v_lshrrev_b32_e32 v10, 3, v2
	v_and_b32_e32 v11, 31, v2
	v_lshrrev_b32_e32 v2, 5, v2
	v_mov_b32_e32 v3, v1
	s_load_b64 s[10:11], s[10:11], 0x0
	v_add_nc_u32_e32 v12, s19, v10
	v_add_nc_u32_e32 v8, s18, v11
	v_dual_mov_b32 v16, v1 :: v_dual_lshlrev_b32 v11, 3, v11
	v_mov_b32_e32 v17, v1
	s_delay_alu instid0(VALU_DEP_4) | instskip(NEXT) | instid1(VALU_DEP_4)
	v_ashrrev_i32_e32 v4, 31, v12
	v_ashrrev_i32_e32 v5, 31, v8
	s_waitcnt lgkmcnt(0)
	s_add_u32 s12, s12, s16
	s_addc_u32 s13, s13, s17
	v_mul_lo_u32 v13, v4, s14
	v_mul_lo_u32 v14, s4, v5
	v_mad_u64_u32 v[4:5], null, s4, v8, v[2:3]
	v_mul_lo_u32 v3, s5, v8
	s_load_b64 s[4:5], s[12:13], 0x0
	v_mul_lo_u32 v15, v12, s15
	v_mad_u64_u32 v[8:9], null, v12, s14, v[0:1]
	v_lshlrev_b32_e32 v0, 3, v0
	v_lshlrev_b32_e32 v12, 3, v6
	v_add3_u32 v5, v3, v5, v14
	v_lshl_or_b32 v14, v2, 8, v11
	v_mov_b32_e32 v11, v1
	v_add3_u32 v9, v13, v9, v15
	v_lshl_or_b32 v0, v10, 6, v0
	v_lshlrev_b64 v[3:4], 3, v[4:5]
	v_lshl_add_u32 v13, v7, 6, 0x800
	v_mov_b32_e32 v10, v1
	v_lshlrev_b64 v[8:9], 3, v[8:9]
	v_add_nc_u32_e32 v15, 0x800, v0
	v_add_co_u32 v0, vcc_lo, v3, s10
	v_add_co_ci_u32_e32 v3, vcc_lo, s11, v4, vcc_lo
	s_waitcnt lgkmcnt(0)
	s_delay_alu instid0(VALU_DEP_4) | instskip(SKIP_3) | instid1(VALU_DEP_4)
	v_add_co_u32 v4, vcc_lo, v8, s4
	v_add_co_ci_u32_e32 v5, vcc_lo, s5, v9, vcc_lo
	v_add_co_u32 v2, vcc_lo, v0, 4
	v_add_co_ci_u32_e32 v3, vcc_lo, 0, v3, vcc_lo
	v_add_co_u32 v4, vcc_lo, v4, 4
	s_delay_alu instid0(VALU_DEP_4)
	v_add_co_ci_u32_e32 v5, vcc_lo, 0, v5, vcc_lo
	v_mov_b32_e32 v0, v1
	v_mov_b32_e32 v8, v1
	v_mov_b32_e32 v9, v1
	s_mov_b64 s[4:5], 0
.LBB1543_2:                             ; =>This Inner Loop Header: Depth=1
	global_load_b64 v[18:19], v[2:3], off offset:-4
	global_load_b64 v[20:21], v[4:5], off offset:-4
	s_add_u32 s4, s4, 8
	v_add_co_u32 v2, vcc_lo, v2, 64
	s_addc_u32 s5, s5, 0
	v_add_co_ci_u32_e32 v3, vcc_lo, 0, v3, vcc_lo
	v_cmp_ge_u64_e64 s10, s[4:5], s[8:9]
	v_add_co_u32 v4, vcc_lo, v4, 64
	v_add_co_ci_u32_e32 v5, vcc_lo, 0, v5, vcc_lo
	s_waitcnt vmcnt(1)
	ds_store_b64 v14, v[18:19]
	s_waitcnt vmcnt(0)
	ds_store_b64 v15, v[20:21]
	s_waitcnt lgkmcnt(0)
	s_barrier
	buffer_gl0_inv
	ds_load_2addr_b64 v[18:21], v12 offset1:16
	ds_load_b128 v[22:25], v13
	ds_load_b128 v[26:29], v13 offset:1024
	ds_load_b128 v[30:33], v13 offset:16
	;; [unrolled: 1-line block ×4, first 2 shown]
	ds_load_2addr_b64 v[42:45], v12 offset0:32 offset1:48
	ds_load_2addr_b64 v[46:49], v12 offset0:64 offset1:80
	ds_load_b128 v[50:53], v13 offset:1040
	ds_load_2addr_b64 v[54:57], v12 offset0:96 offset1:112
	ds_load_2addr_b64 v[58:61], v12 offset0:128 offset1:144
	;; [unrolled: 1-line block ×4, first 2 shown]
	ds_load_b128 v[70:73], v13 offset:1056
	ds_load_b128 v[74:77], v13 offset:1072
	ds_load_2addr_b64 v[78:81], v12 offset0:224 offset1:240
	s_and_b32 vcc_lo, exec_lo, s10
	s_waitcnt lgkmcnt(0)
	s_barrier
	buffer_gl0_inv
	v_dual_mul_f32 v82, v23, v19 :: v_dual_mul_f32 v85, v22, v21
	v_dual_mul_f32 v83, v22, v19 :: v_dual_mul_f32 v84, v23, v21
	v_mul_f32_e32 v86, v27, v19
	v_dual_mul_f32 v19, v26, v19 :: v_dual_mul_f32 v90, v25, v45
	v_dual_mul_f32 v87, v27, v21 :: v_dual_mul_f32 v88, v25, v43
	v_mul_f32_e32 v21, v26, v21
	v_fma_f32 v82, v22, v18, -v82
	v_fmac_f32_e32 v83, v23, v18
	v_fma_f32 v22, v22, v20, -v84
	v_fmac_f32_e32 v85, v23, v20
	v_fma_f32 v23, v26, v18, -v86
	v_dual_fmac_f32 v19, v27, v18 :: v_dual_mul_f32 v86, v30, v47
	v_fma_f32 v18, v26, v20, -v87
	v_dual_fmac_f32 v21, v27, v20 :: v_dual_mul_f32 v20, v24, v45
	v_mul_f32_e32 v89, v24, v43
	v_mul_f32_e32 v26, v29, v43
	v_mul_f32_e32 v27, v28, v43
	v_mul_f32_e32 v43, v29, v45
	v_fmac_f32_e32 v20, v25, v44
	v_fmac_f32_e32 v89, v25, v42
	v_dual_mul_f32 v25, v28, v45 :: v_dual_fmac_f32 v86, v31, v46
	v_fma_f32 v84, v24, v42, -v88
	v_fma_f32 v24, v24, v44, -v90
	v_dual_mul_f32 v45, v31, v47 :: v_dual_mul_f32 v90, v33, v57
	v_fma_f32 v26, v28, v42, -v26
	v_fma_f32 v28, v28, v44, -v43
	v_fmac_f32_e32 v25, v29, v44
	v_dual_mul_f32 v43, v50, v47 :: v_dual_mul_f32 v44, v51, v49
	v_dual_fmac_f32 v27, v29, v42 :: v_dual_mul_f32 v42, v51, v47
	v_dual_mul_f32 v88, v32, v55 :: v_dual_mul_f32 v29, v30, v49
	v_mul_f32_e32 v87, v31, v49
	v_fma_f32 v45, v30, v46, -v45
	v_add_f32_e32 v10, v10, v85
	s_delay_alu instid0(VALU_DEP_4)
	v_dual_fmac_f32 v88, v33, v54 :: v_dual_fmac_f32 v29, v31, v48
	v_fma_f32 v31, v50, v46, -v42
	v_fma_f32 v42, v50, v48, -v44
	v_mul_f32_e32 v44, v32, v57
	v_mul_f32_e32 v47, v50, v49
	v_dual_mul_f32 v50, v53, v57 :: v_dual_fmac_f32 v43, v51, v46
	v_mul_f32_e32 v46, v53, v55
	v_mul_f32_e32 v49, v33, v55
	v_fma_f32 v30, v30, v48, -v87
	v_fmac_f32_e32 v44, v33, v56
	v_dual_fmac_f32 v47, v51, v48 :: v_dual_mul_f32 v48, v52, v55
	v_mul_f32_e32 v33, v52, v57
	v_fma_f32 v46, v52, v54, -v46
	v_fma_f32 v50, v52, v56, -v50
	v_mul_f32_e32 v52, v34, v61
	v_fma_f32 v49, v32, v54, -v49
	v_fma_f32 v32, v32, v56, -v90
	v_dual_mul_f32 v51, v35, v59 :: v_dual_fmac_f32 v48, v53, v54
	v_mul_f32_e32 v54, v70, v59
	v_dual_mul_f32 v55, v34, v59 :: v_dual_fmac_f32 v52, v35, v60
	v_fmac_f32_e32 v33, v53, v56
	v_mul_f32_e32 v53, v71, v59
	v_mul_f32_e32 v56, v71, v61
	v_mul_f32_e32 v57, v35, v61
	v_fmac_f32_e32 v54, v71, v58
	v_fmac_f32_e32 v55, v35, v58
	v_fma_f32 v35, v70, v58, -v53
	v_fma_f32 v53, v70, v60, -v56
	v_mul_f32_e32 v56, v36, v65
	v_mul_f32_e32 v59, v70, v61
	v_fma_f32 v51, v34, v58, -v51
	v_mul_f32_e32 v58, v72, v63
	v_mul_f32_e32 v87, v36, v63
	;; [unrolled: 1-line block ×4, first 2 shown]
	v_fma_f32 v34, v34, v60, -v57
	v_mul_f32_e32 v57, v73, v63
	v_fmac_f32_e32 v56, v37, v64
	v_dual_fmac_f32 v59, v71, v60 :: v_dual_mul_f32 v60, v73, v65
	v_mul_f32_e32 v63, v39, v67
	v_mul_f32_e32 v70, v39, v69
	v_fmac_f32_e32 v58, v73, v62
	v_fmac_f32_e32 v87, v37, v62
	v_mul_f32_e32 v37, v72, v65
	v_fma_f32 v61, v36, v62, -v61
	v_fma_f32 v36, v36, v64, -v90
	v_mul_f32_e32 v65, v38, v67
	v_fma_f32 v57, v72, v62, -v57
	v_fma_f32 v60, v72, v64, -v60
	v_dual_fmac_f32 v37, v73, v64 :: v_dual_mul_f32 v62, v38, v69
	v_mul_f32_e32 v64, v75, v67
	v_mul_f32_e32 v73, v40, v79
	v_fma_f32 v63, v38, v66, -v63
	v_fma_f32 v38, v38, v68, -v70
	v_mul_f32_e32 v70, v76, v79
	v_mul_f32_e32 v67, v74, v67
	v_dual_mul_f32 v71, v75, v69 :: v_dual_add_f32 v16, v16, v82
	v_dual_mul_f32 v69, v74, v69 :: v_dual_add_f32 v8, v8, v19
	v_fmac_f32_e32 v65, v39, v66
	v_fmac_f32_e32 v62, v39, v68
	s_delay_alu instid0(VALU_DEP_4)
	v_add_f32_e32 v16, v16, v84
	v_fma_f32 v39, v74, v66, -v64
	v_fmac_f32_e32 v70, v77, v78
	v_dual_fmac_f32 v67, v75, v66 :: v_dual_add_f32 v10, v10, v20
	v_mul_f32_e32 v66, v40, v81
	v_mul_f32_e32 v72, v41, v79
	;; [unrolled: 1-line block ×3, first 2 shown]
	v_fma_f32 v64, v74, v68, -v71
	v_dual_fmac_f32 v69, v75, v68 :: v_dual_add_f32 v0, v0, v18
	v_dual_mul_f32 v71, v77, v81 :: v_dual_add_f32 v8, v8, v27
	v_fmac_f32_e32 v73, v41, v78
	v_fmac_f32_e32 v66, v41, v80
	s_delay_alu instid0(VALU_DEP_4) | instskip(SKIP_3) | instid1(VALU_DEP_4)
	v_dual_add_f32 v0, v0, v28 :: v_dual_add_f32 v17, v17, v83
	v_add_f32_e32 v10, v10, v29
	v_mul_f32_e32 v41, v76, v81
	v_dual_add_f32 v11, v11, v22 :: v_dual_add_f32 v8, v8, v43
	v_dual_add_f32 v9, v9, v23 :: v_dual_add_f32 v0, v0, v42
	v_add_f32_e32 v1, v1, v21
	v_add_f32_e32 v16, v16, v45
	s_delay_alu instid0(VALU_DEP_4)
	v_add_f32_e32 v8, v8, v48
	v_add_f32_e32 v10, v10, v44
	v_fmac_f32_e32 v41, v77, v80
	v_dual_add_f32 v17, v17, v89 :: v_dual_add_f32 v0, v0, v50
	v_dual_add_f32 v11, v11, v24 :: v_dual_add_f32 v16, v16, v49
	v_add_f32_e32 v9, v9, v26
	v_dual_add_f32 v1, v1, v25 :: v_dual_add_f32 v10, v10, v52
	s_delay_alu instid0(VALU_DEP_4) | instskip(NEXT) | instid1(VALU_DEP_4)
	v_dual_add_f32 v17, v17, v86 :: v_dual_add_f32 v0, v0, v53
	v_dual_add_f32 v16, v16, v51 :: v_dual_add_f32 v11, v11, v30
	s_delay_alu instid0(VALU_DEP_4) | instskip(NEXT) | instid1(VALU_DEP_4)
	v_dual_add_f32 v9, v9, v31 :: v_dual_add_f32 v8, v8, v54
	v_dual_add_f32 v1, v1, v47 :: v_dual_add_f32 v10, v10, v56
	s_delay_alu instid0(VALU_DEP_4) | instskip(NEXT) | instid1(VALU_DEP_3)
	v_add_f32_e32 v17, v17, v88
	v_dual_add_f32 v9, v9, v46 :: v_dual_add_f32 v0, v0, v60
	s_delay_alu instid0(VALU_DEP_3) | instskip(SKIP_2) | instid1(VALU_DEP_3)
	v_dual_add_f32 v1, v1, v33 :: v_dual_add_f32 v10, v10, v62
	v_dual_add_f32 v16, v16, v61 :: v_dual_add_f32 v11, v11, v32
	v_fma_f32 v72, v40, v78, -v72
	v_dual_add_f32 v1, v1, v59 :: v_dual_add_f32 v10, v10, v66
	v_dual_add_f32 v8, v8, v58 :: v_dual_add_f32 v17, v17, v55
	v_add_f32_e32 v0, v0, v64
	v_dual_add_f32 v16, v16, v63 :: v_dual_add_f32 v11, v11, v34
	s_delay_alu instid0(VALU_DEP_3) | instskip(SKIP_2) | instid1(VALU_DEP_4)
	v_add_f32_e32 v8, v8, v67
	v_add_f32_e32 v9, v9, v35
	v_mul_f32_e32 v68, v77, v79
	v_add_f32_e32 v16, v16, v72
	v_fma_f32 v71, v76, v80, -v71
	v_dual_add_f32 v17, v17, v87 :: v_dual_add_f32 v8, v8, v70
	v_add_f32_e32 v11, v11, v36
	s_delay_alu instid0(VALU_DEP_3)
	v_dual_add_f32 v9, v9, v57 :: v_dual_add_f32 v0, v0, v71
	v_add_f32_e32 v1, v1, v37
	v_fma_f32 v40, v40, v80, -v90
	v_fma_f32 v68, v76, v78, -v68
	v_add_f32_e32 v17, v17, v65
	v_add_f32_e32 v11, v11, v38
	;; [unrolled: 1-line block ×4, first 2 shown]
	s_delay_alu instid0(VALU_DEP_4) | instskip(NEXT) | instid1(VALU_DEP_4)
	v_add_f32_e32 v17, v17, v73
	v_add_f32_e32 v11, v11, v40
	s_delay_alu instid0(VALU_DEP_4) | instskip(NEXT) | instid1(VALU_DEP_4)
	v_add_f32_e32 v9, v9, v68
	v_add_f32_e32 v1, v1, v41
	s_cbranch_vccz .LBB1543_2
.LBB1543_3:
	v_add_nc_u32_e32 v7, s19, v7
	s_load_b32 s4, s[0:1], 0x0
	s_delay_alu instid0(VALU_DEP_1) | instskip(SKIP_2) | instid1(VALU_DEP_3)
	v_ashrrev_i32_e32 v2, 31, v7
	v_mul_lo_u32 v5, v7, s7
	v_mad_u64_u32 v[3:4], null, v7, s6, 0
	v_mul_lo_u32 v2, v2, s6
	s_delay_alu instid0(VALU_DEP_1) | instskip(SKIP_1) | instid1(VALU_DEP_2)
	v_add3_u32 v4, v4, v5, v2
	v_add_nc_u32_e32 v2, s18, v6
	v_lshlrev_b64 v[3:4], 3, v[3:4]
	s_delay_alu instid0(VALU_DEP_2) | instskip(SKIP_2) | instid1(VALU_DEP_3)
	v_cmp_le_i32_e64 s0, v7, v2
	s_waitcnt lgkmcnt(0)
	v_cmp_gt_i32_e32 vcc_lo, s4, v2
	v_add_co_u32 v6, s1, s2, v3
	s_delay_alu instid0(VALU_DEP_1) | instskip(SKIP_1) | instid1(SALU_CYCLE_1)
	v_add_co_ci_u32_e64 v12, s1, s3, v4, s1
	s_and_b32 s0, s0, vcc_lo
	s_and_saveexec_b32 s1, s0
	s_cbranch_execz .LBB1543_5
; %bb.4:
	v_ashrrev_i32_e32 v3, 31, v2
	s_delay_alu instid0(VALU_DEP_1) | instskip(NEXT) | instid1(VALU_DEP_1)
	v_lshlrev_b64 v[3:4], 3, v[2:3]
	v_add_co_u32 v3, s0, v6, v3
	s_delay_alu instid0(VALU_DEP_1)
	v_add_co_ci_u32_e64 v4, s0, v12, v4, s0
	global_load_b64 v[13:14], v[3:4], off
	s_waitcnt vmcnt(0)
	v_dual_add_f32 v13, v16, v13 :: v_dual_add_f32 v14, v17, v14
	global_store_b64 v[3:4], v[13:14], off
.LBB1543_5:
	s_or_b32 exec_lo, exec_lo, s1
	v_add_nc_u32_e32 v4, 16, v2
	s_delay_alu instid0(VALU_DEP_1) | instskip(SKIP_1) | instid1(VALU_DEP_1)
	v_cmp_le_i32_e64 s1, v7, v4
	v_cmp_gt_i32_e64 s0, s4, v4
	s_and_b32 s1, s1, s0
	s_delay_alu instid0(SALU_CYCLE_1)
	s_and_saveexec_b32 s4, s1
	s_cbranch_execz .LBB1543_7
; %bb.6:
	v_ashrrev_i32_e32 v5, 31, v4
	s_delay_alu instid0(VALU_DEP_1) | instskip(NEXT) | instid1(VALU_DEP_1)
	v_lshlrev_b64 v[13:14], 3, v[4:5]
	v_add_co_u32 v5, s1, v6, v13
	s_delay_alu instid0(VALU_DEP_1)
	v_add_co_ci_u32_e64 v6, s1, v12, v14, s1
	global_load_b64 v[12:13], v[5:6], off
	s_waitcnt vmcnt(0)
	v_dual_add_f32 v11, v11, v12 :: v_dual_add_f32 v12, v10, v13
	global_store_b64 v[5:6], v[11:12], off
.LBB1543_7:
	s_or_b32 exec_lo, exec_lo, s4
	v_add_nc_u32_e32 v5, 16, v7
	s_delay_alu instid0(VALU_DEP_1) | instskip(SKIP_3) | instid1(VALU_DEP_4)
	v_ashrrev_i32_e32 v3, 31, v5
	v_mul_lo_u32 v10, v5, s7
	v_mad_u64_u32 v[6:7], null, v5, s6, 0
	v_cmp_le_i32_e64 s1, v5, v2
	v_mul_lo_u32 v3, v3, s6
	s_delay_alu instid0(VALU_DEP_1) | instskip(NEXT) | instid1(VALU_DEP_1)
	v_add3_u32 v7, v7, v10, v3
	v_lshlrev_b64 v[6:7], 3, v[6:7]
	s_delay_alu instid0(VALU_DEP_1) | instskip(NEXT) | instid1(VALU_DEP_1)
	v_add_co_u32 v6, s2, s2, v6
	v_add_co_ci_u32_e64 v7, s2, s3, v7, s2
	s_and_b32 s2, s1, vcc_lo
	s_delay_alu instid0(SALU_CYCLE_1)
	s_and_saveexec_b32 s1, s2
	s_cbranch_execz .LBB1543_9
; %bb.8:
	v_ashrrev_i32_e32 v3, 31, v2
	s_delay_alu instid0(VALU_DEP_1) | instskip(NEXT) | instid1(VALU_DEP_1)
	v_lshlrev_b64 v[2:3], 3, v[2:3]
	v_add_co_u32 v2, vcc_lo, v6, v2
	s_delay_alu instid0(VALU_DEP_2)
	v_add_co_ci_u32_e32 v3, vcc_lo, v7, v3, vcc_lo
	global_load_b64 v[10:11], v[2:3], off
	s_waitcnt vmcnt(0)
	v_dual_add_f32 v9, v9, v10 :: v_dual_add_f32 v10, v8, v11
	global_store_b64 v[2:3], v[9:10], off
.LBB1543_9:
	s_or_b32 exec_lo, exec_lo, s1
	v_cmp_le_i32_e32 vcc_lo, v5, v4
	s_and_b32 s0, vcc_lo, s0
	s_delay_alu instid0(SALU_CYCLE_1)
	s_and_saveexec_b32 s1, s0
	s_cbranch_execz .LBB1543_11
; %bb.10:
	v_ashrrev_i32_e32 v5, 31, v4
	s_delay_alu instid0(VALU_DEP_1) | instskip(NEXT) | instid1(VALU_DEP_1)
	v_lshlrev_b64 v[2:3], 3, v[4:5]
	v_add_co_u32 v2, vcc_lo, v6, v2
	s_delay_alu instid0(VALU_DEP_2)
	v_add_co_ci_u32_e32 v3, vcc_lo, v7, v3, vcc_lo
	global_load_b64 v[4:5], v[2:3], off
	s_waitcnt vmcnt(0)
	v_dual_add_f32 v0, v0, v4 :: v_dual_add_f32 v1, v1, v5
	global_store_b64 v[2:3], v[0:1], off
.LBB1543_11:
	s_nop 0
	s_sendmsg sendmsg(MSG_DEALLOC_VGPRS)
	s_endpgm
	.section	.rodata,"a",@progbits
	.p2align	6, 0x0
	.amdhsa_kernel _ZL37rocblas_syrkx_herkx_restricted_kernelIl19rocblas_complex_numIfELi16ELi32ELi8ELi1ELi1ELb0ELc67ELc76EKPKS1_KPS1_EviT_PT9_S7_lS9_S7_lPT10_S7_li
		.amdhsa_group_segment_fixed_size 4096
		.amdhsa_private_segment_fixed_size 0
		.amdhsa_kernarg_size 92
		.amdhsa_user_sgpr_count 13
		.amdhsa_user_sgpr_dispatch_ptr 0
		.amdhsa_user_sgpr_queue_ptr 0
		.amdhsa_user_sgpr_kernarg_segment_ptr 1
		.amdhsa_user_sgpr_dispatch_id 0
		.amdhsa_user_sgpr_private_segment_size 0
		.amdhsa_wavefront_size32 1
		.amdhsa_uses_dynamic_stack 0
		.amdhsa_enable_private_segment 0
		.amdhsa_system_sgpr_workgroup_id_x 1
		.amdhsa_system_sgpr_workgroup_id_y 1
		.amdhsa_system_sgpr_workgroup_id_z 1
		.amdhsa_system_sgpr_workgroup_info 0
		.amdhsa_system_vgpr_workitem_id 1
		.amdhsa_next_free_vgpr 91
		.amdhsa_next_free_sgpr 20
		.amdhsa_reserve_vcc 1
		.amdhsa_float_round_mode_32 0
		.amdhsa_float_round_mode_16_64 0
		.amdhsa_float_denorm_mode_32 3
		.amdhsa_float_denorm_mode_16_64 3
		.amdhsa_dx10_clamp 1
		.amdhsa_ieee_mode 1
		.amdhsa_fp16_overflow 0
		.amdhsa_workgroup_processor_mode 1
		.amdhsa_memory_ordered 1
		.amdhsa_forward_progress 0
		.amdhsa_shared_vgpr_count 0
		.amdhsa_exception_fp_ieee_invalid_op 0
		.amdhsa_exception_fp_denorm_src 0
		.amdhsa_exception_fp_ieee_div_zero 0
		.amdhsa_exception_fp_ieee_overflow 0
		.amdhsa_exception_fp_ieee_underflow 0
		.amdhsa_exception_fp_ieee_inexact 0
		.amdhsa_exception_int_div_zero 0
	.end_amdhsa_kernel
	.section	.text._ZL37rocblas_syrkx_herkx_restricted_kernelIl19rocblas_complex_numIfELi16ELi32ELi8ELi1ELi1ELb0ELc67ELc76EKPKS1_KPS1_EviT_PT9_S7_lS9_S7_lPT10_S7_li,"axG",@progbits,_ZL37rocblas_syrkx_herkx_restricted_kernelIl19rocblas_complex_numIfELi16ELi32ELi8ELi1ELi1ELb0ELc67ELc76EKPKS1_KPS1_EviT_PT9_S7_lS9_S7_lPT10_S7_li,comdat
.Lfunc_end1543:
	.size	_ZL37rocblas_syrkx_herkx_restricted_kernelIl19rocblas_complex_numIfELi16ELi32ELi8ELi1ELi1ELb0ELc67ELc76EKPKS1_KPS1_EviT_PT9_S7_lS9_S7_lPT10_S7_li, .Lfunc_end1543-_ZL37rocblas_syrkx_herkx_restricted_kernelIl19rocblas_complex_numIfELi16ELi32ELi8ELi1ELi1ELb0ELc67ELc76EKPKS1_KPS1_EviT_PT9_S7_lS9_S7_lPT10_S7_li
                                        ; -- End function
	.section	.AMDGPU.csdata,"",@progbits
; Kernel info:
; codeLenInByte = 2204
; NumSgprs: 22
; NumVgprs: 91
; ScratchSize: 0
; MemoryBound: 0
; FloatMode: 240
; IeeeMode: 1
; LDSByteSize: 4096 bytes/workgroup (compile time only)
; SGPRBlocks: 2
; VGPRBlocks: 11
; NumSGPRsForWavesPerEU: 22
; NumVGPRsForWavesPerEU: 91
; Occupancy: 16
; WaveLimiterHint : 1
; COMPUTE_PGM_RSRC2:SCRATCH_EN: 0
; COMPUTE_PGM_RSRC2:USER_SGPR: 13
; COMPUTE_PGM_RSRC2:TRAP_HANDLER: 0
; COMPUTE_PGM_RSRC2:TGID_X_EN: 1
; COMPUTE_PGM_RSRC2:TGID_Y_EN: 1
; COMPUTE_PGM_RSRC2:TGID_Z_EN: 1
; COMPUTE_PGM_RSRC2:TIDIG_COMP_CNT: 1
	.section	.text._ZL37rocblas_syrkx_herkx_restricted_kernelIl19rocblas_complex_numIfELi16ELi32ELi8ELi1ELi1ELb0ELc78ELc76EKPKS1_KPS1_EviT_PT9_S7_lS9_S7_lPT10_S7_li,"axG",@progbits,_ZL37rocblas_syrkx_herkx_restricted_kernelIl19rocblas_complex_numIfELi16ELi32ELi8ELi1ELi1ELb0ELc78ELc76EKPKS1_KPS1_EviT_PT9_S7_lS9_S7_lPT10_S7_li,comdat
	.globl	_ZL37rocblas_syrkx_herkx_restricted_kernelIl19rocblas_complex_numIfELi16ELi32ELi8ELi1ELi1ELb0ELc78ELc76EKPKS1_KPS1_EviT_PT9_S7_lS9_S7_lPT10_S7_li ; -- Begin function _ZL37rocblas_syrkx_herkx_restricted_kernelIl19rocblas_complex_numIfELi16ELi32ELi8ELi1ELi1ELb0ELc78ELc76EKPKS1_KPS1_EviT_PT9_S7_lS9_S7_lPT10_S7_li
	.p2align	8
	.type	_ZL37rocblas_syrkx_herkx_restricted_kernelIl19rocblas_complex_numIfELi16ELi32ELi8ELi1ELi1ELb0ELc78ELc76EKPKS1_KPS1_EviT_PT9_S7_lS9_S7_lPT10_S7_li,@function
_ZL37rocblas_syrkx_herkx_restricted_kernelIl19rocblas_complex_numIfELi16ELi32ELi8ELi1ELi1ELb0ELc78ELc76EKPKS1_KPS1_EviT_PT9_S7_lS9_S7_lPT10_S7_li: ; @_ZL37rocblas_syrkx_herkx_restricted_kernelIl19rocblas_complex_numIfELi16ELi32ELi8ELi1ELi1ELb0ELc78ELc76EKPKS1_KPS1_EviT_PT9_S7_lS9_S7_lPT10_S7_li
; %bb.0:
	s_clause 0x1
	s_load_b128 s[4:7], s[0:1], 0x40
	s_load_b128 s[8:11], s[0:1], 0x8
	s_mov_b32 s2, s15
	s_mov_b32 s3, 0
	v_dual_mov_b32 v15, 0 :: v_dual_and_b32 v4, 0x3ff, v0
	s_lshl_b64 s[16:17], s[2:3], 3
	v_bfe_u32 v5, v0, 10, 10
	v_dual_mov_b32 v16, 0 :: v_dual_mov_b32 v13, 0
	v_dual_mov_b32 v12, 0 :: v_dual_mov_b32 v9, 0
	;; [unrolled: 1-line block ×3, first 2 shown]
	v_mov_b32_e32 v6, 0
	s_waitcnt lgkmcnt(0)
	s_add_u32 s2, s4, s16
	s_addc_u32 s3, s5, s17
	v_cmp_lt_i64_e64 s4, s[8:9], 1
	s_load_b64 s[2:3], s[2:3], 0x0
	s_lshl_b32 s18, s13, 5
	s_lshl_b32 s19, s14, 5
	s_delay_alu instid0(VALU_DEP_1)
	s_and_b32 vcc_lo, exec_lo, s4
	s_cbranch_vccnz .LBB1544_3
; %bb.1:
	v_lshl_add_u32 v1, v5, 4, v4
	s_clause 0x1
	s_load_b64 s[4:5], s[0:1], 0x18
	s_load_b128 s[12:15], s[0:1], 0x28
	s_add_u32 s10, s10, s16
	s_addc_u32 s11, s11, s17
	v_lshl_add_u32 v11, v5, 6, 0x800
	v_and_b32_e32 v14, 31, v1
	v_lshrrev_b32_e32 v15, 3, v1
	v_lshrrev_b32_e32 v16, 5, v1
	s_load_b64 s[10:11], s[10:11], 0x0
	s_delay_alu instid0(VALU_DEP_3) | instskip(NEXT) | instid1(VALU_DEP_3)
	v_add_nc_u32_e32 v0, s18, v14
	v_add_nc_u32_e32 v2, s19, v15
	s_delay_alu instid0(VALU_DEP_2) | instskip(NEXT) | instid1(VALU_DEP_2)
	v_ashrrev_i32_e32 v1, 31, v0
	v_ashrrev_i32_e32 v3, 31, v2
	s_waitcnt lgkmcnt(0)
	s_delay_alu instid0(VALU_DEP_2) | instskip(SKIP_4) | instid1(VALU_DEP_1)
	v_mad_u64_u32 v[12:13], null, v16, s4, v[0:1]
	v_and_b32_e32 v7, 7, v4
	s_add_u32 s12, s12, s16
	s_addc_u32 s13, s13, s17
	s_load_b64 s[12:13], s[12:13], 0x0
	v_mad_u64_u32 v[0:1], null, v7, s14, v[2:3]
	s_delay_alu instid0(VALU_DEP_3) | instskip(SKIP_1) | instid1(VALU_DEP_2)
	v_mov_b32_e32 v2, v13
	v_mov_b32_e32 v6, 0
	v_mad_u64_u32 v[8:9], null, v16, s5, v[2:3]
	s_delay_alu instid0(VALU_DEP_4) | instskip(SKIP_2) | instid1(VALU_DEP_4)
	v_mad_u64_u32 v[2:3], null, v7, s15, v[1:2]
	v_lshlrev_b32_e32 v1, 3, v7
	v_dual_mov_b32 v7, 0 :: v_dual_lshlrev_b32 v10, 3, v4
	v_dual_mov_b32 v13, v8 :: v_dual_lshlrev_b32 v14, 3, v14
	s_delay_alu instid0(VALU_DEP_3) | instskip(SKIP_2) | instid1(VALU_DEP_4)
	v_lshl_or_b32 v15, v15, 6, v1
	v_dual_mov_b32 v1, v2 :: v_dual_mov_b32 v8, 0
	v_mov_b32_e32 v9, 0
	v_lshlrev_b64 v[2:3], 3, v[12:13]
	s_delay_alu instid0(VALU_DEP_4) | instskip(NEXT) | instid1(VALU_DEP_4)
	v_add_nc_u32_e32 v17, 0x800, v15
	v_lshlrev_b64 v[0:1], 3, v[0:1]
	s_lshl_b64 s[4:5], s[4:5], 6
	v_mov_b32_e32 v15, 0
	s_delay_alu instid0(VALU_DEP_4)
	v_add_co_u32 v2, vcc_lo, v2, s10
	v_add_co_ci_u32_e32 v3, vcc_lo, s11, v3, vcc_lo
	s_waitcnt lgkmcnt(0)
	v_add_co_u32 v12, vcc_lo, v0, s12
	v_add_co_ci_u32_e32 v13, vcc_lo, s13, v1, vcc_lo
	v_add_co_u32 v0, vcc_lo, v2, 4
	v_add_co_ci_u32_e32 v1, vcc_lo, 0, v3, vcc_lo
	s_delay_alu instid0(VALU_DEP_4) | instskip(NEXT) | instid1(VALU_DEP_4)
	v_add_co_u32 v2, vcc_lo, v12, 4
	v_add_co_ci_u32_e32 v3, vcc_lo, 0, v13, vcc_lo
	v_dual_mov_b32 v12, 0 :: v_dual_mov_b32 v13, 0
	v_lshl_or_b32 v14, v16, 8, v14
	v_mov_b32_e32 v16, 0
	s_lshl_b64 s[10:11], s[14:15], 6
	s_mov_b64 s[12:13], 0
.LBB1544_2:                             ; =>This Inner Loop Header: Depth=1
	global_load_b64 v[18:19], v[0:1], off offset:-4
	global_load_b64 v[20:21], v[2:3], off offset:-4
	s_add_u32 s12, s12, 8
	v_add_co_u32 v0, vcc_lo, v0, s4
	s_addc_u32 s13, s13, 0
	v_add_co_ci_u32_e32 v1, vcc_lo, s5, v1, vcc_lo
	v_cmp_ge_u64_e64 s14, s[12:13], s[8:9]
	v_add_co_u32 v2, vcc_lo, v2, s10
	v_add_co_ci_u32_e32 v3, vcc_lo, s11, v3, vcc_lo
	s_waitcnt vmcnt(1)
	ds_store_b64 v14, v[18:19]
	s_waitcnt vmcnt(0)
	ds_store_b64 v17, v[20:21]
	s_waitcnt lgkmcnt(0)
	s_barrier
	buffer_gl0_inv
	ds_load_2addr_b64 v[18:21], v10 offset1:16
	ds_load_b128 v[22:25], v11
	ds_load_b128 v[26:29], v11 offset:1024
	ds_load_b128 v[30:33], v11 offset:16
	;; [unrolled: 1-line block ×4, first 2 shown]
	ds_load_2addr_b64 v[42:45], v10 offset0:32 offset1:48
	ds_load_2addr_b64 v[46:49], v10 offset0:64 offset1:80
	ds_load_b128 v[50:53], v11 offset:1040
	ds_load_2addr_b64 v[54:57], v10 offset0:96 offset1:112
	ds_load_2addr_b64 v[58:61], v10 offset0:128 offset1:144
	;; [unrolled: 1-line block ×4, first 2 shown]
	ds_load_b128 v[70:73], v11 offset:1056
	ds_load_b128 v[74:77], v11 offset:1072
	ds_load_2addr_b64 v[78:81], v10 offset0:224 offset1:240
	s_and_b32 vcc_lo, exec_lo, s14
	s_waitcnt lgkmcnt(0)
	s_barrier
	buffer_gl0_inv
	v_dual_mul_f32 v82, v23, v19 :: v_dual_mul_f32 v85, v22, v21
	v_dual_mul_f32 v83, v22, v19 :: v_dual_mul_f32 v84, v23, v21
	v_mul_f32_e32 v86, v27, v19
	v_dual_mul_f32 v19, v26, v19 :: v_dual_mul_f32 v90, v25, v45
	v_dual_mul_f32 v87, v27, v21 :: v_dual_mul_f32 v88, v25, v43
	v_mul_f32_e32 v21, v26, v21
	v_mul_f32_e32 v89, v24, v43
	;; [unrolled: 1-line block ×3, first 2 shown]
	v_fma_f32 v82, v22, v18, -v82
	v_fmac_f32_e32 v83, v23, v18
	v_fma_f32 v22, v22, v20, -v84
	v_dual_fmac_f32 v85, v23, v20 :: v_dual_mul_f32 v84, v30, v47
	v_fma_f32 v23, v26, v18, -v86
	v_fmac_f32_e32 v19, v27, v18
	v_fma_f32 v18, v26, v20, -v87
	v_dual_mul_f32 v26, v28, v43 :: v_dual_fmac_f32 v21, v27, v20
	v_mul_f32_e32 v20, v29, v43
	v_mul_f32_e32 v27, v29, v45
	v_dual_mul_f32 v43, v28, v45 :: v_dual_fmac_f32 v84, v31, v46
	v_fma_f32 v45, v24, v42, -v88
	v_fma_f32 v24, v24, v44, -v90
	v_dual_fmac_f32 v91, v25, v44 :: v_dual_mul_f32 v90, v32, v57
	v_dual_mul_f32 v86, v31, v49 :: v_dual_fmac_f32 v89, v25, v42
	v_dual_mul_f32 v25, v31, v47 :: v_dual_mul_f32 v88, v33, v57
	v_fma_f32 v20, v28, v42, -v20
	v_fmac_f32_e32 v26, v29, v42
	v_fma_f32 v27, v28, v44, -v27
	v_dual_fmac_f32 v43, v29, v44 :: v_dual_mul_f32 v28, v51, v47
	v_dual_mul_f32 v29, v50, v47 :: v_dual_mul_f32 v42, v51, v49
	v_mul_f32_e32 v44, v50, v49
	v_mul_f32_e32 v87, v30, v49
	;; [unrolled: 1-line block ×3, first 2 shown]
	v_dual_mul_f32 v49, v32, v55 :: v_dual_fmac_f32 v90, v33, v56
	v_fma_f32 v25, v30, v46, -v25
	v_fma_f32 v30, v30, v48, -v86
	v_fma_f32 v28, v50, v46, -v28
	v_fmac_f32_e32 v44, v51, v48
	v_fmac_f32_e32 v87, v31, v48
	v_fma_f32 v31, v50, v48, -v42
	v_mul_f32_e32 v42, v53, v55
	v_mul_f32_e32 v48, v53, v57
	v_dual_mul_f32 v50, v52, v57 :: v_dual_fmac_f32 v29, v51, v46
	v_mul_f32_e32 v46, v52, v55
	v_fma_f32 v47, v32, v54, -v47
	v_fmac_f32_e32 v49, v33, v54
	v_fma_f32 v32, v32, v56, -v88
	s_delay_alu instid0(VALU_DEP_4)
	v_dual_mul_f32 v33, v35, v59 :: v_dual_fmac_f32 v46, v53, v54
	v_mul_f32_e32 v51, v34, v59
	v_mul_f32_e32 v55, v35, v61
	v_fma_f32 v42, v52, v54, -v42
	v_fma_f32 v48, v52, v56, -v48
	v_fmac_f32_e32 v50, v53, v56
	v_mul_f32_e32 v52, v71, v59
	v_dual_mul_f32 v53, v70, v59 :: v_dual_mul_f32 v86, v37, v65
	v_mul_f32_e32 v54, v71, v61
	v_dual_mul_f32 v56, v70, v61 :: v_dual_mul_f32 v59, v37, v63
	v_mul_f32_e32 v57, v34, v61
	v_mul_f32_e32 v61, v36, v63
	v_dual_mul_f32 v88, v36, v65 :: v_dual_fmac_f32 v51, v35, v58
	v_fma_f32 v33, v34, v58, -v33
	v_fmac_f32_e32 v53, v71, v58
	v_fmac_f32_e32 v56, v71, v60
	s_delay_alu instid0(VALU_DEP_4)
	v_fmac_f32_e32 v88, v37, v64
	v_fmac_f32_e32 v57, v35, v60
	v_fma_f32 v35, v70, v58, -v52
	v_fma_f32 v52, v70, v60, -v54
	v_mul_f32_e32 v54, v73, v63
	v_fma_f32 v34, v34, v60, -v55
	v_mul_f32_e32 v60, v72, v65
	v_dual_mul_f32 v55, v72, v63 :: v_dual_mul_f32 v70, v38, v69
	v_mul_f32_e32 v58, v73, v65
	v_fma_f32 v59, v36, v62, -v59
	v_fmac_f32_e32 v61, v37, v62
	v_fma_f32 v36, v36, v64, -v86
	v_dual_mul_f32 v37, v39, v67 :: v_dual_fmac_f32 v60, v73, v64
	v_dual_mul_f32 v63, v38, v67 :: v_dual_mul_f32 v86, v40, v81
	v_mul_f32_e32 v65, v39, v69
	v_fma_f32 v54, v72, v62, -v54
	v_fmac_f32_e32 v55, v73, v62
	v_fma_f32 v58, v72, v64, -v58
	v_mul_f32_e32 v72, v40, v79
	v_mul_f32_e32 v62, v75, v67
	v_dual_mul_f32 v64, v74, v67 :: v_dual_mul_f32 v67, v75, v69
	v_dual_mul_f32 v69, v74, v69 :: v_dual_fmac_f32 v70, v39, v68
	s_delay_alu instid0(VALU_DEP_2)
	v_dual_mul_f32 v71, v41, v79 :: v_dual_fmac_f32 v64, v75, v66
	v_fma_f32 v37, v38, v66, -v37
	v_fmac_f32_e32 v63, v39, v66
	v_fma_f32 v38, v38, v68, -v65
	v_fma_f32 v39, v74, v66, -v62
	v_dual_fmac_f32 v69, v75, v68 :: v_dual_fmac_f32 v72, v41, v78
	v_mul_f32_e32 v66, v76, v79
	v_fma_f32 v62, v74, v68, -v67
	v_mul_f32_e32 v68, v76, v81
	v_dual_mul_f32 v73, v41, v81 :: v_dual_add_f32 v16, v16, v83
	v_dual_mul_f32 v65, v77, v79 :: v_dual_add_f32 v12, v12, v85
	;; [unrolled: 1-line block ×3, first 2 shown]
	v_dual_fmac_f32 v86, v41, v80 :: v_dual_add_f32 v15, v15, v82
	v_dual_fmac_f32 v68, v77, v80 :: v_dual_add_f32 v7, v7, v18
	v_dual_add_f32 v13, v13, v22 :: v_dual_add_f32 v6, v6, v21
	v_dual_add_f32 v9, v9, v23 :: v_dual_add_f32 v16, v16, v89
	s_delay_alu instid0(VALU_DEP_4) | instskip(NEXT) | instid1(VALU_DEP_3)
	v_dual_fmac_f32 v66, v77, v78 :: v_dual_add_f32 v15, v15, v45
	v_dual_add_f32 v13, v13, v24 :: v_dual_add_f32 v12, v12, v91
	s_delay_alu instid0(VALU_DEP_3) | instskip(NEXT) | instid1(VALU_DEP_4)
	v_dual_add_f32 v9, v9, v20 :: v_dual_add_f32 v8, v8, v26
	v_dual_add_f32 v7, v7, v27 :: v_dual_add_f32 v16, v16, v84
	s_delay_alu instid0(VALU_DEP_4) | instskip(NEXT) | instid1(VALU_DEP_4)
	v_dual_add_f32 v6, v6, v43 :: v_dual_add_f32 v15, v15, v25
	v_dual_add_f32 v13, v13, v30 :: v_dual_add_f32 v12, v12, v87
	s_delay_alu instid0(VALU_DEP_4) | instskip(NEXT) | instid1(VALU_DEP_3)
	v_dual_add_f32 v9, v9, v28 :: v_dual_add_f32 v8, v8, v29
	v_dual_add_f32 v7, v7, v31 :: v_dual_add_f32 v6, v6, v44
	s_delay_alu instid0(VALU_DEP_4) | instskip(NEXT) | instid1(VALU_DEP_4)
	v_dual_add_f32 v15, v15, v47 :: v_dual_add_f32 v16, v16, v49
	v_dual_add_f32 v13, v13, v32 :: v_dual_add_f32 v12, v12, v90
	s_delay_alu instid0(VALU_DEP_4) | instskip(NEXT) | instid1(VALU_DEP_4)
	v_add_f32_e32 v9, v9, v42
	v_dual_add_f32 v8, v8, v46 :: v_dual_add_f32 v7, v7, v48
	s_delay_alu instid0(VALU_DEP_4) | instskip(NEXT) | instid1(VALU_DEP_4)
	v_dual_add_f32 v6, v6, v50 :: v_dual_add_f32 v15, v15, v33
	v_dual_add_f32 v16, v16, v51 :: v_dual_add_f32 v13, v13, v34
	s_delay_alu instid0(VALU_DEP_4) | instskip(NEXT) | instid1(VALU_DEP_4)
	v_dual_add_f32 v12, v12, v57 :: v_dual_add_f32 v9, v9, v35
	v_dual_add_f32 v8, v8, v53 :: v_dual_add_f32 v7, v7, v52
	s_delay_alu instid0(VALU_DEP_3) | instskip(SKIP_1) | instid1(VALU_DEP_3)
	v_add_f32_e32 v16, v16, v61
	v_dual_add_f32 v6, v6, v56 :: v_dual_add_f32 v15, v15, v59
	v_dual_add_f32 v13, v13, v36 :: v_dual_add_f32 v8, v8, v55
	;; [unrolled: 1-line block ×3, first 2 shown]
	s_delay_alu instid0(VALU_DEP_3)
	v_dual_add_f32 v7, v7, v58 :: v_dual_add_f32 v6, v6, v60
	v_fma_f32 v71, v40, v78, -v71
	v_fma_f32 v40, v40, v80, -v73
	;; [unrolled: 1-line block ×4, first 2 shown]
	v_dual_add_f32 v15, v15, v37 :: v_dual_add_f32 v16, v16, v63
	v_dual_add_f32 v13, v13, v38 :: v_dual_add_f32 v8, v8, v64
	;; [unrolled: 1-line block ×4, first 2 shown]
	s_delay_alu instid0(VALU_DEP_4) | instskip(NEXT) | instid1(VALU_DEP_3)
	v_dual_add_f32 v15, v15, v71 :: v_dual_add_f32 v16, v16, v72
	v_dual_add_f32 v13, v13, v40 :: v_dual_add_f32 v12, v12, v86
	s_delay_alu instid0(VALU_DEP_4) | instskip(NEXT) | instid1(VALU_DEP_4)
	v_dual_add_f32 v9, v9, v41 :: v_dual_add_f32 v8, v8, v66
	v_dual_add_f32 v7, v7, v65 :: v_dual_add_f32 v6, v6, v68
	s_cbranch_vccz .LBB1544_2
.LBB1544_3:
	v_add_nc_u32_e32 v5, s19, v5
	s_load_b32 s4, s[0:1], 0x0
	s_delay_alu instid0(VALU_DEP_1) | instskip(SKIP_2) | instid1(VALU_DEP_3)
	v_ashrrev_i32_e32 v0, 31, v5
	v_mul_lo_u32 v3, v5, s7
	v_mad_u64_u32 v[1:2], null, v5, s6, 0
	v_mul_lo_u32 v0, v0, s6
	s_delay_alu instid0(VALU_DEP_1) | instskip(SKIP_1) | instid1(VALU_DEP_2)
	v_add3_u32 v2, v2, v3, v0
	v_add_nc_u32_e32 v0, s18, v4
	v_lshlrev_b64 v[1:2], 3, v[1:2]
	s_delay_alu instid0(VALU_DEP_2) | instskip(SKIP_2) | instid1(VALU_DEP_3)
	v_cmp_le_i32_e64 s0, v5, v0
	s_waitcnt lgkmcnt(0)
	v_cmp_gt_i32_e32 vcc_lo, s4, v0
	v_add_co_u32 v4, s1, s2, v1
	s_delay_alu instid0(VALU_DEP_1) | instskip(SKIP_1) | instid1(SALU_CYCLE_1)
	v_add_co_ci_u32_e64 v10, s1, s3, v2, s1
	s_and_b32 s0, s0, vcc_lo
	s_and_saveexec_b32 s1, s0
	s_cbranch_execz .LBB1544_5
; %bb.4:
	v_ashrrev_i32_e32 v1, 31, v0
	s_delay_alu instid0(VALU_DEP_1) | instskip(NEXT) | instid1(VALU_DEP_1)
	v_lshlrev_b64 v[1:2], 3, v[0:1]
	v_add_co_u32 v1, s0, v4, v1
	s_delay_alu instid0(VALU_DEP_1)
	v_add_co_ci_u32_e64 v2, s0, v10, v2, s0
	global_load_b64 v[17:18], v[1:2], off
	s_waitcnt vmcnt(0)
	v_dual_add_f32 v14, v15, v17 :: v_dual_add_f32 v15, v16, v18
	global_store_b64 v[1:2], v[14:15], off
.LBB1544_5:
	s_or_b32 exec_lo, exec_lo, s1
	v_add_nc_u32_e32 v2, 16, v0
	s_delay_alu instid0(VALU_DEP_1) | instskip(SKIP_1) | instid1(VALU_DEP_1)
	v_cmp_le_i32_e64 s1, v5, v2
	v_cmp_gt_i32_e64 s0, s4, v2
	s_and_b32 s1, s1, s0
	s_delay_alu instid0(SALU_CYCLE_1)
	s_and_saveexec_b32 s4, s1
	s_cbranch_execz .LBB1544_7
; %bb.6:
	v_ashrrev_i32_e32 v3, 31, v2
	s_delay_alu instid0(VALU_DEP_1) | instskip(NEXT) | instid1(VALU_DEP_1)
	v_lshlrev_b64 v[14:15], 3, v[2:3]
	v_add_co_u32 v3, s1, v4, v14
	s_delay_alu instid0(VALU_DEP_1)
	v_add_co_ci_u32_e64 v4, s1, v10, v15, s1
	global_load_b64 v[10:11], v[3:4], off
	s_waitcnt vmcnt(0)
	v_dual_add_f32 v10, v13, v10 :: v_dual_add_f32 v11, v12, v11
	global_store_b64 v[3:4], v[10:11], off
.LBB1544_7:
	s_or_b32 exec_lo, exec_lo, s4
	v_add_nc_u32_e32 v3, 16, v5
	s_delay_alu instid0(VALU_DEP_1) | instskip(SKIP_3) | instid1(VALU_DEP_4)
	v_ashrrev_i32_e32 v1, 31, v3
	v_mul_lo_u32 v10, v3, s7
	v_mad_u64_u32 v[4:5], null, v3, s6, 0
	v_cmp_le_i32_e64 s1, v3, v0
	v_mul_lo_u32 v1, v1, s6
	s_delay_alu instid0(VALU_DEP_1) | instskip(NEXT) | instid1(VALU_DEP_1)
	v_add3_u32 v5, v5, v10, v1
	v_lshlrev_b64 v[4:5], 3, v[4:5]
	s_delay_alu instid0(VALU_DEP_1) | instskip(NEXT) | instid1(VALU_DEP_1)
	v_add_co_u32 v4, s2, s2, v4
	v_add_co_ci_u32_e64 v5, s2, s3, v5, s2
	s_and_b32 s2, s1, vcc_lo
	s_delay_alu instid0(SALU_CYCLE_1)
	s_and_saveexec_b32 s1, s2
	s_cbranch_execz .LBB1544_9
; %bb.8:
	v_ashrrev_i32_e32 v1, 31, v0
	s_delay_alu instid0(VALU_DEP_1) | instskip(NEXT) | instid1(VALU_DEP_1)
	v_lshlrev_b64 v[0:1], 3, v[0:1]
	v_add_co_u32 v0, vcc_lo, v4, v0
	s_delay_alu instid0(VALU_DEP_2)
	v_add_co_ci_u32_e32 v1, vcc_lo, v5, v1, vcc_lo
	global_load_b64 v[10:11], v[0:1], off
	s_waitcnt vmcnt(0)
	v_dual_add_f32 v9, v9, v10 :: v_dual_add_f32 v10, v8, v11
	global_store_b64 v[0:1], v[9:10], off
.LBB1544_9:
	s_or_b32 exec_lo, exec_lo, s1
	v_cmp_le_i32_e32 vcc_lo, v3, v2
	s_and_b32 s0, vcc_lo, s0
	s_delay_alu instid0(SALU_CYCLE_1)
	s_and_saveexec_b32 s1, s0
	s_cbranch_execz .LBB1544_11
; %bb.10:
	v_ashrrev_i32_e32 v3, 31, v2
	s_delay_alu instid0(VALU_DEP_1) | instskip(NEXT) | instid1(VALU_DEP_1)
	v_lshlrev_b64 v[0:1], 3, v[2:3]
	v_add_co_u32 v0, vcc_lo, v4, v0
	s_delay_alu instid0(VALU_DEP_2)
	v_add_co_ci_u32_e32 v1, vcc_lo, v5, v1, vcc_lo
	global_load_b64 v[2:3], v[0:1], off
	s_waitcnt vmcnt(0)
	v_dual_add_f32 v2, v7, v2 :: v_dual_add_f32 v3, v6, v3
	global_store_b64 v[0:1], v[2:3], off
.LBB1544_11:
	s_nop 0
	s_sendmsg sendmsg(MSG_DEALLOC_VGPRS)
	s_endpgm
	.section	.rodata,"a",@progbits
	.p2align	6, 0x0
	.amdhsa_kernel _ZL37rocblas_syrkx_herkx_restricted_kernelIl19rocblas_complex_numIfELi16ELi32ELi8ELi1ELi1ELb0ELc78ELc76EKPKS1_KPS1_EviT_PT9_S7_lS9_S7_lPT10_S7_li
		.amdhsa_group_segment_fixed_size 4096
		.amdhsa_private_segment_fixed_size 0
		.amdhsa_kernarg_size 92
		.amdhsa_user_sgpr_count 13
		.amdhsa_user_sgpr_dispatch_ptr 0
		.amdhsa_user_sgpr_queue_ptr 0
		.amdhsa_user_sgpr_kernarg_segment_ptr 1
		.amdhsa_user_sgpr_dispatch_id 0
		.amdhsa_user_sgpr_private_segment_size 0
		.amdhsa_wavefront_size32 1
		.amdhsa_uses_dynamic_stack 0
		.amdhsa_enable_private_segment 0
		.amdhsa_system_sgpr_workgroup_id_x 1
		.amdhsa_system_sgpr_workgroup_id_y 1
		.amdhsa_system_sgpr_workgroup_id_z 1
		.amdhsa_system_sgpr_workgroup_info 0
		.amdhsa_system_vgpr_workitem_id 1
		.amdhsa_next_free_vgpr 92
		.amdhsa_next_free_sgpr 20
		.amdhsa_reserve_vcc 1
		.amdhsa_float_round_mode_32 0
		.amdhsa_float_round_mode_16_64 0
		.amdhsa_float_denorm_mode_32 3
		.amdhsa_float_denorm_mode_16_64 3
		.amdhsa_dx10_clamp 1
		.amdhsa_ieee_mode 1
		.amdhsa_fp16_overflow 0
		.amdhsa_workgroup_processor_mode 1
		.amdhsa_memory_ordered 1
		.amdhsa_forward_progress 0
		.amdhsa_shared_vgpr_count 0
		.amdhsa_exception_fp_ieee_invalid_op 0
		.amdhsa_exception_fp_denorm_src 0
		.amdhsa_exception_fp_ieee_div_zero 0
		.amdhsa_exception_fp_ieee_overflow 0
		.amdhsa_exception_fp_ieee_underflow 0
		.amdhsa_exception_fp_ieee_inexact 0
		.amdhsa_exception_int_div_zero 0
	.end_amdhsa_kernel
	.section	.text._ZL37rocblas_syrkx_herkx_restricted_kernelIl19rocblas_complex_numIfELi16ELi32ELi8ELi1ELi1ELb0ELc78ELc76EKPKS1_KPS1_EviT_PT9_S7_lS9_S7_lPT10_S7_li,"axG",@progbits,_ZL37rocblas_syrkx_herkx_restricted_kernelIl19rocblas_complex_numIfELi16ELi32ELi8ELi1ELi1ELb0ELc78ELc76EKPKS1_KPS1_EviT_PT9_S7_lS9_S7_lPT10_S7_li,comdat
.Lfunc_end1544:
	.size	_ZL37rocblas_syrkx_herkx_restricted_kernelIl19rocblas_complex_numIfELi16ELi32ELi8ELi1ELi1ELb0ELc78ELc76EKPKS1_KPS1_EviT_PT9_S7_lS9_S7_lPT10_S7_li, .Lfunc_end1544-_ZL37rocblas_syrkx_herkx_restricted_kernelIl19rocblas_complex_numIfELi16ELi32ELi8ELi1ELi1ELb0ELc78ELc76EKPKS1_KPS1_EviT_PT9_S7_lS9_S7_lPT10_S7_li
                                        ; -- End function
	.section	.AMDGPU.csdata,"",@progbits
; Kernel info:
; codeLenInByte = 2220
; NumSgprs: 22
; NumVgprs: 92
; ScratchSize: 0
; MemoryBound: 0
; FloatMode: 240
; IeeeMode: 1
; LDSByteSize: 4096 bytes/workgroup (compile time only)
; SGPRBlocks: 2
; VGPRBlocks: 11
; NumSGPRsForWavesPerEU: 22
; NumVGPRsForWavesPerEU: 92
; Occupancy: 16
; WaveLimiterHint : 1
; COMPUTE_PGM_RSRC2:SCRATCH_EN: 0
; COMPUTE_PGM_RSRC2:USER_SGPR: 13
; COMPUTE_PGM_RSRC2:TRAP_HANDLER: 0
; COMPUTE_PGM_RSRC2:TGID_X_EN: 1
; COMPUTE_PGM_RSRC2:TGID_Y_EN: 1
; COMPUTE_PGM_RSRC2:TGID_Z_EN: 1
; COMPUTE_PGM_RSRC2:TIDIG_COMP_CNT: 1
	.section	.text._ZL37rocblas_syrkx_herkx_restricted_kernelIl19rocblas_complex_numIfELi16ELi32ELi8ELi1ELi1ELb0ELc84ELc85EKPKS1_KPS1_EviT_PT9_S7_lS9_S7_lPT10_S7_li,"axG",@progbits,_ZL37rocblas_syrkx_herkx_restricted_kernelIl19rocblas_complex_numIfELi16ELi32ELi8ELi1ELi1ELb0ELc84ELc85EKPKS1_KPS1_EviT_PT9_S7_lS9_S7_lPT10_S7_li,comdat
	.globl	_ZL37rocblas_syrkx_herkx_restricted_kernelIl19rocblas_complex_numIfELi16ELi32ELi8ELi1ELi1ELb0ELc84ELc85EKPKS1_KPS1_EviT_PT9_S7_lS9_S7_lPT10_S7_li ; -- Begin function _ZL37rocblas_syrkx_herkx_restricted_kernelIl19rocblas_complex_numIfELi16ELi32ELi8ELi1ELi1ELb0ELc84ELc85EKPKS1_KPS1_EviT_PT9_S7_lS9_S7_lPT10_S7_li
	.p2align	8
	.type	_ZL37rocblas_syrkx_herkx_restricted_kernelIl19rocblas_complex_numIfELi16ELi32ELi8ELi1ELi1ELb0ELc84ELc85EKPKS1_KPS1_EviT_PT9_S7_lS9_S7_lPT10_S7_li,@function
_ZL37rocblas_syrkx_herkx_restricted_kernelIl19rocblas_complex_numIfELi16ELi32ELi8ELi1ELi1ELb0ELc84ELc85EKPKS1_KPS1_EviT_PT9_S7_lS9_S7_lPT10_S7_li: ; @_ZL37rocblas_syrkx_herkx_restricted_kernelIl19rocblas_complex_numIfELi16ELi32ELi8ELi1ELi1ELb0ELc84ELc85EKPKS1_KPS1_EviT_PT9_S7_lS9_S7_lPT10_S7_li
; %bb.0:
	s_clause 0x1
	s_load_b128 s[4:7], s[0:1], 0x40
	s_load_b128 s[8:11], s[0:1], 0x8
	s_mov_b32 s2, s15
	s_mov_b32 s3, 0
	v_dual_mov_b32 v17, 0 :: v_dual_and_b32 v6, 0x3ff, v0
	s_lshl_b64 s[16:17], s[2:3], 3
	v_bfe_u32 v7, v0, 10, 10
	v_dual_mov_b32 v16, 0 :: v_dual_mov_b32 v11, 0
	v_dual_mov_b32 v10, 0 :: v_dual_mov_b32 v9, 0
	;; [unrolled: 1-line block ×3, first 2 shown]
	v_mov_b32_e32 v0, 0
	s_waitcnt lgkmcnt(0)
	s_add_u32 s2, s4, s16
	s_addc_u32 s3, s5, s17
	v_cmp_lt_i64_e64 s4, s[8:9], 1
	s_load_b64 s[2:3], s[2:3], 0x0
	s_lshl_b32 s18, s13, 5
	s_lshl_b32 s19, s14, 5
	s_delay_alu instid0(VALU_DEP_1)
	s_and_b32 vcc_lo, exec_lo, s4
	s_cbranch_vccnz .LBB1545_3
; %bb.1:
	s_clause 0x1
	s_load_b128 s[12:15], s[0:1], 0x28
	s_load_b64 s[4:5], s[0:1], 0x18
	v_lshl_add_u32 v2, v7, 4, v6
	v_dual_mov_b32 v1, 0 :: v_dual_and_b32 v0, 7, v6
	s_add_u32 s10, s10, s16
	s_addc_u32 s11, s11, s17
	s_delay_alu instid0(VALU_DEP_2)
	v_lshrrev_b32_e32 v10, 3, v2
	v_and_b32_e32 v11, 31, v2
	v_lshrrev_b32_e32 v2, 5, v2
	v_mov_b32_e32 v3, v1
	s_load_b64 s[10:11], s[10:11], 0x0
	v_add_nc_u32_e32 v12, s19, v10
	v_add_nc_u32_e32 v8, s18, v11
	v_dual_mov_b32 v16, v1 :: v_dual_lshlrev_b32 v11, 3, v11
	v_mov_b32_e32 v17, v1
	s_delay_alu instid0(VALU_DEP_4) | instskip(NEXT) | instid1(VALU_DEP_4)
	v_ashrrev_i32_e32 v4, 31, v12
	v_ashrrev_i32_e32 v5, 31, v8
	s_waitcnt lgkmcnt(0)
	s_add_u32 s12, s12, s16
	s_addc_u32 s13, s13, s17
	v_mul_lo_u32 v13, v4, s14
	v_mul_lo_u32 v14, s4, v5
	v_mad_u64_u32 v[4:5], null, s4, v8, v[2:3]
	v_mul_lo_u32 v3, s5, v8
	s_load_b64 s[4:5], s[12:13], 0x0
	v_mul_lo_u32 v15, v12, s15
	v_mad_u64_u32 v[8:9], null, v12, s14, v[0:1]
	v_lshlrev_b32_e32 v0, 3, v0
	v_lshlrev_b32_e32 v12, 3, v6
	v_add3_u32 v5, v3, v5, v14
	v_lshl_or_b32 v14, v2, 8, v11
	v_mov_b32_e32 v11, v1
	v_add3_u32 v9, v13, v9, v15
	v_lshl_or_b32 v0, v10, 6, v0
	v_lshlrev_b64 v[3:4], 3, v[4:5]
	v_lshl_add_u32 v13, v7, 6, 0x800
	v_mov_b32_e32 v10, v1
	v_lshlrev_b64 v[8:9], 3, v[8:9]
	v_add_nc_u32_e32 v15, 0x800, v0
	v_add_co_u32 v0, vcc_lo, v3, s10
	v_add_co_ci_u32_e32 v3, vcc_lo, s11, v4, vcc_lo
	s_waitcnt lgkmcnt(0)
	s_delay_alu instid0(VALU_DEP_4) | instskip(SKIP_3) | instid1(VALU_DEP_4)
	v_add_co_u32 v4, vcc_lo, v8, s4
	v_add_co_ci_u32_e32 v5, vcc_lo, s5, v9, vcc_lo
	v_add_co_u32 v2, vcc_lo, v0, 4
	v_add_co_ci_u32_e32 v3, vcc_lo, 0, v3, vcc_lo
	v_add_co_u32 v4, vcc_lo, v4, 4
	s_delay_alu instid0(VALU_DEP_4)
	v_add_co_ci_u32_e32 v5, vcc_lo, 0, v5, vcc_lo
	v_mov_b32_e32 v0, v1
	v_mov_b32_e32 v8, v1
	;; [unrolled: 1-line block ×3, first 2 shown]
	s_mov_b64 s[4:5], 0
.LBB1545_2:                             ; =>This Inner Loop Header: Depth=1
	global_load_b64 v[18:19], v[2:3], off offset:-4
	global_load_b64 v[20:21], v[4:5], off offset:-4
	s_add_u32 s4, s4, 8
	v_add_co_u32 v2, vcc_lo, v2, 64
	s_addc_u32 s5, s5, 0
	v_add_co_ci_u32_e32 v3, vcc_lo, 0, v3, vcc_lo
	v_cmp_ge_u64_e64 s10, s[4:5], s[8:9]
	v_add_co_u32 v4, vcc_lo, v4, 64
	v_add_co_ci_u32_e32 v5, vcc_lo, 0, v5, vcc_lo
	s_waitcnt vmcnt(1)
	ds_store_b64 v14, v[18:19]
	s_waitcnt vmcnt(0)
	ds_store_b64 v15, v[20:21]
	s_waitcnt lgkmcnt(0)
	s_barrier
	buffer_gl0_inv
	ds_load_2addr_b64 v[18:21], v12 offset1:16
	ds_load_b128 v[22:25], v13
	ds_load_b128 v[26:29], v13 offset:1024
	ds_load_b128 v[30:33], v13 offset:16
	;; [unrolled: 1-line block ×4, first 2 shown]
	ds_load_2addr_b64 v[42:45], v12 offset0:32 offset1:48
	ds_load_2addr_b64 v[46:49], v12 offset0:64 offset1:80
	ds_load_b128 v[50:53], v13 offset:1040
	ds_load_2addr_b64 v[54:57], v12 offset0:96 offset1:112
	ds_load_2addr_b64 v[58:61], v12 offset0:128 offset1:144
	;; [unrolled: 1-line block ×4, first 2 shown]
	ds_load_b128 v[70:73], v13 offset:1056
	ds_load_b128 v[74:77], v13 offset:1072
	ds_load_2addr_b64 v[78:81], v12 offset0:224 offset1:240
	s_and_b32 vcc_lo, exec_lo, s10
	s_waitcnt lgkmcnt(0)
	s_barrier
	buffer_gl0_inv
	v_dual_mul_f32 v82, v23, v19 :: v_dual_mul_f32 v85, v22, v21
	v_dual_mul_f32 v83, v22, v19 :: v_dual_mul_f32 v84, v23, v21
	v_mul_f32_e32 v86, v27, v19
	v_dual_mul_f32 v19, v26, v19 :: v_dual_mul_f32 v90, v25, v45
	v_dual_mul_f32 v87, v27, v21 :: v_dual_mul_f32 v88, v25, v43
	v_mul_f32_e32 v21, v26, v21
	v_fma_f32 v82, v22, v18, -v82
	v_fmac_f32_e32 v83, v23, v18
	v_fma_f32 v22, v22, v20, -v84
	v_fmac_f32_e32 v85, v23, v20
	v_fma_f32 v23, v26, v18, -v86
	v_dual_fmac_f32 v19, v27, v18 :: v_dual_mul_f32 v86, v30, v47
	v_fma_f32 v18, v26, v20, -v87
	v_dual_fmac_f32 v21, v27, v20 :: v_dual_mul_f32 v20, v24, v45
	v_mul_f32_e32 v89, v24, v43
	v_mul_f32_e32 v26, v29, v43
	;; [unrolled: 1-line block ×4, first 2 shown]
	v_fmac_f32_e32 v20, v25, v44
	v_fmac_f32_e32 v89, v25, v42
	v_dual_mul_f32 v25, v28, v45 :: v_dual_fmac_f32 v86, v31, v46
	v_fma_f32 v84, v24, v42, -v88
	v_fma_f32 v24, v24, v44, -v90
	v_dual_mul_f32 v45, v31, v47 :: v_dual_mul_f32 v90, v33, v57
	v_fma_f32 v26, v28, v42, -v26
	v_fma_f32 v28, v28, v44, -v43
	v_fmac_f32_e32 v25, v29, v44
	v_dual_mul_f32 v43, v50, v47 :: v_dual_mul_f32 v44, v51, v49
	v_dual_fmac_f32 v27, v29, v42 :: v_dual_mul_f32 v42, v51, v47
	v_dual_mul_f32 v88, v32, v55 :: v_dual_mul_f32 v29, v30, v49
	v_mul_f32_e32 v87, v31, v49
	v_fma_f32 v45, v30, v46, -v45
	v_add_f32_e32 v10, v10, v85
	s_delay_alu instid0(VALU_DEP_4)
	v_dual_fmac_f32 v88, v33, v54 :: v_dual_fmac_f32 v29, v31, v48
	v_fma_f32 v31, v50, v46, -v42
	v_fma_f32 v42, v50, v48, -v44
	v_mul_f32_e32 v44, v32, v57
	v_mul_f32_e32 v47, v50, v49
	v_dual_mul_f32 v50, v53, v57 :: v_dual_fmac_f32 v43, v51, v46
	v_mul_f32_e32 v46, v53, v55
	v_mul_f32_e32 v49, v33, v55
	v_fma_f32 v30, v30, v48, -v87
	v_fmac_f32_e32 v44, v33, v56
	v_dual_fmac_f32 v47, v51, v48 :: v_dual_mul_f32 v48, v52, v55
	v_mul_f32_e32 v33, v52, v57
	v_fma_f32 v46, v52, v54, -v46
	v_fma_f32 v50, v52, v56, -v50
	v_mul_f32_e32 v52, v34, v61
	v_fma_f32 v49, v32, v54, -v49
	v_fma_f32 v32, v32, v56, -v90
	v_dual_mul_f32 v51, v35, v59 :: v_dual_fmac_f32 v48, v53, v54
	v_mul_f32_e32 v54, v70, v59
	v_dual_mul_f32 v55, v34, v59 :: v_dual_fmac_f32 v52, v35, v60
	v_fmac_f32_e32 v33, v53, v56
	v_mul_f32_e32 v53, v71, v59
	v_mul_f32_e32 v56, v71, v61
	;; [unrolled: 1-line block ×3, first 2 shown]
	v_fmac_f32_e32 v54, v71, v58
	v_fmac_f32_e32 v55, v35, v58
	v_fma_f32 v35, v70, v58, -v53
	v_fma_f32 v53, v70, v60, -v56
	v_mul_f32_e32 v56, v36, v65
	v_mul_f32_e32 v59, v70, v61
	v_fma_f32 v51, v34, v58, -v51
	v_mul_f32_e32 v58, v72, v63
	v_mul_f32_e32 v87, v36, v63
	;; [unrolled: 1-line block ×4, first 2 shown]
	v_fma_f32 v34, v34, v60, -v57
	v_mul_f32_e32 v57, v73, v63
	v_fmac_f32_e32 v56, v37, v64
	v_dual_fmac_f32 v59, v71, v60 :: v_dual_mul_f32 v60, v73, v65
	v_mul_f32_e32 v63, v39, v67
	v_mul_f32_e32 v70, v39, v69
	v_fmac_f32_e32 v58, v73, v62
	v_fmac_f32_e32 v87, v37, v62
	v_mul_f32_e32 v37, v72, v65
	v_fma_f32 v61, v36, v62, -v61
	v_fma_f32 v36, v36, v64, -v90
	v_mul_f32_e32 v65, v38, v67
	v_fma_f32 v57, v72, v62, -v57
	v_fma_f32 v60, v72, v64, -v60
	v_dual_fmac_f32 v37, v73, v64 :: v_dual_mul_f32 v62, v38, v69
	v_mul_f32_e32 v64, v75, v67
	v_mul_f32_e32 v73, v40, v79
	v_fma_f32 v63, v38, v66, -v63
	v_fma_f32 v38, v38, v68, -v70
	v_mul_f32_e32 v70, v76, v79
	v_mul_f32_e32 v67, v74, v67
	v_dual_mul_f32 v71, v75, v69 :: v_dual_add_f32 v16, v16, v82
	v_dual_mul_f32 v69, v74, v69 :: v_dual_add_f32 v8, v8, v19
	v_fmac_f32_e32 v65, v39, v66
	v_fmac_f32_e32 v62, v39, v68
	s_delay_alu instid0(VALU_DEP_4)
	v_add_f32_e32 v16, v16, v84
	v_fma_f32 v39, v74, v66, -v64
	v_fmac_f32_e32 v70, v77, v78
	v_dual_fmac_f32 v67, v75, v66 :: v_dual_add_f32 v10, v10, v20
	v_mul_f32_e32 v66, v40, v81
	v_mul_f32_e32 v72, v41, v79
	;; [unrolled: 1-line block ×3, first 2 shown]
	v_fma_f32 v64, v74, v68, -v71
	v_dual_fmac_f32 v69, v75, v68 :: v_dual_add_f32 v0, v0, v18
	v_dual_mul_f32 v71, v77, v81 :: v_dual_add_f32 v8, v8, v27
	v_fmac_f32_e32 v73, v41, v78
	v_fmac_f32_e32 v66, v41, v80
	s_delay_alu instid0(VALU_DEP_4) | instskip(SKIP_3) | instid1(VALU_DEP_4)
	v_dual_add_f32 v0, v0, v28 :: v_dual_add_f32 v17, v17, v83
	v_add_f32_e32 v10, v10, v29
	v_mul_f32_e32 v41, v76, v81
	v_dual_add_f32 v11, v11, v22 :: v_dual_add_f32 v8, v8, v43
	v_dual_add_f32 v9, v9, v23 :: v_dual_add_f32 v0, v0, v42
	v_add_f32_e32 v1, v1, v21
	v_add_f32_e32 v16, v16, v45
	s_delay_alu instid0(VALU_DEP_4)
	v_add_f32_e32 v8, v8, v48
	v_add_f32_e32 v10, v10, v44
	v_fmac_f32_e32 v41, v77, v80
	v_dual_add_f32 v17, v17, v89 :: v_dual_add_f32 v0, v0, v50
	v_dual_add_f32 v11, v11, v24 :: v_dual_add_f32 v16, v16, v49
	v_add_f32_e32 v9, v9, v26
	v_dual_add_f32 v1, v1, v25 :: v_dual_add_f32 v10, v10, v52
	s_delay_alu instid0(VALU_DEP_4) | instskip(NEXT) | instid1(VALU_DEP_4)
	v_dual_add_f32 v17, v17, v86 :: v_dual_add_f32 v0, v0, v53
	v_dual_add_f32 v16, v16, v51 :: v_dual_add_f32 v11, v11, v30
	s_delay_alu instid0(VALU_DEP_4) | instskip(NEXT) | instid1(VALU_DEP_4)
	v_dual_add_f32 v9, v9, v31 :: v_dual_add_f32 v8, v8, v54
	v_dual_add_f32 v1, v1, v47 :: v_dual_add_f32 v10, v10, v56
	s_delay_alu instid0(VALU_DEP_4) | instskip(NEXT) | instid1(VALU_DEP_3)
	v_add_f32_e32 v17, v17, v88
	v_dual_add_f32 v9, v9, v46 :: v_dual_add_f32 v0, v0, v60
	s_delay_alu instid0(VALU_DEP_3) | instskip(SKIP_2) | instid1(VALU_DEP_3)
	v_dual_add_f32 v1, v1, v33 :: v_dual_add_f32 v10, v10, v62
	v_dual_add_f32 v16, v16, v61 :: v_dual_add_f32 v11, v11, v32
	v_fma_f32 v72, v40, v78, -v72
	v_dual_add_f32 v1, v1, v59 :: v_dual_add_f32 v10, v10, v66
	v_dual_add_f32 v8, v8, v58 :: v_dual_add_f32 v17, v17, v55
	v_add_f32_e32 v0, v0, v64
	v_dual_add_f32 v16, v16, v63 :: v_dual_add_f32 v11, v11, v34
	s_delay_alu instid0(VALU_DEP_3) | instskip(SKIP_2) | instid1(VALU_DEP_4)
	v_add_f32_e32 v8, v8, v67
	v_add_f32_e32 v9, v9, v35
	v_mul_f32_e32 v68, v77, v79
	v_add_f32_e32 v16, v16, v72
	v_fma_f32 v71, v76, v80, -v71
	v_dual_add_f32 v17, v17, v87 :: v_dual_add_f32 v8, v8, v70
	v_add_f32_e32 v11, v11, v36
	s_delay_alu instid0(VALU_DEP_3)
	v_dual_add_f32 v9, v9, v57 :: v_dual_add_f32 v0, v0, v71
	v_add_f32_e32 v1, v1, v37
	v_fma_f32 v40, v40, v80, -v90
	v_fma_f32 v68, v76, v78, -v68
	v_add_f32_e32 v17, v17, v65
	v_add_f32_e32 v11, v11, v38
	v_add_f32_e32 v9, v9, v39
	v_add_f32_e32 v1, v1, v69
	s_delay_alu instid0(VALU_DEP_4) | instskip(NEXT) | instid1(VALU_DEP_4)
	v_add_f32_e32 v17, v17, v73
	v_add_f32_e32 v11, v11, v40
	s_delay_alu instid0(VALU_DEP_4) | instskip(NEXT) | instid1(VALU_DEP_4)
	v_add_f32_e32 v9, v9, v68
	v_add_f32_e32 v1, v1, v41
	s_cbranch_vccz .LBB1545_2
.LBB1545_3:
	v_add_nc_u32_e32 v7, s19, v7
	s_load_b32 s4, s[0:1], 0x0
	s_delay_alu instid0(VALU_DEP_1) | instskip(SKIP_2) | instid1(VALU_DEP_3)
	v_ashrrev_i32_e32 v2, 31, v7
	v_mul_lo_u32 v5, v7, s7
	v_mad_u64_u32 v[3:4], null, v7, s6, 0
	v_mul_lo_u32 v2, v2, s6
	s_delay_alu instid0(VALU_DEP_1) | instskip(SKIP_3) | instid1(VALU_DEP_3)
	v_add3_u32 v4, v4, v5, v2
	v_add_nc_u32_e32 v2, s18, v6
	s_waitcnt lgkmcnt(0)
	v_cmp_gt_i32_e32 vcc_lo, s4, v7
	v_lshlrev_b64 v[3:4], 3, v[3:4]
	s_delay_alu instid0(VALU_DEP_3) | instskip(NEXT) | instid1(VALU_DEP_1)
	v_cmp_le_i32_e64 s0, v2, v7
	s_and_b32 s0, vcc_lo, s0
	s_delay_alu instid0(VALU_DEP_2) | instskip(NEXT) | instid1(VALU_DEP_1)
	v_add_co_u32 v6, s1, s2, v3
	v_add_co_ci_u32_e64 v12, s1, s3, v4, s1
	s_and_saveexec_b32 s1, s0
	s_cbranch_execz .LBB1545_5
; %bb.4:
	v_ashrrev_i32_e32 v3, 31, v2
	s_delay_alu instid0(VALU_DEP_1) | instskip(NEXT) | instid1(VALU_DEP_1)
	v_lshlrev_b64 v[3:4], 3, v[2:3]
	v_add_co_u32 v3, s0, v6, v3
	s_delay_alu instid0(VALU_DEP_1)
	v_add_co_ci_u32_e64 v4, s0, v12, v4, s0
	global_load_b64 v[13:14], v[3:4], off
	s_waitcnt vmcnt(0)
	v_dual_add_f32 v13, v16, v13 :: v_dual_add_f32 v14, v17, v14
	global_store_b64 v[3:4], v[13:14], off
.LBB1545_5:
	s_or_b32 exec_lo, exec_lo, s1
	v_add_nc_u32_e32 v4, 16, v2
	s_delay_alu instid0(VALU_DEP_1) | instskip(NEXT) | instid1(VALU_DEP_1)
	v_cmp_le_i32_e64 s0, v4, v7
	s_and_b32 s1, vcc_lo, s0
	s_delay_alu instid0(SALU_CYCLE_1)
	s_and_saveexec_b32 s0, s1
	s_cbranch_execz .LBB1545_7
; %bb.6:
	v_ashrrev_i32_e32 v5, 31, v4
	s_delay_alu instid0(VALU_DEP_1) | instskip(NEXT) | instid1(VALU_DEP_1)
	v_lshlrev_b64 v[13:14], 3, v[4:5]
	v_add_co_u32 v5, vcc_lo, v6, v13
	s_delay_alu instid0(VALU_DEP_2)
	v_add_co_ci_u32_e32 v6, vcc_lo, v12, v14, vcc_lo
	global_load_b64 v[12:13], v[5:6], off
	s_waitcnt vmcnt(0)
	v_dual_add_f32 v11, v11, v12 :: v_dual_add_f32 v12, v10, v13
	global_store_b64 v[5:6], v[11:12], off
.LBB1545_7:
	s_or_b32 exec_lo, exec_lo, s0
	v_add_nc_u32_e32 v5, 16, v7
	s_delay_alu instid0(VALU_DEP_1) | instskip(SKIP_3) | instid1(VALU_DEP_4)
	v_ashrrev_i32_e32 v3, 31, v5
	v_mul_lo_u32 v10, v5, s7
	v_mad_u64_u32 v[6:7], null, v5, s6, 0
	v_cmp_gt_i32_e32 vcc_lo, s4, v5
	v_mul_lo_u32 v3, v3, s6
	v_cmp_le_i32_e64 s0, v2, v5
	s_delay_alu instid0(VALU_DEP_1) | instskip(NEXT) | instid1(VALU_DEP_2)
	s_and_b32 s0, vcc_lo, s0
	v_add3_u32 v7, v7, v10, v3
	s_delay_alu instid0(VALU_DEP_1) | instskip(NEXT) | instid1(VALU_DEP_1)
	v_lshlrev_b64 v[6:7], 3, v[6:7]
	v_add_co_u32 v6, s1, s2, v6
	s_delay_alu instid0(VALU_DEP_1)
	v_add_co_ci_u32_e64 v7, s1, s3, v7, s1
	s_and_saveexec_b32 s1, s0
	s_cbranch_execz .LBB1545_9
; %bb.8:
	v_ashrrev_i32_e32 v3, 31, v2
	s_delay_alu instid0(VALU_DEP_1) | instskip(NEXT) | instid1(VALU_DEP_1)
	v_lshlrev_b64 v[2:3], 3, v[2:3]
	v_add_co_u32 v2, s0, v6, v2
	s_delay_alu instid0(VALU_DEP_1)
	v_add_co_ci_u32_e64 v3, s0, v7, v3, s0
	global_load_b64 v[10:11], v[2:3], off
	s_waitcnt vmcnt(0)
	v_dual_add_f32 v9, v9, v10 :: v_dual_add_f32 v10, v8, v11
	global_store_b64 v[2:3], v[9:10], off
.LBB1545_9:
	s_or_b32 exec_lo, exec_lo, s1
	v_cmp_le_i32_e64 s0, v4, v5
	s_delay_alu instid0(VALU_DEP_1) | instskip(NEXT) | instid1(SALU_CYCLE_1)
	s_and_b32 s0, vcc_lo, s0
	s_and_saveexec_b32 s1, s0
	s_cbranch_execz .LBB1545_11
; %bb.10:
	v_ashrrev_i32_e32 v5, 31, v4
	s_delay_alu instid0(VALU_DEP_1) | instskip(NEXT) | instid1(VALU_DEP_1)
	v_lshlrev_b64 v[2:3], 3, v[4:5]
	v_add_co_u32 v2, vcc_lo, v6, v2
	s_delay_alu instid0(VALU_DEP_2)
	v_add_co_ci_u32_e32 v3, vcc_lo, v7, v3, vcc_lo
	global_load_b64 v[4:5], v[2:3], off
	s_waitcnt vmcnt(0)
	v_dual_add_f32 v0, v0, v4 :: v_dual_add_f32 v1, v1, v5
	global_store_b64 v[2:3], v[0:1], off
.LBB1545_11:
	s_nop 0
	s_sendmsg sendmsg(MSG_DEALLOC_VGPRS)
	s_endpgm
	.section	.rodata,"a",@progbits
	.p2align	6, 0x0
	.amdhsa_kernel _ZL37rocblas_syrkx_herkx_restricted_kernelIl19rocblas_complex_numIfELi16ELi32ELi8ELi1ELi1ELb0ELc84ELc85EKPKS1_KPS1_EviT_PT9_S7_lS9_S7_lPT10_S7_li
		.amdhsa_group_segment_fixed_size 4096
		.amdhsa_private_segment_fixed_size 0
		.amdhsa_kernarg_size 92
		.amdhsa_user_sgpr_count 13
		.amdhsa_user_sgpr_dispatch_ptr 0
		.amdhsa_user_sgpr_queue_ptr 0
		.amdhsa_user_sgpr_kernarg_segment_ptr 1
		.amdhsa_user_sgpr_dispatch_id 0
		.amdhsa_user_sgpr_private_segment_size 0
		.amdhsa_wavefront_size32 1
		.amdhsa_uses_dynamic_stack 0
		.amdhsa_enable_private_segment 0
		.amdhsa_system_sgpr_workgroup_id_x 1
		.amdhsa_system_sgpr_workgroup_id_y 1
		.amdhsa_system_sgpr_workgroup_id_z 1
		.amdhsa_system_sgpr_workgroup_info 0
		.amdhsa_system_vgpr_workitem_id 1
		.amdhsa_next_free_vgpr 91
		.amdhsa_next_free_sgpr 20
		.amdhsa_reserve_vcc 1
		.amdhsa_float_round_mode_32 0
		.amdhsa_float_round_mode_16_64 0
		.amdhsa_float_denorm_mode_32 3
		.amdhsa_float_denorm_mode_16_64 3
		.amdhsa_dx10_clamp 1
		.amdhsa_ieee_mode 1
		.amdhsa_fp16_overflow 0
		.amdhsa_workgroup_processor_mode 1
		.amdhsa_memory_ordered 1
		.amdhsa_forward_progress 0
		.amdhsa_shared_vgpr_count 0
		.amdhsa_exception_fp_ieee_invalid_op 0
		.amdhsa_exception_fp_denorm_src 0
		.amdhsa_exception_fp_ieee_div_zero 0
		.amdhsa_exception_fp_ieee_overflow 0
		.amdhsa_exception_fp_ieee_underflow 0
		.amdhsa_exception_fp_ieee_inexact 0
		.amdhsa_exception_int_div_zero 0
	.end_amdhsa_kernel
	.section	.text._ZL37rocblas_syrkx_herkx_restricted_kernelIl19rocblas_complex_numIfELi16ELi32ELi8ELi1ELi1ELb0ELc84ELc85EKPKS1_KPS1_EviT_PT9_S7_lS9_S7_lPT10_S7_li,"axG",@progbits,_ZL37rocblas_syrkx_herkx_restricted_kernelIl19rocblas_complex_numIfELi16ELi32ELi8ELi1ELi1ELb0ELc84ELc85EKPKS1_KPS1_EviT_PT9_S7_lS9_S7_lPT10_S7_li,comdat
.Lfunc_end1545:
	.size	_ZL37rocblas_syrkx_herkx_restricted_kernelIl19rocblas_complex_numIfELi16ELi32ELi8ELi1ELi1ELb0ELc84ELc85EKPKS1_KPS1_EviT_PT9_S7_lS9_S7_lPT10_S7_li, .Lfunc_end1545-_ZL37rocblas_syrkx_herkx_restricted_kernelIl19rocblas_complex_numIfELi16ELi32ELi8ELi1ELi1ELb0ELc84ELc85EKPKS1_KPS1_EviT_PT9_S7_lS9_S7_lPT10_S7_li
                                        ; -- End function
	.section	.AMDGPU.csdata,"",@progbits
; Kernel info:
; codeLenInByte = 2204
; NumSgprs: 22
; NumVgprs: 91
; ScratchSize: 0
; MemoryBound: 0
; FloatMode: 240
; IeeeMode: 1
; LDSByteSize: 4096 bytes/workgroup (compile time only)
; SGPRBlocks: 2
; VGPRBlocks: 11
; NumSGPRsForWavesPerEU: 22
; NumVGPRsForWavesPerEU: 91
; Occupancy: 16
; WaveLimiterHint : 1
; COMPUTE_PGM_RSRC2:SCRATCH_EN: 0
; COMPUTE_PGM_RSRC2:USER_SGPR: 13
; COMPUTE_PGM_RSRC2:TRAP_HANDLER: 0
; COMPUTE_PGM_RSRC2:TGID_X_EN: 1
; COMPUTE_PGM_RSRC2:TGID_Y_EN: 1
; COMPUTE_PGM_RSRC2:TGID_Z_EN: 1
; COMPUTE_PGM_RSRC2:TIDIG_COMP_CNT: 1
	.section	.text._ZL37rocblas_syrkx_herkx_restricted_kernelIl19rocblas_complex_numIfELi16ELi32ELi8ELi1ELi1ELb0ELc67ELc85EKPKS1_KPS1_EviT_PT9_S7_lS9_S7_lPT10_S7_li,"axG",@progbits,_ZL37rocblas_syrkx_herkx_restricted_kernelIl19rocblas_complex_numIfELi16ELi32ELi8ELi1ELi1ELb0ELc67ELc85EKPKS1_KPS1_EviT_PT9_S7_lS9_S7_lPT10_S7_li,comdat
	.globl	_ZL37rocblas_syrkx_herkx_restricted_kernelIl19rocblas_complex_numIfELi16ELi32ELi8ELi1ELi1ELb0ELc67ELc85EKPKS1_KPS1_EviT_PT9_S7_lS9_S7_lPT10_S7_li ; -- Begin function _ZL37rocblas_syrkx_herkx_restricted_kernelIl19rocblas_complex_numIfELi16ELi32ELi8ELi1ELi1ELb0ELc67ELc85EKPKS1_KPS1_EviT_PT9_S7_lS9_S7_lPT10_S7_li
	.p2align	8
	.type	_ZL37rocblas_syrkx_herkx_restricted_kernelIl19rocblas_complex_numIfELi16ELi32ELi8ELi1ELi1ELb0ELc67ELc85EKPKS1_KPS1_EviT_PT9_S7_lS9_S7_lPT10_S7_li,@function
_ZL37rocblas_syrkx_herkx_restricted_kernelIl19rocblas_complex_numIfELi16ELi32ELi8ELi1ELi1ELb0ELc67ELc85EKPKS1_KPS1_EviT_PT9_S7_lS9_S7_lPT10_S7_li: ; @_ZL37rocblas_syrkx_herkx_restricted_kernelIl19rocblas_complex_numIfELi16ELi32ELi8ELi1ELi1ELb0ELc67ELc85EKPKS1_KPS1_EviT_PT9_S7_lS9_S7_lPT10_S7_li
; %bb.0:
	s_clause 0x1
	s_load_b128 s[4:7], s[0:1], 0x40
	s_load_b128 s[8:11], s[0:1], 0x8
	s_mov_b32 s2, s15
	s_mov_b32 s3, 0
	v_dual_mov_b32 v17, 0 :: v_dual_and_b32 v6, 0x3ff, v0
	s_lshl_b64 s[16:17], s[2:3], 3
	v_bfe_u32 v7, v0, 10, 10
	v_dual_mov_b32 v16, 0 :: v_dual_mov_b32 v11, 0
	v_dual_mov_b32 v10, 0 :: v_dual_mov_b32 v9, 0
	;; [unrolled: 1-line block ×3, first 2 shown]
	v_mov_b32_e32 v0, 0
	s_waitcnt lgkmcnt(0)
	s_add_u32 s2, s4, s16
	s_addc_u32 s3, s5, s17
	v_cmp_lt_i64_e64 s4, s[8:9], 1
	s_load_b64 s[2:3], s[2:3], 0x0
	s_lshl_b32 s18, s13, 5
	s_lshl_b32 s19, s14, 5
	s_delay_alu instid0(VALU_DEP_1)
	s_and_b32 vcc_lo, exec_lo, s4
	s_cbranch_vccnz .LBB1546_3
; %bb.1:
	s_clause 0x1
	s_load_b128 s[12:15], s[0:1], 0x28
	s_load_b64 s[4:5], s[0:1], 0x18
	v_lshl_add_u32 v2, v7, 4, v6
	v_dual_mov_b32 v1, 0 :: v_dual_and_b32 v0, 7, v6
	s_add_u32 s10, s10, s16
	s_addc_u32 s11, s11, s17
	s_delay_alu instid0(VALU_DEP_2)
	v_lshrrev_b32_e32 v10, 3, v2
	v_and_b32_e32 v11, 31, v2
	v_lshrrev_b32_e32 v2, 5, v2
	v_mov_b32_e32 v3, v1
	s_load_b64 s[10:11], s[10:11], 0x0
	v_add_nc_u32_e32 v12, s19, v10
	v_add_nc_u32_e32 v8, s18, v11
	v_dual_mov_b32 v16, v1 :: v_dual_lshlrev_b32 v11, 3, v11
	v_mov_b32_e32 v17, v1
	s_delay_alu instid0(VALU_DEP_4) | instskip(NEXT) | instid1(VALU_DEP_4)
	v_ashrrev_i32_e32 v4, 31, v12
	v_ashrrev_i32_e32 v5, 31, v8
	s_waitcnt lgkmcnt(0)
	s_add_u32 s12, s12, s16
	s_addc_u32 s13, s13, s17
	v_mul_lo_u32 v13, v4, s14
	v_mul_lo_u32 v14, s4, v5
	v_mad_u64_u32 v[4:5], null, s4, v8, v[2:3]
	v_mul_lo_u32 v3, s5, v8
	s_load_b64 s[4:5], s[12:13], 0x0
	v_mul_lo_u32 v15, v12, s15
	v_mad_u64_u32 v[8:9], null, v12, s14, v[0:1]
	v_lshlrev_b32_e32 v0, 3, v0
	v_lshlrev_b32_e32 v12, 3, v6
	v_add3_u32 v5, v3, v5, v14
	v_lshl_or_b32 v14, v2, 8, v11
	v_mov_b32_e32 v11, v1
	v_add3_u32 v9, v13, v9, v15
	v_lshl_or_b32 v0, v10, 6, v0
	v_lshlrev_b64 v[3:4], 3, v[4:5]
	v_lshl_add_u32 v13, v7, 6, 0x800
	v_mov_b32_e32 v10, v1
	v_lshlrev_b64 v[8:9], 3, v[8:9]
	v_add_nc_u32_e32 v15, 0x800, v0
	v_add_co_u32 v0, vcc_lo, v3, s10
	v_add_co_ci_u32_e32 v3, vcc_lo, s11, v4, vcc_lo
	s_waitcnt lgkmcnt(0)
	s_delay_alu instid0(VALU_DEP_4) | instskip(SKIP_3) | instid1(VALU_DEP_4)
	v_add_co_u32 v4, vcc_lo, v8, s4
	v_add_co_ci_u32_e32 v5, vcc_lo, s5, v9, vcc_lo
	v_add_co_u32 v2, vcc_lo, v0, 4
	v_add_co_ci_u32_e32 v3, vcc_lo, 0, v3, vcc_lo
	v_add_co_u32 v4, vcc_lo, v4, 4
	s_delay_alu instid0(VALU_DEP_4)
	v_add_co_ci_u32_e32 v5, vcc_lo, 0, v5, vcc_lo
	v_mov_b32_e32 v0, v1
	v_mov_b32_e32 v8, v1
	;; [unrolled: 1-line block ×3, first 2 shown]
	s_mov_b64 s[4:5], 0
.LBB1546_2:                             ; =>This Inner Loop Header: Depth=1
	global_load_b64 v[18:19], v[2:3], off offset:-4
	global_load_b64 v[20:21], v[4:5], off offset:-4
	s_add_u32 s4, s4, 8
	v_add_co_u32 v2, vcc_lo, v2, 64
	s_addc_u32 s5, s5, 0
	v_add_co_ci_u32_e32 v3, vcc_lo, 0, v3, vcc_lo
	v_cmp_ge_u64_e64 s10, s[4:5], s[8:9]
	v_add_co_u32 v4, vcc_lo, v4, 64
	v_add_co_ci_u32_e32 v5, vcc_lo, 0, v5, vcc_lo
	s_waitcnt vmcnt(1)
	ds_store_b64 v14, v[18:19]
	s_waitcnt vmcnt(0)
	ds_store_b64 v15, v[20:21]
	s_waitcnt lgkmcnt(0)
	s_barrier
	buffer_gl0_inv
	ds_load_2addr_b64 v[18:21], v12 offset1:16
	ds_load_b128 v[22:25], v13
	ds_load_b128 v[26:29], v13 offset:1024
	ds_load_b128 v[30:33], v13 offset:16
	;; [unrolled: 1-line block ×4, first 2 shown]
	ds_load_2addr_b64 v[42:45], v12 offset0:32 offset1:48
	ds_load_2addr_b64 v[46:49], v12 offset0:64 offset1:80
	ds_load_b128 v[50:53], v13 offset:1040
	ds_load_2addr_b64 v[54:57], v12 offset0:96 offset1:112
	ds_load_2addr_b64 v[58:61], v12 offset0:128 offset1:144
	ds_load_2addr_b64 v[62:65], v12 offset0:160 offset1:176
	ds_load_2addr_b64 v[66:69], v12 offset0:192 offset1:208
	ds_load_b128 v[70:73], v13 offset:1056
	ds_load_b128 v[74:77], v13 offset:1072
	ds_load_2addr_b64 v[78:81], v12 offset0:224 offset1:240
	s_and_b32 vcc_lo, exec_lo, s10
	s_waitcnt lgkmcnt(0)
	s_barrier
	buffer_gl0_inv
	v_dual_mul_f32 v82, v23, v19 :: v_dual_mul_f32 v85, v22, v21
	v_dual_mul_f32 v83, v22, v19 :: v_dual_mul_f32 v84, v23, v21
	v_mul_f32_e32 v86, v27, v19
	v_dual_mul_f32 v19, v26, v19 :: v_dual_mul_f32 v90, v25, v45
	v_dual_mul_f32 v87, v27, v21 :: v_dual_mul_f32 v88, v25, v43
	v_mul_f32_e32 v21, v26, v21
	v_fma_f32 v82, v22, v18, -v82
	v_fmac_f32_e32 v83, v23, v18
	v_fma_f32 v22, v22, v20, -v84
	v_fmac_f32_e32 v85, v23, v20
	v_fma_f32 v23, v26, v18, -v86
	v_dual_fmac_f32 v19, v27, v18 :: v_dual_mul_f32 v86, v30, v47
	v_fma_f32 v18, v26, v20, -v87
	v_dual_fmac_f32 v21, v27, v20 :: v_dual_mul_f32 v20, v24, v45
	v_mul_f32_e32 v89, v24, v43
	v_mul_f32_e32 v26, v29, v43
	;; [unrolled: 1-line block ×4, first 2 shown]
	v_fmac_f32_e32 v20, v25, v44
	v_fmac_f32_e32 v89, v25, v42
	v_dual_mul_f32 v25, v28, v45 :: v_dual_fmac_f32 v86, v31, v46
	v_fma_f32 v84, v24, v42, -v88
	v_fma_f32 v24, v24, v44, -v90
	v_dual_mul_f32 v45, v31, v47 :: v_dual_mul_f32 v90, v33, v57
	v_fma_f32 v26, v28, v42, -v26
	v_fma_f32 v28, v28, v44, -v43
	v_fmac_f32_e32 v25, v29, v44
	v_dual_mul_f32 v43, v50, v47 :: v_dual_mul_f32 v44, v51, v49
	v_dual_fmac_f32 v27, v29, v42 :: v_dual_mul_f32 v42, v51, v47
	v_dual_mul_f32 v88, v32, v55 :: v_dual_mul_f32 v29, v30, v49
	v_mul_f32_e32 v87, v31, v49
	v_fma_f32 v45, v30, v46, -v45
	v_add_f32_e32 v10, v10, v85
	s_delay_alu instid0(VALU_DEP_4)
	v_dual_fmac_f32 v88, v33, v54 :: v_dual_fmac_f32 v29, v31, v48
	v_fma_f32 v31, v50, v46, -v42
	v_fma_f32 v42, v50, v48, -v44
	v_mul_f32_e32 v44, v32, v57
	v_mul_f32_e32 v47, v50, v49
	v_dual_mul_f32 v50, v53, v57 :: v_dual_fmac_f32 v43, v51, v46
	v_mul_f32_e32 v46, v53, v55
	v_mul_f32_e32 v49, v33, v55
	v_fma_f32 v30, v30, v48, -v87
	v_fmac_f32_e32 v44, v33, v56
	v_dual_fmac_f32 v47, v51, v48 :: v_dual_mul_f32 v48, v52, v55
	v_mul_f32_e32 v33, v52, v57
	v_fma_f32 v46, v52, v54, -v46
	v_fma_f32 v50, v52, v56, -v50
	v_mul_f32_e32 v52, v34, v61
	v_fma_f32 v49, v32, v54, -v49
	v_fma_f32 v32, v32, v56, -v90
	v_dual_mul_f32 v51, v35, v59 :: v_dual_fmac_f32 v48, v53, v54
	v_mul_f32_e32 v54, v70, v59
	v_dual_mul_f32 v55, v34, v59 :: v_dual_fmac_f32 v52, v35, v60
	v_fmac_f32_e32 v33, v53, v56
	v_mul_f32_e32 v53, v71, v59
	v_mul_f32_e32 v56, v71, v61
	;; [unrolled: 1-line block ×3, first 2 shown]
	v_fmac_f32_e32 v54, v71, v58
	v_fmac_f32_e32 v55, v35, v58
	v_fma_f32 v35, v70, v58, -v53
	v_fma_f32 v53, v70, v60, -v56
	v_mul_f32_e32 v56, v36, v65
	v_mul_f32_e32 v59, v70, v61
	v_fma_f32 v51, v34, v58, -v51
	v_mul_f32_e32 v58, v72, v63
	v_mul_f32_e32 v87, v36, v63
	;; [unrolled: 1-line block ×4, first 2 shown]
	v_fma_f32 v34, v34, v60, -v57
	v_mul_f32_e32 v57, v73, v63
	v_fmac_f32_e32 v56, v37, v64
	v_dual_fmac_f32 v59, v71, v60 :: v_dual_mul_f32 v60, v73, v65
	v_mul_f32_e32 v63, v39, v67
	v_mul_f32_e32 v70, v39, v69
	v_fmac_f32_e32 v58, v73, v62
	v_fmac_f32_e32 v87, v37, v62
	v_mul_f32_e32 v37, v72, v65
	v_fma_f32 v61, v36, v62, -v61
	v_fma_f32 v36, v36, v64, -v90
	v_mul_f32_e32 v65, v38, v67
	v_fma_f32 v57, v72, v62, -v57
	v_fma_f32 v60, v72, v64, -v60
	v_dual_fmac_f32 v37, v73, v64 :: v_dual_mul_f32 v62, v38, v69
	v_mul_f32_e32 v64, v75, v67
	v_mul_f32_e32 v73, v40, v79
	v_fma_f32 v63, v38, v66, -v63
	v_fma_f32 v38, v38, v68, -v70
	v_mul_f32_e32 v70, v76, v79
	v_mul_f32_e32 v67, v74, v67
	v_dual_mul_f32 v71, v75, v69 :: v_dual_add_f32 v16, v16, v82
	v_dual_mul_f32 v69, v74, v69 :: v_dual_add_f32 v8, v8, v19
	v_fmac_f32_e32 v65, v39, v66
	v_fmac_f32_e32 v62, v39, v68
	s_delay_alu instid0(VALU_DEP_4)
	v_add_f32_e32 v16, v16, v84
	v_fma_f32 v39, v74, v66, -v64
	v_fmac_f32_e32 v70, v77, v78
	v_dual_fmac_f32 v67, v75, v66 :: v_dual_add_f32 v10, v10, v20
	v_mul_f32_e32 v66, v40, v81
	v_mul_f32_e32 v72, v41, v79
	;; [unrolled: 1-line block ×3, first 2 shown]
	v_fma_f32 v64, v74, v68, -v71
	v_dual_fmac_f32 v69, v75, v68 :: v_dual_add_f32 v0, v0, v18
	v_dual_mul_f32 v71, v77, v81 :: v_dual_add_f32 v8, v8, v27
	v_fmac_f32_e32 v73, v41, v78
	v_fmac_f32_e32 v66, v41, v80
	s_delay_alu instid0(VALU_DEP_4) | instskip(SKIP_3) | instid1(VALU_DEP_4)
	v_dual_add_f32 v0, v0, v28 :: v_dual_add_f32 v17, v17, v83
	v_add_f32_e32 v10, v10, v29
	v_mul_f32_e32 v41, v76, v81
	v_dual_add_f32 v11, v11, v22 :: v_dual_add_f32 v8, v8, v43
	v_dual_add_f32 v9, v9, v23 :: v_dual_add_f32 v0, v0, v42
	v_add_f32_e32 v1, v1, v21
	v_add_f32_e32 v16, v16, v45
	s_delay_alu instid0(VALU_DEP_4)
	v_add_f32_e32 v8, v8, v48
	v_add_f32_e32 v10, v10, v44
	v_fmac_f32_e32 v41, v77, v80
	v_dual_add_f32 v17, v17, v89 :: v_dual_add_f32 v0, v0, v50
	v_dual_add_f32 v11, v11, v24 :: v_dual_add_f32 v16, v16, v49
	v_add_f32_e32 v9, v9, v26
	v_dual_add_f32 v1, v1, v25 :: v_dual_add_f32 v10, v10, v52
	s_delay_alu instid0(VALU_DEP_4) | instskip(NEXT) | instid1(VALU_DEP_4)
	v_dual_add_f32 v17, v17, v86 :: v_dual_add_f32 v0, v0, v53
	v_dual_add_f32 v16, v16, v51 :: v_dual_add_f32 v11, v11, v30
	s_delay_alu instid0(VALU_DEP_4) | instskip(NEXT) | instid1(VALU_DEP_4)
	v_dual_add_f32 v9, v9, v31 :: v_dual_add_f32 v8, v8, v54
	v_dual_add_f32 v1, v1, v47 :: v_dual_add_f32 v10, v10, v56
	s_delay_alu instid0(VALU_DEP_4) | instskip(NEXT) | instid1(VALU_DEP_3)
	v_add_f32_e32 v17, v17, v88
	v_dual_add_f32 v9, v9, v46 :: v_dual_add_f32 v0, v0, v60
	s_delay_alu instid0(VALU_DEP_3) | instskip(SKIP_2) | instid1(VALU_DEP_3)
	v_dual_add_f32 v1, v1, v33 :: v_dual_add_f32 v10, v10, v62
	v_dual_add_f32 v16, v16, v61 :: v_dual_add_f32 v11, v11, v32
	v_fma_f32 v72, v40, v78, -v72
	v_dual_add_f32 v1, v1, v59 :: v_dual_add_f32 v10, v10, v66
	v_dual_add_f32 v8, v8, v58 :: v_dual_add_f32 v17, v17, v55
	v_add_f32_e32 v0, v0, v64
	v_dual_add_f32 v16, v16, v63 :: v_dual_add_f32 v11, v11, v34
	s_delay_alu instid0(VALU_DEP_3) | instskip(SKIP_2) | instid1(VALU_DEP_4)
	v_add_f32_e32 v8, v8, v67
	v_add_f32_e32 v9, v9, v35
	v_mul_f32_e32 v68, v77, v79
	v_add_f32_e32 v16, v16, v72
	v_fma_f32 v71, v76, v80, -v71
	v_dual_add_f32 v17, v17, v87 :: v_dual_add_f32 v8, v8, v70
	v_add_f32_e32 v11, v11, v36
	s_delay_alu instid0(VALU_DEP_3)
	v_dual_add_f32 v9, v9, v57 :: v_dual_add_f32 v0, v0, v71
	v_add_f32_e32 v1, v1, v37
	v_fma_f32 v40, v40, v80, -v90
	v_fma_f32 v68, v76, v78, -v68
	v_add_f32_e32 v17, v17, v65
	v_add_f32_e32 v11, v11, v38
	;; [unrolled: 1-line block ×4, first 2 shown]
	s_delay_alu instid0(VALU_DEP_4) | instskip(NEXT) | instid1(VALU_DEP_4)
	v_add_f32_e32 v17, v17, v73
	v_add_f32_e32 v11, v11, v40
	s_delay_alu instid0(VALU_DEP_4) | instskip(NEXT) | instid1(VALU_DEP_4)
	v_add_f32_e32 v9, v9, v68
	v_add_f32_e32 v1, v1, v41
	s_cbranch_vccz .LBB1546_2
.LBB1546_3:
	v_add_nc_u32_e32 v7, s19, v7
	s_load_b32 s4, s[0:1], 0x0
	s_delay_alu instid0(VALU_DEP_1) | instskip(SKIP_2) | instid1(VALU_DEP_3)
	v_ashrrev_i32_e32 v2, 31, v7
	v_mul_lo_u32 v5, v7, s7
	v_mad_u64_u32 v[3:4], null, v7, s6, 0
	v_mul_lo_u32 v2, v2, s6
	s_delay_alu instid0(VALU_DEP_1) | instskip(SKIP_3) | instid1(VALU_DEP_3)
	v_add3_u32 v4, v4, v5, v2
	v_add_nc_u32_e32 v2, s18, v6
	s_waitcnt lgkmcnt(0)
	v_cmp_gt_i32_e32 vcc_lo, s4, v7
	v_lshlrev_b64 v[3:4], 3, v[3:4]
	s_delay_alu instid0(VALU_DEP_3) | instskip(NEXT) | instid1(VALU_DEP_1)
	v_cmp_le_i32_e64 s0, v2, v7
	s_and_b32 s0, vcc_lo, s0
	s_delay_alu instid0(VALU_DEP_2) | instskip(NEXT) | instid1(VALU_DEP_1)
	v_add_co_u32 v6, s1, s2, v3
	v_add_co_ci_u32_e64 v12, s1, s3, v4, s1
	s_and_saveexec_b32 s1, s0
	s_cbranch_execz .LBB1546_5
; %bb.4:
	v_ashrrev_i32_e32 v3, 31, v2
	s_delay_alu instid0(VALU_DEP_1) | instskip(NEXT) | instid1(VALU_DEP_1)
	v_lshlrev_b64 v[3:4], 3, v[2:3]
	v_add_co_u32 v3, s0, v6, v3
	s_delay_alu instid0(VALU_DEP_1)
	v_add_co_ci_u32_e64 v4, s0, v12, v4, s0
	global_load_b64 v[13:14], v[3:4], off
	s_waitcnt vmcnt(0)
	v_dual_add_f32 v13, v16, v13 :: v_dual_add_f32 v14, v17, v14
	global_store_b64 v[3:4], v[13:14], off
.LBB1546_5:
	s_or_b32 exec_lo, exec_lo, s1
	v_add_nc_u32_e32 v4, 16, v2
	s_delay_alu instid0(VALU_DEP_1) | instskip(NEXT) | instid1(VALU_DEP_1)
	v_cmp_le_i32_e64 s0, v4, v7
	s_and_b32 s1, vcc_lo, s0
	s_delay_alu instid0(SALU_CYCLE_1)
	s_and_saveexec_b32 s0, s1
	s_cbranch_execz .LBB1546_7
; %bb.6:
	v_ashrrev_i32_e32 v5, 31, v4
	s_delay_alu instid0(VALU_DEP_1) | instskip(NEXT) | instid1(VALU_DEP_1)
	v_lshlrev_b64 v[13:14], 3, v[4:5]
	v_add_co_u32 v5, vcc_lo, v6, v13
	s_delay_alu instid0(VALU_DEP_2)
	v_add_co_ci_u32_e32 v6, vcc_lo, v12, v14, vcc_lo
	global_load_b64 v[12:13], v[5:6], off
	s_waitcnt vmcnt(0)
	v_dual_add_f32 v11, v11, v12 :: v_dual_add_f32 v12, v10, v13
	global_store_b64 v[5:6], v[11:12], off
.LBB1546_7:
	s_or_b32 exec_lo, exec_lo, s0
	v_add_nc_u32_e32 v5, 16, v7
	s_delay_alu instid0(VALU_DEP_1) | instskip(SKIP_3) | instid1(VALU_DEP_4)
	v_ashrrev_i32_e32 v3, 31, v5
	v_mul_lo_u32 v10, v5, s7
	v_mad_u64_u32 v[6:7], null, v5, s6, 0
	v_cmp_gt_i32_e32 vcc_lo, s4, v5
	v_mul_lo_u32 v3, v3, s6
	v_cmp_le_i32_e64 s0, v2, v5
	s_delay_alu instid0(VALU_DEP_1) | instskip(NEXT) | instid1(VALU_DEP_2)
	s_and_b32 s0, vcc_lo, s0
	v_add3_u32 v7, v7, v10, v3
	s_delay_alu instid0(VALU_DEP_1) | instskip(NEXT) | instid1(VALU_DEP_1)
	v_lshlrev_b64 v[6:7], 3, v[6:7]
	v_add_co_u32 v6, s1, s2, v6
	s_delay_alu instid0(VALU_DEP_1)
	v_add_co_ci_u32_e64 v7, s1, s3, v7, s1
	s_and_saveexec_b32 s1, s0
	s_cbranch_execz .LBB1546_9
; %bb.8:
	v_ashrrev_i32_e32 v3, 31, v2
	s_delay_alu instid0(VALU_DEP_1) | instskip(NEXT) | instid1(VALU_DEP_1)
	v_lshlrev_b64 v[2:3], 3, v[2:3]
	v_add_co_u32 v2, s0, v6, v2
	s_delay_alu instid0(VALU_DEP_1)
	v_add_co_ci_u32_e64 v3, s0, v7, v3, s0
	global_load_b64 v[10:11], v[2:3], off
	s_waitcnt vmcnt(0)
	v_dual_add_f32 v9, v9, v10 :: v_dual_add_f32 v10, v8, v11
	global_store_b64 v[2:3], v[9:10], off
.LBB1546_9:
	s_or_b32 exec_lo, exec_lo, s1
	v_cmp_le_i32_e64 s0, v4, v5
	s_delay_alu instid0(VALU_DEP_1) | instskip(NEXT) | instid1(SALU_CYCLE_1)
	s_and_b32 s0, vcc_lo, s0
	s_and_saveexec_b32 s1, s0
	s_cbranch_execz .LBB1546_11
; %bb.10:
	v_ashrrev_i32_e32 v5, 31, v4
	s_delay_alu instid0(VALU_DEP_1) | instskip(NEXT) | instid1(VALU_DEP_1)
	v_lshlrev_b64 v[2:3], 3, v[4:5]
	v_add_co_u32 v2, vcc_lo, v6, v2
	s_delay_alu instid0(VALU_DEP_2)
	v_add_co_ci_u32_e32 v3, vcc_lo, v7, v3, vcc_lo
	global_load_b64 v[4:5], v[2:3], off
	s_waitcnt vmcnt(0)
	v_dual_add_f32 v0, v0, v4 :: v_dual_add_f32 v1, v1, v5
	global_store_b64 v[2:3], v[0:1], off
.LBB1546_11:
	s_nop 0
	s_sendmsg sendmsg(MSG_DEALLOC_VGPRS)
	s_endpgm
	.section	.rodata,"a",@progbits
	.p2align	6, 0x0
	.amdhsa_kernel _ZL37rocblas_syrkx_herkx_restricted_kernelIl19rocblas_complex_numIfELi16ELi32ELi8ELi1ELi1ELb0ELc67ELc85EKPKS1_KPS1_EviT_PT9_S7_lS9_S7_lPT10_S7_li
		.amdhsa_group_segment_fixed_size 4096
		.amdhsa_private_segment_fixed_size 0
		.amdhsa_kernarg_size 92
		.amdhsa_user_sgpr_count 13
		.amdhsa_user_sgpr_dispatch_ptr 0
		.amdhsa_user_sgpr_queue_ptr 0
		.amdhsa_user_sgpr_kernarg_segment_ptr 1
		.amdhsa_user_sgpr_dispatch_id 0
		.amdhsa_user_sgpr_private_segment_size 0
		.amdhsa_wavefront_size32 1
		.amdhsa_uses_dynamic_stack 0
		.amdhsa_enable_private_segment 0
		.amdhsa_system_sgpr_workgroup_id_x 1
		.amdhsa_system_sgpr_workgroup_id_y 1
		.amdhsa_system_sgpr_workgroup_id_z 1
		.amdhsa_system_sgpr_workgroup_info 0
		.amdhsa_system_vgpr_workitem_id 1
		.amdhsa_next_free_vgpr 91
		.amdhsa_next_free_sgpr 20
		.amdhsa_reserve_vcc 1
		.amdhsa_float_round_mode_32 0
		.amdhsa_float_round_mode_16_64 0
		.amdhsa_float_denorm_mode_32 3
		.amdhsa_float_denorm_mode_16_64 3
		.amdhsa_dx10_clamp 1
		.amdhsa_ieee_mode 1
		.amdhsa_fp16_overflow 0
		.amdhsa_workgroup_processor_mode 1
		.amdhsa_memory_ordered 1
		.amdhsa_forward_progress 0
		.amdhsa_shared_vgpr_count 0
		.amdhsa_exception_fp_ieee_invalid_op 0
		.amdhsa_exception_fp_denorm_src 0
		.amdhsa_exception_fp_ieee_div_zero 0
		.amdhsa_exception_fp_ieee_overflow 0
		.amdhsa_exception_fp_ieee_underflow 0
		.amdhsa_exception_fp_ieee_inexact 0
		.amdhsa_exception_int_div_zero 0
	.end_amdhsa_kernel
	.section	.text._ZL37rocblas_syrkx_herkx_restricted_kernelIl19rocblas_complex_numIfELi16ELi32ELi8ELi1ELi1ELb0ELc67ELc85EKPKS1_KPS1_EviT_PT9_S7_lS9_S7_lPT10_S7_li,"axG",@progbits,_ZL37rocblas_syrkx_herkx_restricted_kernelIl19rocblas_complex_numIfELi16ELi32ELi8ELi1ELi1ELb0ELc67ELc85EKPKS1_KPS1_EviT_PT9_S7_lS9_S7_lPT10_S7_li,comdat
.Lfunc_end1546:
	.size	_ZL37rocblas_syrkx_herkx_restricted_kernelIl19rocblas_complex_numIfELi16ELi32ELi8ELi1ELi1ELb0ELc67ELc85EKPKS1_KPS1_EviT_PT9_S7_lS9_S7_lPT10_S7_li, .Lfunc_end1546-_ZL37rocblas_syrkx_herkx_restricted_kernelIl19rocblas_complex_numIfELi16ELi32ELi8ELi1ELi1ELb0ELc67ELc85EKPKS1_KPS1_EviT_PT9_S7_lS9_S7_lPT10_S7_li
                                        ; -- End function
	.section	.AMDGPU.csdata,"",@progbits
; Kernel info:
; codeLenInByte = 2204
; NumSgprs: 22
; NumVgprs: 91
; ScratchSize: 0
; MemoryBound: 0
; FloatMode: 240
; IeeeMode: 1
; LDSByteSize: 4096 bytes/workgroup (compile time only)
; SGPRBlocks: 2
; VGPRBlocks: 11
; NumSGPRsForWavesPerEU: 22
; NumVGPRsForWavesPerEU: 91
; Occupancy: 16
; WaveLimiterHint : 1
; COMPUTE_PGM_RSRC2:SCRATCH_EN: 0
; COMPUTE_PGM_RSRC2:USER_SGPR: 13
; COMPUTE_PGM_RSRC2:TRAP_HANDLER: 0
; COMPUTE_PGM_RSRC2:TGID_X_EN: 1
; COMPUTE_PGM_RSRC2:TGID_Y_EN: 1
; COMPUTE_PGM_RSRC2:TGID_Z_EN: 1
; COMPUTE_PGM_RSRC2:TIDIG_COMP_CNT: 1
	.section	.text._ZL37rocblas_syrkx_herkx_restricted_kernelIl19rocblas_complex_numIfELi16ELi32ELi8ELi1ELi1ELb0ELc78ELc85EKPKS1_KPS1_EviT_PT9_S7_lS9_S7_lPT10_S7_li,"axG",@progbits,_ZL37rocblas_syrkx_herkx_restricted_kernelIl19rocblas_complex_numIfELi16ELi32ELi8ELi1ELi1ELb0ELc78ELc85EKPKS1_KPS1_EviT_PT9_S7_lS9_S7_lPT10_S7_li,comdat
	.globl	_ZL37rocblas_syrkx_herkx_restricted_kernelIl19rocblas_complex_numIfELi16ELi32ELi8ELi1ELi1ELb0ELc78ELc85EKPKS1_KPS1_EviT_PT9_S7_lS9_S7_lPT10_S7_li ; -- Begin function _ZL37rocblas_syrkx_herkx_restricted_kernelIl19rocblas_complex_numIfELi16ELi32ELi8ELi1ELi1ELb0ELc78ELc85EKPKS1_KPS1_EviT_PT9_S7_lS9_S7_lPT10_S7_li
	.p2align	8
	.type	_ZL37rocblas_syrkx_herkx_restricted_kernelIl19rocblas_complex_numIfELi16ELi32ELi8ELi1ELi1ELb0ELc78ELc85EKPKS1_KPS1_EviT_PT9_S7_lS9_S7_lPT10_S7_li,@function
_ZL37rocblas_syrkx_herkx_restricted_kernelIl19rocblas_complex_numIfELi16ELi32ELi8ELi1ELi1ELb0ELc78ELc85EKPKS1_KPS1_EviT_PT9_S7_lS9_S7_lPT10_S7_li: ; @_ZL37rocblas_syrkx_herkx_restricted_kernelIl19rocblas_complex_numIfELi16ELi32ELi8ELi1ELi1ELb0ELc78ELc85EKPKS1_KPS1_EviT_PT9_S7_lS9_S7_lPT10_S7_li
; %bb.0:
	s_clause 0x1
	s_load_b128 s[4:7], s[0:1], 0x40
	s_load_b128 s[8:11], s[0:1], 0x8
	s_mov_b32 s2, s15
	s_mov_b32 s3, 0
	v_dual_mov_b32 v15, 0 :: v_dual_and_b32 v4, 0x3ff, v0
	s_lshl_b64 s[16:17], s[2:3], 3
	v_bfe_u32 v5, v0, 10, 10
	v_dual_mov_b32 v14, 0 :: v_dual_mov_b32 v13, 0
	v_dual_mov_b32 v12, 0 :: v_dual_mov_b32 v9, 0
	;; [unrolled: 1-line block ×3, first 2 shown]
	v_mov_b32_e32 v6, 0
	s_waitcnt lgkmcnt(0)
	s_add_u32 s2, s4, s16
	s_addc_u32 s3, s5, s17
	v_cmp_lt_i64_e64 s4, s[8:9], 1
	s_load_b64 s[2:3], s[2:3], 0x0
	s_lshl_b32 s18, s13, 5
	s_lshl_b32 s19, s14, 5
	s_delay_alu instid0(VALU_DEP_1)
	s_and_b32 vcc_lo, exec_lo, s4
	s_cbranch_vccnz .LBB1547_3
; %bb.1:
	v_lshl_add_u32 v1, v5, 4, v4
	s_clause 0x1
	s_load_b64 s[4:5], s[0:1], 0x18
	s_load_b128 s[12:15], s[0:1], 0x28
	s_add_u32 s10, s10, s16
	s_addc_u32 s11, s11, s17
	v_lshl_add_u32 v11, v5, 6, 0x800
	v_and_b32_e32 v14, 31, v1
	v_lshrrev_b32_e32 v15, 3, v1
	v_lshrrev_b32_e32 v16, 5, v1
	s_load_b64 s[10:11], s[10:11], 0x0
	s_delay_alu instid0(VALU_DEP_3) | instskip(NEXT) | instid1(VALU_DEP_3)
	v_add_nc_u32_e32 v0, s18, v14
	v_add_nc_u32_e32 v2, s19, v15
	s_delay_alu instid0(VALU_DEP_2) | instskip(NEXT) | instid1(VALU_DEP_2)
	v_ashrrev_i32_e32 v1, 31, v0
	v_ashrrev_i32_e32 v3, 31, v2
	s_waitcnt lgkmcnt(0)
	s_delay_alu instid0(VALU_DEP_2) | instskip(SKIP_4) | instid1(VALU_DEP_1)
	v_mad_u64_u32 v[12:13], null, v16, s4, v[0:1]
	v_and_b32_e32 v7, 7, v4
	s_add_u32 s12, s12, s16
	s_addc_u32 s13, s13, s17
	s_load_b64 s[12:13], s[12:13], 0x0
	v_mad_u64_u32 v[0:1], null, v7, s14, v[2:3]
	s_delay_alu instid0(VALU_DEP_3) | instskip(SKIP_1) | instid1(VALU_DEP_2)
	v_mov_b32_e32 v2, v13
	v_mov_b32_e32 v6, 0
	v_mad_u64_u32 v[8:9], null, v16, s5, v[2:3]
	s_delay_alu instid0(VALU_DEP_4) | instskip(SKIP_2) | instid1(VALU_DEP_4)
	v_mad_u64_u32 v[2:3], null, v7, s15, v[1:2]
	v_lshlrev_b32_e32 v1, 3, v7
	v_dual_mov_b32 v7, 0 :: v_dual_lshlrev_b32 v10, 3, v4
	v_dual_mov_b32 v13, v8 :: v_dual_lshlrev_b32 v14, 3, v14
	s_delay_alu instid0(VALU_DEP_3) | instskip(SKIP_2) | instid1(VALU_DEP_4)
	v_lshl_or_b32 v15, v15, 6, v1
	v_dual_mov_b32 v1, v2 :: v_dual_mov_b32 v8, 0
	v_mov_b32_e32 v9, 0
	v_lshlrev_b64 v[2:3], 3, v[12:13]
	s_delay_alu instid0(VALU_DEP_4) | instskip(NEXT) | instid1(VALU_DEP_4)
	v_add_nc_u32_e32 v17, 0x800, v15
	v_lshlrev_b64 v[0:1], 3, v[0:1]
	s_lshl_b64 s[4:5], s[4:5], 6
	v_mov_b32_e32 v15, 0
	s_delay_alu instid0(VALU_DEP_4)
	v_add_co_u32 v2, vcc_lo, v2, s10
	v_add_co_ci_u32_e32 v3, vcc_lo, s11, v3, vcc_lo
	s_waitcnt lgkmcnt(0)
	v_add_co_u32 v12, vcc_lo, v0, s12
	v_add_co_ci_u32_e32 v13, vcc_lo, s13, v1, vcc_lo
	v_add_co_u32 v0, vcc_lo, v2, 4
	v_add_co_ci_u32_e32 v1, vcc_lo, 0, v3, vcc_lo
	s_delay_alu instid0(VALU_DEP_4) | instskip(NEXT) | instid1(VALU_DEP_4)
	v_add_co_u32 v2, vcc_lo, v12, 4
	v_add_co_ci_u32_e32 v3, vcc_lo, 0, v13, vcc_lo
	v_dual_mov_b32 v12, 0 :: v_dual_mov_b32 v13, 0
	v_lshl_or_b32 v16, v16, 8, v14
	v_mov_b32_e32 v14, 0
	s_lshl_b64 s[10:11], s[14:15], 6
	s_mov_b64 s[12:13], 0
.LBB1547_2:                             ; =>This Inner Loop Header: Depth=1
	global_load_b64 v[18:19], v[0:1], off offset:-4
	global_load_b64 v[20:21], v[2:3], off offset:-4
	s_add_u32 s12, s12, 8
	v_add_co_u32 v0, vcc_lo, v0, s4
	s_addc_u32 s13, s13, 0
	v_add_co_ci_u32_e32 v1, vcc_lo, s5, v1, vcc_lo
	v_cmp_ge_u64_e64 s14, s[12:13], s[8:9]
	v_add_co_u32 v2, vcc_lo, v2, s10
	v_add_co_ci_u32_e32 v3, vcc_lo, s11, v3, vcc_lo
	s_waitcnt vmcnt(1)
	ds_store_b64 v16, v[18:19]
	s_waitcnt vmcnt(0)
	ds_store_b64 v17, v[20:21]
	s_waitcnt lgkmcnt(0)
	s_barrier
	buffer_gl0_inv
	ds_load_2addr_b64 v[18:21], v10 offset1:16
	ds_load_b128 v[22:25], v11
	ds_load_b128 v[26:29], v11 offset:1024
	ds_load_b128 v[30:33], v11 offset:16
	;; [unrolled: 1-line block ×4, first 2 shown]
	ds_load_2addr_b64 v[42:45], v10 offset0:32 offset1:48
	ds_load_2addr_b64 v[46:49], v10 offset0:64 offset1:80
	ds_load_b128 v[50:53], v11 offset:1040
	ds_load_2addr_b64 v[54:57], v10 offset0:96 offset1:112
	ds_load_2addr_b64 v[58:61], v10 offset0:128 offset1:144
	;; [unrolled: 1-line block ×4, first 2 shown]
	ds_load_b128 v[70:73], v11 offset:1056
	ds_load_b128 v[74:77], v11 offset:1072
	ds_load_2addr_b64 v[78:81], v10 offset0:224 offset1:240
	s_and_b32 vcc_lo, exec_lo, s14
	s_waitcnt lgkmcnt(0)
	s_barrier
	buffer_gl0_inv
	v_dual_mul_f32 v82, v23, v19 :: v_dual_mul_f32 v85, v22, v21
	v_dual_mul_f32 v83, v22, v19 :: v_dual_mul_f32 v84, v23, v21
	v_mul_f32_e32 v86, v27, v19
	v_dual_mul_f32 v19, v26, v19 :: v_dual_mul_f32 v90, v25, v45
	v_dual_mul_f32 v87, v27, v21 :: v_dual_mul_f32 v88, v25, v43
	v_mul_f32_e32 v21, v26, v21
	v_mul_f32_e32 v89, v24, v43
	;; [unrolled: 1-line block ×3, first 2 shown]
	v_fma_f32 v82, v22, v18, -v82
	v_fmac_f32_e32 v83, v23, v18
	v_fma_f32 v22, v22, v20, -v84
	v_dual_fmac_f32 v85, v23, v20 :: v_dual_mul_f32 v84, v30, v47
	v_fma_f32 v23, v26, v18, -v86
	v_fmac_f32_e32 v19, v27, v18
	v_fma_f32 v18, v26, v20, -v87
	v_dual_mul_f32 v26, v28, v43 :: v_dual_fmac_f32 v21, v27, v20
	v_mul_f32_e32 v20, v29, v43
	v_mul_f32_e32 v27, v29, v45
	v_dual_mul_f32 v43, v28, v45 :: v_dual_fmac_f32 v84, v31, v46
	v_fma_f32 v45, v24, v42, -v88
	v_fma_f32 v24, v24, v44, -v90
	v_dual_fmac_f32 v91, v25, v44 :: v_dual_mul_f32 v90, v32, v57
	v_dual_mul_f32 v86, v31, v49 :: v_dual_fmac_f32 v89, v25, v42
	v_dual_mul_f32 v25, v31, v47 :: v_dual_mul_f32 v88, v33, v57
	v_fma_f32 v20, v28, v42, -v20
	v_fmac_f32_e32 v26, v29, v42
	v_fma_f32 v27, v28, v44, -v27
	v_dual_fmac_f32 v43, v29, v44 :: v_dual_mul_f32 v28, v51, v47
	v_dual_mul_f32 v29, v50, v47 :: v_dual_mul_f32 v42, v51, v49
	v_mul_f32_e32 v44, v50, v49
	v_mul_f32_e32 v87, v30, v49
	;; [unrolled: 1-line block ×3, first 2 shown]
	v_dual_mul_f32 v49, v32, v55 :: v_dual_fmac_f32 v90, v33, v56
	v_fma_f32 v25, v30, v46, -v25
	v_fma_f32 v30, v30, v48, -v86
	;; [unrolled: 1-line block ×3, first 2 shown]
	v_fmac_f32_e32 v44, v51, v48
	v_fmac_f32_e32 v87, v31, v48
	v_fma_f32 v31, v50, v48, -v42
	v_mul_f32_e32 v42, v53, v55
	v_mul_f32_e32 v48, v53, v57
	v_dual_mul_f32 v50, v52, v57 :: v_dual_fmac_f32 v29, v51, v46
	v_mul_f32_e32 v46, v52, v55
	v_fma_f32 v47, v32, v54, -v47
	v_fmac_f32_e32 v49, v33, v54
	v_fma_f32 v32, v32, v56, -v88
	s_delay_alu instid0(VALU_DEP_4)
	v_dual_mul_f32 v33, v35, v59 :: v_dual_fmac_f32 v46, v53, v54
	v_mul_f32_e32 v51, v34, v59
	v_mul_f32_e32 v55, v35, v61
	v_fma_f32 v42, v52, v54, -v42
	v_fma_f32 v48, v52, v56, -v48
	v_fmac_f32_e32 v50, v53, v56
	v_mul_f32_e32 v52, v71, v59
	v_dual_mul_f32 v53, v70, v59 :: v_dual_mul_f32 v86, v37, v65
	v_mul_f32_e32 v54, v71, v61
	v_dual_mul_f32 v56, v70, v61 :: v_dual_mul_f32 v59, v37, v63
	v_mul_f32_e32 v57, v34, v61
	v_mul_f32_e32 v61, v36, v63
	v_dual_mul_f32 v88, v36, v65 :: v_dual_fmac_f32 v51, v35, v58
	v_fma_f32 v33, v34, v58, -v33
	v_fmac_f32_e32 v53, v71, v58
	v_fmac_f32_e32 v56, v71, v60
	s_delay_alu instid0(VALU_DEP_4)
	v_fmac_f32_e32 v88, v37, v64
	v_fmac_f32_e32 v57, v35, v60
	v_fma_f32 v35, v70, v58, -v52
	v_fma_f32 v52, v70, v60, -v54
	v_mul_f32_e32 v54, v73, v63
	v_fma_f32 v34, v34, v60, -v55
	v_mul_f32_e32 v60, v72, v65
	v_dual_mul_f32 v55, v72, v63 :: v_dual_mul_f32 v70, v38, v69
	v_mul_f32_e32 v58, v73, v65
	v_fma_f32 v59, v36, v62, -v59
	v_fmac_f32_e32 v61, v37, v62
	v_fma_f32 v36, v36, v64, -v86
	v_dual_mul_f32 v37, v39, v67 :: v_dual_fmac_f32 v60, v73, v64
	v_dual_mul_f32 v63, v38, v67 :: v_dual_mul_f32 v86, v40, v81
	v_mul_f32_e32 v65, v39, v69
	v_fma_f32 v54, v72, v62, -v54
	v_fmac_f32_e32 v55, v73, v62
	v_fma_f32 v58, v72, v64, -v58
	v_mul_f32_e32 v72, v40, v79
	v_mul_f32_e32 v62, v75, v67
	v_dual_mul_f32 v64, v74, v67 :: v_dual_mul_f32 v67, v75, v69
	v_dual_mul_f32 v69, v74, v69 :: v_dual_fmac_f32 v70, v39, v68
	s_delay_alu instid0(VALU_DEP_2)
	v_dual_mul_f32 v71, v41, v79 :: v_dual_fmac_f32 v64, v75, v66
	v_fma_f32 v37, v38, v66, -v37
	v_fmac_f32_e32 v63, v39, v66
	v_fma_f32 v38, v38, v68, -v65
	v_fma_f32 v39, v74, v66, -v62
	v_dual_fmac_f32 v69, v75, v68 :: v_dual_fmac_f32 v72, v41, v78
	v_mul_f32_e32 v66, v76, v79
	v_fma_f32 v62, v74, v68, -v67
	v_mul_f32_e32 v68, v76, v81
	v_dual_mul_f32 v73, v41, v81 :: v_dual_add_f32 v14, v14, v82
	v_dual_mul_f32 v65, v77, v79 :: v_dual_add_f32 v12, v12, v85
	;; [unrolled: 1-line block ×3, first 2 shown]
	v_dual_fmac_f32 v86, v41, v80 :: v_dual_add_f32 v15, v15, v83
	v_dual_fmac_f32 v68, v77, v80 :: v_dual_add_f32 v7, v7, v18
	v_dual_add_f32 v13, v13, v22 :: v_dual_add_f32 v6, v6, v21
	v_dual_add_f32 v9, v9, v23 :: v_dual_add_f32 v14, v14, v45
	s_delay_alu instid0(VALU_DEP_4) | instskip(NEXT) | instid1(VALU_DEP_3)
	v_dual_fmac_f32 v66, v77, v78 :: v_dual_add_f32 v15, v15, v89
	v_dual_add_f32 v13, v13, v24 :: v_dual_add_f32 v12, v12, v91
	s_delay_alu instid0(VALU_DEP_3) | instskip(NEXT) | instid1(VALU_DEP_4)
	v_dual_add_f32 v9, v9, v20 :: v_dual_add_f32 v8, v8, v26
	v_dual_add_f32 v7, v7, v27 :: v_dual_add_f32 v14, v14, v25
	s_delay_alu instid0(VALU_DEP_4) | instskip(NEXT) | instid1(VALU_DEP_4)
	v_dual_add_f32 v6, v6, v43 :: v_dual_add_f32 v15, v15, v84
	v_dual_add_f32 v13, v13, v30 :: v_dual_add_f32 v12, v12, v87
	s_delay_alu instid0(VALU_DEP_4) | instskip(NEXT) | instid1(VALU_DEP_3)
	v_dual_add_f32 v9, v9, v28 :: v_dual_add_f32 v8, v8, v29
	v_dual_add_f32 v7, v7, v31 :: v_dual_add_f32 v6, v6, v44
	s_delay_alu instid0(VALU_DEP_4) | instskip(NEXT) | instid1(VALU_DEP_4)
	v_dual_add_f32 v14, v14, v47 :: v_dual_add_f32 v15, v15, v49
	v_dual_add_f32 v13, v13, v32 :: v_dual_add_f32 v12, v12, v90
	s_delay_alu instid0(VALU_DEP_2) | instskip(NEXT) | instid1(VALU_DEP_4)
	v_dual_add_f32 v9, v9, v42 :: v_dual_add_f32 v14, v14, v33
	v_dual_add_f32 v8, v8, v46 :: v_dual_add_f32 v7, v7, v48
	s_delay_alu instid0(VALU_DEP_4) | instskip(NEXT) | instid1(VALU_DEP_4)
	v_dual_add_f32 v6, v6, v50 :: v_dual_add_f32 v15, v15, v51
	v_dual_add_f32 v13, v13, v34 :: v_dual_add_f32 v12, v12, v57
	s_delay_alu instid0(VALU_DEP_3) | instskip(NEXT) | instid1(VALU_DEP_4)
	v_dual_add_f32 v9, v9, v35 :: v_dual_add_f32 v8, v8, v53
	v_dual_add_f32 v7, v7, v52 :: v_dual_add_f32 v14, v14, v59
	s_delay_alu instid0(VALU_DEP_4) | instskip(NEXT) | instid1(VALU_DEP_3)
	v_dual_add_f32 v6, v6, v56 :: v_dual_add_f32 v15, v15, v61
	v_dual_add_f32 v13, v13, v36 :: v_dual_add_f32 v8, v8, v55
	s_delay_alu instid0(VALU_DEP_4) | instskip(NEXT) | instid1(VALU_DEP_3)
	v_dual_add_f32 v12, v12, v88 :: v_dual_add_f32 v9, v9, v54
	v_dual_add_f32 v7, v7, v58 :: v_dual_add_f32 v6, v6, v60
	v_fma_f32 v71, v40, v78, -v71
	v_fma_f32 v40, v40, v80, -v73
	;; [unrolled: 1-line block ×4, first 2 shown]
	v_dual_add_f32 v14, v14, v37 :: v_dual_add_f32 v15, v15, v63
	v_dual_add_f32 v13, v13, v38 :: v_dual_add_f32 v8, v8, v64
	;; [unrolled: 1-line block ×4, first 2 shown]
	s_delay_alu instid0(VALU_DEP_4) | instskip(NEXT) | instid1(VALU_DEP_3)
	v_dual_add_f32 v14, v14, v71 :: v_dual_add_f32 v15, v15, v72
	v_dual_add_f32 v13, v13, v40 :: v_dual_add_f32 v12, v12, v86
	s_delay_alu instid0(VALU_DEP_4) | instskip(NEXT) | instid1(VALU_DEP_4)
	v_dual_add_f32 v9, v9, v41 :: v_dual_add_f32 v8, v8, v66
	v_dual_add_f32 v7, v7, v65 :: v_dual_add_f32 v6, v6, v68
	s_cbranch_vccz .LBB1547_2
.LBB1547_3:
	v_add_nc_u32_e32 v5, s19, v5
	s_load_b32 s4, s[0:1], 0x0
	s_delay_alu instid0(VALU_DEP_1) | instskip(SKIP_2) | instid1(VALU_DEP_3)
	v_ashrrev_i32_e32 v0, 31, v5
	v_mul_lo_u32 v3, v5, s7
	v_mad_u64_u32 v[1:2], null, v5, s6, 0
	v_mul_lo_u32 v0, v0, s6
	s_delay_alu instid0(VALU_DEP_1) | instskip(SKIP_3) | instid1(VALU_DEP_3)
	v_add3_u32 v2, v2, v3, v0
	v_add_nc_u32_e32 v0, s18, v4
	s_waitcnt lgkmcnt(0)
	v_cmp_gt_i32_e32 vcc_lo, s4, v5
	v_lshlrev_b64 v[1:2], 3, v[1:2]
	s_delay_alu instid0(VALU_DEP_3) | instskip(NEXT) | instid1(VALU_DEP_1)
	v_cmp_le_i32_e64 s0, v0, v5
	s_and_b32 s0, vcc_lo, s0
	s_delay_alu instid0(VALU_DEP_2) | instskip(NEXT) | instid1(VALU_DEP_1)
	v_add_co_u32 v4, s1, s2, v1
	v_add_co_ci_u32_e64 v10, s1, s3, v2, s1
	s_and_saveexec_b32 s1, s0
	s_cbranch_execz .LBB1547_5
; %bb.4:
	v_ashrrev_i32_e32 v1, 31, v0
	s_delay_alu instid0(VALU_DEP_1) | instskip(NEXT) | instid1(VALU_DEP_1)
	v_lshlrev_b64 v[1:2], 3, v[0:1]
	v_add_co_u32 v1, s0, v4, v1
	s_delay_alu instid0(VALU_DEP_1)
	v_add_co_ci_u32_e64 v2, s0, v10, v2, s0
	global_load_b64 v[16:17], v[1:2], off
	s_waitcnt vmcnt(0)
	v_dual_add_f32 v14, v14, v16 :: v_dual_add_f32 v15, v15, v17
	global_store_b64 v[1:2], v[14:15], off
.LBB1547_5:
	s_or_b32 exec_lo, exec_lo, s1
	v_add_nc_u32_e32 v2, 16, v0
	s_delay_alu instid0(VALU_DEP_1) | instskip(NEXT) | instid1(VALU_DEP_1)
	v_cmp_le_i32_e64 s0, v2, v5
	s_and_b32 s1, vcc_lo, s0
	s_delay_alu instid0(SALU_CYCLE_1)
	s_and_saveexec_b32 s0, s1
	s_cbranch_execz .LBB1547_7
; %bb.6:
	v_ashrrev_i32_e32 v3, 31, v2
	s_delay_alu instid0(VALU_DEP_1) | instskip(NEXT) | instid1(VALU_DEP_1)
	v_lshlrev_b64 v[14:15], 3, v[2:3]
	v_add_co_u32 v3, vcc_lo, v4, v14
	s_delay_alu instid0(VALU_DEP_2)
	v_add_co_ci_u32_e32 v4, vcc_lo, v10, v15, vcc_lo
	global_load_b64 v[10:11], v[3:4], off
	s_waitcnt vmcnt(0)
	v_dual_add_f32 v10, v13, v10 :: v_dual_add_f32 v11, v12, v11
	global_store_b64 v[3:4], v[10:11], off
.LBB1547_7:
	s_or_b32 exec_lo, exec_lo, s0
	v_add_nc_u32_e32 v3, 16, v5
	s_delay_alu instid0(VALU_DEP_1) | instskip(SKIP_3) | instid1(VALU_DEP_4)
	v_ashrrev_i32_e32 v1, 31, v3
	v_mul_lo_u32 v10, v3, s7
	v_mad_u64_u32 v[4:5], null, v3, s6, 0
	v_cmp_gt_i32_e32 vcc_lo, s4, v3
	v_mul_lo_u32 v1, v1, s6
	v_cmp_le_i32_e64 s0, v0, v3
	s_delay_alu instid0(VALU_DEP_1) | instskip(NEXT) | instid1(VALU_DEP_2)
	s_and_b32 s0, vcc_lo, s0
	v_add3_u32 v5, v5, v10, v1
	s_delay_alu instid0(VALU_DEP_1) | instskip(NEXT) | instid1(VALU_DEP_1)
	v_lshlrev_b64 v[4:5], 3, v[4:5]
	v_add_co_u32 v4, s1, s2, v4
	s_delay_alu instid0(VALU_DEP_1)
	v_add_co_ci_u32_e64 v5, s1, s3, v5, s1
	s_and_saveexec_b32 s1, s0
	s_cbranch_execz .LBB1547_9
; %bb.8:
	v_ashrrev_i32_e32 v1, 31, v0
	s_delay_alu instid0(VALU_DEP_1) | instskip(NEXT) | instid1(VALU_DEP_1)
	v_lshlrev_b64 v[0:1], 3, v[0:1]
	v_add_co_u32 v0, s0, v4, v0
	s_delay_alu instid0(VALU_DEP_1)
	v_add_co_ci_u32_e64 v1, s0, v5, v1, s0
	global_load_b64 v[10:11], v[0:1], off
	s_waitcnt vmcnt(0)
	v_dual_add_f32 v9, v9, v10 :: v_dual_add_f32 v10, v8, v11
	global_store_b64 v[0:1], v[9:10], off
.LBB1547_9:
	s_or_b32 exec_lo, exec_lo, s1
	v_cmp_le_i32_e64 s0, v2, v3
	s_delay_alu instid0(VALU_DEP_1) | instskip(NEXT) | instid1(SALU_CYCLE_1)
	s_and_b32 s0, vcc_lo, s0
	s_and_saveexec_b32 s1, s0
	s_cbranch_execz .LBB1547_11
; %bb.10:
	v_ashrrev_i32_e32 v3, 31, v2
	s_delay_alu instid0(VALU_DEP_1) | instskip(NEXT) | instid1(VALU_DEP_1)
	v_lshlrev_b64 v[0:1], 3, v[2:3]
	v_add_co_u32 v0, vcc_lo, v4, v0
	s_delay_alu instid0(VALU_DEP_2)
	v_add_co_ci_u32_e32 v1, vcc_lo, v5, v1, vcc_lo
	global_load_b64 v[2:3], v[0:1], off
	s_waitcnt vmcnt(0)
	v_dual_add_f32 v2, v7, v2 :: v_dual_add_f32 v3, v6, v3
	global_store_b64 v[0:1], v[2:3], off
.LBB1547_11:
	s_nop 0
	s_sendmsg sendmsg(MSG_DEALLOC_VGPRS)
	s_endpgm
	.section	.rodata,"a",@progbits
	.p2align	6, 0x0
	.amdhsa_kernel _ZL37rocblas_syrkx_herkx_restricted_kernelIl19rocblas_complex_numIfELi16ELi32ELi8ELi1ELi1ELb0ELc78ELc85EKPKS1_KPS1_EviT_PT9_S7_lS9_S7_lPT10_S7_li
		.amdhsa_group_segment_fixed_size 4096
		.amdhsa_private_segment_fixed_size 0
		.amdhsa_kernarg_size 92
		.amdhsa_user_sgpr_count 13
		.amdhsa_user_sgpr_dispatch_ptr 0
		.amdhsa_user_sgpr_queue_ptr 0
		.amdhsa_user_sgpr_kernarg_segment_ptr 1
		.amdhsa_user_sgpr_dispatch_id 0
		.amdhsa_user_sgpr_private_segment_size 0
		.amdhsa_wavefront_size32 1
		.amdhsa_uses_dynamic_stack 0
		.amdhsa_enable_private_segment 0
		.amdhsa_system_sgpr_workgroup_id_x 1
		.amdhsa_system_sgpr_workgroup_id_y 1
		.amdhsa_system_sgpr_workgroup_id_z 1
		.amdhsa_system_sgpr_workgroup_info 0
		.amdhsa_system_vgpr_workitem_id 1
		.amdhsa_next_free_vgpr 92
		.amdhsa_next_free_sgpr 20
		.amdhsa_reserve_vcc 1
		.amdhsa_float_round_mode_32 0
		.amdhsa_float_round_mode_16_64 0
		.amdhsa_float_denorm_mode_32 3
		.amdhsa_float_denorm_mode_16_64 3
		.amdhsa_dx10_clamp 1
		.amdhsa_ieee_mode 1
		.amdhsa_fp16_overflow 0
		.amdhsa_workgroup_processor_mode 1
		.amdhsa_memory_ordered 1
		.amdhsa_forward_progress 0
		.amdhsa_shared_vgpr_count 0
		.amdhsa_exception_fp_ieee_invalid_op 0
		.amdhsa_exception_fp_denorm_src 0
		.amdhsa_exception_fp_ieee_div_zero 0
		.amdhsa_exception_fp_ieee_overflow 0
		.amdhsa_exception_fp_ieee_underflow 0
		.amdhsa_exception_fp_ieee_inexact 0
		.amdhsa_exception_int_div_zero 0
	.end_amdhsa_kernel
	.section	.text._ZL37rocblas_syrkx_herkx_restricted_kernelIl19rocblas_complex_numIfELi16ELi32ELi8ELi1ELi1ELb0ELc78ELc85EKPKS1_KPS1_EviT_PT9_S7_lS9_S7_lPT10_S7_li,"axG",@progbits,_ZL37rocblas_syrkx_herkx_restricted_kernelIl19rocblas_complex_numIfELi16ELi32ELi8ELi1ELi1ELb0ELc78ELc85EKPKS1_KPS1_EviT_PT9_S7_lS9_S7_lPT10_S7_li,comdat
.Lfunc_end1547:
	.size	_ZL37rocblas_syrkx_herkx_restricted_kernelIl19rocblas_complex_numIfELi16ELi32ELi8ELi1ELi1ELb0ELc78ELc85EKPKS1_KPS1_EviT_PT9_S7_lS9_S7_lPT10_S7_li, .Lfunc_end1547-_ZL37rocblas_syrkx_herkx_restricted_kernelIl19rocblas_complex_numIfELi16ELi32ELi8ELi1ELi1ELb0ELc78ELc85EKPKS1_KPS1_EviT_PT9_S7_lS9_S7_lPT10_S7_li
                                        ; -- End function
	.section	.AMDGPU.csdata,"",@progbits
; Kernel info:
; codeLenInByte = 2220
; NumSgprs: 22
; NumVgprs: 92
; ScratchSize: 0
; MemoryBound: 0
; FloatMode: 240
; IeeeMode: 1
; LDSByteSize: 4096 bytes/workgroup (compile time only)
; SGPRBlocks: 2
; VGPRBlocks: 11
; NumSGPRsForWavesPerEU: 22
; NumVGPRsForWavesPerEU: 92
; Occupancy: 16
; WaveLimiterHint : 1
; COMPUTE_PGM_RSRC2:SCRATCH_EN: 0
; COMPUTE_PGM_RSRC2:USER_SGPR: 13
; COMPUTE_PGM_RSRC2:TRAP_HANDLER: 0
; COMPUTE_PGM_RSRC2:TGID_X_EN: 1
; COMPUTE_PGM_RSRC2:TGID_Y_EN: 1
; COMPUTE_PGM_RSRC2:TGID_Z_EN: 1
; COMPUTE_PGM_RSRC2:TIDIG_COMP_CNT: 1
	.section	.text._ZL37rocblas_syrkx_herkx_restricted_kernelIl19rocblas_complex_numIfELi16ELi32ELi8ELi1ELin1ELb0ELc84ELc76EKPKS1_KPS1_EviT_PT9_S7_lS9_S7_lPT10_S7_li,"axG",@progbits,_ZL37rocblas_syrkx_herkx_restricted_kernelIl19rocblas_complex_numIfELi16ELi32ELi8ELi1ELin1ELb0ELc84ELc76EKPKS1_KPS1_EviT_PT9_S7_lS9_S7_lPT10_S7_li,comdat
	.globl	_ZL37rocblas_syrkx_herkx_restricted_kernelIl19rocblas_complex_numIfELi16ELi32ELi8ELi1ELin1ELb0ELc84ELc76EKPKS1_KPS1_EviT_PT9_S7_lS9_S7_lPT10_S7_li ; -- Begin function _ZL37rocblas_syrkx_herkx_restricted_kernelIl19rocblas_complex_numIfELi16ELi32ELi8ELi1ELin1ELb0ELc84ELc76EKPKS1_KPS1_EviT_PT9_S7_lS9_S7_lPT10_S7_li
	.p2align	8
	.type	_ZL37rocblas_syrkx_herkx_restricted_kernelIl19rocblas_complex_numIfELi16ELi32ELi8ELi1ELin1ELb0ELc84ELc76EKPKS1_KPS1_EviT_PT9_S7_lS9_S7_lPT10_S7_li,@function
_ZL37rocblas_syrkx_herkx_restricted_kernelIl19rocblas_complex_numIfELi16ELi32ELi8ELi1ELin1ELb0ELc84ELc76EKPKS1_KPS1_EviT_PT9_S7_lS9_S7_lPT10_S7_li: ; @_ZL37rocblas_syrkx_herkx_restricted_kernelIl19rocblas_complex_numIfELi16ELi32ELi8ELi1ELin1ELb0ELc84ELc76EKPKS1_KPS1_EviT_PT9_S7_lS9_S7_lPT10_S7_li
; %bb.0:
	s_clause 0x1
	s_load_b128 s[4:7], s[0:1], 0x40
	s_load_b128 s[8:11], s[0:1], 0x8
	s_mov_b32 s2, s15
	s_mov_b32 s3, 0
	v_dual_mov_b32 v17, 0 :: v_dual_and_b32 v6, 0x3ff, v0
	s_lshl_b64 s[16:17], s[2:3], 3
	v_bfe_u32 v7, v0, 10, 10
	v_dual_mov_b32 v16, 0 :: v_dual_mov_b32 v11, 0
	v_dual_mov_b32 v10, 0 :: v_dual_mov_b32 v9, 0
	;; [unrolled: 1-line block ×3, first 2 shown]
	v_mov_b32_e32 v0, 0
	s_waitcnt lgkmcnt(0)
	s_add_u32 s2, s4, s16
	s_addc_u32 s3, s5, s17
	v_cmp_lt_i64_e64 s4, s[8:9], 1
	s_load_b64 s[2:3], s[2:3], 0x0
	s_lshl_b32 s18, s13, 5
	s_lshl_b32 s19, s14, 5
	s_delay_alu instid0(VALU_DEP_1)
	s_and_b32 vcc_lo, exec_lo, s4
	s_cbranch_vccnz .LBB1548_3
; %bb.1:
	s_clause 0x1
	s_load_b128 s[12:15], s[0:1], 0x28
	s_load_b64 s[4:5], s[0:1], 0x18
	v_lshl_add_u32 v2, v7, 4, v6
	v_dual_mov_b32 v1, 0 :: v_dual_and_b32 v0, 7, v6
	s_add_u32 s10, s10, s16
	s_addc_u32 s11, s11, s17
	s_delay_alu instid0(VALU_DEP_2)
	v_lshrrev_b32_e32 v10, 3, v2
	v_and_b32_e32 v11, 31, v2
	v_lshrrev_b32_e32 v2, 5, v2
	v_mov_b32_e32 v3, v1
	s_load_b64 s[10:11], s[10:11], 0x0
	v_add_nc_u32_e32 v12, s19, v10
	v_add_nc_u32_e32 v8, s18, v11
	v_dual_mov_b32 v16, v1 :: v_dual_lshlrev_b32 v11, 3, v11
	v_mov_b32_e32 v17, v1
	s_delay_alu instid0(VALU_DEP_4) | instskip(NEXT) | instid1(VALU_DEP_4)
	v_ashrrev_i32_e32 v4, 31, v12
	v_ashrrev_i32_e32 v5, 31, v8
	s_waitcnt lgkmcnt(0)
	s_add_u32 s12, s12, s16
	s_addc_u32 s13, s13, s17
	v_mul_lo_u32 v13, v4, s14
	v_mul_lo_u32 v14, s4, v5
	v_mad_u64_u32 v[4:5], null, s4, v8, v[2:3]
	v_mul_lo_u32 v3, s5, v8
	s_load_b64 s[4:5], s[12:13], 0x0
	v_mul_lo_u32 v15, v12, s15
	v_mad_u64_u32 v[8:9], null, v12, s14, v[0:1]
	v_lshlrev_b32_e32 v0, 3, v0
	v_lshlrev_b32_e32 v12, 3, v6
	v_add3_u32 v5, v3, v5, v14
	v_lshl_or_b32 v14, v2, 8, v11
	v_mov_b32_e32 v11, v1
	v_add3_u32 v9, v13, v9, v15
	v_lshl_or_b32 v0, v10, 6, v0
	v_lshlrev_b64 v[3:4], 3, v[4:5]
	v_lshl_add_u32 v13, v7, 6, 0x800
	v_mov_b32_e32 v10, v1
	v_lshlrev_b64 v[8:9], 3, v[8:9]
	v_add_nc_u32_e32 v15, 0x800, v0
	v_add_co_u32 v0, vcc_lo, v3, s10
	v_add_co_ci_u32_e32 v3, vcc_lo, s11, v4, vcc_lo
	s_waitcnt lgkmcnt(0)
	s_delay_alu instid0(VALU_DEP_4) | instskip(SKIP_3) | instid1(VALU_DEP_4)
	v_add_co_u32 v4, vcc_lo, v8, s4
	v_add_co_ci_u32_e32 v5, vcc_lo, s5, v9, vcc_lo
	v_add_co_u32 v2, vcc_lo, v0, 4
	v_add_co_ci_u32_e32 v3, vcc_lo, 0, v3, vcc_lo
	v_add_co_u32 v4, vcc_lo, v4, 4
	s_delay_alu instid0(VALU_DEP_4)
	v_add_co_ci_u32_e32 v5, vcc_lo, 0, v5, vcc_lo
	v_mov_b32_e32 v0, v1
	v_mov_b32_e32 v8, v1
	v_mov_b32_e32 v9, v1
	s_mov_b64 s[4:5], 0
.LBB1548_2:                             ; =>This Inner Loop Header: Depth=1
	global_load_b64 v[18:19], v[2:3], off offset:-4
	global_load_b64 v[20:21], v[4:5], off offset:-4
	s_add_u32 s4, s4, 8
	v_add_co_u32 v2, vcc_lo, v2, 64
	s_addc_u32 s5, s5, 0
	v_add_co_ci_u32_e32 v3, vcc_lo, 0, v3, vcc_lo
	v_cmp_ge_u64_e64 s10, s[4:5], s[8:9]
	v_add_co_u32 v4, vcc_lo, v4, 64
	v_add_co_ci_u32_e32 v5, vcc_lo, 0, v5, vcc_lo
	s_waitcnt vmcnt(1)
	ds_store_b64 v14, v[18:19]
	s_waitcnt vmcnt(0)
	ds_store_b64 v15, v[20:21]
	s_waitcnt lgkmcnt(0)
	s_barrier
	buffer_gl0_inv
	ds_load_2addr_b64 v[18:21], v12 offset1:16
	ds_load_b128 v[22:25], v13
	ds_load_b128 v[26:29], v13 offset:1024
	ds_load_b128 v[30:33], v13 offset:16
	;; [unrolled: 1-line block ×4, first 2 shown]
	ds_load_2addr_b64 v[42:45], v12 offset0:32 offset1:48
	ds_load_2addr_b64 v[46:49], v12 offset0:64 offset1:80
	ds_load_b128 v[50:53], v13 offset:1040
	ds_load_2addr_b64 v[54:57], v12 offset0:96 offset1:112
	ds_load_2addr_b64 v[58:61], v12 offset0:128 offset1:144
	;; [unrolled: 1-line block ×4, first 2 shown]
	ds_load_b128 v[70:73], v13 offset:1056
	ds_load_b128 v[74:77], v13 offset:1072
	ds_load_2addr_b64 v[78:81], v12 offset0:224 offset1:240
	s_and_b32 vcc_lo, exec_lo, s10
	s_waitcnt lgkmcnt(0)
	s_barrier
	buffer_gl0_inv
	v_dual_mul_f32 v82, v23, v19 :: v_dual_mul_f32 v85, v22, v21
	v_dual_mul_f32 v83, v22, v19 :: v_dual_mul_f32 v84, v23, v21
	v_mul_f32_e32 v86, v27, v19
	v_dual_mul_f32 v19, v26, v19 :: v_dual_mul_f32 v90, v25, v45
	v_dual_mul_f32 v87, v27, v21 :: v_dual_mul_f32 v88, v25, v43
	v_mul_f32_e32 v21, v26, v21
	v_fma_f32 v82, v22, v18, -v82
	v_fmac_f32_e32 v83, v23, v18
	v_fma_f32 v22, v22, v20, -v84
	v_fmac_f32_e32 v85, v23, v20
	v_fma_f32 v23, v26, v18, -v86
	v_dual_fmac_f32 v19, v27, v18 :: v_dual_mul_f32 v86, v30, v47
	v_fma_f32 v18, v26, v20, -v87
	v_dual_fmac_f32 v21, v27, v20 :: v_dual_mul_f32 v20, v24, v45
	v_mul_f32_e32 v89, v24, v43
	v_mul_f32_e32 v26, v29, v43
	;; [unrolled: 1-line block ×4, first 2 shown]
	v_fmac_f32_e32 v20, v25, v44
	v_fmac_f32_e32 v89, v25, v42
	v_dual_mul_f32 v25, v28, v45 :: v_dual_fmac_f32 v86, v31, v46
	v_fma_f32 v84, v24, v42, -v88
	v_fma_f32 v24, v24, v44, -v90
	v_dual_mul_f32 v45, v31, v47 :: v_dual_mul_f32 v90, v33, v57
	v_fma_f32 v26, v28, v42, -v26
	v_fma_f32 v28, v28, v44, -v43
	v_fmac_f32_e32 v25, v29, v44
	v_dual_mul_f32 v43, v50, v47 :: v_dual_mul_f32 v44, v51, v49
	v_dual_fmac_f32 v27, v29, v42 :: v_dual_mul_f32 v42, v51, v47
	v_dual_mul_f32 v88, v32, v55 :: v_dual_mul_f32 v29, v30, v49
	v_mul_f32_e32 v87, v31, v49
	v_fma_f32 v45, v30, v46, -v45
	v_add_f32_e32 v10, v10, v85
	s_delay_alu instid0(VALU_DEP_4)
	v_dual_fmac_f32 v88, v33, v54 :: v_dual_fmac_f32 v29, v31, v48
	v_fma_f32 v31, v50, v46, -v42
	v_fma_f32 v42, v50, v48, -v44
	v_mul_f32_e32 v44, v32, v57
	v_mul_f32_e32 v47, v50, v49
	v_dual_mul_f32 v50, v53, v57 :: v_dual_fmac_f32 v43, v51, v46
	v_mul_f32_e32 v46, v53, v55
	v_mul_f32_e32 v49, v33, v55
	v_fma_f32 v30, v30, v48, -v87
	v_fmac_f32_e32 v44, v33, v56
	v_dual_fmac_f32 v47, v51, v48 :: v_dual_mul_f32 v48, v52, v55
	v_mul_f32_e32 v33, v52, v57
	v_fma_f32 v46, v52, v54, -v46
	v_fma_f32 v50, v52, v56, -v50
	v_mul_f32_e32 v52, v34, v61
	v_fma_f32 v49, v32, v54, -v49
	v_fma_f32 v32, v32, v56, -v90
	v_dual_mul_f32 v51, v35, v59 :: v_dual_fmac_f32 v48, v53, v54
	v_mul_f32_e32 v54, v70, v59
	v_dual_mul_f32 v55, v34, v59 :: v_dual_fmac_f32 v52, v35, v60
	v_fmac_f32_e32 v33, v53, v56
	v_mul_f32_e32 v53, v71, v59
	v_mul_f32_e32 v56, v71, v61
	v_mul_f32_e32 v57, v35, v61
	v_fmac_f32_e32 v54, v71, v58
	v_fmac_f32_e32 v55, v35, v58
	v_fma_f32 v35, v70, v58, -v53
	v_fma_f32 v53, v70, v60, -v56
	v_mul_f32_e32 v56, v36, v65
	v_mul_f32_e32 v59, v70, v61
	v_fma_f32 v51, v34, v58, -v51
	v_mul_f32_e32 v58, v72, v63
	v_mul_f32_e32 v87, v36, v63
	;; [unrolled: 1-line block ×4, first 2 shown]
	v_fma_f32 v34, v34, v60, -v57
	v_mul_f32_e32 v57, v73, v63
	v_fmac_f32_e32 v56, v37, v64
	v_dual_fmac_f32 v59, v71, v60 :: v_dual_mul_f32 v60, v73, v65
	v_mul_f32_e32 v63, v39, v67
	v_mul_f32_e32 v70, v39, v69
	v_fmac_f32_e32 v58, v73, v62
	v_fmac_f32_e32 v87, v37, v62
	v_mul_f32_e32 v37, v72, v65
	v_fma_f32 v61, v36, v62, -v61
	v_fma_f32 v36, v36, v64, -v90
	v_mul_f32_e32 v65, v38, v67
	v_fma_f32 v57, v72, v62, -v57
	v_fma_f32 v60, v72, v64, -v60
	v_dual_fmac_f32 v37, v73, v64 :: v_dual_mul_f32 v62, v38, v69
	v_mul_f32_e32 v64, v75, v67
	v_mul_f32_e32 v73, v40, v79
	v_fma_f32 v63, v38, v66, -v63
	v_fma_f32 v38, v38, v68, -v70
	v_mul_f32_e32 v70, v76, v79
	v_mul_f32_e32 v67, v74, v67
	v_dual_mul_f32 v71, v75, v69 :: v_dual_add_f32 v16, v16, v82
	v_dual_mul_f32 v69, v74, v69 :: v_dual_add_f32 v8, v8, v19
	v_fmac_f32_e32 v65, v39, v66
	v_fmac_f32_e32 v62, v39, v68
	s_delay_alu instid0(VALU_DEP_4)
	v_add_f32_e32 v16, v16, v84
	v_fma_f32 v39, v74, v66, -v64
	v_fmac_f32_e32 v70, v77, v78
	v_dual_fmac_f32 v67, v75, v66 :: v_dual_add_f32 v10, v10, v20
	v_mul_f32_e32 v66, v40, v81
	v_mul_f32_e32 v72, v41, v79
	;; [unrolled: 1-line block ×3, first 2 shown]
	v_fma_f32 v64, v74, v68, -v71
	v_dual_fmac_f32 v69, v75, v68 :: v_dual_add_f32 v0, v0, v18
	v_dual_mul_f32 v71, v77, v81 :: v_dual_add_f32 v8, v8, v27
	v_fmac_f32_e32 v73, v41, v78
	v_fmac_f32_e32 v66, v41, v80
	s_delay_alu instid0(VALU_DEP_4) | instskip(SKIP_3) | instid1(VALU_DEP_4)
	v_dual_add_f32 v0, v0, v28 :: v_dual_add_f32 v17, v17, v83
	v_add_f32_e32 v10, v10, v29
	v_mul_f32_e32 v41, v76, v81
	v_dual_add_f32 v11, v11, v22 :: v_dual_add_f32 v8, v8, v43
	v_dual_add_f32 v9, v9, v23 :: v_dual_add_f32 v0, v0, v42
	v_add_f32_e32 v1, v1, v21
	v_add_f32_e32 v16, v16, v45
	s_delay_alu instid0(VALU_DEP_4)
	v_add_f32_e32 v8, v8, v48
	v_add_f32_e32 v10, v10, v44
	v_fmac_f32_e32 v41, v77, v80
	v_dual_add_f32 v17, v17, v89 :: v_dual_add_f32 v0, v0, v50
	v_dual_add_f32 v11, v11, v24 :: v_dual_add_f32 v16, v16, v49
	v_add_f32_e32 v9, v9, v26
	v_dual_add_f32 v1, v1, v25 :: v_dual_add_f32 v10, v10, v52
	s_delay_alu instid0(VALU_DEP_4) | instskip(NEXT) | instid1(VALU_DEP_4)
	v_dual_add_f32 v17, v17, v86 :: v_dual_add_f32 v0, v0, v53
	v_dual_add_f32 v16, v16, v51 :: v_dual_add_f32 v11, v11, v30
	s_delay_alu instid0(VALU_DEP_4) | instskip(NEXT) | instid1(VALU_DEP_4)
	v_dual_add_f32 v9, v9, v31 :: v_dual_add_f32 v8, v8, v54
	v_dual_add_f32 v1, v1, v47 :: v_dual_add_f32 v10, v10, v56
	s_delay_alu instid0(VALU_DEP_4) | instskip(NEXT) | instid1(VALU_DEP_3)
	v_add_f32_e32 v17, v17, v88
	v_dual_add_f32 v9, v9, v46 :: v_dual_add_f32 v0, v0, v60
	s_delay_alu instid0(VALU_DEP_3) | instskip(SKIP_2) | instid1(VALU_DEP_3)
	v_dual_add_f32 v1, v1, v33 :: v_dual_add_f32 v10, v10, v62
	v_dual_add_f32 v16, v16, v61 :: v_dual_add_f32 v11, v11, v32
	v_fma_f32 v72, v40, v78, -v72
	v_dual_add_f32 v1, v1, v59 :: v_dual_add_f32 v10, v10, v66
	v_dual_add_f32 v8, v8, v58 :: v_dual_add_f32 v17, v17, v55
	v_add_f32_e32 v0, v0, v64
	v_dual_add_f32 v16, v16, v63 :: v_dual_add_f32 v11, v11, v34
	s_delay_alu instid0(VALU_DEP_3) | instskip(SKIP_2) | instid1(VALU_DEP_4)
	v_add_f32_e32 v8, v8, v67
	v_add_f32_e32 v9, v9, v35
	v_mul_f32_e32 v68, v77, v79
	v_add_f32_e32 v16, v16, v72
	v_fma_f32 v71, v76, v80, -v71
	v_dual_add_f32 v17, v17, v87 :: v_dual_add_f32 v8, v8, v70
	v_add_f32_e32 v11, v11, v36
	s_delay_alu instid0(VALU_DEP_3)
	v_dual_add_f32 v9, v9, v57 :: v_dual_add_f32 v0, v0, v71
	v_add_f32_e32 v1, v1, v37
	v_fma_f32 v40, v40, v80, -v90
	v_fma_f32 v68, v76, v78, -v68
	v_add_f32_e32 v17, v17, v65
	v_add_f32_e32 v11, v11, v38
	;; [unrolled: 1-line block ×4, first 2 shown]
	s_delay_alu instid0(VALU_DEP_4) | instskip(NEXT) | instid1(VALU_DEP_4)
	v_add_f32_e32 v17, v17, v73
	v_add_f32_e32 v11, v11, v40
	s_delay_alu instid0(VALU_DEP_4) | instskip(NEXT) | instid1(VALU_DEP_4)
	v_add_f32_e32 v9, v9, v68
	v_add_f32_e32 v1, v1, v41
	s_cbranch_vccz .LBB1548_2
.LBB1548_3:
	v_add_nc_u32_e32 v7, s19, v7
	s_load_b32 s4, s[0:1], 0x0
	s_delay_alu instid0(VALU_DEP_1) | instskip(SKIP_2) | instid1(VALU_DEP_3)
	v_ashrrev_i32_e32 v2, 31, v7
	v_mul_lo_u32 v5, v7, s7
	v_mad_u64_u32 v[3:4], null, v7, s6, 0
	v_mul_lo_u32 v2, v2, s6
	s_delay_alu instid0(VALU_DEP_1) | instskip(SKIP_1) | instid1(VALU_DEP_2)
	v_add3_u32 v4, v4, v5, v2
	v_add_nc_u32_e32 v2, s18, v6
	v_lshlrev_b64 v[3:4], 3, v[3:4]
	s_delay_alu instid0(VALU_DEP_2) | instskip(SKIP_2) | instid1(VALU_DEP_3)
	v_cmp_le_i32_e64 s0, v7, v2
	s_waitcnt lgkmcnt(0)
	v_cmp_gt_i32_e32 vcc_lo, s4, v2
	v_add_co_u32 v6, s1, s2, v3
	s_delay_alu instid0(VALU_DEP_1) | instskip(SKIP_1) | instid1(SALU_CYCLE_1)
	v_add_co_ci_u32_e64 v12, s1, s3, v4, s1
	s_and_b32 s0, s0, vcc_lo
	s_and_saveexec_b32 s1, s0
	s_cbranch_execz .LBB1548_5
; %bb.4:
	v_ashrrev_i32_e32 v3, 31, v2
	s_delay_alu instid0(VALU_DEP_1) | instskip(NEXT) | instid1(VALU_DEP_1)
	v_lshlrev_b64 v[3:4], 3, v[2:3]
	v_add_co_u32 v3, s0, v6, v3
	s_delay_alu instid0(VALU_DEP_1)
	v_add_co_ci_u32_e64 v4, s0, v12, v4, s0
	global_load_b64 v[13:14], v[3:4], off
	s_waitcnt vmcnt(0)
	v_dual_sub_f32 v13, v16, v13 :: v_dual_sub_f32 v14, v17, v14
	global_store_b64 v[3:4], v[13:14], off
.LBB1548_5:
	s_or_b32 exec_lo, exec_lo, s1
	v_add_nc_u32_e32 v4, 16, v2
	s_delay_alu instid0(VALU_DEP_1) | instskip(SKIP_1) | instid1(VALU_DEP_1)
	v_cmp_le_i32_e64 s1, v7, v4
	v_cmp_gt_i32_e64 s0, s4, v4
	s_and_b32 s1, s1, s0
	s_delay_alu instid0(SALU_CYCLE_1)
	s_and_saveexec_b32 s4, s1
	s_cbranch_execz .LBB1548_7
; %bb.6:
	v_ashrrev_i32_e32 v5, 31, v4
	s_delay_alu instid0(VALU_DEP_1) | instskip(NEXT) | instid1(VALU_DEP_1)
	v_lshlrev_b64 v[13:14], 3, v[4:5]
	v_add_co_u32 v5, s1, v6, v13
	s_delay_alu instid0(VALU_DEP_1)
	v_add_co_ci_u32_e64 v6, s1, v12, v14, s1
	global_load_b64 v[12:13], v[5:6], off
	s_waitcnt vmcnt(0)
	v_dual_sub_f32 v11, v11, v12 :: v_dual_sub_f32 v12, v10, v13
	global_store_b64 v[5:6], v[11:12], off
.LBB1548_7:
	s_or_b32 exec_lo, exec_lo, s4
	v_add_nc_u32_e32 v5, 16, v7
	s_delay_alu instid0(VALU_DEP_1) | instskip(SKIP_3) | instid1(VALU_DEP_4)
	v_ashrrev_i32_e32 v3, 31, v5
	v_mul_lo_u32 v10, v5, s7
	v_mad_u64_u32 v[6:7], null, v5, s6, 0
	v_cmp_le_i32_e64 s1, v5, v2
	v_mul_lo_u32 v3, v3, s6
	s_delay_alu instid0(VALU_DEP_1) | instskip(NEXT) | instid1(VALU_DEP_1)
	v_add3_u32 v7, v7, v10, v3
	v_lshlrev_b64 v[6:7], 3, v[6:7]
	s_delay_alu instid0(VALU_DEP_1) | instskip(NEXT) | instid1(VALU_DEP_1)
	v_add_co_u32 v6, s2, s2, v6
	v_add_co_ci_u32_e64 v7, s2, s3, v7, s2
	s_and_b32 s2, s1, vcc_lo
	s_delay_alu instid0(SALU_CYCLE_1)
	s_and_saveexec_b32 s1, s2
	s_cbranch_execz .LBB1548_9
; %bb.8:
	v_ashrrev_i32_e32 v3, 31, v2
	s_delay_alu instid0(VALU_DEP_1) | instskip(NEXT) | instid1(VALU_DEP_1)
	v_lshlrev_b64 v[2:3], 3, v[2:3]
	v_add_co_u32 v2, vcc_lo, v6, v2
	s_delay_alu instid0(VALU_DEP_2)
	v_add_co_ci_u32_e32 v3, vcc_lo, v7, v3, vcc_lo
	global_load_b64 v[10:11], v[2:3], off
	s_waitcnt vmcnt(0)
	v_dual_sub_f32 v9, v9, v10 :: v_dual_sub_f32 v10, v8, v11
	global_store_b64 v[2:3], v[9:10], off
.LBB1548_9:
	s_or_b32 exec_lo, exec_lo, s1
	v_cmp_le_i32_e32 vcc_lo, v5, v4
	s_and_b32 s0, vcc_lo, s0
	s_delay_alu instid0(SALU_CYCLE_1)
	s_and_saveexec_b32 s1, s0
	s_cbranch_execz .LBB1548_11
; %bb.10:
	v_ashrrev_i32_e32 v5, 31, v4
	s_delay_alu instid0(VALU_DEP_1) | instskip(NEXT) | instid1(VALU_DEP_1)
	v_lshlrev_b64 v[2:3], 3, v[4:5]
	v_add_co_u32 v2, vcc_lo, v6, v2
	s_delay_alu instid0(VALU_DEP_2)
	v_add_co_ci_u32_e32 v3, vcc_lo, v7, v3, vcc_lo
	global_load_b64 v[4:5], v[2:3], off
	s_waitcnt vmcnt(0)
	v_dual_sub_f32 v0, v0, v4 :: v_dual_sub_f32 v1, v1, v5
	global_store_b64 v[2:3], v[0:1], off
.LBB1548_11:
	s_nop 0
	s_sendmsg sendmsg(MSG_DEALLOC_VGPRS)
	s_endpgm
	.section	.rodata,"a",@progbits
	.p2align	6, 0x0
	.amdhsa_kernel _ZL37rocblas_syrkx_herkx_restricted_kernelIl19rocblas_complex_numIfELi16ELi32ELi8ELi1ELin1ELb0ELc84ELc76EKPKS1_KPS1_EviT_PT9_S7_lS9_S7_lPT10_S7_li
		.amdhsa_group_segment_fixed_size 4096
		.amdhsa_private_segment_fixed_size 0
		.amdhsa_kernarg_size 92
		.amdhsa_user_sgpr_count 13
		.amdhsa_user_sgpr_dispatch_ptr 0
		.amdhsa_user_sgpr_queue_ptr 0
		.amdhsa_user_sgpr_kernarg_segment_ptr 1
		.amdhsa_user_sgpr_dispatch_id 0
		.amdhsa_user_sgpr_private_segment_size 0
		.amdhsa_wavefront_size32 1
		.amdhsa_uses_dynamic_stack 0
		.amdhsa_enable_private_segment 0
		.amdhsa_system_sgpr_workgroup_id_x 1
		.amdhsa_system_sgpr_workgroup_id_y 1
		.amdhsa_system_sgpr_workgroup_id_z 1
		.amdhsa_system_sgpr_workgroup_info 0
		.amdhsa_system_vgpr_workitem_id 1
		.amdhsa_next_free_vgpr 91
		.amdhsa_next_free_sgpr 20
		.amdhsa_reserve_vcc 1
		.amdhsa_float_round_mode_32 0
		.amdhsa_float_round_mode_16_64 0
		.amdhsa_float_denorm_mode_32 3
		.amdhsa_float_denorm_mode_16_64 3
		.amdhsa_dx10_clamp 1
		.amdhsa_ieee_mode 1
		.amdhsa_fp16_overflow 0
		.amdhsa_workgroup_processor_mode 1
		.amdhsa_memory_ordered 1
		.amdhsa_forward_progress 0
		.amdhsa_shared_vgpr_count 0
		.amdhsa_exception_fp_ieee_invalid_op 0
		.amdhsa_exception_fp_denorm_src 0
		.amdhsa_exception_fp_ieee_div_zero 0
		.amdhsa_exception_fp_ieee_overflow 0
		.amdhsa_exception_fp_ieee_underflow 0
		.amdhsa_exception_fp_ieee_inexact 0
		.amdhsa_exception_int_div_zero 0
	.end_amdhsa_kernel
	.section	.text._ZL37rocblas_syrkx_herkx_restricted_kernelIl19rocblas_complex_numIfELi16ELi32ELi8ELi1ELin1ELb0ELc84ELc76EKPKS1_KPS1_EviT_PT9_S7_lS9_S7_lPT10_S7_li,"axG",@progbits,_ZL37rocblas_syrkx_herkx_restricted_kernelIl19rocblas_complex_numIfELi16ELi32ELi8ELi1ELin1ELb0ELc84ELc76EKPKS1_KPS1_EviT_PT9_S7_lS9_S7_lPT10_S7_li,comdat
.Lfunc_end1548:
	.size	_ZL37rocblas_syrkx_herkx_restricted_kernelIl19rocblas_complex_numIfELi16ELi32ELi8ELi1ELin1ELb0ELc84ELc76EKPKS1_KPS1_EviT_PT9_S7_lS9_S7_lPT10_S7_li, .Lfunc_end1548-_ZL37rocblas_syrkx_herkx_restricted_kernelIl19rocblas_complex_numIfELi16ELi32ELi8ELi1ELin1ELb0ELc84ELc76EKPKS1_KPS1_EviT_PT9_S7_lS9_S7_lPT10_S7_li
                                        ; -- End function
	.section	.AMDGPU.csdata,"",@progbits
; Kernel info:
; codeLenInByte = 2204
; NumSgprs: 22
; NumVgprs: 91
; ScratchSize: 0
; MemoryBound: 0
; FloatMode: 240
; IeeeMode: 1
; LDSByteSize: 4096 bytes/workgroup (compile time only)
; SGPRBlocks: 2
; VGPRBlocks: 11
; NumSGPRsForWavesPerEU: 22
; NumVGPRsForWavesPerEU: 91
; Occupancy: 16
; WaveLimiterHint : 1
; COMPUTE_PGM_RSRC2:SCRATCH_EN: 0
; COMPUTE_PGM_RSRC2:USER_SGPR: 13
; COMPUTE_PGM_RSRC2:TRAP_HANDLER: 0
; COMPUTE_PGM_RSRC2:TGID_X_EN: 1
; COMPUTE_PGM_RSRC2:TGID_Y_EN: 1
; COMPUTE_PGM_RSRC2:TGID_Z_EN: 1
; COMPUTE_PGM_RSRC2:TIDIG_COMP_CNT: 1
	.section	.text._ZL37rocblas_syrkx_herkx_restricted_kernelIl19rocblas_complex_numIfELi16ELi32ELi8ELi1ELin1ELb0ELc67ELc76EKPKS1_KPS1_EviT_PT9_S7_lS9_S7_lPT10_S7_li,"axG",@progbits,_ZL37rocblas_syrkx_herkx_restricted_kernelIl19rocblas_complex_numIfELi16ELi32ELi8ELi1ELin1ELb0ELc67ELc76EKPKS1_KPS1_EviT_PT9_S7_lS9_S7_lPT10_S7_li,comdat
	.globl	_ZL37rocblas_syrkx_herkx_restricted_kernelIl19rocblas_complex_numIfELi16ELi32ELi8ELi1ELin1ELb0ELc67ELc76EKPKS1_KPS1_EviT_PT9_S7_lS9_S7_lPT10_S7_li ; -- Begin function _ZL37rocblas_syrkx_herkx_restricted_kernelIl19rocblas_complex_numIfELi16ELi32ELi8ELi1ELin1ELb0ELc67ELc76EKPKS1_KPS1_EviT_PT9_S7_lS9_S7_lPT10_S7_li
	.p2align	8
	.type	_ZL37rocblas_syrkx_herkx_restricted_kernelIl19rocblas_complex_numIfELi16ELi32ELi8ELi1ELin1ELb0ELc67ELc76EKPKS1_KPS1_EviT_PT9_S7_lS9_S7_lPT10_S7_li,@function
_ZL37rocblas_syrkx_herkx_restricted_kernelIl19rocblas_complex_numIfELi16ELi32ELi8ELi1ELin1ELb0ELc67ELc76EKPKS1_KPS1_EviT_PT9_S7_lS9_S7_lPT10_S7_li: ; @_ZL37rocblas_syrkx_herkx_restricted_kernelIl19rocblas_complex_numIfELi16ELi32ELi8ELi1ELin1ELb0ELc67ELc76EKPKS1_KPS1_EviT_PT9_S7_lS9_S7_lPT10_S7_li
; %bb.0:
	s_clause 0x1
	s_load_b128 s[4:7], s[0:1], 0x40
	s_load_b128 s[8:11], s[0:1], 0x8
	s_mov_b32 s2, s15
	s_mov_b32 s3, 0
	v_dual_mov_b32 v17, 0 :: v_dual_and_b32 v6, 0x3ff, v0
	s_lshl_b64 s[16:17], s[2:3], 3
	v_bfe_u32 v7, v0, 10, 10
	v_dual_mov_b32 v16, 0 :: v_dual_mov_b32 v11, 0
	v_dual_mov_b32 v10, 0 :: v_dual_mov_b32 v9, 0
	;; [unrolled: 1-line block ×3, first 2 shown]
	v_mov_b32_e32 v0, 0
	s_waitcnt lgkmcnt(0)
	s_add_u32 s2, s4, s16
	s_addc_u32 s3, s5, s17
	v_cmp_lt_i64_e64 s4, s[8:9], 1
	s_load_b64 s[2:3], s[2:3], 0x0
	s_lshl_b32 s18, s13, 5
	s_lshl_b32 s19, s14, 5
	s_delay_alu instid0(VALU_DEP_1)
	s_and_b32 vcc_lo, exec_lo, s4
	s_cbranch_vccnz .LBB1549_3
; %bb.1:
	s_clause 0x1
	s_load_b128 s[12:15], s[0:1], 0x28
	s_load_b64 s[4:5], s[0:1], 0x18
	v_lshl_add_u32 v2, v7, 4, v6
	v_dual_mov_b32 v1, 0 :: v_dual_and_b32 v0, 7, v6
	s_add_u32 s10, s10, s16
	s_addc_u32 s11, s11, s17
	s_delay_alu instid0(VALU_DEP_2)
	v_lshrrev_b32_e32 v10, 3, v2
	v_and_b32_e32 v11, 31, v2
	v_lshrrev_b32_e32 v2, 5, v2
	v_mov_b32_e32 v3, v1
	s_load_b64 s[10:11], s[10:11], 0x0
	v_add_nc_u32_e32 v12, s19, v10
	v_add_nc_u32_e32 v8, s18, v11
	v_dual_mov_b32 v16, v1 :: v_dual_lshlrev_b32 v11, 3, v11
	v_mov_b32_e32 v17, v1
	s_delay_alu instid0(VALU_DEP_4) | instskip(NEXT) | instid1(VALU_DEP_4)
	v_ashrrev_i32_e32 v4, 31, v12
	v_ashrrev_i32_e32 v5, 31, v8
	s_waitcnt lgkmcnt(0)
	s_add_u32 s12, s12, s16
	s_addc_u32 s13, s13, s17
	v_mul_lo_u32 v13, v4, s14
	v_mul_lo_u32 v14, s4, v5
	v_mad_u64_u32 v[4:5], null, s4, v8, v[2:3]
	v_mul_lo_u32 v3, s5, v8
	s_load_b64 s[4:5], s[12:13], 0x0
	v_mul_lo_u32 v15, v12, s15
	v_mad_u64_u32 v[8:9], null, v12, s14, v[0:1]
	v_lshlrev_b32_e32 v0, 3, v0
	v_lshlrev_b32_e32 v12, 3, v6
	v_add3_u32 v5, v3, v5, v14
	v_lshl_or_b32 v14, v2, 8, v11
	v_mov_b32_e32 v11, v1
	v_add3_u32 v9, v13, v9, v15
	v_lshl_or_b32 v0, v10, 6, v0
	v_lshlrev_b64 v[3:4], 3, v[4:5]
	v_lshl_add_u32 v13, v7, 6, 0x800
	v_mov_b32_e32 v10, v1
	v_lshlrev_b64 v[8:9], 3, v[8:9]
	v_add_nc_u32_e32 v15, 0x800, v0
	v_add_co_u32 v0, vcc_lo, v3, s10
	v_add_co_ci_u32_e32 v3, vcc_lo, s11, v4, vcc_lo
	s_waitcnt lgkmcnt(0)
	s_delay_alu instid0(VALU_DEP_4) | instskip(SKIP_3) | instid1(VALU_DEP_4)
	v_add_co_u32 v4, vcc_lo, v8, s4
	v_add_co_ci_u32_e32 v5, vcc_lo, s5, v9, vcc_lo
	v_add_co_u32 v2, vcc_lo, v0, 4
	v_add_co_ci_u32_e32 v3, vcc_lo, 0, v3, vcc_lo
	v_add_co_u32 v4, vcc_lo, v4, 4
	s_delay_alu instid0(VALU_DEP_4)
	v_add_co_ci_u32_e32 v5, vcc_lo, 0, v5, vcc_lo
	v_mov_b32_e32 v0, v1
	v_mov_b32_e32 v8, v1
	;; [unrolled: 1-line block ×3, first 2 shown]
	s_mov_b64 s[4:5], 0
.LBB1549_2:                             ; =>This Inner Loop Header: Depth=1
	global_load_b64 v[18:19], v[2:3], off offset:-4
	global_load_b64 v[20:21], v[4:5], off offset:-4
	s_add_u32 s4, s4, 8
	v_add_co_u32 v2, vcc_lo, v2, 64
	s_addc_u32 s5, s5, 0
	v_add_co_ci_u32_e32 v3, vcc_lo, 0, v3, vcc_lo
	v_cmp_ge_u64_e64 s10, s[4:5], s[8:9]
	v_add_co_u32 v4, vcc_lo, v4, 64
	v_add_co_ci_u32_e32 v5, vcc_lo, 0, v5, vcc_lo
	s_waitcnt vmcnt(1)
	ds_store_b64 v14, v[18:19]
	s_waitcnt vmcnt(0)
	ds_store_b64 v15, v[20:21]
	s_waitcnt lgkmcnt(0)
	s_barrier
	buffer_gl0_inv
	ds_load_2addr_b64 v[18:21], v12 offset1:16
	ds_load_b128 v[22:25], v13
	ds_load_b128 v[26:29], v13 offset:1024
	ds_load_b128 v[30:33], v13 offset:16
	;; [unrolled: 1-line block ×4, first 2 shown]
	ds_load_2addr_b64 v[42:45], v12 offset0:32 offset1:48
	ds_load_2addr_b64 v[46:49], v12 offset0:64 offset1:80
	ds_load_b128 v[50:53], v13 offset:1040
	ds_load_2addr_b64 v[54:57], v12 offset0:96 offset1:112
	ds_load_2addr_b64 v[58:61], v12 offset0:128 offset1:144
	;; [unrolled: 1-line block ×4, first 2 shown]
	ds_load_b128 v[70:73], v13 offset:1056
	ds_load_b128 v[74:77], v13 offset:1072
	ds_load_2addr_b64 v[78:81], v12 offset0:224 offset1:240
	s_and_b32 vcc_lo, exec_lo, s10
	s_waitcnt lgkmcnt(0)
	s_barrier
	buffer_gl0_inv
	v_dual_mul_f32 v82, v23, v19 :: v_dual_mul_f32 v85, v22, v21
	v_dual_mul_f32 v83, v22, v19 :: v_dual_mul_f32 v84, v23, v21
	v_mul_f32_e32 v86, v27, v19
	v_dual_mul_f32 v19, v26, v19 :: v_dual_mul_f32 v90, v25, v45
	v_dual_mul_f32 v87, v27, v21 :: v_dual_mul_f32 v88, v25, v43
	v_mul_f32_e32 v21, v26, v21
	v_fma_f32 v82, v22, v18, -v82
	v_fmac_f32_e32 v83, v23, v18
	v_fma_f32 v22, v22, v20, -v84
	v_fmac_f32_e32 v85, v23, v20
	v_fma_f32 v23, v26, v18, -v86
	v_dual_fmac_f32 v19, v27, v18 :: v_dual_mul_f32 v86, v30, v47
	v_fma_f32 v18, v26, v20, -v87
	v_dual_fmac_f32 v21, v27, v20 :: v_dual_mul_f32 v20, v24, v45
	v_mul_f32_e32 v89, v24, v43
	v_mul_f32_e32 v26, v29, v43
	;; [unrolled: 1-line block ×4, first 2 shown]
	v_fmac_f32_e32 v20, v25, v44
	v_fmac_f32_e32 v89, v25, v42
	v_dual_mul_f32 v25, v28, v45 :: v_dual_fmac_f32 v86, v31, v46
	v_fma_f32 v84, v24, v42, -v88
	v_fma_f32 v24, v24, v44, -v90
	v_dual_mul_f32 v45, v31, v47 :: v_dual_mul_f32 v90, v33, v57
	v_fma_f32 v26, v28, v42, -v26
	v_fma_f32 v28, v28, v44, -v43
	v_fmac_f32_e32 v25, v29, v44
	v_dual_mul_f32 v43, v50, v47 :: v_dual_mul_f32 v44, v51, v49
	v_dual_fmac_f32 v27, v29, v42 :: v_dual_mul_f32 v42, v51, v47
	v_dual_mul_f32 v88, v32, v55 :: v_dual_mul_f32 v29, v30, v49
	v_mul_f32_e32 v87, v31, v49
	v_fma_f32 v45, v30, v46, -v45
	v_add_f32_e32 v10, v10, v85
	s_delay_alu instid0(VALU_DEP_4)
	v_dual_fmac_f32 v88, v33, v54 :: v_dual_fmac_f32 v29, v31, v48
	v_fma_f32 v31, v50, v46, -v42
	v_fma_f32 v42, v50, v48, -v44
	v_mul_f32_e32 v44, v32, v57
	v_mul_f32_e32 v47, v50, v49
	v_dual_mul_f32 v50, v53, v57 :: v_dual_fmac_f32 v43, v51, v46
	v_mul_f32_e32 v46, v53, v55
	v_mul_f32_e32 v49, v33, v55
	v_fma_f32 v30, v30, v48, -v87
	v_fmac_f32_e32 v44, v33, v56
	v_dual_fmac_f32 v47, v51, v48 :: v_dual_mul_f32 v48, v52, v55
	v_mul_f32_e32 v33, v52, v57
	v_fma_f32 v46, v52, v54, -v46
	v_fma_f32 v50, v52, v56, -v50
	v_mul_f32_e32 v52, v34, v61
	v_fma_f32 v49, v32, v54, -v49
	v_fma_f32 v32, v32, v56, -v90
	v_dual_mul_f32 v51, v35, v59 :: v_dual_fmac_f32 v48, v53, v54
	v_mul_f32_e32 v54, v70, v59
	v_dual_mul_f32 v55, v34, v59 :: v_dual_fmac_f32 v52, v35, v60
	v_fmac_f32_e32 v33, v53, v56
	v_mul_f32_e32 v53, v71, v59
	v_mul_f32_e32 v56, v71, v61
	;; [unrolled: 1-line block ×3, first 2 shown]
	v_fmac_f32_e32 v54, v71, v58
	v_fmac_f32_e32 v55, v35, v58
	v_fma_f32 v35, v70, v58, -v53
	v_fma_f32 v53, v70, v60, -v56
	v_mul_f32_e32 v56, v36, v65
	v_mul_f32_e32 v59, v70, v61
	v_fma_f32 v51, v34, v58, -v51
	v_mul_f32_e32 v58, v72, v63
	v_mul_f32_e32 v87, v36, v63
	;; [unrolled: 1-line block ×4, first 2 shown]
	v_fma_f32 v34, v34, v60, -v57
	v_mul_f32_e32 v57, v73, v63
	v_fmac_f32_e32 v56, v37, v64
	v_dual_fmac_f32 v59, v71, v60 :: v_dual_mul_f32 v60, v73, v65
	v_mul_f32_e32 v63, v39, v67
	v_mul_f32_e32 v70, v39, v69
	v_fmac_f32_e32 v58, v73, v62
	v_fmac_f32_e32 v87, v37, v62
	v_mul_f32_e32 v37, v72, v65
	v_fma_f32 v61, v36, v62, -v61
	v_fma_f32 v36, v36, v64, -v90
	v_mul_f32_e32 v65, v38, v67
	v_fma_f32 v57, v72, v62, -v57
	v_fma_f32 v60, v72, v64, -v60
	v_dual_fmac_f32 v37, v73, v64 :: v_dual_mul_f32 v62, v38, v69
	v_mul_f32_e32 v64, v75, v67
	v_mul_f32_e32 v73, v40, v79
	v_fma_f32 v63, v38, v66, -v63
	v_fma_f32 v38, v38, v68, -v70
	v_mul_f32_e32 v70, v76, v79
	v_mul_f32_e32 v67, v74, v67
	v_dual_mul_f32 v71, v75, v69 :: v_dual_add_f32 v16, v16, v82
	v_dual_mul_f32 v69, v74, v69 :: v_dual_add_f32 v8, v8, v19
	v_fmac_f32_e32 v65, v39, v66
	v_fmac_f32_e32 v62, v39, v68
	s_delay_alu instid0(VALU_DEP_4)
	v_add_f32_e32 v16, v16, v84
	v_fma_f32 v39, v74, v66, -v64
	v_fmac_f32_e32 v70, v77, v78
	v_dual_fmac_f32 v67, v75, v66 :: v_dual_add_f32 v10, v10, v20
	v_mul_f32_e32 v66, v40, v81
	v_mul_f32_e32 v72, v41, v79
	;; [unrolled: 1-line block ×3, first 2 shown]
	v_fma_f32 v64, v74, v68, -v71
	v_dual_fmac_f32 v69, v75, v68 :: v_dual_add_f32 v0, v0, v18
	v_dual_mul_f32 v71, v77, v81 :: v_dual_add_f32 v8, v8, v27
	v_fmac_f32_e32 v73, v41, v78
	v_fmac_f32_e32 v66, v41, v80
	s_delay_alu instid0(VALU_DEP_4) | instskip(SKIP_3) | instid1(VALU_DEP_4)
	v_dual_add_f32 v0, v0, v28 :: v_dual_add_f32 v17, v17, v83
	v_add_f32_e32 v10, v10, v29
	v_mul_f32_e32 v41, v76, v81
	v_dual_add_f32 v11, v11, v22 :: v_dual_add_f32 v8, v8, v43
	v_dual_add_f32 v9, v9, v23 :: v_dual_add_f32 v0, v0, v42
	v_add_f32_e32 v1, v1, v21
	v_add_f32_e32 v16, v16, v45
	s_delay_alu instid0(VALU_DEP_4)
	v_add_f32_e32 v8, v8, v48
	v_add_f32_e32 v10, v10, v44
	v_fmac_f32_e32 v41, v77, v80
	v_dual_add_f32 v17, v17, v89 :: v_dual_add_f32 v0, v0, v50
	v_dual_add_f32 v11, v11, v24 :: v_dual_add_f32 v16, v16, v49
	v_add_f32_e32 v9, v9, v26
	v_dual_add_f32 v1, v1, v25 :: v_dual_add_f32 v10, v10, v52
	s_delay_alu instid0(VALU_DEP_4) | instskip(NEXT) | instid1(VALU_DEP_4)
	v_dual_add_f32 v17, v17, v86 :: v_dual_add_f32 v0, v0, v53
	v_dual_add_f32 v16, v16, v51 :: v_dual_add_f32 v11, v11, v30
	s_delay_alu instid0(VALU_DEP_4) | instskip(NEXT) | instid1(VALU_DEP_4)
	v_dual_add_f32 v9, v9, v31 :: v_dual_add_f32 v8, v8, v54
	v_dual_add_f32 v1, v1, v47 :: v_dual_add_f32 v10, v10, v56
	s_delay_alu instid0(VALU_DEP_4) | instskip(NEXT) | instid1(VALU_DEP_3)
	v_add_f32_e32 v17, v17, v88
	v_dual_add_f32 v9, v9, v46 :: v_dual_add_f32 v0, v0, v60
	s_delay_alu instid0(VALU_DEP_3) | instskip(SKIP_2) | instid1(VALU_DEP_3)
	v_dual_add_f32 v1, v1, v33 :: v_dual_add_f32 v10, v10, v62
	v_dual_add_f32 v16, v16, v61 :: v_dual_add_f32 v11, v11, v32
	v_fma_f32 v72, v40, v78, -v72
	v_dual_add_f32 v1, v1, v59 :: v_dual_add_f32 v10, v10, v66
	v_dual_add_f32 v8, v8, v58 :: v_dual_add_f32 v17, v17, v55
	v_add_f32_e32 v0, v0, v64
	v_dual_add_f32 v16, v16, v63 :: v_dual_add_f32 v11, v11, v34
	s_delay_alu instid0(VALU_DEP_3) | instskip(SKIP_2) | instid1(VALU_DEP_4)
	v_add_f32_e32 v8, v8, v67
	v_add_f32_e32 v9, v9, v35
	v_mul_f32_e32 v68, v77, v79
	v_add_f32_e32 v16, v16, v72
	v_fma_f32 v71, v76, v80, -v71
	v_dual_add_f32 v17, v17, v87 :: v_dual_add_f32 v8, v8, v70
	v_add_f32_e32 v11, v11, v36
	s_delay_alu instid0(VALU_DEP_3)
	v_dual_add_f32 v9, v9, v57 :: v_dual_add_f32 v0, v0, v71
	v_add_f32_e32 v1, v1, v37
	v_fma_f32 v40, v40, v80, -v90
	v_fma_f32 v68, v76, v78, -v68
	v_add_f32_e32 v17, v17, v65
	v_add_f32_e32 v11, v11, v38
	;; [unrolled: 1-line block ×4, first 2 shown]
	s_delay_alu instid0(VALU_DEP_4) | instskip(NEXT) | instid1(VALU_DEP_4)
	v_add_f32_e32 v17, v17, v73
	v_add_f32_e32 v11, v11, v40
	s_delay_alu instid0(VALU_DEP_4) | instskip(NEXT) | instid1(VALU_DEP_4)
	v_add_f32_e32 v9, v9, v68
	v_add_f32_e32 v1, v1, v41
	s_cbranch_vccz .LBB1549_2
.LBB1549_3:
	v_add_nc_u32_e32 v7, s19, v7
	s_load_b32 s4, s[0:1], 0x0
	s_delay_alu instid0(VALU_DEP_1) | instskip(SKIP_2) | instid1(VALU_DEP_3)
	v_ashrrev_i32_e32 v2, 31, v7
	v_mul_lo_u32 v5, v7, s7
	v_mad_u64_u32 v[3:4], null, v7, s6, 0
	v_mul_lo_u32 v2, v2, s6
	s_delay_alu instid0(VALU_DEP_1) | instskip(SKIP_1) | instid1(VALU_DEP_2)
	v_add3_u32 v4, v4, v5, v2
	v_add_nc_u32_e32 v2, s18, v6
	v_lshlrev_b64 v[3:4], 3, v[3:4]
	s_delay_alu instid0(VALU_DEP_2) | instskip(SKIP_2) | instid1(VALU_DEP_3)
	v_cmp_le_i32_e64 s0, v7, v2
	s_waitcnt lgkmcnt(0)
	v_cmp_gt_i32_e32 vcc_lo, s4, v2
	v_add_co_u32 v6, s1, s2, v3
	s_delay_alu instid0(VALU_DEP_1) | instskip(SKIP_1) | instid1(SALU_CYCLE_1)
	v_add_co_ci_u32_e64 v12, s1, s3, v4, s1
	s_and_b32 s0, s0, vcc_lo
	s_and_saveexec_b32 s1, s0
	s_cbranch_execz .LBB1549_5
; %bb.4:
	v_ashrrev_i32_e32 v3, 31, v2
	s_delay_alu instid0(VALU_DEP_1) | instskip(NEXT) | instid1(VALU_DEP_1)
	v_lshlrev_b64 v[3:4], 3, v[2:3]
	v_add_co_u32 v3, s0, v6, v3
	s_delay_alu instid0(VALU_DEP_1)
	v_add_co_ci_u32_e64 v4, s0, v12, v4, s0
	global_load_b64 v[13:14], v[3:4], off
	s_waitcnt vmcnt(0)
	v_dual_sub_f32 v13, v16, v13 :: v_dual_sub_f32 v14, v17, v14
	global_store_b64 v[3:4], v[13:14], off
.LBB1549_5:
	s_or_b32 exec_lo, exec_lo, s1
	v_add_nc_u32_e32 v4, 16, v2
	s_delay_alu instid0(VALU_DEP_1) | instskip(SKIP_1) | instid1(VALU_DEP_1)
	v_cmp_le_i32_e64 s1, v7, v4
	v_cmp_gt_i32_e64 s0, s4, v4
	s_and_b32 s1, s1, s0
	s_delay_alu instid0(SALU_CYCLE_1)
	s_and_saveexec_b32 s4, s1
	s_cbranch_execz .LBB1549_7
; %bb.6:
	v_ashrrev_i32_e32 v5, 31, v4
	s_delay_alu instid0(VALU_DEP_1) | instskip(NEXT) | instid1(VALU_DEP_1)
	v_lshlrev_b64 v[13:14], 3, v[4:5]
	v_add_co_u32 v5, s1, v6, v13
	s_delay_alu instid0(VALU_DEP_1)
	v_add_co_ci_u32_e64 v6, s1, v12, v14, s1
	global_load_b64 v[12:13], v[5:6], off
	s_waitcnt vmcnt(0)
	v_dual_sub_f32 v11, v11, v12 :: v_dual_sub_f32 v12, v10, v13
	global_store_b64 v[5:6], v[11:12], off
.LBB1549_7:
	s_or_b32 exec_lo, exec_lo, s4
	v_add_nc_u32_e32 v5, 16, v7
	s_delay_alu instid0(VALU_DEP_1) | instskip(SKIP_3) | instid1(VALU_DEP_4)
	v_ashrrev_i32_e32 v3, 31, v5
	v_mul_lo_u32 v10, v5, s7
	v_mad_u64_u32 v[6:7], null, v5, s6, 0
	v_cmp_le_i32_e64 s1, v5, v2
	v_mul_lo_u32 v3, v3, s6
	s_delay_alu instid0(VALU_DEP_1) | instskip(NEXT) | instid1(VALU_DEP_1)
	v_add3_u32 v7, v7, v10, v3
	v_lshlrev_b64 v[6:7], 3, v[6:7]
	s_delay_alu instid0(VALU_DEP_1) | instskip(NEXT) | instid1(VALU_DEP_1)
	v_add_co_u32 v6, s2, s2, v6
	v_add_co_ci_u32_e64 v7, s2, s3, v7, s2
	s_and_b32 s2, s1, vcc_lo
	s_delay_alu instid0(SALU_CYCLE_1)
	s_and_saveexec_b32 s1, s2
	s_cbranch_execz .LBB1549_9
; %bb.8:
	v_ashrrev_i32_e32 v3, 31, v2
	s_delay_alu instid0(VALU_DEP_1) | instskip(NEXT) | instid1(VALU_DEP_1)
	v_lshlrev_b64 v[2:3], 3, v[2:3]
	v_add_co_u32 v2, vcc_lo, v6, v2
	s_delay_alu instid0(VALU_DEP_2)
	v_add_co_ci_u32_e32 v3, vcc_lo, v7, v3, vcc_lo
	global_load_b64 v[10:11], v[2:3], off
	s_waitcnt vmcnt(0)
	v_dual_sub_f32 v9, v9, v10 :: v_dual_sub_f32 v10, v8, v11
	global_store_b64 v[2:3], v[9:10], off
.LBB1549_9:
	s_or_b32 exec_lo, exec_lo, s1
	v_cmp_le_i32_e32 vcc_lo, v5, v4
	s_and_b32 s0, vcc_lo, s0
	s_delay_alu instid0(SALU_CYCLE_1)
	s_and_saveexec_b32 s1, s0
	s_cbranch_execz .LBB1549_11
; %bb.10:
	v_ashrrev_i32_e32 v5, 31, v4
	s_delay_alu instid0(VALU_DEP_1) | instskip(NEXT) | instid1(VALU_DEP_1)
	v_lshlrev_b64 v[2:3], 3, v[4:5]
	v_add_co_u32 v2, vcc_lo, v6, v2
	s_delay_alu instid0(VALU_DEP_2)
	v_add_co_ci_u32_e32 v3, vcc_lo, v7, v3, vcc_lo
	global_load_b64 v[4:5], v[2:3], off
	s_waitcnt vmcnt(0)
	v_dual_sub_f32 v0, v0, v4 :: v_dual_sub_f32 v1, v1, v5
	global_store_b64 v[2:3], v[0:1], off
.LBB1549_11:
	s_nop 0
	s_sendmsg sendmsg(MSG_DEALLOC_VGPRS)
	s_endpgm
	.section	.rodata,"a",@progbits
	.p2align	6, 0x0
	.amdhsa_kernel _ZL37rocblas_syrkx_herkx_restricted_kernelIl19rocblas_complex_numIfELi16ELi32ELi8ELi1ELin1ELb0ELc67ELc76EKPKS1_KPS1_EviT_PT9_S7_lS9_S7_lPT10_S7_li
		.amdhsa_group_segment_fixed_size 4096
		.amdhsa_private_segment_fixed_size 0
		.amdhsa_kernarg_size 92
		.amdhsa_user_sgpr_count 13
		.amdhsa_user_sgpr_dispatch_ptr 0
		.amdhsa_user_sgpr_queue_ptr 0
		.amdhsa_user_sgpr_kernarg_segment_ptr 1
		.amdhsa_user_sgpr_dispatch_id 0
		.amdhsa_user_sgpr_private_segment_size 0
		.amdhsa_wavefront_size32 1
		.amdhsa_uses_dynamic_stack 0
		.amdhsa_enable_private_segment 0
		.amdhsa_system_sgpr_workgroup_id_x 1
		.amdhsa_system_sgpr_workgroup_id_y 1
		.amdhsa_system_sgpr_workgroup_id_z 1
		.amdhsa_system_sgpr_workgroup_info 0
		.amdhsa_system_vgpr_workitem_id 1
		.amdhsa_next_free_vgpr 91
		.amdhsa_next_free_sgpr 20
		.amdhsa_reserve_vcc 1
		.amdhsa_float_round_mode_32 0
		.amdhsa_float_round_mode_16_64 0
		.amdhsa_float_denorm_mode_32 3
		.amdhsa_float_denorm_mode_16_64 3
		.amdhsa_dx10_clamp 1
		.amdhsa_ieee_mode 1
		.amdhsa_fp16_overflow 0
		.amdhsa_workgroup_processor_mode 1
		.amdhsa_memory_ordered 1
		.amdhsa_forward_progress 0
		.amdhsa_shared_vgpr_count 0
		.amdhsa_exception_fp_ieee_invalid_op 0
		.amdhsa_exception_fp_denorm_src 0
		.amdhsa_exception_fp_ieee_div_zero 0
		.amdhsa_exception_fp_ieee_overflow 0
		.amdhsa_exception_fp_ieee_underflow 0
		.amdhsa_exception_fp_ieee_inexact 0
		.amdhsa_exception_int_div_zero 0
	.end_amdhsa_kernel
	.section	.text._ZL37rocblas_syrkx_herkx_restricted_kernelIl19rocblas_complex_numIfELi16ELi32ELi8ELi1ELin1ELb0ELc67ELc76EKPKS1_KPS1_EviT_PT9_S7_lS9_S7_lPT10_S7_li,"axG",@progbits,_ZL37rocblas_syrkx_herkx_restricted_kernelIl19rocblas_complex_numIfELi16ELi32ELi8ELi1ELin1ELb0ELc67ELc76EKPKS1_KPS1_EviT_PT9_S7_lS9_S7_lPT10_S7_li,comdat
.Lfunc_end1549:
	.size	_ZL37rocblas_syrkx_herkx_restricted_kernelIl19rocblas_complex_numIfELi16ELi32ELi8ELi1ELin1ELb0ELc67ELc76EKPKS1_KPS1_EviT_PT9_S7_lS9_S7_lPT10_S7_li, .Lfunc_end1549-_ZL37rocblas_syrkx_herkx_restricted_kernelIl19rocblas_complex_numIfELi16ELi32ELi8ELi1ELin1ELb0ELc67ELc76EKPKS1_KPS1_EviT_PT9_S7_lS9_S7_lPT10_S7_li
                                        ; -- End function
	.section	.AMDGPU.csdata,"",@progbits
; Kernel info:
; codeLenInByte = 2204
; NumSgprs: 22
; NumVgprs: 91
; ScratchSize: 0
; MemoryBound: 0
; FloatMode: 240
; IeeeMode: 1
; LDSByteSize: 4096 bytes/workgroup (compile time only)
; SGPRBlocks: 2
; VGPRBlocks: 11
; NumSGPRsForWavesPerEU: 22
; NumVGPRsForWavesPerEU: 91
; Occupancy: 16
; WaveLimiterHint : 1
; COMPUTE_PGM_RSRC2:SCRATCH_EN: 0
; COMPUTE_PGM_RSRC2:USER_SGPR: 13
; COMPUTE_PGM_RSRC2:TRAP_HANDLER: 0
; COMPUTE_PGM_RSRC2:TGID_X_EN: 1
; COMPUTE_PGM_RSRC2:TGID_Y_EN: 1
; COMPUTE_PGM_RSRC2:TGID_Z_EN: 1
; COMPUTE_PGM_RSRC2:TIDIG_COMP_CNT: 1
	.section	.text._ZL37rocblas_syrkx_herkx_restricted_kernelIl19rocblas_complex_numIfELi16ELi32ELi8ELi1ELin1ELb0ELc78ELc76EKPKS1_KPS1_EviT_PT9_S7_lS9_S7_lPT10_S7_li,"axG",@progbits,_ZL37rocblas_syrkx_herkx_restricted_kernelIl19rocblas_complex_numIfELi16ELi32ELi8ELi1ELin1ELb0ELc78ELc76EKPKS1_KPS1_EviT_PT9_S7_lS9_S7_lPT10_S7_li,comdat
	.globl	_ZL37rocblas_syrkx_herkx_restricted_kernelIl19rocblas_complex_numIfELi16ELi32ELi8ELi1ELin1ELb0ELc78ELc76EKPKS1_KPS1_EviT_PT9_S7_lS9_S7_lPT10_S7_li ; -- Begin function _ZL37rocblas_syrkx_herkx_restricted_kernelIl19rocblas_complex_numIfELi16ELi32ELi8ELi1ELin1ELb0ELc78ELc76EKPKS1_KPS1_EviT_PT9_S7_lS9_S7_lPT10_S7_li
	.p2align	8
	.type	_ZL37rocblas_syrkx_herkx_restricted_kernelIl19rocblas_complex_numIfELi16ELi32ELi8ELi1ELin1ELb0ELc78ELc76EKPKS1_KPS1_EviT_PT9_S7_lS9_S7_lPT10_S7_li,@function
_ZL37rocblas_syrkx_herkx_restricted_kernelIl19rocblas_complex_numIfELi16ELi32ELi8ELi1ELin1ELb0ELc78ELc76EKPKS1_KPS1_EviT_PT9_S7_lS9_S7_lPT10_S7_li: ; @_ZL37rocblas_syrkx_herkx_restricted_kernelIl19rocblas_complex_numIfELi16ELi32ELi8ELi1ELin1ELb0ELc78ELc76EKPKS1_KPS1_EviT_PT9_S7_lS9_S7_lPT10_S7_li
; %bb.0:
	s_clause 0x1
	s_load_b128 s[4:7], s[0:1], 0x40
	s_load_b128 s[8:11], s[0:1], 0x8
	s_mov_b32 s2, s15
	s_mov_b32 s3, 0
	v_dual_mov_b32 v15, 0 :: v_dual_and_b32 v4, 0x3ff, v0
	s_lshl_b64 s[16:17], s[2:3], 3
	v_bfe_u32 v5, v0, 10, 10
	v_dual_mov_b32 v16, 0 :: v_dual_mov_b32 v13, 0
	v_dual_mov_b32 v12, 0 :: v_dual_mov_b32 v9, 0
	;; [unrolled: 1-line block ×3, first 2 shown]
	v_mov_b32_e32 v6, 0
	s_waitcnt lgkmcnt(0)
	s_add_u32 s2, s4, s16
	s_addc_u32 s3, s5, s17
	v_cmp_lt_i64_e64 s4, s[8:9], 1
	s_load_b64 s[2:3], s[2:3], 0x0
	s_lshl_b32 s18, s13, 5
	s_lshl_b32 s19, s14, 5
	s_delay_alu instid0(VALU_DEP_1)
	s_and_b32 vcc_lo, exec_lo, s4
	s_cbranch_vccnz .LBB1550_3
; %bb.1:
	v_lshl_add_u32 v1, v5, 4, v4
	s_clause 0x1
	s_load_b64 s[4:5], s[0:1], 0x18
	s_load_b128 s[12:15], s[0:1], 0x28
	s_add_u32 s10, s10, s16
	s_addc_u32 s11, s11, s17
	v_lshl_add_u32 v11, v5, 6, 0x800
	v_and_b32_e32 v14, 31, v1
	v_lshrrev_b32_e32 v15, 3, v1
	v_lshrrev_b32_e32 v16, 5, v1
	s_load_b64 s[10:11], s[10:11], 0x0
	s_delay_alu instid0(VALU_DEP_3) | instskip(NEXT) | instid1(VALU_DEP_3)
	v_add_nc_u32_e32 v0, s18, v14
	v_add_nc_u32_e32 v2, s19, v15
	s_delay_alu instid0(VALU_DEP_2) | instskip(NEXT) | instid1(VALU_DEP_2)
	v_ashrrev_i32_e32 v1, 31, v0
	v_ashrrev_i32_e32 v3, 31, v2
	s_waitcnt lgkmcnt(0)
	s_delay_alu instid0(VALU_DEP_2) | instskip(SKIP_4) | instid1(VALU_DEP_1)
	v_mad_u64_u32 v[12:13], null, v16, s4, v[0:1]
	v_and_b32_e32 v7, 7, v4
	s_add_u32 s12, s12, s16
	s_addc_u32 s13, s13, s17
	s_load_b64 s[12:13], s[12:13], 0x0
	v_mad_u64_u32 v[0:1], null, v7, s14, v[2:3]
	s_delay_alu instid0(VALU_DEP_3) | instskip(SKIP_1) | instid1(VALU_DEP_2)
	v_mov_b32_e32 v2, v13
	v_mov_b32_e32 v6, 0
	v_mad_u64_u32 v[8:9], null, v16, s5, v[2:3]
	s_delay_alu instid0(VALU_DEP_4) | instskip(SKIP_2) | instid1(VALU_DEP_4)
	v_mad_u64_u32 v[2:3], null, v7, s15, v[1:2]
	v_lshlrev_b32_e32 v1, 3, v7
	v_dual_mov_b32 v7, 0 :: v_dual_lshlrev_b32 v10, 3, v4
	v_dual_mov_b32 v13, v8 :: v_dual_lshlrev_b32 v14, 3, v14
	s_delay_alu instid0(VALU_DEP_3) | instskip(SKIP_2) | instid1(VALU_DEP_4)
	v_lshl_or_b32 v15, v15, 6, v1
	v_dual_mov_b32 v1, v2 :: v_dual_mov_b32 v8, 0
	v_mov_b32_e32 v9, 0
	v_lshlrev_b64 v[2:3], 3, v[12:13]
	s_delay_alu instid0(VALU_DEP_4) | instskip(NEXT) | instid1(VALU_DEP_4)
	v_add_nc_u32_e32 v17, 0x800, v15
	v_lshlrev_b64 v[0:1], 3, v[0:1]
	s_lshl_b64 s[4:5], s[4:5], 6
	v_mov_b32_e32 v15, 0
	s_delay_alu instid0(VALU_DEP_4)
	v_add_co_u32 v2, vcc_lo, v2, s10
	v_add_co_ci_u32_e32 v3, vcc_lo, s11, v3, vcc_lo
	s_waitcnt lgkmcnt(0)
	v_add_co_u32 v12, vcc_lo, v0, s12
	v_add_co_ci_u32_e32 v13, vcc_lo, s13, v1, vcc_lo
	v_add_co_u32 v0, vcc_lo, v2, 4
	v_add_co_ci_u32_e32 v1, vcc_lo, 0, v3, vcc_lo
	s_delay_alu instid0(VALU_DEP_4) | instskip(NEXT) | instid1(VALU_DEP_4)
	v_add_co_u32 v2, vcc_lo, v12, 4
	v_add_co_ci_u32_e32 v3, vcc_lo, 0, v13, vcc_lo
	v_dual_mov_b32 v12, 0 :: v_dual_mov_b32 v13, 0
	v_lshl_or_b32 v14, v16, 8, v14
	v_mov_b32_e32 v16, 0
	s_lshl_b64 s[10:11], s[14:15], 6
	s_mov_b64 s[12:13], 0
.LBB1550_2:                             ; =>This Inner Loop Header: Depth=1
	global_load_b64 v[18:19], v[0:1], off offset:-4
	global_load_b64 v[20:21], v[2:3], off offset:-4
	s_add_u32 s12, s12, 8
	v_add_co_u32 v0, vcc_lo, v0, s4
	s_addc_u32 s13, s13, 0
	v_add_co_ci_u32_e32 v1, vcc_lo, s5, v1, vcc_lo
	v_cmp_ge_u64_e64 s14, s[12:13], s[8:9]
	v_add_co_u32 v2, vcc_lo, v2, s10
	v_add_co_ci_u32_e32 v3, vcc_lo, s11, v3, vcc_lo
	s_waitcnt vmcnt(1)
	ds_store_b64 v14, v[18:19]
	s_waitcnt vmcnt(0)
	ds_store_b64 v17, v[20:21]
	s_waitcnt lgkmcnt(0)
	s_barrier
	buffer_gl0_inv
	ds_load_2addr_b64 v[18:21], v10 offset1:16
	ds_load_b128 v[22:25], v11
	ds_load_b128 v[26:29], v11 offset:1024
	ds_load_b128 v[30:33], v11 offset:16
	;; [unrolled: 1-line block ×4, first 2 shown]
	ds_load_2addr_b64 v[42:45], v10 offset0:32 offset1:48
	ds_load_2addr_b64 v[46:49], v10 offset0:64 offset1:80
	ds_load_b128 v[50:53], v11 offset:1040
	ds_load_2addr_b64 v[54:57], v10 offset0:96 offset1:112
	ds_load_2addr_b64 v[58:61], v10 offset0:128 offset1:144
	ds_load_2addr_b64 v[62:65], v10 offset0:160 offset1:176
	ds_load_2addr_b64 v[66:69], v10 offset0:192 offset1:208
	ds_load_b128 v[70:73], v11 offset:1056
	ds_load_b128 v[74:77], v11 offset:1072
	ds_load_2addr_b64 v[78:81], v10 offset0:224 offset1:240
	s_and_b32 vcc_lo, exec_lo, s14
	s_waitcnt lgkmcnt(0)
	s_barrier
	buffer_gl0_inv
	v_dual_mul_f32 v82, v23, v19 :: v_dual_mul_f32 v85, v22, v21
	v_dual_mul_f32 v83, v22, v19 :: v_dual_mul_f32 v84, v23, v21
	v_mul_f32_e32 v86, v27, v19
	v_dual_mul_f32 v19, v26, v19 :: v_dual_mul_f32 v90, v25, v45
	v_dual_mul_f32 v87, v27, v21 :: v_dual_mul_f32 v88, v25, v43
	v_mul_f32_e32 v21, v26, v21
	v_mul_f32_e32 v89, v24, v43
	;; [unrolled: 1-line block ×3, first 2 shown]
	v_fma_f32 v82, v22, v18, -v82
	v_fmac_f32_e32 v83, v23, v18
	v_fma_f32 v22, v22, v20, -v84
	v_dual_fmac_f32 v85, v23, v20 :: v_dual_mul_f32 v84, v30, v47
	v_fma_f32 v23, v26, v18, -v86
	v_fmac_f32_e32 v19, v27, v18
	v_fma_f32 v18, v26, v20, -v87
	v_dual_mul_f32 v26, v28, v43 :: v_dual_fmac_f32 v21, v27, v20
	v_mul_f32_e32 v20, v29, v43
	v_mul_f32_e32 v27, v29, v45
	v_dual_mul_f32 v43, v28, v45 :: v_dual_fmac_f32 v84, v31, v46
	v_fma_f32 v45, v24, v42, -v88
	v_fma_f32 v24, v24, v44, -v90
	v_dual_fmac_f32 v91, v25, v44 :: v_dual_mul_f32 v90, v32, v57
	v_dual_mul_f32 v86, v31, v49 :: v_dual_fmac_f32 v89, v25, v42
	v_dual_mul_f32 v25, v31, v47 :: v_dual_mul_f32 v88, v33, v57
	v_fma_f32 v20, v28, v42, -v20
	v_fmac_f32_e32 v26, v29, v42
	v_fma_f32 v27, v28, v44, -v27
	v_dual_fmac_f32 v43, v29, v44 :: v_dual_mul_f32 v28, v51, v47
	v_dual_mul_f32 v29, v50, v47 :: v_dual_mul_f32 v42, v51, v49
	v_mul_f32_e32 v44, v50, v49
	v_mul_f32_e32 v87, v30, v49
	;; [unrolled: 1-line block ×3, first 2 shown]
	v_dual_mul_f32 v49, v32, v55 :: v_dual_fmac_f32 v90, v33, v56
	v_fma_f32 v25, v30, v46, -v25
	v_fma_f32 v30, v30, v48, -v86
	;; [unrolled: 1-line block ×3, first 2 shown]
	v_fmac_f32_e32 v44, v51, v48
	v_fmac_f32_e32 v87, v31, v48
	v_fma_f32 v31, v50, v48, -v42
	v_mul_f32_e32 v42, v53, v55
	v_mul_f32_e32 v48, v53, v57
	v_dual_mul_f32 v50, v52, v57 :: v_dual_fmac_f32 v29, v51, v46
	v_mul_f32_e32 v46, v52, v55
	v_fma_f32 v47, v32, v54, -v47
	v_fmac_f32_e32 v49, v33, v54
	v_fma_f32 v32, v32, v56, -v88
	s_delay_alu instid0(VALU_DEP_4)
	v_dual_mul_f32 v33, v35, v59 :: v_dual_fmac_f32 v46, v53, v54
	v_mul_f32_e32 v51, v34, v59
	v_mul_f32_e32 v55, v35, v61
	v_fma_f32 v42, v52, v54, -v42
	v_fma_f32 v48, v52, v56, -v48
	v_fmac_f32_e32 v50, v53, v56
	v_mul_f32_e32 v52, v71, v59
	v_dual_mul_f32 v53, v70, v59 :: v_dual_mul_f32 v86, v37, v65
	v_mul_f32_e32 v54, v71, v61
	v_dual_mul_f32 v56, v70, v61 :: v_dual_mul_f32 v59, v37, v63
	v_mul_f32_e32 v57, v34, v61
	v_mul_f32_e32 v61, v36, v63
	v_dual_mul_f32 v88, v36, v65 :: v_dual_fmac_f32 v51, v35, v58
	v_fma_f32 v33, v34, v58, -v33
	v_fmac_f32_e32 v53, v71, v58
	v_fmac_f32_e32 v56, v71, v60
	s_delay_alu instid0(VALU_DEP_4)
	v_fmac_f32_e32 v88, v37, v64
	v_fmac_f32_e32 v57, v35, v60
	v_fma_f32 v35, v70, v58, -v52
	v_fma_f32 v52, v70, v60, -v54
	v_mul_f32_e32 v54, v73, v63
	v_fma_f32 v34, v34, v60, -v55
	v_mul_f32_e32 v60, v72, v65
	v_dual_mul_f32 v55, v72, v63 :: v_dual_mul_f32 v70, v38, v69
	v_mul_f32_e32 v58, v73, v65
	v_fma_f32 v59, v36, v62, -v59
	v_fmac_f32_e32 v61, v37, v62
	v_fma_f32 v36, v36, v64, -v86
	v_dual_mul_f32 v37, v39, v67 :: v_dual_fmac_f32 v60, v73, v64
	v_dual_mul_f32 v63, v38, v67 :: v_dual_mul_f32 v86, v40, v81
	v_mul_f32_e32 v65, v39, v69
	v_fma_f32 v54, v72, v62, -v54
	v_fmac_f32_e32 v55, v73, v62
	v_fma_f32 v58, v72, v64, -v58
	v_mul_f32_e32 v72, v40, v79
	v_mul_f32_e32 v62, v75, v67
	v_dual_mul_f32 v64, v74, v67 :: v_dual_mul_f32 v67, v75, v69
	v_dual_mul_f32 v69, v74, v69 :: v_dual_fmac_f32 v70, v39, v68
	s_delay_alu instid0(VALU_DEP_2)
	v_dual_mul_f32 v71, v41, v79 :: v_dual_fmac_f32 v64, v75, v66
	v_fma_f32 v37, v38, v66, -v37
	v_fmac_f32_e32 v63, v39, v66
	v_fma_f32 v38, v38, v68, -v65
	v_fma_f32 v39, v74, v66, -v62
	v_dual_fmac_f32 v69, v75, v68 :: v_dual_fmac_f32 v72, v41, v78
	v_mul_f32_e32 v66, v76, v79
	v_fma_f32 v62, v74, v68, -v67
	v_mul_f32_e32 v68, v76, v81
	v_dual_mul_f32 v73, v41, v81 :: v_dual_add_f32 v16, v16, v83
	v_dual_mul_f32 v65, v77, v79 :: v_dual_add_f32 v12, v12, v85
	;; [unrolled: 1-line block ×3, first 2 shown]
	v_dual_fmac_f32 v86, v41, v80 :: v_dual_add_f32 v15, v15, v82
	v_dual_fmac_f32 v68, v77, v80 :: v_dual_add_f32 v7, v7, v18
	v_dual_add_f32 v13, v13, v22 :: v_dual_add_f32 v6, v6, v21
	v_dual_add_f32 v9, v9, v23 :: v_dual_add_f32 v16, v16, v89
	s_delay_alu instid0(VALU_DEP_4) | instskip(NEXT) | instid1(VALU_DEP_3)
	v_dual_fmac_f32 v66, v77, v78 :: v_dual_add_f32 v15, v15, v45
	v_dual_add_f32 v13, v13, v24 :: v_dual_add_f32 v12, v12, v91
	s_delay_alu instid0(VALU_DEP_3) | instskip(NEXT) | instid1(VALU_DEP_4)
	v_dual_add_f32 v9, v9, v20 :: v_dual_add_f32 v8, v8, v26
	v_dual_add_f32 v7, v7, v27 :: v_dual_add_f32 v16, v16, v84
	s_delay_alu instid0(VALU_DEP_4) | instskip(NEXT) | instid1(VALU_DEP_4)
	v_dual_add_f32 v6, v6, v43 :: v_dual_add_f32 v15, v15, v25
	v_dual_add_f32 v13, v13, v30 :: v_dual_add_f32 v12, v12, v87
	s_delay_alu instid0(VALU_DEP_4) | instskip(NEXT) | instid1(VALU_DEP_3)
	v_dual_add_f32 v9, v9, v28 :: v_dual_add_f32 v8, v8, v29
	v_dual_add_f32 v7, v7, v31 :: v_dual_add_f32 v6, v6, v44
	s_delay_alu instid0(VALU_DEP_4) | instskip(NEXT) | instid1(VALU_DEP_4)
	v_dual_add_f32 v15, v15, v47 :: v_dual_add_f32 v16, v16, v49
	v_dual_add_f32 v13, v13, v32 :: v_dual_add_f32 v12, v12, v90
	s_delay_alu instid0(VALU_DEP_4) | instskip(NEXT) | instid1(VALU_DEP_4)
	v_add_f32_e32 v9, v9, v42
	v_dual_add_f32 v8, v8, v46 :: v_dual_add_f32 v7, v7, v48
	s_delay_alu instid0(VALU_DEP_4) | instskip(NEXT) | instid1(VALU_DEP_4)
	v_dual_add_f32 v6, v6, v50 :: v_dual_add_f32 v15, v15, v33
	v_dual_add_f32 v16, v16, v51 :: v_dual_add_f32 v13, v13, v34
	s_delay_alu instid0(VALU_DEP_4) | instskip(NEXT) | instid1(VALU_DEP_4)
	v_dual_add_f32 v12, v12, v57 :: v_dual_add_f32 v9, v9, v35
	v_dual_add_f32 v8, v8, v53 :: v_dual_add_f32 v7, v7, v52
	s_delay_alu instid0(VALU_DEP_3) | instskip(SKIP_1) | instid1(VALU_DEP_3)
	v_add_f32_e32 v16, v16, v61
	v_dual_add_f32 v6, v6, v56 :: v_dual_add_f32 v15, v15, v59
	v_dual_add_f32 v13, v13, v36 :: v_dual_add_f32 v8, v8, v55
	v_dual_add_f32 v12, v12, v88 :: v_dual_add_f32 v9, v9, v54
	s_delay_alu instid0(VALU_DEP_3)
	v_dual_add_f32 v7, v7, v58 :: v_dual_add_f32 v6, v6, v60
	v_fma_f32 v71, v40, v78, -v71
	v_fma_f32 v40, v40, v80, -v73
	;; [unrolled: 1-line block ×4, first 2 shown]
	v_dual_add_f32 v15, v15, v37 :: v_dual_add_f32 v16, v16, v63
	v_dual_add_f32 v13, v13, v38 :: v_dual_add_f32 v8, v8, v64
	;; [unrolled: 1-line block ×4, first 2 shown]
	s_delay_alu instid0(VALU_DEP_4) | instskip(NEXT) | instid1(VALU_DEP_3)
	v_dual_add_f32 v15, v15, v71 :: v_dual_add_f32 v16, v16, v72
	v_dual_add_f32 v13, v13, v40 :: v_dual_add_f32 v12, v12, v86
	s_delay_alu instid0(VALU_DEP_4) | instskip(NEXT) | instid1(VALU_DEP_4)
	v_dual_add_f32 v9, v9, v41 :: v_dual_add_f32 v8, v8, v66
	v_dual_add_f32 v7, v7, v65 :: v_dual_add_f32 v6, v6, v68
	s_cbranch_vccz .LBB1550_2
.LBB1550_3:
	v_add_nc_u32_e32 v5, s19, v5
	s_load_b32 s4, s[0:1], 0x0
	s_delay_alu instid0(VALU_DEP_1) | instskip(SKIP_2) | instid1(VALU_DEP_3)
	v_ashrrev_i32_e32 v0, 31, v5
	v_mul_lo_u32 v3, v5, s7
	v_mad_u64_u32 v[1:2], null, v5, s6, 0
	v_mul_lo_u32 v0, v0, s6
	s_delay_alu instid0(VALU_DEP_1) | instskip(SKIP_1) | instid1(VALU_DEP_2)
	v_add3_u32 v2, v2, v3, v0
	v_add_nc_u32_e32 v0, s18, v4
	v_lshlrev_b64 v[1:2], 3, v[1:2]
	s_delay_alu instid0(VALU_DEP_2) | instskip(SKIP_2) | instid1(VALU_DEP_3)
	v_cmp_le_i32_e64 s0, v5, v0
	s_waitcnt lgkmcnt(0)
	v_cmp_gt_i32_e32 vcc_lo, s4, v0
	v_add_co_u32 v4, s1, s2, v1
	s_delay_alu instid0(VALU_DEP_1) | instskip(SKIP_1) | instid1(SALU_CYCLE_1)
	v_add_co_ci_u32_e64 v10, s1, s3, v2, s1
	s_and_b32 s0, s0, vcc_lo
	s_and_saveexec_b32 s1, s0
	s_cbranch_execz .LBB1550_5
; %bb.4:
	v_ashrrev_i32_e32 v1, 31, v0
	s_delay_alu instid0(VALU_DEP_1) | instskip(NEXT) | instid1(VALU_DEP_1)
	v_lshlrev_b64 v[1:2], 3, v[0:1]
	v_add_co_u32 v1, s0, v4, v1
	s_delay_alu instid0(VALU_DEP_1)
	v_add_co_ci_u32_e64 v2, s0, v10, v2, s0
	global_load_b64 v[17:18], v[1:2], off
	s_waitcnt vmcnt(0)
	v_dual_sub_f32 v14, v15, v17 :: v_dual_sub_f32 v15, v16, v18
	global_store_b64 v[1:2], v[14:15], off
.LBB1550_5:
	s_or_b32 exec_lo, exec_lo, s1
	v_add_nc_u32_e32 v2, 16, v0
	s_delay_alu instid0(VALU_DEP_1) | instskip(SKIP_1) | instid1(VALU_DEP_1)
	v_cmp_le_i32_e64 s1, v5, v2
	v_cmp_gt_i32_e64 s0, s4, v2
	s_and_b32 s1, s1, s0
	s_delay_alu instid0(SALU_CYCLE_1)
	s_and_saveexec_b32 s4, s1
	s_cbranch_execz .LBB1550_7
; %bb.6:
	v_ashrrev_i32_e32 v3, 31, v2
	s_delay_alu instid0(VALU_DEP_1) | instskip(NEXT) | instid1(VALU_DEP_1)
	v_lshlrev_b64 v[14:15], 3, v[2:3]
	v_add_co_u32 v3, s1, v4, v14
	s_delay_alu instid0(VALU_DEP_1)
	v_add_co_ci_u32_e64 v4, s1, v10, v15, s1
	global_load_b64 v[10:11], v[3:4], off
	s_waitcnt vmcnt(0)
	v_dual_sub_f32 v10, v13, v10 :: v_dual_sub_f32 v11, v12, v11
	global_store_b64 v[3:4], v[10:11], off
.LBB1550_7:
	s_or_b32 exec_lo, exec_lo, s4
	v_add_nc_u32_e32 v3, 16, v5
	s_delay_alu instid0(VALU_DEP_1) | instskip(SKIP_3) | instid1(VALU_DEP_4)
	v_ashrrev_i32_e32 v1, 31, v3
	v_mul_lo_u32 v10, v3, s7
	v_mad_u64_u32 v[4:5], null, v3, s6, 0
	v_cmp_le_i32_e64 s1, v3, v0
	v_mul_lo_u32 v1, v1, s6
	s_delay_alu instid0(VALU_DEP_1) | instskip(NEXT) | instid1(VALU_DEP_1)
	v_add3_u32 v5, v5, v10, v1
	v_lshlrev_b64 v[4:5], 3, v[4:5]
	s_delay_alu instid0(VALU_DEP_1) | instskip(NEXT) | instid1(VALU_DEP_1)
	v_add_co_u32 v4, s2, s2, v4
	v_add_co_ci_u32_e64 v5, s2, s3, v5, s2
	s_and_b32 s2, s1, vcc_lo
	s_delay_alu instid0(SALU_CYCLE_1)
	s_and_saveexec_b32 s1, s2
	s_cbranch_execz .LBB1550_9
; %bb.8:
	v_ashrrev_i32_e32 v1, 31, v0
	s_delay_alu instid0(VALU_DEP_1) | instskip(NEXT) | instid1(VALU_DEP_1)
	v_lshlrev_b64 v[0:1], 3, v[0:1]
	v_add_co_u32 v0, vcc_lo, v4, v0
	s_delay_alu instid0(VALU_DEP_2)
	v_add_co_ci_u32_e32 v1, vcc_lo, v5, v1, vcc_lo
	global_load_b64 v[10:11], v[0:1], off
	s_waitcnt vmcnt(0)
	v_dual_sub_f32 v9, v9, v10 :: v_dual_sub_f32 v10, v8, v11
	global_store_b64 v[0:1], v[9:10], off
.LBB1550_9:
	s_or_b32 exec_lo, exec_lo, s1
	v_cmp_le_i32_e32 vcc_lo, v3, v2
	s_and_b32 s0, vcc_lo, s0
	s_delay_alu instid0(SALU_CYCLE_1)
	s_and_saveexec_b32 s1, s0
	s_cbranch_execz .LBB1550_11
; %bb.10:
	v_ashrrev_i32_e32 v3, 31, v2
	s_delay_alu instid0(VALU_DEP_1) | instskip(NEXT) | instid1(VALU_DEP_1)
	v_lshlrev_b64 v[0:1], 3, v[2:3]
	v_add_co_u32 v0, vcc_lo, v4, v0
	s_delay_alu instid0(VALU_DEP_2)
	v_add_co_ci_u32_e32 v1, vcc_lo, v5, v1, vcc_lo
	global_load_b64 v[2:3], v[0:1], off
	s_waitcnt vmcnt(0)
	v_dual_sub_f32 v2, v7, v2 :: v_dual_sub_f32 v3, v6, v3
	global_store_b64 v[0:1], v[2:3], off
.LBB1550_11:
	s_nop 0
	s_sendmsg sendmsg(MSG_DEALLOC_VGPRS)
	s_endpgm
	.section	.rodata,"a",@progbits
	.p2align	6, 0x0
	.amdhsa_kernel _ZL37rocblas_syrkx_herkx_restricted_kernelIl19rocblas_complex_numIfELi16ELi32ELi8ELi1ELin1ELb0ELc78ELc76EKPKS1_KPS1_EviT_PT9_S7_lS9_S7_lPT10_S7_li
		.amdhsa_group_segment_fixed_size 4096
		.amdhsa_private_segment_fixed_size 0
		.amdhsa_kernarg_size 92
		.amdhsa_user_sgpr_count 13
		.amdhsa_user_sgpr_dispatch_ptr 0
		.amdhsa_user_sgpr_queue_ptr 0
		.amdhsa_user_sgpr_kernarg_segment_ptr 1
		.amdhsa_user_sgpr_dispatch_id 0
		.amdhsa_user_sgpr_private_segment_size 0
		.amdhsa_wavefront_size32 1
		.amdhsa_uses_dynamic_stack 0
		.amdhsa_enable_private_segment 0
		.amdhsa_system_sgpr_workgroup_id_x 1
		.amdhsa_system_sgpr_workgroup_id_y 1
		.amdhsa_system_sgpr_workgroup_id_z 1
		.amdhsa_system_sgpr_workgroup_info 0
		.amdhsa_system_vgpr_workitem_id 1
		.amdhsa_next_free_vgpr 92
		.amdhsa_next_free_sgpr 20
		.amdhsa_reserve_vcc 1
		.amdhsa_float_round_mode_32 0
		.amdhsa_float_round_mode_16_64 0
		.amdhsa_float_denorm_mode_32 3
		.amdhsa_float_denorm_mode_16_64 3
		.amdhsa_dx10_clamp 1
		.amdhsa_ieee_mode 1
		.amdhsa_fp16_overflow 0
		.amdhsa_workgroup_processor_mode 1
		.amdhsa_memory_ordered 1
		.amdhsa_forward_progress 0
		.amdhsa_shared_vgpr_count 0
		.amdhsa_exception_fp_ieee_invalid_op 0
		.amdhsa_exception_fp_denorm_src 0
		.amdhsa_exception_fp_ieee_div_zero 0
		.amdhsa_exception_fp_ieee_overflow 0
		.amdhsa_exception_fp_ieee_underflow 0
		.amdhsa_exception_fp_ieee_inexact 0
		.amdhsa_exception_int_div_zero 0
	.end_amdhsa_kernel
	.section	.text._ZL37rocblas_syrkx_herkx_restricted_kernelIl19rocblas_complex_numIfELi16ELi32ELi8ELi1ELin1ELb0ELc78ELc76EKPKS1_KPS1_EviT_PT9_S7_lS9_S7_lPT10_S7_li,"axG",@progbits,_ZL37rocblas_syrkx_herkx_restricted_kernelIl19rocblas_complex_numIfELi16ELi32ELi8ELi1ELin1ELb0ELc78ELc76EKPKS1_KPS1_EviT_PT9_S7_lS9_S7_lPT10_S7_li,comdat
.Lfunc_end1550:
	.size	_ZL37rocblas_syrkx_herkx_restricted_kernelIl19rocblas_complex_numIfELi16ELi32ELi8ELi1ELin1ELb0ELc78ELc76EKPKS1_KPS1_EviT_PT9_S7_lS9_S7_lPT10_S7_li, .Lfunc_end1550-_ZL37rocblas_syrkx_herkx_restricted_kernelIl19rocblas_complex_numIfELi16ELi32ELi8ELi1ELin1ELb0ELc78ELc76EKPKS1_KPS1_EviT_PT9_S7_lS9_S7_lPT10_S7_li
                                        ; -- End function
	.section	.AMDGPU.csdata,"",@progbits
; Kernel info:
; codeLenInByte = 2220
; NumSgprs: 22
; NumVgprs: 92
; ScratchSize: 0
; MemoryBound: 0
; FloatMode: 240
; IeeeMode: 1
; LDSByteSize: 4096 bytes/workgroup (compile time only)
; SGPRBlocks: 2
; VGPRBlocks: 11
; NumSGPRsForWavesPerEU: 22
; NumVGPRsForWavesPerEU: 92
; Occupancy: 16
; WaveLimiterHint : 1
; COMPUTE_PGM_RSRC2:SCRATCH_EN: 0
; COMPUTE_PGM_RSRC2:USER_SGPR: 13
; COMPUTE_PGM_RSRC2:TRAP_HANDLER: 0
; COMPUTE_PGM_RSRC2:TGID_X_EN: 1
; COMPUTE_PGM_RSRC2:TGID_Y_EN: 1
; COMPUTE_PGM_RSRC2:TGID_Z_EN: 1
; COMPUTE_PGM_RSRC2:TIDIG_COMP_CNT: 1
	.section	.text._ZL37rocblas_syrkx_herkx_restricted_kernelIl19rocblas_complex_numIfELi16ELi32ELi8ELi1ELin1ELb0ELc84ELc85EKPKS1_KPS1_EviT_PT9_S7_lS9_S7_lPT10_S7_li,"axG",@progbits,_ZL37rocblas_syrkx_herkx_restricted_kernelIl19rocblas_complex_numIfELi16ELi32ELi8ELi1ELin1ELb0ELc84ELc85EKPKS1_KPS1_EviT_PT9_S7_lS9_S7_lPT10_S7_li,comdat
	.globl	_ZL37rocblas_syrkx_herkx_restricted_kernelIl19rocblas_complex_numIfELi16ELi32ELi8ELi1ELin1ELb0ELc84ELc85EKPKS1_KPS1_EviT_PT9_S7_lS9_S7_lPT10_S7_li ; -- Begin function _ZL37rocblas_syrkx_herkx_restricted_kernelIl19rocblas_complex_numIfELi16ELi32ELi8ELi1ELin1ELb0ELc84ELc85EKPKS1_KPS1_EviT_PT9_S7_lS9_S7_lPT10_S7_li
	.p2align	8
	.type	_ZL37rocblas_syrkx_herkx_restricted_kernelIl19rocblas_complex_numIfELi16ELi32ELi8ELi1ELin1ELb0ELc84ELc85EKPKS1_KPS1_EviT_PT9_S7_lS9_S7_lPT10_S7_li,@function
_ZL37rocblas_syrkx_herkx_restricted_kernelIl19rocblas_complex_numIfELi16ELi32ELi8ELi1ELin1ELb0ELc84ELc85EKPKS1_KPS1_EviT_PT9_S7_lS9_S7_lPT10_S7_li: ; @_ZL37rocblas_syrkx_herkx_restricted_kernelIl19rocblas_complex_numIfELi16ELi32ELi8ELi1ELin1ELb0ELc84ELc85EKPKS1_KPS1_EviT_PT9_S7_lS9_S7_lPT10_S7_li
; %bb.0:
	s_clause 0x1
	s_load_b128 s[4:7], s[0:1], 0x40
	s_load_b128 s[8:11], s[0:1], 0x8
	s_mov_b32 s2, s15
	s_mov_b32 s3, 0
	v_dual_mov_b32 v17, 0 :: v_dual_and_b32 v6, 0x3ff, v0
	s_lshl_b64 s[16:17], s[2:3], 3
	v_bfe_u32 v7, v0, 10, 10
	v_dual_mov_b32 v16, 0 :: v_dual_mov_b32 v11, 0
	v_dual_mov_b32 v10, 0 :: v_dual_mov_b32 v9, 0
	;; [unrolled: 1-line block ×3, first 2 shown]
	v_mov_b32_e32 v0, 0
	s_waitcnt lgkmcnt(0)
	s_add_u32 s2, s4, s16
	s_addc_u32 s3, s5, s17
	v_cmp_lt_i64_e64 s4, s[8:9], 1
	s_load_b64 s[2:3], s[2:3], 0x0
	s_lshl_b32 s18, s13, 5
	s_lshl_b32 s19, s14, 5
	s_delay_alu instid0(VALU_DEP_1)
	s_and_b32 vcc_lo, exec_lo, s4
	s_cbranch_vccnz .LBB1551_3
; %bb.1:
	s_clause 0x1
	s_load_b128 s[12:15], s[0:1], 0x28
	s_load_b64 s[4:5], s[0:1], 0x18
	v_lshl_add_u32 v2, v7, 4, v6
	v_dual_mov_b32 v1, 0 :: v_dual_and_b32 v0, 7, v6
	s_add_u32 s10, s10, s16
	s_addc_u32 s11, s11, s17
	s_delay_alu instid0(VALU_DEP_2)
	v_lshrrev_b32_e32 v10, 3, v2
	v_and_b32_e32 v11, 31, v2
	v_lshrrev_b32_e32 v2, 5, v2
	v_mov_b32_e32 v3, v1
	s_load_b64 s[10:11], s[10:11], 0x0
	v_add_nc_u32_e32 v12, s19, v10
	v_add_nc_u32_e32 v8, s18, v11
	v_dual_mov_b32 v16, v1 :: v_dual_lshlrev_b32 v11, 3, v11
	v_mov_b32_e32 v17, v1
	s_delay_alu instid0(VALU_DEP_4) | instskip(NEXT) | instid1(VALU_DEP_4)
	v_ashrrev_i32_e32 v4, 31, v12
	v_ashrrev_i32_e32 v5, 31, v8
	s_waitcnt lgkmcnt(0)
	s_add_u32 s12, s12, s16
	s_addc_u32 s13, s13, s17
	v_mul_lo_u32 v13, v4, s14
	v_mul_lo_u32 v14, s4, v5
	v_mad_u64_u32 v[4:5], null, s4, v8, v[2:3]
	v_mul_lo_u32 v3, s5, v8
	s_load_b64 s[4:5], s[12:13], 0x0
	v_mul_lo_u32 v15, v12, s15
	v_mad_u64_u32 v[8:9], null, v12, s14, v[0:1]
	v_lshlrev_b32_e32 v0, 3, v0
	v_lshlrev_b32_e32 v12, 3, v6
	v_add3_u32 v5, v3, v5, v14
	v_lshl_or_b32 v14, v2, 8, v11
	v_mov_b32_e32 v11, v1
	v_add3_u32 v9, v13, v9, v15
	v_lshl_or_b32 v0, v10, 6, v0
	v_lshlrev_b64 v[3:4], 3, v[4:5]
	v_lshl_add_u32 v13, v7, 6, 0x800
	v_mov_b32_e32 v10, v1
	v_lshlrev_b64 v[8:9], 3, v[8:9]
	v_add_nc_u32_e32 v15, 0x800, v0
	v_add_co_u32 v0, vcc_lo, v3, s10
	v_add_co_ci_u32_e32 v3, vcc_lo, s11, v4, vcc_lo
	s_waitcnt lgkmcnt(0)
	s_delay_alu instid0(VALU_DEP_4) | instskip(SKIP_3) | instid1(VALU_DEP_4)
	v_add_co_u32 v4, vcc_lo, v8, s4
	v_add_co_ci_u32_e32 v5, vcc_lo, s5, v9, vcc_lo
	v_add_co_u32 v2, vcc_lo, v0, 4
	v_add_co_ci_u32_e32 v3, vcc_lo, 0, v3, vcc_lo
	v_add_co_u32 v4, vcc_lo, v4, 4
	s_delay_alu instid0(VALU_DEP_4)
	v_add_co_ci_u32_e32 v5, vcc_lo, 0, v5, vcc_lo
	v_mov_b32_e32 v0, v1
	v_mov_b32_e32 v8, v1
	v_mov_b32_e32 v9, v1
	s_mov_b64 s[4:5], 0
.LBB1551_2:                             ; =>This Inner Loop Header: Depth=1
	global_load_b64 v[18:19], v[2:3], off offset:-4
	global_load_b64 v[20:21], v[4:5], off offset:-4
	s_add_u32 s4, s4, 8
	v_add_co_u32 v2, vcc_lo, v2, 64
	s_addc_u32 s5, s5, 0
	v_add_co_ci_u32_e32 v3, vcc_lo, 0, v3, vcc_lo
	v_cmp_ge_u64_e64 s10, s[4:5], s[8:9]
	v_add_co_u32 v4, vcc_lo, v4, 64
	v_add_co_ci_u32_e32 v5, vcc_lo, 0, v5, vcc_lo
	s_waitcnt vmcnt(1)
	ds_store_b64 v14, v[18:19]
	s_waitcnt vmcnt(0)
	ds_store_b64 v15, v[20:21]
	s_waitcnt lgkmcnt(0)
	s_barrier
	buffer_gl0_inv
	ds_load_2addr_b64 v[18:21], v12 offset1:16
	ds_load_b128 v[22:25], v13
	ds_load_b128 v[26:29], v13 offset:1024
	ds_load_b128 v[30:33], v13 offset:16
	;; [unrolled: 1-line block ×4, first 2 shown]
	ds_load_2addr_b64 v[42:45], v12 offset0:32 offset1:48
	ds_load_2addr_b64 v[46:49], v12 offset0:64 offset1:80
	ds_load_b128 v[50:53], v13 offset:1040
	ds_load_2addr_b64 v[54:57], v12 offset0:96 offset1:112
	ds_load_2addr_b64 v[58:61], v12 offset0:128 offset1:144
	;; [unrolled: 1-line block ×4, first 2 shown]
	ds_load_b128 v[70:73], v13 offset:1056
	ds_load_b128 v[74:77], v13 offset:1072
	ds_load_2addr_b64 v[78:81], v12 offset0:224 offset1:240
	s_and_b32 vcc_lo, exec_lo, s10
	s_waitcnt lgkmcnt(0)
	s_barrier
	buffer_gl0_inv
	v_dual_mul_f32 v82, v23, v19 :: v_dual_mul_f32 v85, v22, v21
	v_dual_mul_f32 v83, v22, v19 :: v_dual_mul_f32 v84, v23, v21
	v_mul_f32_e32 v86, v27, v19
	v_dual_mul_f32 v19, v26, v19 :: v_dual_mul_f32 v90, v25, v45
	v_dual_mul_f32 v87, v27, v21 :: v_dual_mul_f32 v88, v25, v43
	v_mul_f32_e32 v21, v26, v21
	v_fma_f32 v82, v22, v18, -v82
	v_fmac_f32_e32 v83, v23, v18
	v_fma_f32 v22, v22, v20, -v84
	v_fmac_f32_e32 v85, v23, v20
	v_fma_f32 v23, v26, v18, -v86
	v_dual_fmac_f32 v19, v27, v18 :: v_dual_mul_f32 v86, v30, v47
	v_fma_f32 v18, v26, v20, -v87
	v_dual_fmac_f32 v21, v27, v20 :: v_dual_mul_f32 v20, v24, v45
	v_mul_f32_e32 v89, v24, v43
	v_mul_f32_e32 v26, v29, v43
	;; [unrolled: 1-line block ×4, first 2 shown]
	v_fmac_f32_e32 v20, v25, v44
	v_fmac_f32_e32 v89, v25, v42
	v_dual_mul_f32 v25, v28, v45 :: v_dual_fmac_f32 v86, v31, v46
	v_fma_f32 v84, v24, v42, -v88
	v_fma_f32 v24, v24, v44, -v90
	v_dual_mul_f32 v45, v31, v47 :: v_dual_mul_f32 v90, v33, v57
	v_fma_f32 v26, v28, v42, -v26
	v_fma_f32 v28, v28, v44, -v43
	v_fmac_f32_e32 v25, v29, v44
	v_dual_mul_f32 v43, v50, v47 :: v_dual_mul_f32 v44, v51, v49
	v_dual_fmac_f32 v27, v29, v42 :: v_dual_mul_f32 v42, v51, v47
	v_dual_mul_f32 v88, v32, v55 :: v_dual_mul_f32 v29, v30, v49
	v_mul_f32_e32 v87, v31, v49
	v_fma_f32 v45, v30, v46, -v45
	v_add_f32_e32 v10, v10, v85
	s_delay_alu instid0(VALU_DEP_4)
	v_dual_fmac_f32 v88, v33, v54 :: v_dual_fmac_f32 v29, v31, v48
	v_fma_f32 v31, v50, v46, -v42
	v_fma_f32 v42, v50, v48, -v44
	v_mul_f32_e32 v44, v32, v57
	v_mul_f32_e32 v47, v50, v49
	v_dual_mul_f32 v50, v53, v57 :: v_dual_fmac_f32 v43, v51, v46
	v_mul_f32_e32 v46, v53, v55
	v_mul_f32_e32 v49, v33, v55
	v_fma_f32 v30, v30, v48, -v87
	v_fmac_f32_e32 v44, v33, v56
	v_dual_fmac_f32 v47, v51, v48 :: v_dual_mul_f32 v48, v52, v55
	v_mul_f32_e32 v33, v52, v57
	v_fma_f32 v46, v52, v54, -v46
	v_fma_f32 v50, v52, v56, -v50
	v_mul_f32_e32 v52, v34, v61
	v_fma_f32 v49, v32, v54, -v49
	v_fma_f32 v32, v32, v56, -v90
	v_dual_mul_f32 v51, v35, v59 :: v_dual_fmac_f32 v48, v53, v54
	v_mul_f32_e32 v54, v70, v59
	v_dual_mul_f32 v55, v34, v59 :: v_dual_fmac_f32 v52, v35, v60
	v_fmac_f32_e32 v33, v53, v56
	v_mul_f32_e32 v53, v71, v59
	v_mul_f32_e32 v56, v71, v61
	v_mul_f32_e32 v57, v35, v61
	v_fmac_f32_e32 v54, v71, v58
	v_fmac_f32_e32 v55, v35, v58
	v_fma_f32 v35, v70, v58, -v53
	v_fma_f32 v53, v70, v60, -v56
	v_mul_f32_e32 v56, v36, v65
	v_mul_f32_e32 v59, v70, v61
	v_fma_f32 v51, v34, v58, -v51
	v_mul_f32_e32 v58, v72, v63
	v_mul_f32_e32 v87, v36, v63
	;; [unrolled: 1-line block ×4, first 2 shown]
	v_fma_f32 v34, v34, v60, -v57
	v_mul_f32_e32 v57, v73, v63
	v_fmac_f32_e32 v56, v37, v64
	v_dual_fmac_f32 v59, v71, v60 :: v_dual_mul_f32 v60, v73, v65
	v_mul_f32_e32 v63, v39, v67
	v_mul_f32_e32 v70, v39, v69
	v_fmac_f32_e32 v58, v73, v62
	v_fmac_f32_e32 v87, v37, v62
	v_mul_f32_e32 v37, v72, v65
	v_fma_f32 v61, v36, v62, -v61
	v_fma_f32 v36, v36, v64, -v90
	v_mul_f32_e32 v65, v38, v67
	v_fma_f32 v57, v72, v62, -v57
	v_fma_f32 v60, v72, v64, -v60
	v_dual_fmac_f32 v37, v73, v64 :: v_dual_mul_f32 v62, v38, v69
	v_mul_f32_e32 v64, v75, v67
	v_mul_f32_e32 v73, v40, v79
	v_fma_f32 v63, v38, v66, -v63
	v_fma_f32 v38, v38, v68, -v70
	v_mul_f32_e32 v70, v76, v79
	v_mul_f32_e32 v67, v74, v67
	v_dual_mul_f32 v71, v75, v69 :: v_dual_add_f32 v16, v16, v82
	v_dual_mul_f32 v69, v74, v69 :: v_dual_add_f32 v8, v8, v19
	v_fmac_f32_e32 v65, v39, v66
	v_fmac_f32_e32 v62, v39, v68
	s_delay_alu instid0(VALU_DEP_4)
	v_add_f32_e32 v16, v16, v84
	v_fma_f32 v39, v74, v66, -v64
	v_fmac_f32_e32 v70, v77, v78
	v_dual_fmac_f32 v67, v75, v66 :: v_dual_add_f32 v10, v10, v20
	v_mul_f32_e32 v66, v40, v81
	v_mul_f32_e32 v72, v41, v79
	v_mul_f32_e32 v90, v41, v81
	v_fma_f32 v64, v74, v68, -v71
	v_dual_fmac_f32 v69, v75, v68 :: v_dual_add_f32 v0, v0, v18
	v_dual_mul_f32 v71, v77, v81 :: v_dual_add_f32 v8, v8, v27
	v_fmac_f32_e32 v73, v41, v78
	v_fmac_f32_e32 v66, v41, v80
	s_delay_alu instid0(VALU_DEP_4) | instskip(SKIP_3) | instid1(VALU_DEP_4)
	v_dual_add_f32 v0, v0, v28 :: v_dual_add_f32 v17, v17, v83
	v_add_f32_e32 v10, v10, v29
	v_mul_f32_e32 v41, v76, v81
	v_dual_add_f32 v11, v11, v22 :: v_dual_add_f32 v8, v8, v43
	v_dual_add_f32 v9, v9, v23 :: v_dual_add_f32 v0, v0, v42
	v_add_f32_e32 v1, v1, v21
	v_add_f32_e32 v16, v16, v45
	s_delay_alu instid0(VALU_DEP_4)
	v_add_f32_e32 v8, v8, v48
	v_add_f32_e32 v10, v10, v44
	v_fmac_f32_e32 v41, v77, v80
	v_dual_add_f32 v17, v17, v89 :: v_dual_add_f32 v0, v0, v50
	v_dual_add_f32 v11, v11, v24 :: v_dual_add_f32 v16, v16, v49
	v_add_f32_e32 v9, v9, v26
	v_dual_add_f32 v1, v1, v25 :: v_dual_add_f32 v10, v10, v52
	s_delay_alu instid0(VALU_DEP_4) | instskip(NEXT) | instid1(VALU_DEP_4)
	v_dual_add_f32 v17, v17, v86 :: v_dual_add_f32 v0, v0, v53
	v_dual_add_f32 v16, v16, v51 :: v_dual_add_f32 v11, v11, v30
	s_delay_alu instid0(VALU_DEP_4) | instskip(NEXT) | instid1(VALU_DEP_4)
	v_dual_add_f32 v9, v9, v31 :: v_dual_add_f32 v8, v8, v54
	v_dual_add_f32 v1, v1, v47 :: v_dual_add_f32 v10, v10, v56
	s_delay_alu instid0(VALU_DEP_4) | instskip(NEXT) | instid1(VALU_DEP_3)
	v_add_f32_e32 v17, v17, v88
	v_dual_add_f32 v9, v9, v46 :: v_dual_add_f32 v0, v0, v60
	s_delay_alu instid0(VALU_DEP_3) | instskip(SKIP_2) | instid1(VALU_DEP_3)
	v_dual_add_f32 v1, v1, v33 :: v_dual_add_f32 v10, v10, v62
	v_dual_add_f32 v16, v16, v61 :: v_dual_add_f32 v11, v11, v32
	v_fma_f32 v72, v40, v78, -v72
	v_dual_add_f32 v1, v1, v59 :: v_dual_add_f32 v10, v10, v66
	v_dual_add_f32 v8, v8, v58 :: v_dual_add_f32 v17, v17, v55
	v_add_f32_e32 v0, v0, v64
	v_dual_add_f32 v16, v16, v63 :: v_dual_add_f32 v11, v11, v34
	s_delay_alu instid0(VALU_DEP_3) | instskip(SKIP_2) | instid1(VALU_DEP_4)
	v_add_f32_e32 v8, v8, v67
	v_add_f32_e32 v9, v9, v35
	v_mul_f32_e32 v68, v77, v79
	v_add_f32_e32 v16, v16, v72
	v_fma_f32 v71, v76, v80, -v71
	v_dual_add_f32 v17, v17, v87 :: v_dual_add_f32 v8, v8, v70
	v_add_f32_e32 v11, v11, v36
	s_delay_alu instid0(VALU_DEP_3)
	v_dual_add_f32 v9, v9, v57 :: v_dual_add_f32 v0, v0, v71
	v_add_f32_e32 v1, v1, v37
	v_fma_f32 v40, v40, v80, -v90
	v_fma_f32 v68, v76, v78, -v68
	v_add_f32_e32 v17, v17, v65
	v_add_f32_e32 v11, v11, v38
	;; [unrolled: 1-line block ×4, first 2 shown]
	s_delay_alu instid0(VALU_DEP_4) | instskip(NEXT) | instid1(VALU_DEP_4)
	v_add_f32_e32 v17, v17, v73
	v_add_f32_e32 v11, v11, v40
	s_delay_alu instid0(VALU_DEP_4) | instskip(NEXT) | instid1(VALU_DEP_4)
	v_add_f32_e32 v9, v9, v68
	v_add_f32_e32 v1, v1, v41
	s_cbranch_vccz .LBB1551_2
.LBB1551_3:
	v_add_nc_u32_e32 v7, s19, v7
	s_load_b32 s4, s[0:1], 0x0
	s_delay_alu instid0(VALU_DEP_1) | instskip(SKIP_2) | instid1(VALU_DEP_3)
	v_ashrrev_i32_e32 v2, 31, v7
	v_mul_lo_u32 v5, v7, s7
	v_mad_u64_u32 v[3:4], null, v7, s6, 0
	v_mul_lo_u32 v2, v2, s6
	s_delay_alu instid0(VALU_DEP_1) | instskip(SKIP_3) | instid1(VALU_DEP_3)
	v_add3_u32 v4, v4, v5, v2
	v_add_nc_u32_e32 v2, s18, v6
	s_waitcnt lgkmcnt(0)
	v_cmp_gt_i32_e32 vcc_lo, s4, v7
	v_lshlrev_b64 v[3:4], 3, v[3:4]
	s_delay_alu instid0(VALU_DEP_3) | instskip(NEXT) | instid1(VALU_DEP_1)
	v_cmp_le_i32_e64 s0, v2, v7
	s_and_b32 s0, vcc_lo, s0
	s_delay_alu instid0(VALU_DEP_2) | instskip(NEXT) | instid1(VALU_DEP_1)
	v_add_co_u32 v6, s1, s2, v3
	v_add_co_ci_u32_e64 v12, s1, s3, v4, s1
	s_and_saveexec_b32 s1, s0
	s_cbranch_execz .LBB1551_5
; %bb.4:
	v_ashrrev_i32_e32 v3, 31, v2
	s_delay_alu instid0(VALU_DEP_1) | instskip(NEXT) | instid1(VALU_DEP_1)
	v_lshlrev_b64 v[3:4], 3, v[2:3]
	v_add_co_u32 v3, s0, v6, v3
	s_delay_alu instid0(VALU_DEP_1)
	v_add_co_ci_u32_e64 v4, s0, v12, v4, s0
	global_load_b64 v[13:14], v[3:4], off
	s_waitcnt vmcnt(0)
	v_dual_sub_f32 v13, v16, v13 :: v_dual_sub_f32 v14, v17, v14
	global_store_b64 v[3:4], v[13:14], off
.LBB1551_5:
	s_or_b32 exec_lo, exec_lo, s1
	v_add_nc_u32_e32 v4, 16, v2
	s_delay_alu instid0(VALU_DEP_1) | instskip(NEXT) | instid1(VALU_DEP_1)
	v_cmp_le_i32_e64 s0, v4, v7
	s_and_b32 s1, vcc_lo, s0
	s_delay_alu instid0(SALU_CYCLE_1)
	s_and_saveexec_b32 s0, s1
	s_cbranch_execz .LBB1551_7
; %bb.6:
	v_ashrrev_i32_e32 v5, 31, v4
	s_delay_alu instid0(VALU_DEP_1) | instskip(NEXT) | instid1(VALU_DEP_1)
	v_lshlrev_b64 v[13:14], 3, v[4:5]
	v_add_co_u32 v5, vcc_lo, v6, v13
	s_delay_alu instid0(VALU_DEP_2)
	v_add_co_ci_u32_e32 v6, vcc_lo, v12, v14, vcc_lo
	global_load_b64 v[12:13], v[5:6], off
	s_waitcnt vmcnt(0)
	v_dual_sub_f32 v11, v11, v12 :: v_dual_sub_f32 v12, v10, v13
	global_store_b64 v[5:6], v[11:12], off
.LBB1551_7:
	s_or_b32 exec_lo, exec_lo, s0
	v_add_nc_u32_e32 v5, 16, v7
	s_delay_alu instid0(VALU_DEP_1) | instskip(SKIP_3) | instid1(VALU_DEP_4)
	v_ashrrev_i32_e32 v3, 31, v5
	v_mul_lo_u32 v10, v5, s7
	v_mad_u64_u32 v[6:7], null, v5, s6, 0
	v_cmp_gt_i32_e32 vcc_lo, s4, v5
	v_mul_lo_u32 v3, v3, s6
	v_cmp_le_i32_e64 s0, v2, v5
	s_delay_alu instid0(VALU_DEP_1) | instskip(NEXT) | instid1(VALU_DEP_2)
	s_and_b32 s0, vcc_lo, s0
	v_add3_u32 v7, v7, v10, v3
	s_delay_alu instid0(VALU_DEP_1) | instskip(NEXT) | instid1(VALU_DEP_1)
	v_lshlrev_b64 v[6:7], 3, v[6:7]
	v_add_co_u32 v6, s1, s2, v6
	s_delay_alu instid0(VALU_DEP_1)
	v_add_co_ci_u32_e64 v7, s1, s3, v7, s1
	s_and_saveexec_b32 s1, s0
	s_cbranch_execz .LBB1551_9
; %bb.8:
	v_ashrrev_i32_e32 v3, 31, v2
	s_delay_alu instid0(VALU_DEP_1) | instskip(NEXT) | instid1(VALU_DEP_1)
	v_lshlrev_b64 v[2:3], 3, v[2:3]
	v_add_co_u32 v2, s0, v6, v2
	s_delay_alu instid0(VALU_DEP_1)
	v_add_co_ci_u32_e64 v3, s0, v7, v3, s0
	global_load_b64 v[10:11], v[2:3], off
	s_waitcnt vmcnt(0)
	v_dual_sub_f32 v9, v9, v10 :: v_dual_sub_f32 v10, v8, v11
	global_store_b64 v[2:3], v[9:10], off
.LBB1551_9:
	s_or_b32 exec_lo, exec_lo, s1
	v_cmp_le_i32_e64 s0, v4, v5
	s_delay_alu instid0(VALU_DEP_1) | instskip(NEXT) | instid1(SALU_CYCLE_1)
	s_and_b32 s0, vcc_lo, s0
	s_and_saveexec_b32 s1, s0
	s_cbranch_execz .LBB1551_11
; %bb.10:
	v_ashrrev_i32_e32 v5, 31, v4
	s_delay_alu instid0(VALU_DEP_1) | instskip(NEXT) | instid1(VALU_DEP_1)
	v_lshlrev_b64 v[2:3], 3, v[4:5]
	v_add_co_u32 v2, vcc_lo, v6, v2
	s_delay_alu instid0(VALU_DEP_2)
	v_add_co_ci_u32_e32 v3, vcc_lo, v7, v3, vcc_lo
	global_load_b64 v[4:5], v[2:3], off
	s_waitcnt vmcnt(0)
	v_dual_sub_f32 v0, v0, v4 :: v_dual_sub_f32 v1, v1, v5
	global_store_b64 v[2:3], v[0:1], off
.LBB1551_11:
	s_nop 0
	s_sendmsg sendmsg(MSG_DEALLOC_VGPRS)
	s_endpgm
	.section	.rodata,"a",@progbits
	.p2align	6, 0x0
	.amdhsa_kernel _ZL37rocblas_syrkx_herkx_restricted_kernelIl19rocblas_complex_numIfELi16ELi32ELi8ELi1ELin1ELb0ELc84ELc85EKPKS1_KPS1_EviT_PT9_S7_lS9_S7_lPT10_S7_li
		.amdhsa_group_segment_fixed_size 4096
		.amdhsa_private_segment_fixed_size 0
		.amdhsa_kernarg_size 92
		.amdhsa_user_sgpr_count 13
		.amdhsa_user_sgpr_dispatch_ptr 0
		.amdhsa_user_sgpr_queue_ptr 0
		.amdhsa_user_sgpr_kernarg_segment_ptr 1
		.amdhsa_user_sgpr_dispatch_id 0
		.amdhsa_user_sgpr_private_segment_size 0
		.amdhsa_wavefront_size32 1
		.amdhsa_uses_dynamic_stack 0
		.amdhsa_enable_private_segment 0
		.amdhsa_system_sgpr_workgroup_id_x 1
		.amdhsa_system_sgpr_workgroup_id_y 1
		.amdhsa_system_sgpr_workgroup_id_z 1
		.amdhsa_system_sgpr_workgroup_info 0
		.amdhsa_system_vgpr_workitem_id 1
		.amdhsa_next_free_vgpr 91
		.amdhsa_next_free_sgpr 20
		.amdhsa_reserve_vcc 1
		.amdhsa_float_round_mode_32 0
		.amdhsa_float_round_mode_16_64 0
		.amdhsa_float_denorm_mode_32 3
		.amdhsa_float_denorm_mode_16_64 3
		.amdhsa_dx10_clamp 1
		.amdhsa_ieee_mode 1
		.amdhsa_fp16_overflow 0
		.amdhsa_workgroup_processor_mode 1
		.amdhsa_memory_ordered 1
		.amdhsa_forward_progress 0
		.amdhsa_shared_vgpr_count 0
		.amdhsa_exception_fp_ieee_invalid_op 0
		.amdhsa_exception_fp_denorm_src 0
		.amdhsa_exception_fp_ieee_div_zero 0
		.amdhsa_exception_fp_ieee_overflow 0
		.amdhsa_exception_fp_ieee_underflow 0
		.amdhsa_exception_fp_ieee_inexact 0
		.amdhsa_exception_int_div_zero 0
	.end_amdhsa_kernel
	.section	.text._ZL37rocblas_syrkx_herkx_restricted_kernelIl19rocblas_complex_numIfELi16ELi32ELi8ELi1ELin1ELb0ELc84ELc85EKPKS1_KPS1_EviT_PT9_S7_lS9_S7_lPT10_S7_li,"axG",@progbits,_ZL37rocblas_syrkx_herkx_restricted_kernelIl19rocblas_complex_numIfELi16ELi32ELi8ELi1ELin1ELb0ELc84ELc85EKPKS1_KPS1_EviT_PT9_S7_lS9_S7_lPT10_S7_li,comdat
.Lfunc_end1551:
	.size	_ZL37rocblas_syrkx_herkx_restricted_kernelIl19rocblas_complex_numIfELi16ELi32ELi8ELi1ELin1ELb0ELc84ELc85EKPKS1_KPS1_EviT_PT9_S7_lS9_S7_lPT10_S7_li, .Lfunc_end1551-_ZL37rocblas_syrkx_herkx_restricted_kernelIl19rocblas_complex_numIfELi16ELi32ELi8ELi1ELin1ELb0ELc84ELc85EKPKS1_KPS1_EviT_PT9_S7_lS9_S7_lPT10_S7_li
                                        ; -- End function
	.section	.AMDGPU.csdata,"",@progbits
; Kernel info:
; codeLenInByte = 2204
; NumSgprs: 22
; NumVgprs: 91
; ScratchSize: 0
; MemoryBound: 0
; FloatMode: 240
; IeeeMode: 1
; LDSByteSize: 4096 bytes/workgroup (compile time only)
; SGPRBlocks: 2
; VGPRBlocks: 11
; NumSGPRsForWavesPerEU: 22
; NumVGPRsForWavesPerEU: 91
; Occupancy: 16
; WaveLimiterHint : 1
; COMPUTE_PGM_RSRC2:SCRATCH_EN: 0
; COMPUTE_PGM_RSRC2:USER_SGPR: 13
; COMPUTE_PGM_RSRC2:TRAP_HANDLER: 0
; COMPUTE_PGM_RSRC2:TGID_X_EN: 1
; COMPUTE_PGM_RSRC2:TGID_Y_EN: 1
; COMPUTE_PGM_RSRC2:TGID_Z_EN: 1
; COMPUTE_PGM_RSRC2:TIDIG_COMP_CNT: 1
	.section	.text._ZL37rocblas_syrkx_herkx_restricted_kernelIl19rocblas_complex_numIfELi16ELi32ELi8ELi1ELin1ELb0ELc67ELc85EKPKS1_KPS1_EviT_PT9_S7_lS9_S7_lPT10_S7_li,"axG",@progbits,_ZL37rocblas_syrkx_herkx_restricted_kernelIl19rocblas_complex_numIfELi16ELi32ELi8ELi1ELin1ELb0ELc67ELc85EKPKS1_KPS1_EviT_PT9_S7_lS9_S7_lPT10_S7_li,comdat
	.globl	_ZL37rocblas_syrkx_herkx_restricted_kernelIl19rocblas_complex_numIfELi16ELi32ELi8ELi1ELin1ELb0ELc67ELc85EKPKS1_KPS1_EviT_PT9_S7_lS9_S7_lPT10_S7_li ; -- Begin function _ZL37rocblas_syrkx_herkx_restricted_kernelIl19rocblas_complex_numIfELi16ELi32ELi8ELi1ELin1ELb0ELc67ELc85EKPKS1_KPS1_EviT_PT9_S7_lS9_S7_lPT10_S7_li
	.p2align	8
	.type	_ZL37rocblas_syrkx_herkx_restricted_kernelIl19rocblas_complex_numIfELi16ELi32ELi8ELi1ELin1ELb0ELc67ELc85EKPKS1_KPS1_EviT_PT9_S7_lS9_S7_lPT10_S7_li,@function
_ZL37rocblas_syrkx_herkx_restricted_kernelIl19rocblas_complex_numIfELi16ELi32ELi8ELi1ELin1ELb0ELc67ELc85EKPKS1_KPS1_EviT_PT9_S7_lS9_S7_lPT10_S7_li: ; @_ZL37rocblas_syrkx_herkx_restricted_kernelIl19rocblas_complex_numIfELi16ELi32ELi8ELi1ELin1ELb0ELc67ELc85EKPKS1_KPS1_EviT_PT9_S7_lS9_S7_lPT10_S7_li
; %bb.0:
	s_clause 0x1
	s_load_b128 s[4:7], s[0:1], 0x40
	s_load_b128 s[8:11], s[0:1], 0x8
	s_mov_b32 s2, s15
	s_mov_b32 s3, 0
	v_dual_mov_b32 v17, 0 :: v_dual_and_b32 v6, 0x3ff, v0
	s_lshl_b64 s[16:17], s[2:3], 3
	v_bfe_u32 v7, v0, 10, 10
	v_dual_mov_b32 v16, 0 :: v_dual_mov_b32 v11, 0
	v_dual_mov_b32 v10, 0 :: v_dual_mov_b32 v9, 0
	;; [unrolled: 1-line block ×3, first 2 shown]
	v_mov_b32_e32 v0, 0
	s_waitcnt lgkmcnt(0)
	s_add_u32 s2, s4, s16
	s_addc_u32 s3, s5, s17
	v_cmp_lt_i64_e64 s4, s[8:9], 1
	s_load_b64 s[2:3], s[2:3], 0x0
	s_lshl_b32 s18, s13, 5
	s_lshl_b32 s19, s14, 5
	s_delay_alu instid0(VALU_DEP_1)
	s_and_b32 vcc_lo, exec_lo, s4
	s_cbranch_vccnz .LBB1552_3
; %bb.1:
	s_clause 0x1
	s_load_b128 s[12:15], s[0:1], 0x28
	s_load_b64 s[4:5], s[0:1], 0x18
	v_lshl_add_u32 v2, v7, 4, v6
	v_dual_mov_b32 v1, 0 :: v_dual_and_b32 v0, 7, v6
	s_add_u32 s10, s10, s16
	s_addc_u32 s11, s11, s17
	s_delay_alu instid0(VALU_DEP_2)
	v_lshrrev_b32_e32 v10, 3, v2
	v_and_b32_e32 v11, 31, v2
	v_lshrrev_b32_e32 v2, 5, v2
	v_mov_b32_e32 v3, v1
	s_load_b64 s[10:11], s[10:11], 0x0
	v_add_nc_u32_e32 v12, s19, v10
	v_add_nc_u32_e32 v8, s18, v11
	v_dual_mov_b32 v16, v1 :: v_dual_lshlrev_b32 v11, 3, v11
	v_mov_b32_e32 v17, v1
	s_delay_alu instid0(VALU_DEP_4) | instskip(NEXT) | instid1(VALU_DEP_4)
	v_ashrrev_i32_e32 v4, 31, v12
	v_ashrrev_i32_e32 v5, 31, v8
	s_waitcnt lgkmcnt(0)
	s_add_u32 s12, s12, s16
	s_addc_u32 s13, s13, s17
	v_mul_lo_u32 v13, v4, s14
	v_mul_lo_u32 v14, s4, v5
	v_mad_u64_u32 v[4:5], null, s4, v8, v[2:3]
	v_mul_lo_u32 v3, s5, v8
	s_load_b64 s[4:5], s[12:13], 0x0
	v_mul_lo_u32 v15, v12, s15
	v_mad_u64_u32 v[8:9], null, v12, s14, v[0:1]
	v_lshlrev_b32_e32 v0, 3, v0
	v_lshlrev_b32_e32 v12, 3, v6
	v_add3_u32 v5, v3, v5, v14
	v_lshl_or_b32 v14, v2, 8, v11
	v_mov_b32_e32 v11, v1
	v_add3_u32 v9, v13, v9, v15
	v_lshl_or_b32 v0, v10, 6, v0
	v_lshlrev_b64 v[3:4], 3, v[4:5]
	v_lshl_add_u32 v13, v7, 6, 0x800
	v_mov_b32_e32 v10, v1
	v_lshlrev_b64 v[8:9], 3, v[8:9]
	v_add_nc_u32_e32 v15, 0x800, v0
	v_add_co_u32 v0, vcc_lo, v3, s10
	v_add_co_ci_u32_e32 v3, vcc_lo, s11, v4, vcc_lo
	s_waitcnt lgkmcnt(0)
	s_delay_alu instid0(VALU_DEP_4) | instskip(SKIP_3) | instid1(VALU_DEP_4)
	v_add_co_u32 v4, vcc_lo, v8, s4
	v_add_co_ci_u32_e32 v5, vcc_lo, s5, v9, vcc_lo
	v_add_co_u32 v2, vcc_lo, v0, 4
	v_add_co_ci_u32_e32 v3, vcc_lo, 0, v3, vcc_lo
	v_add_co_u32 v4, vcc_lo, v4, 4
	s_delay_alu instid0(VALU_DEP_4)
	v_add_co_ci_u32_e32 v5, vcc_lo, 0, v5, vcc_lo
	v_mov_b32_e32 v0, v1
	v_mov_b32_e32 v8, v1
	;; [unrolled: 1-line block ×3, first 2 shown]
	s_mov_b64 s[4:5], 0
.LBB1552_2:                             ; =>This Inner Loop Header: Depth=1
	global_load_b64 v[18:19], v[2:3], off offset:-4
	global_load_b64 v[20:21], v[4:5], off offset:-4
	s_add_u32 s4, s4, 8
	v_add_co_u32 v2, vcc_lo, v2, 64
	s_addc_u32 s5, s5, 0
	v_add_co_ci_u32_e32 v3, vcc_lo, 0, v3, vcc_lo
	v_cmp_ge_u64_e64 s10, s[4:5], s[8:9]
	v_add_co_u32 v4, vcc_lo, v4, 64
	v_add_co_ci_u32_e32 v5, vcc_lo, 0, v5, vcc_lo
	s_waitcnt vmcnt(1)
	ds_store_b64 v14, v[18:19]
	s_waitcnt vmcnt(0)
	ds_store_b64 v15, v[20:21]
	s_waitcnt lgkmcnt(0)
	s_barrier
	buffer_gl0_inv
	ds_load_2addr_b64 v[18:21], v12 offset1:16
	ds_load_b128 v[22:25], v13
	ds_load_b128 v[26:29], v13 offset:1024
	ds_load_b128 v[30:33], v13 offset:16
	;; [unrolled: 1-line block ×4, first 2 shown]
	ds_load_2addr_b64 v[42:45], v12 offset0:32 offset1:48
	ds_load_2addr_b64 v[46:49], v12 offset0:64 offset1:80
	ds_load_b128 v[50:53], v13 offset:1040
	ds_load_2addr_b64 v[54:57], v12 offset0:96 offset1:112
	ds_load_2addr_b64 v[58:61], v12 offset0:128 offset1:144
	;; [unrolled: 1-line block ×4, first 2 shown]
	ds_load_b128 v[70:73], v13 offset:1056
	ds_load_b128 v[74:77], v13 offset:1072
	ds_load_2addr_b64 v[78:81], v12 offset0:224 offset1:240
	s_and_b32 vcc_lo, exec_lo, s10
	s_waitcnt lgkmcnt(0)
	s_barrier
	buffer_gl0_inv
	v_dual_mul_f32 v82, v23, v19 :: v_dual_mul_f32 v85, v22, v21
	v_dual_mul_f32 v83, v22, v19 :: v_dual_mul_f32 v84, v23, v21
	v_mul_f32_e32 v86, v27, v19
	v_dual_mul_f32 v19, v26, v19 :: v_dual_mul_f32 v90, v25, v45
	v_dual_mul_f32 v87, v27, v21 :: v_dual_mul_f32 v88, v25, v43
	v_mul_f32_e32 v21, v26, v21
	v_fma_f32 v82, v22, v18, -v82
	v_fmac_f32_e32 v83, v23, v18
	v_fma_f32 v22, v22, v20, -v84
	v_fmac_f32_e32 v85, v23, v20
	v_fma_f32 v23, v26, v18, -v86
	v_dual_fmac_f32 v19, v27, v18 :: v_dual_mul_f32 v86, v30, v47
	v_fma_f32 v18, v26, v20, -v87
	v_dual_fmac_f32 v21, v27, v20 :: v_dual_mul_f32 v20, v24, v45
	v_mul_f32_e32 v89, v24, v43
	v_mul_f32_e32 v26, v29, v43
	;; [unrolled: 1-line block ×4, first 2 shown]
	v_fmac_f32_e32 v20, v25, v44
	v_fmac_f32_e32 v89, v25, v42
	v_dual_mul_f32 v25, v28, v45 :: v_dual_fmac_f32 v86, v31, v46
	v_fma_f32 v84, v24, v42, -v88
	v_fma_f32 v24, v24, v44, -v90
	v_dual_mul_f32 v45, v31, v47 :: v_dual_mul_f32 v90, v33, v57
	v_fma_f32 v26, v28, v42, -v26
	v_fma_f32 v28, v28, v44, -v43
	v_fmac_f32_e32 v25, v29, v44
	v_dual_mul_f32 v43, v50, v47 :: v_dual_mul_f32 v44, v51, v49
	v_dual_fmac_f32 v27, v29, v42 :: v_dual_mul_f32 v42, v51, v47
	v_dual_mul_f32 v88, v32, v55 :: v_dual_mul_f32 v29, v30, v49
	v_mul_f32_e32 v87, v31, v49
	v_fma_f32 v45, v30, v46, -v45
	v_add_f32_e32 v10, v10, v85
	s_delay_alu instid0(VALU_DEP_4)
	v_dual_fmac_f32 v88, v33, v54 :: v_dual_fmac_f32 v29, v31, v48
	v_fma_f32 v31, v50, v46, -v42
	v_fma_f32 v42, v50, v48, -v44
	v_mul_f32_e32 v44, v32, v57
	v_mul_f32_e32 v47, v50, v49
	v_dual_mul_f32 v50, v53, v57 :: v_dual_fmac_f32 v43, v51, v46
	v_mul_f32_e32 v46, v53, v55
	v_mul_f32_e32 v49, v33, v55
	v_fma_f32 v30, v30, v48, -v87
	v_fmac_f32_e32 v44, v33, v56
	v_dual_fmac_f32 v47, v51, v48 :: v_dual_mul_f32 v48, v52, v55
	v_mul_f32_e32 v33, v52, v57
	v_fma_f32 v46, v52, v54, -v46
	v_fma_f32 v50, v52, v56, -v50
	v_mul_f32_e32 v52, v34, v61
	v_fma_f32 v49, v32, v54, -v49
	v_fma_f32 v32, v32, v56, -v90
	v_dual_mul_f32 v51, v35, v59 :: v_dual_fmac_f32 v48, v53, v54
	v_mul_f32_e32 v54, v70, v59
	v_dual_mul_f32 v55, v34, v59 :: v_dual_fmac_f32 v52, v35, v60
	v_fmac_f32_e32 v33, v53, v56
	v_mul_f32_e32 v53, v71, v59
	v_mul_f32_e32 v56, v71, v61
	;; [unrolled: 1-line block ×3, first 2 shown]
	v_fmac_f32_e32 v54, v71, v58
	v_fmac_f32_e32 v55, v35, v58
	v_fma_f32 v35, v70, v58, -v53
	v_fma_f32 v53, v70, v60, -v56
	v_mul_f32_e32 v56, v36, v65
	v_mul_f32_e32 v59, v70, v61
	v_fma_f32 v51, v34, v58, -v51
	v_mul_f32_e32 v58, v72, v63
	v_mul_f32_e32 v87, v36, v63
	;; [unrolled: 1-line block ×4, first 2 shown]
	v_fma_f32 v34, v34, v60, -v57
	v_mul_f32_e32 v57, v73, v63
	v_fmac_f32_e32 v56, v37, v64
	v_dual_fmac_f32 v59, v71, v60 :: v_dual_mul_f32 v60, v73, v65
	v_mul_f32_e32 v63, v39, v67
	v_mul_f32_e32 v70, v39, v69
	v_fmac_f32_e32 v58, v73, v62
	v_fmac_f32_e32 v87, v37, v62
	v_mul_f32_e32 v37, v72, v65
	v_fma_f32 v61, v36, v62, -v61
	v_fma_f32 v36, v36, v64, -v90
	v_mul_f32_e32 v65, v38, v67
	v_fma_f32 v57, v72, v62, -v57
	v_fma_f32 v60, v72, v64, -v60
	v_dual_fmac_f32 v37, v73, v64 :: v_dual_mul_f32 v62, v38, v69
	v_mul_f32_e32 v64, v75, v67
	v_mul_f32_e32 v73, v40, v79
	v_fma_f32 v63, v38, v66, -v63
	v_fma_f32 v38, v38, v68, -v70
	v_mul_f32_e32 v70, v76, v79
	v_mul_f32_e32 v67, v74, v67
	v_dual_mul_f32 v71, v75, v69 :: v_dual_add_f32 v16, v16, v82
	v_dual_mul_f32 v69, v74, v69 :: v_dual_add_f32 v8, v8, v19
	v_fmac_f32_e32 v65, v39, v66
	v_fmac_f32_e32 v62, v39, v68
	s_delay_alu instid0(VALU_DEP_4)
	v_add_f32_e32 v16, v16, v84
	v_fma_f32 v39, v74, v66, -v64
	v_fmac_f32_e32 v70, v77, v78
	v_dual_fmac_f32 v67, v75, v66 :: v_dual_add_f32 v10, v10, v20
	v_mul_f32_e32 v66, v40, v81
	v_mul_f32_e32 v72, v41, v79
	;; [unrolled: 1-line block ×3, first 2 shown]
	v_fma_f32 v64, v74, v68, -v71
	v_dual_fmac_f32 v69, v75, v68 :: v_dual_add_f32 v0, v0, v18
	v_dual_mul_f32 v71, v77, v81 :: v_dual_add_f32 v8, v8, v27
	v_fmac_f32_e32 v73, v41, v78
	v_fmac_f32_e32 v66, v41, v80
	s_delay_alu instid0(VALU_DEP_4) | instskip(SKIP_3) | instid1(VALU_DEP_4)
	v_dual_add_f32 v0, v0, v28 :: v_dual_add_f32 v17, v17, v83
	v_add_f32_e32 v10, v10, v29
	v_mul_f32_e32 v41, v76, v81
	v_dual_add_f32 v11, v11, v22 :: v_dual_add_f32 v8, v8, v43
	v_dual_add_f32 v9, v9, v23 :: v_dual_add_f32 v0, v0, v42
	v_add_f32_e32 v1, v1, v21
	v_add_f32_e32 v16, v16, v45
	s_delay_alu instid0(VALU_DEP_4)
	v_add_f32_e32 v8, v8, v48
	v_add_f32_e32 v10, v10, v44
	v_fmac_f32_e32 v41, v77, v80
	v_dual_add_f32 v17, v17, v89 :: v_dual_add_f32 v0, v0, v50
	v_dual_add_f32 v11, v11, v24 :: v_dual_add_f32 v16, v16, v49
	v_add_f32_e32 v9, v9, v26
	v_dual_add_f32 v1, v1, v25 :: v_dual_add_f32 v10, v10, v52
	s_delay_alu instid0(VALU_DEP_4) | instskip(NEXT) | instid1(VALU_DEP_4)
	v_dual_add_f32 v17, v17, v86 :: v_dual_add_f32 v0, v0, v53
	v_dual_add_f32 v16, v16, v51 :: v_dual_add_f32 v11, v11, v30
	s_delay_alu instid0(VALU_DEP_4) | instskip(NEXT) | instid1(VALU_DEP_4)
	v_dual_add_f32 v9, v9, v31 :: v_dual_add_f32 v8, v8, v54
	v_dual_add_f32 v1, v1, v47 :: v_dual_add_f32 v10, v10, v56
	s_delay_alu instid0(VALU_DEP_4) | instskip(NEXT) | instid1(VALU_DEP_3)
	v_add_f32_e32 v17, v17, v88
	v_dual_add_f32 v9, v9, v46 :: v_dual_add_f32 v0, v0, v60
	s_delay_alu instid0(VALU_DEP_3) | instskip(SKIP_2) | instid1(VALU_DEP_3)
	v_dual_add_f32 v1, v1, v33 :: v_dual_add_f32 v10, v10, v62
	v_dual_add_f32 v16, v16, v61 :: v_dual_add_f32 v11, v11, v32
	v_fma_f32 v72, v40, v78, -v72
	v_dual_add_f32 v1, v1, v59 :: v_dual_add_f32 v10, v10, v66
	v_dual_add_f32 v8, v8, v58 :: v_dual_add_f32 v17, v17, v55
	v_add_f32_e32 v0, v0, v64
	v_dual_add_f32 v16, v16, v63 :: v_dual_add_f32 v11, v11, v34
	s_delay_alu instid0(VALU_DEP_3) | instskip(SKIP_2) | instid1(VALU_DEP_4)
	v_add_f32_e32 v8, v8, v67
	v_add_f32_e32 v9, v9, v35
	v_mul_f32_e32 v68, v77, v79
	v_add_f32_e32 v16, v16, v72
	v_fma_f32 v71, v76, v80, -v71
	v_dual_add_f32 v17, v17, v87 :: v_dual_add_f32 v8, v8, v70
	v_add_f32_e32 v11, v11, v36
	s_delay_alu instid0(VALU_DEP_3)
	v_dual_add_f32 v9, v9, v57 :: v_dual_add_f32 v0, v0, v71
	v_add_f32_e32 v1, v1, v37
	v_fma_f32 v40, v40, v80, -v90
	v_fma_f32 v68, v76, v78, -v68
	v_add_f32_e32 v17, v17, v65
	v_add_f32_e32 v11, v11, v38
	;; [unrolled: 1-line block ×4, first 2 shown]
	s_delay_alu instid0(VALU_DEP_4) | instskip(NEXT) | instid1(VALU_DEP_4)
	v_add_f32_e32 v17, v17, v73
	v_add_f32_e32 v11, v11, v40
	s_delay_alu instid0(VALU_DEP_4) | instskip(NEXT) | instid1(VALU_DEP_4)
	v_add_f32_e32 v9, v9, v68
	v_add_f32_e32 v1, v1, v41
	s_cbranch_vccz .LBB1552_2
.LBB1552_3:
	v_add_nc_u32_e32 v7, s19, v7
	s_load_b32 s4, s[0:1], 0x0
	s_delay_alu instid0(VALU_DEP_1) | instskip(SKIP_2) | instid1(VALU_DEP_3)
	v_ashrrev_i32_e32 v2, 31, v7
	v_mul_lo_u32 v5, v7, s7
	v_mad_u64_u32 v[3:4], null, v7, s6, 0
	v_mul_lo_u32 v2, v2, s6
	s_delay_alu instid0(VALU_DEP_1) | instskip(SKIP_3) | instid1(VALU_DEP_3)
	v_add3_u32 v4, v4, v5, v2
	v_add_nc_u32_e32 v2, s18, v6
	s_waitcnt lgkmcnt(0)
	v_cmp_gt_i32_e32 vcc_lo, s4, v7
	v_lshlrev_b64 v[3:4], 3, v[3:4]
	s_delay_alu instid0(VALU_DEP_3) | instskip(NEXT) | instid1(VALU_DEP_1)
	v_cmp_le_i32_e64 s0, v2, v7
	s_and_b32 s0, vcc_lo, s0
	s_delay_alu instid0(VALU_DEP_2) | instskip(NEXT) | instid1(VALU_DEP_1)
	v_add_co_u32 v6, s1, s2, v3
	v_add_co_ci_u32_e64 v12, s1, s3, v4, s1
	s_and_saveexec_b32 s1, s0
	s_cbranch_execz .LBB1552_5
; %bb.4:
	v_ashrrev_i32_e32 v3, 31, v2
	s_delay_alu instid0(VALU_DEP_1) | instskip(NEXT) | instid1(VALU_DEP_1)
	v_lshlrev_b64 v[3:4], 3, v[2:3]
	v_add_co_u32 v3, s0, v6, v3
	s_delay_alu instid0(VALU_DEP_1)
	v_add_co_ci_u32_e64 v4, s0, v12, v4, s0
	global_load_b64 v[13:14], v[3:4], off
	s_waitcnt vmcnt(0)
	v_dual_sub_f32 v13, v16, v13 :: v_dual_sub_f32 v14, v17, v14
	global_store_b64 v[3:4], v[13:14], off
.LBB1552_5:
	s_or_b32 exec_lo, exec_lo, s1
	v_add_nc_u32_e32 v4, 16, v2
	s_delay_alu instid0(VALU_DEP_1) | instskip(NEXT) | instid1(VALU_DEP_1)
	v_cmp_le_i32_e64 s0, v4, v7
	s_and_b32 s1, vcc_lo, s0
	s_delay_alu instid0(SALU_CYCLE_1)
	s_and_saveexec_b32 s0, s1
	s_cbranch_execz .LBB1552_7
; %bb.6:
	v_ashrrev_i32_e32 v5, 31, v4
	s_delay_alu instid0(VALU_DEP_1) | instskip(NEXT) | instid1(VALU_DEP_1)
	v_lshlrev_b64 v[13:14], 3, v[4:5]
	v_add_co_u32 v5, vcc_lo, v6, v13
	s_delay_alu instid0(VALU_DEP_2)
	v_add_co_ci_u32_e32 v6, vcc_lo, v12, v14, vcc_lo
	global_load_b64 v[12:13], v[5:6], off
	s_waitcnt vmcnt(0)
	v_dual_sub_f32 v11, v11, v12 :: v_dual_sub_f32 v12, v10, v13
	global_store_b64 v[5:6], v[11:12], off
.LBB1552_7:
	s_or_b32 exec_lo, exec_lo, s0
	v_add_nc_u32_e32 v5, 16, v7
	s_delay_alu instid0(VALU_DEP_1) | instskip(SKIP_3) | instid1(VALU_DEP_4)
	v_ashrrev_i32_e32 v3, 31, v5
	v_mul_lo_u32 v10, v5, s7
	v_mad_u64_u32 v[6:7], null, v5, s6, 0
	v_cmp_gt_i32_e32 vcc_lo, s4, v5
	v_mul_lo_u32 v3, v3, s6
	v_cmp_le_i32_e64 s0, v2, v5
	s_delay_alu instid0(VALU_DEP_1) | instskip(NEXT) | instid1(VALU_DEP_2)
	s_and_b32 s0, vcc_lo, s0
	v_add3_u32 v7, v7, v10, v3
	s_delay_alu instid0(VALU_DEP_1) | instskip(NEXT) | instid1(VALU_DEP_1)
	v_lshlrev_b64 v[6:7], 3, v[6:7]
	v_add_co_u32 v6, s1, s2, v6
	s_delay_alu instid0(VALU_DEP_1)
	v_add_co_ci_u32_e64 v7, s1, s3, v7, s1
	s_and_saveexec_b32 s1, s0
	s_cbranch_execz .LBB1552_9
; %bb.8:
	v_ashrrev_i32_e32 v3, 31, v2
	s_delay_alu instid0(VALU_DEP_1) | instskip(NEXT) | instid1(VALU_DEP_1)
	v_lshlrev_b64 v[2:3], 3, v[2:3]
	v_add_co_u32 v2, s0, v6, v2
	s_delay_alu instid0(VALU_DEP_1)
	v_add_co_ci_u32_e64 v3, s0, v7, v3, s0
	global_load_b64 v[10:11], v[2:3], off
	s_waitcnt vmcnt(0)
	v_dual_sub_f32 v9, v9, v10 :: v_dual_sub_f32 v10, v8, v11
	global_store_b64 v[2:3], v[9:10], off
.LBB1552_9:
	s_or_b32 exec_lo, exec_lo, s1
	v_cmp_le_i32_e64 s0, v4, v5
	s_delay_alu instid0(VALU_DEP_1) | instskip(NEXT) | instid1(SALU_CYCLE_1)
	s_and_b32 s0, vcc_lo, s0
	s_and_saveexec_b32 s1, s0
	s_cbranch_execz .LBB1552_11
; %bb.10:
	v_ashrrev_i32_e32 v5, 31, v4
	s_delay_alu instid0(VALU_DEP_1) | instskip(NEXT) | instid1(VALU_DEP_1)
	v_lshlrev_b64 v[2:3], 3, v[4:5]
	v_add_co_u32 v2, vcc_lo, v6, v2
	s_delay_alu instid0(VALU_DEP_2)
	v_add_co_ci_u32_e32 v3, vcc_lo, v7, v3, vcc_lo
	global_load_b64 v[4:5], v[2:3], off
	s_waitcnt vmcnt(0)
	v_dual_sub_f32 v0, v0, v4 :: v_dual_sub_f32 v1, v1, v5
	global_store_b64 v[2:3], v[0:1], off
.LBB1552_11:
	s_nop 0
	s_sendmsg sendmsg(MSG_DEALLOC_VGPRS)
	s_endpgm
	.section	.rodata,"a",@progbits
	.p2align	6, 0x0
	.amdhsa_kernel _ZL37rocblas_syrkx_herkx_restricted_kernelIl19rocblas_complex_numIfELi16ELi32ELi8ELi1ELin1ELb0ELc67ELc85EKPKS1_KPS1_EviT_PT9_S7_lS9_S7_lPT10_S7_li
		.amdhsa_group_segment_fixed_size 4096
		.amdhsa_private_segment_fixed_size 0
		.amdhsa_kernarg_size 92
		.amdhsa_user_sgpr_count 13
		.amdhsa_user_sgpr_dispatch_ptr 0
		.amdhsa_user_sgpr_queue_ptr 0
		.amdhsa_user_sgpr_kernarg_segment_ptr 1
		.amdhsa_user_sgpr_dispatch_id 0
		.amdhsa_user_sgpr_private_segment_size 0
		.amdhsa_wavefront_size32 1
		.amdhsa_uses_dynamic_stack 0
		.amdhsa_enable_private_segment 0
		.amdhsa_system_sgpr_workgroup_id_x 1
		.amdhsa_system_sgpr_workgroup_id_y 1
		.amdhsa_system_sgpr_workgroup_id_z 1
		.amdhsa_system_sgpr_workgroup_info 0
		.amdhsa_system_vgpr_workitem_id 1
		.amdhsa_next_free_vgpr 91
		.amdhsa_next_free_sgpr 20
		.amdhsa_reserve_vcc 1
		.amdhsa_float_round_mode_32 0
		.amdhsa_float_round_mode_16_64 0
		.amdhsa_float_denorm_mode_32 3
		.amdhsa_float_denorm_mode_16_64 3
		.amdhsa_dx10_clamp 1
		.amdhsa_ieee_mode 1
		.amdhsa_fp16_overflow 0
		.amdhsa_workgroup_processor_mode 1
		.amdhsa_memory_ordered 1
		.amdhsa_forward_progress 0
		.amdhsa_shared_vgpr_count 0
		.amdhsa_exception_fp_ieee_invalid_op 0
		.amdhsa_exception_fp_denorm_src 0
		.amdhsa_exception_fp_ieee_div_zero 0
		.amdhsa_exception_fp_ieee_overflow 0
		.amdhsa_exception_fp_ieee_underflow 0
		.amdhsa_exception_fp_ieee_inexact 0
		.amdhsa_exception_int_div_zero 0
	.end_amdhsa_kernel
	.section	.text._ZL37rocblas_syrkx_herkx_restricted_kernelIl19rocblas_complex_numIfELi16ELi32ELi8ELi1ELin1ELb0ELc67ELc85EKPKS1_KPS1_EviT_PT9_S7_lS9_S7_lPT10_S7_li,"axG",@progbits,_ZL37rocblas_syrkx_herkx_restricted_kernelIl19rocblas_complex_numIfELi16ELi32ELi8ELi1ELin1ELb0ELc67ELc85EKPKS1_KPS1_EviT_PT9_S7_lS9_S7_lPT10_S7_li,comdat
.Lfunc_end1552:
	.size	_ZL37rocblas_syrkx_herkx_restricted_kernelIl19rocblas_complex_numIfELi16ELi32ELi8ELi1ELin1ELb0ELc67ELc85EKPKS1_KPS1_EviT_PT9_S7_lS9_S7_lPT10_S7_li, .Lfunc_end1552-_ZL37rocblas_syrkx_herkx_restricted_kernelIl19rocblas_complex_numIfELi16ELi32ELi8ELi1ELin1ELb0ELc67ELc85EKPKS1_KPS1_EviT_PT9_S7_lS9_S7_lPT10_S7_li
                                        ; -- End function
	.section	.AMDGPU.csdata,"",@progbits
; Kernel info:
; codeLenInByte = 2204
; NumSgprs: 22
; NumVgprs: 91
; ScratchSize: 0
; MemoryBound: 0
; FloatMode: 240
; IeeeMode: 1
; LDSByteSize: 4096 bytes/workgroup (compile time only)
; SGPRBlocks: 2
; VGPRBlocks: 11
; NumSGPRsForWavesPerEU: 22
; NumVGPRsForWavesPerEU: 91
; Occupancy: 16
; WaveLimiterHint : 1
; COMPUTE_PGM_RSRC2:SCRATCH_EN: 0
; COMPUTE_PGM_RSRC2:USER_SGPR: 13
; COMPUTE_PGM_RSRC2:TRAP_HANDLER: 0
; COMPUTE_PGM_RSRC2:TGID_X_EN: 1
; COMPUTE_PGM_RSRC2:TGID_Y_EN: 1
; COMPUTE_PGM_RSRC2:TGID_Z_EN: 1
; COMPUTE_PGM_RSRC2:TIDIG_COMP_CNT: 1
	.section	.text._ZL37rocblas_syrkx_herkx_restricted_kernelIl19rocblas_complex_numIfELi16ELi32ELi8ELi1ELin1ELb0ELc78ELc85EKPKS1_KPS1_EviT_PT9_S7_lS9_S7_lPT10_S7_li,"axG",@progbits,_ZL37rocblas_syrkx_herkx_restricted_kernelIl19rocblas_complex_numIfELi16ELi32ELi8ELi1ELin1ELb0ELc78ELc85EKPKS1_KPS1_EviT_PT9_S7_lS9_S7_lPT10_S7_li,comdat
	.globl	_ZL37rocblas_syrkx_herkx_restricted_kernelIl19rocblas_complex_numIfELi16ELi32ELi8ELi1ELin1ELb0ELc78ELc85EKPKS1_KPS1_EviT_PT9_S7_lS9_S7_lPT10_S7_li ; -- Begin function _ZL37rocblas_syrkx_herkx_restricted_kernelIl19rocblas_complex_numIfELi16ELi32ELi8ELi1ELin1ELb0ELc78ELc85EKPKS1_KPS1_EviT_PT9_S7_lS9_S7_lPT10_S7_li
	.p2align	8
	.type	_ZL37rocblas_syrkx_herkx_restricted_kernelIl19rocblas_complex_numIfELi16ELi32ELi8ELi1ELin1ELb0ELc78ELc85EKPKS1_KPS1_EviT_PT9_S7_lS9_S7_lPT10_S7_li,@function
_ZL37rocblas_syrkx_herkx_restricted_kernelIl19rocblas_complex_numIfELi16ELi32ELi8ELi1ELin1ELb0ELc78ELc85EKPKS1_KPS1_EviT_PT9_S7_lS9_S7_lPT10_S7_li: ; @_ZL37rocblas_syrkx_herkx_restricted_kernelIl19rocblas_complex_numIfELi16ELi32ELi8ELi1ELin1ELb0ELc78ELc85EKPKS1_KPS1_EviT_PT9_S7_lS9_S7_lPT10_S7_li
; %bb.0:
	s_clause 0x1
	s_load_b128 s[4:7], s[0:1], 0x40
	s_load_b128 s[8:11], s[0:1], 0x8
	s_mov_b32 s2, s15
	s_mov_b32 s3, 0
	v_dual_mov_b32 v15, 0 :: v_dual_and_b32 v4, 0x3ff, v0
	s_lshl_b64 s[16:17], s[2:3], 3
	v_bfe_u32 v5, v0, 10, 10
	v_dual_mov_b32 v14, 0 :: v_dual_mov_b32 v13, 0
	v_dual_mov_b32 v12, 0 :: v_dual_mov_b32 v9, 0
	;; [unrolled: 1-line block ×3, first 2 shown]
	v_mov_b32_e32 v6, 0
	s_waitcnt lgkmcnt(0)
	s_add_u32 s2, s4, s16
	s_addc_u32 s3, s5, s17
	v_cmp_lt_i64_e64 s4, s[8:9], 1
	s_load_b64 s[2:3], s[2:3], 0x0
	s_lshl_b32 s18, s13, 5
	s_lshl_b32 s19, s14, 5
	s_delay_alu instid0(VALU_DEP_1)
	s_and_b32 vcc_lo, exec_lo, s4
	s_cbranch_vccnz .LBB1553_3
; %bb.1:
	v_lshl_add_u32 v1, v5, 4, v4
	s_clause 0x1
	s_load_b64 s[4:5], s[0:1], 0x18
	s_load_b128 s[12:15], s[0:1], 0x28
	s_add_u32 s10, s10, s16
	s_addc_u32 s11, s11, s17
	v_lshl_add_u32 v11, v5, 6, 0x800
	v_and_b32_e32 v14, 31, v1
	v_lshrrev_b32_e32 v15, 3, v1
	v_lshrrev_b32_e32 v16, 5, v1
	s_load_b64 s[10:11], s[10:11], 0x0
	s_delay_alu instid0(VALU_DEP_3) | instskip(NEXT) | instid1(VALU_DEP_3)
	v_add_nc_u32_e32 v0, s18, v14
	v_add_nc_u32_e32 v2, s19, v15
	s_delay_alu instid0(VALU_DEP_2) | instskip(NEXT) | instid1(VALU_DEP_2)
	v_ashrrev_i32_e32 v1, 31, v0
	v_ashrrev_i32_e32 v3, 31, v2
	s_waitcnt lgkmcnt(0)
	s_delay_alu instid0(VALU_DEP_2) | instskip(SKIP_4) | instid1(VALU_DEP_1)
	v_mad_u64_u32 v[12:13], null, v16, s4, v[0:1]
	v_and_b32_e32 v7, 7, v4
	s_add_u32 s12, s12, s16
	s_addc_u32 s13, s13, s17
	s_load_b64 s[12:13], s[12:13], 0x0
	v_mad_u64_u32 v[0:1], null, v7, s14, v[2:3]
	s_delay_alu instid0(VALU_DEP_3) | instskip(SKIP_1) | instid1(VALU_DEP_2)
	v_mov_b32_e32 v2, v13
	v_mov_b32_e32 v6, 0
	v_mad_u64_u32 v[8:9], null, v16, s5, v[2:3]
	s_delay_alu instid0(VALU_DEP_4) | instskip(SKIP_2) | instid1(VALU_DEP_4)
	v_mad_u64_u32 v[2:3], null, v7, s15, v[1:2]
	v_lshlrev_b32_e32 v1, 3, v7
	v_dual_mov_b32 v7, 0 :: v_dual_lshlrev_b32 v10, 3, v4
	v_dual_mov_b32 v13, v8 :: v_dual_lshlrev_b32 v14, 3, v14
	s_delay_alu instid0(VALU_DEP_3) | instskip(SKIP_2) | instid1(VALU_DEP_4)
	v_lshl_or_b32 v15, v15, 6, v1
	v_dual_mov_b32 v1, v2 :: v_dual_mov_b32 v8, 0
	v_mov_b32_e32 v9, 0
	v_lshlrev_b64 v[2:3], 3, v[12:13]
	s_delay_alu instid0(VALU_DEP_4) | instskip(NEXT) | instid1(VALU_DEP_4)
	v_add_nc_u32_e32 v17, 0x800, v15
	v_lshlrev_b64 v[0:1], 3, v[0:1]
	s_lshl_b64 s[4:5], s[4:5], 6
	v_mov_b32_e32 v15, 0
	s_delay_alu instid0(VALU_DEP_4)
	v_add_co_u32 v2, vcc_lo, v2, s10
	v_add_co_ci_u32_e32 v3, vcc_lo, s11, v3, vcc_lo
	s_waitcnt lgkmcnt(0)
	v_add_co_u32 v12, vcc_lo, v0, s12
	v_add_co_ci_u32_e32 v13, vcc_lo, s13, v1, vcc_lo
	v_add_co_u32 v0, vcc_lo, v2, 4
	v_add_co_ci_u32_e32 v1, vcc_lo, 0, v3, vcc_lo
	s_delay_alu instid0(VALU_DEP_4) | instskip(NEXT) | instid1(VALU_DEP_4)
	v_add_co_u32 v2, vcc_lo, v12, 4
	v_add_co_ci_u32_e32 v3, vcc_lo, 0, v13, vcc_lo
	v_dual_mov_b32 v12, 0 :: v_dual_mov_b32 v13, 0
	v_lshl_or_b32 v16, v16, 8, v14
	v_mov_b32_e32 v14, 0
	s_lshl_b64 s[10:11], s[14:15], 6
	s_mov_b64 s[12:13], 0
.LBB1553_2:                             ; =>This Inner Loop Header: Depth=1
	global_load_b64 v[18:19], v[0:1], off offset:-4
	global_load_b64 v[20:21], v[2:3], off offset:-4
	s_add_u32 s12, s12, 8
	v_add_co_u32 v0, vcc_lo, v0, s4
	s_addc_u32 s13, s13, 0
	v_add_co_ci_u32_e32 v1, vcc_lo, s5, v1, vcc_lo
	v_cmp_ge_u64_e64 s14, s[12:13], s[8:9]
	v_add_co_u32 v2, vcc_lo, v2, s10
	v_add_co_ci_u32_e32 v3, vcc_lo, s11, v3, vcc_lo
	s_waitcnt vmcnt(1)
	ds_store_b64 v16, v[18:19]
	s_waitcnt vmcnt(0)
	ds_store_b64 v17, v[20:21]
	s_waitcnt lgkmcnt(0)
	s_barrier
	buffer_gl0_inv
	ds_load_2addr_b64 v[18:21], v10 offset1:16
	ds_load_b128 v[22:25], v11
	ds_load_b128 v[26:29], v11 offset:1024
	ds_load_b128 v[30:33], v11 offset:16
	;; [unrolled: 1-line block ×4, first 2 shown]
	ds_load_2addr_b64 v[42:45], v10 offset0:32 offset1:48
	ds_load_2addr_b64 v[46:49], v10 offset0:64 offset1:80
	ds_load_b128 v[50:53], v11 offset:1040
	ds_load_2addr_b64 v[54:57], v10 offset0:96 offset1:112
	ds_load_2addr_b64 v[58:61], v10 offset0:128 offset1:144
	;; [unrolled: 1-line block ×4, first 2 shown]
	ds_load_b128 v[70:73], v11 offset:1056
	ds_load_b128 v[74:77], v11 offset:1072
	ds_load_2addr_b64 v[78:81], v10 offset0:224 offset1:240
	s_and_b32 vcc_lo, exec_lo, s14
	s_waitcnt lgkmcnt(0)
	s_barrier
	buffer_gl0_inv
	v_dual_mul_f32 v82, v23, v19 :: v_dual_mul_f32 v85, v22, v21
	v_dual_mul_f32 v83, v22, v19 :: v_dual_mul_f32 v84, v23, v21
	v_mul_f32_e32 v86, v27, v19
	v_dual_mul_f32 v19, v26, v19 :: v_dual_mul_f32 v90, v25, v45
	v_dual_mul_f32 v87, v27, v21 :: v_dual_mul_f32 v88, v25, v43
	v_mul_f32_e32 v21, v26, v21
	v_mul_f32_e32 v89, v24, v43
	;; [unrolled: 1-line block ×3, first 2 shown]
	v_fma_f32 v82, v22, v18, -v82
	v_fmac_f32_e32 v83, v23, v18
	v_fma_f32 v22, v22, v20, -v84
	v_dual_fmac_f32 v85, v23, v20 :: v_dual_mul_f32 v84, v30, v47
	v_fma_f32 v23, v26, v18, -v86
	v_fmac_f32_e32 v19, v27, v18
	v_fma_f32 v18, v26, v20, -v87
	v_dual_mul_f32 v26, v28, v43 :: v_dual_fmac_f32 v21, v27, v20
	v_mul_f32_e32 v20, v29, v43
	v_mul_f32_e32 v27, v29, v45
	v_dual_mul_f32 v43, v28, v45 :: v_dual_fmac_f32 v84, v31, v46
	v_fma_f32 v45, v24, v42, -v88
	v_fma_f32 v24, v24, v44, -v90
	v_dual_fmac_f32 v91, v25, v44 :: v_dual_mul_f32 v90, v32, v57
	v_dual_mul_f32 v86, v31, v49 :: v_dual_fmac_f32 v89, v25, v42
	v_dual_mul_f32 v25, v31, v47 :: v_dual_mul_f32 v88, v33, v57
	v_fma_f32 v20, v28, v42, -v20
	v_fmac_f32_e32 v26, v29, v42
	v_fma_f32 v27, v28, v44, -v27
	v_dual_fmac_f32 v43, v29, v44 :: v_dual_mul_f32 v28, v51, v47
	v_dual_mul_f32 v29, v50, v47 :: v_dual_mul_f32 v42, v51, v49
	v_mul_f32_e32 v44, v50, v49
	v_mul_f32_e32 v87, v30, v49
	;; [unrolled: 1-line block ×3, first 2 shown]
	v_dual_mul_f32 v49, v32, v55 :: v_dual_fmac_f32 v90, v33, v56
	v_fma_f32 v25, v30, v46, -v25
	v_fma_f32 v30, v30, v48, -v86
	;; [unrolled: 1-line block ×3, first 2 shown]
	v_fmac_f32_e32 v44, v51, v48
	v_fmac_f32_e32 v87, v31, v48
	v_fma_f32 v31, v50, v48, -v42
	v_mul_f32_e32 v42, v53, v55
	v_mul_f32_e32 v48, v53, v57
	v_dual_mul_f32 v50, v52, v57 :: v_dual_fmac_f32 v29, v51, v46
	v_mul_f32_e32 v46, v52, v55
	v_fma_f32 v47, v32, v54, -v47
	v_fmac_f32_e32 v49, v33, v54
	v_fma_f32 v32, v32, v56, -v88
	s_delay_alu instid0(VALU_DEP_4)
	v_dual_mul_f32 v33, v35, v59 :: v_dual_fmac_f32 v46, v53, v54
	v_mul_f32_e32 v51, v34, v59
	v_mul_f32_e32 v55, v35, v61
	v_fma_f32 v42, v52, v54, -v42
	v_fma_f32 v48, v52, v56, -v48
	v_fmac_f32_e32 v50, v53, v56
	v_mul_f32_e32 v52, v71, v59
	v_dual_mul_f32 v53, v70, v59 :: v_dual_mul_f32 v86, v37, v65
	v_mul_f32_e32 v54, v71, v61
	v_dual_mul_f32 v56, v70, v61 :: v_dual_mul_f32 v59, v37, v63
	v_mul_f32_e32 v57, v34, v61
	v_mul_f32_e32 v61, v36, v63
	v_dual_mul_f32 v88, v36, v65 :: v_dual_fmac_f32 v51, v35, v58
	v_fma_f32 v33, v34, v58, -v33
	v_fmac_f32_e32 v53, v71, v58
	v_fmac_f32_e32 v56, v71, v60
	s_delay_alu instid0(VALU_DEP_4)
	v_fmac_f32_e32 v88, v37, v64
	v_fmac_f32_e32 v57, v35, v60
	v_fma_f32 v35, v70, v58, -v52
	v_fma_f32 v52, v70, v60, -v54
	v_mul_f32_e32 v54, v73, v63
	v_fma_f32 v34, v34, v60, -v55
	v_mul_f32_e32 v60, v72, v65
	v_dual_mul_f32 v55, v72, v63 :: v_dual_mul_f32 v70, v38, v69
	v_mul_f32_e32 v58, v73, v65
	v_fma_f32 v59, v36, v62, -v59
	v_fmac_f32_e32 v61, v37, v62
	v_fma_f32 v36, v36, v64, -v86
	v_dual_mul_f32 v37, v39, v67 :: v_dual_fmac_f32 v60, v73, v64
	v_dual_mul_f32 v63, v38, v67 :: v_dual_mul_f32 v86, v40, v81
	v_mul_f32_e32 v65, v39, v69
	v_fma_f32 v54, v72, v62, -v54
	v_fmac_f32_e32 v55, v73, v62
	v_fma_f32 v58, v72, v64, -v58
	v_mul_f32_e32 v72, v40, v79
	v_mul_f32_e32 v62, v75, v67
	v_dual_mul_f32 v64, v74, v67 :: v_dual_mul_f32 v67, v75, v69
	v_dual_mul_f32 v69, v74, v69 :: v_dual_fmac_f32 v70, v39, v68
	s_delay_alu instid0(VALU_DEP_2)
	v_dual_mul_f32 v71, v41, v79 :: v_dual_fmac_f32 v64, v75, v66
	v_fma_f32 v37, v38, v66, -v37
	v_fmac_f32_e32 v63, v39, v66
	v_fma_f32 v38, v38, v68, -v65
	v_fma_f32 v39, v74, v66, -v62
	v_dual_fmac_f32 v69, v75, v68 :: v_dual_fmac_f32 v72, v41, v78
	v_mul_f32_e32 v66, v76, v79
	v_fma_f32 v62, v74, v68, -v67
	v_mul_f32_e32 v68, v76, v81
	v_dual_mul_f32 v73, v41, v81 :: v_dual_add_f32 v14, v14, v82
	v_dual_mul_f32 v65, v77, v79 :: v_dual_add_f32 v12, v12, v85
	;; [unrolled: 1-line block ×3, first 2 shown]
	v_dual_fmac_f32 v86, v41, v80 :: v_dual_add_f32 v15, v15, v83
	v_dual_fmac_f32 v68, v77, v80 :: v_dual_add_f32 v7, v7, v18
	v_dual_add_f32 v13, v13, v22 :: v_dual_add_f32 v6, v6, v21
	v_dual_add_f32 v9, v9, v23 :: v_dual_add_f32 v14, v14, v45
	s_delay_alu instid0(VALU_DEP_4) | instskip(NEXT) | instid1(VALU_DEP_3)
	v_dual_fmac_f32 v66, v77, v78 :: v_dual_add_f32 v15, v15, v89
	v_dual_add_f32 v13, v13, v24 :: v_dual_add_f32 v12, v12, v91
	s_delay_alu instid0(VALU_DEP_3) | instskip(NEXT) | instid1(VALU_DEP_4)
	v_dual_add_f32 v9, v9, v20 :: v_dual_add_f32 v8, v8, v26
	v_dual_add_f32 v7, v7, v27 :: v_dual_add_f32 v14, v14, v25
	s_delay_alu instid0(VALU_DEP_4) | instskip(NEXT) | instid1(VALU_DEP_4)
	v_dual_add_f32 v6, v6, v43 :: v_dual_add_f32 v15, v15, v84
	v_dual_add_f32 v13, v13, v30 :: v_dual_add_f32 v12, v12, v87
	s_delay_alu instid0(VALU_DEP_4) | instskip(NEXT) | instid1(VALU_DEP_3)
	v_dual_add_f32 v9, v9, v28 :: v_dual_add_f32 v8, v8, v29
	v_dual_add_f32 v7, v7, v31 :: v_dual_add_f32 v6, v6, v44
	s_delay_alu instid0(VALU_DEP_4) | instskip(NEXT) | instid1(VALU_DEP_4)
	v_dual_add_f32 v14, v14, v47 :: v_dual_add_f32 v15, v15, v49
	v_dual_add_f32 v13, v13, v32 :: v_dual_add_f32 v12, v12, v90
	s_delay_alu instid0(VALU_DEP_2) | instskip(NEXT) | instid1(VALU_DEP_4)
	v_dual_add_f32 v9, v9, v42 :: v_dual_add_f32 v14, v14, v33
	v_dual_add_f32 v8, v8, v46 :: v_dual_add_f32 v7, v7, v48
	s_delay_alu instid0(VALU_DEP_4) | instskip(NEXT) | instid1(VALU_DEP_4)
	v_dual_add_f32 v6, v6, v50 :: v_dual_add_f32 v15, v15, v51
	v_dual_add_f32 v13, v13, v34 :: v_dual_add_f32 v12, v12, v57
	s_delay_alu instid0(VALU_DEP_3) | instskip(NEXT) | instid1(VALU_DEP_4)
	v_dual_add_f32 v9, v9, v35 :: v_dual_add_f32 v8, v8, v53
	v_dual_add_f32 v7, v7, v52 :: v_dual_add_f32 v14, v14, v59
	s_delay_alu instid0(VALU_DEP_4) | instskip(NEXT) | instid1(VALU_DEP_3)
	v_dual_add_f32 v6, v6, v56 :: v_dual_add_f32 v15, v15, v61
	v_dual_add_f32 v13, v13, v36 :: v_dual_add_f32 v8, v8, v55
	s_delay_alu instid0(VALU_DEP_4) | instskip(NEXT) | instid1(VALU_DEP_3)
	v_dual_add_f32 v12, v12, v88 :: v_dual_add_f32 v9, v9, v54
	v_dual_add_f32 v7, v7, v58 :: v_dual_add_f32 v6, v6, v60
	v_fma_f32 v71, v40, v78, -v71
	v_fma_f32 v40, v40, v80, -v73
	;; [unrolled: 1-line block ×4, first 2 shown]
	v_dual_add_f32 v14, v14, v37 :: v_dual_add_f32 v15, v15, v63
	v_dual_add_f32 v13, v13, v38 :: v_dual_add_f32 v8, v8, v64
	;; [unrolled: 1-line block ×4, first 2 shown]
	s_delay_alu instid0(VALU_DEP_4) | instskip(NEXT) | instid1(VALU_DEP_3)
	v_dual_add_f32 v14, v14, v71 :: v_dual_add_f32 v15, v15, v72
	v_dual_add_f32 v13, v13, v40 :: v_dual_add_f32 v12, v12, v86
	s_delay_alu instid0(VALU_DEP_4) | instskip(NEXT) | instid1(VALU_DEP_4)
	v_dual_add_f32 v9, v9, v41 :: v_dual_add_f32 v8, v8, v66
	v_dual_add_f32 v7, v7, v65 :: v_dual_add_f32 v6, v6, v68
	s_cbranch_vccz .LBB1553_2
.LBB1553_3:
	v_add_nc_u32_e32 v5, s19, v5
	s_load_b32 s4, s[0:1], 0x0
	s_delay_alu instid0(VALU_DEP_1) | instskip(SKIP_2) | instid1(VALU_DEP_3)
	v_ashrrev_i32_e32 v0, 31, v5
	v_mul_lo_u32 v3, v5, s7
	v_mad_u64_u32 v[1:2], null, v5, s6, 0
	v_mul_lo_u32 v0, v0, s6
	s_delay_alu instid0(VALU_DEP_1) | instskip(SKIP_3) | instid1(VALU_DEP_3)
	v_add3_u32 v2, v2, v3, v0
	v_add_nc_u32_e32 v0, s18, v4
	s_waitcnt lgkmcnt(0)
	v_cmp_gt_i32_e32 vcc_lo, s4, v5
	v_lshlrev_b64 v[1:2], 3, v[1:2]
	s_delay_alu instid0(VALU_DEP_3) | instskip(NEXT) | instid1(VALU_DEP_1)
	v_cmp_le_i32_e64 s0, v0, v5
	s_and_b32 s0, vcc_lo, s0
	s_delay_alu instid0(VALU_DEP_2) | instskip(NEXT) | instid1(VALU_DEP_1)
	v_add_co_u32 v4, s1, s2, v1
	v_add_co_ci_u32_e64 v10, s1, s3, v2, s1
	s_and_saveexec_b32 s1, s0
	s_cbranch_execz .LBB1553_5
; %bb.4:
	v_ashrrev_i32_e32 v1, 31, v0
	s_delay_alu instid0(VALU_DEP_1) | instskip(NEXT) | instid1(VALU_DEP_1)
	v_lshlrev_b64 v[1:2], 3, v[0:1]
	v_add_co_u32 v1, s0, v4, v1
	s_delay_alu instid0(VALU_DEP_1)
	v_add_co_ci_u32_e64 v2, s0, v10, v2, s0
	global_load_b64 v[16:17], v[1:2], off
	s_waitcnt vmcnt(0)
	v_dual_sub_f32 v14, v14, v16 :: v_dual_sub_f32 v15, v15, v17
	global_store_b64 v[1:2], v[14:15], off
.LBB1553_5:
	s_or_b32 exec_lo, exec_lo, s1
	v_add_nc_u32_e32 v2, 16, v0
	s_delay_alu instid0(VALU_DEP_1) | instskip(NEXT) | instid1(VALU_DEP_1)
	v_cmp_le_i32_e64 s0, v2, v5
	s_and_b32 s1, vcc_lo, s0
	s_delay_alu instid0(SALU_CYCLE_1)
	s_and_saveexec_b32 s0, s1
	s_cbranch_execz .LBB1553_7
; %bb.6:
	v_ashrrev_i32_e32 v3, 31, v2
	s_delay_alu instid0(VALU_DEP_1) | instskip(NEXT) | instid1(VALU_DEP_1)
	v_lshlrev_b64 v[14:15], 3, v[2:3]
	v_add_co_u32 v3, vcc_lo, v4, v14
	s_delay_alu instid0(VALU_DEP_2)
	v_add_co_ci_u32_e32 v4, vcc_lo, v10, v15, vcc_lo
	global_load_b64 v[10:11], v[3:4], off
	s_waitcnt vmcnt(0)
	v_dual_sub_f32 v10, v13, v10 :: v_dual_sub_f32 v11, v12, v11
	global_store_b64 v[3:4], v[10:11], off
.LBB1553_7:
	s_or_b32 exec_lo, exec_lo, s0
	v_add_nc_u32_e32 v3, 16, v5
	s_delay_alu instid0(VALU_DEP_1) | instskip(SKIP_3) | instid1(VALU_DEP_4)
	v_ashrrev_i32_e32 v1, 31, v3
	v_mul_lo_u32 v10, v3, s7
	v_mad_u64_u32 v[4:5], null, v3, s6, 0
	v_cmp_gt_i32_e32 vcc_lo, s4, v3
	v_mul_lo_u32 v1, v1, s6
	v_cmp_le_i32_e64 s0, v0, v3
	s_delay_alu instid0(VALU_DEP_1) | instskip(NEXT) | instid1(VALU_DEP_2)
	s_and_b32 s0, vcc_lo, s0
	v_add3_u32 v5, v5, v10, v1
	s_delay_alu instid0(VALU_DEP_1) | instskip(NEXT) | instid1(VALU_DEP_1)
	v_lshlrev_b64 v[4:5], 3, v[4:5]
	v_add_co_u32 v4, s1, s2, v4
	s_delay_alu instid0(VALU_DEP_1)
	v_add_co_ci_u32_e64 v5, s1, s3, v5, s1
	s_and_saveexec_b32 s1, s0
	s_cbranch_execz .LBB1553_9
; %bb.8:
	v_ashrrev_i32_e32 v1, 31, v0
	s_delay_alu instid0(VALU_DEP_1) | instskip(NEXT) | instid1(VALU_DEP_1)
	v_lshlrev_b64 v[0:1], 3, v[0:1]
	v_add_co_u32 v0, s0, v4, v0
	s_delay_alu instid0(VALU_DEP_1)
	v_add_co_ci_u32_e64 v1, s0, v5, v1, s0
	global_load_b64 v[10:11], v[0:1], off
	s_waitcnt vmcnt(0)
	v_dual_sub_f32 v9, v9, v10 :: v_dual_sub_f32 v10, v8, v11
	global_store_b64 v[0:1], v[9:10], off
.LBB1553_9:
	s_or_b32 exec_lo, exec_lo, s1
	v_cmp_le_i32_e64 s0, v2, v3
	s_delay_alu instid0(VALU_DEP_1) | instskip(NEXT) | instid1(SALU_CYCLE_1)
	s_and_b32 s0, vcc_lo, s0
	s_and_saveexec_b32 s1, s0
	s_cbranch_execz .LBB1553_11
; %bb.10:
	v_ashrrev_i32_e32 v3, 31, v2
	s_delay_alu instid0(VALU_DEP_1) | instskip(NEXT) | instid1(VALU_DEP_1)
	v_lshlrev_b64 v[0:1], 3, v[2:3]
	v_add_co_u32 v0, vcc_lo, v4, v0
	s_delay_alu instid0(VALU_DEP_2)
	v_add_co_ci_u32_e32 v1, vcc_lo, v5, v1, vcc_lo
	global_load_b64 v[2:3], v[0:1], off
	s_waitcnt vmcnt(0)
	v_dual_sub_f32 v2, v7, v2 :: v_dual_sub_f32 v3, v6, v3
	global_store_b64 v[0:1], v[2:3], off
.LBB1553_11:
	s_nop 0
	s_sendmsg sendmsg(MSG_DEALLOC_VGPRS)
	s_endpgm
	.section	.rodata,"a",@progbits
	.p2align	6, 0x0
	.amdhsa_kernel _ZL37rocblas_syrkx_herkx_restricted_kernelIl19rocblas_complex_numIfELi16ELi32ELi8ELi1ELin1ELb0ELc78ELc85EKPKS1_KPS1_EviT_PT9_S7_lS9_S7_lPT10_S7_li
		.amdhsa_group_segment_fixed_size 4096
		.amdhsa_private_segment_fixed_size 0
		.amdhsa_kernarg_size 92
		.amdhsa_user_sgpr_count 13
		.amdhsa_user_sgpr_dispatch_ptr 0
		.amdhsa_user_sgpr_queue_ptr 0
		.amdhsa_user_sgpr_kernarg_segment_ptr 1
		.amdhsa_user_sgpr_dispatch_id 0
		.amdhsa_user_sgpr_private_segment_size 0
		.amdhsa_wavefront_size32 1
		.amdhsa_uses_dynamic_stack 0
		.amdhsa_enable_private_segment 0
		.amdhsa_system_sgpr_workgroup_id_x 1
		.amdhsa_system_sgpr_workgroup_id_y 1
		.amdhsa_system_sgpr_workgroup_id_z 1
		.amdhsa_system_sgpr_workgroup_info 0
		.amdhsa_system_vgpr_workitem_id 1
		.amdhsa_next_free_vgpr 92
		.amdhsa_next_free_sgpr 20
		.amdhsa_reserve_vcc 1
		.amdhsa_float_round_mode_32 0
		.amdhsa_float_round_mode_16_64 0
		.amdhsa_float_denorm_mode_32 3
		.amdhsa_float_denorm_mode_16_64 3
		.amdhsa_dx10_clamp 1
		.amdhsa_ieee_mode 1
		.amdhsa_fp16_overflow 0
		.amdhsa_workgroup_processor_mode 1
		.amdhsa_memory_ordered 1
		.amdhsa_forward_progress 0
		.amdhsa_shared_vgpr_count 0
		.amdhsa_exception_fp_ieee_invalid_op 0
		.amdhsa_exception_fp_denorm_src 0
		.amdhsa_exception_fp_ieee_div_zero 0
		.amdhsa_exception_fp_ieee_overflow 0
		.amdhsa_exception_fp_ieee_underflow 0
		.amdhsa_exception_fp_ieee_inexact 0
		.amdhsa_exception_int_div_zero 0
	.end_amdhsa_kernel
	.section	.text._ZL37rocblas_syrkx_herkx_restricted_kernelIl19rocblas_complex_numIfELi16ELi32ELi8ELi1ELin1ELb0ELc78ELc85EKPKS1_KPS1_EviT_PT9_S7_lS9_S7_lPT10_S7_li,"axG",@progbits,_ZL37rocblas_syrkx_herkx_restricted_kernelIl19rocblas_complex_numIfELi16ELi32ELi8ELi1ELin1ELb0ELc78ELc85EKPKS1_KPS1_EviT_PT9_S7_lS9_S7_lPT10_S7_li,comdat
.Lfunc_end1553:
	.size	_ZL37rocblas_syrkx_herkx_restricted_kernelIl19rocblas_complex_numIfELi16ELi32ELi8ELi1ELin1ELb0ELc78ELc85EKPKS1_KPS1_EviT_PT9_S7_lS9_S7_lPT10_S7_li, .Lfunc_end1553-_ZL37rocblas_syrkx_herkx_restricted_kernelIl19rocblas_complex_numIfELi16ELi32ELi8ELi1ELin1ELb0ELc78ELc85EKPKS1_KPS1_EviT_PT9_S7_lS9_S7_lPT10_S7_li
                                        ; -- End function
	.section	.AMDGPU.csdata,"",@progbits
; Kernel info:
; codeLenInByte = 2220
; NumSgprs: 22
; NumVgprs: 92
; ScratchSize: 0
; MemoryBound: 0
; FloatMode: 240
; IeeeMode: 1
; LDSByteSize: 4096 bytes/workgroup (compile time only)
; SGPRBlocks: 2
; VGPRBlocks: 11
; NumSGPRsForWavesPerEU: 22
; NumVGPRsForWavesPerEU: 92
; Occupancy: 16
; WaveLimiterHint : 1
; COMPUTE_PGM_RSRC2:SCRATCH_EN: 0
; COMPUTE_PGM_RSRC2:USER_SGPR: 13
; COMPUTE_PGM_RSRC2:TRAP_HANDLER: 0
; COMPUTE_PGM_RSRC2:TGID_X_EN: 1
; COMPUTE_PGM_RSRC2:TGID_Y_EN: 1
; COMPUTE_PGM_RSRC2:TGID_Z_EN: 1
; COMPUTE_PGM_RSRC2:TIDIG_COMP_CNT: 1
	.section	.text._ZL37rocblas_syrkx_herkx_restricted_kernelIl19rocblas_complex_numIfELi16ELi32ELi8ELi1ELi0ELb0ELc84ELc76EKPKS1_KPS1_EviT_PT9_S7_lS9_S7_lPT10_S7_li,"axG",@progbits,_ZL37rocblas_syrkx_herkx_restricted_kernelIl19rocblas_complex_numIfELi16ELi32ELi8ELi1ELi0ELb0ELc84ELc76EKPKS1_KPS1_EviT_PT9_S7_lS9_S7_lPT10_S7_li,comdat
	.globl	_ZL37rocblas_syrkx_herkx_restricted_kernelIl19rocblas_complex_numIfELi16ELi32ELi8ELi1ELi0ELb0ELc84ELc76EKPKS1_KPS1_EviT_PT9_S7_lS9_S7_lPT10_S7_li ; -- Begin function _ZL37rocblas_syrkx_herkx_restricted_kernelIl19rocblas_complex_numIfELi16ELi32ELi8ELi1ELi0ELb0ELc84ELc76EKPKS1_KPS1_EviT_PT9_S7_lS9_S7_lPT10_S7_li
	.p2align	8
	.type	_ZL37rocblas_syrkx_herkx_restricted_kernelIl19rocblas_complex_numIfELi16ELi32ELi8ELi1ELi0ELb0ELc84ELc76EKPKS1_KPS1_EviT_PT9_S7_lS9_S7_lPT10_S7_li,@function
_ZL37rocblas_syrkx_herkx_restricted_kernelIl19rocblas_complex_numIfELi16ELi32ELi8ELi1ELi0ELb0ELc84ELc76EKPKS1_KPS1_EviT_PT9_S7_lS9_S7_lPT10_S7_li: ; @_ZL37rocblas_syrkx_herkx_restricted_kernelIl19rocblas_complex_numIfELi16ELi32ELi8ELi1ELi0ELb0ELc84ELc76EKPKS1_KPS1_EviT_PT9_S7_lS9_S7_lPT10_S7_li
; %bb.0:
	s_clause 0x1
	s_load_b128 s[4:7], s[0:1], 0x40
	s_load_b128 s[8:11], s[0:1], 0x8
	s_mov_b32 s2, s15
	s_mov_b32 s3, 0
	v_dual_mov_b32 v7, 0 :: v_dual_and_b32 v12, 0x3ff, v0
	s_lshl_b64 s[16:17], s[2:3], 3
	v_bfe_u32 v13, v0, 10, 10
	v_dual_mov_b32 v6, 0 :: v_dual_mov_b32 v5, 0
	v_dual_mov_b32 v4, 0 :: v_dual_mov_b32 v3, 0
	;; [unrolled: 1-line block ×3, first 2 shown]
	v_mov_b32_e32 v0, 0
	s_waitcnt lgkmcnt(0)
	s_add_u32 s2, s4, s16
	s_addc_u32 s3, s5, s17
	v_cmp_lt_i64_e64 s4, s[8:9], 1
	s_load_b64 s[2:3], s[2:3], 0x0
	s_lshl_b32 s18, s13, 5
	s_lshl_b32 s19, s14, 5
	s_delay_alu instid0(VALU_DEP_1)
	s_and_b32 vcc_lo, exec_lo, s4
	s_cbranch_vccnz .LBB1554_3
; %bb.1:
	s_clause 0x1
	s_load_b128 s[12:15], s[0:1], 0x28
	s_load_b64 s[4:5], s[0:1], 0x18
	v_lshl_add_u32 v2, v13, 4, v12
	v_dual_mov_b32 v1, 0 :: v_dual_and_b32 v0, 7, v12
	s_add_u32 s10, s10, s16
	s_addc_u32 s11, s11, s17
	s_delay_alu instid0(VALU_DEP_2)
	v_lshrrev_b32_e32 v8, 3, v2
	v_and_b32_e32 v9, 31, v2
	v_lshrrev_b32_e32 v2, 5, v2
	v_mov_b32_e32 v3, v1
	s_load_b64 s[10:11], s[10:11], 0x0
	v_add_nc_u32_e32 v10, s19, v8
	v_add_nc_u32_e32 v6, s18, v9
	v_lshlrev_b32_e32 v9, 3, v9
	s_delay_alu instid0(VALU_DEP_3) | instskip(NEXT) | instid1(VALU_DEP_3)
	v_ashrrev_i32_e32 v4, 31, v10
	v_ashrrev_i32_e32 v5, 31, v6
	s_delay_alu instid0(VALU_DEP_3)
	v_lshl_or_b32 v16, v2, 8, v9
	s_waitcnt lgkmcnt(0)
	s_add_u32 s12, s12, s16
	s_addc_u32 s13, s13, s17
	v_mul_lo_u32 v11, v4, s14
	v_mul_lo_u32 v14, s4, v5
	v_mad_u64_u32 v[4:5], null, s4, v6, v[2:3]
	v_mul_lo_u32 v3, s5, v6
	s_load_b64 s[4:5], s[12:13], 0x0
	v_mul_lo_u32 v15, v10, s15
	v_mad_u64_u32 v[6:7], null, v10, s14, v[0:1]
	v_lshlrev_b32_e32 v0, 3, v0
	s_delay_alu instid0(VALU_DEP_4) | instskip(SKIP_1) | instid1(VALU_DEP_3)
	v_add3_u32 v5, v3, v5, v14
	v_lshlrev_b32_e32 v14, 3, v12
	v_lshl_or_b32 v0, v8, 6, v0
	v_add3_u32 v7, v11, v7, v15
	v_lshl_add_u32 v15, v13, 6, 0x800
	v_lshlrev_b64 v[3:4], 3, v[4:5]
	s_delay_alu instid0(VALU_DEP_4) | instskip(NEXT) | instid1(VALU_DEP_4)
	v_add_nc_u32_e32 v17, 0x800, v0
	v_lshlrev_b64 v[5:6], 3, v[6:7]
	v_mov_b32_e32 v7, v1
	s_delay_alu instid0(VALU_DEP_4) | instskip(SKIP_2) | instid1(VALU_DEP_4)
	v_add_co_u32 v0, vcc_lo, v3, s10
	v_add_co_ci_u32_e32 v2, vcc_lo, s11, v4, vcc_lo
	s_waitcnt lgkmcnt(0)
	v_add_co_u32 v3, vcc_lo, v5, s4
	v_add_co_ci_u32_e32 v4, vcc_lo, s5, v6, vcc_lo
	v_add_co_u32 v8, vcc_lo, v0, 4
	v_add_co_ci_u32_e32 v9, vcc_lo, 0, v2, vcc_lo
	s_delay_alu instid0(VALU_DEP_4) | instskip(NEXT) | instid1(VALU_DEP_4)
	v_add_co_u32 v10, vcc_lo, v3, 4
	v_add_co_ci_u32_e32 v11, vcc_lo, 0, v4, vcc_lo
	v_mov_b32_e32 v4, v1
	v_mov_b32_e32 v0, v1
	;; [unrolled: 1-line block ×6, first 2 shown]
	s_mov_b64 s[4:5], 0
.LBB1554_2:                             ; =>This Inner Loop Header: Depth=1
	global_load_b64 v[18:19], v[8:9], off offset:-4
	global_load_b64 v[20:21], v[10:11], off offset:-4
	s_add_u32 s4, s4, 8
	v_add_co_u32 v8, vcc_lo, v8, 64
	s_addc_u32 s5, s5, 0
	v_add_co_ci_u32_e32 v9, vcc_lo, 0, v9, vcc_lo
	v_cmp_ge_u64_e64 s10, s[4:5], s[8:9]
	v_add_co_u32 v10, vcc_lo, v10, 64
	v_add_co_ci_u32_e32 v11, vcc_lo, 0, v11, vcc_lo
	s_waitcnt vmcnt(1)
	ds_store_b64 v16, v[18:19]
	s_waitcnt vmcnt(0)
	ds_store_b64 v17, v[20:21]
	s_waitcnt lgkmcnt(0)
	s_barrier
	buffer_gl0_inv
	ds_load_2addr_b64 v[18:21], v14 offset1:16
	ds_load_b128 v[22:25], v15
	ds_load_b128 v[26:29], v15 offset:1024
	ds_load_b128 v[30:33], v15 offset:16
	;; [unrolled: 1-line block ×4, first 2 shown]
	ds_load_2addr_b64 v[42:45], v14 offset0:32 offset1:48
	ds_load_2addr_b64 v[46:49], v14 offset0:64 offset1:80
	ds_load_b128 v[50:53], v15 offset:1040
	ds_load_2addr_b64 v[54:57], v14 offset0:96 offset1:112
	ds_load_2addr_b64 v[58:61], v14 offset0:128 offset1:144
	;; [unrolled: 1-line block ×4, first 2 shown]
	ds_load_b128 v[70:73], v15 offset:1056
	ds_load_b128 v[74:77], v15 offset:1072
	ds_load_2addr_b64 v[78:81], v14 offset0:224 offset1:240
	s_and_b32 vcc_lo, exec_lo, s10
	s_waitcnt lgkmcnt(0)
	s_barrier
	buffer_gl0_inv
	v_dual_mul_f32 v82, v23, v19 :: v_dual_mul_f32 v85, v22, v21
	v_dual_mul_f32 v83, v22, v19 :: v_dual_mul_f32 v84, v23, v21
	v_mul_f32_e32 v86, v27, v19
	v_dual_mul_f32 v19, v26, v19 :: v_dual_mul_f32 v90, v25, v45
	v_dual_mul_f32 v87, v27, v21 :: v_dual_mul_f32 v88, v25, v43
	v_mul_f32_e32 v21, v26, v21
	v_mul_f32_e32 v89, v24, v43
	;; [unrolled: 1-line block ×3, first 2 shown]
	v_fma_f32 v82, v22, v18, -v82
	v_fmac_f32_e32 v83, v23, v18
	v_fma_f32 v22, v22, v20, -v84
	v_dual_fmac_f32 v85, v23, v20 :: v_dual_mul_f32 v84, v30, v47
	v_fma_f32 v23, v26, v18, -v86
	v_fmac_f32_e32 v19, v27, v18
	v_fma_f32 v18, v26, v20, -v87
	v_dual_mul_f32 v26, v28, v43 :: v_dual_fmac_f32 v21, v27, v20
	v_mul_f32_e32 v20, v29, v43
	v_mul_f32_e32 v27, v29, v45
	v_dual_mul_f32 v43, v28, v45 :: v_dual_fmac_f32 v84, v31, v46
	v_fma_f32 v45, v24, v42, -v88
	v_fma_f32 v24, v24, v44, -v90
	v_dual_fmac_f32 v91, v25, v44 :: v_dual_mul_f32 v90, v32, v57
	v_dual_mul_f32 v86, v31, v49 :: v_dual_fmac_f32 v89, v25, v42
	v_dual_mul_f32 v25, v31, v47 :: v_dual_mul_f32 v88, v33, v57
	v_fma_f32 v20, v28, v42, -v20
	v_fmac_f32_e32 v26, v29, v42
	v_fma_f32 v27, v28, v44, -v27
	v_dual_fmac_f32 v43, v29, v44 :: v_dual_mul_f32 v28, v51, v47
	v_dual_mul_f32 v29, v50, v47 :: v_dual_mul_f32 v42, v51, v49
	v_mul_f32_e32 v44, v50, v49
	v_mul_f32_e32 v87, v30, v49
	;; [unrolled: 1-line block ×3, first 2 shown]
	v_dual_mul_f32 v49, v32, v55 :: v_dual_fmac_f32 v90, v33, v56
	v_fma_f32 v25, v30, v46, -v25
	v_fma_f32 v30, v30, v48, -v86
	;; [unrolled: 1-line block ×3, first 2 shown]
	v_fmac_f32_e32 v44, v51, v48
	v_fmac_f32_e32 v87, v31, v48
	v_fma_f32 v31, v50, v48, -v42
	v_mul_f32_e32 v42, v53, v55
	v_mul_f32_e32 v48, v53, v57
	v_dual_mul_f32 v50, v52, v57 :: v_dual_fmac_f32 v29, v51, v46
	v_mul_f32_e32 v46, v52, v55
	v_fma_f32 v47, v32, v54, -v47
	v_fmac_f32_e32 v49, v33, v54
	v_fma_f32 v32, v32, v56, -v88
	s_delay_alu instid0(VALU_DEP_4)
	v_dual_mul_f32 v33, v35, v59 :: v_dual_fmac_f32 v46, v53, v54
	v_mul_f32_e32 v51, v34, v59
	v_mul_f32_e32 v55, v35, v61
	v_fma_f32 v42, v52, v54, -v42
	v_fma_f32 v48, v52, v56, -v48
	v_fmac_f32_e32 v50, v53, v56
	v_mul_f32_e32 v52, v71, v59
	v_dual_mul_f32 v53, v70, v59 :: v_dual_mul_f32 v86, v37, v65
	v_mul_f32_e32 v54, v71, v61
	v_dual_mul_f32 v56, v70, v61 :: v_dual_mul_f32 v59, v37, v63
	v_mul_f32_e32 v57, v34, v61
	v_mul_f32_e32 v61, v36, v63
	v_dual_mul_f32 v88, v36, v65 :: v_dual_fmac_f32 v51, v35, v58
	v_fma_f32 v33, v34, v58, -v33
	v_fmac_f32_e32 v53, v71, v58
	v_fmac_f32_e32 v56, v71, v60
	s_delay_alu instid0(VALU_DEP_4)
	v_fmac_f32_e32 v88, v37, v64
	v_fmac_f32_e32 v57, v35, v60
	v_fma_f32 v35, v70, v58, -v52
	v_fma_f32 v52, v70, v60, -v54
	v_mul_f32_e32 v54, v73, v63
	v_fma_f32 v34, v34, v60, -v55
	v_mul_f32_e32 v60, v72, v65
	v_dual_mul_f32 v55, v72, v63 :: v_dual_mul_f32 v70, v38, v69
	v_mul_f32_e32 v58, v73, v65
	v_fma_f32 v59, v36, v62, -v59
	v_fmac_f32_e32 v61, v37, v62
	v_fma_f32 v36, v36, v64, -v86
	v_dual_mul_f32 v37, v39, v67 :: v_dual_fmac_f32 v60, v73, v64
	v_dual_mul_f32 v63, v38, v67 :: v_dual_mul_f32 v86, v40, v81
	v_mul_f32_e32 v65, v39, v69
	v_fma_f32 v54, v72, v62, -v54
	v_fmac_f32_e32 v55, v73, v62
	v_fma_f32 v58, v72, v64, -v58
	v_mul_f32_e32 v72, v40, v79
	v_mul_f32_e32 v62, v75, v67
	v_dual_mul_f32 v64, v74, v67 :: v_dual_mul_f32 v67, v75, v69
	v_dual_mul_f32 v69, v74, v69 :: v_dual_fmac_f32 v70, v39, v68
	s_delay_alu instid0(VALU_DEP_2)
	v_dual_mul_f32 v71, v41, v79 :: v_dual_fmac_f32 v64, v75, v66
	v_fma_f32 v37, v38, v66, -v37
	v_fmac_f32_e32 v63, v39, v66
	v_fma_f32 v39, v74, v66, -v62
	v_dual_mul_f32 v66, v76, v79 :: v_dual_mul_f32 v73, v41, v81
	v_add_f32_e32 v6, v6, v82
	v_fma_f32 v38, v38, v68, -v65
	v_fma_f32 v62, v74, v68, -v67
	v_dual_fmac_f32 v69, v75, v68 :: v_dual_fmac_f32 v72, v41, v78
	v_dual_mul_f32 v65, v77, v79 :: v_dual_add_f32 v4, v4, v22
	v_dual_mul_f32 v67, v77, v81 :: v_dual_add_f32 v2, v2, v23
	v_mul_f32_e32 v68, v76, v81
	v_dual_fmac_f32 v86, v41, v80 :: v_dual_add_f32 v7, v7, v83
	v_dual_fmac_f32 v66, v77, v78 :: v_dual_add_f32 v3, v3, v19
	v_dual_add_f32 v5, v5, v85 :: v_dual_add_f32 v0, v0, v18
	v_dual_add_f32 v1, v1, v21 :: v_dual_add_f32 v4, v4, v24
	s_delay_alu instid0(VALU_DEP_4) | instskip(NEXT) | instid1(VALU_DEP_3)
	v_dual_fmac_f32 v68, v77, v80 :: v_dual_add_f32 v7, v7, v89
	v_dual_add_f32 v6, v6, v45 :: v_dual_add_f32 v5, v5, v91
	v_dual_add_f32 v2, v2, v20 :: v_dual_add_f32 v3, v3, v26
	s_delay_alu instid0(VALU_DEP_3) | instskip(NEXT) | instid1(VALU_DEP_3)
	v_dual_add_f32 v0, v0, v27 :: v_dual_add_f32 v7, v7, v84
	v_dual_add_f32 v1, v1, v43 :: v_dual_add_f32 v6, v6, v25
	s_delay_alu instid0(VALU_DEP_4) | instskip(NEXT) | instid1(VALU_DEP_4)
	v_dual_add_f32 v4, v4, v30 :: v_dual_add_f32 v5, v5, v87
	v_dual_add_f32 v2, v2, v28 :: v_dual_add_f32 v3, v3, v29
	s_delay_alu instid0(VALU_DEP_3) | instskip(NEXT) | instid1(VALU_DEP_4)
	v_dual_add_f32 v0, v0, v31 :: v_dual_add_f32 v1, v1, v44
	v_dual_add_f32 v6, v6, v47 :: v_dual_add_f32 v7, v7, v49
	s_delay_alu instid0(VALU_DEP_4) | instskip(NEXT) | instid1(VALU_DEP_4)
	v_dual_add_f32 v4, v4, v32 :: v_dual_add_f32 v5, v5, v90
	v_add_f32_e32 v2, v2, v42
	s_delay_alu instid0(VALU_DEP_4) | instskip(NEXT) | instid1(VALU_DEP_4)
	v_dual_add_f32 v3, v3, v46 :: v_dual_add_f32 v0, v0, v48
	v_dual_add_f32 v1, v1, v50 :: v_dual_add_f32 v6, v6, v33
	s_delay_alu instid0(VALU_DEP_4) | instskip(NEXT) | instid1(VALU_DEP_4)
	v_dual_add_f32 v7, v7, v51 :: v_dual_add_f32 v4, v4, v34
	v_dual_add_f32 v5, v5, v57 :: v_dual_add_f32 v2, v2, v35
	s_delay_alu instid0(VALU_DEP_4) | instskip(NEXT) | instid1(VALU_DEP_3)
	v_dual_add_f32 v3, v3, v53 :: v_dual_add_f32 v0, v0, v52
	v_add_f32_e32 v7, v7, v61
	v_dual_add_f32 v1, v1, v56 :: v_dual_add_f32 v6, v6, v59
	s_delay_alu instid0(VALU_DEP_3) | instskip(SKIP_1) | instid1(VALU_DEP_3)
	v_dual_add_f32 v4, v4, v36 :: v_dual_add_f32 v3, v3, v55
	v_dual_add_f32 v5, v5, v88 :: v_dual_add_f32 v2, v2, v54
	;; [unrolled: 1-line block ×3, first 2 shown]
	v_fma_f32 v71, v40, v78, -v71
	v_fma_f32 v40, v40, v80, -v73
	;; [unrolled: 1-line block ×4, first 2 shown]
	v_dual_add_f32 v6, v6, v37 :: v_dual_add_f32 v7, v7, v63
	v_dual_add_f32 v4, v4, v38 :: v_dual_add_f32 v3, v3, v64
	;; [unrolled: 1-line block ×4, first 2 shown]
	s_delay_alu instid0(VALU_DEP_4) | instskip(NEXT) | instid1(VALU_DEP_3)
	v_dual_add_f32 v6, v6, v71 :: v_dual_add_f32 v7, v7, v72
	v_dual_add_f32 v4, v4, v40 :: v_dual_add_f32 v5, v5, v86
	s_delay_alu instid0(VALU_DEP_4) | instskip(NEXT) | instid1(VALU_DEP_4)
	v_dual_add_f32 v2, v2, v41 :: v_dual_add_f32 v3, v3, v66
	v_dual_add_f32 v0, v0, v65 :: v_dual_add_f32 v1, v1, v68
	s_cbranch_vccz .LBB1554_2
.LBB1554_3:
	v_add_nc_u32_e32 v10, s19, v13
	s_load_b32 s4, s[0:1], 0x0
	s_delay_alu instid0(VALU_DEP_1) | instskip(SKIP_2) | instid1(VALU_DEP_3)
	v_ashrrev_i32_e32 v8, 31, v10
	v_mul_lo_u32 v9, v10, s7
	v_mad_u64_u32 v[13:14], null, v10, s6, 0
	v_mul_lo_u32 v8, v8, s6
	s_delay_alu instid0(VALU_DEP_1) | instskip(SKIP_1) | instid1(VALU_DEP_2)
	v_add3_u32 v14, v14, v9, v8
	v_add_nc_u32_e32 v8, s18, v12
	v_lshlrev_b64 v[11:12], 3, v[13:14]
	s_delay_alu instid0(VALU_DEP_2) | instskip(SKIP_2) | instid1(VALU_DEP_3)
	v_cmp_le_i32_e64 s0, v10, v8
	s_waitcnt lgkmcnt(0)
	v_cmp_gt_i32_e32 vcc_lo, s4, v8
	v_add_co_u32 v11, s1, s2, v11
	s_delay_alu instid0(VALU_DEP_1) | instskip(SKIP_1) | instid1(SALU_CYCLE_1)
	v_add_co_ci_u32_e64 v12, s1, s3, v12, s1
	s_and_b32 s0, s0, vcc_lo
	s_and_saveexec_b32 s1, s0
	s_cbranch_execz .LBB1554_5
; %bb.4:
	v_ashrrev_i32_e32 v9, 31, v8
	s_delay_alu instid0(VALU_DEP_1) | instskip(NEXT) | instid1(VALU_DEP_1)
	v_lshlrev_b64 v[13:14], 3, v[8:9]
	v_add_co_u32 v13, s0, v11, v13
	s_delay_alu instid0(VALU_DEP_1)
	v_add_co_ci_u32_e64 v14, s0, v12, v14, s0
	global_store_b64 v[13:14], v[6:7], off
.LBB1554_5:
	s_or_b32 exec_lo, exec_lo, s1
	v_add_nc_u32_e32 v6, 16, v8
	s_delay_alu instid0(VALU_DEP_1) | instskip(SKIP_1) | instid1(VALU_DEP_1)
	v_cmp_le_i32_e64 s1, v10, v6
	v_cmp_gt_i32_e64 s0, s4, v6
	s_and_b32 s1, s1, s0
	s_delay_alu instid0(SALU_CYCLE_1)
	s_and_saveexec_b32 s4, s1
	s_cbranch_execz .LBB1554_7
; %bb.6:
	v_ashrrev_i32_e32 v7, 31, v6
	s_delay_alu instid0(VALU_DEP_1) | instskip(NEXT) | instid1(VALU_DEP_1)
	v_lshlrev_b64 v[13:14], 3, v[6:7]
	v_add_co_u32 v11, s1, v11, v13
	s_delay_alu instid0(VALU_DEP_1)
	v_add_co_ci_u32_e64 v12, s1, v12, v14, s1
	global_store_b64 v[11:12], v[4:5], off
.LBB1554_7:
	s_or_b32 exec_lo, exec_lo, s4
	v_add_nc_u32_e32 v4, 16, v10
	s_delay_alu instid0(VALU_DEP_1) | instskip(SKIP_3) | instid1(VALU_DEP_4)
	v_ashrrev_i32_e32 v5, 31, v4
	v_mul_lo_u32 v7, v4, s7
	v_mad_u64_u32 v[9:10], null, v4, s6, 0
	v_cmp_le_i32_e64 s1, v4, v8
	v_mul_lo_u32 v5, v5, s6
	s_delay_alu instid0(VALU_DEP_1) | instskip(NEXT) | instid1(VALU_DEP_1)
	v_add3_u32 v10, v10, v7, v5
	v_lshlrev_b64 v[9:10], 3, v[9:10]
	s_delay_alu instid0(VALU_DEP_1) | instskip(NEXT) | instid1(VALU_DEP_1)
	v_add_co_u32 v5, s2, s2, v9
	v_add_co_ci_u32_e64 v10, s2, s3, v10, s2
	s_and_b32 s2, s1, vcc_lo
	s_delay_alu instid0(SALU_CYCLE_1)
	s_and_saveexec_b32 s1, s2
	s_cbranch_execz .LBB1554_9
; %bb.8:
	v_ashrrev_i32_e32 v9, 31, v8
	s_delay_alu instid0(VALU_DEP_1) | instskip(NEXT) | instid1(VALU_DEP_1)
	v_lshlrev_b64 v[7:8], 3, v[8:9]
	v_add_co_u32 v7, vcc_lo, v5, v7
	s_delay_alu instid0(VALU_DEP_2)
	v_add_co_ci_u32_e32 v8, vcc_lo, v10, v8, vcc_lo
	global_store_b64 v[7:8], v[2:3], off
.LBB1554_9:
	s_or_b32 exec_lo, exec_lo, s1
	v_cmp_le_i32_e32 vcc_lo, v4, v6
	s_and_b32 s0, vcc_lo, s0
	s_delay_alu instid0(SALU_CYCLE_1)
	s_and_saveexec_b32 s1, s0
	s_cbranch_execz .LBB1554_11
; %bb.10:
	v_ashrrev_i32_e32 v7, 31, v6
	s_delay_alu instid0(VALU_DEP_1) | instskip(NEXT) | instid1(VALU_DEP_1)
	v_lshlrev_b64 v[2:3], 3, v[6:7]
	v_add_co_u32 v2, vcc_lo, v5, v2
	s_delay_alu instid0(VALU_DEP_2)
	v_add_co_ci_u32_e32 v3, vcc_lo, v10, v3, vcc_lo
	global_store_b64 v[2:3], v[0:1], off
.LBB1554_11:
	s_nop 0
	s_sendmsg sendmsg(MSG_DEALLOC_VGPRS)
	s_endpgm
	.section	.rodata,"a",@progbits
	.p2align	6, 0x0
	.amdhsa_kernel _ZL37rocblas_syrkx_herkx_restricted_kernelIl19rocblas_complex_numIfELi16ELi32ELi8ELi1ELi0ELb0ELc84ELc76EKPKS1_KPS1_EviT_PT9_S7_lS9_S7_lPT10_S7_li
		.amdhsa_group_segment_fixed_size 4096
		.amdhsa_private_segment_fixed_size 0
		.amdhsa_kernarg_size 92
		.amdhsa_user_sgpr_count 13
		.amdhsa_user_sgpr_dispatch_ptr 0
		.amdhsa_user_sgpr_queue_ptr 0
		.amdhsa_user_sgpr_kernarg_segment_ptr 1
		.amdhsa_user_sgpr_dispatch_id 0
		.amdhsa_user_sgpr_private_segment_size 0
		.amdhsa_wavefront_size32 1
		.amdhsa_uses_dynamic_stack 0
		.amdhsa_enable_private_segment 0
		.amdhsa_system_sgpr_workgroup_id_x 1
		.amdhsa_system_sgpr_workgroup_id_y 1
		.amdhsa_system_sgpr_workgroup_id_z 1
		.amdhsa_system_sgpr_workgroup_info 0
		.amdhsa_system_vgpr_workitem_id 1
		.amdhsa_next_free_vgpr 92
		.amdhsa_next_free_sgpr 20
		.amdhsa_reserve_vcc 1
		.amdhsa_float_round_mode_32 0
		.amdhsa_float_round_mode_16_64 0
		.amdhsa_float_denorm_mode_32 3
		.amdhsa_float_denorm_mode_16_64 3
		.amdhsa_dx10_clamp 1
		.amdhsa_ieee_mode 1
		.amdhsa_fp16_overflow 0
		.amdhsa_workgroup_processor_mode 1
		.amdhsa_memory_ordered 1
		.amdhsa_forward_progress 0
		.amdhsa_shared_vgpr_count 0
		.amdhsa_exception_fp_ieee_invalid_op 0
		.amdhsa_exception_fp_denorm_src 0
		.amdhsa_exception_fp_ieee_div_zero 0
		.amdhsa_exception_fp_ieee_overflow 0
		.amdhsa_exception_fp_ieee_underflow 0
		.amdhsa_exception_fp_ieee_inexact 0
		.amdhsa_exception_int_div_zero 0
	.end_amdhsa_kernel
	.section	.text._ZL37rocblas_syrkx_herkx_restricted_kernelIl19rocblas_complex_numIfELi16ELi32ELi8ELi1ELi0ELb0ELc84ELc76EKPKS1_KPS1_EviT_PT9_S7_lS9_S7_lPT10_S7_li,"axG",@progbits,_ZL37rocblas_syrkx_herkx_restricted_kernelIl19rocblas_complex_numIfELi16ELi32ELi8ELi1ELi0ELb0ELc84ELc76EKPKS1_KPS1_EviT_PT9_S7_lS9_S7_lPT10_S7_li,comdat
.Lfunc_end1554:
	.size	_ZL37rocblas_syrkx_herkx_restricted_kernelIl19rocblas_complex_numIfELi16ELi32ELi8ELi1ELi0ELb0ELc84ELc76EKPKS1_KPS1_EviT_PT9_S7_lS9_S7_lPT10_S7_li, .Lfunc_end1554-_ZL37rocblas_syrkx_herkx_restricted_kernelIl19rocblas_complex_numIfELi16ELi32ELi8ELi1ELi0ELb0ELc84ELc76EKPKS1_KPS1_EviT_PT9_S7_lS9_S7_lPT10_S7_li
                                        ; -- End function
	.section	.AMDGPU.csdata,"",@progbits
; Kernel info:
; codeLenInByte = 2144
; NumSgprs: 22
; NumVgprs: 92
; ScratchSize: 0
; MemoryBound: 0
; FloatMode: 240
; IeeeMode: 1
; LDSByteSize: 4096 bytes/workgroup (compile time only)
; SGPRBlocks: 2
; VGPRBlocks: 11
; NumSGPRsForWavesPerEU: 22
; NumVGPRsForWavesPerEU: 92
; Occupancy: 16
; WaveLimiterHint : 1
; COMPUTE_PGM_RSRC2:SCRATCH_EN: 0
; COMPUTE_PGM_RSRC2:USER_SGPR: 13
; COMPUTE_PGM_RSRC2:TRAP_HANDLER: 0
; COMPUTE_PGM_RSRC2:TGID_X_EN: 1
; COMPUTE_PGM_RSRC2:TGID_Y_EN: 1
; COMPUTE_PGM_RSRC2:TGID_Z_EN: 1
; COMPUTE_PGM_RSRC2:TIDIG_COMP_CNT: 1
	.section	.text._ZL37rocblas_syrkx_herkx_restricted_kernelIl19rocblas_complex_numIfELi16ELi32ELi8ELi1ELi0ELb0ELc67ELc76EKPKS1_KPS1_EviT_PT9_S7_lS9_S7_lPT10_S7_li,"axG",@progbits,_ZL37rocblas_syrkx_herkx_restricted_kernelIl19rocblas_complex_numIfELi16ELi32ELi8ELi1ELi0ELb0ELc67ELc76EKPKS1_KPS1_EviT_PT9_S7_lS9_S7_lPT10_S7_li,comdat
	.globl	_ZL37rocblas_syrkx_herkx_restricted_kernelIl19rocblas_complex_numIfELi16ELi32ELi8ELi1ELi0ELb0ELc67ELc76EKPKS1_KPS1_EviT_PT9_S7_lS9_S7_lPT10_S7_li ; -- Begin function _ZL37rocblas_syrkx_herkx_restricted_kernelIl19rocblas_complex_numIfELi16ELi32ELi8ELi1ELi0ELb0ELc67ELc76EKPKS1_KPS1_EviT_PT9_S7_lS9_S7_lPT10_S7_li
	.p2align	8
	.type	_ZL37rocblas_syrkx_herkx_restricted_kernelIl19rocblas_complex_numIfELi16ELi32ELi8ELi1ELi0ELb0ELc67ELc76EKPKS1_KPS1_EviT_PT9_S7_lS9_S7_lPT10_S7_li,@function
_ZL37rocblas_syrkx_herkx_restricted_kernelIl19rocblas_complex_numIfELi16ELi32ELi8ELi1ELi0ELb0ELc67ELc76EKPKS1_KPS1_EviT_PT9_S7_lS9_S7_lPT10_S7_li: ; @_ZL37rocblas_syrkx_herkx_restricted_kernelIl19rocblas_complex_numIfELi16ELi32ELi8ELi1ELi0ELb0ELc67ELc76EKPKS1_KPS1_EviT_PT9_S7_lS9_S7_lPT10_S7_li
; %bb.0:
	s_clause 0x1
	s_load_b128 s[4:7], s[0:1], 0x40
	s_load_b128 s[8:11], s[0:1], 0x8
	s_mov_b32 s2, s15
	s_mov_b32 s3, 0
	v_dual_mov_b32 v7, 0 :: v_dual_and_b32 v12, 0x3ff, v0
	s_lshl_b64 s[16:17], s[2:3], 3
	v_bfe_u32 v13, v0, 10, 10
	v_dual_mov_b32 v6, 0 :: v_dual_mov_b32 v5, 0
	v_dual_mov_b32 v4, 0 :: v_dual_mov_b32 v3, 0
	;; [unrolled: 1-line block ×3, first 2 shown]
	v_mov_b32_e32 v0, 0
	s_waitcnt lgkmcnt(0)
	s_add_u32 s2, s4, s16
	s_addc_u32 s3, s5, s17
	v_cmp_lt_i64_e64 s4, s[8:9], 1
	s_load_b64 s[2:3], s[2:3], 0x0
	s_lshl_b32 s18, s13, 5
	s_lshl_b32 s19, s14, 5
	s_delay_alu instid0(VALU_DEP_1)
	s_and_b32 vcc_lo, exec_lo, s4
	s_cbranch_vccnz .LBB1555_3
; %bb.1:
	s_clause 0x1
	s_load_b128 s[12:15], s[0:1], 0x28
	s_load_b64 s[4:5], s[0:1], 0x18
	v_lshl_add_u32 v2, v13, 4, v12
	v_dual_mov_b32 v1, 0 :: v_dual_and_b32 v0, 7, v12
	s_add_u32 s10, s10, s16
	s_addc_u32 s11, s11, s17
	s_delay_alu instid0(VALU_DEP_2)
	v_lshrrev_b32_e32 v8, 3, v2
	v_and_b32_e32 v9, 31, v2
	v_lshrrev_b32_e32 v2, 5, v2
	v_mov_b32_e32 v3, v1
	s_load_b64 s[10:11], s[10:11], 0x0
	v_add_nc_u32_e32 v10, s19, v8
	v_add_nc_u32_e32 v6, s18, v9
	v_lshlrev_b32_e32 v9, 3, v9
	s_delay_alu instid0(VALU_DEP_3) | instskip(NEXT) | instid1(VALU_DEP_3)
	v_ashrrev_i32_e32 v4, 31, v10
	v_ashrrev_i32_e32 v5, 31, v6
	s_delay_alu instid0(VALU_DEP_3)
	v_lshl_or_b32 v16, v2, 8, v9
	s_waitcnt lgkmcnt(0)
	s_add_u32 s12, s12, s16
	s_addc_u32 s13, s13, s17
	v_mul_lo_u32 v11, v4, s14
	v_mul_lo_u32 v14, s4, v5
	v_mad_u64_u32 v[4:5], null, s4, v6, v[2:3]
	v_mul_lo_u32 v3, s5, v6
	s_load_b64 s[4:5], s[12:13], 0x0
	v_mul_lo_u32 v15, v10, s15
	v_mad_u64_u32 v[6:7], null, v10, s14, v[0:1]
	v_lshlrev_b32_e32 v0, 3, v0
	s_delay_alu instid0(VALU_DEP_4) | instskip(SKIP_1) | instid1(VALU_DEP_3)
	v_add3_u32 v5, v3, v5, v14
	v_lshlrev_b32_e32 v14, 3, v12
	v_lshl_or_b32 v0, v8, 6, v0
	v_add3_u32 v7, v11, v7, v15
	v_lshl_add_u32 v15, v13, 6, 0x800
	v_lshlrev_b64 v[3:4], 3, v[4:5]
	s_delay_alu instid0(VALU_DEP_4) | instskip(NEXT) | instid1(VALU_DEP_4)
	v_add_nc_u32_e32 v17, 0x800, v0
	v_lshlrev_b64 v[5:6], 3, v[6:7]
	v_mov_b32_e32 v7, v1
	s_delay_alu instid0(VALU_DEP_4) | instskip(SKIP_2) | instid1(VALU_DEP_4)
	v_add_co_u32 v0, vcc_lo, v3, s10
	v_add_co_ci_u32_e32 v2, vcc_lo, s11, v4, vcc_lo
	s_waitcnt lgkmcnt(0)
	v_add_co_u32 v3, vcc_lo, v5, s4
	v_add_co_ci_u32_e32 v4, vcc_lo, s5, v6, vcc_lo
	v_add_co_u32 v8, vcc_lo, v0, 4
	v_add_co_ci_u32_e32 v9, vcc_lo, 0, v2, vcc_lo
	s_delay_alu instid0(VALU_DEP_4) | instskip(NEXT) | instid1(VALU_DEP_4)
	v_add_co_u32 v10, vcc_lo, v3, 4
	v_add_co_ci_u32_e32 v11, vcc_lo, 0, v4, vcc_lo
	v_mov_b32_e32 v4, v1
	v_mov_b32_e32 v0, v1
	;; [unrolled: 1-line block ×6, first 2 shown]
	s_mov_b64 s[4:5], 0
.LBB1555_2:                             ; =>This Inner Loop Header: Depth=1
	global_load_b64 v[18:19], v[8:9], off offset:-4
	global_load_b64 v[20:21], v[10:11], off offset:-4
	s_add_u32 s4, s4, 8
	v_add_co_u32 v8, vcc_lo, v8, 64
	s_addc_u32 s5, s5, 0
	v_add_co_ci_u32_e32 v9, vcc_lo, 0, v9, vcc_lo
	v_cmp_ge_u64_e64 s10, s[4:5], s[8:9]
	v_add_co_u32 v10, vcc_lo, v10, 64
	v_add_co_ci_u32_e32 v11, vcc_lo, 0, v11, vcc_lo
	s_waitcnt vmcnt(1)
	ds_store_b64 v16, v[18:19]
	s_waitcnt vmcnt(0)
	ds_store_b64 v17, v[20:21]
	s_waitcnt lgkmcnt(0)
	s_barrier
	buffer_gl0_inv
	ds_load_2addr_b64 v[18:21], v14 offset1:16
	ds_load_b128 v[22:25], v15
	ds_load_b128 v[26:29], v15 offset:1024
	ds_load_b128 v[30:33], v15 offset:16
	;; [unrolled: 1-line block ×4, first 2 shown]
	ds_load_2addr_b64 v[42:45], v14 offset0:32 offset1:48
	ds_load_2addr_b64 v[46:49], v14 offset0:64 offset1:80
	ds_load_b128 v[50:53], v15 offset:1040
	ds_load_2addr_b64 v[54:57], v14 offset0:96 offset1:112
	ds_load_2addr_b64 v[58:61], v14 offset0:128 offset1:144
	;; [unrolled: 1-line block ×4, first 2 shown]
	ds_load_b128 v[70:73], v15 offset:1056
	ds_load_b128 v[74:77], v15 offset:1072
	ds_load_2addr_b64 v[78:81], v14 offset0:224 offset1:240
	s_and_b32 vcc_lo, exec_lo, s10
	s_waitcnt lgkmcnt(0)
	s_barrier
	buffer_gl0_inv
	v_dual_mul_f32 v82, v23, v19 :: v_dual_mul_f32 v85, v22, v21
	v_dual_mul_f32 v83, v22, v19 :: v_dual_mul_f32 v84, v23, v21
	v_mul_f32_e32 v86, v27, v19
	v_dual_mul_f32 v19, v26, v19 :: v_dual_mul_f32 v90, v25, v45
	v_dual_mul_f32 v87, v27, v21 :: v_dual_mul_f32 v88, v25, v43
	v_mul_f32_e32 v21, v26, v21
	v_mul_f32_e32 v89, v24, v43
	;; [unrolled: 1-line block ×3, first 2 shown]
	v_fma_f32 v82, v22, v18, -v82
	v_fmac_f32_e32 v83, v23, v18
	v_fma_f32 v22, v22, v20, -v84
	v_dual_fmac_f32 v85, v23, v20 :: v_dual_mul_f32 v84, v30, v47
	v_fma_f32 v23, v26, v18, -v86
	v_fmac_f32_e32 v19, v27, v18
	v_fma_f32 v18, v26, v20, -v87
	v_dual_mul_f32 v26, v28, v43 :: v_dual_fmac_f32 v21, v27, v20
	v_mul_f32_e32 v20, v29, v43
	v_mul_f32_e32 v27, v29, v45
	v_dual_mul_f32 v43, v28, v45 :: v_dual_fmac_f32 v84, v31, v46
	v_fma_f32 v45, v24, v42, -v88
	v_fma_f32 v24, v24, v44, -v90
	v_dual_fmac_f32 v91, v25, v44 :: v_dual_mul_f32 v90, v32, v57
	v_dual_mul_f32 v86, v31, v49 :: v_dual_fmac_f32 v89, v25, v42
	v_dual_mul_f32 v25, v31, v47 :: v_dual_mul_f32 v88, v33, v57
	v_fma_f32 v20, v28, v42, -v20
	v_fmac_f32_e32 v26, v29, v42
	v_fma_f32 v27, v28, v44, -v27
	v_dual_fmac_f32 v43, v29, v44 :: v_dual_mul_f32 v28, v51, v47
	v_dual_mul_f32 v29, v50, v47 :: v_dual_mul_f32 v42, v51, v49
	v_mul_f32_e32 v44, v50, v49
	v_mul_f32_e32 v87, v30, v49
	;; [unrolled: 1-line block ×3, first 2 shown]
	v_dual_mul_f32 v49, v32, v55 :: v_dual_fmac_f32 v90, v33, v56
	v_fma_f32 v25, v30, v46, -v25
	v_fma_f32 v30, v30, v48, -v86
	;; [unrolled: 1-line block ×3, first 2 shown]
	v_fmac_f32_e32 v44, v51, v48
	v_fmac_f32_e32 v87, v31, v48
	v_fma_f32 v31, v50, v48, -v42
	v_mul_f32_e32 v42, v53, v55
	v_mul_f32_e32 v48, v53, v57
	v_dual_mul_f32 v50, v52, v57 :: v_dual_fmac_f32 v29, v51, v46
	v_mul_f32_e32 v46, v52, v55
	v_fma_f32 v47, v32, v54, -v47
	v_fmac_f32_e32 v49, v33, v54
	v_fma_f32 v32, v32, v56, -v88
	s_delay_alu instid0(VALU_DEP_4)
	v_dual_mul_f32 v33, v35, v59 :: v_dual_fmac_f32 v46, v53, v54
	v_mul_f32_e32 v51, v34, v59
	v_mul_f32_e32 v55, v35, v61
	v_fma_f32 v42, v52, v54, -v42
	v_fma_f32 v48, v52, v56, -v48
	v_fmac_f32_e32 v50, v53, v56
	v_mul_f32_e32 v52, v71, v59
	v_dual_mul_f32 v53, v70, v59 :: v_dual_mul_f32 v86, v37, v65
	v_mul_f32_e32 v54, v71, v61
	v_dual_mul_f32 v56, v70, v61 :: v_dual_mul_f32 v59, v37, v63
	v_mul_f32_e32 v57, v34, v61
	v_mul_f32_e32 v61, v36, v63
	v_dual_mul_f32 v88, v36, v65 :: v_dual_fmac_f32 v51, v35, v58
	v_fma_f32 v33, v34, v58, -v33
	v_fmac_f32_e32 v53, v71, v58
	v_fmac_f32_e32 v56, v71, v60
	s_delay_alu instid0(VALU_DEP_4)
	v_fmac_f32_e32 v88, v37, v64
	v_fmac_f32_e32 v57, v35, v60
	v_fma_f32 v35, v70, v58, -v52
	v_fma_f32 v52, v70, v60, -v54
	v_mul_f32_e32 v54, v73, v63
	v_fma_f32 v34, v34, v60, -v55
	v_mul_f32_e32 v60, v72, v65
	v_dual_mul_f32 v55, v72, v63 :: v_dual_mul_f32 v70, v38, v69
	v_mul_f32_e32 v58, v73, v65
	v_fma_f32 v59, v36, v62, -v59
	v_fmac_f32_e32 v61, v37, v62
	v_fma_f32 v36, v36, v64, -v86
	v_dual_mul_f32 v37, v39, v67 :: v_dual_fmac_f32 v60, v73, v64
	v_dual_mul_f32 v63, v38, v67 :: v_dual_mul_f32 v86, v40, v81
	v_mul_f32_e32 v65, v39, v69
	v_fma_f32 v54, v72, v62, -v54
	v_fmac_f32_e32 v55, v73, v62
	v_fma_f32 v58, v72, v64, -v58
	v_mul_f32_e32 v72, v40, v79
	v_mul_f32_e32 v62, v75, v67
	v_dual_mul_f32 v64, v74, v67 :: v_dual_mul_f32 v67, v75, v69
	v_dual_mul_f32 v69, v74, v69 :: v_dual_fmac_f32 v70, v39, v68
	s_delay_alu instid0(VALU_DEP_2)
	v_dual_mul_f32 v71, v41, v79 :: v_dual_fmac_f32 v64, v75, v66
	v_fma_f32 v37, v38, v66, -v37
	v_fmac_f32_e32 v63, v39, v66
	v_fma_f32 v39, v74, v66, -v62
	v_dual_mul_f32 v66, v76, v79 :: v_dual_mul_f32 v73, v41, v81
	v_add_f32_e32 v6, v6, v82
	v_fma_f32 v38, v38, v68, -v65
	v_fma_f32 v62, v74, v68, -v67
	v_dual_fmac_f32 v69, v75, v68 :: v_dual_fmac_f32 v72, v41, v78
	v_dual_mul_f32 v65, v77, v79 :: v_dual_add_f32 v4, v4, v22
	v_dual_mul_f32 v67, v77, v81 :: v_dual_add_f32 v2, v2, v23
	v_mul_f32_e32 v68, v76, v81
	v_dual_fmac_f32 v86, v41, v80 :: v_dual_add_f32 v7, v7, v83
	v_dual_fmac_f32 v66, v77, v78 :: v_dual_add_f32 v3, v3, v19
	v_dual_add_f32 v5, v5, v85 :: v_dual_add_f32 v0, v0, v18
	v_dual_add_f32 v1, v1, v21 :: v_dual_add_f32 v4, v4, v24
	s_delay_alu instid0(VALU_DEP_4) | instskip(NEXT) | instid1(VALU_DEP_3)
	v_dual_fmac_f32 v68, v77, v80 :: v_dual_add_f32 v7, v7, v89
	v_dual_add_f32 v6, v6, v45 :: v_dual_add_f32 v5, v5, v91
	v_dual_add_f32 v2, v2, v20 :: v_dual_add_f32 v3, v3, v26
	s_delay_alu instid0(VALU_DEP_3) | instskip(NEXT) | instid1(VALU_DEP_3)
	v_dual_add_f32 v0, v0, v27 :: v_dual_add_f32 v7, v7, v84
	v_dual_add_f32 v1, v1, v43 :: v_dual_add_f32 v6, v6, v25
	s_delay_alu instid0(VALU_DEP_4) | instskip(NEXT) | instid1(VALU_DEP_4)
	v_dual_add_f32 v4, v4, v30 :: v_dual_add_f32 v5, v5, v87
	v_dual_add_f32 v2, v2, v28 :: v_dual_add_f32 v3, v3, v29
	s_delay_alu instid0(VALU_DEP_3) | instskip(NEXT) | instid1(VALU_DEP_4)
	v_dual_add_f32 v0, v0, v31 :: v_dual_add_f32 v1, v1, v44
	v_dual_add_f32 v6, v6, v47 :: v_dual_add_f32 v7, v7, v49
	s_delay_alu instid0(VALU_DEP_4) | instskip(NEXT) | instid1(VALU_DEP_4)
	v_dual_add_f32 v4, v4, v32 :: v_dual_add_f32 v5, v5, v90
	v_add_f32_e32 v2, v2, v42
	s_delay_alu instid0(VALU_DEP_4) | instskip(NEXT) | instid1(VALU_DEP_4)
	v_dual_add_f32 v3, v3, v46 :: v_dual_add_f32 v0, v0, v48
	v_dual_add_f32 v1, v1, v50 :: v_dual_add_f32 v6, v6, v33
	s_delay_alu instid0(VALU_DEP_4) | instskip(NEXT) | instid1(VALU_DEP_4)
	v_dual_add_f32 v7, v7, v51 :: v_dual_add_f32 v4, v4, v34
	v_dual_add_f32 v5, v5, v57 :: v_dual_add_f32 v2, v2, v35
	s_delay_alu instid0(VALU_DEP_4) | instskip(NEXT) | instid1(VALU_DEP_3)
	v_dual_add_f32 v3, v3, v53 :: v_dual_add_f32 v0, v0, v52
	v_add_f32_e32 v7, v7, v61
	v_dual_add_f32 v1, v1, v56 :: v_dual_add_f32 v6, v6, v59
	s_delay_alu instid0(VALU_DEP_3) | instskip(SKIP_1) | instid1(VALU_DEP_3)
	v_dual_add_f32 v4, v4, v36 :: v_dual_add_f32 v3, v3, v55
	v_dual_add_f32 v5, v5, v88 :: v_dual_add_f32 v2, v2, v54
	;; [unrolled: 1-line block ×3, first 2 shown]
	v_fma_f32 v71, v40, v78, -v71
	v_fma_f32 v40, v40, v80, -v73
	;; [unrolled: 1-line block ×4, first 2 shown]
	v_dual_add_f32 v6, v6, v37 :: v_dual_add_f32 v7, v7, v63
	v_dual_add_f32 v4, v4, v38 :: v_dual_add_f32 v3, v3, v64
	;; [unrolled: 1-line block ×4, first 2 shown]
	s_delay_alu instid0(VALU_DEP_4) | instskip(NEXT) | instid1(VALU_DEP_3)
	v_dual_add_f32 v6, v6, v71 :: v_dual_add_f32 v7, v7, v72
	v_dual_add_f32 v4, v4, v40 :: v_dual_add_f32 v5, v5, v86
	s_delay_alu instid0(VALU_DEP_4) | instskip(NEXT) | instid1(VALU_DEP_4)
	v_dual_add_f32 v2, v2, v41 :: v_dual_add_f32 v3, v3, v66
	v_dual_add_f32 v0, v0, v65 :: v_dual_add_f32 v1, v1, v68
	s_cbranch_vccz .LBB1555_2
.LBB1555_3:
	v_add_nc_u32_e32 v10, s19, v13
	s_load_b32 s4, s[0:1], 0x0
	s_delay_alu instid0(VALU_DEP_1) | instskip(SKIP_2) | instid1(VALU_DEP_3)
	v_ashrrev_i32_e32 v8, 31, v10
	v_mul_lo_u32 v9, v10, s7
	v_mad_u64_u32 v[13:14], null, v10, s6, 0
	v_mul_lo_u32 v8, v8, s6
	s_delay_alu instid0(VALU_DEP_1) | instskip(SKIP_1) | instid1(VALU_DEP_2)
	v_add3_u32 v14, v14, v9, v8
	v_add_nc_u32_e32 v8, s18, v12
	v_lshlrev_b64 v[11:12], 3, v[13:14]
	s_delay_alu instid0(VALU_DEP_2) | instskip(SKIP_2) | instid1(VALU_DEP_3)
	v_cmp_le_i32_e64 s0, v10, v8
	s_waitcnt lgkmcnt(0)
	v_cmp_gt_i32_e32 vcc_lo, s4, v8
	v_add_co_u32 v11, s1, s2, v11
	s_delay_alu instid0(VALU_DEP_1) | instskip(SKIP_1) | instid1(SALU_CYCLE_1)
	v_add_co_ci_u32_e64 v12, s1, s3, v12, s1
	s_and_b32 s0, s0, vcc_lo
	s_and_saveexec_b32 s1, s0
	s_cbranch_execz .LBB1555_5
; %bb.4:
	v_ashrrev_i32_e32 v9, 31, v8
	s_delay_alu instid0(VALU_DEP_1) | instskip(NEXT) | instid1(VALU_DEP_1)
	v_lshlrev_b64 v[13:14], 3, v[8:9]
	v_add_co_u32 v13, s0, v11, v13
	s_delay_alu instid0(VALU_DEP_1)
	v_add_co_ci_u32_e64 v14, s0, v12, v14, s0
	global_store_b64 v[13:14], v[6:7], off
.LBB1555_5:
	s_or_b32 exec_lo, exec_lo, s1
	v_add_nc_u32_e32 v6, 16, v8
	s_delay_alu instid0(VALU_DEP_1) | instskip(SKIP_1) | instid1(VALU_DEP_1)
	v_cmp_le_i32_e64 s1, v10, v6
	v_cmp_gt_i32_e64 s0, s4, v6
	s_and_b32 s1, s1, s0
	s_delay_alu instid0(SALU_CYCLE_1)
	s_and_saveexec_b32 s4, s1
	s_cbranch_execz .LBB1555_7
; %bb.6:
	v_ashrrev_i32_e32 v7, 31, v6
	s_delay_alu instid0(VALU_DEP_1) | instskip(NEXT) | instid1(VALU_DEP_1)
	v_lshlrev_b64 v[13:14], 3, v[6:7]
	v_add_co_u32 v11, s1, v11, v13
	s_delay_alu instid0(VALU_DEP_1)
	v_add_co_ci_u32_e64 v12, s1, v12, v14, s1
	global_store_b64 v[11:12], v[4:5], off
.LBB1555_7:
	s_or_b32 exec_lo, exec_lo, s4
	v_add_nc_u32_e32 v4, 16, v10
	s_delay_alu instid0(VALU_DEP_1) | instskip(SKIP_3) | instid1(VALU_DEP_4)
	v_ashrrev_i32_e32 v5, 31, v4
	v_mul_lo_u32 v7, v4, s7
	v_mad_u64_u32 v[9:10], null, v4, s6, 0
	v_cmp_le_i32_e64 s1, v4, v8
	v_mul_lo_u32 v5, v5, s6
	s_delay_alu instid0(VALU_DEP_1) | instskip(NEXT) | instid1(VALU_DEP_1)
	v_add3_u32 v10, v10, v7, v5
	v_lshlrev_b64 v[9:10], 3, v[9:10]
	s_delay_alu instid0(VALU_DEP_1) | instskip(NEXT) | instid1(VALU_DEP_1)
	v_add_co_u32 v5, s2, s2, v9
	v_add_co_ci_u32_e64 v10, s2, s3, v10, s2
	s_and_b32 s2, s1, vcc_lo
	s_delay_alu instid0(SALU_CYCLE_1)
	s_and_saveexec_b32 s1, s2
	s_cbranch_execz .LBB1555_9
; %bb.8:
	v_ashrrev_i32_e32 v9, 31, v8
	s_delay_alu instid0(VALU_DEP_1) | instskip(NEXT) | instid1(VALU_DEP_1)
	v_lshlrev_b64 v[7:8], 3, v[8:9]
	v_add_co_u32 v7, vcc_lo, v5, v7
	s_delay_alu instid0(VALU_DEP_2)
	v_add_co_ci_u32_e32 v8, vcc_lo, v10, v8, vcc_lo
	global_store_b64 v[7:8], v[2:3], off
.LBB1555_9:
	s_or_b32 exec_lo, exec_lo, s1
	v_cmp_le_i32_e32 vcc_lo, v4, v6
	s_and_b32 s0, vcc_lo, s0
	s_delay_alu instid0(SALU_CYCLE_1)
	s_and_saveexec_b32 s1, s0
	s_cbranch_execz .LBB1555_11
; %bb.10:
	v_ashrrev_i32_e32 v7, 31, v6
	s_delay_alu instid0(VALU_DEP_1) | instskip(NEXT) | instid1(VALU_DEP_1)
	v_lshlrev_b64 v[2:3], 3, v[6:7]
	v_add_co_u32 v2, vcc_lo, v5, v2
	s_delay_alu instid0(VALU_DEP_2)
	v_add_co_ci_u32_e32 v3, vcc_lo, v10, v3, vcc_lo
	global_store_b64 v[2:3], v[0:1], off
.LBB1555_11:
	s_nop 0
	s_sendmsg sendmsg(MSG_DEALLOC_VGPRS)
	s_endpgm
	.section	.rodata,"a",@progbits
	.p2align	6, 0x0
	.amdhsa_kernel _ZL37rocblas_syrkx_herkx_restricted_kernelIl19rocblas_complex_numIfELi16ELi32ELi8ELi1ELi0ELb0ELc67ELc76EKPKS1_KPS1_EviT_PT9_S7_lS9_S7_lPT10_S7_li
		.amdhsa_group_segment_fixed_size 4096
		.amdhsa_private_segment_fixed_size 0
		.amdhsa_kernarg_size 92
		.amdhsa_user_sgpr_count 13
		.amdhsa_user_sgpr_dispatch_ptr 0
		.amdhsa_user_sgpr_queue_ptr 0
		.amdhsa_user_sgpr_kernarg_segment_ptr 1
		.amdhsa_user_sgpr_dispatch_id 0
		.amdhsa_user_sgpr_private_segment_size 0
		.amdhsa_wavefront_size32 1
		.amdhsa_uses_dynamic_stack 0
		.amdhsa_enable_private_segment 0
		.amdhsa_system_sgpr_workgroup_id_x 1
		.amdhsa_system_sgpr_workgroup_id_y 1
		.amdhsa_system_sgpr_workgroup_id_z 1
		.amdhsa_system_sgpr_workgroup_info 0
		.amdhsa_system_vgpr_workitem_id 1
		.amdhsa_next_free_vgpr 92
		.amdhsa_next_free_sgpr 20
		.amdhsa_reserve_vcc 1
		.amdhsa_float_round_mode_32 0
		.amdhsa_float_round_mode_16_64 0
		.amdhsa_float_denorm_mode_32 3
		.amdhsa_float_denorm_mode_16_64 3
		.amdhsa_dx10_clamp 1
		.amdhsa_ieee_mode 1
		.amdhsa_fp16_overflow 0
		.amdhsa_workgroup_processor_mode 1
		.amdhsa_memory_ordered 1
		.amdhsa_forward_progress 0
		.amdhsa_shared_vgpr_count 0
		.amdhsa_exception_fp_ieee_invalid_op 0
		.amdhsa_exception_fp_denorm_src 0
		.amdhsa_exception_fp_ieee_div_zero 0
		.amdhsa_exception_fp_ieee_overflow 0
		.amdhsa_exception_fp_ieee_underflow 0
		.amdhsa_exception_fp_ieee_inexact 0
		.amdhsa_exception_int_div_zero 0
	.end_amdhsa_kernel
	.section	.text._ZL37rocblas_syrkx_herkx_restricted_kernelIl19rocblas_complex_numIfELi16ELi32ELi8ELi1ELi0ELb0ELc67ELc76EKPKS1_KPS1_EviT_PT9_S7_lS9_S7_lPT10_S7_li,"axG",@progbits,_ZL37rocblas_syrkx_herkx_restricted_kernelIl19rocblas_complex_numIfELi16ELi32ELi8ELi1ELi0ELb0ELc67ELc76EKPKS1_KPS1_EviT_PT9_S7_lS9_S7_lPT10_S7_li,comdat
.Lfunc_end1555:
	.size	_ZL37rocblas_syrkx_herkx_restricted_kernelIl19rocblas_complex_numIfELi16ELi32ELi8ELi1ELi0ELb0ELc67ELc76EKPKS1_KPS1_EviT_PT9_S7_lS9_S7_lPT10_S7_li, .Lfunc_end1555-_ZL37rocblas_syrkx_herkx_restricted_kernelIl19rocblas_complex_numIfELi16ELi32ELi8ELi1ELi0ELb0ELc67ELc76EKPKS1_KPS1_EviT_PT9_S7_lS9_S7_lPT10_S7_li
                                        ; -- End function
	.section	.AMDGPU.csdata,"",@progbits
; Kernel info:
; codeLenInByte = 2144
; NumSgprs: 22
; NumVgprs: 92
; ScratchSize: 0
; MemoryBound: 0
; FloatMode: 240
; IeeeMode: 1
; LDSByteSize: 4096 bytes/workgroup (compile time only)
; SGPRBlocks: 2
; VGPRBlocks: 11
; NumSGPRsForWavesPerEU: 22
; NumVGPRsForWavesPerEU: 92
; Occupancy: 16
; WaveLimiterHint : 1
; COMPUTE_PGM_RSRC2:SCRATCH_EN: 0
; COMPUTE_PGM_RSRC2:USER_SGPR: 13
; COMPUTE_PGM_RSRC2:TRAP_HANDLER: 0
; COMPUTE_PGM_RSRC2:TGID_X_EN: 1
; COMPUTE_PGM_RSRC2:TGID_Y_EN: 1
; COMPUTE_PGM_RSRC2:TGID_Z_EN: 1
; COMPUTE_PGM_RSRC2:TIDIG_COMP_CNT: 1
	.section	.text._ZL37rocblas_syrkx_herkx_restricted_kernelIl19rocblas_complex_numIfELi16ELi32ELi8ELi1ELi0ELb0ELc78ELc76EKPKS1_KPS1_EviT_PT9_S7_lS9_S7_lPT10_S7_li,"axG",@progbits,_ZL37rocblas_syrkx_herkx_restricted_kernelIl19rocblas_complex_numIfELi16ELi32ELi8ELi1ELi0ELb0ELc78ELc76EKPKS1_KPS1_EviT_PT9_S7_lS9_S7_lPT10_S7_li,comdat
	.globl	_ZL37rocblas_syrkx_herkx_restricted_kernelIl19rocblas_complex_numIfELi16ELi32ELi8ELi1ELi0ELb0ELc78ELc76EKPKS1_KPS1_EviT_PT9_S7_lS9_S7_lPT10_S7_li ; -- Begin function _ZL37rocblas_syrkx_herkx_restricted_kernelIl19rocblas_complex_numIfELi16ELi32ELi8ELi1ELi0ELb0ELc78ELc76EKPKS1_KPS1_EviT_PT9_S7_lS9_S7_lPT10_S7_li
	.p2align	8
	.type	_ZL37rocblas_syrkx_herkx_restricted_kernelIl19rocblas_complex_numIfELi16ELi32ELi8ELi1ELi0ELb0ELc78ELc76EKPKS1_KPS1_EviT_PT9_S7_lS9_S7_lPT10_S7_li,@function
_ZL37rocblas_syrkx_herkx_restricted_kernelIl19rocblas_complex_numIfELi16ELi32ELi8ELi1ELi0ELb0ELc78ELc76EKPKS1_KPS1_EviT_PT9_S7_lS9_S7_lPT10_S7_li: ; @_ZL37rocblas_syrkx_herkx_restricted_kernelIl19rocblas_complex_numIfELi16ELi32ELi8ELi1ELi0ELb0ELc78ELc76EKPKS1_KPS1_EviT_PT9_S7_lS9_S7_lPT10_S7_li
; %bb.0:
	s_clause 0x1
	s_load_b128 s[4:7], s[0:1], 0x40
	s_load_b128 s[8:11], s[0:1], 0x8
	s_mov_b32 s2, s15
	s_mov_b32 s3, 0
	v_dual_mov_b32 v7, 0 :: v_dual_and_b32 v12, 0x3ff, v0
	s_lshl_b64 s[16:17], s[2:3], 3
	v_bfe_u32 v13, v0, 10, 10
	v_dual_mov_b32 v6, 0 :: v_dual_mov_b32 v5, 0
	v_dual_mov_b32 v4, 0 :: v_dual_mov_b32 v3, 0
	;; [unrolled: 1-line block ×3, first 2 shown]
	v_mov_b32_e32 v0, 0
	s_waitcnt lgkmcnt(0)
	s_add_u32 s2, s4, s16
	s_addc_u32 s3, s5, s17
	v_cmp_lt_i64_e64 s4, s[8:9], 1
	s_load_b64 s[2:3], s[2:3], 0x0
	s_lshl_b32 s18, s13, 5
	s_lshl_b32 s19, s14, 5
	s_delay_alu instid0(VALU_DEP_1)
	s_and_b32 vcc_lo, exec_lo, s4
	s_cbranch_vccnz .LBB1556_3
; %bb.1:
	v_lshl_add_u32 v1, v13, 4, v12
	s_clause 0x1
	s_load_b64 s[4:5], s[0:1], 0x18
	s_load_b128 s[12:15], s[0:1], 0x28
	v_and_b32_e32 v16, 7, v12
	s_add_u32 s10, s10, s16
	s_addc_u32 s11, s11, s17
	v_lshrrev_b32_e32 v10, 3, v1
	v_and_b32_e32 v9, 31, v1
	v_lshrrev_b32_e32 v11, 5, v1
	s_load_b64 s[10:11], s[10:11], 0x0
	v_lshlrev_b32_e32 v14, 3, v12
	v_add_nc_u32_e32 v2, s19, v10
	v_lshl_add_u32 v15, v13, 6, 0x800
	s_delay_alu instid0(VALU_DEP_2) | instskip(SKIP_1) | instid1(VALU_DEP_1)
	v_ashrrev_i32_e32 v3, 31, v2
	s_waitcnt lgkmcnt(0)
	v_mad_u64_u32 v[6:7], null, v16, s14, v[2:3]
	v_add_nc_u32_e32 v0, s18, v9
	s_add_u32 s12, s12, s16
	s_addc_u32 s13, s13, s17
	s_load_b64 s[12:13], s[12:13], 0x0
	s_delay_alu instid0(VALU_DEP_1) | instskip(NEXT) | instid1(VALU_DEP_1)
	v_ashrrev_i32_e32 v1, 31, v0
	v_mad_u64_u32 v[4:5], null, v11, s4, v[0:1]
	s_delay_alu instid0(VALU_DEP_1) | instskip(SKIP_1) | instid1(VALU_DEP_2)
	v_dual_mov_b32 v1, v7 :: v_dual_mov_b32 v0, v5
	v_lshlrev_b32_e32 v9, 3, v9
	v_mad_u64_u32 v[2:3], null, v11, s5, v[0:1]
	v_dual_mov_b32 v0, 0 :: v_dual_mov_b32 v3, 0
	s_lshl_b64 s[4:5], s[4:5], 6
	s_delay_alu instid0(VALU_DEP_2) | instskip(SKIP_3) | instid1(VALU_DEP_4)
	v_mov_b32_e32 v5, v2
	v_mad_u64_u32 v[7:8], null, v16, s15, v[1:2]
	v_lshlrev_b32_e32 v8, 3, v16
	v_lshl_or_b32 v16, v11, 8, v9
	v_lshlrev_b64 v[4:5], 3, v[4:5]
	v_mov_b32_e32 v1, 0
	s_delay_alu instid0(VALU_DEP_4) | instskip(SKIP_3) | instid1(VALU_DEP_4)
	v_lshl_or_b32 v8, v10, 6, v8
	v_lshlrev_b64 v[6:7], 3, v[6:7]
	v_mov_b32_e32 v2, 0
	v_add_co_u32 v4, vcc_lo, v4, s10
	v_add_nc_u32_e32 v17, 0x800, v8
	v_add_co_ci_u32_e32 v5, vcc_lo, s11, v5, vcc_lo
	s_waitcnt lgkmcnt(0)
	v_add_co_u32 v6, vcc_lo, v6, s12
	v_add_co_ci_u32_e32 v7, vcc_lo, s13, v7, vcc_lo
	v_add_co_u32 v8, vcc_lo, v4, 4
	v_add_co_ci_u32_e32 v9, vcc_lo, 0, v5, vcc_lo
	s_delay_alu instid0(VALU_DEP_4) | instskip(NEXT) | instid1(VALU_DEP_4)
	v_add_co_u32 v10, vcc_lo, v6, 4
	v_add_co_ci_u32_e32 v11, vcc_lo, 0, v7, vcc_lo
	v_dual_mov_b32 v5, 0 :: v_dual_mov_b32 v4, 0
	v_dual_mov_b32 v7, 0 :: v_dual_mov_b32 v6, 0
	s_lshl_b64 s[10:11], s[14:15], 6
	s_mov_b64 s[12:13], 0
.LBB1556_2:                             ; =>This Inner Loop Header: Depth=1
	global_load_b64 v[18:19], v[8:9], off offset:-4
	global_load_b64 v[20:21], v[10:11], off offset:-4
	s_add_u32 s12, s12, 8
	v_add_co_u32 v8, vcc_lo, v8, s4
	s_addc_u32 s13, s13, 0
	v_add_co_ci_u32_e32 v9, vcc_lo, s5, v9, vcc_lo
	v_cmp_ge_u64_e64 s14, s[12:13], s[8:9]
	v_add_co_u32 v10, vcc_lo, v10, s10
	v_add_co_ci_u32_e32 v11, vcc_lo, s11, v11, vcc_lo
	s_waitcnt vmcnt(1)
	ds_store_b64 v16, v[18:19]
	s_waitcnt vmcnt(0)
	ds_store_b64 v17, v[20:21]
	s_waitcnt lgkmcnt(0)
	s_barrier
	buffer_gl0_inv
	ds_load_2addr_b64 v[18:21], v14 offset1:16
	ds_load_b128 v[22:25], v15
	ds_load_b128 v[26:29], v15 offset:1024
	ds_load_b128 v[30:33], v15 offset:16
	;; [unrolled: 1-line block ×4, first 2 shown]
	ds_load_2addr_b64 v[42:45], v14 offset0:32 offset1:48
	ds_load_2addr_b64 v[46:49], v14 offset0:64 offset1:80
	ds_load_b128 v[50:53], v15 offset:1040
	ds_load_2addr_b64 v[54:57], v14 offset0:96 offset1:112
	ds_load_2addr_b64 v[58:61], v14 offset0:128 offset1:144
	;; [unrolled: 1-line block ×4, first 2 shown]
	ds_load_b128 v[70:73], v15 offset:1056
	ds_load_b128 v[74:77], v15 offset:1072
	ds_load_2addr_b64 v[78:81], v14 offset0:224 offset1:240
	s_and_b32 vcc_lo, exec_lo, s14
	s_waitcnt lgkmcnt(0)
	s_barrier
	buffer_gl0_inv
	v_dual_mul_f32 v82, v23, v19 :: v_dual_mul_f32 v85, v22, v21
	v_dual_mul_f32 v83, v22, v19 :: v_dual_mul_f32 v84, v23, v21
	v_mul_f32_e32 v86, v27, v19
	v_dual_mul_f32 v19, v26, v19 :: v_dual_mul_f32 v90, v25, v45
	v_dual_mul_f32 v87, v27, v21 :: v_dual_mul_f32 v88, v25, v43
	v_mul_f32_e32 v21, v26, v21
	v_mul_f32_e32 v89, v24, v43
	;; [unrolled: 1-line block ×3, first 2 shown]
	v_fma_f32 v82, v22, v18, -v82
	v_fmac_f32_e32 v83, v23, v18
	v_fma_f32 v22, v22, v20, -v84
	v_dual_fmac_f32 v85, v23, v20 :: v_dual_mul_f32 v84, v30, v47
	v_fma_f32 v23, v26, v18, -v86
	v_fmac_f32_e32 v19, v27, v18
	v_fma_f32 v18, v26, v20, -v87
	v_dual_mul_f32 v26, v28, v43 :: v_dual_fmac_f32 v21, v27, v20
	v_mul_f32_e32 v20, v29, v43
	v_mul_f32_e32 v27, v29, v45
	v_dual_mul_f32 v43, v28, v45 :: v_dual_fmac_f32 v84, v31, v46
	v_fma_f32 v45, v24, v42, -v88
	v_fma_f32 v24, v24, v44, -v90
	v_dual_fmac_f32 v91, v25, v44 :: v_dual_mul_f32 v90, v32, v57
	v_dual_mul_f32 v86, v31, v49 :: v_dual_fmac_f32 v89, v25, v42
	v_dual_mul_f32 v25, v31, v47 :: v_dual_mul_f32 v88, v33, v57
	v_fma_f32 v20, v28, v42, -v20
	v_fmac_f32_e32 v26, v29, v42
	v_fma_f32 v27, v28, v44, -v27
	v_dual_fmac_f32 v43, v29, v44 :: v_dual_mul_f32 v28, v51, v47
	v_dual_mul_f32 v29, v50, v47 :: v_dual_mul_f32 v42, v51, v49
	v_mul_f32_e32 v44, v50, v49
	v_mul_f32_e32 v87, v30, v49
	;; [unrolled: 1-line block ×3, first 2 shown]
	v_dual_mul_f32 v49, v32, v55 :: v_dual_fmac_f32 v90, v33, v56
	v_fma_f32 v25, v30, v46, -v25
	v_fma_f32 v30, v30, v48, -v86
	;; [unrolled: 1-line block ×3, first 2 shown]
	v_fmac_f32_e32 v44, v51, v48
	v_fmac_f32_e32 v87, v31, v48
	v_fma_f32 v31, v50, v48, -v42
	v_mul_f32_e32 v42, v53, v55
	v_mul_f32_e32 v48, v53, v57
	v_dual_mul_f32 v50, v52, v57 :: v_dual_fmac_f32 v29, v51, v46
	v_mul_f32_e32 v46, v52, v55
	v_fma_f32 v47, v32, v54, -v47
	v_fmac_f32_e32 v49, v33, v54
	v_fma_f32 v32, v32, v56, -v88
	s_delay_alu instid0(VALU_DEP_4)
	v_dual_mul_f32 v33, v35, v59 :: v_dual_fmac_f32 v46, v53, v54
	v_mul_f32_e32 v51, v34, v59
	v_mul_f32_e32 v55, v35, v61
	v_fma_f32 v42, v52, v54, -v42
	v_fma_f32 v48, v52, v56, -v48
	v_fmac_f32_e32 v50, v53, v56
	v_mul_f32_e32 v52, v71, v59
	v_dual_mul_f32 v53, v70, v59 :: v_dual_mul_f32 v86, v37, v65
	v_mul_f32_e32 v54, v71, v61
	v_dual_mul_f32 v56, v70, v61 :: v_dual_mul_f32 v59, v37, v63
	v_mul_f32_e32 v57, v34, v61
	v_mul_f32_e32 v61, v36, v63
	v_dual_mul_f32 v88, v36, v65 :: v_dual_fmac_f32 v51, v35, v58
	v_fma_f32 v33, v34, v58, -v33
	v_fmac_f32_e32 v53, v71, v58
	v_fmac_f32_e32 v56, v71, v60
	s_delay_alu instid0(VALU_DEP_4)
	v_fmac_f32_e32 v88, v37, v64
	v_fmac_f32_e32 v57, v35, v60
	v_fma_f32 v35, v70, v58, -v52
	v_fma_f32 v52, v70, v60, -v54
	v_mul_f32_e32 v54, v73, v63
	v_fma_f32 v34, v34, v60, -v55
	v_mul_f32_e32 v60, v72, v65
	v_dual_mul_f32 v55, v72, v63 :: v_dual_mul_f32 v70, v38, v69
	v_mul_f32_e32 v58, v73, v65
	v_fma_f32 v59, v36, v62, -v59
	v_fmac_f32_e32 v61, v37, v62
	v_fma_f32 v36, v36, v64, -v86
	v_dual_mul_f32 v37, v39, v67 :: v_dual_fmac_f32 v60, v73, v64
	v_dual_mul_f32 v63, v38, v67 :: v_dual_mul_f32 v86, v40, v81
	v_mul_f32_e32 v65, v39, v69
	v_fma_f32 v54, v72, v62, -v54
	v_fmac_f32_e32 v55, v73, v62
	v_fma_f32 v58, v72, v64, -v58
	v_mul_f32_e32 v72, v40, v79
	v_mul_f32_e32 v62, v75, v67
	v_dual_mul_f32 v64, v74, v67 :: v_dual_mul_f32 v67, v75, v69
	v_dual_mul_f32 v69, v74, v69 :: v_dual_fmac_f32 v70, v39, v68
	s_delay_alu instid0(VALU_DEP_2)
	v_dual_mul_f32 v71, v41, v79 :: v_dual_fmac_f32 v64, v75, v66
	v_fma_f32 v37, v38, v66, -v37
	v_fmac_f32_e32 v63, v39, v66
	v_fma_f32 v39, v74, v66, -v62
	v_dual_mul_f32 v66, v76, v79 :: v_dual_mul_f32 v73, v41, v81
	v_add_f32_e32 v6, v6, v82
	v_fma_f32 v38, v38, v68, -v65
	v_fma_f32 v62, v74, v68, -v67
	v_dual_fmac_f32 v69, v75, v68 :: v_dual_fmac_f32 v72, v41, v78
	v_dual_mul_f32 v65, v77, v79 :: v_dual_add_f32 v4, v4, v22
	v_dual_mul_f32 v67, v77, v81 :: v_dual_add_f32 v2, v2, v23
	v_mul_f32_e32 v68, v76, v81
	v_dual_fmac_f32 v86, v41, v80 :: v_dual_add_f32 v7, v7, v83
	v_dual_fmac_f32 v66, v77, v78 :: v_dual_add_f32 v3, v3, v19
	v_dual_add_f32 v5, v5, v85 :: v_dual_add_f32 v0, v0, v18
	v_dual_add_f32 v1, v1, v21 :: v_dual_add_f32 v4, v4, v24
	s_delay_alu instid0(VALU_DEP_4) | instskip(NEXT) | instid1(VALU_DEP_3)
	v_dual_fmac_f32 v68, v77, v80 :: v_dual_add_f32 v7, v7, v89
	v_dual_add_f32 v6, v6, v45 :: v_dual_add_f32 v5, v5, v91
	v_dual_add_f32 v2, v2, v20 :: v_dual_add_f32 v3, v3, v26
	s_delay_alu instid0(VALU_DEP_3) | instskip(NEXT) | instid1(VALU_DEP_3)
	v_dual_add_f32 v0, v0, v27 :: v_dual_add_f32 v7, v7, v84
	v_dual_add_f32 v1, v1, v43 :: v_dual_add_f32 v6, v6, v25
	s_delay_alu instid0(VALU_DEP_4) | instskip(NEXT) | instid1(VALU_DEP_4)
	v_dual_add_f32 v4, v4, v30 :: v_dual_add_f32 v5, v5, v87
	v_dual_add_f32 v2, v2, v28 :: v_dual_add_f32 v3, v3, v29
	s_delay_alu instid0(VALU_DEP_3) | instskip(NEXT) | instid1(VALU_DEP_4)
	v_dual_add_f32 v0, v0, v31 :: v_dual_add_f32 v1, v1, v44
	v_dual_add_f32 v6, v6, v47 :: v_dual_add_f32 v7, v7, v49
	s_delay_alu instid0(VALU_DEP_4) | instskip(NEXT) | instid1(VALU_DEP_4)
	v_dual_add_f32 v4, v4, v32 :: v_dual_add_f32 v5, v5, v90
	v_add_f32_e32 v2, v2, v42
	s_delay_alu instid0(VALU_DEP_4) | instskip(NEXT) | instid1(VALU_DEP_4)
	v_dual_add_f32 v3, v3, v46 :: v_dual_add_f32 v0, v0, v48
	v_dual_add_f32 v1, v1, v50 :: v_dual_add_f32 v6, v6, v33
	s_delay_alu instid0(VALU_DEP_4) | instskip(NEXT) | instid1(VALU_DEP_4)
	v_dual_add_f32 v7, v7, v51 :: v_dual_add_f32 v4, v4, v34
	v_dual_add_f32 v5, v5, v57 :: v_dual_add_f32 v2, v2, v35
	s_delay_alu instid0(VALU_DEP_4) | instskip(NEXT) | instid1(VALU_DEP_3)
	v_dual_add_f32 v3, v3, v53 :: v_dual_add_f32 v0, v0, v52
	v_add_f32_e32 v7, v7, v61
	v_dual_add_f32 v1, v1, v56 :: v_dual_add_f32 v6, v6, v59
	s_delay_alu instid0(VALU_DEP_3) | instskip(SKIP_1) | instid1(VALU_DEP_3)
	v_dual_add_f32 v4, v4, v36 :: v_dual_add_f32 v3, v3, v55
	v_dual_add_f32 v5, v5, v88 :: v_dual_add_f32 v2, v2, v54
	;; [unrolled: 1-line block ×3, first 2 shown]
	v_fma_f32 v71, v40, v78, -v71
	v_fma_f32 v40, v40, v80, -v73
	;; [unrolled: 1-line block ×4, first 2 shown]
	v_dual_add_f32 v6, v6, v37 :: v_dual_add_f32 v7, v7, v63
	v_dual_add_f32 v4, v4, v38 :: v_dual_add_f32 v3, v3, v64
	v_dual_add_f32 v5, v5, v70 :: v_dual_add_f32 v2, v2, v39
	v_dual_add_f32 v0, v0, v62 :: v_dual_add_f32 v1, v1, v69
	s_delay_alu instid0(VALU_DEP_4) | instskip(NEXT) | instid1(VALU_DEP_3)
	v_dual_add_f32 v6, v6, v71 :: v_dual_add_f32 v7, v7, v72
	v_dual_add_f32 v4, v4, v40 :: v_dual_add_f32 v5, v5, v86
	s_delay_alu instid0(VALU_DEP_4) | instskip(NEXT) | instid1(VALU_DEP_4)
	v_dual_add_f32 v2, v2, v41 :: v_dual_add_f32 v3, v3, v66
	v_dual_add_f32 v0, v0, v65 :: v_dual_add_f32 v1, v1, v68
	s_cbranch_vccz .LBB1556_2
.LBB1556_3:
	v_add_nc_u32_e32 v10, s19, v13
	s_load_b32 s4, s[0:1], 0x0
	s_delay_alu instid0(VALU_DEP_1) | instskip(SKIP_2) | instid1(VALU_DEP_3)
	v_ashrrev_i32_e32 v8, 31, v10
	v_mul_lo_u32 v9, v10, s7
	v_mad_u64_u32 v[13:14], null, v10, s6, 0
	v_mul_lo_u32 v8, v8, s6
	s_delay_alu instid0(VALU_DEP_1) | instskip(SKIP_1) | instid1(VALU_DEP_2)
	v_add3_u32 v14, v14, v9, v8
	v_add_nc_u32_e32 v8, s18, v12
	v_lshlrev_b64 v[11:12], 3, v[13:14]
	s_delay_alu instid0(VALU_DEP_2) | instskip(SKIP_2) | instid1(VALU_DEP_3)
	v_cmp_le_i32_e64 s0, v10, v8
	s_waitcnt lgkmcnt(0)
	v_cmp_gt_i32_e32 vcc_lo, s4, v8
	v_add_co_u32 v11, s1, s2, v11
	s_delay_alu instid0(VALU_DEP_1) | instskip(SKIP_1) | instid1(SALU_CYCLE_1)
	v_add_co_ci_u32_e64 v12, s1, s3, v12, s1
	s_and_b32 s0, s0, vcc_lo
	s_and_saveexec_b32 s1, s0
	s_cbranch_execz .LBB1556_5
; %bb.4:
	v_ashrrev_i32_e32 v9, 31, v8
	s_delay_alu instid0(VALU_DEP_1) | instskip(NEXT) | instid1(VALU_DEP_1)
	v_lshlrev_b64 v[13:14], 3, v[8:9]
	v_add_co_u32 v13, s0, v11, v13
	s_delay_alu instid0(VALU_DEP_1)
	v_add_co_ci_u32_e64 v14, s0, v12, v14, s0
	global_store_b64 v[13:14], v[6:7], off
.LBB1556_5:
	s_or_b32 exec_lo, exec_lo, s1
	v_add_nc_u32_e32 v6, 16, v8
	s_delay_alu instid0(VALU_DEP_1) | instskip(SKIP_1) | instid1(VALU_DEP_1)
	v_cmp_le_i32_e64 s1, v10, v6
	v_cmp_gt_i32_e64 s0, s4, v6
	s_and_b32 s1, s1, s0
	s_delay_alu instid0(SALU_CYCLE_1)
	s_and_saveexec_b32 s4, s1
	s_cbranch_execz .LBB1556_7
; %bb.6:
	v_ashrrev_i32_e32 v7, 31, v6
	s_delay_alu instid0(VALU_DEP_1) | instskip(NEXT) | instid1(VALU_DEP_1)
	v_lshlrev_b64 v[13:14], 3, v[6:7]
	v_add_co_u32 v11, s1, v11, v13
	s_delay_alu instid0(VALU_DEP_1)
	v_add_co_ci_u32_e64 v12, s1, v12, v14, s1
	global_store_b64 v[11:12], v[4:5], off
.LBB1556_7:
	s_or_b32 exec_lo, exec_lo, s4
	v_add_nc_u32_e32 v4, 16, v10
	s_delay_alu instid0(VALU_DEP_1) | instskip(SKIP_3) | instid1(VALU_DEP_4)
	v_ashrrev_i32_e32 v5, 31, v4
	v_mul_lo_u32 v7, v4, s7
	v_mad_u64_u32 v[9:10], null, v4, s6, 0
	v_cmp_le_i32_e64 s1, v4, v8
	v_mul_lo_u32 v5, v5, s6
	s_delay_alu instid0(VALU_DEP_1) | instskip(NEXT) | instid1(VALU_DEP_1)
	v_add3_u32 v10, v10, v7, v5
	v_lshlrev_b64 v[9:10], 3, v[9:10]
	s_delay_alu instid0(VALU_DEP_1) | instskip(NEXT) | instid1(VALU_DEP_1)
	v_add_co_u32 v5, s2, s2, v9
	v_add_co_ci_u32_e64 v10, s2, s3, v10, s2
	s_and_b32 s2, s1, vcc_lo
	s_delay_alu instid0(SALU_CYCLE_1)
	s_and_saveexec_b32 s1, s2
	s_cbranch_execz .LBB1556_9
; %bb.8:
	v_ashrrev_i32_e32 v9, 31, v8
	s_delay_alu instid0(VALU_DEP_1) | instskip(NEXT) | instid1(VALU_DEP_1)
	v_lshlrev_b64 v[7:8], 3, v[8:9]
	v_add_co_u32 v7, vcc_lo, v5, v7
	s_delay_alu instid0(VALU_DEP_2)
	v_add_co_ci_u32_e32 v8, vcc_lo, v10, v8, vcc_lo
	global_store_b64 v[7:8], v[2:3], off
.LBB1556_9:
	s_or_b32 exec_lo, exec_lo, s1
	v_cmp_le_i32_e32 vcc_lo, v4, v6
	s_and_b32 s0, vcc_lo, s0
	s_delay_alu instid0(SALU_CYCLE_1)
	s_and_saveexec_b32 s1, s0
	s_cbranch_execz .LBB1556_11
; %bb.10:
	v_ashrrev_i32_e32 v7, 31, v6
	s_delay_alu instid0(VALU_DEP_1) | instskip(NEXT) | instid1(VALU_DEP_1)
	v_lshlrev_b64 v[2:3], 3, v[6:7]
	v_add_co_u32 v2, vcc_lo, v5, v2
	s_delay_alu instid0(VALU_DEP_2)
	v_add_co_ci_u32_e32 v3, vcc_lo, v10, v3, vcc_lo
	global_store_b64 v[2:3], v[0:1], off
.LBB1556_11:
	s_nop 0
	s_sendmsg sendmsg(MSG_DEALLOC_VGPRS)
	s_endpgm
	.section	.rodata,"a",@progbits
	.p2align	6, 0x0
	.amdhsa_kernel _ZL37rocblas_syrkx_herkx_restricted_kernelIl19rocblas_complex_numIfELi16ELi32ELi8ELi1ELi0ELb0ELc78ELc76EKPKS1_KPS1_EviT_PT9_S7_lS9_S7_lPT10_S7_li
		.amdhsa_group_segment_fixed_size 4096
		.amdhsa_private_segment_fixed_size 0
		.amdhsa_kernarg_size 92
		.amdhsa_user_sgpr_count 13
		.amdhsa_user_sgpr_dispatch_ptr 0
		.amdhsa_user_sgpr_queue_ptr 0
		.amdhsa_user_sgpr_kernarg_segment_ptr 1
		.amdhsa_user_sgpr_dispatch_id 0
		.amdhsa_user_sgpr_private_segment_size 0
		.amdhsa_wavefront_size32 1
		.amdhsa_uses_dynamic_stack 0
		.amdhsa_enable_private_segment 0
		.amdhsa_system_sgpr_workgroup_id_x 1
		.amdhsa_system_sgpr_workgroup_id_y 1
		.amdhsa_system_sgpr_workgroup_id_z 1
		.amdhsa_system_sgpr_workgroup_info 0
		.amdhsa_system_vgpr_workitem_id 1
		.amdhsa_next_free_vgpr 92
		.amdhsa_next_free_sgpr 20
		.amdhsa_reserve_vcc 1
		.amdhsa_float_round_mode_32 0
		.amdhsa_float_round_mode_16_64 0
		.amdhsa_float_denorm_mode_32 3
		.amdhsa_float_denorm_mode_16_64 3
		.amdhsa_dx10_clamp 1
		.amdhsa_ieee_mode 1
		.amdhsa_fp16_overflow 0
		.amdhsa_workgroup_processor_mode 1
		.amdhsa_memory_ordered 1
		.amdhsa_forward_progress 0
		.amdhsa_shared_vgpr_count 0
		.amdhsa_exception_fp_ieee_invalid_op 0
		.amdhsa_exception_fp_denorm_src 0
		.amdhsa_exception_fp_ieee_div_zero 0
		.amdhsa_exception_fp_ieee_overflow 0
		.amdhsa_exception_fp_ieee_underflow 0
		.amdhsa_exception_fp_ieee_inexact 0
		.amdhsa_exception_int_div_zero 0
	.end_amdhsa_kernel
	.section	.text._ZL37rocblas_syrkx_herkx_restricted_kernelIl19rocblas_complex_numIfELi16ELi32ELi8ELi1ELi0ELb0ELc78ELc76EKPKS1_KPS1_EviT_PT9_S7_lS9_S7_lPT10_S7_li,"axG",@progbits,_ZL37rocblas_syrkx_herkx_restricted_kernelIl19rocblas_complex_numIfELi16ELi32ELi8ELi1ELi0ELb0ELc78ELc76EKPKS1_KPS1_EviT_PT9_S7_lS9_S7_lPT10_S7_li,comdat
.Lfunc_end1556:
	.size	_ZL37rocblas_syrkx_herkx_restricted_kernelIl19rocblas_complex_numIfELi16ELi32ELi8ELi1ELi0ELb0ELc78ELc76EKPKS1_KPS1_EviT_PT9_S7_lS9_S7_lPT10_S7_li, .Lfunc_end1556-_ZL37rocblas_syrkx_herkx_restricted_kernelIl19rocblas_complex_numIfELi16ELi32ELi8ELi1ELi0ELb0ELc78ELc76EKPKS1_KPS1_EviT_PT9_S7_lS9_S7_lPT10_S7_li
                                        ; -- End function
	.section	.AMDGPU.csdata,"",@progbits
; Kernel info:
; codeLenInByte = 2124
; NumSgprs: 22
; NumVgprs: 92
; ScratchSize: 0
; MemoryBound: 0
; FloatMode: 240
; IeeeMode: 1
; LDSByteSize: 4096 bytes/workgroup (compile time only)
; SGPRBlocks: 2
; VGPRBlocks: 11
; NumSGPRsForWavesPerEU: 22
; NumVGPRsForWavesPerEU: 92
; Occupancy: 16
; WaveLimiterHint : 1
; COMPUTE_PGM_RSRC2:SCRATCH_EN: 0
; COMPUTE_PGM_RSRC2:USER_SGPR: 13
; COMPUTE_PGM_RSRC2:TRAP_HANDLER: 0
; COMPUTE_PGM_RSRC2:TGID_X_EN: 1
; COMPUTE_PGM_RSRC2:TGID_Y_EN: 1
; COMPUTE_PGM_RSRC2:TGID_Z_EN: 1
; COMPUTE_PGM_RSRC2:TIDIG_COMP_CNT: 1
	.section	.text._ZL37rocblas_syrkx_herkx_restricted_kernelIl19rocblas_complex_numIfELi16ELi32ELi8ELi1ELi0ELb0ELc84ELc85EKPKS1_KPS1_EviT_PT9_S7_lS9_S7_lPT10_S7_li,"axG",@progbits,_ZL37rocblas_syrkx_herkx_restricted_kernelIl19rocblas_complex_numIfELi16ELi32ELi8ELi1ELi0ELb0ELc84ELc85EKPKS1_KPS1_EviT_PT9_S7_lS9_S7_lPT10_S7_li,comdat
	.globl	_ZL37rocblas_syrkx_herkx_restricted_kernelIl19rocblas_complex_numIfELi16ELi32ELi8ELi1ELi0ELb0ELc84ELc85EKPKS1_KPS1_EviT_PT9_S7_lS9_S7_lPT10_S7_li ; -- Begin function _ZL37rocblas_syrkx_herkx_restricted_kernelIl19rocblas_complex_numIfELi16ELi32ELi8ELi1ELi0ELb0ELc84ELc85EKPKS1_KPS1_EviT_PT9_S7_lS9_S7_lPT10_S7_li
	.p2align	8
	.type	_ZL37rocblas_syrkx_herkx_restricted_kernelIl19rocblas_complex_numIfELi16ELi32ELi8ELi1ELi0ELb0ELc84ELc85EKPKS1_KPS1_EviT_PT9_S7_lS9_S7_lPT10_S7_li,@function
_ZL37rocblas_syrkx_herkx_restricted_kernelIl19rocblas_complex_numIfELi16ELi32ELi8ELi1ELi0ELb0ELc84ELc85EKPKS1_KPS1_EviT_PT9_S7_lS9_S7_lPT10_S7_li: ; @_ZL37rocblas_syrkx_herkx_restricted_kernelIl19rocblas_complex_numIfELi16ELi32ELi8ELi1ELi0ELb0ELc84ELc85EKPKS1_KPS1_EviT_PT9_S7_lS9_S7_lPT10_S7_li
; %bb.0:
	s_clause 0x1
	s_load_b128 s[4:7], s[0:1], 0x40
	s_load_b128 s[8:11], s[0:1], 0x8
	s_mov_b32 s2, s15
	s_mov_b32 s3, 0
	v_dual_mov_b32 v7, 0 :: v_dual_and_b32 v12, 0x3ff, v0
	s_lshl_b64 s[16:17], s[2:3], 3
	v_bfe_u32 v13, v0, 10, 10
	v_dual_mov_b32 v6, 0 :: v_dual_mov_b32 v5, 0
	v_dual_mov_b32 v4, 0 :: v_dual_mov_b32 v3, 0
	;; [unrolled: 1-line block ×3, first 2 shown]
	v_mov_b32_e32 v0, 0
	s_waitcnt lgkmcnt(0)
	s_add_u32 s2, s4, s16
	s_addc_u32 s3, s5, s17
	v_cmp_lt_i64_e64 s4, s[8:9], 1
	s_load_b64 s[2:3], s[2:3], 0x0
	s_lshl_b32 s18, s13, 5
	s_lshl_b32 s19, s14, 5
	s_delay_alu instid0(VALU_DEP_1)
	s_and_b32 vcc_lo, exec_lo, s4
	s_cbranch_vccnz .LBB1557_3
; %bb.1:
	s_clause 0x1
	s_load_b128 s[12:15], s[0:1], 0x28
	s_load_b64 s[4:5], s[0:1], 0x18
	v_lshl_add_u32 v2, v13, 4, v12
	v_dual_mov_b32 v1, 0 :: v_dual_and_b32 v0, 7, v12
	s_add_u32 s10, s10, s16
	s_addc_u32 s11, s11, s17
	s_delay_alu instid0(VALU_DEP_2)
	v_lshrrev_b32_e32 v8, 3, v2
	v_and_b32_e32 v9, 31, v2
	v_lshrrev_b32_e32 v2, 5, v2
	v_mov_b32_e32 v3, v1
	s_load_b64 s[10:11], s[10:11], 0x0
	v_add_nc_u32_e32 v10, s19, v8
	v_add_nc_u32_e32 v6, s18, v9
	v_lshlrev_b32_e32 v9, 3, v9
	s_delay_alu instid0(VALU_DEP_3) | instskip(NEXT) | instid1(VALU_DEP_3)
	v_ashrrev_i32_e32 v4, 31, v10
	v_ashrrev_i32_e32 v5, 31, v6
	s_delay_alu instid0(VALU_DEP_3)
	v_lshl_or_b32 v16, v2, 8, v9
	s_waitcnt lgkmcnt(0)
	s_add_u32 s12, s12, s16
	s_addc_u32 s13, s13, s17
	v_mul_lo_u32 v11, v4, s14
	v_mul_lo_u32 v14, s4, v5
	v_mad_u64_u32 v[4:5], null, s4, v6, v[2:3]
	v_mul_lo_u32 v3, s5, v6
	s_load_b64 s[4:5], s[12:13], 0x0
	v_mul_lo_u32 v15, v10, s15
	v_mad_u64_u32 v[6:7], null, v10, s14, v[0:1]
	v_lshlrev_b32_e32 v0, 3, v0
	s_delay_alu instid0(VALU_DEP_4) | instskip(SKIP_1) | instid1(VALU_DEP_3)
	v_add3_u32 v5, v3, v5, v14
	v_lshlrev_b32_e32 v14, 3, v12
	v_lshl_or_b32 v0, v8, 6, v0
	v_add3_u32 v7, v11, v7, v15
	v_lshl_add_u32 v15, v13, 6, 0x800
	v_lshlrev_b64 v[3:4], 3, v[4:5]
	s_delay_alu instid0(VALU_DEP_4) | instskip(NEXT) | instid1(VALU_DEP_4)
	v_add_nc_u32_e32 v17, 0x800, v0
	v_lshlrev_b64 v[5:6], 3, v[6:7]
	v_mov_b32_e32 v7, v1
	s_delay_alu instid0(VALU_DEP_4) | instskip(SKIP_2) | instid1(VALU_DEP_4)
	v_add_co_u32 v0, vcc_lo, v3, s10
	v_add_co_ci_u32_e32 v2, vcc_lo, s11, v4, vcc_lo
	s_waitcnt lgkmcnt(0)
	v_add_co_u32 v3, vcc_lo, v5, s4
	v_add_co_ci_u32_e32 v4, vcc_lo, s5, v6, vcc_lo
	v_add_co_u32 v8, vcc_lo, v0, 4
	v_add_co_ci_u32_e32 v9, vcc_lo, 0, v2, vcc_lo
	s_delay_alu instid0(VALU_DEP_4) | instskip(NEXT) | instid1(VALU_DEP_4)
	v_add_co_u32 v10, vcc_lo, v3, 4
	v_add_co_ci_u32_e32 v11, vcc_lo, 0, v4, vcc_lo
	v_mov_b32_e32 v4, v1
	v_mov_b32_e32 v0, v1
	;; [unrolled: 1-line block ×6, first 2 shown]
	s_mov_b64 s[4:5], 0
.LBB1557_2:                             ; =>This Inner Loop Header: Depth=1
	global_load_b64 v[18:19], v[8:9], off offset:-4
	global_load_b64 v[20:21], v[10:11], off offset:-4
	s_add_u32 s4, s4, 8
	v_add_co_u32 v8, vcc_lo, v8, 64
	s_addc_u32 s5, s5, 0
	v_add_co_ci_u32_e32 v9, vcc_lo, 0, v9, vcc_lo
	v_cmp_ge_u64_e64 s10, s[4:5], s[8:9]
	v_add_co_u32 v10, vcc_lo, v10, 64
	v_add_co_ci_u32_e32 v11, vcc_lo, 0, v11, vcc_lo
	s_waitcnt vmcnt(1)
	ds_store_b64 v16, v[18:19]
	s_waitcnt vmcnt(0)
	ds_store_b64 v17, v[20:21]
	s_waitcnt lgkmcnt(0)
	s_barrier
	buffer_gl0_inv
	ds_load_2addr_b64 v[18:21], v14 offset1:16
	ds_load_b128 v[22:25], v15
	ds_load_b128 v[26:29], v15 offset:1024
	ds_load_b128 v[30:33], v15 offset:16
	;; [unrolled: 1-line block ×4, first 2 shown]
	ds_load_2addr_b64 v[42:45], v14 offset0:32 offset1:48
	ds_load_2addr_b64 v[46:49], v14 offset0:64 offset1:80
	ds_load_b128 v[50:53], v15 offset:1040
	ds_load_2addr_b64 v[54:57], v14 offset0:96 offset1:112
	ds_load_2addr_b64 v[58:61], v14 offset0:128 offset1:144
	;; [unrolled: 1-line block ×4, first 2 shown]
	ds_load_b128 v[70:73], v15 offset:1056
	ds_load_b128 v[74:77], v15 offset:1072
	ds_load_2addr_b64 v[78:81], v14 offset0:224 offset1:240
	s_and_b32 vcc_lo, exec_lo, s10
	s_waitcnt lgkmcnt(0)
	s_barrier
	buffer_gl0_inv
	v_dual_mul_f32 v82, v23, v19 :: v_dual_mul_f32 v85, v22, v21
	v_dual_mul_f32 v83, v22, v19 :: v_dual_mul_f32 v84, v23, v21
	v_mul_f32_e32 v86, v27, v19
	v_dual_mul_f32 v19, v26, v19 :: v_dual_mul_f32 v90, v25, v45
	v_dual_mul_f32 v87, v27, v21 :: v_dual_mul_f32 v88, v25, v43
	v_mul_f32_e32 v21, v26, v21
	v_mul_f32_e32 v89, v24, v43
	;; [unrolled: 1-line block ×3, first 2 shown]
	v_fma_f32 v82, v22, v18, -v82
	v_fmac_f32_e32 v83, v23, v18
	v_fma_f32 v22, v22, v20, -v84
	v_dual_fmac_f32 v85, v23, v20 :: v_dual_mul_f32 v84, v30, v47
	v_fma_f32 v23, v26, v18, -v86
	v_fmac_f32_e32 v19, v27, v18
	v_fma_f32 v18, v26, v20, -v87
	v_dual_mul_f32 v26, v28, v43 :: v_dual_fmac_f32 v21, v27, v20
	v_mul_f32_e32 v20, v29, v43
	v_mul_f32_e32 v27, v29, v45
	v_dual_mul_f32 v43, v28, v45 :: v_dual_fmac_f32 v84, v31, v46
	v_fma_f32 v45, v24, v42, -v88
	v_fma_f32 v24, v24, v44, -v90
	v_dual_fmac_f32 v91, v25, v44 :: v_dual_mul_f32 v90, v32, v57
	v_dual_mul_f32 v86, v31, v49 :: v_dual_fmac_f32 v89, v25, v42
	v_dual_mul_f32 v25, v31, v47 :: v_dual_mul_f32 v88, v33, v57
	v_fma_f32 v20, v28, v42, -v20
	v_fmac_f32_e32 v26, v29, v42
	v_fma_f32 v27, v28, v44, -v27
	v_dual_fmac_f32 v43, v29, v44 :: v_dual_mul_f32 v28, v51, v47
	v_dual_mul_f32 v29, v50, v47 :: v_dual_mul_f32 v42, v51, v49
	v_mul_f32_e32 v44, v50, v49
	v_mul_f32_e32 v87, v30, v49
	;; [unrolled: 1-line block ×3, first 2 shown]
	v_dual_mul_f32 v49, v32, v55 :: v_dual_fmac_f32 v90, v33, v56
	v_fma_f32 v25, v30, v46, -v25
	v_fma_f32 v30, v30, v48, -v86
	;; [unrolled: 1-line block ×3, first 2 shown]
	v_fmac_f32_e32 v44, v51, v48
	v_fmac_f32_e32 v87, v31, v48
	v_fma_f32 v31, v50, v48, -v42
	v_mul_f32_e32 v42, v53, v55
	v_mul_f32_e32 v48, v53, v57
	v_dual_mul_f32 v50, v52, v57 :: v_dual_fmac_f32 v29, v51, v46
	v_mul_f32_e32 v46, v52, v55
	v_fma_f32 v47, v32, v54, -v47
	v_fmac_f32_e32 v49, v33, v54
	v_fma_f32 v32, v32, v56, -v88
	s_delay_alu instid0(VALU_DEP_4)
	v_dual_mul_f32 v33, v35, v59 :: v_dual_fmac_f32 v46, v53, v54
	v_mul_f32_e32 v51, v34, v59
	v_mul_f32_e32 v55, v35, v61
	v_fma_f32 v42, v52, v54, -v42
	v_fma_f32 v48, v52, v56, -v48
	v_fmac_f32_e32 v50, v53, v56
	v_mul_f32_e32 v52, v71, v59
	v_dual_mul_f32 v53, v70, v59 :: v_dual_mul_f32 v86, v37, v65
	v_mul_f32_e32 v54, v71, v61
	v_dual_mul_f32 v56, v70, v61 :: v_dual_mul_f32 v59, v37, v63
	v_mul_f32_e32 v57, v34, v61
	v_mul_f32_e32 v61, v36, v63
	v_dual_mul_f32 v88, v36, v65 :: v_dual_fmac_f32 v51, v35, v58
	v_fma_f32 v33, v34, v58, -v33
	v_fmac_f32_e32 v53, v71, v58
	v_fmac_f32_e32 v56, v71, v60
	s_delay_alu instid0(VALU_DEP_4)
	v_fmac_f32_e32 v88, v37, v64
	v_fmac_f32_e32 v57, v35, v60
	v_fma_f32 v35, v70, v58, -v52
	v_fma_f32 v52, v70, v60, -v54
	v_mul_f32_e32 v54, v73, v63
	v_fma_f32 v34, v34, v60, -v55
	v_mul_f32_e32 v60, v72, v65
	v_dual_mul_f32 v55, v72, v63 :: v_dual_mul_f32 v70, v38, v69
	v_mul_f32_e32 v58, v73, v65
	v_fma_f32 v59, v36, v62, -v59
	v_fmac_f32_e32 v61, v37, v62
	v_fma_f32 v36, v36, v64, -v86
	v_dual_mul_f32 v37, v39, v67 :: v_dual_fmac_f32 v60, v73, v64
	v_dual_mul_f32 v63, v38, v67 :: v_dual_mul_f32 v86, v40, v81
	v_mul_f32_e32 v65, v39, v69
	v_fma_f32 v54, v72, v62, -v54
	v_fmac_f32_e32 v55, v73, v62
	v_fma_f32 v58, v72, v64, -v58
	v_mul_f32_e32 v72, v40, v79
	v_mul_f32_e32 v62, v75, v67
	v_dual_mul_f32 v64, v74, v67 :: v_dual_mul_f32 v67, v75, v69
	v_dual_mul_f32 v69, v74, v69 :: v_dual_fmac_f32 v70, v39, v68
	s_delay_alu instid0(VALU_DEP_2)
	v_dual_mul_f32 v71, v41, v79 :: v_dual_fmac_f32 v64, v75, v66
	v_fma_f32 v37, v38, v66, -v37
	v_fmac_f32_e32 v63, v39, v66
	v_fma_f32 v39, v74, v66, -v62
	v_dual_mul_f32 v66, v76, v79 :: v_dual_mul_f32 v73, v41, v81
	v_add_f32_e32 v6, v6, v82
	v_fma_f32 v38, v38, v68, -v65
	v_fma_f32 v62, v74, v68, -v67
	v_dual_fmac_f32 v69, v75, v68 :: v_dual_fmac_f32 v72, v41, v78
	v_dual_mul_f32 v65, v77, v79 :: v_dual_add_f32 v4, v4, v22
	v_dual_mul_f32 v67, v77, v81 :: v_dual_add_f32 v2, v2, v23
	v_mul_f32_e32 v68, v76, v81
	v_dual_fmac_f32 v86, v41, v80 :: v_dual_add_f32 v7, v7, v83
	v_dual_fmac_f32 v66, v77, v78 :: v_dual_add_f32 v3, v3, v19
	v_dual_add_f32 v5, v5, v85 :: v_dual_add_f32 v0, v0, v18
	v_dual_add_f32 v1, v1, v21 :: v_dual_add_f32 v4, v4, v24
	s_delay_alu instid0(VALU_DEP_4) | instskip(NEXT) | instid1(VALU_DEP_3)
	v_dual_fmac_f32 v68, v77, v80 :: v_dual_add_f32 v7, v7, v89
	v_dual_add_f32 v6, v6, v45 :: v_dual_add_f32 v5, v5, v91
	v_dual_add_f32 v2, v2, v20 :: v_dual_add_f32 v3, v3, v26
	s_delay_alu instid0(VALU_DEP_3) | instskip(NEXT) | instid1(VALU_DEP_3)
	v_dual_add_f32 v0, v0, v27 :: v_dual_add_f32 v7, v7, v84
	v_dual_add_f32 v1, v1, v43 :: v_dual_add_f32 v6, v6, v25
	s_delay_alu instid0(VALU_DEP_4) | instskip(NEXT) | instid1(VALU_DEP_4)
	v_dual_add_f32 v4, v4, v30 :: v_dual_add_f32 v5, v5, v87
	v_dual_add_f32 v2, v2, v28 :: v_dual_add_f32 v3, v3, v29
	s_delay_alu instid0(VALU_DEP_3) | instskip(NEXT) | instid1(VALU_DEP_4)
	v_dual_add_f32 v0, v0, v31 :: v_dual_add_f32 v1, v1, v44
	v_dual_add_f32 v6, v6, v47 :: v_dual_add_f32 v7, v7, v49
	s_delay_alu instid0(VALU_DEP_4) | instskip(NEXT) | instid1(VALU_DEP_4)
	v_dual_add_f32 v4, v4, v32 :: v_dual_add_f32 v5, v5, v90
	v_add_f32_e32 v2, v2, v42
	s_delay_alu instid0(VALU_DEP_4) | instskip(NEXT) | instid1(VALU_DEP_4)
	v_dual_add_f32 v3, v3, v46 :: v_dual_add_f32 v0, v0, v48
	v_dual_add_f32 v1, v1, v50 :: v_dual_add_f32 v6, v6, v33
	s_delay_alu instid0(VALU_DEP_4) | instskip(NEXT) | instid1(VALU_DEP_4)
	v_dual_add_f32 v7, v7, v51 :: v_dual_add_f32 v4, v4, v34
	v_dual_add_f32 v5, v5, v57 :: v_dual_add_f32 v2, v2, v35
	s_delay_alu instid0(VALU_DEP_4) | instskip(NEXT) | instid1(VALU_DEP_3)
	v_dual_add_f32 v3, v3, v53 :: v_dual_add_f32 v0, v0, v52
	v_add_f32_e32 v7, v7, v61
	v_dual_add_f32 v1, v1, v56 :: v_dual_add_f32 v6, v6, v59
	s_delay_alu instid0(VALU_DEP_3) | instskip(SKIP_1) | instid1(VALU_DEP_3)
	v_dual_add_f32 v4, v4, v36 :: v_dual_add_f32 v3, v3, v55
	v_dual_add_f32 v5, v5, v88 :: v_dual_add_f32 v2, v2, v54
	;; [unrolled: 1-line block ×3, first 2 shown]
	v_fma_f32 v71, v40, v78, -v71
	v_fma_f32 v40, v40, v80, -v73
	;; [unrolled: 1-line block ×4, first 2 shown]
	v_dual_add_f32 v6, v6, v37 :: v_dual_add_f32 v7, v7, v63
	v_dual_add_f32 v4, v4, v38 :: v_dual_add_f32 v3, v3, v64
	;; [unrolled: 1-line block ×4, first 2 shown]
	s_delay_alu instid0(VALU_DEP_4) | instskip(NEXT) | instid1(VALU_DEP_3)
	v_dual_add_f32 v6, v6, v71 :: v_dual_add_f32 v7, v7, v72
	v_dual_add_f32 v4, v4, v40 :: v_dual_add_f32 v5, v5, v86
	s_delay_alu instid0(VALU_DEP_4) | instskip(NEXT) | instid1(VALU_DEP_4)
	v_dual_add_f32 v2, v2, v41 :: v_dual_add_f32 v3, v3, v66
	v_dual_add_f32 v0, v0, v65 :: v_dual_add_f32 v1, v1, v68
	s_cbranch_vccz .LBB1557_2
.LBB1557_3:
	v_add_nc_u32_e32 v10, s19, v13
	s_load_b32 s4, s[0:1], 0x0
	s_delay_alu instid0(VALU_DEP_1) | instskip(SKIP_2) | instid1(VALU_DEP_3)
	v_ashrrev_i32_e32 v8, 31, v10
	v_mul_lo_u32 v9, v10, s7
	v_mad_u64_u32 v[13:14], null, v10, s6, 0
	v_mul_lo_u32 v8, v8, s6
	s_delay_alu instid0(VALU_DEP_1) | instskip(SKIP_3) | instid1(VALU_DEP_3)
	v_add3_u32 v14, v14, v9, v8
	v_add_nc_u32_e32 v8, s18, v12
	s_waitcnt lgkmcnt(0)
	v_cmp_gt_i32_e32 vcc_lo, s4, v10
	v_lshlrev_b64 v[11:12], 3, v[13:14]
	s_delay_alu instid0(VALU_DEP_3) | instskip(NEXT) | instid1(VALU_DEP_1)
	v_cmp_le_i32_e64 s0, v8, v10
	s_and_b32 s0, vcc_lo, s0
	s_delay_alu instid0(VALU_DEP_2) | instskip(NEXT) | instid1(VALU_DEP_1)
	v_add_co_u32 v11, s1, s2, v11
	v_add_co_ci_u32_e64 v12, s1, s3, v12, s1
	s_and_saveexec_b32 s1, s0
	s_cbranch_execz .LBB1557_5
; %bb.4:
	v_ashrrev_i32_e32 v9, 31, v8
	s_delay_alu instid0(VALU_DEP_1) | instskip(NEXT) | instid1(VALU_DEP_1)
	v_lshlrev_b64 v[13:14], 3, v[8:9]
	v_add_co_u32 v13, s0, v11, v13
	s_delay_alu instid0(VALU_DEP_1)
	v_add_co_ci_u32_e64 v14, s0, v12, v14, s0
	global_store_b64 v[13:14], v[6:7], off
.LBB1557_5:
	s_or_b32 exec_lo, exec_lo, s1
	v_add_nc_u32_e32 v6, 16, v8
	s_delay_alu instid0(VALU_DEP_1) | instskip(NEXT) | instid1(VALU_DEP_1)
	v_cmp_le_i32_e64 s0, v6, v10
	s_and_b32 s1, vcc_lo, s0
	s_delay_alu instid0(SALU_CYCLE_1)
	s_and_saveexec_b32 s0, s1
	s_cbranch_execz .LBB1557_7
; %bb.6:
	v_ashrrev_i32_e32 v7, 31, v6
	s_delay_alu instid0(VALU_DEP_1) | instskip(NEXT) | instid1(VALU_DEP_1)
	v_lshlrev_b64 v[13:14], 3, v[6:7]
	v_add_co_u32 v11, vcc_lo, v11, v13
	s_delay_alu instid0(VALU_DEP_2)
	v_add_co_ci_u32_e32 v12, vcc_lo, v12, v14, vcc_lo
	global_store_b64 v[11:12], v[4:5], off
.LBB1557_7:
	s_or_b32 exec_lo, exec_lo, s0
	v_add_nc_u32_e32 v4, 16, v10
	s_delay_alu instid0(VALU_DEP_1) | instskip(SKIP_3) | instid1(VALU_DEP_4)
	v_ashrrev_i32_e32 v5, 31, v4
	v_mul_lo_u32 v7, v4, s7
	v_mad_u64_u32 v[9:10], null, v4, s6, 0
	v_cmp_gt_i32_e32 vcc_lo, s4, v4
	v_mul_lo_u32 v5, v5, s6
	v_cmp_le_i32_e64 s0, v8, v4
	s_delay_alu instid0(VALU_DEP_1) | instskip(NEXT) | instid1(VALU_DEP_2)
	s_and_b32 s0, vcc_lo, s0
	v_add3_u32 v10, v10, v7, v5
	s_delay_alu instid0(VALU_DEP_1) | instskip(NEXT) | instid1(VALU_DEP_1)
	v_lshlrev_b64 v[9:10], 3, v[9:10]
	v_add_co_u32 v5, s1, s2, v9
	s_delay_alu instid0(VALU_DEP_1)
	v_add_co_ci_u32_e64 v10, s1, s3, v10, s1
	s_and_saveexec_b32 s1, s0
	s_cbranch_execz .LBB1557_9
; %bb.8:
	v_ashrrev_i32_e32 v9, 31, v8
	s_delay_alu instid0(VALU_DEP_1) | instskip(NEXT) | instid1(VALU_DEP_1)
	v_lshlrev_b64 v[7:8], 3, v[8:9]
	v_add_co_u32 v7, s0, v5, v7
	s_delay_alu instid0(VALU_DEP_1)
	v_add_co_ci_u32_e64 v8, s0, v10, v8, s0
	global_store_b64 v[7:8], v[2:3], off
.LBB1557_9:
	s_or_b32 exec_lo, exec_lo, s1
	v_cmp_le_i32_e64 s0, v6, v4
	s_delay_alu instid0(VALU_DEP_1) | instskip(NEXT) | instid1(SALU_CYCLE_1)
	s_and_b32 s0, vcc_lo, s0
	s_and_saveexec_b32 s1, s0
	s_cbranch_execz .LBB1557_11
; %bb.10:
	v_ashrrev_i32_e32 v7, 31, v6
	s_delay_alu instid0(VALU_DEP_1) | instskip(NEXT) | instid1(VALU_DEP_1)
	v_lshlrev_b64 v[2:3], 3, v[6:7]
	v_add_co_u32 v2, vcc_lo, v5, v2
	s_delay_alu instid0(VALU_DEP_2)
	v_add_co_ci_u32_e32 v3, vcc_lo, v10, v3, vcc_lo
	global_store_b64 v[2:3], v[0:1], off
.LBB1557_11:
	s_nop 0
	s_sendmsg sendmsg(MSG_DEALLOC_VGPRS)
	s_endpgm
	.section	.rodata,"a",@progbits
	.p2align	6, 0x0
	.amdhsa_kernel _ZL37rocblas_syrkx_herkx_restricted_kernelIl19rocblas_complex_numIfELi16ELi32ELi8ELi1ELi0ELb0ELc84ELc85EKPKS1_KPS1_EviT_PT9_S7_lS9_S7_lPT10_S7_li
		.amdhsa_group_segment_fixed_size 4096
		.amdhsa_private_segment_fixed_size 0
		.amdhsa_kernarg_size 92
		.amdhsa_user_sgpr_count 13
		.amdhsa_user_sgpr_dispatch_ptr 0
		.amdhsa_user_sgpr_queue_ptr 0
		.amdhsa_user_sgpr_kernarg_segment_ptr 1
		.amdhsa_user_sgpr_dispatch_id 0
		.amdhsa_user_sgpr_private_segment_size 0
		.amdhsa_wavefront_size32 1
		.amdhsa_uses_dynamic_stack 0
		.amdhsa_enable_private_segment 0
		.amdhsa_system_sgpr_workgroup_id_x 1
		.amdhsa_system_sgpr_workgroup_id_y 1
		.amdhsa_system_sgpr_workgroup_id_z 1
		.amdhsa_system_sgpr_workgroup_info 0
		.amdhsa_system_vgpr_workitem_id 1
		.amdhsa_next_free_vgpr 92
		.amdhsa_next_free_sgpr 20
		.amdhsa_reserve_vcc 1
		.amdhsa_float_round_mode_32 0
		.amdhsa_float_round_mode_16_64 0
		.amdhsa_float_denorm_mode_32 3
		.amdhsa_float_denorm_mode_16_64 3
		.amdhsa_dx10_clamp 1
		.amdhsa_ieee_mode 1
		.amdhsa_fp16_overflow 0
		.amdhsa_workgroup_processor_mode 1
		.amdhsa_memory_ordered 1
		.amdhsa_forward_progress 0
		.amdhsa_shared_vgpr_count 0
		.amdhsa_exception_fp_ieee_invalid_op 0
		.amdhsa_exception_fp_denorm_src 0
		.amdhsa_exception_fp_ieee_div_zero 0
		.amdhsa_exception_fp_ieee_overflow 0
		.amdhsa_exception_fp_ieee_underflow 0
		.amdhsa_exception_fp_ieee_inexact 0
		.amdhsa_exception_int_div_zero 0
	.end_amdhsa_kernel
	.section	.text._ZL37rocblas_syrkx_herkx_restricted_kernelIl19rocblas_complex_numIfELi16ELi32ELi8ELi1ELi0ELb0ELc84ELc85EKPKS1_KPS1_EviT_PT9_S7_lS9_S7_lPT10_S7_li,"axG",@progbits,_ZL37rocblas_syrkx_herkx_restricted_kernelIl19rocblas_complex_numIfELi16ELi32ELi8ELi1ELi0ELb0ELc84ELc85EKPKS1_KPS1_EviT_PT9_S7_lS9_S7_lPT10_S7_li,comdat
.Lfunc_end1557:
	.size	_ZL37rocblas_syrkx_herkx_restricted_kernelIl19rocblas_complex_numIfELi16ELi32ELi8ELi1ELi0ELb0ELc84ELc85EKPKS1_KPS1_EviT_PT9_S7_lS9_S7_lPT10_S7_li, .Lfunc_end1557-_ZL37rocblas_syrkx_herkx_restricted_kernelIl19rocblas_complex_numIfELi16ELi32ELi8ELi1ELi0ELb0ELc84ELc85EKPKS1_KPS1_EviT_PT9_S7_lS9_S7_lPT10_S7_li
                                        ; -- End function
	.section	.AMDGPU.csdata,"",@progbits
; Kernel info:
; codeLenInByte = 2144
; NumSgprs: 22
; NumVgprs: 92
; ScratchSize: 0
; MemoryBound: 0
; FloatMode: 240
; IeeeMode: 1
; LDSByteSize: 4096 bytes/workgroup (compile time only)
; SGPRBlocks: 2
; VGPRBlocks: 11
; NumSGPRsForWavesPerEU: 22
; NumVGPRsForWavesPerEU: 92
; Occupancy: 16
; WaveLimiterHint : 1
; COMPUTE_PGM_RSRC2:SCRATCH_EN: 0
; COMPUTE_PGM_RSRC2:USER_SGPR: 13
; COMPUTE_PGM_RSRC2:TRAP_HANDLER: 0
; COMPUTE_PGM_RSRC2:TGID_X_EN: 1
; COMPUTE_PGM_RSRC2:TGID_Y_EN: 1
; COMPUTE_PGM_RSRC2:TGID_Z_EN: 1
; COMPUTE_PGM_RSRC2:TIDIG_COMP_CNT: 1
	.section	.text._ZL37rocblas_syrkx_herkx_restricted_kernelIl19rocblas_complex_numIfELi16ELi32ELi8ELi1ELi0ELb0ELc67ELc85EKPKS1_KPS1_EviT_PT9_S7_lS9_S7_lPT10_S7_li,"axG",@progbits,_ZL37rocblas_syrkx_herkx_restricted_kernelIl19rocblas_complex_numIfELi16ELi32ELi8ELi1ELi0ELb0ELc67ELc85EKPKS1_KPS1_EviT_PT9_S7_lS9_S7_lPT10_S7_li,comdat
	.globl	_ZL37rocblas_syrkx_herkx_restricted_kernelIl19rocblas_complex_numIfELi16ELi32ELi8ELi1ELi0ELb0ELc67ELc85EKPKS1_KPS1_EviT_PT9_S7_lS9_S7_lPT10_S7_li ; -- Begin function _ZL37rocblas_syrkx_herkx_restricted_kernelIl19rocblas_complex_numIfELi16ELi32ELi8ELi1ELi0ELb0ELc67ELc85EKPKS1_KPS1_EviT_PT9_S7_lS9_S7_lPT10_S7_li
	.p2align	8
	.type	_ZL37rocblas_syrkx_herkx_restricted_kernelIl19rocblas_complex_numIfELi16ELi32ELi8ELi1ELi0ELb0ELc67ELc85EKPKS1_KPS1_EviT_PT9_S7_lS9_S7_lPT10_S7_li,@function
_ZL37rocblas_syrkx_herkx_restricted_kernelIl19rocblas_complex_numIfELi16ELi32ELi8ELi1ELi0ELb0ELc67ELc85EKPKS1_KPS1_EviT_PT9_S7_lS9_S7_lPT10_S7_li: ; @_ZL37rocblas_syrkx_herkx_restricted_kernelIl19rocblas_complex_numIfELi16ELi32ELi8ELi1ELi0ELb0ELc67ELc85EKPKS1_KPS1_EviT_PT9_S7_lS9_S7_lPT10_S7_li
; %bb.0:
	s_clause 0x1
	s_load_b128 s[4:7], s[0:1], 0x40
	s_load_b128 s[8:11], s[0:1], 0x8
	s_mov_b32 s2, s15
	s_mov_b32 s3, 0
	v_dual_mov_b32 v7, 0 :: v_dual_and_b32 v12, 0x3ff, v0
	s_lshl_b64 s[16:17], s[2:3], 3
	v_bfe_u32 v13, v0, 10, 10
	v_dual_mov_b32 v6, 0 :: v_dual_mov_b32 v5, 0
	v_dual_mov_b32 v4, 0 :: v_dual_mov_b32 v3, 0
	;; [unrolled: 1-line block ×3, first 2 shown]
	v_mov_b32_e32 v0, 0
	s_waitcnt lgkmcnt(0)
	s_add_u32 s2, s4, s16
	s_addc_u32 s3, s5, s17
	v_cmp_lt_i64_e64 s4, s[8:9], 1
	s_load_b64 s[2:3], s[2:3], 0x0
	s_lshl_b32 s18, s13, 5
	s_lshl_b32 s19, s14, 5
	s_delay_alu instid0(VALU_DEP_1)
	s_and_b32 vcc_lo, exec_lo, s4
	s_cbranch_vccnz .LBB1558_3
; %bb.1:
	s_clause 0x1
	s_load_b128 s[12:15], s[0:1], 0x28
	s_load_b64 s[4:5], s[0:1], 0x18
	v_lshl_add_u32 v2, v13, 4, v12
	v_dual_mov_b32 v1, 0 :: v_dual_and_b32 v0, 7, v12
	s_add_u32 s10, s10, s16
	s_addc_u32 s11, s11, s17
	s_delay_alu instid0(VALU_DEP_2)
	v_lshrrev_b32_e32 v8, 3, v2
	v_and_b32_e32 v9, 31, v2
	v_lshrrev_b32_e32 v2, 5, v2
	v_mov_b32_e32 v3, v1
	s_load_b64 s[10:11], s[10:11], 0x0
	v_add_nc_u32_e32 v10, s19, v8
	v_add_nc_u32_e32 v6, s18, v9
	v_lshlrev_b32_e32 v9, 3, v9
	s_delay_alu instid0(VALU_DEP_3) | instskip(NEXT) | instid1(VALU_DEP_3)
	v_ashrrev_i32_e32 v4, 31, v10
	v_ashrrev_i32_e32 v5, 31, v6
	s_delay_alu instid0(VALU_DEP_3)
	v_lshl_or_b32 v16, v2, 8, v9
	s_waitcnt lgkmcnt(0)
	s_add_u32 s12, s12, s16
	s_addc_u32 s13, s13, s17
	v_mul_lo_u32 v11, v4, s14
	v_mul_lo_u32 v14, s4, v5
	v_mad_u64_u32 v[4:5], null, s4, v6, v[2:3]
	v_mul_lo_u32 v3, s5, v6
	s_load_b64 s[4:5], s[12:13], 0x0
	v_mul_lo_u32 v15, v10, s15
	v_mad_u64_u32 v[6:7], null, v10, s14, v[0:1]
	v_lshlrev_b32_e32 v0, 3, v0
	s_delay_alu instid0(VALU_DEP_4) | instskip(SKIP_1) | instid1(VALU_DEP_3)
	v_add3_u32 v5, v3, v5, v14
	v_lshlrev_b32_e32 v14, 3, v12
	v_lshl_or_b32 v0, v8, 6, v0
	v_add3_u32 v7, v11, v7, v15
	v_lshl_add_u32 v15, v13, 6, 0x800
	v_lshlrev_b64 v[3:4], 3, v[4:5]
	s_delay_alu instid0(VALU_DEP_4) | instskip(NEXT) | instid1(VALU_DEP_4)
	v_add_nc_u32_e32 v17, 0x800, v0
	v_lshlrev_b64 v[5:6], 3, v[6:7]
	v_mov_b32_e32 v7, v1
	s_delay_alu instid0(VALU_DEP_4) | instskip(SKIP_2) | instid1(VALU_DEP_4)
	v_add_co_u32 v0, vcc_lo, v3, s10
	v_add_co_ci_u32_e32 v2, vcc_lo, s11, v4, vcc_lo
	s_waitcnt lgkmcnt(0)
	v_add_co_u32 v3, vcc_lo, v5, s4
	v_add_co_ci_u32_e32 v4, vcc_lo, s5, v6, vcc_lo
	v_add_co_u32 v8, vcc_lo, v0, 4
	v_add_co_ci_u32_e32 v9, vcc_lo, 0, v2, vcc_lo
	s_delay_alu instid0(VALU_DEP_4) | instskip(NEXT) | instid1(VALU_DEP_4)
	v_add_co_u32 v10, vcc_lo, v3, 4
	v_add_co_ci_u32_e32 v11, vcc_lo, 0, v4, vcc_lo
	v_mov_b32_e32 v4, v1
	v_mov_b32_e32 v0, v1
	;; [unrolled: 1-line block ×6, first 2 shown]
	s_mov_b64 s[4:5], 0
.LBB1558_2:                             ; =>This Inner Loop Header: Depth=1
	global_load_b64 v[18:19], v[8:9], off offset:-4
	global_load_b64 v[20:21], v[10:11], off offset:-4
	s_add_u32 s4, s4, 8
	v_add_co_u32 v8, vcc_lo, v8, 64
	s_addc_u32 s5, s5, 0
	v_add_co_ci_u32_e32 v9, vcc_lo, 0, v9, vcc_lo
	v_cmp_ge_u64_e64 s10, s[4:5], s[8:9]
	v_add_co_u32 v10, vcc_lo, v10, 64
	v_add_co_ci_u32_e32 v11, vcc_lo, 0, v11, vcc_lo
	s_waitcnt vmcnt(1)
	ds_store_b64 v16, v[18:19]
	s_waitcnt vmcnt(0)
	ds_store_b64 v17, v[20:21]
	s_waitcnt lgkmcnt(0)
	s_barrier
	buffer_gl0_inv
	ds_load_2addr_b64 v[18:21], v14 offset1:16
	ds_load_b128 v[22:25], v15
	ds_load_b128 v[26:29], v15 offset:1024
	ds_load_b128 v[30:33], v15 offset:16
	ds_load_b128 v[34:37], v15 offset:32
	ds_load_b128 v[38:41], v15 offset:48
	ds_load_2addr_b64 v[42:45], v14 offset0:32 offset1:48
	ds_load_2addr_b64 v[46:49], v14 offset0:64 offset1:80
	ds_load_b128 v[50:53], v15 offset:1040
	ds_load_2addr_b64 v[54:57], v14 offset0:96 offset1:112
	ds_load_2addr_b64 v[58:61], v14 offset0:128 offset1:144
	;; [unrolled: 1-line block ×4, first 2 shown]
	ds_load_b128 v[70:73], v15 offset:1056
	ds_load_b128 v[74:77], v15 offset:1072
	ds_load_2addr_b64 v[78:81], v14 offset0:224 offset1:240
	s_and_b32 vcc_lo, exec_lo, s10
	s_waitcnt lgkmcnt(0)
	s_barrier
	buffer_gl0_inv
	v_dual_mul_f32 v82, v23, v19 :: v_dual_mul_f32 v85, v22, v21
	v_dual_mul_f32 v83, v22, v19 :: v_dual_mul_f32 v84, v23, v21
	v_mul_f32_e32 v86, v27, v19
	v_dual_mul_f32 v19, v26, v19 :: v_dual_mul_f32 v90, v25, v45
	v_dual_mul_f32 v87, v27, v21 :: v_dual_mul_f32 v88, v25, v43
	v_mul_f32_e32 v21, v26, v21
	v_mul_f32_e32 v89, v24, v43
	;; [unrolled: 1-line block ×3, first 2 shown]
	v_fma_f32 v82, v22, v18, -v82
	v_fmac_f32_e32 v83, v23, v18
	v_fma_f32 v22, v22, v20, -v84
	v_dual_fmac_f32 v85, v23, v20 :: v_dual_mul_f32 v84, v30, v47
	v_fma_f32 v23, v26, v18, -v86
	v_fmac_f32_e32 v19, v27, v18
	v_fma_f32 v18, v26, v20, -v87
	v_dual_mul_f32 v26, v28, v43 :: v_dual_fmac_f32 v21, v27, v20
	v_mul_f32_e32 v20, v29, v43
	v_mul_f32_e32 v27, v29, v45
	v_dual_mul_f32 v43, v28, v45 :: v_dual_fmac_f32 v84, v31, v46
	v_fma_f32 v45, v24, v42, -v88
	v_fma_f32 v24, v24, v44, -v90
	v_dual_fmac_f32 v91, v25, v44 :: v_dual_mul_f32 v90, v32, v57
	v_dual_mul_f32 v86, v31, v49 :: v_dual_fmac_f32 v89, v25, v42
	v_dual_mul_f32 v25, v31, v47 :: v_dual_mul_f32 v88, v33, v57
	v_fma_f32 v20, v28, v42, -v20
	v_fmac_f32_e32 v26, v29, v42
	v_fma_f32 v27, v28, v44, -v27
	v_dual_fmac_f32 v43, v29, v44 :: v_dual_mul_f32 v28, v51, v47
	v_dual_mul_f32 v29, v50, v47 :: v_dual_mul_f32 v42, v51, v49
	v_mul_f32_e32 v44, v50, v49
	v_mul_f32_e32 v87, v30, v49
	v_mul_f32_e32 v47, v33, v55
	v_dual_mul_f32 v49, v32, v55 :: v_dual_fmac_f32 v90, v33, v56
	v_fma_f32 v25, v30, v46, -v25
	v_fma_f32 v30, v30, v48, -v86
	;; [unrolled: 1-line block ×3, first 2 shown]
	v_fmac_f32_e32 v44, v51, v48
	v_fmac_f32_e32 v87, v31, v48
	v_fma_f32 v31, v50, v48, -v42
	v_mul_f32_e32 v42, v53, v55
	v_mul_f32_e32 v48, v53, v57
	v_dual_mul_f32 v50, v52, v57 :: v_dual_fmac_f32 v29, v51, v46
	v_mul_f32_e32 v46, v52, v55
	v_fma_f32 v47, v32, v54, -v47
	v_fmac_f32_e32 v49, v33, v54
	v_fma_f32 v32, v32, v56, -v88
	s_delay_alu instid0(VALU_DEP_4)
	v_dual_mul_f32 v33, v35, v59 :: v_dual_fmac_f32 v46, v53, v54
	v_mul_f32_e32 v51, v34, v59
	v_mul_f32_e32 v55, v35, v61
	v_fma_f32 v42, v52, v54, -v42
	v_fma_f32 v48, v52, v56, -v48
	v_fmac_f32_e32 v50, v53, v56
	v_mul_f32_e32 v52, v71, v59
	v_dual_mul_f32 v53, v70, v59 :: v_dual_mul_f32 v86, v37, v65
	v_mul_f32_e32 v54, v71, v61
	v_dual_mul_f32 v56, v70, v61 :: v_dual_mul_f32 v59, v37, v63
	v_mul_f32_e32 v57, v34, v61
	v_mul_f32_e32 v61, v36, v63
	v_dual_mul_f32 v88, v36, v65 :: v_dual_fmac_f32 v51, v35, v58
	v_fma_f32 v33, v34, v58, -v33
	v_fmac_f32_e32 v53, v71, v58
	v_fmac_f32_e32 v56, v71, v60
	s_delay_alu instid0(VALU_DEP_4)
	v_fmac_f32_e32 v88, v37, v64
	v_fmac_f32_e32 v57, v35, v60
	v_fma_f32 v35, v70, v58, -v52
	v_fma_f32 v52, v70, v60, -v54
	v_mul_f32_e32 v54, v73, v63
	v_fma_f32 v34, v34, v60, -v55
	v_mul_f32_e32 v60, v72, v65
	v_dual_mul_f32 v55, v72, v63 :: v_dual_mul_f32 v70, v38, v69
	v_mul_f32_e32 v58, v73, v65
	v_fma_f32 v59, v36, v62, -v59
	v_fmac_f32_e32 v61, v37, v62
	v_fma_f32 v36, v36, v64, -v86
	v_dual_mul_f32 v37, v39, v67 :: v_dual_fmac_f32 v60, v73, v64
	v_dual_mul_f32 v63, v38, v67 :: v_dual_mul_f32 v86, v40, v81
	v_mul_f32_e32 v65, v39, v69
	v_fma_f32 v54, v72, v62, -v54
	v_fmac_f32_e32 v55, v73, v62
	v_fma_f32 v58, v72, v64, -v58
	v_mul_f32_e32 v72, v40, v79
	v_mul_f32_e32 v62, v75, v67
	v_dual_mul_f32 v64, v74, v67 :: v_dual_mul_f32 v67, v75, v69
	v_dual_mul_f32 v69, v74, v69 :: v_dual_fmac_f32 v70, v39, v68
	s_delay_alu instid0(VALU_DEP_2)
	v_dual_mul_f32 v71, v41, v79 :: v_dual_fmac_f32 v64, v75, v66
	v_fma_f32 v37, v38, v66, -v37
	v_fmac_f32_e32 v63, v39, v66
	v_fma_f32 v39, v74, v66, -v62
	v_dual_mul_f32 v66, v76, v79 :: v_dual_mul_f32 v73, v41, v81
	v_add_f32_e32 v6, v6, v82
	v_fma_f32 v38, v38, v68, -v65
	v_fma_f32 v62, v74, v68, -v67
	v_dual_fmac_f32 v69, v75, v68 :: v_dual_fmac_f32 v72, v41, v78
	v_dual_mul_f32 v65, v77, v79 :: v_dual_add_f32 v4, v4, v22
	v_dual_mul_f32 v67, v77, v81 :: v_dual_add_f32 v2, v2, v23
	v_mul_f32_e32 v68, v76, v81
	v_dual_fmac_f32 v86, v41, v80 :: v_dual_add_f32 v7, v7, v83
	v_dual_fmac_f32 v66, v77, v78 :: v_dual_add_f32 v3, v3, v19
	v_dual_add_f32 v5, v5, v85 :: v_dual_add_f32 v0, v0, v18
	v_dual_add_f32 v1, v1, v21 :: v_dual_add_f32 v4, v4, v24
	s_delay_alu instid0(VALU_DEP_4) | instskip(NEXT) | instid1(VALU_DEP_3)
	v_dual_fmac_f32 v68, v77, v80 :: v_dual_add_f32 v7, v7, v89
	v_dual_add_f32 v6, v6, v45 :: v_dual_add_f32 v5, v5, v91
	v_dual_add_f32 v2, v2, v20 :: v_dual_add_f32 v3, v3, v26
	s_delay_alu instid0(VALU_DEP_3) | instskip(NEXT) | instid1(VALU_DEP_3)
	v_dual_add_f32 v0, v0, v27 :: v_dual_add_f32 v7, v7, v84
	v_dual_add_f32 v1, v1, v43 :: v_dual_add_f32 v6, v6, v25
	s_delay_alu instid0(VALU_DEP_4) | instskip(NEXT) | instid1(VALU_DEP_4)
	v_dual_add_f32 v4, v4, v30 :: v_dual_add_f32 v5, v5, v87
	v_dual_add_f32 v2, v2, v28 :: v_dual_add_f32 v3, v3, v29
	s_delay_alu instid0(VALU_DEP_3) | instskip(NEXT) | instid1(VALU_DEP_4)
	v_dual_add_f32 v0, v0, v31 :: v_dual_add_f32 v1, v1, v44
	v_dual_add_f32 v6, v6, v47 :: v_dual_add_f32 v7, v7, v49
	s_delay_alu instid0(VALU_DEP_4) | instskip(NEXT) | instid1(VALU_DEP_4)
	v_dual_add_f32 v4, v4, v32 :: v_dual_add_f32 v5, v5, v90
	v_add_f32_e32 v2, v2, v42
	s_delay_alu instid0(VALU_DEP_4) | instskip(NEXT) | instid1(VALU_DEP_4)
	v_dual_add_f32 v3, v3, v46 :: v_dual_add_f32 v0, v0, v48
	v_dual_add_f32 v1, v1, v50 :: v_dual_add_f32 v6, v6, v33
	s_delay_alu instid0(VALU_DEP_4) | instskip(NEXT) | instid1(VALU_DEP_4)
	v_dual_add_f32 v7, v7, v51 :: v_dual_add_f32 v4, v4, v34
	v_dual_add_f32 v5, v5, v57 :: v_dual_add_f32 v2, v2, v35
	s_delay_alu instid0(VALU_DEP_4) | instskip(NEXT) | instid1(VALU_DEP_3)
	v_dual_add_f32 v3, v3, v53 :: v_dual_add_f32 v0, v0, v52
	v_add_f32_e32 v7, v7, v61
	v_dual_add_f32 v1, v1, v56 :: v_dual_add_f32 v6, v6, v59
	s_delay_alu instid0(VALU_DEP_3) | instskip(SKIP_1) | instid1(VALU_DEP_3)
	v_dual_add_f32 v4, v4, v36 :: v_dual_add_f32 v3, v3, v55
	v_dual_add_f32 v5, v5, v88 :: v_dual_add_f32 v2, v2, v54
	;; [unrolled: 1-line block ×3, first 2 shown]
	v_fma_f32 v71, v40, v78, -v71
	v_fma_f32 v40, v40, v80, -v73
	;; [unrolled: 1-line block ×4, first 2 shown]
	v_dual_add_f32 v6, v6, v37 :: v_dual_add_f32 v7, v7, v63
	v_dual_add_f32 v4, v4, v38 :: v_dual_add_f32 v3, v3, v64
	;; [unrolled: 1-line block ×4, first 2 shown]
	s_delay_alu instid0(VALU_DEP_4) | instskip(NEXT) | instid1(VALU_DEP_3)
	v_dual_add_f32 v6, v6, v71 :: v_dual_add_f32 v7, v7, v72
	v_dual_add_f32 v4, v4, v40 :: v_dual_add_f32 v5, v5, v86
	s_delay_alu instid0(VALU_DEP_4) | instskip(NEXT) | instid1(VALU_DEP_4)
	v_dual_add_f32 v2, v2, v41 :: v_dual_add_f32 v3, v3, v66
	v_dual_add_f32 v0, v0, v65 :: v_dual_add_f32 v1, v1, v68
	s_cbranch_vccz .LBB1558_2
.LBB1558_3:
	v_add_nc_u32_e32 v10, s19, v13
	s_load_b32 s4, s[0:1], 0x0
	s_delay_alu instid0(VALU_DEP_1) | instskip(SKIP_2) | instid1(VALU_DEP_3)
	v_ashrrev_i32_e32 v8, 31, v10
	v_mul_lo_u32 v9, v10, s7
	v_mad_u64_u32 v[13:14], null, v10, s6, 0
	v_mul_lo_u32 v8, v8, s6
	s_delay_alu instid0(VALU_DEP_1) | instskip(SKIP_3) | instid1(VALU_DEP_3)
	v_add3_u32 v14, v14, v9, v8
	v_add_nc_u32_e32 v8, s18, v12
	s_waitcnt lgkmcnt(0)
	v_cmp_gt_i32_e32 vcc_lo, s4, v10
	v_lshlrev_b64 v[11:12], 3, v[13:14]
	s_delay_alu instid0(VALU_DEP_3) | instskip(NEXT) | instid1(VALU_DEP_1)
	v_cmp_le_i32_e64 s0, v8, v10
	s_and_b32 s0, vcc_lo, s0
	s_delay_alu instid0(VALU_DEP_2) | instskip(NEXT) | instid1(VALU_DEP_1)
	v_add_co_u32 v11, s1, s2, v11
	v_add_co_ci_u32_e64 v12, s1, s3, v12, s1
	s_and_saveexec_b32 s1, s0
	s_cbranch_execz .LBB1558_5
; %bb.4:
	v_ashrrev_i32_e32 v9, 31, v8
	s_delay_alu instid0(VALU_DEP_1) | instskip(NEXT) | instid1(VALU_DEP_1)
	v_lshlrev_b64 v[13:14], 3, v[8:9]
	v_add_co_u32 v13, s0, v11, v13
	s_delay_alu instid0(VALU_DEP_1)
	v_add_co_ci_u32_e64 v14, s0, v12, v14, s0
	global_store_b64 v[13:14], v[6:7], off
.LBB1558_5:
	s_or_b32 exec_lo, exec_lo, s1
	v_add_nc_u32_e32 v6, 16, v8
	s_delay_alu instid0(VALU_DEP_1) | instskip(NEXT) | instid1(VALU_DEP_1)
	v_cmp_le_i32_e64 s0, v6, v10
	s_and_b32 s1, vcc_lo, s0
	s_delay_alu instid0(SALU_CYCLE_1)
	s_and_saveexec_b32 s0, s1
	s_cbranch_execz .LBB1558_7
; %bb.6:
	v_ashrrev_i32_e32 v7, 31, v6
	s_delay_alu instid0(VALU_DEP_1) | instskip(NEXT) | instid1(VALU_DEP_1)
	v_lshlrev_b64 v[13:14], 3, v[6:7]
	v_add_co_u32 v11, vcc_lo, v11, v13
	s_delay_alu instid0(VALU_DEP_2)
	v_add_co_ci_u32_e32 v12, vcc_lo, v12, v14, vcc_lo
	global_store_b64 v[11:12], v[4:5], off
.LBB1558_7:
	s_or_b32 exec_lo, exec_lo, s0
	v_add_nc_u32_e32 v4, 16, v10
	s_delay_alu instid0(VALU_DEP_1) | instskip(SKIP_3) | instid1(VALU_DEP_4)
	v_ashrrev_i32_e32 v5, 31, v4
	v_mul_lo_u32 v7, v4, s7
	v_mad_u64_u32 v[9:10], null, v4, s6, 0
	v_cmp_gt_i32_e32 vcc_lo, s4, v4
	v_mul_lo_u32 v5, v5, s6
	v_cmp_le_i32_e64 s0, v8, v4
	s_delay_alu instid0(VALU_DEP_1) | instskip(NEXT) | instid1(VALU_DEP_2)
	s_and_b32 s0, vcc_lo, s0
	v_add3_u32 v10, v10, v7, v5
	s_delay_alu instid0(VALU_DEP_1) | instskip(NEXT) | instid1(VALU_DEP_1)
	v_lshlrev_b64 v[9:10], 3, v[9:10]
	v_add_co_u32 v5, s1, s2, v9
	s_delay_alu instid0(VALU_DEP_1)
	v_add_co_ci_u32_e64 v10, s1, s3, v10, s1
	s_and_saveexec_b32 s1, s0
	s_cbranch_execz .LBB1558_9
; %bb.8:
	v_ashrrev_i32_e32 v9, 31, v8
	s_delay_alu instid0(VALU_DEP_1) | instskip(NEXT) | instid1(VALU_DEP_1)
	v_lshlrev_b64 v[7:8], 3, v[8:9]
	v_add_co_u32 v7, s0, v5, v7
	s_delay_alu instid0(VALU_DEP_1)
	v_add_co_ci_u32_e64 v8, s0, v10, v8, s0
	global_store_b64 v[7:8], v[2:3], off
.LBB1558_9:
	s_or_b32 exec_lo, exec_lo, s1
	v_cmp_le_i32_e64 s0, v6, v4
	s_delay_alu instid0(VALU_DEP_1) | instskip(NEXT) | instid1(SALU_CYCLE_1)
	s_and_b32 s0, vcc_lo, s0
	s_and_saveexec_b32 s1, s0
	s_cbranch_execz .LBB1558_11
; %bb.10:
	v_ashrrev_i32_e32 v7, 31, v6
	s_delay_alu instid0(VALU_DEP_1) | instskip(NEXT) | instid1(VALU_DEP_1)
	v_lshlrev_b64 v[2:3], 3, v[6:7]
	v_add_co_u32 v2, vcc_lo, v5, v2
	s_delay_alu instid0(VALU_DEP_2)
	v_add_co_ci_u32_e32 v3, vcc_lo, v10, v3, vcc_lo
	global_store_b64 v[2:3], v[0:1], off
.LBB1558_11:
	s_nop 0
	s_sendmsg sendmsg(MSG_DEALLOC_VGPRS)
	s_endpgm
	.section	.rodata,"a",@progbits
	.p2align	6, 0x0
	.amdhsa_kernel _ZL37rocblas_syrkx_herkx_restricted_kernelIl19rocblas_complex_numIfELi16ELi32ELi8ELi1ELi0ELb0ELc67ELc85EKPKS1_KPS1_EviT_PT9_S7_lS9_S7_lPT10_S7_li
		.amdhsa_group_segment_fixed_size 4096
		.amdhsa_private_segment_fixed_size 0
		.amdhsa_kernarg_size 92
		.amdhsa_user_sgpr_count 13
		.amdhsa_user_sgpr_dispatch_ptr 0
		.amdhsa_user_sgpr_queue_ptr 0
		.amdhsa_user_sgpr_kernarg_segment_ptr 1
		.amdhsa_user_sgpr_dispatch_id 0
		.amdhsa_user_sgpr_private_segment_size 0
		.amdhsa_wavefront_size32 1
		.amdhsa_uses_dynamic_stack 0
		.amdhsa_enable_private_segment 0
		.amdhsa_system_sgpr_workgroup_id_x 1
		.amdhsa_system_sgpr_workgroup_id_y 1
		.amdhsa_system_sgpr_workgroup_id_z 1
		.amdhsa_system_sgpr_workgroup_info 0
		.amdhsa_system_vgpr_workitem_id 1
		.amdhsa_next_free_vgpr 92
		.amdhsa_next_free_sgpr 20
		.amdhsa_reserve_vcc 1
		.amdhsa_float_round_mode_32 0
		.amdhsa_float_round_mode_16_64 0
		.amdhsa_float_denorm_mode_32 3
		.amdhsa_float_denorm_mode_16_64 3
		.amdhsa_dx10_clamp 1
		.amdhsa_ieee_mode 1
		.amdhsa_fp16_overflow 0
		.amdhsa_workgroup_processor_mode 1
		.amdhsa_memory_ordered 1
		.amdhsa_forward_progress 0
		.amdhsa_shared_vgpr_count 0
		.amdhsa_exception_fp_ieee_invalid_op 0
		.amdhsa_exception_fp_denorm_src 0
		.amdhsa_exception_fp_ieee_div_zero 0
		.amdhsa_exception_fp_ieee_overflow 0
		.amdhsa_exception_fp_ieee_underflow 0
		.amdhsa_exception_fp_ieee_inexact 0
		.amdhsa_exception_int_div_zero 0
	.end_amdhsa_kernel
	.section	.text._ZL37rocblas_syrkx_herkx_restricted_kernelIl19rocblas_complex_numIfELi16ELi32ELi8ELi1ELi0ELb0ELc67ELc85EKPKS1_KPS1_EviT_PT9_S7_lS9_S7_lPT10_S7_li,"axG",@progbits,_ZL37rocblas_syrkx_herkx_restricted_kernelIl19rocblas_complex_numIfELi16ELi32ELi8ELi1ELi0ELb0ELc67ELc85EKPKS1_KPS1_EviT_PT9_S7_lS9_S7_lPT10_S7_li,comdat
.Lfunc_end1558:
	.size	_ZL37rocblas_syrkx_herkx_restricted_kernelIl19rocblas_complex_numIfELi16ELi32ELi8ELi1ELi0ELb0ELc67ELc85EKPKS1_KPS1_EviT_PT9_S7_lS9_S7_lPT10_S7_li, .Lfunc_end1558-_ZL37rocblas_syrkx_herkx_restricted_kernelIl19rocblas_complex_numIfELi16ELi32ELi8ELi1ELi0ELb0ELc67ELc85EKPKS1_KPS1_EviT_PT9_S7_lS9_S7_lPT10_S7_li
                                        ; -- End function
	.section	.AMDGPU.csdata,"",@progbits
; Kernel info:
; codeLenInByte = 2144
; NumSgprs: 22
; NumVgprs: 92
; ScratchSize: 0
; MemoryBound: 0
; FloatMode: 240
; IeeeMode: 1
; LDSByteSize: 4096 bytes/workgroup (compile time only)
; SGPRBlocks: 2
; VGPRBlocks: 11
; NumSGPRsForWavesPerEU: 22
; NumVGPRsForWavesPerEU: 92
; Occupancy: 16
; WaveLimiterHint : 1
; COMPUTE_PGM_RSRC2:SCRATCH_EN: 0
; COMPUTE_PGM_RSRC2:USER_SGPR: 13
; COMPUTE_PGM_RSRC2:TRAP_HANDLER: 0
; COMPUTE_PGM_RSRC2:TGID_X_EN: 1
; COMPUTE_PGM_RSRC2:TGID_Y_EN: 1
; COMPUTE_PGM_RSRC2:TGID_Z_EN: 1
; COMPUTE_PGM_RSRC2:TIDIG_COMP_CNT: 1
	.section	.text._ZL37rocblas_syrkx_herkx_restricted_kernelIl19rocblas_complex_numIfELi16ELi32ELi8ELi1ELi0ELb0ELc78ELc85EKPKS1_KPS1_EviT_PT9_S7_lS9_S7_lPT10_S7_li,"axG",@progbits,_ZL37rocblas_syrkx_herkx_restricted_kernelIl19rocblas_complex_numIfELi16ELi32ELi8ELi1ELi0ELb0ELc78ELc85EKPKS1_KPS1_EviT_PT9_S7_lS9_S7_lPT10_S7_li,comdat
	.globl	_ZL37rocblas_syrkx_herkx_restricted_kernelIl19rocblas_complex_numIfELi16ELi32ELi8ELi1ELi0ELb0ELc78ELc85EKPKS1_KPS1_EviT_PT9_S7_lS9_S7_lPT10_S7_li ; -- Begin function _ZL37rocblas_syrkx_herkx_restricted_kernelIl19rocblas_complex_numIfELi16ELi32ELi8ELi1ELi0ELb0ELc78ELc85EKPKS1_KPS1_EviT_PT9_S7_lS9_S7_lPT10_S7_li
	.p2align	8
	.type	_ZL37rocblas_syrkx_herkx_restricted_kernelIl19rocblas_complex_numIfELi16ELi32ELi8ELi1ELi0ELb0ELc78ELc85EKPKS1_KPS1_EviT_PT9_S7_lS9_S7_lPT10_S7_li,@function
_ZL37rocblas_syrkx_herkx_restricted_kernelIl19rocblas_complex_numIfELi16ELi32ELi8ELi1ELi0ELb0ELc78ELc85EKPKS1_KPS1_EviT_PT9_S7_lS9_S7_lPT10_S7_li: ; @_ZL37rocblas_syrkx_herkx_restricted_kernelIl19rocblas_complex_numIfELi16ELi32ELi8ELi1ELi0ELb0ELc78ELc85EKPKS1_KPS1_EviT_PT9_S7_lS9_S7_lPT10_S7_li
; %bb.0:
	s_clause 0x1
	s_load_b128 s[4:7], s[0:1], 0x40
	s_load_b128 s[8:11], s[0:1], 0x8
	s_mov_b32 s2, s15
	s_mov_b32 s3, 0
	v_dual_mov_b32 v7, 0 :: v_dual_and_b32 v12, 0x3ff, v0
	s_lshl_b64 s[16:17], s[2:3], 3
	v_bfe_u32 v13, v0, 10, 10
	v_dual_mov_b32 v6, 0 :: v_dual_mov_b32 v5, 0
	v_dual_mov_b32 v4, 0 :: v_dual_mov_b32 v3, 0
	;; [unrolled: 1-line block ×3, first 2 shown]
	v_mov_b32_e32 v0, 0
	s_waitcnt lgkmcnt(0)
	s_add_u32 s2, s4, s16
	s_addc_u32 s3, s5, s17
	v_cmp_lt_i64_e64 s4, s[8:9], 1
	s_load_b64 s[2:3], s[2:3], 0x0
	s_lshl_b32 s18, s13, 5
	s_lshl_b32 s19, s14, 5
	s_delay_alu instid0(VALU_DEP_1)
	s_and_b32 vcc_lo, exec_lo, s4
	s_cbranch_vccnz .LBB1559_3
; %bb.1:
	v_lshl_add_u32 v1, v13, 4, v12
	s_clause 0x1
	s_load_b64 s[4:5], s[0:1], 0x18
	s_load_b128 s[12:15], s[0:1], 0x28
	v_and_b32_e32 v16, 7, v12
	s_add_u32 s10, s10, s16
	s_addc_u32 s11, s11, s17
	v_lshrrev_b32_e32 v10, 3, v1
	v_and_b32_e32 v9, 31, v1
	v_lshrrev_b32_e32 v11, 5, v1
	s_load_b64 s[10:11], s[10:11], 0x0
	v_lshlrev_b32_e32 v14, 3, v12
	v_add_nc_u32_e32 v2, s19, v10
	v_lshl_add_u32 v15, v13, 6, 0x800
	s_delay_alu instid0(VALU_DEP_2) | instskip(SKIP_1) | instid1(VALU_DEP_1)
	v_ashrrev_i32_e32 v3, 31, v2
	s_waitcnt lgkmcnt(0)
	v_mad_u64_u32 v[6:7], null, v16, s14, v[2:3]
	v_add_nc_u32_e32 v0, s18, v9
	s_add_u32 s12, s12, s16
	s_addc_u32 s13, s13, s17
	s_load_b64 s[12:13], s[12:13], 0x0
	s_delay_alu instid0(VALU_DEP_1) | instskip(NEXT) | instid1(VALU_DEP_1)
	v_ashrrev_i32_e32 v1, 31, v0
	v_mad_u64_u32 v[4:5], null, v11, s4, v[0:1]
	s_delay_alu instid0(VALU_DEP_1) | instskip(SKIP_1) | instid1(VALU_DEP_2)
	v_dual_mov_b32 v1, v7 :: v_dual_mov_b32 v0, v5
	v_lshlrev_b32_e32 v9, 3, v9
	v_mad_u64_u32 v[2:3], null, v11, s5, v[0:1]
	v_dual_mov_b32 v0, 0 :: v_dual_mov_b32 v3, 0
	s_lshl_b64 s[4:5], s[4:5], 6
	s_delay_alu instid0(VALU_DEP_2) | instskip(SKIP_3) | instid1(VALU_DEP_4)
	v_mov_b32_e32 v5, v2
	v_mad_u64_u32 v[7:8], null, v16, s15, v[1:2]
	v_lshlrev_b32_e32 v8, 3, v16
	v_lshl_or_b32 v16, v11, 8, v9
	v_lshlrev_b64 v[4:5], 3, v[4:5]
	v_mov_b32_e32 v1, 0
	s_delay_alu instid0(VALU_DEP_4) | instskip(SKIP_3) | instid1(VALU_DEP_4)
	v_lshl_or_b32 v8, v10, 6, v8
	v_lshlrev_b64 v[6:7], 3, v[6:7]
	v_mov_b32_e32 v2, 0
	v_add_co_u32 v4, vcc_lo, v4, s10
	v_add_nc_u32_e32 v17, 0x800, v8
	v_add_co_ci_u32_e32 v5, vcc_lo, s11, v5, vcc_lo
	s_waitcnt lgkmcnt(0)
	v_add_co_u32 v6, vcc_lo, v6, s12
	v_add_co_ci_u32_e32 v7, vcc_lo, s13, v7, vcc_lo
	v_add_co_u32 v8, vcc_lo, v4, 4
	v_add_co_ci_u32_e32 v9, vcc_lo, 0, v5, vcc_lo
	s_delay_alu instid0(VALU_DEP_4) | instskip(NEXT) | instid1(VALU_DEP_4)
	v_add_co_u32 v10, vcc_lo, v6, 4
	v_add_co_ci_u32_e32 v11, vcc_lo, 0, v7, vcc_lo
	v_dual_mov_b32 v5, 0 :: v_dual_mov_b32 v4, 0
	v_dual_mov_b32 v7, 0 :: v_dual_mov_b32 v6, 0
	s_lshl_b64 s[10:11], s[14:15], 6
	s_mov_b64 s[12:13], 0
.LBB1559_2:                             ; =>This Inner Loop Header: Depth=1
	global_load_b64 v[18:19], v[8:9], off offset:-4
	global_load_b64 v[20:21], v[10:11], off offset:-4
	s_add_u32 s12, s12, 8
	v_add_co_u32 v8, vcc_lo, v8, s4
	s_addc_u32 s13, s13, 0
	v_add_co_ci_u32_e32 v9, vcc_lo, s5, v9, vcc_lo
	v_cmp_ge_u64_e64 s14, s[12:13], s[8:9]
	v_add_co_u32 v10, vcc_lo, v10, s10
	v_add_co_ci_u32_e32 v11, vcc_lo, s11, v11, vcc_lo
	s_waitcnt vmcnt(1)
	ds_store_b64 v16, v[18:19]
	s_waitcnt vmcnt(0)
	ds_store_b64 v17, v[20:21]
	s_waitcnt lgkmcnt(0)
	s_barrier
	buffer_gl0_inv
	ds_load_2addr_b64 v[18:21], v14 offset1:16
	ds_load_b128 v[22:25], v15
	ds_load_b128 v[26:29], v15 offset:1024
	ds_load_b128 v[30:33], v15 offset:16
	;; [unrolled: 1-line block ×4, first 2 shown]
	ds_load_2addr_b64 v[42:45], v14 offset0:32 offset1:48
	ds_load_2addr_b64 v[46:49], v14 offset0:64 offset1:80
	ds_load_b128 v[50:53], v15 offset:1040
	ds_load_2addr_b64 v[54:57], v14 offset0:96 offset1:112
	ds_load_2addr_b64 v[58:61], v14 offset0:128 offset1:144
	ds_load_2addr_b64 v[62:65], v14 offset0:160 offset1:176
	ds_load_2addr_b64 v[66:69], v14 offset0:192 offset1:208
	ds_load_b128 v[70:73], v15 offset:1056
	ds_load_b128 v[74:77], v15 offset:1072
	ds_load_2addr_b64 v[78:81], v14 offset0:224 offset1:240
	s_and_b32 vcc_lo, exec_lo, s14
	s_waitcnt lgkmcnt(0)
	s_barrier
	buffer_gl0_inv
	v_dual_mul_f32 v82, v23, v19 :: v_dual_mul_f32 v85, v22, v21
	v_dual_mul_f32 v83, v22, v19 :: v_dual_mul_f32 v84, v23, v21
	v_mul_f32_e32 v86, v27, v19
	v_dual_mul_f32 v19, v26, v19 :: v_dual_mul_f32 v90, v25, v45
	v_dual_mul_f32 v87, v27, v21 :: v_dual_mul_f32 v88, v25, v43
	v_mul_f32_e32 v21, v26, v21
	v_mul_f32_e32 v89, v24, v43
	;; [unrolled: 1-line block ×3, first 2 shown]
	v_fma_f32 v82, v22, v18, -v82
	v_fmac_f32_e32 v83, v23, v18
	v_fma_f32 v22, v22, v20, -v84
	v_dual_fmac_f32 v85, v23, v20 :: v_dual_mul_f32 v84, v30, v47
	v_fma_f32 v23, v26, v18, -v86
	v_fmac_f32_e32 v19, v27, v18
	v_fma_f32 v18, v26, v20, -v87
	v_dual_mul_f32 v26, v28, v43 :: v_dual_fmac_f32 v21, v27, v20
	v_mul_f32_e32 v20, v29, v43
	v_mul_f32_e32 v27, v29, v45
	v_dual_mul_f32 v43, v28, v45 :: v_dual_fmac_f32 v84, v31, v46
	v_fma_f32 v45, v24, v42, -v88
	v_fma_f32 v24, v24, v44, -v90
	v_dual_fmac_f32 v91, v25, v44 :: v_dual_mul_f32 v90, v32, v57
	v_dual_mul_f32 v86, v31, v49 :: v_dual_fmac_f32 v89, v25, v42
	v_dual_mul_f32 v25, v31, v47 :: v_dual_mul_f32 v88, v33, v57
	v_fma_f32 v20, v28, v42, -v20
	v_fmac_f32_e32 v26, v29, v42
	v_fma_f32 v27, v28, v44, -v27
	v_dual_fmac_f32 v43, v29, v44 :: v_dual_mul_f32 v28, v51, v47
	v_dual_mul_f32 v29, v50, v47 :: v_dual_mul_f32 v42, v51, v49
	v_mul_f32_e32 v44, v50, v49
	v_mul_f32_e32 v87, v30, v49
	v_mul_f32_e32 v47, v33, v55
	v_dual_mul_f32 v49, v32, v55 :: v_dual_fmac_f32 v90, v33, v56
	v_fma_f32 v25, v30, v46, -v25
	v_fma_f32 v30, v30, v48, -v86
	v_fma_f32 v28, v50, v46, -v28
	v_fmac_f32_e32 v44, v51, v48
	v_fmac_f32_e32 v87, v31, v48
	v_fma_f32 v31, v50, v48, -v42
	v_mul_f32_e32 v42, v53, v55
	v_mul_f32_e32 v48, v53, v57
	v_dual_mul_f32 v50, v52, v57 :: v_dual_fmac_f32 v29, v51, v46
	v_mul_f32_e32 v46, v52, v55
	v_fma_f32 v47, v32, v54, -v47
	v_fmac_f32_e32 v49, v33, v54
	v_fma_f32 v32, v32, v56, -v88
	s_delay_alu instid0(VALU_DEP_4)
	v_dual_mul_f32 v33, v35, v59 :: v_dual_fmac_f32 v46, v53, v54
	v_mul_f32_e32 v51, v34, v59
	v_mul_f32_e32 v55, v35, v61
	v_fma_f32 v42, v52, v54, -v42
	v_fma_f32 v48, v52, v56, -v48
	v_fmac_f32_e32 v50, v53, v56
	v_mul_f32_e32 v52, v71, v59
	v_dual_mul_f32 v53, v70, v59 :: v_dual_mul_f32 v86, v37, v65
	v_mul_f32_e32 v54, v71, v61
	v_dual_mul_f32 v56, v70, v61 :: v_dual_mul_f32 v59, v37, v63
	v_mul_f32_e32 v57, v34, v61
	v_mul_f32_e32 v61, v36, v63
	v_dual_mul_f32 v88, v36, v65 :: v_dual_fmac_f32 v51, v35, v58
	v_fma_f32 v33, v34, v58, -v33
	v_fmac_f32_e32 v53, v71, v58
	v_fmac_f32_e32 v56, v71, v60
	s_delay_alu instid0(VALU_DEP_4)
	v_fmac_f32_e32 v88, v37, v64
	v_fmac_f32_e32 v57, v35, v60
	v_fma_f32 v35, v70, v58, -v52
	v_fma_f32 v52, v70, v60, -v54
	v_mul_f32_e32 v54, v73, v63
	v_fma_f32 v34, v34, v60, -v55
	v_mul_f32_e32 v60, v72, v65
	v_dual_mul_f32 v55, v72, v63 :: v_dual_mul_f32 v70, v38, v69
	v_mul_f32_e32 v58, v73, v65
	v_fma_f32 v59, v36, v62, -v59
	v_fmac_f32_e32 v61, v37, v62
	v_fma_f32 v36, v36, v64, -v86
	v_dual_mul_f32 v37, v39, v67 :: v_dual_fmac_f32 v60, v73, v64
	v_dual_mul_f32 v63, v38, v67 :: v_dual_mul_f32 v86, v40, v81
	v_mul_f32_e32 v65, v39, v69
	v_fma_f32 v54, v72, v62, -v54
	v_fmac_f32_e32 v55, v73, v62
	v_fma_f32 v58, v72, v64, -v58
	v_mul_f32_e32 v72, v40, v79
	v_mul_f32_e32 v62, v75, v67
	v_dual_mul_f32 v64, v74, v67 :: v_dual_mul_f32 v67, v75, v69
	v_dual_mul_f32 v69, v74, v69 :: v_dual_fmac_f32 v70, v39, v68
	s_delay_alu instid0(VALU_DEP_2)
	v_dual_mul_f32 v71, v41, v79 :: v_dual_fmac_f32 v64, v75, v66
	v_fma_f32 v37, v38, v66, -v37
	v_fmac_f32_e32 v63, v39, v66
	v_fma_f32 v39, v74, v66, -v62
	v_dual_mul_f32 v66, v76, v79 :: v_dual_mul_f32 v73, v41, v81
	v_add_f32_e32 v6, v6, v82
	v_fma_f32 v38, v38, v68, -v65
	v_fma_f32 v62, v74, v68, -v67
	v_dual_fmac_f32 v69, v75, v68 :: v_dual_fmac_f32 v72, v41, v78
	v_dual_mul_f32 v65, v77, v79 :: v_dual_add_f32 v4, v4, v22
	v_dual_mul_f32 v67, v77, v81 :: v_dual_add_f32 v2, v2, v23
	v_mul_f32_e32 v68, v76, v81
	v_dual_fmac_f32 v86, v41, v80 :: v_dual_add_f32 v7, v7, v83
	v_dual_fmac_f32 v66, v77, v78 :: v_dual_add_f32 v3, v3, v19
	v_dual_add_f32 v5, v5, v85 :: v_dual_add_f32 v0, v0, v18
	v_dual_add_f32 v1, v1, v21 :: v_dual_add_f32 v4, v4, v24
	s_delay_alu instid0(VALU_DEP_4) | instskip(NEXT) | instid1(VALU_DEP_3)
	v_dual_fmac_f32 v68, v77, v80 :: v_dual_add_f32 v7, v7, v89
	v_dual_add_f32 v6, v6, v45 :: v_dual_add_f32 v5, v5, v91
	v_dual_add_f32 v2, v2, v20 :: v_dual_add_f32 v3, v3, v26
	s_delay_alu instid0(VALU_DEP_3) | instskip(NEXT) | instid1(VALU_DEP_3)
	v_dual_add_f32 v0, v0, v27 :: v_dual_add_f32 v7, v7, v84
	v_dual_add_f32 v1, v1, v43 :: v_dual_add_f32 v6, v6, v25
	s_delay_alu instid0(VALU_DEP_4) | instskip(NEXT) | instid1(VALU_DEP_4)
	v_dual_add_f32 v4, v4, v30 :: v_dual_add_f32 v5, v5, v87
	v_dual_add_f32 v2, v2, v28 :: v_dual_add_f32 v3, v3, v29
	s_delay_alu instid0(VALU_DEP_3) | instskip(NEXT) | instid1(VALU_DEP_4)
	v_dual_add_f32 v0, v0, v31 :: v_dual_add_f32 v1, v1, v44
	v_dual_add_f32 v6, v6, v47 :: v_dual_add_f32 v7, v7, v49
	s_delay_alu instid0(VALU_DEP_4) | instskip(NEXT) | instid1(VALU_DEP_4)
	v_dual_add_f32 v4, v4, v32 :: v_dual_add_f32 v5, v5, v90
	v_add_f32_e32 v2, v2, v42
	s_delay_alu instid0(VALU_DEP_4) | instskip(NEXT) | instid1(VALU_DEP_4)
	v_dual_add_f32 v3, v3, v46 :: v_dual_add_f32 v0, v0, v48
	v_dual_add_f32 v1, v1, v50 :: v_dual_add_f32 v6, v6, v33
	s_delay_alu instid0(VALU_DEP_4) | instskip(NEXT) | instid1(VALU_DEP_4)
	v_dual_add_f32 v7, v7, v51 :: v_dual_add_f32 v4, v4, v34
	v_dual_add_f32 v5, v5, v57 :: v_dual_add_f32 v2, v2, v35
	s_delay_alu instid0(VALU_DEP_4) | instskip(NEXT) | instid1(VALU_DEP_3)
	v_dual_add_f32 v3, v3, v53 :: v_dual_add_f32 v0, v0, v52
	v_add_f32_e32 v7, v7, v61
	v_dual_add_f32 v1, v1, v56 :: v_dual_add_f32 v6, v6, v59
	s_delay_alu instid0(VALU_DEP_3) | instskip(SKIP_1) | instid1(VALU_DEP_3)
	v_dual_add_f32 v4, v4, v36 :: v_dual_add_f32 v3, v3, v55
	v_dual_add_f32 v5, v5, v88 :: v_dual_add_f32 v2, v2, v54
	;; [unrolled: 1-line block ×3, first 2 shown]
	v_fma_f32 v71, v40, v78, -v71
	v_fma_f32 v40, v40, v80, -v73
	;; [unrolled: 1-line block ×4, first 2 shown]
	v_dual_add_f32 v6, v6, v37 :: v_dual_add_f32 v7, v7, v63
	v_dual_add_f32 v4, v4, v38 :: v_dual_add_f32 v3, v3, v64
	;; [unrolled: 1-line block ×4, first 2 shown]
	s_delay_alu instid0(VALU_DEP_4) | instskip(NEXT) | instid1(VALU_DEP_3)
	v_dual_add_f32 v6, v6, v71 :: v_dual_add_f32 v7, v7, v72
	v_dual_add_f32 v4, v4, v40 :: v_dual_add_f32 v5, v5, v86
	s_delay_alu instid0(VALU_DEP_4) | instskip(NEXT) | instid1(VALU_DEP_4)
	v_dual_add_f32 v2, v2, v41 :: v_dual_add_f32 v3, v3, v66
	v_dual_add_f32 v0, v0, v65 :: v_dual_add_f32 v1, v1, v68
	s_cbranch_vccz .LBB1559_2
.LBB1559_3:
	v_add_nc_u32_e32 v10, s19, v13
	s_load_b32 s4, s[0:1], 0x0
	s_delay_alu instid0(VALU_DEP_1) | instskip(SKIP_2) | instid1(VALU_DEP_3)
	v_ashrrev_i32_e32 v8, 31, v10
	v_mul_lo_u32 v9, v10, s7
	v_mad_u64_u32 v[13:14], null, v10, s6, 0
	v_mul_lo_u32 v8, v8, s6
	s_delay_alu instid0(VALU_DEP_1) | instskip(SKIP_3) | instid1(VALU_DEP_3)
	v_add3_u32 v14, v14, v9, v8
	v_add_nc_u32_e32 v8, s18, v12
	s_waitcnt lgkmcnt(0)
	v_cmp_gt_i32_e32 vcc_lo, s4, v10
	v_lshlrev_b64 v[11:12], 3, v[13:14]
	s_delay_alu instid0(VALU_DEP_3) | instskip(NEXT) | instid1(VALU_DEP_1)
	v_cmp_le_i32_e64 s0, v8, v10
	s_and_b32 s0, vcc_lo, s0
	s_delay_alu instid0(VALU_DEP_2) | instskip(NEXT) | instid1(VALU_DEP_1)
	v_add_co_u32 v11, s1, s2, v11
	v_add_co_ci_u32_e64 v12, s1, s3, v12, s1
	s_and_saveexec_b32 s1, s0
	s_cbranch_execz .LBB1559_5
; %bb.4:
	v_ashrrev_i32_e32 v9, 31, v8
	s_delay_alu instid0(VALU_DEP_1) | instskip(NEXT) | instid1(VALU_DEP_1)
	v_lshlrev_b64 v[13:14], 3, v[8:9]
	v_add_co_u32 v13, s0, v11, v13
	s_delay_alu instid0(VALU_DEP_1)
	v_add_co_ci_u32_e64 v14, s0, v12, v14, s0
	global_store_b64 v[13:14], v[6:7], off
.LBB1559_5:
	s_or_b32 exec_lo, exec_lo, s1
	v_add_nc_u32_e32 v6, 16, v8
	s_delay_alu instid0(VALU_DEP_1) | instskip(NEXT) | instid1(VALU_DEP_1)
	v_cmp_le_i32_e64 s0, v6, v10
	s_and_b32 s1, vcc_lo, s0
	s_delay_alu instid0(SALU_CYCLE_1)
	s_and_saveexec_b32 s0, s1
	s_cbranch_execz .LBB1559_7
; %bb.6:
	v_ashrrev_i32_e32 v7, 31, v6
	s_delay_alu instid0(VALU_DEP_1) | instskip(NEXT) | instid1(VALU_DEP_1)
	v_lshlrev_b64 v[13:14], 3, v[6:7]
	v_add_co_u32 v11, vcc_lo, v11, v13
	s_delay_alu instid0(VALU_DEP_2)
	v_add_co_ci_u32_e32 v12, vcc_lo, v12, v14, vcc_lo
	global_store_b64 v[11:12], v[4:5], off
.LBB1559_7:
	s_or_b32 exec_lo, exec_lo, s0
	v_add_nc_u32_e32 v4, 16, v10
	s_delay_alu instid0(VALU_DEP_1) | instskip(SKIP_3) | instid1(VALU_DEP_4)
	v_ashrrev_i32_e32 v5, 31, v4
	v_mul_lo_u32 v7, v4, s7
	v_mad_u64_u32 v[9:10], null, v4, s6, 0
	v_cmp_gt_i32_e32 vcc_lo, s4, v4
	v_mul_lo_u32 v5, v5, s6
	v_cmp_le_i32_e64 s0, v8, v4
	s_delay_alu instid0(VALU_DEP_1) | instskip(NEXT) | instid1(VALU_DEP_2)
	s_and_b32 s0, vcc_lo, s0
	v_add3_u32 v10, v10, v7, v5
	s_delay_alu instid0(VALU_DEP_1) | instskip(NEXT) | instid1(VALU_DEP_1)
	v_lshlrev_b64 v[9:10], 3, v[9:10]
	v_add_co_u32 v5, s1, s2, v9
	s_delay_alu instid0(VALU_DEP_1)
	v_add_co_ci_u32_e64 v10, s1, s3, v10, s1
	s_and_saveexec_b32 s1, s0
	s_cbranch_execz .LBB1559_9
; %bb.8:
	v_ashrrev_i32_e32 v9, 31, v8
	s_delay_alu instid0(VALU_DEP_1) | instskip(NEXT) | instid1(VALU_DEP_1)
	v_lshlrev_b64 v[7:8], 3, v[8:9]
	v_add_co_u32 v7, s0, v5, v7
	s_delay_alu instid0(VALU_DEP_1)
	v_add_co_ci_u32_e64 v8, s0, v10, v8, s0
	global_store_b64 v[7:8], v[2:3], off
.LBB1559_9:
	s_or_b32 exec_lo, exec_lo, s1
	v_cmp_le_i32_e64 s0, v6, v4
	s_delay_alu instid0(VALU_DEP_1) | instskip(NEXT) | instid1(SALU_CYCLE_1)
	s_and_b32 s0, vcc_lo, s0
	s_and_saveexec_b32 s1, s0
	s_cbranch_execz .LBB1559_11
; %bb.10:
	v_ashrrev_i32_e32 v7, 31, v6
	s_delay_alu instid0(VALU_DEP_1) | instskip(NEXT) | instid1(VALU_DEP_1)
	v_lshlrev_b64 v[2:3], 3, v[6:7]
	v_add_co_u32 v2, vcc_lo, v5, v2
	s_delay_alu instid0(VALU_DEP_2)
	v_add_co_ci_u32_e32 v3, vcc_lo, v10, v3, vcc_lo
	global_store_b64 v[2:3], v[0:1], off
.LBB1559_11:
	s_nop 0
	s_sendmsg sendmsg(MSG_DEALLOC_VGPRS)
	s_endpgm
	.section	.rodata,"a",@progbits
	.p2align	6, 0x0
	.amdhsa_kernel _ZL37rocblas_syrkx_herkx_restricted_kernelIl19rocblas_complex_numIfELi16ELi32ELi8ELi1ELi0ELb0ELc78ELc85EKPKS1_KPS1_EviT_PT9_S7_lS9_S7_lPT10_S7_li
		.amdhsa_group_segment_fixed_size 4096
		.amdhsa_private_segment_fixed_size 0
		.amdhsa_kernarg_size 92
		.amdhsa_user_sgpr_count 13
		.amdhsa_user_sgpr_dispatch_ptr 0
		.amdhsa_user_sgpr_queue_ptr 0
		.amdhsa_user_sgpr_kernarg_segment_ptr 1
		.amdhsa_user_sgpr_dispatch_id 0
		.amdhsa_user_sgpr_private_segment_size 0
		.amdhsa_wavefront_size32 1
		.amdhsa_uses_dynamic_stack 0
		.amdhsa_enable_private_segment 0
		.amdhsa_system_sgpr_workgroup_id_x 1
		.amdhsa_system_sgpr_workgroup_id_y 1
		.amdhsa_system_sgpr_workgroup_id_z 1
		.amdhsa_system_sgpr_workgroup_info 0
		.amdhsa_system_vgpr_workitem_id 1
		.amdhsa_next_free_vgpr 92
		.amdhsa_next_free_sgpr 20
		.amdhsa_reserve_vcc 1
		.amdhsa_float_round_mode_32 0
		.amdhsa_float_round_mode_16_64 0
		.amdhsa_float_denorm_mode_32 3
		.amdhsa_float_denorm_mode_16_64 3
		.amdhsa_dx10_clamp 1
		.amdhsa_ieee_mode 1
		.amdhsa_fp16_overflow 0
		.amdhsa_workgroup_processor_mode 1
		.amdhsa_memory_ordered 1
		.amdhsa_forward_progress 0
		.amdhsa_shared_vgpr_count 0
		.amdhsa_exception_fp_ieee_invalid_op 0
		.amdhsa_exception_fp_denorm_src 0
		.amdhsa_exception_fp_ieee_div_zero 0
		.amdhsa_exception_fp_ieee_overflow 0
		.amdhsa_exception_fp_ieee_underflow 0
		.amdhsa_exception_fp_ieee_inexact 0
		.amdhsa_exception_int_div_zero 0
	.end_amdhsa_kernel
	.section	.text._ZL37rocblas_syrkx_herkx_restricted_kernelIl19rocblas_complex_numIfELi16ELi32ELi8ELi1ELi0ELb0ELc78ELc85EKPKS1_KPS1_EviT_PT9_S7_lS9_S7_lPT10_S7_li,"axG",@progbits,_ZL37rocblas_syrkx_herkx_restricted_kernelIl19rocblas_complex_numIfELi16ELi32ELi8ELi1ELi0ELb0ELc78ELc85EKPKS1_KPS1_EviT_PT9_S7_lS9_S7_lPT10_S7_li,comdat
.Lfunc_end1559:
	.size	_ZL37rocblas_syrkx_herkx_restricted_kernelIl19rocblas_complex_numIfELi16ELi32ELi8ELi1ELi0ELb0ELc78ELc85EKPKS1_KPS1_EviT_PT9_S7_lS9_S7_lPT10_S7_li, .Lfunc_end1559-_ZL37rocblas_syrkx_herkx_restricted_kernelIl19rocblas_complex_numIfELi16ELi32ELi8ELi1ELi0ELb0ELc78ELc85EKPKS1_KPS1_EviT_PT9_S7_lS9_S7_lPT10_S7_li
                                        ; -- End function
	.section	.AMDGPU.csdata,"",@progbits
; Kernel info:
; codeLenInByte = 2124
; NumSgprs: 22
; NumVgprs: 92
; ScratchSize: 0
; MemoryBound: 0
; FloatMode: 240
; IeeeMode: 1
; LDSByteSize: 4096 bytes/workgroup (compile time only)
; SGPRBlocks: 2
; VGPRBlocks: 11
; NumSGPRsForWavesPerEU: 22
; NumVGPRsForWavesPerEU: 92
; Occupancy: 16
; WaveLimiterHint : 1
; COMPUTE_PGM_RSRC2:SCRATCH_EN: 0
; COMPUTE_PGM_RSRC2:USER_SGPR: 13
; COMPUTE_PGM_RSRC2:TRAP_HANDLER: 0
; COMPUTE_PGM_RSRC2:TGID_X_EN: 1
; COMPUTE_PGM_RSRC2:TGID_Y_EN: 1
; COMPUTE_PGM_RSRC2:TGID_Z_EN: 1
; COMPUTE_PGM_RSRC2:TIDIG_COMP_CNT: 1
	.section	.text._ZL37rocblas_syrkx_herkx_restricted_kernelIl19rocblas_complex_numIfELi16ELi32ELi8ELin1ELi0ELb0ELc84ELc76EKPKS1_KPS1_EviT_PT9_S7_lS9_S7_lPT10_S7_li,"axG",@progbits,_ZL37rocblas_syrkx_herkx_restricted_kernelIl19rocblas_complex_numIfELi16ELi32ELi8ELin1ELi0ELb0ELc84ELc76EKPKS1_KPS1_EviT_PT9_S7_lS9_S7_lPT10_S7_li,comdat
	.globl	_ZL37rocblas_syrkx_herkx_restricted_kernelIl19rocblas_complex_numIfELi16ELi32ELi8ELin1ELi0ELb0ELc84ELc76EKPKS1_KPS1_EviT_PT9_S7_lS9_S7_lPT10_S7_li ; -- Begin function _ZL37rocblas_syrkx_herkx_restricted_kernelIl19rocblas_complex_numIfELi16ELi32ELi8ELin1ELi0ELb0ELc84ELc76EKPKS1_KPS1_EviT_PT9_S7_lS9_S7_lPT10_S7_li
	.p2align	8
	.type	_ZL37rocblas_syrkx_herkx_restricted_kernelIl19rocblas_complex_numIfELi16ELi32ELi8ELin1ELi0ELb0ELc84ELc76EKPKS1_KPS1_EviT_PT9_S7_lS9_S7_lPT10_S7_li,@function
_ZL37rocblas_syrkx_herkx_restricted_kernelIl19rocblas_complex_numIfELi16ELi32ELi8ELin1ELi0ELb0ELc84ELc76EKPKS1_KPS1_EviT_PT9_S7_lS9_S7_lPT10_S7_li: ; @_ZL37rocblas_syrkx_herkx_restricted_kernelIl19rocblas_complex_numIfELi16ELi32ELi8ELin1ELi0ELb0ELc84ELc76EKPKS1_KPS1_EviT_PT9_S7_lS9_S7_lPT10_S7_li
; %bb.0:
	s_clause 0x1
	s_load_b128 s[4:7], s[0:1], 0x40
	s_load_b128 s[8:11], s[0:1], 0x8
	s_mov_b32 s2, s15
	s_mov_b32 s3, 0
	v_dual_mov_b32 v17, 0 :: v_dual_and_b32 v6, 0x3ff, v0
	s_lshl_b64 s[16:17], s[2:3], 3
	v_bfe_u32 v7, v0, 10, 10
	v_dual_mov_b32 v16, 0 :: v_dual_mov_b32 v11, 0
	v_dual_mov_b32 v12, 0 :: v_dual_mov_b32 v9, 0
	;; [unrolled: 1-line block ×3, first 2 shown]
	v_mov_b32_e32 v0, 0
	s_waitcnt lgkmcnt(0)
	s_add_u32 s2, s4, s16
	s_addc_u32 s3, s5, s17
	v_cmp_lt_i64_e64 s4, s[8:9], 1
	s_load_b64 s[2:3], s[2:3], 0x0
	s_lshl_b32 s18, s13, 5
	s_lshl_b32 s19, s14, 5
	s_delay_alu instid0(VALU_DEP_1)
	s_and_b32 vcc_lo, exec_lo, s4
	s_cbranch_vccnz .LBB1560_3
; %bb.1:
	s_clause 0x1
	s_load_b128 s[12:15], s[0:1], 0x28
	s_load_b64 s[4:5], s[0:1], 0x18
	v_lshl_add_u32 v2, v7, 4, v6
	s_add_u32 s10, s10, s16
	s_addc_u32 s11, s11, s17
	v_dual_mov_b32 v1, 0 :: v_dual_and_b32 v0, 7, v6
	s_delay_alu instid0(VALU_DEP_2) | instskip(SKIP_2) | instid1(VALU_DEP_4)
	v_lshrrev_b32_e32 v11, 3, v2
	v_and_b32_e32 v12, 31, v2
	v_lshrrev_b32_e32 v2, 5, v2
	v_mov_b32_e32 v3, v1
	s_load_b64 s[10:11], s[10:11], 0x0
	v_add_nc_u32_e32 v10, s19, v11
	v_add_nc_u32_e32 v8, s18, v12
	v_lshlrev_b32_e32 v12, 3, v12
	v_mov_b32_e32 v16, v1
	v_mov_b32_e32 v17, v1
	v_ashrrev_i32_e32 v4, 31, v10
	v_ashrrev_i32_e32 v5, 31, v8
	s_waitcnt lgkmcnt(0)
	s_add_u32 s12, s12, s16
	s_addc_u32 s13, s13, s17
	v_mul_lo_u32 v13, v4, s14
	v_mul_lo_u32 v14, s4, v5
	v_mad_u64_u32 v[4:5], null, s4, v8, v[2:3]
	v_mul_lo_u32 v3, s5, v8
	s_load_b64 s[4:5], s[12:13], 0x0
	v_mul_lo_u32 v15, v10, s15
	v_mad_u64_u32 v[8:9], null, v10, s14, v[0:1]
	v_lshlrev_b32_e32 v0, 3, v0
	v_lshlrev_b32_e32 v10, 3, v6
	v_add3_u32 v5, v3, v5, v14
	v_lshl_or_b32 v14, v2, 8, v12
	s_delay_alu instid0(VALU_DEP_4)
	v_lshl_or_b32 v0, v11, 6, v0
	v_add3_u32 v9, v13, v9, v15
	v_lshl_add_u32 v13, v7, 6, 0x800
	v_lshlrev_b64 v[3:4], 3, v[4:5]
	v_mov_b32_e32 v11, v1
	v_add_nc_u32_e32 v15, 0x800, v0
	v_lshlrev_b64 v[8:9], 3, v[8:9]
	v_mov_b32_e32 v12, v1
	v_add_co_u32 v0, vcc_lo, v3, s10
	v_add_co_ci_u32_e32 v3, vcc_lo, s11, v4, vcc_lo
	s_waitcnt lgkmcnt(0)
	s_delay_alu instid0(VALU_DEP_4)
	v_add_co_u32 v4, vcc_lo, v8, s4
	v_add_co_ci_u32_e32 v5, vcc_lo, s5, v9, vcc_lo
	v_add_co_u32 v2, vcc_lo, v0, 4
	v_mov_b32_e32 v0, v1
	v_add_co_ci_u32_e32 v3, vcc_lo, 0, v3, vcc_lo
	v_add_co_u32 v4, vcc_lo, v4, 4
	v_add_co_ci_u32_e32 v5, vcc_lo, 0, v5, vcc_lo
	v_mov_b32_e32 v8, v1
	v_mov_b32_e32 v9, v1
	s_mov_b64 s[4:5], 0
.LBB1560_2:                             ; =>This Inner Loop Header: Depth=1
	global_load_b64 v[18:19], v[2:3], off offset:-4
	global_load_b64 v[20:21], v[4:5], off offset:-4
	s_add_u32 s4, s4, 8
	v_add_co_u32 v2, vcc_lo, v2, 64
	s_addc_u32 s5, s5, 0
	v_add_co_ci_u32_e32 v3, vcc_lo, 0, v3, vcc_lo
	v_cmp_ge_u64_e64 s10, s[4:5], s[8:9]
	v_add_co_u32 v4, vcc_lo, v4, 64
	v_add_co_ci_u32_e32 v5, vcc_lo, 0, v5, vcc_lo
	s_waitcnt vmcnt(1)
	ds_store_b64 v14, v[18:19]
	s_waitcnt vmcnt(0)
	ds_store_b64 v15, v[20:21]
	s_waitcnt lgkmcnt(0)
	s_barrier
	buffer_gl0_inv
	ds_load_2addr_b64 v[18:21], v10 offset1:16
	ds_load_b128 v[22:25], v13
	ds_load_b128 v[26:29], v13 offset:1024
	ds_load_b128 v[30:33], v13 offset:16
	;; [unrolled: 1-line block ×4, first 2 shown]
	ds_load_2addr_b64 v[42:45], v10 offset0:32 offset1:48
	ds_load_2addr_b64 v[46:49], v10 offset0:64 offset1:80
	ds_load_b128 v[50:53], v13 offset:1040
	ds_load_2addr_b64 v[54:57], v10 offset0:96 offset1:112
	ds_load_2addr_b64 v[58:61], v10 offset0:128 offset1:144
	;; [unrolled: 1-line block ×4, first 2 shown]
	ds_load_b128 v[70:73], v13 offset:1056
	ds_load_b128 v[74:77], v13 offset:1072
	ds_load_2addr_b64 v[78:81], v10 offset0:224 offset1:240
	s_and_b32 vcc_lo, exec_lo, s10
	s_waitcnt lgkmcnt(0)
	s_barrier
	buffer_gl0_inv
	v_dual_mul_f32 v82, v23, v19 :: v_dual_mul_f32 v85, v22, v21
	v_dual_mul_f32 v83, v22, v19 :: v_dual_mul_f32 v84, v23, v21
	v_mul_f32_e32 v86, v27, v19
	v_dual_mul_f32 v19, v26, v19 :: v_dual_mul_f32 v90, v25, v45
	v_dual_mul_f32 v87, v27, v21 :: v_dual_mul_f32 v88, v25, v43
	v_mul_f32_e32 v21, v26, v21
	v_fma_f32 v82, v22, v18, -v82
	v_fmac_f32_e32 v83, v23, v18
	v_fma_f32 v22, v22, v20, -v84
	v_fmac_f32_e32 v85, v23, v20
	v_fma_f32 v23, v26, v18, -v86
	v_dual_fmac_f32 v19, v27, v18 :: v_dual_mul_f32 v86, v30, v47
	v_fma_f32 v18, v26, v20, -v87
	v_dual_fmac_f32 v21, v27, v20 :: v_dual_mul_f32 v20, v24, v45
	v_mul_f32_e32 v89, v24, v43
	v_mul_f32_e32 v26, v29, v43
	;; [unrolled: 1-line block ×4, first 2 shown]
	v_fmac_f32_e32 v20, v25, v44
	v_fmac_f32_e32 v89, v25, v42
	v_dual_mul_f32 v25, v28, v45 :: v_dual_fmac_f32 v86, v31, v46
	v_fma_f32 v84, v24, v42, -v88
	v_fma_f32 v24, v24, v44, -v90
	v_dual_mul_f32 v45, v31, v47 :: v_dual_mul_f32 v90, v33, v57
	v_fma_f32 v26, v28, v42, -v26
	v_fma_f32 v28, v28, v44, -v43
	v_fmac_f32_e32 v25, v29, v44
	v_dual_mul_f32 v43, v50, v47 :: v_dual_mul_f32 v44, v51, v49
	v_dual_fmac_f32 v27, v29, v42 :: v_dual_mul_f32 v42, v51, v47
	v_dual_mul_f32 v88, v32, v55 :: v_dual_mul_f32 v29, v30, v49
	v_mul_f32_e32 v87, v31, v49
	v_fma_f32 v45, v30, v46, -v45
	v_add_f32_e32 v16, v16, v82
	s_delay_alu instid0(VALU_DEP_4)
	v_dual_fmac_f32 v88, v33, v54 :: v_dual_fmac_f32 v29, v31, v48
	v_fma_f32 v31, v50, v46, -v42
	v_fma_f32 v42, v50, v48, -v44
	v_mul_f32_e32 v44, v32, v57
	v_mul_f32_e32 v47, v50, v49
	v_dual_mul_f32 v50, v53, v57 :: v_dual_fmac_f32 v43, v51, v46
	v_mul_f32_e32 v46, v53, v55
	v_mul_f32_e32 v49, v33, v55
	v_fma_f32 v30, v30, v48, -v87
	v_fmac_f32_e32 v44, v33, v56
	v_dual_fmac_f32 v47, v51, v48 :: v_dual_mul_f32 v48, v52, v55
	v_mul_f32_e32 v33, v52, v57
	v_fma_f32 v46, v52, v54, -v46
	v_fma_f32 v50, v52, v56, -v50
	v_mul_f32_e32 v52, v34, v61
	v_fma_f32 v49, v32, v54, -v49
	v_fma_f32 v32, v32, v56, -v90
	v_dual_mul_f32 v51, v35, v59 :: v_dual_fmac_f32 v48, v53, v54
	v_mul_f32_e32 v54, v70, v59
	v_dual_mul_f32 v55, v34, v59 :: v_dual_fmac_f32 v52, v35, v60
	v_fmac_f32_e32 v33, v53, v56
	v_mul_f32_e32 v53, v71, v59
	v_mul_f32_e32 v56, v71, v61
	;; [unrolled: 1-line block ×3, first 2 shown]
	v_fmac_f32_e32 v54, v71, v58
	v_fmac_f32_e32 v55, v35, v58
	v_fma_f32 v35, v70, v58, -v53
	v_fma_f32 v53, v70, v60, -v56
	v_mul_f32_e32 v56, v36, v65
	v_mul_f32_e32 v59, v70, v61
	v_fma_f32 v51, v34, v58, -v51
	v_mul_f32_e32 v58, v72, v63
	v_mul_f32_e32 v87, v36, v63
	;; [unrolled: 1-line block ×4, first 2 shown]
	v_fma_f32 v34, v34, v60, -v57
	v_mul_f32_e32 v57, v73, v63
	v_fmac_f32_e32 v56, v37, v64
	v_dual_fmac_f32 v59, v71, v60 :: v_dual_mul_f32 v60, v73, v65
	v_mul_f32_e32 v63, v39, v67
	v_mul_f32_e32 v70, v39, v69
	v_fmac_f32_e32 v58, v73, v62
	v_fmac_f32_e32 v87, v37, v62
	v_mul_f32_e32 v37, v72, v65
	v_fma_f32 v61, v36, v62, -v61
	v_fma_f32 v36, v36, v64, -v90
	v_mul_f32_e32 v65, v38, v67
	v_fma_f32 v57, v72, v62, -v57
	v_fma_f32 v60, v72, v64, -v60
	v_dual_fmac_f32 v37, v73, v64 :: v_dual_mul_f32 v62, v38, v69
	v_mul_f32_e32 v64, v75, v67
	v_fma_f32 v63, v38, v66, -v63
	v_fma_f32 v38, v38, v68, -v70
	v_mul_f32_e32 v70, v76, v79
	v_mul_f32_e32 v67, v74, v67
	;; [unrolled: 1-line block ×3, first 2 shown]
	v_dual_mul_f32 v69, v74, v69 :: v_dual_add_f32 v12, v12, v22
	v_mul_f32_e32 v73, v40, v79
	v_dual_fmac_f32 v65, v39, v66 :: v_dual_add_f32 v8, v8, v19
	v_fmac_f32_e32 v62, v39, v68
	v_fma_f32 v39, v74, v66, -v64
	v_fmac_f32_e32 v70, v77, v78
	v_dual_fmac_f32 v67, v75, v66 :: v_dual_add_f32 v16, v16, v84
	v_mul_f32_e32 v66, v40, v81
	v_mul_f32_e32 v72, v41, v79
	v_dual_mul_f32 v90, v41, v81 :: v_dual_fmac_f32 v69, v75, v68
	v_add_f32_e32 v0, v0, v18
	v_dual_fmac_f32 v73, v41, v78 :: v_dual_add_f32 v8, v8, v27
	v_dual_fmac_f32 v66, v41, v80 :: v_dual_mul_f32 v41, v76, v81
	v_fma_f32 v64, v74, v68, -v71
	v_dual_mul_f32 v71, v77, v81 :: v_dual_add_f32 v12, v12, v24
	v_dual_add_f32 v17, v17, v83 :: v_dual_add_f32 v0, v0, v28
	s_delay_alu instid0(VALU_DEP_4) | instskip(NEXT) | instid1(VALU_DEP_3)
	v_dual_fmac_f32 v41, v77, v80 :: v_dual_add_f32 v16, v16, v45
	v_dual_add_f32 v11, v11, v85 :: v_dual_add_f32 v12, v12, v30
	s_delay_alu instid0(VALU_DEP_3) | instskip(SKIP_1) | instid1(VALU_DEP_3)
	v_dual_add_f32 v9, v9, v23 :: v_dual_add_f32 v0, v0, v42
	v_dual_add_f32 v1, v1, v21 :: v_dual_add_f32 v8, v8, v43
	;; [unrolled: 1-line block ×3, first 2 shown]
	s_delay_alu instid0(VALU_DEP_4) | instskip(NEXT) | instid1(VALU_DEP_3)
	v_dual_add_f32 v11, v11, v20 :: v_dual_add_f32 v16, v16, v49
	v_dual_add_f32 v9, v9, v26 :: v_dual_add_f32 v8, v8, v48
	s_delay_alu instid0(VALU_DEP_4) | instskip(NEXT) | instid1(VALU_DEP_3)
	v_dual_add_f32 v1, v1, v25 :: v_dual_add_f32 v0, v0, v50
	v_dual_add_f32 v17, v17, v86 :: v_dual_add_f32 v16, v16, v51
	s_delay_alu instid0(VALU_DEP_4) | instskip(NEXT) | instid1(VALU_DEP_4)
	v_dual_add_f32 v11, v11, v29 :: v_dual_add_f32 v12, v12, v34
	v_dual_add_f32 v9, v9, v31 :: v_dual_add_f32 v8, v8, v54
	s_delay_alu instid0(VALU_DEP_4) | instskip(NEXT) | instid1(VALU_DEP_4)
	v_dual_add_f32 v1, v1, v47 :: v_dual_add_f32 v0, v0, v53
	v_dual_add_f32 v17, v17, v88 :: v_dual_add_f32 v16, v16, v61
	s_delay_alu instid0(VALU_DEP_3) | instskip(NEXT) | instid1(VALU_DEP_4)
	v_dual_add_f32 v11, v11, v44 :: v_dual_add_f32 v8, v8, v58
	v_dual_add_f32 v9, v9, v46 :: v_dual_add_f32 v12, v12, v36
	s_delay_alu instid0(VALU_DEP_4) | instskip(SKIP_1) | instid1(VALU_DEP_3)
	v_dual_add_f32 v1, v1, v33 :: v_dual_add_f32 v0, v0, v60
	v_fma_f32 v72, v40, v78, -v72
	v_dual_add_f32 v17, v17, v55 :: v_dual_add_f32 v12, v12, v38
	v_dual_add_f32 v11, v11, v52 :: v_dual_add_f32 v16, v16, v63
	s_delay_alu instid0(VALU_DEP_4) | instskip(SKIP_2) | instid1(VALU_DEP_4)
	v_dual_add_f32 v9, v9, v35 :: v_dual_add_f32 v0, v0, v64
	v_add_f32_e32 v1, v1, v59
	v_mul_f32_e32 v68, v77, v79
	v_add_f32_e32 v16, v16, v72
	v_fma_f32 v40, v40, v80, -v90
	v_fma_f32 v71, v76, v80, -v71
	v_add_f32_e32 v17, v17, v87
	v_dual_add_f32 v11, v11, v56 :: v_dual_add_f32 v8, v8, v67
	v_add_f32_e32 v9, v9, v57
	s_delay_alu instid0(VALU_DEP_4) | instskip(SKIP_1) | instid1(VALU_DEP_4)
	v_dual_add_f32 v1, v1, v37 :: v_dual_add_f32 v0, v0, v71
	v_fma_f32 v68, v76, v78, -v68
	v_dual_add_f32 v11, v11, v62 :: v_dual_add_f32 v12, v12, v40
	v_add_f32_e32 v17, v17, v65
	s_delay_alu instid0(VALU_DEP_4) | instskip(SKIP_1) | instid1(VALU_DEP_4)
	v_dual_add_f32 v1, v1, v69 :: v_dual_add_f32 v8, v8, v70
	v_add_f32_e32 v9, v9, v39
	v_add_f32_e32 v11, v11, v66
	s_delay_alu instid0(VALU_DEP_4) | instskip(NEXT) | instid1(VALU_DEP_4)
	v_add_f32_e32 v17, v17, v73
	v_add_f32_e32 v1, v1, v41
	s_delay_alu instid0(VALU_DEP_4)
	v_add_f32_e32 v9, v9, v68
	s_cbranch_vccz .LBB1560_2
.LBB1560_3:
	v_add_nc_u32_e32 v7, s19, v7
	s_load_b32 s4, s[0:1], 0x0
	s_delay_alu instid0(VALU_DEP_1) | instskip(SKIP_2) | instid1(VALU_DEP_3)
	v_ashrrev_i32_e32 v2, 31, v7
	v_mul_lo_u32 v5, v7, s7
	v_mad_u64_u32 v[3:4], null, v7, s6, 0
	v_mul_lo_u32 v2, v2, s6
	s_delay_alu instid0(VALU_DEP_1) | instskip(SKIP_1) | instid1(VALU_DEP_2)
	v_add3_u32 v4, v4, v5, v2
	v_add_nc_u32_e32 v2, s18, v6
	v_lshlrev_b64 v[3:4], 3, v[3:4]
	s_delay_alu instid0(VALU_DEP_2) | instskip(SKIP_2) | instid1(VALU_DEP_3)
	v_cmp_le_i32_e64 s0, v7, v2
	s_waitcnt lgkmcnt(0)
	v_cmp_gt_i32_e32 vcc_lo, s4, v2
	v_add_co_u32 v6, s1, s2, v3
	s_delay_alu instid0(VALU_DEP_1) | instskip(SKIP_1) | instid1(SALU_CYCLE_1)
	v_add_co_ci_u32_e64 v10, s1, s3, v4, s1
	s_and_b32 s0, s0, vcc_lo
	s_and_saveexec_b32 s1, s0
	s_cbranch_execz .LBB1560_5
; %bb.4:
	v_ashrrev_i32_e32 v3, 31, v2
	v_xor_b32_e32 v13, 0x80000000, v16
	v_xor_b32_e32 v14, 0x80000000, v17
	s_delay_alu instid0(VALU_DEP_3) | instskip(NEXT) | instid1(VALU_DEP_1)
	v_lshlrev_b64 v[3:4], 3, v[2:3]
	v_add_co_u32 v3, s0, v6, v3
	s_delay_alu instid0(VALU_DEP_1)
	v_add_co_ci_u32_e64 v4, s0, v10, v4, s0
	global_store_b64 v[3:4], v[13:14], off
.LBB1560_5:
	s_or_b32 exec_lo, exec_lo, s1
	v_add_nc_u32_e32 v4, 16, v2
	s_delay_alu instid0(VALU_DEP_1) | instskip(SKIP_1) | instid1(VALU_DEP_1)
	v_cmp_le_i32_e64 s1, v7, v4
	v_cmp_gt_i32_e64 s0, s4, v4
	s_and_b32 s1, s1, s0
	s_delay_alu instid0(SALU_CYCLE_1)
	s_and_saveexec_b32 s4, s1
	s_cbranch_execz .LBB1560_7
; %bb.6:
	v_ashrrev_i32_e32 v5, 31, v4
	v_xor_b32_e32 v15, 0x80000000, v12
	v_xor_b32_e32 v16, 0x80000000, v11
	s_delay_alu instid0(VALU_DEP_3) | instskip(NEXT) | instid1(VALU_DEP_1)
	v_lshlrev_b64 v[13:14], 3, v[4:5]
	v_add_co_u32 v5, s1, v6, v13
	s_delay_alu instid0(VALU_DEP_1)
	v_add_co_ci_u32_e64 v6, s1, v10, v14, s1
	global_store_b64 v[5:6], v[15:16], off
.LBB1560_7:
	s_or_b32 exec_lo, exec_lo, s4
	v_add_nc_u32_e32 v5, 16, v7
	s_delay_alu instid0(VALU_DEP_1) | instskip(SKIP_3) | instid1(VALU_DEP_4)
	v_ashrrev_i32_e32 v3, 31, v5
	v_mul_lo_u32 v10, v5, s7
	v_mad_u64_u32 v[6:7], null, v5, s6, 0
	v_cmp_le_i32_e64 s1, v5, v2
	v_mul_lo_u32 v3, v3, s6
	s_delay_alu instid0(VALU_DEP_1) | instskip(NEXT) | instid1(VALU_DEP_1)
	v_add3_u32 v7, v7, v10, v3
	v_lshlrev_b64 v[6:7], 3, v[6:7]
	s_delay_alu instid0(VALU_DEP_1) | instskip(NEXT) | instid1(VALU_DEP_1)
	v_add_co_u32 v6, s2, s2, v6
	v_add_co_ci_u32_e64 v7, s2, s3, v7, s2
	s_and_b32 s2, s1, vcc_lo
	s_delay_alu instid0(SALU_CYCLE_1)
	s_and_saveexec_b32 s1, s2
	s_cbranch_execz .LBB1560_9
; %bb.8:
	v_ashrrev_i32_e32 v3, 31, v2
	v_xor_b32_e32 v9, 0x80000000, v9
	v_xor_b32_e32 v10, 0x80000000, v8
	s_delay_alu instid0(VALU_DEP_3) | instskip(NEXT) | instid1(VALU_DEP_1)
	v_lshlrev_b64 v[2:3], 3, v[2:3]
	v_add_co_u32 v2, vcc_lo, v6, v2
	s_delay_alu instid0(VALU_DEP_2)
	v_add_co_ci_u32_e32 v3, vcc_lo, v7, v3, vcc_lo
	global_store_b64 v[2:3], v[9:10], off
.LBB1560_9:
	s_or_b32 exec_lo, exec_lo, s1
	v_cmp_le_i32_e32 vcc_lo, v5, v4
	s_and_b32 s0, vcc_lo, s0
	s_delay_alu instid0(SALU_CYCLE_1)
	s_and_saveexec_b32 s1, s0
	s_cbranch_execz .LBB1560_11
; %bb.10:
	v_ashrrev_i32_e32 v5, 31, v4
	v_xor_b32_e32 v0, 0x80000000, v0
	v_xor_b32_e32 v1, 0x80000000, v1
	s_delay_alu instid0(VALU_DEP_3) | instskip(NEXT) | instid1(VALU_DEP_1)
	v_lshlrev_b64 v[2:3], 3, v[4:5]
	v_add_co_u32 v2, vcc_lo, v6, v2
	s_delay_alu instid0(VALU_DEP_2)
	v_add_co_ci_u32_e32 v3, vcc_lo, v7, v3, vcc_lo
	global_store_b64 v[2:3], v[0:1], off
.LBB1560_11:
	s_nop 0
	s_sendmsg sendmsg(MSG_DEALLOC_VGPRS)
	s_endpgm
	.section	.rodata,"a",@progbits
	.p2align	6, 0x0
	.amdhsa_kernel _ZL37rocblas_syrkx_herkx_restricted_kernelIl19rocblas_complex_numIfELi16ELi32ELi8ELin1ELi0ELb0ELc84ELc76EKPKS1_KPS1_EviT_PT9_S7_lS9_S7_lPT10_S7_li
		.amdhsa_group_segment_fixed_size 4096
		.amdhsa_private_segment_fixed_size 0
		.amdhsa_kernarg_size 92
		.amdhsa_user_sgpr_count 13
		.amdhsa_user_sgpr_dispatch_ptr 0
		.amdhsa_user_sgpr_queue_ptr 0
		.amdhsa_user_sgpr_kernarg_segment_ptr 1
		.amdhsa_user_sgpr_dispatch_id 0
		.amdhsa_user_sgpr_private_segment_size 0
		.amdhsa_wavefront_size32 1
		.amdhsa_uses_dynamic_stack 0
		.amdhsa_enable_private_segment 0
		.amdhsa_system_sgpr_workgroup_id_x 1
		.amdhsa_system_sgpr_workgroup_id_y 1
		.amdhsa_system_sgpr_workgroup_id_z 1
		.amdhsa_system_sgpr_workgroup_info 0
		.amdhsa_system_vgpr_workitem_id 1
		.amdhsa_next_free_vgpr 91
		.amdhsa_next_free_sgpr 20
		.amdhsa_reserve_vcc 1
		.amdhsa_float_round_mode_32 0
		.amdhsa_float_round_mode_16_64 0
		.amdhsa_float_denorm_mode_32 3
		.amdhsa_float_denorm_mode_16_64 3
		.amdhsa_dx10_clamp 1
		.amdhsa_ieee_mode 1
		.amdhsa_fp16_overflow 0
		.amdhsa_workgroup_processor_mode 1
		.amdhsa_memory_ordered 1
		.amdhsa_forward_progress 0
		.amdhsa_shared_vgpr_count 0
		.amdhsa_exception_fp_ieee_invalid_op 0
		.amdhsa_exception_fp_denorm_src 0
		.amdhsa_exception_fp_ieee_div_zero 0
		.amdhsa_exception_fp_ieee_overflow 0
		.amdhsa_exception_fp_ieee_underflow 0
		.amdhsa_exception_fp_ieee_inexact 0
		.amdhsa_exception_int_div_zero 0
	.end_amdhsa_kernel
	.section	.text._ZL37rocblas_syrkx_herkx_restricted_kernelIl19rocblas_complex_numIfELi16ELi32ELi8ELin1ELi0ELb0ELc84ELc76EKPKS1_KPS1_EviT_PT9_S7_lS9_S7_lPT10_S7_li,"axG",@progbits,_ZL37rocblas_syrkx_herkx_restricted_kernelIl19rocblas_complex_numIfELi16ELi32ELi8ELin1ELi0ELb0ELc84ELc76EKPKS1_KPS1_EviT_PT9_S7_lS9_S7_lPT10_S7_li,comdat
.Lfunc_end1560:
	.size	_ZL37rocblas_syrkx_herkx_restricted_kernelIl19rocblas_complex_numIfELi16ELi32ELi8ELin1ELi0ELb0ELc84ELc76EKPKS1_KPS1_EviT_PT9_S7_lS9_S7_lPT10_S7_li, .Lfunc_end1560-_ZL37rocblas_syrkx_herkx_restricted_kernelIl19rocblas_complex_numIfELi16ELi32ELi8ELin1ELi0ELb0ELc84ELc76EKPKS1_KPS1_EviT_PT9_S7_lS9_S7_lPT10_S7_li
                                        ; -- End function
	.section	.AMDGPU.csdata,"",@progbits
; Kernel info:
; codeLenInByte = 2192
; NumSgprs: 22
; NumVgprs: 91
; ScratchSize: 0
; MemoryBound: 0
; FloatMode: 240
; IeeeMode: 1
; LDSByteSize: 4096 bytes/workgroup (compile time only)
; SGPRBlocks: 2
; VGPRBlocks: 11
; NumSGPRsForWavesPerEU: 22
; NumVGPRsForWavesPerEU: 91
; Occupancy: 16
; WaveLimiterHint : 1
; COMPUTE_PGM_RSRC2:SCRATCH_EN: 0
; COMPUTE_PGM_RSRC2:USER_SGPR: 13
; COMPUTE_PGM_RSRC2:TRAP_HANDLER: 0
; COMPUTE_PGM_RSRC2:TGID_X_EN: 1
; COMPUTE_PGM_RSRC2:TGID_Y_EN: 1
; COMPUTE_PGM_RSRC2:TGID_Z_EN: 1
; COMPUTE_PGM_RSRC2:TIDIG_COMP_CNT: 1
	.section	.text._ZL37rocblas_syrkx_herkx_restricted_kernelIl19rocblas_complex_numIfELi16ELi32ELi8ELin1ELi0ELb0ELc67ELc76EKPKS1_KPS1_EviT_PT9_S7_lS9_S7_lPT10_S7_li,"axG",@progbits,_ZL37rocblas_syrkx_herkx_restricted_kernelIl19rocblas_complex_numIfELi16ELi32ELi8ELin1ELi0ELb0ELc67ELc76EKPKS1_KPS1_EviT_PT9_S7_lS9_S7_lPT10_S7_li,comdat
	.globl	_ZL37rocblas_syrkx_herkx_restricted_kernelIl19rocblas_complex_numIfELi16ELi32ELi8ELin1ELi0ELb0ELc67ELc76EKPKS1_KPS1_EviT_PT9_S7_lS9_S7_lPT10_S7_li ; -- Begin function _ZL37rocblas_syrkx_herkx_restricted_kernelIl19rocblas_complex_numIfELi16ELi32ELi8ELin1ELi0ELb0ELc67ELc76EKPKS1_KPS1_EviT_PT9_S7_lS9_S7_lPT10_S7_li
	.p2align	8
	.type	_ZL37rocblas_syrkx_herkx_restricted_kernelIl19rocblas_complex_numIfELi16ELi32ELi8ELin1ELi0ELb0ELc67ELc76EKPKS1_KPS1_EviT_PT9_S7_lS9_S7_lPT10_S7_li,@function
_ZL37rocblas_syrkx_herkx_restricted_kernelIl19rocblas_complex_numIfELi16ELi32ELi8ELin1ELi0ELb0ELc67ELc76EKPKS1_KPS1_EviT_PT9_S7_lS9_S7_lPT10_S7_li: ; @_ZL37rocblas_syrkx_herkx_restricted_kernelIl19rocblas_complex_numIfELi16ELi32ELi8ELin1ELi0ELb0ELc67ELc76EKPKS1_KPS1_EviT_PT9_S7_lS9_S7_lPT10_S7_li
; %bb.0:
	s_clause 0x1
	s_load_b128 s[4:7], s[0:1], 0x40
	s_load_b128 s[8:11], s[0:1], 0x8
	s_mov_b32 s2, s15
	s_mov_b32 s3, 0
	v_dual_mov_b32 v17, 0 :: v_dual_and_b32 v6, 0x3ff, v0
	s_lshl_b64 s[16:17], s[2:3], 3
	v_bfe_u32 v7, v0, 10, 10
	v_dual_mov_b32 v16, 0 :: v_dual_mov_b32 v11, 0
	v_dual_mov_b32 v12, 0 :: v_dual_mov_b32 v9, 0
	;; [unrolled: 1-line block ×3, first 2 shown]
	v_mov_b32_e32 v0, 0
	s_waitcnt lgkmcnt(0)
	s_add_u32 s2, s4, s16
	s_addc_u32 s3, s5, s17
	v_cmp_lt_i64_e64 s4, s[8:9], 1
	s_load_b64 s[2:3], s[2:3], 0x0
	s_lshl_b32 s18, s13, 5
	s_lshl_b32 s19, s14, 5
	s_delay_alu instid0(VALU_DEP_1)
	s_and_b32 vcc_lo, exec_lo, s4
	s_cbranch_vccnz .LBB1561_3
; %bb.1:
	s_clause 0x1
	s_load_b128 s[12:15], s[0:1], 0x28
	s_load_b64 s[4:5], s[0:1], 0x18
	v_lshl_add_u32 v2, v7, 4, v6
	s_add_u32 s10, s10, s16
	s_addc_u32 s11, s11, s17
	v_dual_mov_b32 v1, 0 :: v_dual_and_b32 v0, 7, v6
	s_delay_alu instid0(VALU_DEP_2) | instskip(SKIP_2) | instid1(VALU_DEP_4)
	v_lshrrev_b32_e32 v11, 3, v2
	v_and_b32_e32 v12, 31, v2
	v_lshrrev_b32_e32 v2, 5, v2
	v_mov_b32_e32 v3, v1
	s_load_b64 s[10:11], s[10:11], 0x0
	v_add_nc_u32_e32 v10, s19, v11
	v_add_nc_u32_e32 v8, s18, v12
	v_lshlrev_b32_e32 v12, 3, v12
	v_mov_b32_e32 v16, v1
	v_mov_b32_e32 v17, v1
	v_ashrrev_i32_e32 v4, 31, v10
	v_ashrrev_i32_e32 v5, 31, v8
	s_waitcnt lgkmcnt(0)
	s_add_u32 s12, s12, s16
	s_addc_u32 s13, s13, s17
	v_mul_lo_u32 v13, v4, s14
	v_mul_lo_u32 v14, s4, v5
	v_mad_u64_u32 v[4:5], null, s4, v8, v[2:3]
	v_mul_lo_u32 v3, s5, v8
	s_load_b64 s[4:5], s[12:13], 0x0
	v_mul_lo_u32 v15, v10, s15
	v_mad_u64_u32 v[8:9], null, v10, s14, v[0:1]
	v_lshlrev_b32_e32 v0, 3, v0
	v_lshlrev_b32_e32 v10, 3, v6
	v_add3_u32 v5, v3, v5, v14
	v_lshl_or_b32 v14, v2, 8, v12
	s_delay_alu instid0(VALU_DEP_4)
	v_lshl_or_b32 v0, v11, 6, v0
	v_add3_u32 v9, v13, v9, v15
	v_lshl_add_u32 v13, v7, 6, 0x800
	v_lshlrev_b64 v[3:4], 3, v[4:5]
	v_mov_b32_e32 v11, v1
	v_add_nc_u32_e32 v15, 0x800, v0
	v_lshlrev_b64 v[8:9], 3, v[8:9]
	v_mov_b32_e32 v12, v1
	v_add_co_u32 v0, vcc_lo, v3, s10
	v_add_co_ci_u32_e32 v3, vcc_lo, s11, v4, vcc_lo
	s_waitcnt lgkmcnt(0)
	s_delay_alu instid0(VALU_DEP_4)
	v_add_co_u32 v4, vcc_lo, v8, s4
	v_add_co_ci_u32_e32 v5, vcc_lo, s5, v9, vcc_lo
	v_add_co_u32 v2, vcc_lo, v0, 4
	v_mov_b32_e32 v0, v1
	v_add_co_ci_u32_e32 v3, vcc_lo, 0, v3, vcc_lo
	v_add_co_u32 v4, vcc_lo, v4, 4
	v_add_co_ci_u32_e32 v5, vcc_lo, 0, v5, vcc_lo
	v_mov_b32_e32 v8, v1
	v_mov_b32_e32 v9, v1
	s_mov_b64 s[4:5], 0
.LBB1561_2:                             ; =>This Inner Loop Header: Depth=1
	global_load_b64 v[18:19], v[2:3], off offset:-4
	global_load_b64 v[20:21], v[4:5], off offset:-4
	s_add_u32 s4, s4, 8
	v_add_co_u32 v2, vcc_lo, v2, 64
	s_addc_u32 s5, s5, 0
	v_add_co_ci_u32_e32 v3, vcc_lo, 0, v3, vcc_lo
	v_cmp_ge_u64_e64 s10, s[4:5], s[8:9]
	v_add_co_u32 v4, vcc_lo, v4, 64
	v_add_co_ci_u32_e32 v5, vcc_lo, 0, v5, vcc_lo
	s_waitcnt vmcnt(1)
	ds_store_b64 v14, v[18:19]
	s_waitcnt vmcnt(0)
	ds_store_b64 v15, v[20:21]
	s_waitcnt lgkmcnt(0)
	s_barrier
	buffer_gl0_inv
	ds_load_2addr_b64 v[18:21], v10 offset1:16
	ds_load_b128 v[22:25], v13
	ds_load_b128 v[26:29], v13 offset:1024
	ds_load_b128 v[30:33], v13 offset:16
	;; [unrolled: 1-line block ×4, first 2 shown]
	ds_load_2addr_b64 v[42:45], v10 offset0:32 offset1:48
	ds_load_2addr_b64 v[46:49], v10 offset0:64 offset1:80
	ds_load_b128 v[50:53], v13 offset:1040
	ds_load_2addr_b64 v[54:57], v10 offset0:96 offset1:112
	ds_load_2addr_b64 v[58:61], v10 offset0:128 offset1:144
	;; [unrolled: 1-line block ×4, first 2 shown]
	ds_load_b128 v[70:73], v13 offset:1056
	ds_load_b128 v[74:77], v13 offset:1072
	ds_load_2addr_b64 v[78:81], v10 offset0:224 offset1:240
	s_and_b32 vcc_lo, exec_lo, s10
	s_waitcnt lgkmcnt(0)
	s_barrier
	buffer_gl0_inv
	v_dual_mul_f32 v82, v23, v19 :: v_dual_mul_f32 v85, v22, v21
	v_dual_mul_f32 v83, v22, v19 :: v_dual_mul_f32 v84, v23, v21
	v_mul_f32_e32 v86, v27, v19
	v_dual_mul_f32 v19, v26, v19 :: v_dual_mul_f32 v90, v25, v45
	v_dual_mul_f32 v87, v27, v21 :: v_dual_mul_f32 v88, v25, v43
	v_mul_f32_e32 v21, v26, v21
	v_fma_f32 v82, v22, v18, -v82
	v_fmac_f32_e32 v83, v23, v18
	v_fma_f32 v22, v22, v20, -v84
	v_fmac_f32_e32 v85, v23, v20
	v_fma_f32 v23, v26, v18, -v86
	v_dual_fmac_f32 v19, v27, v18 :: v_dual_mul_f32 v86, v30, v47
	v_fma_f32 v18, v26, v20, -v87
	v_dual_fmac_f32 v21, v27, v20 :: v_dual_mul_f32 v20, v24, v45
	v_mul_f32_e32 v89, v24, v43
	v_mul_f32_e32 v26, v29, v43
	;; [unrolled: 1-line block ×4, first 2 shown]
	v_fmac_f32_e32 v20, v25, v44
	v_fmac_f32_e32 v89, v25, v42
	v_dual_mul_f32 v25, v28, v45 :: v_dual_fmac_f32 v86, v31, v46
	v_fma_f32 v84, v24, v42, -v88
	v_fma_f32 v24, v24, v44, -v90
	v_dual_mul_f32 v45, v31, v47 :: v_dual_mul_f32 v90, v33, v57
	v_fma_f32 v26, v28, v42, -v26
	v_fma_f32 v28, v28, v44, -v43
	v_fmac_f32_e32 v25, v29, v44
	v_dual_mul_f32 v43, v50, v47 :: v_dual_mul_f32 v44, v51, v49
	v_dual_fmac_f32 v27, v29, v42 :: v_dual_mul_f32 v42, v51, v47
	v_dual_mul_f32 v88, v32, v55 :: v_dual_mul_f32 v29, v30, v49
	v_mul_f32_e32 v87, v31, v49
	v_fma_f32 v45, v30, v46, -v45
	v_add_f32_e32 v16, v16, v82
	s_delay_alu instid0(VALU_DEP_4)
	v_dual_fmac_f32 v88, v33, v54 :: v_dual_fmac_f32 v29, v31, v48
	v_fma_f32 v31, v50, v46, -v42
	v_fma_f32 v42, v50, v48, -v44
	v_mul_f32_e32 v44, v32, v57
	v_mul_f32_e32 v47, v50, v49
	v_dual_mul_f32 v50, v53, v57 :: v_dual_fmac_f32 v43, v51, v46
	v_mul_f32_e32 v46, v53, v55
	v_mul_f32_e32 v49, v33, v55
	v_fma_f32 v30, v30, v48, -v87
	v_fmac_f32_e32 v44, v33, v56
	v_dual_fmac_f32 v47, v51, v48 :: v_dual_mul_f32 v48, v52, v55
	v_mul_f32_e32 v33, v52, v57
	v_fma_f32 v46, v52, v54, -v46
	v_fma_f32 v50, v52, v56, -v50
	v_mul_f32_e32 v52, v34, v61
	v_fma_f32 v49, v32, v54, -v49
	v_fma_f32 v32, v32, v56, -v90
	v_dual_mul_f32 v51, v35, v59 :: v_dual_fmac_f32 v48, v53, v54
	v_mul_f32_e32 v54, v70, v59
	v_dual_mul_f32 v55, v34, v59 :: v_dual_fmac_f32 v52, v35, v60
	v_fmac_f32_e32 v33, v53, v56
	v_mul_f32_e32 v53, v71, v59
	v_mul_f32_e32 v56, v71, v61
	;; [unrolled: 1-line block ×3, first 2 shown]
	v_fmac_f32_e32 v54, v71, v58
	v_fmac_f32_e32 v55, v35, v58
	v_fma_f32 v35, v70, v58, -v53
	v_fma_f32 v53, v70, v60, -v56
	v_mul_f32_e32 v56, v36, v65
	v_mul_f32_e32 v59, v70, v61
	v_fma_f32 v51, v34, v58, -v51
	v_mul_f32_e32 v58, v72, v63
	v_mul_f32_e32 v87, v36, v63
	;; [unrolled: 1-line block ×4, first 2 shown]
	v_fma_f32 v34, v34, v60, -v57
	v_mul_f32_e32 v57, v73, v63
	v_fmac_f32_e32 v56, v37, v64
	v_dual_fmac_f32 v59, v71, v60 :: v_dual_mul_f32 v60, v73, v65
	v_mul_f32_e32 v63, v39, v67
	v_mul_f32_e32 v70, v39, v69
	v_fmac_f32_e32 v58, v73, v62
	v_fmac_f32_e32 v87, v37, v62
	v_mul_f32_e32 v37, v72, v65
	v_fma_f32 v61, v36, v62, -v61
	v_fma_f32 v36, v36, v64, -v90
	v_mul_f32_e32 v65, v38, v67
	v_fma_f32 v57, v72, v62, -v57
	v_fma_f32 v60, v72, v64, -v60
	v_dual_fmac_f32 v37, v73, v64 :: v_dual_mul_f32 v62, v38, v69
	v_mul_f32_e32 v64, v75, v67
	v_fma_f32 v63, v38, v66, -v63
	v_fma_f32 v38, v38, v68, -v70
	v_mul_f32_e32 v70, v76, v79
	v_mul_f32_e32 v67, v74, v67
	;; [unrolled: 1-line block ×3, first 2 shown]
	v_dual_mul_f32 v69, v74, v69 :: v_dual_add_f32 v12, v12, v22
	v_mul_f32_e32 v73, v40, v79
	v_dual_fmac_f32 v65, v39, v66 :: v_dual_add_f32 v8, v8, v19
	v_fmac_f32_e32 v62, v39, v68
	v_fma_f32 v39, v74, v66, -v64
	v_fmac_f32_e32 v70, v77, v78
	v_dual_fmac_f32 v67, v75, v66 :: v_dual_add_f32 v16, v16, v84
	v_mul_f32_e32 v66, v40, v81
	v_mul_f32_e32 v72, v41, v79
	v_dual_mul_f32 v90, v41, v81 :: v_dual_fmac_f32 v69, v75, v68
	v_add_f32_e32 v0, v0, v18
	v_dual_fmac_f32 v73, v41, v78 :: v_dual_add_f32 v8, v8, v27
	v_dual_fmac_f32 v66, v41, v80 :: v_dual_mul_f32 v41, v76, v81
	v_fma_f32 v64, v74, v68, -v71
	v_dual_mul_f32 v71, v77, v81 :: v_dual_add_f32 v12, v12, v24
	v_dual_add_f32 v17, v17, v83 :: v_dual_add_f32 v0, v0, v28
	s_delay_alu instid0(VALU_DEP_4) | instskip(NEXT) | instid1(VALU_DEP_3)
	v_dual_fmac_f32 v41, v77, v80 :: v_dual_add_f32 v16, v16, v45
	v_dual_add_f32 v11, v11, v85 :: v_dual_add_f32 v12, v12, v30
	s_delay_alu instid0(VALU_DEP_3) | instskip(SKIP_1) | instid1(VALU_DEP_3)
	v_dual_add_f32 v9, v9, v23 :: v_dual_add_f32 v0, v0, v42
	v_dual_add_f32 v1, v1, v21 :: v_dual_add_f32 v8, v8, v43
	v_dual_add_f32 v17, v17, v89 :: v_dual_add_f32 v12, v12, v32
	s_delay_alu instid0(VALU_DEP_4) | instskip(NEXT) | instid1(VALU_DEP_3)
	v_dual_add_f32 v11, v11, v20 :: v_dual_add_f32 v16, v16, v49
	v_dual_add_f32 v9, v9, v26 :: v_dual_add_f32 v8, v8, v48
	s_delay_alu instid0(VALU_DEP_4) | instskip(NEXT) | instid1(VALU_DEP_3)
	v_dual_add_f32 v1, v1, v25 :: v_dual_add_f32 v0, v0, v50
	v_dual_add_f32 v17, v17, v86 :: v_dual_add_f32 v16, v16, v51
	s_delay_alu instid0(VALU_DEP_4) | instskip(NEXT) | instid1(VALU_DEP_4)
	v_dual_add_f32 v11, v11, v29 :: v_dual_add_f32 v12, v12, v34
	v_dual_add_f32 v9, v9, v31 :: v_dual_add_f32 v8, v8, v54
	s_delay_alu instid0(VALU_DEP_4) | instskip(NEXT) | instid1(VALU_DEP_4)
	v_dual_add_f32 v1, v1, v47 :: v_dual_add_f32 v0, v0, v53
	v_dual_add_f32 v17, v17, v88 :: v_dual_add_f32 v16, v16, v61
	s_delay_alu instid0(VALU_DEP_3) | instskip(NEXT) | instid1(VALU_DEP_4)
	v_dual_add_f32 v11, v11, v44 :: v_dual_add_f32 v8, v8, v58
	v_dual_add_f32 v9, v9, v46 :: v_dual_add_f32 v12, v12, v36
	s_delay_alu instid0(VALU_DEP_4) | instskip(SKIP_1) | instid1(VALU_DEP_3)
	v_dual_add_f32 v1, v1, v33 :: v_dual_add_f32 v0, v0, v60
	v_fma_f32 v72, v40, v78, -v72
	v_dual_add_f32 v17, v17, v55 :: v_dual_add_f32 v12, v12, v38
	v_dual_add_f32 v11, v11, v52 :: v_dual_add_f32 v16, v16, v63
	s_delay_alu instid0(VALU_DEP_4) | instskip(SKIP_2) | instid1(VALU_DEP_4)
	v_dual_add_f32 v9, v9, v35 :: v_dual_add_f32 v0, v0, v64
	v_add_f32_e32 v1, v1, v59
	v_mul_f32_e32 v68, v77, v79
	v_add_f32_e32 v16, v16, v72
	v_fma_f32 v40, v40, v80, -v90
	v_fma_f32 v71, v76, v80, -v71
	v_add_f32_e32 v17, v17, v87
	v_dual_add_f32 v11, v11, v56 :: v_dual_add_f32 v8, v8, v67
	v_add_f32_e32 v9, v9, v57
	s_delay_alu instid0(VALU_DEP_4) | instskip(SKIP_1) | instid1(VALU_DEP_4)
	v_dual_add_f32 v1, v1, v37 :: v_dual_add_f32 v0, v0, v71
	v_fma_f32 v68, v76, v78, -v68
	v_dual_add_f32 v11, v11, v62 :: v_dual_add_f32 v12, v12, v40
	v_add_f32_e32 v17, v17, v65
	s_delay_alu instid0(VALU_DEP_4) | instskip(SKIP_1) | instid1(VALU_DEP_4)
	v_dual_add_f32 v1, v1, v69 :: v_dual_add_f32 v8, v8, v70
	v_add_f32_e32 v9, v9, v39
	v_add_f32_e32 v11, v11, v66
	s_delay_alu instid0(VALU_DEP_4) | instskip(NEXT) | instid1(VALU_DEP_4)
	v_add_f32_e32 v17, v17, v73
	v_add_f32_e32 v1, v1, v41
	s_delay_alu instid0(VALU_DEP_4)
	v_add_f32_e32 v9, v9, v68
	s_cbranch_vccz .LBB1561_2
.LBB1561_3:
	v_add_nc_u32_e32 v7, s19, v7
	s_load_b32 s4, s[0:1], 0x0
	s_delay_alu instid0(VALU_DEP_1) | instskip(SKIP_2) | instid1(VALU_DEP_3)
	v_ashrrev_i32_e32 v2, 31, v7
	v_mul_lo_u32 v5, v7, s7
	v_mad_u64_u32 v[3:4], null, v7, s6, 0
	v_mul_lo_u32 v2, v2, s6
	s_delay_alu instid0(VALU_DEP_1) | instskip(SKIP_1) | instid1(VALU_DEP_2)
	v_add3_u32 v4, v4, v5, v2
	v_add_nc_u32_e32 v2, s18, v6
	v_lshlrev_b64 v[3:4], 3, v[3:4]
	s_delay_alu instid0(VALU_DEP_2) | instskip(SKIP_2) | instid1(VALU_DEP_3)
	v_cmp_le_i32_e64 s0, v7, v2
	s_waitcnt lgkmcnt(0)
	v_cmp_gt_i32_e32 vcc_lo, s4, v2
	v_add_co_u32 v6, s1, s2, v3
	s_delay_alu instid0(VALU_DEP_1) | instskip(SKIP_1) | instid1(SALU_CYCLE_1)
	v_add_co_ci_u32_e64 v10, s1, s3, v4, s1
	s_and_b32 s0, s0, vcc_lo
	s_and_saveexec_b32 s1, s0
	s_cbranch_execz .LBB1561_5
; %bb.4:
	v_ashrrev_i32_e32 v3, 31, v2
	v_xor_b32_e32 v13, 0x80000000, v16
	v_xor_b32_e32 v14, 0x80000000, v17
	s_delay_alu instid0(VALU_DEP_3) | instskip(NEXT) | instid1(VALU_DEP_1)
	v_lshlrev_b64 v[3:4], 3, v[2:3]
	v_add_co_u32 v3, s0, v6, v3
	s_delay_alu instid0(VALU_DEP_1)
	v_add_co_ci_u32_e64 v4, s0, v10, v4, s0
	global_store_b64 v[3:4], v[13:14], off
.LBB1561_5:
	s_or_b32 exec_lo, exec_lo, s1
	v_add_nc_u32_e32 v4, 16, v2
	s_delay_alu instid0(VALU_DEP_1) | instskip(SKIP_1) | instid1(VALU_DEP_1)
	v_cmp_le_i32_e64 s1, v7, v4
	v_cmp_gt_i32_e64 s0, s4, v4
	s_and_b32 s1, s1, s0
	s_delay_alu instid0(SALU_CYCLE_1)
	s_and_saveexec_b32 s4, s1
	s_cbranch_execz .LBB1561_7
; %bb.6:
	v_ashrrev_i32_e32 v5, 31, v4
	v_xor_b32_e32 v15, 0x80000000, v12
	v_xor_b32_e32 v16, 0x80000000, v11
	s_delay_alu instid0(VALU_DEP_3) | instskip(NEXT) | instid1(VALU_DEP_1)
	v_lshlrev_b64 v[13:14], 3, v[4:5]
	v_add_co_u32 v5, s1, v6, v13
	s_delay_alu instid0(VALU_DEP_1)
	v_add_co_ci_u32_e64 v6, s1, v10, v14, s1
	global_store_b64 v[5:6], v[15:16], off
.LBB1561_7:
	s_or_b32 exec_lo, exec_lo, s4
	v_add_nc_u32_e32 v5, 16, v7
	s_delay_alu instid0(VALU_DEP_1) | instskip(SKIP_3) | instid1(VALU_DEP_4)
	v_ashrrev_i32_e32 v3, 31, v5
	v_mul_lo_u32 v10, v5, s7
	v_mad_u64_u32 v[6:7], null, v5, s6, 0
	v_cmp_le_i32_e64 s1, v5, v2
	v_mul_lo_u32 v3, v3, s6
	s_delay_alu instid0(VALU_DEP_1) | instskip(NEXT) | instid1(VALU_DEP_1)
	v_add3_u32 v7, v7, v10, v3
	v_lshlrev_b64 v[6:7], 3, v[6:7]
	s_delay_alu instid0(VALU_DEP_1) | instskip(NEXT) | instid1(VALU_DEP_1)
	v_add_co_u32 v6, s2, s2, v6
	v_add_co_ci_u32_e64 v7, s2, s3, v7, s2
	s_and_b32 s2, s1, vcc_lo
	s_delay_alu instid0(SALU_CYCLE_1)
	s_and_saveexec_b32 s1, s2
	s_cbranch_execz .LBB1561_9
; %bb.8:
	v_ashrrev_i32_e32 v3, 31, v2
	v_xor_b32_e32 v9, 0x80000000, v9
	v_xor_b32_e32 v10, 0x80000000, v8
	s_delay_alu instid0(VALU_DEP_3) | instskip(NEXT) | instid1(VALU_DEP_1)
	v_lshlrev_b64 v[2:3], 3, v[2:3]
	v_add_co_u32 v2, vcc_lo, v6, v2
	s_delay_alu instid0(VALU_DEP_2)
	v_add_co_ci_u32_e32 v3, vcc_lo, v7, v3, vcc_lo
	global_store_b64 v[2:3], v[9:10], off
.LBB1561_9:
	s_or_b32 exec_lo, exec_lo, s1
	v_cmp_le_i32_e32 vcc_lo, v5, v4
	s_and_b32 s0, vcc_lo, s0
	s_delay_alu instid0(SALU_CYCLE_1)
	s_and_saveexec_b32 s1, s0
	s_cbranch_execz .LBB1561_11
; %bb.10:
	v_ashrrev_i32_e32 v5, 31, v4
	v_xor_b32_e32 v0, 0x80000000, v0
	v_xor_b32_e32 v1, 0x80000000, v1
	s_delay_alu instid0(VALU_DEP_3) | instskip(NEXT) | instid1(VALU_DEP_1)
	v_lshlrev_b64 v[2:3], 3, v[4:5]
	v_add_co_u32 v2, vcc_lo, v6, v2
	s_delay_alu instid0(VALU_DEP_2)
	v_add_co_ci_u32_e32 v3, vcc_lo, v7, v3, vcc_lo
	global_store_b64 v[2:3], v[0:1], off
.LBB1561_11:
	s_nop 0
	s_sendmsg sendmsg(MSG_DEALLOC_VGPRS)
	s_endpgm
	.section	.rodata,"a",@progbits
	.p2align	6, 0x0
	.amdhsa_kernel _ZL37rocblas_syrkx_herkx_restricted_kernelIl19rocblas_complex_numIfELi16ELi32ELi8ELin1ELi0ELb0ELc67ELc76EKPKS1_KPS1_EviT_PT9_S7_lS9_S7_lPT10_S7_li
		.amdhsa_group_segment_fixed_size 4096
		.amdhsa_private_segment_fixed_size 0
		.amdhsa_kernarg_size 92
		.amdhsa_user_sgpr_count 13
		.amdhsa_user_sgpr_dispatch_ptr 0
		.amdhsa_user_sgpr_queue_ptr 0
		.amdhsa_user_sgpr_kernarg_segment_ptr 1
		.amdhsa_user_sgpr_dispatch_id 0
		.amdhsa_user_sgpr_private_segment_size 0
		.amdhsa_wavefront_size32 1
		.amdhsa_uses_dynamic_stack 0
		.amdhsa_enable_private_segment 0
		.amdhsa_system_sgpr_workgroup_id_x 1
		.amdhsa_system_sgpr_workgroup_id_y 1
		.amdhsa_system_sgpr_workgroup_id_z 1
		.amdhsa_system_sgpr_workgroup_info 0
		.amdhsa_system_vgpr_workitem_id 1
		.amdhsa_next_free_vgpr 91
		.amdhsa_next_free_sgpr 20
		.amdhsa_reserve_vcc 1
		.amdhsa_float_round_mode_32 0
		.amdhsa_float_round_mode_16_64 0
		.amdhsa_float_denorm_mode_32 3
		.amdhsa_float_denorm_mode_16_64 3
		.amdhsa_dx10_clamp 1
		.amdhsa_ieee_mode 1
		.amdhsa_fp16_overflow 0
		.amdhsa_workgroup_processor_mode 1
		.amdhsa_memory_ordered 1
		.amdhsa_forward_progress 0
		.amdhsa_shared_vgpr_count 0
		.amdhsa_exception_fp_ieee_invalid_op 0
		.amdhsa_exception_fp_denorm_src 0
		.amdhsa_exception_fp_ieee_div_zero 0
		.amdhsa_exception_fp_ieee_overflow 0
		.amdhsa_exception_fp_ieee_underflow 0
		.amdhsa_exception_fp_ieee_inexact 0
		.amdhsa_exception_int_div_zero 0
	.end_amdhsa_kernel
	.section	.text._ZL37rocblas_syrkx_herkx_restricted_kernelIl19rocblas_complex_numIfELi16ELi32ELi8ELin1ELi0ELb0ELc67ELc76EKPKS1_KPS1_EviT_PT9_S7_lS9_S7_lPT10_S7_li,"axG",@progbits,_ZL37rocblas_syrkx_herkx_restricted_kernelIl19rocblas_complex_numIfELi16ELi32ELi8ELin1ELi0ELb0ELc67ELc76EKPKS1_KPS1_EviT_PT9_S7_lS9_S7_lPT10_S7_li,comdat
.Lfunc_end1561:
	.size	_ZL37rocblas_syrkx_herkx_restricted_kernelIl19rocblas_complex_numIfELi16ELi32ELi8ELin1ELi0ELb0ELc67ELc76EKPKS1_KPS1_EviT_PT9_S7_lS9_S7_lPT10_S7_li, .Lfunc_end1561-_ZL37rocblas_syrkx_herkx_restricted_kernelIl19rocblas_complex_numIfELi16ELi32ELi8ELin1ELi0ELb0ELc67ELc76EKPKS1_KPS1_EviT_PT9_S7_lS9_S7_lPT10_S7_li
                                        ; -- End function
	.section	.AMDGPU.csdata,"",@progbits
; Kernel info:
; codeLenInByte = 2192
; NumSgprs: 22
; NumVgprs: 91
; ScratchSize: 0
; MemoryBound: 0
; FloatMode: 240
; IeeeMode: 1
; LDSByteSize: 4096 bytes/workgroup (compile time only)
; SGPRBlocks: 2
; VGPRBlocks: 11
; NumSGPRsForWavesPerEU: 22
; NumVGPRsForWavesPerEU: 91
; Occupancy: 16
; WaveLimiterHint : 1
; COMPUTE_PGM_RSRC2:SCRATCH_EN: 0
; COMPUTE_PGM_RSRC2:USER_SGPR: 13
; COMPUTE_PGM_RSRC2:TRAP_HANDLER: 0
; COMPUTE_PGM_RSRC2:TGID_X_EN: 1
; COMPUTE_PGM_RSRC2:TGID_Y_EN: 1
; COMPUTE_PGM_RSRC2:TGID_Z_EN: 1
; COMPUTE_PGM_RSRC2:TIDIG_COMP_CNT: 1
	.section	.text._ZL37rocblas_syrkx_herkx_restricted_kernelIl19rocblas_complex_numIfELi16ELi32ELi8ELin1ELi0ELb0ELc78ELc76EKPKS1_KPS1_EviT_PT9_S7_lS9_S7_lPT10_S7_li,"axG",@progbits,_ZL37rocblas_syrkx_herkx_restricted_kernelIl19rocblas_complex_numIfELi16ELi32ELi8ELin1ELi0ELb0ELc78ELc76EKPKS1_KPS1_EviT_PT9_S7_lS9_S7_lPT10_S7_li,comdat
	.globl	_ZL37rocblas_syrkx_herkx_restricted_kernelIl19rocblas_complex_numIfELi16ELi32ELi8ELin1ELi0ELb0ELc78ELc76EKPKS1_KPS1_EviT_PT9_S7_lS9_S7_lPT10_S7_li ; -- Begin function _ZL37rocblas_syrkx_herkx_restricted_kernelIl19rocblas_complex_numIfELi16ELi32ELi8ELin1ELi0ELb0ELc78ELc76EKPKS1_KPS1_EviT_PT9_S7_lS9_S7_lPT10_S7_li
	.p2align	8
	.type	_ZL37rocblas_syrkx_herkx_restricted_kernelIl19rocblas_complex_numIfELi16ELi32ELi8ELin1ELi0ELb0ELc78ELc76EKPKS1_KPS1_EviT_PT9_S7_lS9_S7_lPT10_S7_li,@function
_ZL37rocblas_syrkx_herkx_restricted_kernelIl19rocblas_complex_numIfELi16ELi32ELi8ELin1ELi0ELb0ELc78ELc76EKPKS1_KPS1_EviT_PT9_S7_lS9_S7_lPT10_S7_li: ; @_ZL37rocblas_syrkx_herkx_restricted_kernelIl19rocblas_complex_numIfELi16ELi32ELi8ELin1ELi0ELb0ELc78ELc76EKPKS1_KPS1_EviT_PT9_S7_lS9_S7_lPT10_S7_li
; %bb.0:
	s_clause 0x1
	s_load_b128 s[4:7], s[0:1], 0x40
	s_load_b128 s[8:11], s[0:1], 0x8
	s_mov_b32 s2, s15
	s_mov_b32 s3, 0
	v_dual_mov_b32 v17, 0 :: v_dual_and_b32 v4, 0x3ff, v0
	s_lshl_b64 s[16:17], s[2:3], 3
	v_bfe_u32 v5, v0, 10, 10
	v_dual_mov_b32 v16, 0 :: v_dual_mov_b32 v13, 0
	v_dual_mov_b32 v12, 0 :: v_dual_mov_b32 v9, 0
	;; [unrolled: 1-line block ×3, first 2 shown]
	v_mov_b32_e32 v6, 0
	s_waitcnt lgkmcnt(0)
	s_add_u32 s2, s4, s16
	s_addc_u32 s3, s5, s17
	v_cmp_lt_i64_e64 s4, s[8:9], 1
	s_load_b64 s[2:3], s[2:3], 0x0
	s_lshl_b32 s18, s13, 5
	s_lshl_b32 s19, s14, 5
	s_delay_alu instid0(VALU_DEP_1)
	s_and_b32 vcc_lo, exec_lo, s4
	s_cbranch_vccnz .LBB1562_3
; %bb.1:
	v_lshl_add_u32 v1, v5, 4, v4
	s_clause 0x1
	s_load_b64 s[4:5], s[0:1], 0x18
	s_load_b128 s[12:15], s[0:1], 0x28
	s_add_u32 s10, s10, s16
	s_addc_u32 s11, s11, s17
	v_lshl_add_u32 v11, v5, 6, 0x800
	v_and_b32_e32 v14, 31, v1
	v_lshrrev_b32_e32 v15, 3, v1
	v_lshrrev_b32_e32 v16, 5, v1
	s_load_b64 s[10:11], s[10:11], 0x0
	s_delay_alu instid0(VALU_DEP_3) | instskip(NEXT) | instid1(VALU_DEP_3)
	v_dual_mov_b32 v17, 0 :: v_dual_add_nc_u32 v0, s18, v14
	v_add_nc_u32_e32 v2, s19, v15
	s_delay_alu instid0(VALU_DEP_2) | instskip(NEXT) | instid1(VALU_DEP_2)
	v_ashrrev_i32_e32 v1, 31, v0
	v_ashrrev_i32_e32 v3, 31, v2
	s_waitcnt lgkmcnt(0)
	s_delay_alu instid0(VALU_DEP_2) | instskip(SKIP_4) | instid1(VALU_DEP_1)
	v_mad_u64_u32 v[12:13], null, v16, s4, v[0:1]
	v_and_b32_e32 v7, 7, v4
	s_add_u32 s12, s12, s16
	s_addc_u32 s13, s13, s17
	s_load_b64 s[12:13], s[12:13], 0x0
	v_mad_u64_u32 v[0:1], null, v7, s14, v[2:3]
	s_delay_alu instid0(VALU_DEP_3) | instskip(SKIP_1) | instid1(VALU_DEP_2)
	v_mov_b32_e32 v2, v13
	v_mov_b32_e32 v6, 0
	v_mad_u64_u32 v[8:9], null, v16, s5, v[2:3]
	s_delay_alu instid0(VALU_DEP_4) | instskip(SKIP_2) | instid1(VALU_DEP_4)
	v_mad_u64_u32 v[2:3], null, v7, s15, v[1:2]
	v_lshlrev_b32_e32 v1, 3, v7
	v_dual_mov_b32 v7, 0 :: v_dual_lshlrev_b32 v10, 3, v4
	v_dual_mov_b32 v13, v8 :: v_dual_lshlrev_b32 v14, 3, v14
	s_delay_alu instid0(VALU_DEP_3) | instskip(SKIP_2) | instid1(VALU_DEP_4)
	v_lshl_or_b32 v15, v15, 6, v1
	v_dual_mov_b32 v1, v2 :: v_dual_mov_b32 v8, 0
	v_mov_b32_e32 v9, 0
	v_lshlrev_b64 v[2:3], 3, v[12:13]
	s_delay_alu instid0(VALU_DEP_4) | instskip(NEXT) | instid1(VALU_DEP_4)
	v_add_nc_u32_e32 v15, 0x800, v15
	v_lshlrev_b64 v[0:1], 3, v[0:1]
	s_lshl_b64 s[4:5], s[4:5], 6
	s_delay_alu instid0(VALU_DEP_3) | instskip(NEXT) | instid1(VALU_DEP_4)
	v_add_co_u32 v2, vcc_lo, v2, s10
	v_add_co_ci_u32_e32 v3, vcc_lo, s11, v3, vcc_lo
	s_waitcnt lgkmcnt(0)
	s_delay_alu instid0(VALU_DEP_3) | instskip(SKIP_3) | instid1(VALU_DEP_4)
	v_add_co_u32 v12, vcc_lo, v0, s12
	v_add_co_ci_u32_e32 v13, vcc_lo, s13, v1, vcc_lo
	v_add_co_u32 v0, vcc_lo, v2, 4
	v_add_co_ci_u32_e32 v1, vcc_lo, 0, v3, vcc_lo
	v_add_co_u32 v2, vcc_lo, v12, 4
	s_delay_alu instid0(VALU_DEP_4)
	v_add_co_ci_u32_e32 v3, vcc_lo, 0, v13, vcc_lo
	v_dual_mov_b32 v12, 0 :: v_dual_mov_b32 v13, 0
	v_lshl_or_b32 v14, v16, 8, v14
	v_mov_b32_e32 v16, 0
	s_lshl_b64 s[10:11], s[14:15], 6
	s_mov_b64 s[12:13], 0
.LBB1562_2:                             ; =>This Inner Loop Header: Depth=1
	global_load_b64 v[18:19], v[0:1], off offset:-4
	global_load_b64 v[20:21], v[2:3], off offset:-4
	s_add_u32 s12, s12, 8
	v_add_co_u32 v0, vcc_lo, v0, s4
	s_addc_u32 s13, s13, 0
	v_add_co_ci_u32_e32 v1, vcc_lo, s5, v1, vcc_lo
	v_cmp_ge_u64_e64 s14, s[12:13], s[8:9]
	v_add_co_u32 v2, vcc_lo, v2, s10
	v_add_co_ci_u32_e32 v3, vcc_lo, s11, v3, vcc_lo
	s_waitcnt vmcnt(1)
	ds_store_b64 v14, v[18:19]
	s_waitcnt vmcnt(0)
	ds_store_b64 v15, v[20:21]
	s_waitcnt lgkmcnt(0)
	s_barrier
	buffer_gl0_inv
	ds_load_2addr_b64 v[18:21], v10 offset1:16
	ds_load_b128 v[22:25], v11
	ds_load_b128 v[26:29], v11 offset:1024
	ds_load_b128 v[30:33], v11 offset:16
	;; [unrolled: 1-line block ×4, first 2 shown]
	ds_load_2addr_b64 v[42:45], v10 offset0:32 offset1:48
	ds_load_2addr_b64 v[46:49], v10 offset0:64 offset1:80
	ds_load_b128 v[50:53], v11 offset:1040
	ds_load_2addr_b64 v[54:57], v10 offset0:96 offset1:112
	ds_load_2addr_b64 v[58:61], v10 offset0:128 offset1:144
	;; [unrolled: 1-line block ×4, first 2 shown]
	ds_load_b128 v[70:73], v11 offset:1056
	ds_load_b128 v[74:77], v11 offset:1072
	ds_load_2addr_b64 v[78:81], v10 offset0:224 offset1:240
	s_and_b32 vcc_lo, exec_lo, s14
	s_waitcnt lgkmcnt(0)
	s_barrier
	buffer_gl0_inv
	v_dual_mul_f32 v82, v23, v19 :: v_dual_mul_f32 v85, v22, v21
	v_dual_mul_f32 v83, v22, v19 :: v_dual_mul_f32 v84, v23, v21
	v_mul_f32_e32 v86, v27, v19
	v_dual_mul_f32 v19, v26, v19 :: v_dual_mul_f32 v90, v25, v45
	v_dual_mul_f32 v87, v27, v21 :: v_dual_mul_f32 v88, v25, v43
	v_mul_f32_e32 v21, v26, v21
	v_mul_f32_e32 v89, v24, v43
	;; [unrolled: 1-line block ×3, first 2 shown]
	v_fma_f32 v82, v22, v18, -v82
	v_fmac_f32_e32 v83, v23, v18
	v_fma_f32 v22, v22, v20, -v84
	v_dual_fmac_f32 v85, v23, v20 :: v_dual_mul_f32 v84, v30, v47
	v_fma_f32 v23, v26, v18, -v86
	v_fmac_f32_e32 v19, v27, v18
	v_fma_f32 v18, v26, v20, -v87
	v_dual_mul_f32 v26, v28, v43 :: v_dual_fmac_f32 v21, v27, v20
	v_mul_f32_e32 v20, v29, v43
	v_mul_f32_e32 v27, v29, v45
	v_dual_mul_f32 v43, v28, v45 :: v_dual_fmac_f32 v84, v31, v46
	v_fma_f32 v45, v24, v42, -v88
	v_fma_f32 v24, v24, v44, -v90
	v_dual_fmac_f32 v91, v25, v44 :: v_dual_mul_f32 v90, v32, v57
	v_dual_mul_f32 v86, v31, v49 :: v_dual_fmac_f32 v89, v25, v42
	v_dual_mul_f32 v25, v31, v47 :: v_dual_mul_f32 v88, v33, v57
	v_fma_f32 v20, v28, v42, -v20
	v_fmac_f32_e32 v26, v29, v42
	v_fma_f32 v27, v28, v44, -v27
	v_dual_fmac_f32 v43, v29, v44 :: v_dual_mul_f32 v28, v51, v47
	v_dual_mul_f32 v29, v50, v47 :: v_dual_mul_f32 v42, v51, v49
	v_mul_f32_e32 v44, v50, v49
	v_mul_f32_e32 v87, v30, v49
	v_mul_f32_e32 v47, v33, v55
	v_dual_mul_f32 v49, v32, v55 :: v_dual_fmac_f32 v90, v33, v56
	v_fma_f32 v25, v30, v46, -v25
	v_fma_f32 v30, v30, v48, -v86
	;; [unrolled: 1-line block ×3, first 2 shown]
	v_fmac_f32_e32 v44, v51, v48
	v_fmac_f32_e32 v87, v31, v48
	v_fma_f32 v31, v50, v48, -v42
	v_mul_f32_e32 v42, v53, v55
	v_mul_f32_e32 v48, v53, v57
	v_dual_mul_f32 v50, v52, v57 :: v_dual_fmac_f32 v29, v51, v46
	v_mul_f32_e32 v46, v52, v55
	v_fma_f32 v47, v32, v54, -v47
	v_fmac_f32_e32 v49, v33, v54
	v_fma_f32 v32, v32, v56, -v88
	s_delay_alu instid0(VALU_DEP_4)
	v_dual_mul_f32 v33, v35, v59 :: v_dual_fmac_f32 v46, v53, v54
	v_mul_f32_e32 v51, v34, v59
	v_mul_f32_e32 v55, v35, v61
	v_fma_f32 v42, v52, v54, -v42
	v_fma_f32 v48, v52, v56, -v48
	v_fmac_f32_e32 v50, v53, v56
	v_mul_f32_e32 v52, v71, v59
	v_dual_mul_f32 v53, v70, v59 :: v_dual_mul_f32 v86, v37, v65
	v_mul_f32_e32 v54, v71, v61
	v_dual_mul_f32 v56, v70, v61 :: v_dual_mul_f32 v59, v37, v63
	v_mul_f32_e32 v57, v34, v61
	v_mul_f32_e32 v61, v36, v63
	v_dual_mul_f32 v88, v36, v65 :: v_dual_fmac_f32 v51, v35, v58
	v_fma_f32 v33, v34, v58, -v33
	v_fmac_f32_e32 v53, v71, v58
	v_fmac_f32_e32 v56, v71, v60
	s_delay_alu instid0(VALU_DEP_4)
	v_fmac_f32_e32 v88, v37, v64
	v_fmac_f32_e32 v57, v35, v60
	v_fma_f32 v35, v70, v58, -v52
	v_fma_f32 v52, v70, v60, -v54
	v_mul_f32_e32 v54, v73, v63
	v_fma_f32 v34, v34, v60, -v55
	v_mul_f32_e32 v60, v72, v65
	v_dual_mul_f32 v55, v72, v63 :: v_dual_mul_f32 v70, v38, v69
	v_mul_f32_e32 v58, v73, v65
	v_fma_f32 v59, v36, v62, -v59
	v_fmac_f32_e32 v61, v37, v62
	v_fma_f32 v36, v36, v64, -v86
	v_dual_mul_f32 v37, v39, v67 :: v_dual_fmac_f32 v60, v73, v64
	v_dual_mul_f32 v63, v38, v67 :: v_dual_mul_f32 v86, v40, v81
	v_mul_f32_e32 v65, v39, v69
	v_fma_f32 v54, v72, v62, -v54
	v_fmac_f32_e32 v55, v73, v62
	v_fma_f32 v58, v72, v64, -v58
	v_mul_f32_e32 v72, v40, v79
	v_mul_f32_e32 v62, v75, v67
	v_dual_mul_f32 v64, v74, v67 :: v_dual_mul_f32 v67, v75, v69
	v_dual_mul_f32 v69, v74, v69 :: v_dual_fmac_f32 v70, v39, v68
	s_delay_alu instid0(VALU_DEP_2)
	v_dual_mul_f32 v71, v41, v79 :: v_dual_fmac_f32 v64, v75, v66
	v_dual_mul_f32 v73, v41, v81 :: v_dual_add_f32 v16, v16, v82
	v_fma_f32 v37, v38, v66, -v37
	v_fmac_f32_e32 v63, v39, v66
	v_fma_f32 v38, v38, v68, -v65
	v_fma_f32 v39, v74, v66, -v62
	v_dual_mul_f32 v65, v77, v79 :: v_dual_add_f32 v12, v12, v85
	v_mul_f32_e32 v66, v76, v79
	v_fma_f32 v62, v74, v68, -v67
	v_dual_mul_f32 v67, v77, v81 :: v_dual_add_f32 v8, v8, v19
	v_dual_fmac_f32 v86, v41, v80 :: v_dual_add_f32 v7, v7, v18
	v_dual_add_f32 v17, v17, v83 :: v_dual_add_f32 v6, v6, v21
	v_dual_add_f32 v13, v13, v22 :: v_dual_add_f32 v16, v16, v45
	s_delay_alu instid0(VALU_DEP_4)
	v_dual_add_f32 v9, v9, v23 :: v_dual_add_f32 v8, v8, v26
	v_dual_fmac_f32 v69, v75, v68 :: v_dual_fmac_f32 v72, v41, v78
	v_mul_f32_e32 v68, v76, v81
	v_dual_fmac_f32 v66, v77, v78 :: v_dual_add_f32 v7, v7, v27
	v_dual_add_f32 v17, v17, v89 :: v_dual_add_f32 v12, v12, v91
	v_dual_add_f32 v13, v13, v24 :: v_dual_add_f32 v6, v6, v43
	;; [unrolled: 1-line block ×3, first 2 shown]
	s_delay_alu instid0(VALU_DEP_4) | instskip(NEXT) | instid1(VALU_DEP_4)
	v_dual_fmac_f32 v68, v77, v80 :: v_dual_add_f32 v7, v7, v31
	v_dual_add_f32 v17, v17, v84 :: v_dual_add_f32 v12, v12, v87
	s_delay_alu instid0(VALU_DEP_4) | instskip(NEXT) | instid1(VALU_DEP_4)
	v_dual_add_f32 v13, v13, v30 :: v_dual_add_f32 v8, v8, v29
	v_dual_add_f32 v9, v9, v28 :: v_dual_add_f32 v16, v16, v47
	s_delay_alu instid0(VALU_DEP_3) | instskip(NEXT) | instid1(VALU_DEP_3)
	v_dual_add_f32 v6, v6, v44 :: v_dual_add_f32 v17, v17, v49
	v_dual_add_f32 v13, v13, v32 :: v_dual_add_f32 v12, v12, v90
	s_delay_alu instid0(VALU_DEP_3) | instskip(SKIP_1) | instid1(VALU_DEP_4)
	v_dual_add_f32 v9, v9, v42 :: v_dual_add_f32 v16, v16, v33
	v_dual_add_f32 v8, v8, v46 :: v_dual_add_f32 v7, v7, v48
	;; [unrolled: 1-line block ×3, first 2 shown]
	s_delay_alu instid0(VALU_DEP_4) | instskip(NEXT) | instid1(VALU_DEP_3)
	v_dual_add_f32 v13, v13, v34 :: v_dual_add_f32 v12, v12, v57
	v_dual_add_f32 v9, v9, v35 :: v_dual_add_f32 v8, v8, v53
	s_delay_alu instid0(VALU_DEP_4) | instskip(NEXT) | instid1(VALU_DEP_4)
	v_dual_add_f32 v7, v7, v52 :: v_dual_add_f32 v16, v16, v59
	v_dual_add_f32 v6, v6, v56 :: v_dual_add_f32 v17, v17, v61
	s_delay_alu instid0(VALU_DEP_3) | instskip(NEXT) | instid1(VALU_DEP_4)
	v_dual_add_f32 v13, v13, v36 :: v_dual_add_f32 v8, v8, v55
	v_dual_add_f32 v12, v12, v88 :: v_dual_add_f32 v9, v9, v54
	s_delay_alu instid0(VALU_DEP_3)
	v_dual_add_f32 v7, v7, v58 :: v_dual_add_f32 v6, v6, v60
	v_fma_f32 v71, v40, v78, -v71
	v_fma_f32 v40, v40, v80, -v73
	;; [unrolled: 1-line block ×4, first 2 shown]
	v_dual_add_f32 v16, v16, v37 :: v_dual_add_f32 v17, v17, v63
	v_dual_add_f32 v13, v13, v38 :: v_dual_add_f32 v8, v8, v64
	;; [unrolled: 1-line block ×4, first 2 shown]
	s_delay_alu instid0(VALU_DEP_4) | instskip(NEXT) | instid1(VALU_DEP_3)
	v_dual_add_f32 v16, v16, v71 :: v_dual_add_f32 v17, v17, v72
	v_dual_add_f32 v13, v13, v40 :: v_dual_add_f32 v12, v12, v86
	s_delay_alu instid0(VALU_DEP_4) | instskip(NEXT) | instid1(VALU_DEP_4)
	v_dual_add_f32 v9, v9, v41 :: v_dual_add_f32 v8, v8, v66
	v_dual_add_f32 v7, v7, v65 :: v_dual_add_f32 v6, v6, v68
	s_cbranch_vccz .LBB1562_2
.LBB1562_3:
	v_add_nc_u32_e32 v5, s19, v5
	s_load_b32 s4, s[0:1], 0x0
	s_delay_alu instid0(VALU_DEP_1) | instskip(SKIP_2) | instid1(VALU_DEP_3)
	v_ashrrev_i32_e32 v0, 31, v5
	v_mul_lo_u32 v3, v5, s7
	v_mad_u64_u32 v[1:2], null, v5, s6, 0
	v_mul_lo_u32 v0, v0, s6
	s_delay_alu instid0(VALU_DEP_1) | instskip(SKIP_1) | instid1(VALU_DEP_2)
	v_add3_u32 v2, v2, v3, v0
	v_add_nc_u32_e32 v0, s18, v4
	v_lshlrev_b64 v[1:2], 3, v[1:2]
	s_delay_alu instid0(VALU_DEP_2) | instskip(SKIP_2) | instid1(VALU_DEP_3)
	v_cmp_le_i32_e64 s0, v5, v0
	s_waitcnt lgkmcnt(0)
	v_cmp_gt_i32_e32 vcc_lo, s4, v0
	v_add_co_u32 v4, s1, s2, v1
	s_delay_alu instid0(VALU_DEP_1) | instskip(SKIP_1) | instid1(SALU_CYCLE_1)
	v_add_co_ci_u32_e64 v10, s1, s3, v2, s1
	s_and_b32 s0, s0, vcc_lo
	s_and_saveexec_b32 s1, s0
	s_cbranch_execz .LBB1562_5
; %bb.4:
	v_ashrrev_i32_e32 v1, 31, v0
	v_xor_b32_e32 v14, 0x80000000, v16
	v_xor_b32_e32 v15, 0x80000000, v17
	s_delay_alu instid0(VALU_DEP_3) | instskip(NEXT) | instid1(VALU_DEP_1)
	v_lshlrev_b64 v[1:2], 3, v[0:1]
	v_add_co_u32 v1, s0, v4, v1
	s_delay_alu instid0(VALU_DEP_1)
	v_add_co_ci_u32_e64 v2, s0, v10, v2, s0
	global_store_b64 v[1:2], v[14:15], off
.LBB1562_5:
	s_or_b32 exec_lo, exec_lo, s1
	v_add_nc_u32_e32 v2, 16, v0
	s_delay_alu instid0(VALU_DEP_1) | instskip(SKIP_1) | instid1(VALU_DEP_1)
	v_cmp_le_i32_e64 s1, v5, v2
	v_cmp_gt_i32_e64 s0, s4, v2
	s_and_b32 s1, s1, s0
	s_delay_alu instid0(SALU_CYCLE_1)
	s_and_saveexec_b32 s4, s1
	s_cbranch_execz .LBB1562_7
; %bb.6:
	v_ashrrev_i32_e32 v3, 31, v2
	v_xor_b32_e32 v11, 0x80000000, v13
	v_xor_b32_e32 v12, 0x80000000, v12
	s_delay_alu instid0(VALU_DEP_3) | instskip(NEXT) | instid1(VALU_DEP_1)
	v_lshlrev_b64 v[14:15], 3, v[2:3]
	v_add_co_u32 v3, s1, v4, v14
	s_delay_alu instid0(VALU_DEP_1)
	v_add_co_ci_u32_e64 v4, s1, v10, v15, s1
	global_store_b64 v[3:4], v[11:12], off
.LBB1562_7:
	s_or_b32 exec_lo, exec_lo, s4
	v_add_nc_u32_e32 v3, 16, v5
	s_delay_alu instid0(VALU_DEP_1) | instskip(SKIP_3) | instid1(VALU_DEP_4)
	v_ashrrev_i32_e32 v1, 31, v3
	v_mul_lo_u32 v10, v3, s7
	v_mad_u64_u32 v[4:5], null, v3, s6, 0
	v_cmp_le_i32_e64 s1, v3, v0
	v_mul_lo_u32 v1, v1, s6
	s_delay_alu instid0(VALU_DEP_1) | instskip(NEXT) | instid1(VALU_DEP_1)
	v_add3_u32 v5, v5, v10, v1
	v_lshlrev_b64 v[4:5], 3, v[4:5]
	s_delay_alu instid0(VALU_DEP_1) | instskip(NEXT) | instid1(VALU_DEP_1)
	v_add_co_u32 v4, s2, s2, v4
	v_add_co_ci_u32_e64 v5, s2, s3, v5, s2
	s_and_b32 s2, s1, vcc_lo
	s_delay_alu instid0(SALU_CYCLE_1)
	s_and_saveexec_b32 s1, s2
	s_cbranch_execz .LBB1562_9
; %bb.8:
	v_ashrrev_i32_e32 v1, 31, v0
	v_xor_b32_e32 v9, 0x80000000, v9
	v_xor_b32_e32 v10, 0x80000000, v8
	s_delay_alu instid0(VALU_DEP_3) | instskip(NEXT) | instid1(VALU_DEP_1)
	v_lshlrev_b64 v[0:1], 3, v[0:1]
	v_add_co_u32 v0, vcc_lo, v4, v0
	s_delay_alu instid0(VALU_DEP_2)
	v_add_co_ci_u32_e32 v1, vcc_lo, v5, v1, vcc_lo
	global_store_b64 v[0:1], v[9:10], off
.LBB1562_9:
	s_or_b32 exec_lo, exec_lo, s1
	v_cmp_le_i32_e32 vcc_lo, v3, v2
	s_and_b32 s0, vcc_lo, s0
	s_delay_alu instid0(SALU_CYCLE_1)
	s_and_saveexec_b32 s1, s0
	s_cbranch_execz .LBB1562_11
; %bb.10:
	v_ashrrev_i32_e32 v3, 31, v2
	s_delay_alu instid0(VALU_DEP_1) | instskip(SKIP_2) | instid1(VALU_DEP_3)
	v_lshlrev_b64 v[0:1], 3, v[2:3]
	v_xor_b32_e32 v2, 0x80000000, v7
	v_xor_b32_e32 v3, 0x80000000, v6
	v_add_co_u32 v0, vcc_lo, v4, v0
	s_delay_alu instid0(VALU_DEP_4)
	v_add_co_ci_u32_e32 v1, vcc_lo, v5, v1, vcc_lo
	global_store_b64 v[0:1], v[2:3], off
.LBB1562_11:
	s_nop 0
	s_sendmsg sendmsg(MSG_DEALLOC_VGPRS)
	s_endpgm
	.section	.rodata,"a",@progbits
	.p2align	6, 0x0
	.amdhsa_kernel _ZL37rocblas_syrkx_herkx_restricted_kernelIl19rocblas_complex_numIfELi16ELi32ELi8ELin1ELi0ELb0ELc78ELc76EKPKS1_KPS1_EviT_PT9_S7_lS9_S7_lPT10_S7_li
		.amdhsa_group_segment_fixed_size 4096
		.amdhsa_private_segment_fixed_size 0
		.amdhsa_kernarg_size 92
		.amdhsa_user_sgpr_count 13
		.amdhsa_user_sgpr_dispatch_ptr 0
		.amdhsa_user_sgpr_queue_ptr 0
		.amdhsa_user_sgpr_kernarg_segment_ptr 1
		.amdhsa_user_sgpr_dispatch_id 0
		.amdhsa_user_sgpr_private_segment_size 0
		.amdhsa_wavefront_size32 1
		.amdhsa_uses_dynamic_stack 0
		.amdhsa_enable_private_segment 0
		.amdhsa_system_sgpr_workgroup_id_x 1
		.amdhsa_system_sgpr_workgroup_id_y 1
		.amdhsa_system_sgpr_workgroup_id_z 1
		.amdhsa_system_sgpr_workgroup_info 0
		.amdhsa_system_vgpr_workitem_id 1
		.amdhsa_next_free_vgpr 92
		.amdhsa_next_free_sgpr 20
		.amdhsa_reserve_vcc 1
		.amdhsa_float_round_mode_32 0
		.amdhsa_float_round_mode_16_64 0
		.amdhsa_float_denorm_mode_32 3
		.amdhsa_float_denorm_mode_16_64 3
		.amdhsa_dx10_clamp 1
		.amdhsa_ieee_mode 1
		.amdhsa_fp16_overflow 0
		.amdhsa_workgroup_processor_mode 1
		.amdhsa_memory_ordered 1
		.amdhsa_forward_progress 0
		.amdhsa_shared_vgpr_count 0
		.amdhsa_exception_fp_ieee_invalid_op 0
		.amdhsa_exception_fp_denorm_src 0
		.amdhsa_exception_fp_ieee_div_zero 0
		.amdhsa_exception_fp_ieee_overflow 0
		.amdhsa_exception_fp_ieee_underflow 0
		.amdhsa_exception_fp_ieee_inexact 0
		.amdhsa_exception_int_div_zero 0
	.end_amdhsa_kernel
	.section	.text._ZL37rocblas_syrkx_herkx_restricted_kernelIl19rocblas_complex_numIfELi16ELi32ELi8ELin1ELi0ELb0ELc78ELc76EKPKS1_KPS1_EviT_PT9_S7_lS9_S7_lPT10_S7_li,"axG",@progbits,_ZL37rocblas_syrkx_herkx_restricted_kernelIl19rocblas_complex_numIfELi16ELi32ELi8ELin1ELi0ELb0ELc78ELc76EKPKS1_KPS1_EviT_PT9_S7_lS9_S7_lPT10_S7_li,comdat
.Lfunc_end1562:
	.size	_ZL37rocblas_syrkx_herkx_restricted_kernelIl19rocblas_complex_numIfELi16ELi32ELi8ELin1ELi0ELb0ELc78ELc76EKPKS1_KPS1_EviT_PT9_S7_lS9_S7_lPT10_S7_li, .Lfunc_end1562-_ZL37rocblas_syrkx_herkx_restricted_kernelIl19rocblas_complex_numIfELi16ELi32ELi8ELin1ELi0ELb0ELc78ELc76EKPKS1_KPS1_EviT_PT9_S7_lS9_S7_lPT10_S7_li
                                        ; -- End function
	.section	.AMDGPU.csdata,"",@progbits
; Kernel info:
; codeLenInByte = 2204
; NumSgprs: 22
; NumVgprs: 92
; ScratchSize: 0
; MemoryBound: 0
; FloatMode: 240
; IeeeMode: 1
; LDSByteSize: 4096 bytes/workgroup (compile time only)
; SGPRBlocks: 2
; VGPRBlocks: 11
; NumSGPRsForWavesPerEU: 22
; NumVGPRsForWavesPerEU: 92
; Occupancy: 16
; WaveLimiterHint : 1
; COMPUTE_PGM_RSRC2:SCRATCH_EN: 0
; COMPUTE_PGM_RSRC2:USER_SGPR: 13
; COMPUTE_PGM_RSRC2:TRAP_HANDLER: 0
; COMPUTE_PGM_RSRC2:TGID_X_EN: 1
; COMPUTE_PGM_RSRC2:TGID_Y_EN: 1
; COMPUTE_PGM_RSRC2:TGID_Z_EN: 1
; COMPUTE_PGM_RSRC2:TIDIG_COMP_CNT: 1
	.section	.text._ZL37rocblas_syrkx_herkx_restricted_kernelIl19rocblas_complex_numIfELi16ELi32ELi8ELin1ELi0ELb0ELc84ELc85EKPKS1_KPS1_EviT_PT9_S7_lS9_S7_lPT10_S7_li,"axG",@progbits,_ZL37rocblas_syrkx_herkx_restricted_kernelIl19rocblas_complex_numIfELi16ELi32ELi8ELin1ELi0ELb0ELc84ELc85EKPKS1_KPS1_EviT_PT9_S7_lS9_S7_lPT10_S7_li,comdat
	.globl	_ZL37rocblas_syrkx_herkx_restricted_kernelIl19rocblas_complex_numIfELi16ELi32ELi8ELin1ELi0ELb0ELc84ELc85EKPKS1_KPS1_EviT_PT9_S7_lS9_S7_lPT10_S7_li ; -- Begin function _ZL37rocblas_syrkx_herkx_restricted_kernelIl19rocblas_complex_numIfELi16ELi32ELi8ELin1ELi0ELb0ELc84ELc85EKPKS1_KPS1_EviT_PT9_S7_lS9_S7_lPT10_S7_li
	.p2align	8
	.type	_ZL37rocblas_syrkx_herkx_restricted_kernelIl19rocblas_complex_numIfELi16ELi32ELi8ELin1ELi0ELb0ELc84ELc85EKPKS1_KPS1_EviT_PT9_S7_lS9_S7_lPT10_S7_li,@function
_ZL37rocblas_syrkx_herkx_restricted_kernelIl19rocblas_complex_numIfELi16ELi32ELi8ELin1ELi0ELb0ELc84ELc85EKPKS1_KPS1_EviT_PT9_S7_lS9_S7_lPT10_S7_li: ; @_ZL37rocblas_syrkx_herkx_restricted_kernelIl19rocblas_complex_numIfELi16ELi32ELi8ELin1ELi0ELb0ELc84ELc85EKPKS1_KPS1_EviT_PT9_S7_lS9_S7_lPT10_S7_li
; %bb.0:
	s_clause 0x1
	s_load_b128 s[4:7], s[0:1], 0x40
	s_load_b128 s[8:11], s[0:1], 0x8
	s_mov_b32 s2, s15
	s_mov_b32 s3, 0
	v_dual_mov_b32 v17, 0 :: v_dual_and_b32 v6, 0x3ff, v0
	s_lshl_b64 s[16:17], s[2:3], 3
	v_bfe_u32 v7, v0, 10, 10
	v_dual_mov_b32 v16, 0 :: v_dual_mov_b32 v11, 0
	v_dual_mov_b32 v12, 0 :: v_dual_mov_b32 v9, 0
	;; [unrolled: 1-line block ×3, first 2 shown]
	v_mov_b32_e32 v0, 0
	s_waitcnt lgkmcnt(0)
	s_add_u32 s2, s4, s16
	s_addc_u32 s3, s5, s17
	v_cmp_lt_i64_e64 s4, s[8:9], 1
	s_load_b64 s[2:3], s[2:3], 0x0
	s_lshl_b32 s18, s13, 5
	s_lshl_b32 s19, s14, 5
	s_delay_alu instid0(VALU_DEP_1)
	s_and_b32 vcc_lo, exec_lo, s4
	s_cbranch_vccnz .LBB1563_3
; %bb.1:
	s_clause 0x1
	s_load_b128 s[12:15], s[0:1], 0x28
	s_load_b64 s[4:5], s[0:1], 0x18
	v_lshl_add_u32 v2, v7, 4, v6
	s_add_u32 s10, s10, s16
	s_addc_u32 s11, s11, s17
	v_dual_mov_b32 v1, 0 :: v_dual_and_b32 v0, 7, v6
	s_delay_alu instid0(VALU_DEP_2) | instskip(SKIP_2) | instid1(VALU_DEP_4)
	v_lshrrev_b32_e32 v11, 3, v2
	v_and_b32_e32 v12, 31, v2
	v_lshrrev_b32_e32 v2, 5, v2
	v_mov_b32_e32 v3, v1
	s_load_b64 s[10:11], s[10:11], 0x0
	v_add_nc_u32_e32 v10, s19, v11
	v_add_nc_u32_e32 v8, s18, v12
	v_lshlrev_b32_e32 v12, 3, v12
	v_mov_b32_e32 v16, v1
	v_mov_b32_e32 v17, v1
	v_ashrrev_i32_e32 v4, 31, v10
	v_ashrrev_i32_e32 v5, 31, v8
	s_waitcnt lgkmcnt(0)
	s_add_u32 s12, s12, s16
	s_addc_u32 s13, s13, s17
	v_mul_lo_u32 v13, v4, s14
	v_mul_lo_u32 v14, s4, v5
	v_mad_u64_u32 v[4:5], null, s4, v8, v[2:3]
	v_mul_lo_u32 v3, s5, v8
	s_load_b64 s[4:5], s[12:13], 0x0
	v_mul_lo_u32 v15, v10, s15
	v_mad_u64_u32 v[8:9], null, v10, s14, v[0:1]
	v_lshlrev_b32_e32 v0, 3, v0
	v_lshlrev_b32_e32 v10, 3, v6
	v_add3_u32 v5, v3, v5, v14
	v_lshl_or_b32 v14, v2, 8, v12
	s_delay_alu instid0(VALU_DEP_4)
	v_lshl_or_b32 v0, v11, 6, v0
	v_add3_u32 v9, v13, v9, v15
	v_lshl_add_u32 v13, v7, 6, 0x800
	v_lshlrev_b64 v[3:4], 3, v[4:5]
	v_mov_b32_e32 v11, v1
	v_add_nc_u32_e32 v15, 0x800, v0
	v_lshlrev_b64 v[8:9], 3, v[8:9]
	v_mov_b32_e32 v12, v1
	v_add_co_u32 v0, vcc_lo, v3, s10
	v_add_co_ci_u32_e32 v3, vcc_lo, s11, v4, vcc_lo
	s_waitcnt lgkmcnt(0)
	s_delay_alu instid0(VALU_DEP_4)
	v_add_co_u32 v4, vcc_lo, v8, s4
	v_add_co_ci_u32_e32 v5, vcc_lo, s5, v9, vcc_lo
	v_add_co_u32 v2, vcc_lo, v0, 4
	v_mov_b32_e32 v0, v1
	v_add_co_ci_u32_e32 v3, vcc_lo, 0, v3, vcc_lo
	v_add_co_u32 v4, vcc_lo, v4, 4
	v_add_co_ci_u32_e32 v5, vcc_lo, 0, v5, vcc_lo
	v_mov_b32_e32 v8, v1
	v_mov_b32_e32 v9, v1
	s_mov_b64 s[4:5], 0
.LBB1563_2:                             ; =>This Inner Loop Header: Depth=1
	global_load_b64 v[18:19], v[2:3], off offset:-4
	global_load_b64 v[20:21], v[4:5], off offset:-4
	s_add_u32 s4, s4, 8
	v_add_co_u32 v2, vcc_lo, v2, 64
	s_addc_u32 s5, s5, 0
	v_add_co_ci_u32_e32 v3, vcc_lo, 0, v3, vcc_lo
	v_cmp_ge_u64_e64 s10, s[4:5], s[8:9]
	v_add_co_u32 v4, vcc_lo, v4, 64
	v_add_co_ci_u32_e32 v5, vcc_lo, 0, v5, vcc_lo
	s_waitcnt vmcnt(1)
	ds_store_b64 v14, v[18:19]
	s_waitcnt vmcnt(0)
	ds_store_b64 v15, v[20:21]
	s_waitcnt lgkmcnt(0)
	s_barrier
	buffer_gl0_inv
	ds_load_2addr_b64 v[18:21], v10 offset1:16
	ds_load_b128 v[22:25], v13
	ds_load_b128 v[26:29], v13 offset:1024
	ds_load_b128 v[30:33], v13 offset:16
	ds_load_b128 v[34:37], v13 offset:32
	ds_load_b128 v[38:41], v13 offset:48
	ds_load_2addr_b64 v[42:45], v10 offset0:32 offset1:48
	ds_load_2addr_b64 v[46:49], v10 offset0:64 offset1:80
	ds_load_b128 v[50:53], v13 offset:1040
	ds_load_2addr_b64 v[54:57], v10 offset0:96 offset1:112
	ds_load_2addr_b64 v[58:61], v10 offset0:128 offset1:144
	;; [unrolled: 1-line block ×4, first 2 shown]
	ds_load_b128 v[70:73], v13 offset:1056
	ds_load_b128 v[74:77], v13 offset:1072
	ds_load_2addr_b64 v[78:81], v10 offset0:224 offset1:240
	s_and_b32 vcc_lo, exec_lo, s10
	s_waitcnt lgkmcnt(0)
	s_barrier
	buffer_gl0_inv
	v_dual_mul_f32 v82, v23, v19 :: v_dual_mul_f32 v85, v22, v21
	v_dual_mul_f32 v83, v22, v19 :: v_dual_mul_f32 v84, v23, v21
	v_mul_f32_e32 v86, v27, v19
	v_dual_mul_f32 v19, v26, v19 :: v_dual_mul_f32 v90, v25, v45
	v_dual_mul_f32 v87, v27, v21 :: v_dual_mul_f32 v88, v25, v43
	v_mul_f32_e32 v21, v26, v21
	v_fma_f32 v82, v22, v18, -v82
	v_fmac_f32_e32 v83, v23, v18
	v_fma_f32 v22, v22, v20, -v84
	v_fmac_f32_e32 v85, v23, v20
	v_fma_f32 v23, v26, v18, -v86
	v_dual_fmac_f32 v19, v27, v18 :: v_dual_mul_f32 v86, v30, v47
	v_fma_f32 v18, v26, v20, -v87
	v_dual_fmac_f32 v21, v27, v20 :: v_dual_mul_f32 v20, v24, v45
	v_mul_f32_e32 v89, v24, v43
	v_mul_f32_e32 v26, v29, v43
	;; [unrolled: 1-line block ×4, first 2 shown]
	v_fmac_f32_e32 v20, v25, v44
	v_fmac_f32_e32 v89, v25, v42
	v_dual_mul_f32 v25, v28, v45 :: v_dual_fmac_f32 v86, v31, v46
	v_fma_f32 v84, v24, v42, -v88
	v_fma_f32 v24, v24, v44, -v90
	v_dual_mul_f32 v45, v31, v47 :: v_dual_mul_f32 v90, v33, v57
	v_fma_f32 v26, v28, v42, -v26
	v_fma_f32 v28, v28, v44, -v43
	v_fmac_f32_e32 v25, v29, v44
	v_dual_mul_f32 v43, v50, v47 :: v_dual_mul_f32 v44, v51, v49
	v_dual_fmac_f32 v27, v29, v42 :: v_dual_mul_f32 v42, v51, v47
	v_dual_mul_f32 v88, v32, v55 :: v_dual_mul_f32 v29, v30, v49
	v_mul_f32_e32 v87, v31, v49
	v_fma_f32 v45, v30, v46, -v45
	v_add_f32_e32 v16, v16, v82
	s_delay_alu instid0(VALU_DEP_4)
	v_dual_fmac_f32 v88, v33, v54 :: v_dual_fmac_f32 v29, v31, v48
	v_fma_f32 v31, v50, v46, -v42
	v_fma_f32 v42, v50, v48, -v44
	v_mul_f32_e32 v44, v32, v57
	v_mul_f32_e32 v47, v50, v49
	v_dual_mul_f32 v50, v53, v57 :: v_dual_fmac_f32 v43, v51, v46
	v_mul_f32_e32 v46, v53, v55
	v_mul_f32_e32 v49, v33, v55
	v_fma_f32 v30, v30, v48, -v87
	v_fmac_f32_e32 v44, v33, v56
	v_dual_fmac_f32 v47, v51, v48 :: v_dual_mul_f32 v48, v52, v55
	v_mul_f32_e32 v33, v52, v57
	v_fma_f32 v46, v52, v54, -v46
	v_fma_f32 v50, v52, v56, -v50
	v_mul_f32_e32 v52, v34, v61
	v_fma_f32 v49, v32, v54, -v49
	v_fma_f32 v32, v32, v56, -v90
	v_dual_mul_f32 v51, v35, v59 :: v_dual_fmac_f32 v48, v53, v54
	v_mul_f32_e32 v54, v70, v59
	v_dual_mul_f32 v55, v34, v59 :: v_dual_fmac_f32 v52, v35, v60
	v_fmac_f32_e32 v33, v53, v56
	v_mul_f32_e32 v53, v71, v59
	v_mul_f32_e32 v56, v71, v61
	;; [unrolled: 1-line block ×3, first 2 shown]
	v_fmac_f32_e32 v54, v71, v58
	v_fmac_f32_e32 v55, v35, v58
	v_fma_f32 v35, v70, v58, -v53
	v_fma_f32 v53, v70, v60, -v56
	v_mul_f32_e32 v56, v36, v65
	v_mul_f32_e32 v59, v70, v61
	v_fma_f32 v51, v34, v58, -v51
	v_mul_f32_e32 v58, v72, v63
	v_mul_f32_e32 v87, v36, v63
	;; [unrolled: 1-line block ×4, first 2 shown]
	v_fma_f32 v34, v34, v60, -v57
	v_mul_f32_e32 v57, v73, v63
	v_fmac_f32_e32 v56, v37, v64
	v_dual_fmac_f32 v59, v71, v60 :: v_dual_mul_f32 v60, v73, v65
	v_mul_f32_e32 v63, v39, v67
	v_mul_f32_e32 v70, v39, v69
	v_fmac_f32_e32 v58, v73, v62
	v_fmac_f32_e32 v87, v37, v62
	v_mul_f32_e32 v37, v72, v65
	v_fma_f32 v61, v36, v62, -v61
	v_fma_f32 v36, v36, v64, -v90
	v_mul_f32_e32 v65, v38, v67
	v_fma_f32 v57, v72, v62, -v57
	v_fma_f32 v60, v72, v64, -v60
	v_dual_fmac_f32 v37, v73, v64 :: v_dual_mul_f32 v62, v38, v69
	v_mul_f32_e32 v64, v75, v67
	v_fma_f32 v63, v38, v66, -v63
	v_fma_f32 v38, v38, v68, -v70
	v_mul_f32_e32 v70, v76, v79
	v_mul_f32_e32 v67, v74, v67
	;; [unrolled: 1-line block ×3, first 2 shown]
	v_dual_mul_f32 v69, v74, v69 :: v_dual_add_f32 v12, v12, v22
	v_mul_f32_e32 v73, v40, v79
	v_dual_fmac_f32 v65, v39, v66 :: v_dual_add_f32 v8, v8, v19
	v_fmac_f32_e32 v62, v39, v68
	v_fma_f32 v39, v74, v66, -v64
	v_fmac_f32_e32 v70, v77, v78
	v_dual_fmac_f32 v67, v75, v66 :: v_dual_add_f32 v16, v16, v84
	v_mul_f32_e32 v66, v40, v81
	v_mul_f32_e32 v72, v41, v79
	v_dual_mul_f32 v90, v41, v81 :: v_dual_fmac_f32 v69, v75, v68
	v_add_f32_e32 v0, v0, v18
	v_dual_fmac_f32 v73, v41, v78 :: v_dual_add_f32 v8, v8, v27
	v_dual_fmac_f32 v66, v41, v80 :: v_dual_mul_f32 v41, v76, v81
	v_fma_f32 v64, v74, v68, -v71
	v_dual_mul_f32 v71, v77, v81 :: v_dual_add_f32 v12, v12, v24
	v_dual_add_f32 v17, v17, v83 :: v_dual_add_f32 v0, v0, v28
	s_delay_alu instid0(VALU_DEP_4) | instskip(NEXT) | instid1(VALU_DEP_3)
	v_dual_fmac_f32 v41, v77, v80 :: v_dual_add_f32 v16, v16, v45
	v_dual_add_f32 v11, v11, v85 :: v_dual_add_f32 v12, v12, v30
	s_delay_alu instid0(VALU_DEP_3) | instskip(SKIP_1) | instid1(VALU_DEP_3)
	v_dual_add_f32 v9, v9, v23 :: v_dual_add_f32 v0, v0, v42
	v_dual_add_f32 v1, v1, v21 :: v_dual_add_f32 v8, v8, v43
	;; [unrolled: 1-line block ×3, first 2 shown]
	s_delay_alu instid0(VALU_DEP_4) | instskip(NEXT) | instid1(VALU_DEP_3)
	v_dual_add_f32 v11, v11, v20 :: v_dual_add_f32 v16, v16, v49
	v_dual_add_f32 v9, v9, v26 :: v_dual_add_f32 v8, v8, v48
	s_delay_alu instid0(VALU_DEP_4) | instskip(NEXT) | instid1(VALU_DEP_3)
	v_dual_add_f32 v1, v1, v25 :: v_dual_add_f32 v0, v0, v50
	v_dual_add_f32 v17, v17, v86 :: v_dual_add_f32 v16, v16, v51
	s_delay_alu instid0(VALU_DEP_4) | instskip(NEXT) | instid1(VALU_DEP_4)
	v_dual_add_f32 v11, v11, v29 :: v_dual_add_f32 v12, v12, v34
	v_dual_add_f32 v9, v9, v31 :: v_dual_add_f32 v8, v8, v54
	s_delay_alu instid0(VALU_DEP_4) | instskip(NEXT) | instid1(VALU_DEP_4)
	v_dual_add_f32 v1, v1, v47 :: v_dual_add_f32 v0, v0, v53
	v_dual_add_f32 v17, v17, v88 :: v_dual_add_f32 v16, v16, v61
	s_delay_alu instid0(VALU_DEP_3) | instskip(NEXT) | instid1(VALU_DEP_4)
	v_dual_add_f32 v11, v11, v44 :: v_dual_add_f32 v8, v8, v58
	v_dual_add_f32 v9, v9, v46 :: v_dual_add_f32 v12, v12, v36
	s_delay_alu instid0(VALU_DEP_4) | instskip(SKIP_1) | instid1(VALU_DEP_3)
	v_dual_add_f32 v1, v1, v33 :: v_dual_add_f32 v0, v0, v60
	v_fma_f32 v72, v40, v78, -v72
	v_dual_add_f32 v17, v17, v55 :: v_dual_add_f32 v12, v12, v38
	v_dual_add_f32 v11, v11, v52 :: v_dual_add_f32 v16, v16, v63
	s_delay_alu instid0(VALU_DEP_4) | instskip(SKIP_2) | instid1(VALU_DEP_4)
	v_dual_add_f32 v9, v9, v35 :: v_dual_add_f32 v0, v0, v64
	v_add_f32_e32 v1, v1, v59
	v_mul_f32_e32 v68, v77, v79
	v_add_f32_e32 v16, v16, v72
	v_fma_f32 v40, v40, v80, -v90
	v_fma_f32 v71, v76, v80, -v71
	v_add_f32_e32 v17, v17, v87
	v_dual_add_f32 v11, v11, v56 :: v_dual_add_f32 v8, v8, v67
	v_add_f32_e32 v9, v9, v57
	s_delay_alu instid0(VALU_DEP_4) | instskip(SKIP_1) | instid1(VALU_DEP_4)
	v_dual_add_f32 v1, v1, v37 :: v_dual_add_f32 v0, v0, v71
	v_fma_f32 v68, v76, v78, -v68
	v_dual_add_f32 v11, v11, v62 :: v_dual_add_f32 v12, v12, v40
	v_add_f32_e32 v17, v17, v65
	s_delay_alu instid0(VALU_DEP_4) | instskip(SKIP_1) | instid1(VALU_DEP_4)
	v_dual_add_f32 v1, v1, v69 :: v_dual_add_f32 v8, v8, v70
	v_add_f32_e32 v9, v9, v39
	v_add_f32_e32 v11, v11, v66
	s_delay_alu instid0(VALU_DEP_4) | instskip(NEXT) | instid1(VALU_DEP_4)
	v_add_f32_e32 v17, v17, v73
	v_add_f32_e32 v1, v1, v41
	s_delay_alu instid0(VALU_DEP_4)
	v_add_f32_e32 v9, v9, v68
	s_cbranch_vccz .LBB1563_2
.LBB1563_3:
	v_add_nc_u32_e32 v7, s19, v7
	s_load_b32 s4, s[0:1], 0x0
	s_delay_alu instid0(VALU_DEP_1) | instskip(SKIP_2) | instid1(VALU_DEP_3)
	v_ashrrev_i32_e32 v2, 31, v7
	v_mul_lo_u32 v5, v7, s7
	v_mad_u64_u32 v[3:4], null, v7, s6, 0
	v_mul_lo_u32 v2, v2, s6
	s_delay_alu instid0(VALU_DEP_1) | instskip(SKIP_3) | instid1(VALU_DEP_3)
	v_add3_u32 v4, v4, v5, v2
	v_add_nc_u32_e32 v2, s18, v6
	s_waitcnt lgkmcnt(0)
	v_cmp_gt_i32_e32 vcc_lo, s4, v7
	v_lshlrev_b64 v[3:4], 3, v[3:4]
	s_delay_alu instid0(VALU_DEP_3) | instskip(NEXT) | instid1(VALU_DEP_1)
	v_cmp_le_i32_e64 s0, v2, v7
	s_and_b32 s0, vcc_lo, s0
	s_delay_alu instid0(VALU_DEP_2) | instskip(NEXT) | instid1(VALU_DEP_1)
	v_add_co_u32 v6, s1, s2, v3
	v_add_co_ci_u32_e64 v10, s1, s3, v4, s1
	s_and_saveexec_b32 s1, s0
	s_cbranch_execz .LBB1563_5
; %bb.4:
	v_ashrrev_i32_e32 v3, 31, v2
	v_xor_b32_e32 v13, 0x80000000, v16
	v_xor_b32_e32 v14, 0x80000000, v17
	s_delay_alu instid0(VALU_DEP_3) | instskip(NEXT) | instid1(VALU_DEP_1)
	v_lshlrev_b64 v[3:4], 3, v[2:3]
	v_add_co_u32 v3, s0, v6, v3
	s_delay_alu instid0(VALU_DEP_1)
	v_add_co_ci_u32_e64 v4, s0, v10, v4, s0
	global_store_b64 v[3:4], v[13:14], off
.LBB1563_5:
	s_or_b32 exec_lo, exec_lo, s1
	v_add_nc_u32_e32 v4, 16, v2
	s_delay_alu instid0(VALU_DEP_1) | instskip(NEXT) | instid1(VALU_DEP_1)
	v_cmp_le_i32_e64 s0, v4, v7
	s_and_b32 s1, vcc_lo, s0
	s_delay_alu instid0(SALU_CYCLE_1)
	s_and_saveexec_b32 s0, s1
	s_cbranch_execz .LBB1563_7
; %bb.6:
	v_ashrrev_i32_e32 v5, 31, v4
	v_xor_b32_e32 v15, 0x80000000, v12
	v_xor_b32_e32 v16, 0x80000000, v11
	s_delay_alu instid0(VALU_DEP_3) | instskip(NEXT) | instid1(VALU_DEP_1)
	v_lshlrev_b64 v[13:14], 3, v[4:5]
	v_add_co_u32 v5, vcc_lo, v6, v13
	s_delay_alu instid0(VALU_DEP_2)
	v_add_co_ci_u32_e32 v6, vcc_lo, v10, v14, vcc_lo
	global_store_b64 v[5:6], v[15:16], off
.LBB1563_7:
	s_or_b32 exec_lo, exec_lo, s0
	v_add_nc_u32_e32 v5, 16, v7
	s_delay_alu instid0(VALU_DEP_1) | instskip(SKIP_3) | instid1(VALU_DEP_4)
	v_ashrrev_i32_e32 v3, 31, v5
	v_mul_lo_u32 v10, v5, s7
	v_mad_u64_u32 v[6:7], null, v5, s6, 0
	v_cmp_gt_i32_e32 vcc_lo, s4, v5
	v_mul_lo_u32 v3, v3, s6
	v_cmp_le_i32_e64 s0, v2, v5
	s_delay_alu instid0(VALU_DEP_1) | instskip(NEXT) | instid1(VALU_DEP_2)
	s_and_b32 s0, vcc_lo, s0
	v_add3_u32 v7, v7, v10, v3
	s_delay_alu instid0(VALU_DEP_1) | instskip(NEXT) | instid1(VALU_DEP_1)
	v_lshlrev_b64 v[6:7], 3, v[6:7]
	v_add_co_u32 v6, s1, s2, v6
	s_delay_alu instid0(VALU_DEP_1)
	v_add_co_ci_u32_e64 v7, s1, s3, v7, s1
	s_and_saveexec_b32 s1, s0
	s_cbranch_execz .LBB1563_9
; %bb.8:
	v_ashrrev_i32_e32 v3, 31, v2
	v_xor_b32_e32 v9, 0x80000000, v9
	v_xor_b32_e32 v10, 0x80000000, v8
	s_delay_alu instid0(VALU_DEP_3) | instskip(NEXT) | instid1(VALU_DEP_1)
	v_lshlrev_b64 v[2:3], 3, v[2:3]
	v_add_co_u32 v2, s0, v6, v2
	s_delay_alu instid0(VALU_DEP_1)
	v_add_co_ci_u32_e64 v3, s0, v7, v3, s0
	global_store_b64 v[2:3], v[9:10], off
.LBB1563_9:
	s_or_b32 exec_lo, exec_lo, s1
	v_cmp_le_i32_e64 s0, v4, v5
	s_delay_alu instid0(VALU_DEP_1) | instskip(NEXT) | instid1(SALU_CYCLE_1)
	s_and_b32 s0, vcc_lo, s0
	s_and_saveexec_b32 s1, s0
	s_cbranch_execz .LBB1563_11
; %bb.10:
	v_ashrrev_i32_e32 v5, 31, v4
	v_xor_b32_e32 v0, 0x80000000, v0
	v_xor_b32_e32 v1, 0x80000000, v1
	s_delay_alu instid0(VALU_DEP_3) | instskip(NEXT) | instid1(VALU_DEP_1)
	v_lshlrev_b64 v[2:3], 3, v[4:5]
	v_add_co_u32 v2, vcc_lo, v6, v2
	s_delay_alu instid0(VALU_DEP_2)
	v_add_co_ci_u32_e32 v3, vcc_lo, v7, v3, vcc_lo
	global_store_b64 v[2:3], v[0:1], off
.LBB1563_11:
	s_nop 0
	s_sendmsg sendmsg(MSG_DEALLOC_VGPRS)
	s_endpgm
	.section	.rodata,"a",@progbits
	.p2align	6, 0x0
	.amdhsa_kernel _ZL37rocblas_syrkx_herkx_restricted_kernelIl19rocblas_complex_numIfELi16ELi32ELi8ELin1ELi0ELb0ELc84ELc85EKPKS1_KPS1_EviT_PT9_S7_lS9_S7_lPT10_S7_li
		.amdhsa_group_segment_fixed_size 4096
		.amdhsa_private_segment_fixed_size 0
		.amdhsa_kernarg_size 92
		.amdhsa_user_sgpr_count 13
		.amdhsa_user_sgpr_dispatch_ptr 0
		.amdhsa_user_sgpr_queue_ptr 0
		.amdhsa_user_sgpr_kernarg_segment_ptr 1
		.amdhsa_user_sgpr_dispatch_id 0
		.amdhsa_user_sgpr_private_segment_size 0
		.amdhsa_wavefront_size32 1
		.amdhsa_uses_dynamic_stack 0
		.amdhsa_enable_private_segment 0
		.amdhsa_system_sgpr_workgroup_id_x 1
		.amdhsa_system_sgpr_workgroup_id_y 1
		.amdhsa_system_sgpr_workgroup_id_z 1
		.amdhsa_system_sgpr_workgroup_info 0
		.amdhsa_system_vgpr_workitem_id 1
		.amdhsa_next_free_vgpr 91
		.amdhsa_next_free_sgpr 20
		.amdhsa_reserve_vcc 1
		.amdhsa_float_round_mode_32 0
		.amdhsa_float_round_mode_16_64 0
		.amdhsa_float_denorm_mode_32 3
		.amdhsa_float_denorm_mode_16_64 3
		.amdhsa_dx10_clamp 1
		.amdhsa_ieee_mode 1
		.amdhsa_fp16_overflow 0
		.amdhsa_workgroup_processor_mode 1
		.amdhsa_memory_ordered 1
		.amdhsa_forward_progress 0
		.amdhsa_shared_vgpr_count 0
		.amdhsa_exception_fp_ieee_invalid_op 0
		.amdhsa_exception_fp_denorm_src 0
		.amdhsa_exception_fp_ieee_div_zero 0
		.amdhsa_exception_fp_ieee_overflow 0
		.amdhsa_exception_fp_ieee_underflow 0
		.amdhsa_exception_fp_ieee_inexact 0
		.amdhsa_exception_int_div_zero 0
	.end_amdhsa_kernel
	.section	.text._ZL37rocblas_syrkx_herkx_restricted_kernelIl19rocblas_complex_numIfELi16ELi32ELi8ELin1ELi0ELb0ELc84ELc85EKPKS1_KPS1_EviT_PT9_S7_lS9_S7_lPT10_S7_li,"axG",@progbits,_ZL37rocblas_syrkx_herkx_restricted_kernelIl19rocblas_complex_numIfELi16ELi32ELi8ELin1ELi0ELb0ELc84ELc85EKPKS1_KPS1_EviT_PT9_S7_lS9_S7_lPT10_S7_li,comdat
.Lfunc_end1563:
	.size	_ZL37rocblas_syrkx_herkx_restricted_kernelIl19rocblas_complex_numIfELi16ELi32ELi8ELin1ELi0ELb0ELc84ELc85EKPKS1_KPS1_EviT_PT9_S7_lS9_S7_lPT10_S7_li, .Lfunc_end1563-_ZL37rocblas_syrkx_herkx_restricted_kernelIl19rocblas_complex_numIfELi16ELi32ELi8ELin1ELi0ELb0ELc84ELc85EKPKS1_KPS1_EviT_PT9_S7_lS9_S7_lPT10_S7_li
                                        ; -- End function
	.section	.AMDGPU.csdata,"",@progbits
; Kernel info:
; codeLenInByte = 2192
; NumSgprs: 22
; NumVgprs: 91
; ScratchSize: 0
; MemoryBound: 0
; FloatMode: 240
; IeeeMode: 1
; LDSByteSize: 4096 bytes/workgroup (compile time only)
; SGPRBlocks: 2
; VGPRBlocks: 11
; NumSGPRsForWavesPerEU: 22
; NumVGPRsForWavesPerEU: 91
; Occupancy: 16
; WaveLimiterHint : 1
; COMPUTE_PGM_RSRC2:SCRATCH_EN: 0
; COMPUTE_PGM_RSRC2:USER_SGPR: 13
; COMPUTE_PGM_RSRC2:TRAP_HANDLER: 0
; COMPUTE_PGM_RSRC2:TGID_X_EN: 1
; COMPUTE_PGM_RSRC2:TGID_Y_EN: 1
; COMPUTE_PGM_RSRC2:TGID_Z_EN: 1
; COMPUTE_PGM_RSRC2:TIDIG_COMP_CNT: 1
	.section	.text._ZL37rocblas_syrkx_herkx_restricted_kernelIl19rocblas_complex_numIfELi16ELi32ELi8ELin1ELi0ELb0ELc67ELc85EKPKS1_KPS1_EviT_PT9_S7_lS9_S7_lPT10_S7_li,"axG",@progbits,_ZL37rocblas_syrkx_herkx_restricted_kernelIl19rocblas_complex_numIfELi16ELi32ELi8ELin1ELi0ELb0ELc67ELc85EKPKS1_KPS1_EviT_PT9_S7_lS9_S7_lPT10_S7_li,comdat
	.globl	_ZL37rocblas_syrkx_herkx_restricted_kernelIl19rocblas_complex_numIfELi16ELi32ELi8ELin1ELi0ELb0ELc67ELc85EKPKS1_KPS1_EviT_PT9_S7_lS9_S7_lPT10_S7_li ; -- Begin function _ZL37rocblas_syrkx_herkx_restricted_kernelIl19rocblas_complex_numIfELi16ELi32ELi8ELin1ELi0ELb0ELc67ELc85EKPKS1_KPS1_EviT_PT9_S7_lS9_S7_lPT10_S7_li
	.p2align	8
	.type	_ZL37rocblas_syrkx_herkx_restricted_kernelIl19rocblas_complex_numIfELi16ELi32ELi8ELin1ELi0ELb0ELc67ELc85EKPKS1_KPS1_EviT_PT9_S7_lS9_S7_lPT10_S7_li,@function
_ZL37rocblas_syrkx_herkx_restricted_kernelIl19rocblas_complex_numIfELi16ELi32ELi8ELin1ELi0ELb0ELc67ELc85EKPKS1_KPS1_EviT_PT9_S7_lS9_S7_lPT10_S7_li: ; @_ZL37rocblas_syrkx_herkx_restricted_kernelIl19rocblas_complex_numIfELi16ELi32ELi8ELin1ELi0ELb0ELc67ELc85EKPKS1_KPS1_EviT_PT9_S7_lS9_S7_lPT10_S7_li
; %bb.0:
	s_clause 0x1
	s_load_b128 s[4:7], s[0:1], 0x40
	s_load_b128 s[8:11], s[0:1], 0x8
	s_mov_b32 s2, s15
	s_mov_b32 s3, 0
	v_dual_mov_b32 v17, 0 :: v_dual_and_b32 v6, 0x3ff, v0
	s_lshl_b64 s[16:17], s[2:3], 3
	v_bfe_u32 v7, v0, 10, 10
	v_dual_mov_b32 v16, 0 :: v_dual_mov_b32 v11, 0
	v_dual_mov_b32 v12, 0 :: v_dual_mov_b32 v9, 0
	;; [unrolled: 1-line block ×3, first 2 shown]
	v_mov_b32_e32 v0, 0
	s_waitcnt lgkmcnt(0)
	s_add_u32 s2, s4, s16
	s_addc_u32 s3, s5, s17
	v_cmp_lt_i64_e64 s4, s[8:9], 1
	s_load_b64 s[2:3], s[2:3], 0x0
	s_lshl_b32 s18, s13, 5
	s_lshl_b32 s19, s14, 5
	s_delay_alu instid0(VALU_DEP_1)
	s_and_b32 vcc_lo, exec_lo, s4
	s_cbranch_vccnz .LBB1564_3
; %bb.1:
	s_clause 0x1
	s_load_b128 s[12:15], s[0:1], 0x28
	s_load_b64 s[4:5], s[0:1], 0x18
	v_lshl_add_u32 v2, v7, 4, v6
	s_add_u32 s10, s10, s16
	s_addc_u32 s11, s11, s17
	v_dual_mov_b32 v1, 0 :: v_dual_and_b32 v0, 7, v6
	s_delay_alu instid0(VALU_DEP_2) | instskip(SKIP_2) | instid1(VALU_DEP_4)
	v_lshrrev_b32_e32 v11, 3, v2
	v_and_b32_e32 v12, 31, v2
	v_lshrrev_b32_e32 v2, 5, v2
	v_mov_b32_e32 v3, v1
	s_load_b64 s[10:11], s[10:11], 0x0
	v_add_nc_u32_e32 v10, s19, v11
	v_add_nc_u32_e32 v8, s18, v12
	v_lshlrev_b32_e32 v12, 3, v12
	v_mov_b32_e32 v16, v1
	v_mov_b32_e32 v17, v1
	v_ashrrev_i32_e32 v4, 31, v10
	v_ashrrev_i32_e32 v5, 31, v8
	s_waitcnt lgkmcnt(0)
	s_add_u32 s12, s12, s16
	s_addc_u32 s13, s13, s17
	v_mul_lo_u32 v13, v4, s14
	v_mul_lo_u32 v14, s4, v5
	v_mad_u64_u32 v[4:5], null, s4, v8, v[2:3]
	v_mul_lo_u32 v3, s5, v8
	s_load_b64 s[4:5], s[12:13], 0x0
	v_mul_lo_u32 v15, v10, s15
	v_mad_u64_u32 v[8:9], null, v10, s14, v[0:1]
	v_lshlrev_b32_e32 v0, 3, v0
	v_lshlrev_b32_e32 v10, 3, v6
	v_add3_u32 v5, v3, v5, v14
	v_lshl_or_b32 v14, v2, 8, v12
	s_delay_alu instid0(VALU_DEP_4)
	v_lshl_or_b32 v0, v11, 6, v0
	v_add3_u32 v9, v13, v9, v15
	v_lshl_add_u32 v13, v7, 6, 0x800
	v_lshlrev_b64 v[3:4], 3, v[4:5]
	v_mov_b32_e32 v11, v1
	v_add_nc_u32_e32 v15, 0x800, v0
	v_lshlrev_b64 v[8:9], 3, v[8:9]
	v_mov_b32_e32 v12, v1
	v_add_co_u32 v0, vcc_lo, v3, s10
	v_add_co_ci_u32_e32 v3, vcc_lo, s11, v4, vcc_lo
	s_waitcnt lgkmcnt(0)
	s_delay_alu instid0(VALU_DEP_4)
	v_add_co_u32 v4, vcc_lo, v8, s4
	v_add_co_ci_u32_e32 v5, vcc_lo, s5, v9, vcc_lo
	v_add_co_u32 v2, vcc_lo, v0, 4
	v_mov_b32_e32 v0, v1
	v_add_co_ci_u32_e32 v3, vcc_lo, 0, v3, vcc_lo
	v_add_co_u32 v4, vcc_lo, v4, 4
	v_add_co_ci_u32_e32 v5, vcc_lo, 0, v5, vcc_lo
	v_mov_b32_e32 v8, v1
	v_mov_b32_e32 v9, v1
	s_mov_b64 s[4:5], 0
.LBB1564_2:                             ; =>This Inner Loop Header: Depth=1
	global_load_b64 v[18:19], v[2:3], off offset:-4
	global_load_b64 v[20:21], v[4:5], off offset:-4
	s_add_u32 s4, s4, 8
	v_add_co_u32 v2, vcc_lo, v2, 64
	s_addc_u32 s5, s5, 0
	v_add_co_ci_u32_e32 v3, vcc_lo, 0, v3, vcc_lo
	v_cmp_ge_u64_e64 s10, s[4:5], s[8:9]
	v_add_co_u32 v4, vcc_lo, v4, 64
	v_add_co_ci_u32_e32 v5, vcc_lo, 0, v5, vcc_lo
	s_waitcnt vmcnt(1)
	ds_store_b64 v14, v[18:19]
	s_waitcnt vmcnt(0)
	ds_store_b64 v15, v[20:21]
	s_waitcnt lgkmcnt(0)
	s_barrier
	buffer_gl0_inv
	ds_load_2addr_b64 v[18:21], v10 offset1:16
	ds_load_b128 v[22:25], v13
	ds_load_b128 v[26:29], v13 offset:1024
	ds_load_b128 v[30:33], v13 offset:16
	;; [unrolled: 1-line block ×4, first 2 shown]
	ds_load_2addr_b64 v[42:45], v10 offset0:32 offset1:48
	ds_load_2addr_b64 v[46:49], v10 offset0:64 offset1:80
	ds_load_b128 v[50:53], v13 offset:1040
	ds_load_2addr_b64 v[54:57], v10 offset0:96 offset1:112
	ds_load_2addr_b64 v[58:61], v10 offset0:128 offset1:144
	;; [unrolled: 1-line block ×4, first 2 shown]
	ds_load_b128 v[70:73], v13 offset:1056
	ds_load_b128 v[74:77], v13 offset:1072
	ds_load_2addr_b64 v[78:81], v10 offset0:224 offset1:240
	s_and_b32 vcc_lo, exec_lo, s10
	s_waitcnt lgkmcnt(0)
	s_barrier
	buffer_gl0_inv
	v_dual_mul_f32 v82, v23, v19 :: v_dual_mul_f32 v85, v22, v21
	v_dual_mul_f32 v83, v22, v19 :: v_dual_mul_f32 v84, v23, v21
	v_mul_f32_e32 v86, v27, v19
	v_dual_mul_f32 v19, v26, v19 :: v_dual_mul_f32 v90, v25, v45
	v_dual_mul_f32 v87, v27, v21 :: v_dual_mul_f32 v88, v25, v43
	v_mul_f32_e32 v21, v26, v21
	v_fma_f32 v82, v22, v18, -v82
	v_fmac_f32_e32 v83, v23, v18
	v_fma_f32 v22, v22, v20, -v84
	v_fmac_f32_e32 v85, v23, v20
	v_fma_f32 v23, v26, v18, -v86
	v_dual_fmac_f32 v19, v27, v18 :: v_dual_mul_f32 v86, v30, v47
	v_fma_f32 v18, v26, v20, -v87
	v_dual_fmac_f32 v21, v27, v20 :: v_dual_mul_f32 v20, v24, v45
	v_mul_f32_e32 v89, v24, v43
	v_mul_f32_e32 v26, v29, v43
	;; [unrolled: 1-line block ×4, first 2 shown]
	v_fmac_f32_e32 v20, v25, v44
	v_fmac_f32_e32 v89, v25, v42
	v_dual_mul_f32 v25, v28, v45 :: v_dual_fmac_f32 v86, v31, v46
	v_fma_f32 v84, v24, v42, -v88
	v_fma_f32 v24, v24, v44, -v90
	v_dual_mul_f32 v45, v31, v47 :: v_dual_mul_f32 v90, v33, v57
	v_fma_f32 v26, v28, v42, -v26
	v_fma_f32 v28, v28, v44, -v43
	v_fmac_f32_e32 v25, v29, v44
	v_dual_mul_f32 v43, v50, v47 :: v_dual_mul_f32 v44, v51, v49
	v_dual_fmac_f32 v27, v29, v42 :: v_dual_mul_f32 v42, v51, v47
	v_dual_mul_f32 v88, v32, v55 :: v_dual_mul_f32 v29, v30, v49
	v_mul_f32_e32 v87, v31, v49
	v_fma_f32 v45, v30, v46, -v45
	v_add_f32_e32 v16, v16, v82
	s_delay_alu instid0(VALU_DEP_4)
	v_dual_fmac_f32 v88, v33, v54 :: v_dual_fmac_f32 v29, v31, v48
	v_fma_f32 v31, v50, v46, -v42
	v_fma_f32 v42, v50, v48, -v44
	v_mul_f32_e32 v44, v32, v57
	v_mul_f32_e32 v47, v50, v49
	v_dual_mul_f32 v50, v53, v57 :: v_dual_fmac_f32 v43, v51, v46
	v_mul_f32_e32 v46, v53, v55
	v_mul_f32_e32 v49, v33, v55
	v_fma_f32 v30, v30, v48, -v87
	v_fmac_f32_e32 v44, v33, v56
	v_dual_fmac_f32 v47, v51, v48 :: v_dual_mul_f32 v48, v52, v55
	v_mul_f32_e32 v33, v52, v57
	v_fma_f32 v46, v52, v54, -v46
	v_fma_f32 v50, v52, v56, -v50
	v_mul_f32_e32 v52, v34, v61
	v_fma_f32 v49, v32, v54, -v49
	v_fma_f32 v32, v32, v56, -v90
	v_dual_mul_f32 v51, v35, v59 :: v_dual_fmac_f32 v48, v53, v54
	v_mul_f32_e32 v54, v70, v59
	v_dual_mul_f32 v55, v34, v59 :: v_dual_fmac_f32 v52, v35, v60
	v_fmac_f32_e32 v33, v53, v56
	v_mul_f32_e32 v53, v71, v59
	v_mul_f32_e32 v56, v71, v61
	;; [unrolled: 1-line block ×3, first 2 shown]
	v_fmac_f32_e32 v54, v71, v58
	v_fmac_f32_e32 v55, v35, v58
	v_fma_f32 v35, v70, v58, -v53
	v_fma_f32 v53, v70, v60, -v56
	v_mul_f32_e32 v56, v36, v65
	v_mul_f32_e32 v59, v70, v61
	v_fma_f32 v51, v34, v58, -v51
	v_mul_f32_e32 v58, v72, v63
	v_mul_f32_e32 v87, v36, v63
	;; [unrolled: 1-line block ×4, first 2 shown]
	v_fma_f32 v34, v34, v60, -v57
	v_mul_f32_e32 v57, v73, v63
	v_fmac_f32_e32 v56, v37, v64
	v_dual_fmac_f32 v59, v71, v60 :: v_dual_mul_f32 v60, v73, v65
	v_mul_f32_e32 v63, v39, v67
	v_mul_f32_e32 v70, v39, v69
	v_fmac_f32_e32 v58, v73, v62
	v_fmac_f32_e32 v87, v37, v62
	v_mul_f32_e32 v37, v72, v65
	v_fma_f32 v61, v36, v62, -v61
	v_fma_f32 v36, v36, v64, -v90
	v_mul_f32_e32 v65, v38, v67
	v_fma_f32 v57, v72, v62, -v57
	v_fma_f32 v60, v72, v64, -v60
	v_dual_fmac_f32 v37, v73, v64 :: v_dual_mul_f32 v62, v38, v69
	v_mul_f32_e32 v64, v75, v67
	v_fma_f32 v63, v38, v66, -v63
	v_fma_f32 v38, v38, v68, -v70
	v_mul_f32_e32 v70, v76, v79
	v_mul_f32_e32 v67, v74, v67
	;; [unrolled: 1-line block ×3, first 2 shown]
	v_dual_mul_f32 v69, v74, v69 :: v_dual_add_f32 v12, v12, v22
	v_mul_f32_e32 v73, v40, v79
	v_dual_fmac_f32 v65, v39, v66 :: v_dual_add_f32 v8, v8, v19
	v_fmac_f32_e32 v62, v39, v68
	v_fma_f32 v39, v74, v66, -v64
	v_fmac_f32_e32 v70, v77, v78
	v_dual_fmac_f32 v67, v75, v66 :: v_dual_add_f32 v16, v16, v84
	v_mul_f32_e32 v66, v40, v81
	v_mul_f32_e32 v72, v41, v79
	v_dual_mul_f32 v90, v41, v81 :: v_dual_fmac_f32 v69, v75, v68
	v_add_f32_e32 v0, v0, v18
	v_dual_fmac_f32 v73, v41, v78 :: v_dual_add_f32 v8, v8, v27
	v_dual_fmac_f32 v66, v41, v80 :: v_dual_mul_f32 v41, v76, v81
	v_fma_f32 v64, v74, v68, -v71
	v_dual_mul_f32 v71, v77, v81 :: v_dual_add_f32 v12, v12, v24
	v_dual_add_f32 v17, v17, v83 :: v_dual_add_f32 v0, v0, v28
	s_delay_alu instid0(VALU_DEP_4) | instskip(NEXT) | instid1(VALU_DEP_3)
	v_dual_fmac_f32 v41, v77, v80 :: v_dual_add_f32 v16, v16, v45
	v_dual_add_f32 v11, v11, v85 :: v_dual_add_f32 v12, v12, v30
	s_delay_alu instid0(VALU_DEP_3) | instskip(SKIP_1) | instid1(VALU_DEP_3)
	v_dual_add_f32 v9, v9, v23 :: v_dual_add_f32 v0, v0, v42
	v_dual_add_f32 v1, v1, v21 :: v_dual_add_f32 v8, v8, v43
	;; [unrolled: 1-line block ×3, first 2 shown]
	s_delay_alu instid0(VALU_DEP_4) | instskip(NEXT) | instid1(VALU_DEP_3)
	v_dual_add_f32 v11, v11, v20 :: v_dual_add_f32 v16, v16, v49
	v_dual_add_f32 v9, v9, v26 :: v_dual_add_f32 v8, v8, v48
	s_delay_alu instid0(VALU_DEP_4) | instskip(NEXT) | instid1(VALU_DEP_3)
	v_dual_add_f32 v1, v1, v25 :: v_dual_add_f32 v0, v0, v50
	v_dual_add_f32 v17, v17, v86 :: v_dual_add_f32 v16, v16, v51
	s_delay_alu instid0(VALU_DEP_4) | instskip(NEXT) | instid1(VALU_DEP_4)
	v_dual_add_f32 v11, v11, v29 :: v_dual_add_f32 v12, v12, v34
	v_dual_add_f32 v9, v9, v31 :: v_dual_add_f32 v8, v8, v54
	s_delay_alu instid0(VALU_DEP_4) | instskip(NEXT) | instid1(VALU_DEP_4)
	v_dual_add_f32 v1, v1, v47 :: v_dual_add_f32 v0, v0, v53
	v_dual_add_f32 v17, v17, v88 :: v_dual_add_f32 v16, v16, v61
	s_delay_alu instid0(VALU_DEP_3) | instskip(NEXT) | instid1(VALU_DEP_4)
	v_dual_add_f32 v11, v11, v44 :: v_dual_add_f32 v8, v8, v58
	v_dual_add_f32 v9, v9, v46 :: v_dual_add_f32 v12, v12, v36
	s_delay_alu instid0(VALU_DEP_4) | instskip(SKIP_1) | instid1(VALU_DEP_3)
	v_dual_add_f32 v1, v1, v33 :: v_dual_add_f32 v0, v0, v60
	v_fma_f32 v72, v40, v78, -v72
	v_dual_add_f32 v17, v17, v55 :: v_dual_add_f32 v12, v12, v38
	v_dual_add_f32 v11, v11, v52 :: v_dual_add_f32 v16, v16, v63
	s_delay_alu instid0(VALU_DEP_4) | instskip(SKIP_2) | instid1(VALU_DEP_4)
	v_dual_add_f32 v9, v9, v35 :: v_dual_add_f32 v0, v0, v64
	v_add_f32_e32 v1, v1, v59
	v_mul_f32_e32 v68, v77, v79
	v_add_f32_e32 v16, v16, v72
	v_fma_f32 v40, v40, v80, -v90
	v_fma_f32 v71, v76, v80, -v71
	v_add_f32_e32 v17, v17, v87
	v_dual_add_f32 v11, v11, v56 :: v_dual_add_f32 v8, v8, v67
	v_add_f32_e32 v9, v9, v57
	s_delay_alu instid0(VALU_DEP_4) | instskip(SKIP_1) | instid1(VALU_DEP_4)
	v_dual_add_f32 v1, v1, v37 :: v_dual_add_f32 v0, v0, v71
	v_fma_f32 v68, v76, v78, -v68
	v_dual_add_f32 v11, v11, v62 :: v_dual_add_f32 v12, v12, v40
	v_add_f32_e32 v17, v17, v65
	s_delay_alu instid0(VALU_DEP_4) | instskip(SKIP_1) | instid1(VALU_DEP_4)
	v_dual_add_f32 v1, v1, v69 :: v_dual_add_f32 v8, v8, v70
	v_add_f32_e32 v9, v9, v39
	v_add_f32_e32 v11, v11, v66
	s_delay_alu instid0(VALU_DEP_4) | instskip(NEXT) | instid1(VALU_DEP_4)
	v_add_f32_e32 v17, v17, v73
	v_add_f32_e32 v1, v1, v41
	s_delay_alu instid0(VALU_DEP_4)
	v_add_f32_e32 v9, v9, v68
	s_cbranch_vccz .LBB1564_2
.LBB1564_3:
	v_add_nc_u32_e32 v7, s19, v7
	s_load_b32 s4, s[0:1], 0x0
	s_delay_alu instid0(VALU_DEP_1) | instskip(SKIP_2) | instid1(VALU_DEP_3)
	v_ashrrev_i32_e32 v2, 31, v7
	v_mul_lo_u32 v5, v7, s7
	v_mad_u64_u32 v[3:4], null, v7, s6, 0
	v_mul_lo_u32 v2, v2, s6
	s_delay_alu instid0(VALU_DEP_1) | instskip(SKIP_3) | instid1(VALU_DEP_3)
	v_add3_u32 v4, v4, v5, v2
	v_add_nc_u32_e32 v2, s18, v6
	s_waitcnt lgkmcnt(0)
	v_cmp_gt_i32_e32 vcc_lo, s4, v7
	v_lshlrev_b64 v[3:4], 3, v[3:4]
	s_delay_alu instid0(VALU_DEP_3) | instskip(NEXT) | instid1(VALU_DEP_1)
	v_cmp_le_i32_e64 s0, v2, v7
	s_and_b32 s0, vcc_lo, s0
	s_delay_alu instid0(VALU_DEP_2) | instskip(NEXT) | instid1(VALU_DEP_1)
	v_add_co_u32 v6, s1, s2, v3
	v_add_co_ci_u32_e64 v10, s1, s3, v4, s1
	s_and_saveexec_b32 s1, s0
	s_cbranch_execz .LBB1564_5
; %bb.4:
	v_ashrrev_i32_e32 v3, 31, v2
	v_xor_b32_e32 v13, 0x80000000, v16
	v_xor_b32_e32 v14, 0x80000000, v17
	s_delay_alu instid0(VALU_DEP_3) | instskip(NEXT) | instid1(VALU_DEP_1)
	v_lshlrev_b64 v[3:4], 3, v[2:3]
	v_add_co_u32 v3, s0, v6, v3
	s_delay_alu instid0(VALU_DEP_1)
	v_add_co_ci_u32_e64 v4, s0, v10, v4, s0
	global_store_b64 v[3:4], v[13:14], off
.LBB1564_5:
	s_or_b32 exec_lo, exec_lo, s1
	v_add_nc_u32_e32 v4, 16, v2
	s_delay_alu instid0(VALU_DEP_1) | instskip(NEXT) | instid1(VALU_DEP_1)
	v_cmp_le_i32_e64 s0, v4, v7
	s_and_b32 s1, vcc_lo, s0
	s_delay_alu instid0(SALU_CYCLE_1)
	s_and_saveexec_b32 s0, s1
	s_cbranch_execz .LBB1564_7
; %bb.6:
	v_ashrrev_i32_e32 v5, 31, v4
	v_xor_b32_e32 v15, 0x80000000, v12
	v_xor_b32_e32 v16, 0x80000000, v11
	s_delay_alu instid0(VALU_DEP_3) | instskip(NEXT) | instid1(VALU_DEP_1)
	v_lshlrev_b64 v[13:14], 3, v[4:5]
	v_add_co_u32 v5, vcc_lo, v6, v13
	s_delay_alu instid0(VALU_DEP_2)
	v_add_co_ci_u32_e32 v6, vcc_lo, v10, v14, vcc_lo
	global_store_b64 v[5:6], v[15:16], off
.LBB1564_7:
	s_or_b32 exec_lo, exec_lo, s0
	v_add_nc_u32_e32 v5, 16, v7
	s_delay_alu instid0(VALU_DEP_1) | instskip(SKIP_3) | instid1(VALU_DEP_4)
	v_ashrrev_i32_e32 v3, 31, v5
	v_mul_lo_u32 v10, v5, s7
	v_mad_u64_u32 v[6:7], null, v5, s6, 0
	v_cmp_gt_i32_e32 vcc_lo, s4, v5
	v_mul_lo_u32 v3, v3, s6
	v_cmp_le_i32_e64 s0, v2, v5
	s_delay_alu instid0(VALU_DEP_1) | instskip(NEXT) | instid1(VALU_DEP_2)
	s_and_b32 s0, vcc_lo, s0
	v_add3_u32 v7, v7, v10, v3
	s_delay_alu instid0(VALU_DEP_1) | instskip(NEXT) | instid1(VALU_DEP_1)
	v_lshlrev_b64 v[6:7], 3, v[6:7]
	v_add_co_u32 v6, s1, s2, v6
	s_delay_alu instid0(VALU_DEP_1)
	v_add_co_ci_u32_e64 v7, s1, s3, v7, s1
	s_and_saveexec_b32 s1, s0
	s_cbranch_execz .LBB1564_9
; %bb.8:
	v_ashrrev_i32_e32 v3, 31, v2
	v_xor_b32_e32 v9, 0x80000000, v9
	v_xor_b32_e32 v10, 0x80000000, v8
	s_delay_alu instid0(VALU_DEP_3) | instskip(NEXT) | instid1(VALU_DEP_1)
	v_lshlrev_b64 v[2:3], 3, v[2:3]
	v_add_co_u32 v2, s0, v6, v2
	s_delay_alu instid0(VALU_DEP_1)
	v_add_co_ci_u32_e64 v3, s0, v7, v3, s0
	global_store_b64 v[2:3], v[9:10], off
.LBB1564_9:
	s_or_b32 exec_lo, exec_lo, s1
	v_cmp_le_i32_e64 s0, v4, v5
	s_delay_alu instid0(VALU_DEP_1) | instskip(NEXT) | instid1(SALU_CYCLE_1)
	s_and_b32 s0, vcc_lo, s0
	s_and_saveexec_b32 s1, s0
	s_cbranch_execz .LBB1564_11
; %bb.10:
	v_ashrrev_i32_e32 v5, 31, v4
	v_xor_b32_e32 v0, 0x80000000, v0
	v_xor_b32_e32 v1, 0x80000000, v1
	s_delay_alu instid0(VALU_DEP_3) | instskip(NEXT) | instid1(VALU_DEP_1)
	v_lshlrev_b64 v[2:3], 3, v[4:5]
	v_add_co_u32 v2, vcc_lo, v6, v2
	s_delay_alu instid0(VALU_DEP_2)
	v_add_co_ci_u32_e32 v3, vcc_lo, v7, v3, vcc_lo
	global_store_b64 v[2:3], v[0:1], off
.LBB1564_11:
	s_nop 0
	s_sendmsg sendmsg(MSG_DEALLOC_VGPRS)
	s_endpgm
	.section	.rodata,"a",@progbits
	.p2align	6, 0x0
	.amdhsa_kernel _ZL37rocblas_syrkx_herkx_restricted_kernelIl19rocblas_complex_numIfELi16ELi32ELi8ELin1ELi0ELb0ELc67ELc85EKPKS1_KPS1_EviT_PT9_S7_lS9_S7_lPT10_S7_li
		.amdhsa_group_segment_fixed_size 4096
		.amdhsa_private_segment_fixed_size 0
		.amdhsa_kernarg_size 92
		.amdhsa_user_sgpr_count 13
		.amdhsa_user_sgpr_dispatch_ptr 0
		.amdhsa_user_sgpr_queue_ptr 0
		.amdhsa_user_sgpr_kernarg_segment_ptr 1
		.amdhsa_user_sgpr_dispatch_id 0
		.amdhsa_user_sgpr_private_segment_size 0
		.amdhsa_wavefront_size32 1
		.amdhsa_uses_dynamic_stack 0
		.amdhsa_enable_private_segment 0
		.amdhsa_system_sgpr_workgroup_id_x 1
		.amdhsa_system_sgpr_workgroup_id_y 1
		.amdhsa_system_sgpr_workgroup_id_z 1
		.amdhsa_system_sgpr_workgroup_info 0
		.amdhsa_system_vgpr_workitem_id 1
		.amdhsa_next_free_vgpr 91
		.amdhsa_next_free_sgpr 20
		.amdhsa_reserve_vcc 1
		.amdhsa_float_round_mode_32 0
		.amdhsa_float_round_mode_16_64 0
		.amdhsa_float_denorm_mode_32 3
		.amdhsa_float_denorm_mode_16_64 3
		.amdhsa_dx10_clamp 1
		.amdhsa_ieee_mode 1
		.amdhsa_fp16_overflow 0
		.amdhsa_workgroup_processor_mode 1
		.amdhsa_memory_ordered 1
		.amdhsa_forward_progress 0
		.amdhsa_shared_vgpr_count 0
		.amdhsa_exception_fp_ieee_invalid_op 0
		.amdhsa_exception_fp_denorm_src 0
		.amdhsa_exception_fp_ieee_div_zero 0
		.amdhsa_exception_fp_ieee_overflow 0
		.amdhsa_exception_fp_ieee_underflow 0
		.amdhsa_exception_fp_ieee_inexact 0
		.amdhsa_exception_int_div_zero 0
	.end_amdhsa_kernel
	.section	.text._ZL37rocblas_syrkx_herkx_restricted_kernelIl19rocblas_complex_numIfELi16ELi32ELi8ELin1ELi0ELb0ELc67ELc85EKPKS1_KPS1_EviT_PT9_S7_lS9_S7_lPT10_S7_li,"axG",@progbits,_ZL37rocblas_syrkx_herkx_restricted_kernelIl19rocblas_complex_numIfELi16ELi32ELi8ELin1ELi0ELb0ELc67ELc85EKPKS1_KPS1_EviT_PT9_S7_lS9_S7_lPT10_S7_li,comdat
.Lfunc_end1564:
	.size	_ZL37rocblas_syrkx_herkx_restricted_kernelIl19rocblas_complex_numIfELi16ELi32ELi8ELin1ELi0ELb0ELc67ELc85EKPKS1_KPS1_EviT_PT9_S7_lS9_S7_lPT10_S7_li, .Lfunc_end1564-_ZL37rocblas_syrkx_herkx_restricted_kernelIl19rocblas_complex_numIfELi16ELi32ELi8ELin1ELi0ELb0ELc67ELc85EKPKS1_KPS1_EviT_PT9_S7_lS9_S7_lPT10_S7_li
                                        ; -- End function
	.section	.AMDGPU.csdata,"",@progbits
; Kernel info:
; codeLenInByte = 2192
; NumSgprs: 22
; NumVgprs: 91
; ScratchSize: 0
; MemoryBound: 0
; FloatMode: 240
; IeeeMode: 1
; LDSByteSize: 4096 bytes/workgroup (compile time only)
; SGPRBlocks: 2
; VGPRBlocks: 11
; NumSGPRsForWavesPerEU: 22
; NumVGPRsForWavesPerEU: 91
; Occupancy: 16
; WaveLimiterHint : 1
; COMPUTE_PGM_RSRC2:SCRATCH_EN: 0
; COMPUTE_PGM_RSRC2:USER_SGPR: 13
; COMPUTE_PGM_RSRC2:TRAP_HANDLER: 0
; COMPUTE_PGM_RSRC2:TGID_X_EN: 1
; COMPUTE_PGM_RSRC2:TGID_Y_EN: 1
; COMPUTE_PGM_RSRC2:TGID_Z_EN: 1
; COMPUTE_PGM_RSRC2:TIDIG_COMP_CNT: 1
	.section	.text._ZL37rocblas_syrkx_herkx_restricted_kernelIl19rocblas_complex_numIfELi16ELi32ELi8ELin1ELi0ELb0ELc78ELc85EKPKS1_KPS1_EviT_PT9_S7_lS9_S7_lPT10_S7_li,"axG",@progbits,_ZL37rocblas_syrkx_herkx_restricted_kernelIl19rocblas_complex_numIfELi16ELi32ELi8ELin1ELi0ELb0ELc78ELc85EKPKS1_KPS1_EviT_PT9_S7_lS9_S7_lPT10_S7_li,comdat
	.globl	_ZL37rocblas_syrkx_herkx_restricted_kernelIl19rocblas_complex_numIfELi16ELi32ELi8ELin1ELi0ELb0ELc78ELc85EKPKS1_KPS1_EviT_PT9_S7_lS9_S7_lPT10_S7_li ; -- Begin function _ZL37rocblas_syrkx_herkx_restricted_kernelIl19rocblas_complex_numIfELi16ELi32ELi8ELin1ELi0ELb0ELc78ELc85EKPKS1_KPS1_EviT_PT9_S7_lS9_S7_lPT10_S7_li
	.p2align	8
	.type	_ZL37rocblas_syrkx_herkx_restricted_kernelIl19rocblas_complex_numIfELi16ELi32ELi8ELin1ELi0ELb0ELc78ELc85EKPKS1_KPS1_EviT_PT9_S7_lS9_S7_lPT10_S7_li,@function
_ZL37rocblas_syrkx_herkx_restricted_kernelIl19rocblas_complex_numIfELi16ELi32ELi8ELin1ELi0ELb0ELc78ELc85EKPKS1_KPS1_EviT_PT9_S7_lS9_S7_lPT10_S7_li: ; @_ZL37rocblas_syrkx_herkx_restricted_kernelIl19rocblas_complex_numIfELi16ELi32ELi8ELin1ELi0ELb0ELc78ELc85EKPKS1_KPS1_EviT_PT9_S7_lS9_S7_lPT10_S7_li
; %bb.0:
	s_clause 0x1
	s_load_b128 s[4:7], s[0:1], 0x40
	s_load_b128 s[8:11], s[0:1], 0x8
	s_mov_b32 s2, s15
	s_mov_b32 s3, 0
	v_dual_mov_b32 v17, 0 :: v_dual_and_b32 v4, 0x3ff, v0
	s_lshl_b64 s[16:17], s[2:3], 3
	v_bfe_u32 v5, v0, 10, 10
	v_dual_mov_b32 v16, 0 :: v_dual_mov_b32 v13, 0
	v_dual_mov_b32 v12, 0 :: v_dual_mov_b32 v9, 0
	;; [unrolled: 1-line block ×3, first 2 shown]
	v_mov_b32_e32 v6, 0
	s_waitcnt lgkmcnt(0)
	s_add_u32 s2, s4, s16
	s_addc_u32 s3, s5, s17
	v_cmp_lt_i64_e64 s4, s[8:9], 1
	s_load_b64 s[2:3], s[2:3], 0x0
	s_lshl_b32 s18, s13, 5
	s_lshl_b32 s19, s14, 5
	s_delay_alu instid0(VALU_DEP_1)
	s_and_b32 vcc_lo, exec_lo, s4
	s_cbranch_vccnz .LBB1565_3
; %bb.1:
	v_lshl_add_u32 v1, v5, 4, v4
	s_clause 0x1
	s_load_b64 s[4:5], s[0:1], 0x18
	s_load_b128 s[12:15], s[0:1], 0x28
	s_add_u32 s10, s10, s16
	s_addc_u32 s11, s11, s17
	v_lshl_add_u32 v11, v5, 6, 0x800
	v_and_b32_e32 v14, 31, v1
	v_lshrrev_b32_e32 v15, 3, v1
	v_lshrrev_b32_e32 v16, 5, v1
	s_load_b64 s[10:11], s[10:11], 0x0
	s_delay_alu instid0(VALU_DEP_3) | instskip(NEXT) | instid1(VALU_DEP_3)
	v_dual_mov_b32 v17, 0 :: v_dual_add_nc_u32 v0, s18, v14
	v_add_nc_u32_e32 v2, s19, v15
	s_delay_alu instid0(VALU_DEP_2) | instskip(NEXT) | instid1(VALU_DEP_2)
	v_ashrrev_i32_e32 v1, 31, v0
	v_ashrrev_i32_e32 v3, 31, v2
	s_waitcnt lgkmcnt(0)
	s_delay_alu instid0(VALU_DEP_2) | instskip(SKIP_4) | instid1(VALU_DEP_1)
	v_mad_u64_u32 v[12:13], null, v16, s4, v[0:1]
	v_and_b32_e32 v7, 7, v4
	s_add_u32 s12, s12, s16
	s_addc_u32 s13, s13, s17
	s_load_b64 s[12:13], s[12:13], 0x0
	v_mad_u64_u32 v[0:1], null, v7, s14, v[2:3]
	s_delay_alu instid0(VALU_DEP_3) | instskip(SKIP_1) | instid1(VALU_DEP_2)
	v_mov_b32_e32 v2, v13
	v_mov_b32_e32 v6, 0
	v_mad_u64_u32 v[8:9], null, v16, s5, v[2:3]
	s_delay_alu instid0(VALU_DEP_4) | instskip(SKIP_2) | instid1(VALU_DEP_4)
	v_mad_u64_u32 v[2:3], null, v7, s15, v[1:2]
	v_lshlrev_b32_e32 v1, 3, v7
	v_dual_mov_b32 v7, 0 :: v_dual_lshlrev_b32 v10, 3, v4
	v_dual_mov_b32 v13, v8 :: v_dual_lshlrev_b32 v14, 3, v14
	s_delay_alu instid0(VALU_DEP_3) | instskip(SKIP_2) | instid1(VALU_DEP_4)
	v_lshl_or_b32 v15, v15, 6, v1
	v_dual_mov_b32 v1, v2 :: v_dual_mov_b32 v8, 0
	v_mov_b32_e32 v9, 0
	v_lshlrev_b64 v[2:3], 3, v[12:13]
	s_delay_alu instid0(VALU_DEP_4) | instskip(NEXT) | instid1(VALU_DEP_4)
	v_add_nc_u32_e32 v15, 0x800, v15
	v_lshlrev_b64 v[0:1], 3, v[0:1]
	s_lshl_b64 s[4:5], s[4:5], 6
	s_delay_alu instid0(VALU_DEP_3) | instskip(NEXT) | instid1(VALU_DEP_4)
	v_add_co_u32 v2, vcc_lo, v2, s10
	v_add_co_ci_u32_e32 v3, vcc_lo, s11, v3, vcc_lo
	s_waitcnt lgkmcnt(0)
	s_delay_alu instid0(VALU_DEP_3) | instskip(SKIP_3) | instid1(VALU_DEP_4)
	v_add_co_u32 v12, vcc_lo, v0, s12
	v_add_co_ci_u32_e32 v13, vcc_lo, s13, v1, vcc_lo
	v_add_co_u32 v0, vcc_lo, v2, 4
	v_add_co_ci_u32_e32 v1, vcc_lo, 0, v3, vcc_lo
	v_add_co_u32 v2, vcc_lo, v12, 4
	s_delay_alu instid0(VALU_DEP_4)
	v_add_co_ci_u32_e32 v3, vcc_lo, 0, v13, vcc_lo
	v_dual_mov_b32 v12, 0 :: v_dual_mov_b32 v13, 0
	v_lshl_or_b32 v14, v16, 8, v14
	v_mov_b32_e32 v16, 0
	s_lshl_b64 s[10:11], s[14:15], 6
	s_mov_b64 s[12:13], 0
.LBB1565_2:                             ; =>This Inner Loop Header: Depth=1
	global_load_b64 v[18:19], v[0:1], off offset:-4
	global_load_b64 v[20:21], v[2:3], off offset:-4
	s_add_u32 s12, s12, 8
	v_add_co_u32 v0, vcc_lo, v0, s4
	s_addc_u32 s13, s13, 0
	v_add_co_ci_u32_e32 v1, vcc_lo, s5, v1, vcc_lo
	v_cmp_ge_u64_e64 s14, s[12:13], s[8:9]
	v_add_co_u32 v2, vcc_lo, v2, s10
	v_add_co_ci_u32_e32 v3, vcc_lo, s11, v3, vcc_lo
	s_waitcnt vmcnt(1)
	ds_store_b64 v14, v[18:19]
	s_waitcnt vmcnt(0)
	ds_store_b64 v15, v[20:21]
	s_waitcnt lgkmcnt(0)
	s_barrier
	buffer_gl0_inv
	ds_load_2addr_b64 v[18:21], v10 offset1:16
	ds_load_b128 v[22:25], v11
	ds_load_b128 v[26:29], v11 offset:1024
	ds_load_b128 v[30:33], v11 offset:16
	;; [unrolled: 1-line block ×4, first 2 shown]
	ds_load_2addr_b64 v[42:45], v10 offset0:32 offset1:48
	ds_load_2addr_b64 v[46:49], v10 offset0:64 offset1:80
	ds_load_b128 v[50:53], v11 offset:1040
	ds_load_2addr_b64 v[54:57], v10 offset0:96 offset1:112
	ds_load_2addr_b64 v[58:61], v10 offset0:128 offset1:144
	;; [unrolled: 1-line block ×4, first 2 shown]
	ds_load_b128 v[70:73], v11 offset:1056
	ds_load_b128 v[74:77], v11 offset:1072
	ds_load_2addr_b64 v[78:81], v10 offset0:224 offset1:240
	s_and_b32 vcc_lo, exec_lo, s14
	s_waitcnt lgkmcnt(0)
	s_barrier
	buffer_gl0_inv
	v_dual_mul_f32 v82, v23, v19 :: v_dual_mul_f32 v85, v22, v21
	v_dual_mul_f32 v83, v22, v19 :: v_dual_mul_f32 v84, v23, v21
	v_mul_f32_e32 v86, v27, v19
	v_dual_mul_f32 v19, v26, v19 :: v_dual_mul_f32 v90, v25, v45
	v_dual_mul_f32 v87, v27, v21 :: v_dual_mul_f32 v88, v25, v43
	v_mul_f32_e32 v21, v26, v21
	v_mul_f32_e32 v89, v24, v43
	v_mul_f32_e32 v91, v24, v45
	v_fma_f32 v82, v22, v18, -v82
	v_fmac_f32_e32 v83, v23, v18
	v_fma_f32 v22, v22, v20, -v84
	v_dual_fmac_f32 v85, v23, v20 :: v_dual_mul_f32 v84, v30, v47
	v_fma_f32 v23, v26, v18, -v86
	v_fmac_f32_e32 v19, v27, v18
	v_fma_f32 v18, v26, v20, -v87
	v_dual_mul_f32 v26, v28, v43 :: v_dual_fmac_f32 v21, v27, v20
	v_mul_f32_e32 v20, v29, v43
	v_mul_f32_e32 v27, v29, v45
	v_dual_mul_f32 v43, v28, v45 :: v_dual_fmac_f32 v84, v31, v46
	v_fma_f32 v45, v24, v42, -v88
	v_fma_f32 v24, v24, v44, -v90
	v_dual_fmac_f32 v91, v25, v44 :: v_dual_mul_f32 v90, v32, v57
	v_dual_mul_f32 v86, v31, v49 :: v_dual_fmac_f32 v89, v25, v42
	v_dual_mul_f32 v25, v31, v47 :: v_dual_mul_f32 v88, v33, v57
	v_fma_f32 v20, v28, v42, -v20
	v_fmac_f32_e32 v26, v29, v42
	v_fma_f32 v27, v28, v44, -v27
	v_dual_fmac_f32 v43, v29, v44 :: v_dual_mul_f32 v28, v51, v47
	v_dual_mul_f32 v29, v50, v47 :: v_dual_mul_f32 v42, v51, v49
	v_mul_f32_e32 v44, v50, v49
	v_mul_f32_e32 v87, v30, v49
	;; [unrolled: 1-line block ×3, first 2 shown]
	v_dual_mul_f32 v49, v32, v55 :: v_dual_fmac_f32 v90, v33, v56
	v_fma_f32 v25, v30, v46, -v25
	v_fma_f32 v30, v30, v48, -v86
	;; [unrolled: 1-line block ×3, first 2 shown]
	v_fmac_f32_e32 v44, v51, v48
	v_fmac_f32_e32 v87, v31, v48
	v_fma_f32 v31, v50, v48, -v42
	v_mul_f32_e32 v42, v53, v55
	v_mul_f32_e32 v48, v53, v57
	v_dual_mul_f32 v50, v52, v57 :: v_dual_fmac_f32 v29, v51, v46
	v_mul_f32_e32 v46, v52, v55
	v_fma_f32 v47, v32, v54, -v47
	v_fmac_f32_e32 v49, v33, v54
	v_fma_f32 v32, v32, v56, -v88
	s_delay_alu instid0(VALU_DEP_4)
	v_dual_mul_f32 v33, v35, v59 :: v_dual_fmac_f32 v46, v53, v54
	v_mul_f32_e32 v51, v34, v59
	v_mul_f32_e32 v55, v35, v61
	v_fma_f32 v42, v52, v54, -v42
	v_fma_f32 v48, v52, v56, -v48
	v_fmac_f32_e32 v50, v53, v56
	v_mul_f32_e32 v52, v71, v59
	v_dual_mul_f32 v53, v70, v59 :: v_dual_mul_f32 v86, v37, v65
	v_mul_f32_e32 v54, v71, v61
	v_dual_mul_f32 v56, v70, v61 :: v_dual_mul_f32 v59, v37, v63
	v_mul_f32_e32 v57, v34, v61
	v_mul_f32_e32 v61, v36, v63
	v_dual_mul_f32 v88, v36, v65 :: v_dual_fmac_f32 v51, v35, v58
	v_fma_f32 v33, v34, v58, -v33
	v_fmac_f32_e32 v53, v71, v58
	v_fmac_f32_e32 v56, v71, v60
	s_delay_alu instid0(VALU_DEP_4)
	v_fmac_f32_e32 v88, v37, v64
	v_fmac_f32_e32 v57, v35, v60
	v_fma_f32 v35, v70, v58, -v52
	v_fma_f32 v52, v70, v60, -v54
	v_mul_f32_e32 v54, v73, v63
	v_fma_f32 v34, v34, v60, -v55
	v_mul_f32_e32 v60, v72, v65
	v_dual_mul_f32 v55, v72, v63 :: v_dual_mul_f32 v70, v38, v69
	v_mul_f32_e32 v58, v73, v65
	v_fma_f32 v59, v36, v62, -v59
	v_fmac_f32_e32 v61, v37, v62
	v_fma_f32 v36, v36, v64, -v86
	v_dual_mul_f32 v37, v39, v67 :: v_dual_fmac_f32 v60, v73, v64
	v_dual_mul_f32 v63, v38, v67 :: v_dual_mul_f32 v86, v40, v81
	v_mul_f32_e32 v65, v39, v69
	v_fma_f32 v54, v72, v62, -v54
	v_fmac_f32_e32 v55, v73, v62
	v_fma_f32 v58, v72, v64, -v58
	v_mul_f32_e32 v72, v40, v79
	v_mul_f32_e32 v62, v75, v67
	v_dual_mul_f32 v64, v74, v67 :: v_dual_mul_f32 v67, v75, v69
	v_dual_mul_f32 v69, v74, v69 :: v_dual_fmac_f32 v70, v39, v68
	s_delay_alu instid0(VALU_DEP_2)
	v_dual_mul_f32 v71, v41, v79 :: v_dual_fmac_f32 v64, v75, v66
	v_dual_mul_f32 v73, v41, v81 :: v_dual_add_f32 v16, v16, v82
	v_fma_f32 v37, v38, v66, -v37
	v_fmac_f32_e32 v63, v39, v66
	v_fma_f32 v38, v38, v68, -v65
	v_fma_f32 v39, v74, v66, -v62
	v_dual_mul_f32 v65, v77, v79 :: v_dual_add_f32 v12, v12, v85
	v_mul_f32_e32 v66, v76, v79
	v_fma_f32 v62, v74, v68, -v67
	v_dual_mul_f32 v67, v77, v81 :: v_dual_add_f32 v8, v8, v19
	v_dual_fmac_f32 v86, v41, v80 :: v_dual_add_f32 v7, v7, v18
	v_dual_add_f32 v17, v17, v83 :: v_dual_add_f32 v6, v6, v21
	v_dual_add_f32 v13, v13, v22 :: v_dual_add_f32 v16, v16, v45
	s_delay_alu instid0(VALU_DEP_4)
	v_dual_add_f32 v9, v9, v23 :: v_dual_add_f32 v8, v8, v26
	v_dual_fmac_f32 v69, v75, v68 :: v_dual_fmac_f32 v72, v41, v78
	v_mul_f32_e32 v68, v76, v81
	v_dual_fmac_f32 v66, v77, v78 :: v_dual_add_f32 v7, v7, v27
	v_dual_add_f32 v17, v17, v89 :: v_dual_add_f32 v12, v12, v91
	v_dual_add_f32 v13, v13, v24 :: v_dual_add_f32 v6, v6, v43
	;; [unrolled: 1-line block ×3, first 2 shown]
	s_delay_alu instid0(VALU_DEP_4) | instskip(NEXT) | instid1(VALU_DEP_4)
	v_dual_fmac_f32 v68, v77, v80 :: v_dual_add_f32 v7, v7, v31
	v_dual_add_f32 v17, v17, v84 :: v_dual_add_f32 v12, v12, v87
	s_delay_alu instid0(VALU_DEP_4) | instskip(NEXT) | instid1(VALU_DEP_4)
	v_dual_add_f32 v13, v13, v30 :: v_dual_add_f32 v8, v8, v29
	v_dual_add_f32 v9, v9, v28 :: v_dual_add_f32 v16, v16, v47
	s_delay_alu instid0(VALU_DEP_3) | instskip(NEXT) | instid1(VALU_DEP_3)
	v_dual_add_f32 v6, v6, v44 :: v_dual_add_f32 v17, v17, v49
	v_dual_add_f32 v13, v13, v32 :: v_dual_add_f32 v12, v12, v90
	s_delay_alu instid0(VALU_DEP_3) | instskip(SKIP_1) | instid1(VALU_DEP_4)
	v_dual_add_f32 v9, v9, v42 :: v_dual_add_f32 v16, v16, v33
	v_dual_add_f32 v8, v8, v46 :: v_dual_add_f32 v7, v7, v48
	;; [unrolled: 1-line block ×3, first 2 shown]
	s_delay_alu instid0(VALU_DEP_4) | instskip(NEXT) | instid1(VALU_DEP_3)
	v_dual_add_f32 v13, v13, v34 :: v_dual_add_f32 v12, v12, v57
	v_dual_add_f32 v9, v9, v35 :: v_dual_add_f32 v8, v8, v53
	s_delay_alu instid0(VALU_DEP_4) | instskip(NEXT) | instid1(VALU_DEP_4)
	v_dual_add_f32 v7, v7, v52 :: v_dual_add_f32 v16, v16, v59
	v_dual_add_f32 v6, v6, v56 :: v_dual_add_f32 v17, v17, v61
	s_delay_alu instid0(VALU_DEP_3) | instskip(NEXT) | instid1(VALU_DEP_4)
	v_dual_add_f32 v13, v13, v36 :: v_dual_add_f32 v8, v8, v55
	v_dual_add_f32 v12, v12, v88 :: v_dual_add_f32 v9, v9, v54
	s_delay_alu instid0(VALU_DEP_3)
	v_dual_add_f32 v7, v7, v58 :: v_dual_add_f32 v6, v6, v60
	v_fma_f32 v71, v40, v78, -v71
	v_fma_f32 v40, v40, v80, -v73
	;; [unrolled: 1-line block ×4, first 2 shown]
	v_dual_add_f32 v16, v16, v37 :: v_dual_add_f32 v17, v17, v63
	v_dual_add_f32 v13, v13, v38 :: v_dual_add_f32 v8, v8, v64
	;; [unrolled: 1-line block ×4, first 2 shown]
	s_delay_alu instid0(VALU_DEP_4) | instskip(NEXT) | instid1(VALU_DEP_3)
	v_dual_add_f32 v16, v16, v71 :: v_dual_add_f32 v17, v17, v72
	v_dual_add_f32 v13, v13, v40 :: v_dual_add_f32 v12, v12, v86
	s_delay_alu instid0(VALU_DEP_4) | instskip(NEXT) | instid1(VALU_DEP_4)
	v_dual_add_f32 v9, v9, v41 :: v_dual_add_f32 v8, v8, v66
	v_dual_add_f32 v7, v7, v65 :: v_dual_add_f32 v6, v6, v68
	s_cbranch_vccz .LBB1565_2
.LBB1565_3:
	v_add_nc_u32_e32 v5, s19, v5
	s_load_b32 s4, s[0:1], 0x0
	s_delay_alu instid0(VALU_DEP_1) | instskip(SKIP_2) | instid1(VALU_DEP_3)
	v_ashrrev_i32_e32 v0, 31, v5
	v_mul_lo_u32 v3, v5, s7
	v_mad_u64_u32 v[1:2], null, v5, s6, 0
	v_mul_lo_u32 v0, v0, s6
	s_delay_alu instid0(VALU_DEP_1) | instskip(SKIP_3) | instid1(VALU_DEP_3)
	v_add3_u32 v2, v2, v3, v0
	v_add_nc_u32_e32 v0, s18, v4
	s_waitcnt lgkmcnt(0)
	v_cmp_gt_i32_e32 vcc_lo, s4, v5
	v_lshlrev_b64 v[1:2], 3, v[1:2]
	s_delay_alu instid0(VALU_DEP_3) | instskip(NEXT) | instid1(VALU_DEP_1)
	v_cmp_le_i32_e64 s0, v0, v5
	s_and_b32 s0, vcc_lo, s0
	s_delay_alu instid0(VALU_DEP_2) | instskip(NEXT) | instid1(VALU_DEP_1)
	v_add_co_u32 v4, s1, s2, v1
	v_add_co_ci_u32_e64 v10, s1, s3, v2, s1
	s_and_saveexec_b32 s1, s0
	s_cbranch_execz .LBB1565_5
; %bb.4:
	v_ashrrev_i32_e32 v1, 31, v0
	v_xor_b32_e32 v14, 0x80000000, v16
	v_xor_b32_e32 v15, 0x80000000, v17
	s_delay_alu instid0(VALU_DEP_3) | instskip(NEXT) | instid1(VALU_DEP_1)
	v_lshlrev_b64 v[1:2], 3, v[0:1]
	v_add_co_u32 v1, s0, v4, v1
	s_delay_alu instid0(VALU_DEP_1)
	v_add_co_ci_u32_e64 v2, s0, v10, v2, s0
	global_store_b64 v[1:2], v[14:15], off
.LBB1565_5:
	s_or_b32 exec_lo, exec_lo, s1
	v_add_nc_u32_e32 v2, 16, v0
	s_delay_alu instid0(VALU_DEP_1) | instskip(NEXT) | instid1(VALU_DEP_1)
	v_cmp_le_i32_e64 s0, v2, v5
	s_and_b32 s1, vcc_lo, s0
	s_delay_alu instid0(SALU_CYCLE_1)
	s_and_saveexec_b32 s0, s1
	s_cbranch_execz .LBB1565_7
; %bb.6:
	v_ashrrev_i32_e32 v3, 31, v2
	v_xor_b32_e32 v11, 0x80000000, v13
	v_xor_b32_e32 v12, 0x80000000, v12
	s_delay_alu instid0(VALU_DEP_3) | instskip(NEXT) | instid1(VALU_DEP_1)
	v_lshlrev_b64 v[14:15], 3, v[2:3]
	v_add_co_u32 v3, vcc_lo, v4, v14
	s_delay_alu instid0(VALU_DEP_2)
	v_add_co_ci_u32_e32 v4, vcc_lo, v10, v15, vcc_lo
	global_store_b64 v[3:4], v[11:12], off
.LBB1565_7:
	s_or_b32 exec_lo, exec_lo, s0
	v_add_nc_u32_e32 v3, 16, v5
	s_delay_alu instid0(VALU_DEP_1) | instskip(SKIP_3) | instid1(VALU_DEP_4)
	v_ashrrev_i32_e32 v1, 31, v3
	v_mul_lo_u32 v10, v3, s7
	v_mad_u64_u32 v[4:5], null, v3, s6, 0
	v_cmp_gt_i32_e32 vcc_lo, s4, v3
	v_mul_lo_u32 v1, v1, s6
	v_cmp_le_i32_e64 s0, v0, v3
	s_delay_alu instid0(VALU_DEP_1) | instskip(NEXT) | instid1(VALU_DEP_2)
	s_and_b32 s0, vcc_lo, s0
	v_add3_u32 v5, v5, v10, v1
	s_delay_alu instid0(VALU_DEP_1) | instskip(NEXT) | instid1(VALU_DEP_1)
	v_lshlrev_b64 v[4:5], 3, v[4:5]
	v_add_co_u32 v4, s1, s2, v4
	s_delay_alu instid0(VALU_DEP_1)
	v_add_co_ci_u32_e64 v5, s1, s3, v5, s1
	s_and_saveexec_b32 s1, s0
	s_cbranch_execz .LBB1565_9
; %bb.8:
	v_ashrrev_i32_e32 v1, 31, v0
	v_xor_b32_e32 v9, 0x80000000, v9
	v_xor_b32_e32 v10, 0x80000000, v8
	s_delay_alu instid0(VALU_DEP_3) | instskip(NEXT) | instid1(VALU_DEP_1)
	v_lshlrev_b64 v[0:1], 3, v[0:1]
	v_add_co_u32 v0, s0, v4, v0
	s_delay_alu instid0(VALU_DEP_1)
	v_add_co_ci_u32_e64 v1, s0, v5, v1, s0
	global_store_b64 v[0:1], v[9:10], off
.LBB1565_9:
	s_or_b32 exec_lo, exec_lo, s1
	v_cmp_le_i32_e64 s0, v2, v3
	s_delay_alu instid0(VALU_DEP_1) | instskip(NEXT) | instid1(SALU_CYCLE_1)
	s_and_b32 s0, vcc_lo, s0
	s_and_saveexec_b32 s1, s0
	s_cbranch_execz .LBB1565_11
; %bb.10:
	v_ashrrev_i32_e32 v3, 31, v2
	s_delay_alu instid0(VALU_DEP_1) | instskip(SKIP_2) | instid1(VALU_DEP_3)
	v_lshlrev_b64 v[0:1], 3, v[2:3]
	v_xor_b32_e32 v2, 0x80000000, v7
	v_xor_b32_e32 v3, 0x80000000, v6
	v_add_co_u32 v0, vcc_lo, v4, v0
	s_delay_alu instid0(VALU_DEP_4)
	v_add_co_ci_u32_e32 v1, vcc_lo, v5, v1, vcc_lo
	global_store_b64 v[0:1], v[2:3], off
.LBB1565_11:
	s_nop 0
	s_sendmsg sendmsg(MSG_DEALLOC_VGPRS)
	s_endpgm
	.section	.rodata,"a",@progbits
	.p2align	6, 0x0
	.amdhsa_kernel _ZL37rocblas_syrkx_herkx_restricted_kernelIl19rocblas_complex_numIfELi16ELi32ELi8ELin1ELi0ELb0ELc78ELc85EKPKS1_KPS1_EviT_PT9_S7_lS9_S7_lPT10_S7_li
		.amdhsa_group_segment_fixed_size 4096
		.amdhsa_private_segment_fixed_size 0
		.amdhsa_kernarg_size 92
		.amdhsa_user_sgpr_count 13
		.amdhsa_user_sgpr_dispatch_ptr 0
		.amdhsa_user_sgpr_queue_ptr 0
		.amdhsa_user_sgpr_kernarg_segment_ptr 1
		.amdhsa_user_sgpr_dispatch_id 0
		.amdhsa_user_sgpr_private_segment_size 0
		.amdhsa_wavefront_size32 1
		.amdhsa_uses_dynamic_stack 0
		.amdhsa_enable_private_segment 0
		.amdhsa_system_sgpr_workgroup_id_x 1
		.amdhsa_system_sgpr_workgroup_id_y 1
		.amdhsa_system_sgpr_workgroup_id_z 1
		.amdhsa_system_sgpr_workgroup_info 0
		.amdhsa_system_vgpr_workitem_id 1
		.amdhsa_next_free_vgpr 92
		.amdhsa_next_free_sgpr 20
		.amdhsa_reserve_vcc 1
		.amdhsa_float_round_mode_32 0
		.amdhsa_float_round_mode_16_64 0
		.amdhsa_float_denorm_mode_32 3
		.amdhsa_float_denorm_mode_16_64 3
		.amdhsa_dx10_clamp 1
		.amdhsa_ieee_mode 1
		.amdhsa_fp16_overflow 0
		.amdhsa_workgroup_processor_mode 1
		.amdhsa_memory_ordered 1
		.amdhsa_forward_progress 0
		.amdhsa_shared_vgpr_count 0
		.amdhsa_exception_fp_ieee_invalid_op 0
		.amdhsa_exception_fp_denorm_src 0
		.amdhsa_exception_fp_ieee_div_zero 0
		.amdhsa_exception_fp_ieee_overflow 0
		.amdhsa_exception_fp_ieee_underflow 0
		.amdhsa_exception_fp_ieee_inexact 0
		.amdhsa_exception_int_div_zero 0
	.end_amdhsa_kernel
	.section	.text._ZL37rocblas_syrkx_herkx_restricted_kernelIl19rocblas_complex_numIfELi16ELi32ELi8ELin1ELi0ELb0ELc78ELc85EKPKS1_KPS1_EviT_PT9_S7_lS9_S7_lPT10_S7_li,"axG",@progbits,_ZL37rocblas_syrkx_herkx_restricted_kernelIl19rocblas_complex_numIfELi16ELi32ELi8ELin1ELi0ELb0ELc78ELc85EKPKS1_KPS1_EviT_PT9_S7_lS9_S7_lPT10_S7_li,comdat
.Lfunc_end1565:
	.size	_ZL37rocblas_syrkx_herkx_restricted_kernelIl19rocblas_complex_numIfELi16ELi32ELi8ELin1ELi0ELb0ELc78ELc85EKPKS1_KPS1_EviT_PT9_S7_lS9_S7_lPT10_S7_li, .Lfunc_end1565-_ZL37rocblas_syrkx_herkx_restricted_kernelIl19rocblas_complex_numIfELi16ELi32ELi8ELin1ELi0ELb0ELc78ELc85EKPKS1_KPS1_EviT_PT9_S7_lS9_S7_lPT10_S7_li
                                        ; -- End function
	.section	.AMDGPU.csdata,"",@progbits
; Kernel info:
; codeLenInByte = 2204
; NumSgprs: 22
; NumVgprs: 92
; ScratchSize: 0
; MemoryBound: 0
; FloatMode: 240
; IeeeMode: 1
; LDSByteSize: 4096 bytes/workgroup (compile time only)
; SGPRBlocks: 2
; VGPRBlocks: 11
; NumSGPRsForWavesPerEU: 22
; NumVGPRsForWavesPerEU: 92
; Occupancy: 16
; WaveLimiterHint : 1
; COMPUTE_PGM_RSRC2:SCRATCH_EN: 0
; COMPUTE_PGM_RSRC2:USER_SGPR: 13
; COMPUTE_PGM_RSRC2:TRAP_HANDLER: 0
; COMPUTE_PGM_RSRC2:TGID_X_EN: 1
; COMPUTE_PGM_RSRC2:TGID_Y_EN: 1
; COMPUTE_PGM_RSRC2:TGID_Z_EN: 1
; COMPUTE_PGM_RSRC2:TIDIG_COMP_CNT: 1
	.section	.text._ZL37rocblas_syrkx_herkx_restricted_kernelIl19rocblas_complex_numIfELi16ELi32ELi8ELb1ELb0ELc84ELc76EKPKS1_KPS1_EviT_T0_PT8_S7_lSA_S7_lS8_PT9_S7_li,"axG",@progbits,_ZL37rocblas_syrkx_herkx_restricted_kernelIl19rocblas_complex_numIfELi16ELi32ELi8ELb1ELb0ELc84ELc76EKPKS1_KPS1_EviT_T0_PT8_S7_lSA_S7_lS8_PT9_S7_li,comdat
	.globl	_ZL37rocblas_syrkx_herkx_restricted_kernelIl19rocblas_complex_numIfELi16ELi32ELi8ELb1ELb0ELc84ELc76EKPKS1_KPS1_EviT_T0_PT8_S7_lSA_S7_lS8_PT9_S7_li ; -- Begin function _ZL37rocblas_syrkx_herkx_restricted_kernelIl19rocblas_complex_numIfELi16ELi32ELi8ELb1ELb0ELc84ELc76EKPKS1_KPS1_EviT_T0_PT8_S7_lSA_S7_lS8_PT9_S7_li
	.p2align	8
	.type	_ZL37rocblas_syrkx_herkx_restricted_kernelIl19rocblas_complex_numIfELi16ELi32ELi8ELb1ELb0ELc84ELc76EKPKS1_KPS1_EviT_T0_PT8_S7_lSA_S7_lS8_PT9_S7_li,@function
_ZL37rocblas_syrkx_herkx_restricted_kernelIl19rocblas_complex_numIfELi16ELi32ELi8ELb1ELb0ELc84ELc76EKPKS1_KPS1_EviT_T0_PT8_S7_lSA_S7_lS8_PT9_S7_li: ; @_ZL37rocblas_syrkx_herkx_restricted_kernelIl19rocblas_complex_numIfELi16ELi32ELi8ELb1ELb0ELc84ELc76EKPKS1_KPS1_EviT_T0_PT8_S7_lSA_S7_lS8_PT9_S7_li
; %bb.0:
	s_clause 0x1
	s_load_b128 s[16:19], s[0:1], 0x50
	s_load_b256 s[4:11], s[0:1], 0x8
	s_mov_b32 s2, s15
	s_mov_b32 s3, 0
	v_dual_mov_b32 v17, 0 :: v_dual_and_b32 v6, 0x3ff, v0
	s_lshl_b64 s[20:21], s[2:3], 3
	v_bfe_u32 v7, v0, 10, 10
	v_dual_mov_b32 v16, 0 :: v_dual_mov_b32 v11, 0
	v_dual_mov_b32 v10, 0 :: v_dual_mov_b32 v9, 0
	;; [unrolled: 1-line block ×3, first 2 shown]
	v_mov_b32_e32 v0, 0
	s_waitcnt lgkmcnt(0)
	s_add_u32 s2, s16, s20
	s_addc_u32 s3, s17, s21
	v_cmp_lt_i64_e64 s12, s[4:5], 1
	s_load_b64 s[2:3], s[2:3], 0x0
	s_lshl_b32 s16, s13, 5
	s_lshl_b32 s17, s14, 5
	s_delay_alu instid0(VALU_DEP_1)
	s_and_b32 vcc_lo, exec_lo, s12
	s_cbranch_vccnz .LBB1566_3
; %bb.1:
	s_load_b128 s[12:15], s[0:1], 0x30
	v_lshl_add_u32 v2, v7, 4, v6
	v_dual_mov_b32 v1, 0 :: v_dual_and_b32 v0, 7, v6
	s_add_u32 s8, s8, s20
	s_addc_u32 s9, s9, s21
	s_delay_alu instid0(VALU_DEP_2) | instskip(SKIP_3) | instid1(VALU_DEP_3)
	v_and_b32_e32 v11, 31, v2
	v_lshrrev_b32_e32 v10, 3, v2
	v_lshrrev_b32_e32 v2, 5, v2
	s_load_b64 s[8:9], s[8:9], 0x0
	v_dual_mov_b32 v3, v1 :: v_dual_add_nc_u32 v8, s16, v11
	s_delay_alu instid0(VALU_DEP_3) | instskip(SKIP_2) | instid1(VALU_DEP_4)
	v_add_nc_u32_e32 v12, s17, v10
	v_dual_mov_b32 v16, v1 :: v_dual_lshlrev_b32 v11, 3, v11
	v_mov_b32_e32 v17, v1
	v_ashrrev_i32_e32 v13, 31, v8
	s_delay_alu instid0(VALU_DEP_4)
	v_ashrrev_i32_e32 v9, 31, v12
	v_mad_u64_u32 v[4:5], null, s10, v8, v[2:3]
	s_waitcnt lgkmcnt(0)
	s_add_u32 s12, s12, s20
	v_mul_lo_u32 v3, s11, v8
	v_mul_lo_u32 v13, s10, v13
	s_addc_u32 s13, s13, s21
	v_mul_lo_u32 v14, v9, s14
	s_load_b64 s[10:11], s[12:13], 0x0
	v_mul_lo_u32 v15, v12, s15
	v_mad_u64_u32 v[8:9], null, v12, s14, v[0:1]
	v_lshlrev_b32_e32 v0, 3, v0
	v_add3_u32 v5, v3, v5, v13
	v_lshlrev_b32_e32 v12, 3, v6
	v_lshl_add_u32 v13, v7, 6, 0x800
	v_add3_u32 v9, v14, v9, v15
	s_delay_alu instid0(VALU_DEP_4) | instskip(SKIP_4) | instid1(VALU_DEP_2)
	v_lshlrev_b64 v[3:4], 3, v[4:5]
	v_lshl_or_b32 v14, v2, 8, v11
	v_mov_b32_e32 v11, v1
	v_lshl_or_b32 v0, v10, 6, v0
	v_lshlrev_b64 v[8:9], 3, v[8:9]
	v_dual_mov_b32 v10, v1 :: v_dual_add_nc_u32 v15, 0x800, v0
	v_add_co_u32 v0, vcc_lo, v3, s8
	v_add_co_ci_u32_e32 v3, vcc_lo, s9, v4, vcc_lo
	s_waitcnt lgkmcnt(0)
	s_delay_alu instid0(VALU_DEP_4) | instskip(SKIP_3) | instid1(VALU_DEP_4)
	v_add_co_u32 v4, vcc_lo, v8, s10
	v_add_co_ci_u32_e32 v5, vcc_lo, s11, v9, vcc_lo
	v_add_co_u32 v2, vcc_lo, v0, 4
	v_add_co_ci_u32_e32 v3, vcc_lo, 0, v3, vcc_lo
	v_add_co_u32 v4, vcc_lo, v4, 4
	s_delay_alu instid0(VALU_DEP_4)
	v_add_co_ci_u32_e32 v5, vcc_lo, 0, v5, vcc_lo
	v_mov_b32_e32 v0, v1
	v_mov_b32_e32 v9, v1
	v_mov_b32_e32 v8, v1
	s_mov_b64 s[8:9], 0
.LBB1566_2:                             ; =>This Inner Loop Header: Depth=1
	global_load_b64 v[18:19], v[2:3], off offset:-4
	global_load_b64 v[20:21], v[4:5], off offset:-4
	s_add_u32 s8, s8, 8
	v_add_co_u32 v2, vcc_lo, v2, 64
	s_addc_u32 s9, s9, 0
	v_add_co_ci_u32_e32 v3, vcc_lo, 0, v3, vcc_lo
	v_cmp_ge_u64_e64 s10, s[8:9], s[4:5]
	v_add_co_u32 v4, vcc_lo, v4, 64
	v_add_co_ci_u32_e32 v5, vcc_lo, 0, v5, vcc_lo
	s_waitcnt vmcnt(1)
	ds_store_b64 v14, v[18:19]
	s_waitcnt vmcnt(0)
	ds_store_b64 v15, v[20:21]
	s_waitcnt lgkmcnt(0)
	s_barrier
	buffer_gl0_inv
	ds_load_2addr_b64 v[18:21], v12 offset1:16
	ds_load_b128 v[22:25], v13
	ds_load_b128 v[26:29], v13 offset:1024
	ds_load_b128 v[30:33], v13 offset:16
	;; [unrolled: 1-line block ×4, first 2 shown]
	ds_load_2addr_b64 v[42:45], v12 offset0:32 offset1:48
	ds_load_2addr_b64 v[46:49], v12 offset0:64 offset1:80
	ds_load_b128 v[50:53], v13 offset:1040
	ds_load_2addr_b64 v[54:57], v12 offset0:96 offset1:112
	ds_load_2addr_b64 v[58:61], v12 offset0:128 offset1:144
	;; [unrolled: 1-line block ×4, first 2 shown]
	ds_load_b128 v[70:73], v13 offset:1056
	ds_load_b128 v[74:77], v13 offset:1072
	ds_load_2addr_b64 v[78:81], v12 offset0:224 offset1:240
	s_and_b32 vcc_lo, exec_lo, s10
	s_waitcnt lgkmcnt(0)
	s_barrier
	buffer_gl0_inv
	v_dual_mul_f32 v82, v23, v19 :: v_dual_mul_f32 v85, v22, v21
	v_dual_mul_f32 v83, v22, v19 :: v_dual_mul_f32 v84, v23, v21
	v_mul_f32_e32 v86, v27, v19
	v_dual_mul_f32 v19, v26, v19 :: v_dual_mul_f32 v90, v25, v45
	v_dual_mul_f32 v87, v27, v21 :: v_dual_mul_f32 v88, v25, v43
	v_mul_f32_e32 v21, v26, v21
	v_fma_f32 v82, v22, v18, -v82
	v_fmac_f32_e32 v83, v23, v18
	v_fma_f32 v22, v22, v20, -v84
	v_fmac_f32_e32 v85, v23, v20
	v_fma_f32 v23, v26, v18, -v86
	v_dual_fmac_f32 v19, v27, v18 :: v_dual_mul_f32 v86, v30, v47
	v_fma_f32 v18, v26, v20, -v87
	v_dual_fmac_f32 v21, v27, v20 :: v_dual_mul_f32 v20, v24, v45
	v_mul_f32_e32 v89, v24, v43
	v_mul_f32_e32 v26, v29, v43
	;; [unrolled: 1-line block ×4, first 2 shown]
	v_fmac_f32_e32 v20, v25, v44
	v_fmac_f32_e32 v89, v25, v42
	v_dual_mul_f32 v25, v28, v45 :: v_dual_fmac_f32 v86, v31, v46
	v_fma_f32 v84, v24, v42, -v88
	v_fma_f32 v24, v24, v44, -v90
	v_dual_mul_f32 v45, v31, v47 :: v_dual_mul_f32 v90, v33, v57
	v_fma_f32 v26, v28, v42, -v26
	v_fma_f32 v28, v28, v44, -v43
	v_fmac_f32_e32 v25, v29, v44
	v_dual_mul_f32 v43, v50, v47 :: v_dual_mul_f32 v44, v51, v49
	v_dual_fmac_f32 v27, v29, v42 :: v_dual_mul_f32 v42, v51, v47
	v_dual_mul_f32 v88, v32, v55 :: v_dual_mul_f32 v29, v30, v49
	v_mul_f32_e32 v87, v31, v49
	v_fma_f32 v45, v30, v46, -v45
	v_add_f32_e32 v16, v16, v82
	s_delay_alu instid0(VALU_DEP_4)
	v_dual_fmac_f32 v88, v33, v54 :: v_dual_fmac_f32 v29, v31, v48
	v_fma_f32 v31, v50, v46, -v42
	v_fma_f32 v42, v50, v48, -v44
	v_mul_f32_e32 v44, v32, v57
	v_mul_f32_e32 v47, v50, v49
	v_dual_mul_f32 v50, v53, v57 :: v_dual_fmac_f32 v43, v51, v46
	v_mul_f32_e32 v46, v53, v55
	v_mul_f32_e32 v49, v33, v55
	v_fma_f32 v30, v30, v48, -v87
	v_fmac_f32_e32 v44, v33, v56
	v_dual_fmac_f32 v47, v51, v48 :: v_dual_mul_f32 v48, v52, v55
	v_mul_f32_e32 v33, v52, v57
	v_fma_f32 v46, v52, v54, -v46
	v_fma_f32 v50, v52, v56, -v50
	v_mul_f32_e32 v52, v34, v61
	v_fma_f32 v49, v32, v54, -v49
	v_fma_f32 v32, v32, v56, -v90
	v_dual_mul_f32 v51, v35, v59 :: v_dual_fmac_f32 v48, v53, v54
	v_mul_f32_e32 v54, v70, v59
	v_dual_mul_f32 v55, v34, v59 :: v_dual_fmac_f32 v52, v35, v60
	v_fmac_f32_e32 v33, v53, v56
	v_mul_f32_e32 v53, v71, v59
	v_mul_f32_e32 v56, v71, v61
	;; [unrolled: 1-line block ×3, first 2 shown]
	v_fmac_f32_e32 v54, v71, v58
	v_fmac_f32_e32 v55, v35, v58
	v_fma_f32 v35, v70, v58, -v53
	v_fma_f32 v53, v70, v60, -v56
	v_mul_f32_e32 v56, v36, v65
	v_mul_f32_e32 v59, v70, v61
	v_fma_f32 v51, v34, v58, -v51
	v_mul_f32_e32 v58, v72, v63
	v_mul_f32_e32 v87, v36, v63
	v_mul_f32_e32 v61, v37, v63
	v_mul_f32_e32 v90, v37, v65
	v_fma_f32 v34, v34, v60, -v57
	v_mul_f32_e32 v57, v73, v63
	v_fmac_f32_e32 v56, v37, v64
	v_dual_fmac_f32 v59, v71, v60 :: v_dual_mul_f32 v60, v73, v65
	v_mul_f32_e32 v63, v39, v67
	v_mul_f32_e32 v70, v39, v69
	v_fmac_f32_e32 v58, v73, v62
	v_fmac_f32_e32 v87, v37, v62
	v_mul_f32_e32 v37, v72, v65
	v_fma_f32 v61, v36, v62, -v61
	v_fma_f32 v36, v36, v64, -v90
	v_mul_f32_e32 v65, v38, v67
	v_fma_f32 v57, v72, v62, -v57
	v_fma_f32 v60, v72, v64, -v60
	v_dual_fmac_f32 v37, v73, v64 :: v_dual_mul_f32 v62, v38, v69
	v_mul_f32_e32 v64, v75, v67
	v_fma_f32 v63, v38, v66, -v63
	v_fma_f32 v38, v38, v68, -v70
	v_mul_f32_e32 v70, v76, v79
	v_mul_f32_e32 v67, v74, v67
	;; [unrolled: 1-line block ×3, first 2 shown]
	v_dual_mul_f32 v69, v74, v69 :: v_dual_add_f32 v8, v8, v23
	v_dual_mul_f32 v73, v40, v79 :: v_dual_add_f32 v10, v10, v22
	v_dual_fmac_f32 v65, v39, v66 :: v_dual_add_f32 v16, v16, v84
	v_fmac_f32_e32 v62, v39, v68
	v_fma_f32 v39, v74, v66, -v64
	v_fmac_f32_e32 v70, v77, v78
	v_dual_fmac_f32 v67, v75, v66 :: v_dual_add_f32 v10, v10, v24
	v_mul_f32_e32 v66, v40, v81
	v_mul_f32_e32 v72, v41, v79
	v_dual_mul_f32 v90, v41, v81 :: v_dual_fmac_f32 v69, v75, v68
	v_add_f32_e32 v0, v0, v18
	v_fmac_f32_e32 v73, v41, v78
	v_dual_fmac_f32 v66, v41, v80 :: v_dual_mul_f32 v41, v76, v81
	v_add_f32_e32 v10, v10, v30
	v_fma_f32 v64, v74, v68, -v71
	v_dual_mul_f32 v71, v77, v81 :: v_dual_add_f32 v8, v8, v26
	s_delay_alu instid0(VALU_DEP_4)
	v_dual_fmac_f32 v41, v77, v80 :: v_dual_add_f32 v16, v16, v45
	v_add_f32_e32 v11, v11, v85
	v_add_f32_e32 v9, v9, v19
	v_dual_add_f32 v1, v1, v21 :: v_dual_add_f32 v10, v10, v32
	v_dual_add_f32 v0, v0, v28 :: v_dual_add_f32 v17, v17, v83
	v_add_f32_e32 v8, v8, v31
	s_delay_alu instid0(VALU_DEP_4) | instskip(NEXT) | instid1(VALU_DEP_4)
	v_dual_add_f32 v16, v16, v49 :: v_dual_add_f32 v9, v9, v27
	v_dual_add_f32 v10, v10, v34 :: v_dual_add_f32 v1, v1, v25
	s_delay_alu instid0(VALU_DEP_4) | instskip(NEXT) | instid1(VALU_DEP_3)
	v_add_f32_e32 v0, v0, v42
	v_dual_add_f32 v16, v16, v51 :: v_dual_add_f32 v17, v17, v89
	v_dual_add_f32 v8, v8, v46 :: v_dual_add_f32 v11, v11, v20
	s_delay_alu instid0(VALU_DEP_3) | instskip(NEXT) | instid1(VALU_DEP_2)
	v_dual_add_f32 v0, v0, v50 :: v_dual_add_f32 v9, v9, v43
	v_dual_add_f32 v17, v17, v86 :: v_dual_add_f32 v8, v8, v35
	s_delay_alu instid0(VALU_DEP_3) | instskip(SKIP_1) | instid1(VALU_DEP_3)
	v_dual_add_f32 v11, v11, v29 :: v_dual_add_f32 v10, v10, v36
	v_dual_add_f32 v1, v1, v47 :: v_dual_add_f32 v16, v16, v61
	;; [unrolled: 1-line block ×3, first 2 shown]
	s_delay_alu instid0(VALU_DEP_3) | instskip(NEXT) | instid1(VALU_DEP_3)
	v_dual_add_f32 v11, v11, v44 :: v_dual_add_f32 v0, v0, v53
	v_dual_add_f32 v16, v16, v63 :: v_dual_add_f32 v9, v9, v48
	s_delay_alu instid0(VALU_DEP_4) | instskip(NEXT) | instid1(VALU_DEP_3)
	v_dual_add_f32 v10, v10, v38 :: v_dual_add_f32 v1, v1, v33
	v_add_f32_e32 v0, v0, v60
	v_mul_f32_e32 v68, v77, v79
	v_fma_f32 v72, v40, v78, -v72
	v_fma_f32 v40, v40, v80, -v90
	s_delay_alu instid0(VALU_DEP_4) | instskip(SKIP_1) | instid1(VALU_DEP_4)
	v_dual_add_f32 v17, v17, v55 :: v_dual_add_f32 v0, v0, v64
	v_dual_add_f32 v11, v11, v52 :: v_dual_add_f32 v8, v8, v39
	;; [unrolled: 1-line block ×3, first 2 shown]
	s_delay_alu instid0(VALU_DEP_4)
	v_dual_add_f32 v1, v1, v59 :: v_dual_add_f32 v10, v10, v40
	v_fma_f32 v68, v76, v78, -v68
	v_fma_f32 v71, v76, v80, -v71
	v_add_f32_e32 v17, v17, v87
	v_add_f32_e32 v11, v11, v56
	;; [unrolled: 1-line block ×3, first 2 shown]
	s_delay_alu instid0(VALU_DEP_4) | instskip(NEXT) | instid1(VALU_DEP_4)
	v_dual_add_f32 v1, v1, v37 :: v_dual_add_f32 v0, v0, v71
	v_dual_add_f32 v8, v8, v68 :: v_dual_add_f32 v17, v17, v65
	s_delay_alu instid0(VALU_DEP_4) | instskip(NEXT) | instid1(VALU_DEP_4)
	v_add_f32_e32 v11, v11, v62
	v_add_f32_e32 v9, v9, v67
	s_delay_alu instid0(VALU_DEP_4) | instskip(NEXT) | instid1(VALU_DEP_4)
	v_add_f32_e32 v1, v1, v69
	v_add_f32_e32 v17, v17, v73
	;; [unrolled: 3-line block ×3, first 2 shown]
	s_delay_alu instid0(VALU_DEP_4)
	v_add_f32_e32 v1, v1, v41
	s_cbranch_vccz .LBB1566_2
.LBB1566_3:
	v_add_nc_u32_e32 v7, s17, v7
	s_load_b32 s4, s[0:1], 0x0
	s_delay_alu instid0(VALU_DEP_1) | instskip(SKIP_2) | instid1(VALU_DEP_3)
	v_ashrrev_i32_e32 v2, 31, v7
	v_mul_lo_u32 v5, v7, s19
	v_mad_u64_u32 v[3:4], null, v7, s18, 0
	v_mul_lo_u32 v2, v2, s18
	s_delay_alu instid0(VALU_DEP_1) | instskip(SKIP_1) | instid1(VALU_DEP_2)
	v_add3_u32 v4, v4, v5, v2
	v_add_nc_u32_e32 v2, s16, v6
	v_lshlrev_b64 v[3:4], 3, v[3:4]
	s_delay_alu instid0(VALU_DEP_2) | instskip(SKIP_2) | instid1(VALU_DEP_3)
	v_cmp_le_i32_e64 s0, v7, v2
	s_waitcnt lgkmcnt(0)
	v_cmp_gt_i32_e32 vcc_lo, s4, v2
	v_add_co_u32 v6, s1, s2, v3
	s_delay_alu instid0(VALU_DEP_1) | instskip(SKIP_1) | instid1(SALU_CYCLE_1)
	v_add_co_ci_u32_e64 v12, s1, s3, v4, s1
	s_and_b32 s0, s0, vcc_lo
	s_and_saveexec_b32 s1, s0
	s_cbranch_execz .LBB1566_5
; %bb.4:
	v_ashrrev_i32_e32 v3, 31, v2
	v_mul_f32_e32 v4, s6, v17
	v_mul_f32_e32 v5, s7, v17
	s_delay_alu instid0(VALU_DEP_3) | instskip(NEXT) | instid1(VALU_DEP_3)
	v_lshlrev_b64 v[13:14], 3, v[2:3]
	v_fmac_f32_e32 v4, s7, v16
	s_delay_alu instid0(VALU_DEP_3) | instskip(NEXT) | instid1(VALU_DEP_3)
	v_fma_f32 v3, v16, s6, -v5
	v_add_co_u32 v13, s0, v6, v13
	s_delay_alu instid0(VALU_DEP_1)
	v_add_co_ci_u32_e64 v14, s0, v12, v14, s0
	global_store_b64 v[13:14], v[3:4], off
.LBB1566_5:
	s_or_b32 exec_lo, exec_lo, s1
	v_add_nc_u32_e32 v4, 16, v2
	s_delay_alu instid0(VALU_DEP_1) | instskip(SKIP_1) | instid1(VALU_DEP_1)
	v_cmp_le_i32_e64 s1, v7, v4
	v_cmp_gt_i32_e64 s0, s4, v4
	s_and_b32 s1, s1, s0
	s_delay_alu instid0(SALU_CYCLE_1)
	s_and_saveexec_b32 s4, s1
	s_cbranch_execz .LBB1566_7
; %bb.6:
	v_ashrrev_i32_e32 v5, 31, v4
	v_mul_f32_e32 v14, s6, v11
	v_mul_f32_e32 v3, s7, v11
	s_delay_alu instid0(VALU_DEP_3) | instskip(NEXT) | instid1(VALU_DEP_3)
	v_lshlrev_b64 v[15:16], 3, v[4:5]
	v_fmac_f32_e32 v14, s7, v10
	s_delay_alu instid0(VALU_DEP_3) | instskip(NEXT) | instid1(VALU_DEP_3)
	v_fma_f32 v13, v10, s6, -v3
	v_add_co_u32 v5, s1, v6, v15
	s_delay_alu instid0(VALU_DEP_1)
	v_add_co_ci_u32_e64 v6, s1, v12, v16, s1
	global_store_b64 v[5:6], v[13:14], off
.LBB1566_7:
	s_or_b32 exec_lo, exec_lo, s4
	v_add_nc_u32_e32 v5, 16, v7
	s_delay_alu instid0(VALU_DEP_1) | instskip(SKIP_3) | instid1(VALU_DEP_4)
	v_ashrrev_i32_e32 v3, 31, v5
	v_mul_lo_u32 v10, v5, s19
	v_mad_u64_u32 v[6:7], null, v5, s18, 0
	v_cmp_le_i32_e64 s1, v5, v2
	v_mul_lo_u32 v3, v3, s18
	s_delay_alu instid0(VALU_DEP_1) | instskip(NEXT) | instid1(VALU_DEP_1)
	v_add3_u32 v7, v7, v10, v3
	v_lshlrev_b64 v[6:7], 3, v[6:7]
	s_delay_alu instid0(VALU_DEP_1) | instskip(NEXT) | instid1(VALU_DEP_1)
	v_add_co_u32 v6, s2, s2, v6
	v_add_co_ci_u32_e64 v7, s2, s3, v7, s2
	s_and_b32 s2, s1, vcc_lo
	s_delay_alu instid0(SALU_CYCLE_1)
	s_and_saveexec_b32 s1, s2
	s_cbranch_execz .LBB1566_9
; %bb.8:
	v_ashrrev_i32_e32 v3, 31, v2
	v_mul_f32_e32 v10, s6, v9
	v_mul_f32_e32 v11, s7, v9
	s_delay_alu instid0(VALU_DEP_3) | instskip(NEXT) | instid1(VALU_DEP_3)
	v_lshlrev_b64 v[2:3], 3, v[2:3]
	v_fmac_f32_e32 v10, s7, v8
	s_delay_alu instid0(VALU_DEP_3) | instskip(NEXT) | instid1(VALU_DEP_3)
	v_fma_f32 v9, v8, s6, -v11
	v_add_co_u32 v2, vcc_lo, v6, v2
	s_delay_alu instid0(VALU_DEP_4)
	v_add_co_ci_u32_e32 v3, vcc_lo, v7, v3, vcc_lo
	global_store_b64 v[2:3], v[9:10], off
.LBB1566_9:
	s_or_b32 exec_lo, exec_lo, s1
	v_cmp_le_i32_e32 vcc_lo, v5, v4
	s_and_b32 s0, vcc_lo, s0
	s_delay_alu instid0(SALU_CYCLE_1)
	s_and_saveexec_b32 s1, s0
	s_cbranch_execz .LBB1566_11
; %bb.10:
	v_ashrrev_i32_e32 v5, 31, v4
	v_mul_f32_e32 v8, s7, v1
	v_mul_f32_e32 v2, s6, v1
	s_delay_alu instid0(VALU_DEP_3) | instskip(NEXT) | instid1(VALU_DEP_3)
	v_lshlrev_b64 v[3:4], 3, v[4:5]
	v_fma_f32 v1, v0, s6, -v8
	s_delay_alu instid0(VALU_DEP_3) | instskip(NEXT) | instid1(VALU_DEP_3)
	v_fmac_f32_e32 v2, s7, v0
	v_add_co_u32 v3, vcc_lo, v6, v3
	s_delay_alu instid0(VALU_DEP_4)
	v_add_co_ci_u32_e32 v4, vcc_lo, v7, v4, vcc_lo
	global_store_b64 v[3:4], v[1:2], off
.LBB1566_11:
	s_nop 0
	s_sendmsg sendmsg(MSG_DEALLOC_VGPRS)
	s_endpgm
	.section	.rodata,"a",@progbits
	.p2align	6, 0x0
	.amdhsa_kernel _ZL37rocblas_syrkx_herkx_restricted_kernelIl19rocblas_complex_numIfELi16ELi32ELi8ELb1ELb0ELc84ELc76EKPKS1_KPS1_EviT_T0_PT8_S7_lSA_S7_lS8_PT9_S7_li
		.amdhsa_group_segment_fixed_size 4096
		.amdhsa_private_segment_fixed_size 0
		.amdhsa_kernarg_size 108
		.amdhsa_user_sgpr_count 13
		.amdhsa_user_sgpr_dispatch_ptr 0
		.amdhsa_user_sgpr_queue_ptr 0
		.amdhsa_user_sgpr_kernarg_segment_ptr 1
		.amdhsa_user_sgpr_dispatch_id 0
		.amdhsa_user_sgpr_private_segment_size 0
		.amdhsa_wavefront_size32 1
		.amdhsa_uses_dynamic_stack 0
		.amdhsa_enable_private_segment 0
		.amdhsa_system_sgpr_workgroup_id_x 1
		.amdhsa_system_sgpr_workgroup_id_y 1
		.amdhsa_system_sgpr_workgroup_id_z 1
		.amdhsa_system_sgpr_workgroup_info 0
		.amdhsa_system_vgpr_workitem_id 1
		.amdhsa_next_free_vgpr 91
		.amdhsa_next_free_sgpr 22
		.amdhsa_reserve_vcc 1
		.amdhsa_float_round_mode_32 0
		.amdhsa_float_round_mode_16_64 0
		.amdhsa_float_denorm_mode_32 3
		.amdhsa_float_denorm_mode_16_64 3
		.amdhsa_dx10_clamp 1
		.amdhsa_ieee_mode 1
		.amdhsa_fp16_overflow 0
		.amdhsa_workgroup_processor_mode 1
		.amdhsa_memory_ordered 1
		.amdhsa_forward_progress 0
		.amdhsa_shared_vgpr_count 0
		.amdhsa_exception_fp_ieee_invalid_op 0
		.amdhsa_exception_fp_denorm_src 0
		.amdhsa_exception_fp_ieee_div_zero 0
		.amdhsa_exception_fp_ieee_overflow 0
		.amdhsa_exception_fp_ieee_underflow 0
		.amdhsa_exception_fp_ieee_inexact 0
		.amdhsa_exception_int_div_zero 0
	.end_amdhsa_kernel
	.section	.text._ZL37rocblas_syrkx_herkx_restricted_kernelIl19rocblas_complex_numIfELi16ELi32ELi8ELb1ELb0ELc84ELc76EKPKS1_KPS1_EviT_T0_PT8_S7_lSA_S7_lS8_PT9_S7_li,"axG",@progbits,_ZL37rocblas_syrkx_herkx_restricted_kernelIl19rocblas_complex_numIfELi16ELi32ELi8ELb1ELb0ELc84ELc76EKPKS1_KPS1_EviT_T0_PT8_S7_lSA_S7_lS8_PT9_S7_li,comdat
.Lfunc_end1566:
	.size	_ZL37rocblas_syrkx_herkx_restricted_kernelIl19rocblas_complex_numIfELi16ELi32ELi8ELb1ELb0ELc84ELc76EKPKS1_KPS1_EviT_T0_PT8_S7_lSA_S7_lS8_PT9_S7_li, .Lfunc_end1566-_ZL37rocblas_syrkx_herkx_restricted_kernelIl19rocblas_complex_numIfELi16ELi32ELi8ELb1ELb0ELc84ELc76EKPKS1_KPS1_EviT_T0_PT8_S7_lSA_S7_lS8_PT9_S7_li
                                        ; -- End function
	.section	.AMDGPU.csdata,"",@progbits
; Kernel info:
; codeLenInByte = 2228
; NumSgprs: 24
; NumVgprs: 91
; ScratchSize: 0
; MemoryBound: 0
; FloatMode: 240
; IeeeMode: 1
; LDSByteSize: 4096 bytes/workgroup (compile time only)
; SGPRBlocks: 2
; VGPRBlocks: 11
; NumSGPRsForWavesPerEU: 24
; NumVGPRsForWavesPerEU: 91
; Occupancy: 16
; WaveLimiterHint : 1
; COMPUTE_PGM_RSRC2:SCRATCH_EN: 0
; COMPUTE_PGM_RSRC2:USER_SGPR: 13
; COMPUTE_PGM_RSRC2:TRAP_HANDLER: 0
; COMPUTE_PGM_RSRC2:TGID_X_EN: 1
; COMPUTE_PGM_RSRC2:TGID_Y_EN: 1
; COMPUTE_PGM_RSRC2:TGID_Z_EN: 1
; COMPUTE_PGM_RSRC2:TIDIG_COMP_CNT: 1
	.section	.text._ZL37rocblas_syrkx_herkx_restricted_kernelIl19rocblas_complex_numIfELi16ELi32ELi8ELb1ELb0ELc67ELc76EKPKS1_KPS1_EviT_T0_PT8_S7_lSA_S7_lS8_PT9_S7_li,"axG",@progbits,_ZL37rocblas_syrkx_herkx_restricted_kernelIl19rocblas_complex_numIfELi16ELi32ELi8ELb1ELb0ELc67ELc76EKPKS1_KPS1_EviT_T0_PT8_S7_lSA_S7_lS8_PT9_S7_li,comdat
	.globl	_ZL37rocblas_syrkx_herkx_restricted_kernelIl19rocblas_complex_numIfELi16ELi32ELi8ELb1ELb0ELc67ELc76EKPKS1_KPS1_EviT_T0_PT8_S7_lSA_S7_lS8_PT9_S7_li ; -- Begin function _ZL37rocblas_syrkx_herkx_restricted_kernelIl19rocblas_complex_numIfELi16ELi32ELi8ELb1ELb0ELc67ELc76EKPKS1_KPS1_EviT_T0_PT8_S7_lSA_S7_lS8_PT9_S7_li
	.p2align	8
	.type	_ZL37rocblas_syrkx_herkx_restricted_kernelIl19rocblas_complex_numIfELi16ELi32ELi8ELb1ELb0ELc67ELc76EKPKS1_KPS1_EviT_T0_PT8_S7_lSA_S7_lS8_PT9_S7_li,@function
_ZL37rocblas_syrkx_herkx_restricted_kernelIl19rocblas_complex_numIfELi16ELi32ELi8ELb1ELb0ELc67ELc76EKPKS1_KPS1_EviT_T0_PT8_S7_lSA_S7_lS8_PT9_S7_li: ; @_ZL37rocblas_syrkx_herkx_restricted_kernelIl19rocblas_complex_numIfELi16ELi32ELi8ELb1ELb0ELc67ELc76EKPKS1_KPS1_EviT_T0_PT8_S7_lSA_S7_lS8_PT9_S7_li
; %bb.0:
	s_clause 0x1
	s_load_b128 s[16:19], s[0:1], 0x50
	s_load_b256 s[4:11], s[0:1], 0x8
	s_mov_b32 s2, s15
	s_mov_b32 s3, 0
	v_dual_mov_b32 v17, 0 :: v_dual_and_b32 v6, 0x3ff, v0
	s_lshl_b64 s[20:21], s[2:3], 3
	v_bfe_u32 v7, v0, 10, 10
	v_dual_mov_b32 v16, 0 :: v_dual_mov_b32 v11, 0
	v_dual_mov_b32 v10, 0 :: v_dual_mov_b32 v9, 0
	;; [unrolled: 1-line block ×3, first 2 shown]
	v_mov_b32_e32 v0, 0
	s_waitcnt lgkmcnt(0)
	s_add_u32 s2, s16, s20
	s_addc_u32 s3, s17, s21
	v_cmp_lt_i64_e64 s12, s[4:5], 1
	s_load_b64 s[2:3], s[2:3], 0x0
	s_lshl_b32 s16, s13, 5
	s_lshl_b32 s17, s14, 5
	s_delay_alu instid0(VALU_DEP_1)
	s_and_b32 vcc_lo, exec_lo, s12
	s_cbranch_vccnz .LBB1567_3
; %bb.1:
	s_load_b128 s[12:15], s[0:1], 0x30
	v_lshl_add_u32 v2, v7, 4, v6
	v_dual_mov_b32 v1, 0 :: v_dual_and_b32 v0, 7, v6
	s_add_u32 s8, s8, s20
	s_addc_u32 s9, s9, s21
	s_delay_alu instid0(VALU_DEP_2) | instskip(SKIP_3) | instid1(VALU_DEP_3)
	v_and_b32_e32 v11, 31, v2
	v_lshrrev_b32_e32 v10, 3, v2
	v_lshrrev_b32_e32 v2, 5, v2
	s_load_b64 s[8:9], s[8:9], 0x0
	v_dual_mov_b32 v3, v1 :: v_dual_add_nc_u32 v8, s16, v11
	s_delay_alu instid0(VALU_DEP_3) | instskip(SKIP_2) | instid1(VALU_DEP_4)
	v_add_nc_u32_e32 v12, s17, v10
	v_dual_mov_b32 v16, v1 :: v_dual_lshlrev_b32 v11, 3, v11
	v_mov_b32_e32 v17, v1
	v_ashrrev_i32_e32 v13, 31, v8
	s_delay_alu instid0(VALU_DEP_4)
	v_ashrrev_i32_e32 v9, 31, v12
	v_mad_u64_u32 v[4:5], null, s10, v8, v[2:3]
	s_waitcnt lgkmcnt(0)
	s_add_u32 s12, s12, s20
	v_mul_lo_u32 v3, s11, v8
	v_mul_lo_u32 v13, s10, v13
	s_addc_u32 s13, s13, s21
	v_mul_lo_u32 v14, v9, s14
	s_load_b64 s[10:11], s[12:13], 0x0
	v_mul_lo_u32 v15, v12, s15
	v_mad_u64_u32 v[8:9], null, v12, s14, v[0:1]
	v_lshlrev_b32_e32 v0, 3, v0
	v_add3_u32 v5, v3, v5, v13
	v_lshlrev_b32_e32 v12, 3, v6
	v_lshl_add_u32 v13, v7, 6, 0x800
	v_add3_u32 v9, v14, v9, v15
	s_delay_alu instid0(VALU_DEP_4) | instskip(SKIP_4) | instid1(VALU_DEP_2)
	v_lshlrev_b64 v[3:4], 3, v[4:5]
	v_lshl_or_b32 v14, v2, 8, v11
	v_mov_b32_e32 v11, v1
	v_lshl_or_b32 v0, v10, 6, v0
	v_lshlrev_b64 v[8:9], 3, v[8:9]
	v_dual_mov_b32 v10, v1 :: v_dual_add_nc_u32 v15, 0x800, v0
	v_add_co_u32 v0, vcc_lo, v3, s8
	v_add_co_ci_u32_e32 v3, vcc_lo, s9, v4, vcc_lo
	s_waitcnt lgkmcnt(0)
	s_delay_alu instid0(VALU_DEP_4) | instskip(SKIP_3) | instid1(VALU_DEP_4)
	v_add_co_u32 v4, vcc_lo, v8, s10
	v_add_co_ci_u32_e32 v5, vcc_lo, s11, v9, vcc_lo
	v_add_co_u32 v2, vcc_lo, v0, 4
	v_add_co_ci_u32_e32 v3, vcc_lo, 0, v3, vcc_lo
	v_add_co_u32 v4, vcc_lo, v4, 4
	s_delay_alu instid0(VALU_DEP_4)
	v_add_co_ci_u32_e32 v5, vcc_lo, 0, v5, vcc_lo
	v_mov_b32_e32 v0, v1
	v_mov_b32_e32 v9, v1
	;; [unrolled: 1-line block ×3, first 2 shown]
	s_mov_b64 s[8:9], 0
.LBB1567_2:                             ; =>This Inner Loop Header: Depth=1
	global_load_b64 v[18:19], v[2:3], off offset:-4
	global_load_b64 v[20:21], v[4:5], off offset:-4
	s_add_u32 s8, s8, 8
	v_add_co_u32 v2, vcc_lo, v2, 64
	s_addc_u32 s9, s9, 0
	v_add_co_ci_u32_e32 v3, vcc_lo, 0, v3, vcc_lo
	v_cmp_ge_u64_e64 s10, s[8:9], s[4:5]
	v_add_co_u32 v4, vcc_lo, v4, 64
	v_add_co_ci_u32_e32 v5, vcc_lo, 0, v5, vcc_lo
	s_waitcnt vmcnt(1)
	ds_store_b64 v14, v[18:19]
	s_waitcnt vmcnt(0)
	ds_store_b64 v15, v[20:21]
	s_waitcnt lgkmcnt(0)
	s_barrier
	buffer_gl0_inv
	ds_load_2addr_b64 v[18:21], v12 offset1:16
	ds_load_b128 v[22:25], v13
	ds_load_b128 v[26:29], v13 offset:1024
	ds_load_b128 v[30:33], v13 offset:16
	;; [unrolled: 1-line block ×4, first 2 shown]
	ds_load_2addr_b64 v[42:45], v12 offset0:32 offset1:48
	ds_load_2addr_b64 v[46:49], v12 offset0:64 offset1:80
	ds_load_b128 v[50:53], v13 offset:1040
	ds_load_2addr_b64 v[54:57], v12 offset0:96 offset1:112
	ds_load_2addr_b64 v[58:61], v12 offset0:128 offset1:144
	;; [unrolled: 1-line block ×4, first 2 shown]
	ds_load_b128 v[70:73], v13 offset:1056
	ds_load_b128 v[74:77], v13 offset:1072
	ds_load_2addr_b64 v[78:81], v12 offset0:224 offset1:240
	s_and_b32 vcc_lo, exec_lo, s10
	s_waitcnt lgkmcnt(0)
	s_barrier
	buffer_gl0_inv
	v_dual_mul_f32 v82, v23, v19 :: v_dual_mul_f32 v85, v22, v21
	v_dual_mul_f32 v83, v22, v19 :: v_dual_mul_f32 v84, v23, v21
	v_mul_f32_e32 v86, v27, v19
	v_dual_mul_f32 v19, v26, v19 :: v_dual_mul_f32 v90, v25, v45
	v_dual_mul_f32 v87, v27, v21 :: v_dual_mul_f32 v88, v25, v43
	v_mul_f32_e32 v21, v26, v21
	v_fma_f32 v82, v22, v18, -v82
	v_fmac_f32_e32 v83, v23, v18
	v_fma_f32 v22, v22, v20, -v84
	v_fmac_f32_e32 v85, v23, v20
	v_fma_f32 v23, v26, v18, -v86
	v_dual_fmac_f32 v19, v27, v18 :: v_dual_mul_f32 v86, v30, v47
	v_fma_f32 v18, v26, v20, -v87
	v_dual_fmac_f32 v21, v27, v20 :: v_dual_mul_f32 v20, v24, v45
	v_mul_f32_e32 v89, v24, v43
	v_mul_f32_e32 v26, v29, v43
	;; [unrolled: 1-line block ×4, first 2 shown]
	v_fmac_f32_e32 v20, v25, v44
	v_fmac_f32_e32 v89, v25, v42
	v_dual_mul_f32 v25, v28, v45 :: v_dual_fmac_f32 v86, v31, v46
	v_fma_f32 v84, v24, v42, -v88
	v_fma_f32 v24, v24, v44, -v90
	v_dual_mul_f32 v45, v31, v47 :: v_dual_mul_f32 v90, v33, v57
	v_fma_f32 v26, v28, v42, -v26
	v_fma_f32 v28, v28, v44, -v43
	v_fmac_f32_e32 v25, v29, v44
	v_dual_mul_f32 v43, v50, v47 :: v_dual_mul_f32 v44, v51, v49
	v_dual_fmac_f32 v27, v29, v42 :: v_dual_mul_f32 v42, v51, v47
	v_dual_mul_f32 v88, v32, v55 :: v_dual_mul_f32 v29, v30, v49
	v_mul_f32_e32 v87, v31, v49
	v_fma_f32 v45, v30, v46, -v45
	v_add_f32_e32 v16, v16, v82
	s_delay_alu instid0(VALU_DEP_4)
	v_dual_fmac_f32 v88, v33, v54 :: v_dual_fmac_f32 v29, v31, v48
	v_fma_f32 v31, v50, v46, -v42
	v_fma_f32 v42, v50, v48, -v44
	v_mul_f32_e32 v44, v32, v57
	v_mul_f32_e32 v47, v50, v49
	v_dual_mul_f32 v50, v53, v57 :: v_dual_fmac_f32 v43, v51, v46
	v_mul_f32_e32 v46, v53, v55
	v_mul_f32_e32 v49, v33, v55
	v_fma_f32 v30, v30, v48, -v87
	v_fmac_f32_e32 v44, v33, v56
	v_dual_fmac_f32 v47, v51, v48 :: v_dual_mul_f32 v48, v52, v55
	v_mul_f32_e32 v33, v52, v57
	v_fma_f32 v46, v52, v54, -v46
	v_fma_f32 v50, v52, v56, -v50
	v_mul_f32_e32 v52, v34, v61
	v_fma_f32 v49, v32, v54, -v49
	v_fma_f32 v32, v32, v56, -v90
	v_dual_mul_f32 v51, v35, v59 :: v_dual_fmac_f32 v48, v53, v54
	v_mul_f32_e32 v54, v70, v59
	v_dual_mul_f32 v55, v34, v59 :: v_dual_fmac_f32 v52, v35, v60
	v_fmac_f32_e32 v33, v53, v56
	v_mul_f32_e32 v53, v71, v59
	v_mul_f32_e32 v56, v71, v61
	;; [unrolled: 1-line block ×3, first 2 shown]
	v_fmac_f32_e32 v54, v71, v58
	v_fmac_f32_e32 v55, v35, v58
	v_fma_f32 v35, v70, v58, -v53
	v_fma_f32 v53, v70, v60, -v56
	v_mul_f32_e32 v56, v36, v65
	v_mul_f32_e32 v59, v70, v61
	v_fma_f32 v51, v34, v58, -v51
	v_mul_f32_e32 v58, v72, v63
	v_mul_f32_e32 v87, v36, v63
	;; [unrolled: 1-line block ×4, first 2 shown]
	v_fma_f32 v34, v34, v60, -v57
	v_mul_f32_e32 v57, v73, v63
	v_fmac_f32_e32 v56, v37, v64
	v_dual_fmac_f32 v59, v71, v60 :: v_dual_mul_f32 v60, v73, v65
	v_mul_f32_e32 v63, v39, v67
	v_mul_f32_e32 v70, v39, v69
	v_fmac_f32_e32 v58, v73, v62
	v_fmac_f32_e32 v87, v37, v62
	v_mul_f32_e32 v37, v72, v65
	v_fma_f32 v61, v36, v62, -v61
	v_fma_f32 v36, v36, v64, -v90
	v_mul_f32_e32 v65, v38, v67
	v_fma_f32 v57, v72, v62, -v57
	v_fma_f32 v60, v72, v64, -v60
	v_dual_fmac_f32 v37, v73, v64 :: v_dual_mul_f32 v62, v38, v69
	v_mul_f32_e32 v64, v75, v67
	v_fma_f32 v63, v38, v66, -v63
	v_fma_f32 v38, v38, v68, -v70
	v_mul_f32_e32 v70, v76, v79
	v_mul_f32_e32 v67, v74, v67
	;; [unrolled: 1-line block ×3, first 2 shown]
	v_dual_mul_f32 v69, v74, v69 :: v_dual_add_f32 v8, v8, v23
	v_dual_mul_f32 v73, v40, v79 :: v_dual_add_f32 v10, v10, v22
	v_dual_fmac_f32 v65, v39, v66 :: v_dual_add_f32 v16, v16, v84
	v_fmac_f32_e32 v62, v39, v68
	v_fma_f32 v39, v74, v66, -v64
	v_fmac_f32_e32 v70, v77, v78
	v_dual_fmac_f32 v67, v75, v66 :: v_dual_add_f32 v10, v10, v24
	v_mul_f32_e32 v66, v40, v81
	v_mul_f32_e32 v72, v41, v79
	v_dual_mul_f32 v90, v41, v81 :: v_dual_fmac_f32 v69, v75, v68
	v_add_f32_e32 v0, v0, v18
	v_fmac_f32_e32 v73, v41, v78
	v_dual_fmac_f32 v66, v41, v80 :: v_dual_mul_f32 v41, v76, v81
	v_add_f32_e32 v10, v10, v30
	v_fma_f32 v64, v74, v68, -v71
	v_dual_mul_f32 v71, v77, v81 :: v_dual_add_f32 v8, v8, v26
	s_delay_alu instid0(VALU_DEP_4)
	v_dual_fmac_f32 v41, v77, v80 :: v_dual_add_f32 v16, v16, v45
	v_add_f32_e32 v11, v11, v85
	v_add_f32_e32 v9, v9, v19
	v_dual_add_f32 v1, v1, v21 :: v_dual_add_f32 v10, v10, v32
	v_dual_add_f32 v0, v0, v28 :: v_dual_add_f32 v17, v17, v83
	v_add_f32_e32 v8, v8, v31
	s_delay_alu instid0(VALU_DEP_4) | instskip(NEXT) | instid1(VALU_DEP_4)
	v_dual_add_f32 v16, v16, v49 :: v_dual_add_f32 v9, v9, v27
	v_dual_add_f32 v10, v10, v34 :: v_dual_add_f32 v1, v1, v25
	s_delay_alu instid0(VALU_DEP_4) | instskip(NEXT) | instid1(VALU_DEP_3)
	v_add_f32_e32 v0, v0, v42
	v_dual_add_f32 v16, v16, v51 :: v_dual_add_f32 v17, v17, v89
	v_dual_add_f32 v8, v8, v46 :: v_dual_add_f32 v11, v11, v20
	s_delay_alu instid0(VALU_DEP_3) | instskip(NEXT) | instid1(VALU_DEP_2)
	v_dual_add_f32 v0, v0, v50 :: v_dual_add_f32 v9, v9, v43
	v_dual_add_f32 v17, v17, v86 :: v_dual_add_f32 v8, v8, v35
	s_delay_alu instid0(VALU_DEP_3) | instskip(SKIP_1) | instid1(VALU_DEP_3)
	v_dual_add_f32 v11, v11, v29 :: v_dual_add_f32 v10, v10, v36
	v_dual_add_f32 v1, v1, v47 :: v_dual_add_f32 v16, v16, v61
	;; [unrolled: 1-line block ×3, first 2 shown]
	s_delay_alu instid0(VALU_DEP_3) | instskip(NEXT) | instid1(VALU_DEP_3)
	v_dual_add_f32 v11, v11, v44 :: v_dual_add_f32 v0, v0, v53
	v_dual_add_f32 v16, v16, v63 :: v_dual_add_f32 v9, v9, v48
	s_delay_alu instid0(VALU_DEP_4) | instskip(NEXT) | instid1(VALU_DEP_3)
	v_dual_add_f32 v10, v10, v38 :: v_dual_add_f32 v1, v1, v33
	v_add_f32_e32 v0, v0, v60
	v_mul_f32_e32 v68, v77, v79
	v_fma_f32 v72, v40, v78, -v72
	v_fma_f32 v40, v40, v80, -v90
	s_delay_alu instid0(VALU_DEP_4) | instskip(SKIP_1) | instid1(VALU_DEP_4)
	v_dual_add_f32 v17, v17, v55 :: v_dual_add_f32 v0, v0, v64
	v_dual_add_f32 v11, v11, v52 :: v_dual_add_f32 v8, v8, v39
	;; [unrolled: 1-line block ×3, first 2 shown]
	s_delay_alu instid0(VALU_DEP_4)
	v_dual_add_f32 v1, v1, v59 :: v_dual_add_f32 v10, v10, v40
	v_fma_f32 v68, v76, v78, -v68
	v_fma_f32 v71, v76, v80, -v71
	v_add_f32_e32 v17, v17, v87
	v_add_f32_e32 v11, v11, v56
	;; [unrolled: 1-line block ×3, first 2 shown]
	s_delay_alu instid0(VALU_DEP_4) | instskip(NEXT) | instid1(VALU_DEP_4)
	v_dual_add_f32 v1, v1, v37 :: v_dual_add_f32 v0, v0, v71
	v_dual_add_f32 v8, v8, v68 :: v_dual_add_f32 v17, v17, v65
	s_delay_alu instid0(VALU_DEP_4) | instskip(NEXT) | instid1(VALU_DEP_4)
	v_add_f32_e32 v11, v11, v62
	v_add_f32_e32 v9, v9, v67
	s_delay_alu instid0(VALU_DEP_4) | instskip(NEXT) | instid1(VALU_DEP_4)
	v_add_f32_e32 v1, v1, v69
	v_add_f32_e32 v17, v17, v73
	;; [unrolled: 3-line block ×3, first 2 shown]
	s_delay_alu instid0(VALU_DEP_4)
	v_add_f32_e32 v1, v1, v41
	s_cbranch_vccz .LBB1567_2
.LBB1567_3:
	v_add_nc_u32_e32 v7, s17, v7
	s_load_b32 s4, s[0:1], 0x0
	s_delay_alu instid0(VALU_DEP_1) | instskip(SKIP_2) | instid1(VALU_DEP_3)
	v_ashrrev_i32_e32 v2, 31, v7
	v_mul_lo_u32 v5, v7, s19
	v_mad_u64_u32 v[3:4], null, v7, s18, 0
	v_mul_lo_u32 v2, v2, s18
	s_delay_alu instid0(VALU_DEP_1) | instskip(SKIP_1) | instid1(VALU_DEP_2)
	v_add3_u32 v4, v4, v5, v2
	v_add_nc_u32_e32 v2, s16, v6
	v_lshlrev_b64 v[3:4], 3, v[3:4]
	s_delay_alu instid0(VALU_DEP_2) | instskip(SKIP_2) | instid1(VALU_DEP_3)
	v_cmp_le_i32_e64 s0, v7, v2
	s_waitcnt lgkmcnt(0)
	v_cmp_gt_i32_e32 vcc_lo, s4, v2
	v_add_co_u32 v6, s1, s2, v3
	s_delay_alu instid0(VALU_DEP_1) | instskip(SKIP_1) | instid1(SALU_CYCLE_1)
	v_add_co_ci_u32_e64 v12, s1, s3, v4, s1
	s_and_b32 s0, s0, vcc_lo
	s_and_saveexec_b32 s1, s0
	s_cbranch_execz .LBB1567_5
; %bb.4:
	v_ashrrev_i32_e32 v3, 31, v2
	v_mul_f32_e32 v4, s6, v17
	v_mul_f32_e32 v5, s7, v17
	s_delay_alu instid0(VALU_DEP_3) | instskip(NEXT) | instid1(VALU_DEP_3)
	v_lshlrev_b64 v[13:14], 3, v[2:3]
	v_fmac_f32_e32 v4, s7, v16
	s_delay_alu instid0(VALU_DEP_3) | instskip(NEXT) | instid1(VALU_DEP_3)
	v_fma_f32 v3, v16, s6, -v5
	v_add_co_u32 v13, s0, v6, v13
	s_delay_alu instid0(VALU_DEP_1)
	v_add_co_ci_u32_e64 v14, s0, v12, v14, s0
	global_store_b64 v[13:14], v[3:4], off
.LBB1567_5:
	s_or_b32 exec_lo, exec_lo, s1
	v_add_nc_u32_e32 v4, 16, v2
	s_delay_alu instid0(VALU_DEP_1) | instskip(SKIP_1) | instid1(VALU_DEP_1)
	v_cmp_le_i32_e64 s1, v7, v4
	v_cmp_gt_i32_e64 s0, s4, v4
	s_and_b32 s1, s1, s0
	s_delay_alu instid0(SALU_CYCLE_1)
	s_and_saveexec_b32 s4, s1
	s_cbranch_execz .LBB1567_7
; %bb.6:
	v_ashrrev_i32_e32 v5, 31, v4
	v_mul_f32_e32 v14, s6, v11
	v_mul_f32_e32 v3, s7, v11
	s_delay_alu instid0(VALU_DEP_3) | instskip(NEXT) | instid1(VALU_DEP_3)
	v_lshlrev_b64 v[15:16], 3, v[4:5]
	v_fmac_f32_e32 v14, s7, v10
	s_delay_alu instid0(VALU_DEP_3) | instskip(NEXT) | instid1(VALU_DEP_3)
	v_fma_f32 v13, v10, s6, -v3
	v_add_co_u32 v5, s1, v6, v15
	s_delay_alu instid0(VALU_DEP_1)
	v_add_co_ci_u32_e64 v6, s1, v12, v16, s1
	global_store_b64 v[5:6], v[13:14], off
.LBB1567_7:
	s_or_b32 exec_lo, exec_lo, s4
	v_add_nc_u32_e32 v5, 16, v7
	s_delay_alu instid0(VALU_DEP_1) | instskip(SKIP_3) | instid1(VALU_DEP_4)
	v_ashrrev_i32_e32 v3, 31, v5
	v_mul_lo_u32 v10, v5, s19
	v_mad_u64_u32 v[6:7], null, v5, s18, 0
	v_cmp_le_i32_e64 s1, v5, v2
	v_mul_lo_u32 v3, v3, s18
	s_delay_alu instid0(VALU_DEP_1) | instskip(NEXT) | instid1(VALU_DEP_1)
	v_add3_u32 v7, v7, v10, v3
	v_lshlrev_b64 v[6:7], 3, v[6:7]
	s_delay_alu instid0(VALU_DEP_1) | instskip(NEXT) | instid1(VALU_DEP_1)
	v_add_co_u32 v6, s2, s2, v6
	v_add_co_ci_u32_e64 v7, s2, s3, v7, s2
	s_and_b32 s2, s1, vcc_lo
	s_delay_alu instid0(SALU_CYCLE_1)
	s_and_saveexec_b32 s1, s2
	s_cbranch_execz .LBB1567_9
; %bb.8:
	v_ashrrev_i32_e32 v3, 31, v2
	v_mul_f32_e32 v10, s6, v9
	v_mul_f32_e32 v11, s7, v9
	s_delay_alu instid0(VALU_DEP_3) | instskip(NEXT) | instid1(VALU_DEP_3)
	v_lshlrev_b64 v[2:3], 3, v[2:3]
	v_fmac_f32_e32 v10, s7, v8
	s_delay_alu instid0(VALU_DEP_3) | instskip(NEXT) | instid1(VALU_DEP_3)
	v_fma_f32 v9, v8, s6, -v11
	v_add_co_u32 v2, vcc_lo, v6, v2
	s_delay_alu instid0(VALU_DEP_4)
	v_add_co_ci_u32_e32 v3, vcc_lo, v7, v3, vcc_lo
	global_store_b64 v[2:3], v[9:10], off
.LBB1567_9:
	s_or_b32 exec_lo, exec_lo, s1
	v_cmp_le_i32_e32 vcc_lo, v5, v4
	s_and_b32 s0, vcc_lo, s0
	s_delay_alu instid0(SALU_CYCLE_1)
	s_and_saveexec_b32 s1, s0
	s_cbranch_execz .LBB1567_11
; %bb.10:
	v_ashrrev_i32_e32 v5, 31, v4
	v_mul_f32_e32 v8, s7, v1
	v_mul_f32_e32 v2, s6, v1
	s_delay_alu instid0(VALU_DEP_3) | instskip(NEXT) | instid1(VALU_DEP_3)
	v_lshlrev_b64 v[3:4], 3, v[4:5]
	v_fma_f32 v1, v0, s6, -v8
	s_delay_alu instid0(VALU_DEP_3) | instskip(NEXT) | instid1(VALU_DEP_3)
	v_fmac_f32_e32 v2, s7, v0
	v_add_co_u32 v3, vcc_lo, v6, v3
	s_delay_alu instid0(VALU_DEP_4)
	v_add_co_ci_u32_e32 v4, vcc_lo, v7, v4, vcc_lo
	global_store_b64 v[3:4], v[1:2], off
.LBB1567_11:
	s_nop 0
	s_sendmsg sendmsg(MSG_DEALLOC_VGPRS)
	s_endpgm
	.section	.rodata,"a",@progbits
	.p2align	6, 0x0
	.amdhsa_kernel _ZL37rocblas_syrkx_herkx_restricted_kernelIl19rocblas_complex_numIfELi16ELi32ELi8ELb1ELb0ELc67ELc76EKPKS1_KPS1_EviT_T0_PT8_S7_lSA_S7_lS8_PT9_S7_li
		.amdhsa_group_segment_fixed_size 4096
		.amdhsa_private_segment_fixed_size 0
		.amdhsa_kernarg_size 108
		.amdhsa_user_sgpr_count 13
		.amdhsa_user_sgpr_dispatch_ptr 0
		.amdhsa_user_sgpr_queue_ptr 0
		.amdhsa_user_sgpr_kernarg_segment_ptr 1
		.amdhsa_user_sgpr_dispatch_id 0
		.amdhsa_user_sgpr_private_segment_size 0
		.amdhsa_wavefront_size32 1
		.amdhsa_uses_dynamic_stack 0
		.amdhsa_enable_private_segment 0
		.amdhsa_system_sgpr_workgroup_id_x 1
		.amdhsa_system_sgpr_workgroup_id_y 1
		.amdhsa_system_sgpr_workgroup_id_z 1
		.amdhsa_system_sgpr_workgroup_info 0
		.amdhsa_system_vgpr_workitem_id 1
		.amdhsa_next_free_vgpr 91
		.amdhsa_next_free_sgpr 22
		.amdhsa_reserve_vcc 1
		.amdhsa_float_round_mode_32 0
		.amdhsa_float_round_mode_16_64 0
		.amdhsa_float_denorm_mode_32 3
		.amdhsa_float_denorm_mode_16_64 3
		.amdhsa_dx10_clamp 1
		.amdhsa_ieee_mode 1
		.amdhsa_fp16_overflow 0
		.amdhsa_workgroup_processor_mode 1
		.amdhsa_memory_ordered 1
		.amdhsa_forward_progress 0
		.amdhsa_shared_vgpr_count 0
		.amdhsa_exception_fp_ieee_invalid_op 0
		.amdhsa_exception_fp_denorm_src 0
		.amdhsa_exception_fp_ieee_div_zero 0
		.amdhsa_exception_fp_ieee_overflow 0
		.amdhsa_exception_fp_ieee_underflow 0
		.amdhsa_exception_fp_ieee_inexact 0
		.amdhsa_exception_int_div_zero 0
	.end_amdhsa_kernel
	.section	.text._ZL37rocblas_syrkx_herkx_restricted_kernelIl19rocblas_complex_numIfELi16ELi32ELi8ELb1ELb0ELc67ELc76EKPKS1_KPS1_EviT_T0_PT8_S7_lSA_S7_lS8_PT9_S7_li,"axG",@progbits,_ZL37rocblas_syrkx_herkx_restricted_kernelIl19rocblas_complex_numIfELi16ELi32ELi8ELb1ELb0ELc67ELc76EKPKS1_KPS1_EviT_T0_PT8_S7_lSA_S7_lS8_PT9_S7_li,comdat
.Lfunc_end1567:
	.size	_ZL37rocblas_syrkx_herkx_restricted_kernelIl19rocblas_complex_numIfELi16ELi32ELi8ELb1ELb0ELc67ELc76EKPKS1_KPS1_EviT_T0_PT8_S7_lSA_S7_lS8_PT9_S7_li, .Lfunc_end1567-_ZL37rocblas_syrkx_herkx_restricted_kernelIl19rocblas_complex_numIfELi16ELi32ELi8ELb1ELb0ELc67ELc76EKPKS1_KPS1_EviT_T0_PT8_S7_lSA_S7_lS8_PT9_S7_li
                                        ; -- End function
	.section	.AMDGPU.csdata,"",@progbits
; Kernel info:
; codeLenInByte = 2228
; NumSgprs: 24
; NumVgprs: 91
; ScratchSize: 0
; MemoryBound: 0
; FloatMode: 240
; IeeeMode: 1
; LDSByteSize: 4096 bytes/workgroup (compile time only)
; SGPRBlocks: 2
; VGPRBlocks: 11
; NumSGPRsForWavesPerEU: 24
; NumVGPRsForWavesPerEU: 91
; Occupancy: 16
; WaveLimiterHint : 1
; COMPUTE_PGM_RSRC2:SCRATCH_EN: 0
; COMPUTE_PGM_RSRC2:USER_SGPR: 13
; COMPUTE_PGM_RSRC2:TRAP_HANDLER: 0
; COMPUTE_PGM_RSRC2:TGID_X_EN: 1
; COMPUTE_PGM_RSRC2:TGID_Y_EN: 1
; COMPUTE_PGM_RSRC2:TGID_Z_EN: 1
; COMPUTE_PGM_RSRC2:TIDIG_COMP_CNT: 1
	.section	.text._ZL37rocblas_syrkx_herkx_restricted_kernelIl19rocblas_complex_numIfELi16ELi32ELi8ELb1ELb0ELc78ELc76EKPKS1_KPS1_EviT_T0_PT8_S7_lSA_S7_lS8_PT9_S7_li,"axG",@progbits,_ZL37rocblas_syrkx_herkx_restricted_kernelIl19rocblas_complex_numIfELi16ELi32ELi8ELb1ELb0ELc78ELc76EKPKS1_KPS1_EviT_T0_PT8_S7_lSA_S7_lS8_PT9_S7_li,comdat
	.globl	_ZL37rocblas_syrkx_herkx_restricted_kernelIl19rocblas_complex_numIfELi16ELi32ELi8ELb1ELb0ELc78ELc76EKPKS1_KPS1_EviT_T0_PT8_S7_lSA_S7_lS8_PT9_S7_li ; -- Begin function _ZL37rocblas_syrkx_herkx_restricted_kernelIl19rocblas_complex_numIfELi16ELi32ELi8ELb1ELb0ELc78ELc76EKPKS1_KPS1_EviT_T0_PT8_S7_lSA_S7_lS8_PT9_S7_li
	.p2align	8
	.type	_ZL37rocblas_syrkx_herkx_restricted_kernelIl19rocblas_complex_numIfELi16ELi32ELi8ELb1ELb0ELc78ELc76EKPKS1_KPS1_EviT_T0_PT8_S7_lSA_S7_lS8_PT9_S7_li,@function
_ZL37rocblas_syrkx_herkx_restricted_kernelIl19rocblas_complex_numIfELi16ELi32ELi8ELb1ELb0ELc78ELc76EKPKS1_KPS1_EviT_T0_PT8_S7_lSA_S7_lS8_PT9_S7_li: ; @_ZL37rocblas_syrkx_herkx_restricted_kernelIl19rocblas_complex_numIfELi16ELi32ELi8ELb1ELb0ELc78ELc76EKPKS1_KPS1_EviT_T0_PT8_S7_lSA_S7_lS8_PT9_S7_li
; %bb.0:
	s_clause 0x1
	s_load_b128 s[16:19], s[0:1], 0x50
	s_load_b256 s[4:11], s[0:1], 0x8
	s_mov_b32 s2, s15
	s_mov_b32 s3, 0
	v_dual_mov_b32 v17, 0 :: v_dual_and_b32 v4, 0x3ff, v0
	s_lshl_b64 s[20:21], s[2:3], 3
	v_bfe_u32 v5, v0, 10, 10
	v_dual_mov_b32 v14, 0 :: v_dual_mov_b32 v13, 0
	v_dual_mov_b32 v12, 0 :: v_dual_mov_b32 v9, 0
	;; [unrolled: 1-line block ×3, first 2 shown]
	v_mov_b32_e32 v6, 0
	s_waitcnt lgkmcnt(0)
	s_add_u32 s2, s16, s20
	s_addc_u32 s3, s17, s21
	v_cmp_lt_i64_e64 s12, s[4:5], 1
	s_load_b64 s[2:3], s[2:3], 0x0
	s_lshl_b32 s16, s13, 5
	s_lshl_b32 s17, s14, 5
	s_delay_alu instid0(VALU_DEP_1)
	s_and_b32 vcc_lo, exec_lo, s12
	s_cbranch_vccnz .LBB1568_3
; %bb.1:
	v_lshl_add_u32 v1, v5, 4, v4
	s_load_b128 s[12:15], s[0:1], 0x30
	s_add_u32 s8, s8, s20
	s_addc_u32 s9, s9, s21
	v_lshl_add_u32 v11, v5, 6, 0x800
	v_dual_mov_b32 v7, 0 :: v_dual_and_b32 v14, 31, v1
	v_lshrrev_b32_e32 v15, 3, v1
	v_lshrrev_b32_e32 v16, 5, v1
	s_load_b64 s[8:9], s[8:9], 0x0
	s_delay_alu instid0(VALU_DEP_3) | instskip(SKIP_2) | instid1(VALU_DEP_3)
	v_add_nc_u32_e32 v0, s16, v14
	v_lshlrev_b32_e32 v14, 3, v14
	v_add_nc_u32_e32 v2, s17, v15
	v_ashrrev_i32_e32 v1, 31, v0
	s_delay_alu instid0(VALU_DEP_2) | instskip(NEXT) | instid1(VALU_DEP_2)
	v_ashrrev_i32_e32 v3, 31, v2
	v_mad_u64_u32 v[12:13], null, v16, s10, v[0:1]
	v_and_b32_e32 v17, 7, v4
	s_waitcnt lgkmcnt(0)
	s_add_u32 s12, s12, s20
	s_addc_u32 s13, s13, s21
	s_load_b64 s[12:13], s[12:13], 0x0
	v_mad_u64_u32 v[0:1], null, v17, s14, v[2:3]
	s_delay_alu instid0(VALU_DEP_3) | instskip(SKIP_1) | instid1(VALU_DEP_2)
	v_mov_b32_e32 v2, v13
	v_mov_b32_e32 v6, 0
	v_mad_u64_u32 v[8:9], null, v16, s11, v[2:3]
	s_delay_alu instid0(VALU_DEP_4) | instskip(SKIP_2) | instid1(VALU_DEP_4)
	v_mad_u64_u32 v[2:3], null, v17, s15, v[1:2]
	v_lshlrev_b32_e32 v1, 3, v17
	v_dual_mov_b32 v9, 0 :: v_dual_lshlrev_b32 v10, 3, v4
	v_mov_b32_e32 v13, v8
	s_delay_alu instid0(VALU_DEP_3)
	v_lshl_or_b32 v17, v15, 6, v1
	v_mov_b32_e32 v1, v2
	v_lshl_or_b32 v15, v16, 8, v14
	v_mov_b32_e32 v8, 0
	v_lshlrev_b64 v[2:3], 3, v[12:13]
	v_mov_b32_e32 v12, 0
	v_lshlrev_b64 v[0:1], 3, v[0:1]
	v_dual_mov_b32 v17, 0 :: v_dual_add_nc_u32 v16, 0x800, v17
	s_delay_alu instid0(VALU_DEP_4) | instskip(SKIP_2) | instid1(VALU_DEP_4)
	v_add_co_u32 v2, vcc_lo, v2, s8
	v_add_co_ci_u32_e32 v3, vcc_lo, s9, v3, vcc_lo
	s_waitcnt lgkmcnt(0)
	v_add_co_u32 v13, vcc_lo, v0, s12
	v_add_co_ci_u32_e32 v14, vcc_lo, s13, v1, vcc_lo
	v_add_co_u32 v0, vcc_lo, v2, 4
	v_add_co_ci_u32_e32 v1, vcc_lo, 0, v3, vcc_lo
	s_delay_alu instid0(VALU_DEP_4)
	v_add_co_u32 v2, vcc_lo, v13, 4
	v_mov_b32_e32 v13, 0
	v_add_co_ci_u32_e32 v3, vcc_lo, 0, v14, vcc_lo
	v_mov_b32_e32 v14, 0
	s_lshl_b64 s[8:9], s[10:11], 6
	s_lshl_b64 s[10:11], s[14:15], 6
	s_mov_b64 s[12:13], 0
.LBB1568_2:                             ; =>This Inner Loop Header: Depth=1
	global_load_b64 v[18:19], v[0:1], off offset:-4
	global_load_b64 v[20:21], v[2:3], off offset:-4
	s_add_u32 s12, s12, 8
	v_add_co_u32 v0, vcc_lo, v0, s8
	s_addc_u32 s13, s13, 0
	v_add_co_ci_u32_e32 v1, vcc_lo, s9, v1, vcc_lo
	v_cmp_ge_u64_e64 s14, s[12:13], s[4:5]
	v_add_co_u32 v2, vcc_lo, v2, s10
	v_add_co_ci_u32_e32 v3, vcc_lo, s11, v3, vcc_lo
	s_waitcnt vmcnt(1)
	ds_store_b64 v15, v[18:19]
	s_waitcnt vmcnt(0)
	ds_store_b64 v16, v[20:21]
	s_waitcnt lgkmcnt(0)
	s_barrier
	buffer_gl0_inv
	ds_load_2addr_b64 v[18:21], v10 offset1:16
	ds_load_b128 v[22:25], v11
	ds_load_b128 v[26:29], v11 offset:1024
	ds_load_b128 v[30:33], v11 offset:16
	;; [unrolled: 1-line block ×4, first 2 shown]
	ds_load_2addr_b64 v[42:45], v10 offset0:32 offset1:48
	ds_load_2addr_b64 v[46:49], v10 offset0:64 offset1:80
	ds_load_b128 v[50:53], v11 offset:1040
	ds_load_2addr_b64 v[54:57], v10 offset0:96 offset1:112
	ds_load_2addr_b64 v[58:61], v10 offset0:128 offset1:144
	;; [unrolled: 1-line block ×4, first 2 shown]
	ds_load_b128 v[70:73], v11 offset:1056
	ds_load_b128 v[74:77], v11 offset:1072
	ds_load_2addr_b64 v[78:81], v10 offset0:224 offset1:240
	s_and_b32 vcc_lo, exec_lo, s14
	s_waitcnt lgkmcnt(0)
	s_barrier
	buffer_gl0_inv
	v_dual_mul_f32 v82, v23, v19 :: v_dual_mul_f32 v85, v22, v21
	v_dual_mul_f32 v83, v22, v19 :: v_dual_mul_f32 v84, v23, v21
	v_mul_f32_e32 v86, v27, v19
	v_dual_mul_f32 v19, v26, v19 :: v_dual_mul_f32 v90, v25, v45
	v_dual_mul_f32 v87, v27, v21 :: v_dual_mul_f32 v88, v25, v43
	v_mul_f32_e32 v21, v26, v21
	v_mul_f32_e32 v89, v24, v43
	;; [unrolled: 1-line block ×3, first 2 shown]
	v_fma_f32 v82, v22, v18, -v82
	v_fmac_f32_e32 v83, v23, v18
	v_fma_f32 v22, v22, v20, -v84
	v_dual_fmac_f32 v85, v23, v20 :: v_dual_mul_f32 v84, v30, v47
	v_fma_f32 v23, v26, v18, -v86
	v_fmac_f32_e32 v19, v27, v18
	v_fma_f32 v18, v26, v20, -v87
	v_dual_mul_f32 v26, v28, v43 :: v_dual_fmac_f32 v21, v27, v20
	v_mul_f32_e32 v20, v29, v43
	v_mul_f32_e32 v27, v29, v45
	v_dual_mul_f32 v43, v28, v45 :: v_dual_fmac_f32 v84, v31, v46
	v_fma_f32 v45, v24, v42, -v88
	v_fma_f32 v24, v24, v44, -v90
	v_dual_fmac_f32 v91, v25, v44 :: v_dual_mul_f32 v90, v32, v57
	v_dual_mul_f32 v86, v31, v49 :: v_dual_fmac_f32 v89, v25, v42
	v_dual_mul_f32 v25, v31, v47 :: v_dual_mul_f32 v88, v33, v57
	v_fma_f32 v20, v28, v42, -v20
	v_fmac_f32_e32 v26, v29, v42
	v_fma_f32 v27, v28, v44, -v27
	v_dual_fmac_f32 v43, v29, v44 :: v_dual_mul_f32 v28, v51, v47
	v_dual_mul_f32 v29, v50, v47 :: v_dual_mul_f32 v42, v51, v49
	v_mul_f32_e32 v44, v50, v49
	v_mul_f32_e32 v87, v30, v49
	;; [unrolled: 1-line block ×3, first 2 shown]
	v_dual_mul_f32 v49, v32, v55 :: v_dual_fmac_f32 v90, v33, v56
	v_fma_f32 v25, v30, v46, -v25
	v_fma_f32 v30, v30, v48, -v86
	;; [unrolled: 1-line block ×3, first 2 shown]
	v_fmac_f32_e32 v44, v51, v48
	v_fmac_f32_e32 v87, v31, v48
	v_fma_f32 v31, v50, v48, -v42
	v_mul_f32_e32 v42, v53, v55
	v_mul_f32_e32 v48, v53, v57
	v_dual_mul_f32 v50, v52, v57 :: v_dual_fmac_f32 v29, v51, v46
	v_mul_f32_e32 v46, v52, v55
	v_fma_f32 v47, v32, v54, -v47
	v_fmac_f32_e32 v49, v33, v54
	v_fma_f32 v32, v32, v56, -v88
	s_delay_alu instid0(VALU_DEP_4)
	v_dual_mul_f32 v33, v35, v59 :: v_dual_fmac_f32 v46, v53, v54
	v_mul_f32_e32 v51, v34, v59
	v_mul_f32_e32 v55, v35, v61
	v_fma_f32 v42, v52, v54, -v42
	v_fma_f32 v48, v52, v56, -v48
	v_fmac_f32_e32 v50, v53, v56
	v_mul_f32_e32 v52, v71, v59
	v_dual_mul_f32 v53, v70, v59 :: v_dual_mul_f32 v86, v37, v65
	v_mul_f32_e32 v54, v71, v61
	v_dual_mul_f32 v56, v70, v61 :: v_dual_mul_f32 v59, v37, v63
	v_mul_f32_e32 v57, v34, v61
	v_mul_f32_e32 v61, v36, v63
	v_dual_mul_f32 v88, v36, v65 :: v_dual_fmac_f32 v51, v35, v58
	v_fma_f32 v33, v34, v58, -v33
	v_fmac_f32_e32 v53, v71, v58
	v_fmac_f32_e32 v56, v71, v60
	s_delay_alu instid0(VALU_DEP_4)
	v_fmac_f32_e32 v88, v37, v64
	v_fmac_f32_e32 v57, v35, v60
	v_fma_f32 v35, v70, v58, -v52
	v_fma_f32 v52, v70, v60, -v54
	v_mul_f32_e32 v54, v73, v63
	v_fma_f32 v34, v34, v60, -v55
	v_mul_f32_e32 v60, v72, v65
	v_dual_mul_f32 v55, v72, v63 :: v_dual_mul_f32 v70, v38, v69
	v_mul_f32_e32 v58, v73, v65
	v_fma_f32 v59, v36, v62, -v59
	v_fmac_f32_e32 v61, v37, v62
	v_fma_f32 v36, v36, v64, -v86
	v_dual_mul_f32 v37, v39, v67 :: v_dual_fmac_f32 v60, v73, v64
	v_dual_mul_f32 v63, v38, v67 :: v_dual_mul_f32 v86, v40, v81
	v_mul_f32_e32 v65, v39, v69
	v_fma_f32 v54, v72, v62, -v54
	v_fmac_f32_e32 v55, v73, v62
	v_fma_f32 v58, v72, v64, -v58
	v_mul_f32_e32 v72, v40, v79
	v_mul_f32_e32 v62, v75, v67
	v_dual_mul_f32 v64, v74, v67 :: v_dual_mul_f32 v67, v75, v69
	v_dual_mul_f32 v69, v74, v69 :: v_dual_fmac_f32 v70, v39, v68
	s_delay_alu instid0(VALU_DEP_2)
	v_dual_mul_f32 v71, v41, v79 :: v_dual_fmac_f32 v64, v75, v66
	v_dual_mul_f32 v73, v41, v81 :: v_dual_add_f32 v14, v14, v82
	v_fma_f32 v37, v38, v66, -v37
	v_fmac_f32_e32 v63, v39, v66
	v_fma_f32 v38, v38, v68, -v65
	v_fma_f32 v39, v74, v66, -v62
	v_dual_mul_f32 v65, v77, v79 :: v_dual_add_f32 v12, v12, v85
	v_mul_f32_e32 v66, v76, v79
	v_fma_f32 v62, v74, v68, -v67
	v_dual_mul_f32 v67, v77, v81 :: v_dual_add_f32 v8, v8, v23
	v_dual_fmac_f32 v86, v41, v80 :: v_dual_add_f32 v7, v7, v18
	v_dual_add_f32 v17, v17, v83 :: v_dual_add_f32 v6, v6, v21
	v_dual_add_f32 v13, v13, v22 :: v_dual_add_f32 v14, v14, v45
	s_delay_alu instid0(VALU_DEP_4)
	v_dual_add_f32 v9, v9, v19 :: v_dual_add_f32 v8, v8, v20
	v_dual_fmac_f32 v69, v75, v68 :: v_dual_fmac_f32 v72, v41, v78
	v_mul_f32_e32 v68, v76, v81
	v_dual_fmac_f32 v66, v77, v78 :: v_dual_add_f32 v7, v7, v27
	v_dual_add_f32 v17, v17, v89 :: v_dual_add_f32 v12, v12, v91
	v_dual_add_f32 v13, v13, v24 :: v_dual_add_f32 v6, v6, v43
	v_dual_add_f32 v9, v9, v26 :: v_dual_add_f32 v14, v14, v25
	s_delay_alu instid0(VALU_DEP_4) | instskip(NEXT) | instid1(VALU_DEP_4)
	v_dual_fmac_f32 v68, v77, v80 :: v_dual_add_f32 v7, v7, v31
	v_dual_add_f32 v17, v17, v84 :: v_dual_add_f32 v12, v12, v87
	s_delay_alu instid0(VALU_DEP_4) | instskip(NEXT) | instid1(VALU_DEP_4)
	v_dual_add_f32 v13, v13, v30 :: v_dual_add_f32 v8, v8, v28
	v_dual_add_f32 v9, v9, v29 :: v_dual_add_f32 v6, v6, v44
	s_delay_alu instid0(VALU_DEP_3) | instskip(NEXT) | instid1(VALU_DEP_3)
	v_dual_add_f32 v14, v14, v47 :: v_dual_add_f32 v17, v17, v49
	v_dual_add_f32 v13, v13, v32 :: v_dual_add_f32 v12, v12, v90
	s_delay_alu instid0(VALU_DEP_4) | instskip(NEXT) | instid1(VALU_DEP_3)
	v_dual_add_f32 v8, v8, v42 :: v_dual_add_f32 v7, v7, v48
	v_dual_add_f32 v9, v9, v46 :: v_dual_add_f32 v14, v14, v33
	s_delay_alu instid0(VALU_DEP_4) | instskip(NEXT) | instid1(VALU_DEP_4)
	v_dual_add_f32 v6, v6, v50 :: v_dual_add_f32 v17, v17, v51
	v_dual_add_f32 v13, v13, v34 :: v_dual_add_f32 v12, v12, v57
	s_delay_alu instid0(VALU_DEP_3) | instskip(NEXT) | instid1(VALU_DEP_4)
	v_dual_add_f32 v8, v8, v35 :: v_dual_add_f32 v9, v9, v53
	v_dual_add_f32 v7, v7, v52 :: v_dual_add_f32 v14, v14, v59
	s_delay_alu instid0(VALU_DEP_4) | instskip(NEXT) | instid1(VALU_DEP_3)
	v_dual_add_f32 v6, v6, v56 :: v_dual_add_f32 v17, v17, v61
	v_dual_add_f32 v13, v13, v36 :: v_dual_add_f32 v8, v8, v54
	s_delay_alu instid0(VALU_DEP_4) | instskip(NEXT) | instid1(VALU_DEP_3)
	v_dual_add_f32 v12, v12, v88 :: v_dual_add_f32 v9, v9, v55
	v_dual_add_f32 v7, v7, v58 :: v_dual_add_f32 v6, v6, v60
	v_fma_f32 v71, v40, v78, -v71
	v_fma_f32 v40, v40, v80, -v73
	;; [unrolled: 1-line block ×4, first 2 shown]
	v_dual_add_f32 v14, v14, v37 :: v_dual_add_f32 v17, v17, v63
	v_dual_add_f32 v13, v13, v38 :: v_dual_add_f32 v8, v8, v39
	;; [unrolled: 1-line block ×4, first 2 shown]
	s_delay_alu instid0(VALU_DEP_4) | instskip(NEXT) | instid1(VALU_DEP_3)
	v_dual_add_f32 v14, v14, v71 :: v_dual_add_f32 v17, v17, v72
	v_dual_add_f32 v13, v13, v40 :: v_dual_add_f32 v12, v12, v86
	s_delay_alu instid0(VALU_DEP_4) | instskip(NEXT) | instid1(VALU_DEP_4)
	v_dual_add_f32 v8, v8, v41 :: v_dual_add_f32 v9, v9, v66
	v_dual_add_f32 v7, v7, v65 :: v_dual_add_f32 v6, v6, v68
	s_cbranch_vccz .LBB1568_2
.LBB1568_3:
	v_add_nc_u32_e32 v5, s17, v5
	s_load_b32 s4, s[0:1], 0x0
	s_delay_alu instid0(VALU_DEP_1) | instskip(SKIP_2) | instid1(VALU_DEP_3)
	v_ashrrev_i32_e32 v0, 31, v5
	v_mul_lo_u32 v3, v5, s19
	v_mad_u64_u32 v[1:2], null, v5, s18, 0
	v_mul_lo_u32 v0, v0, s18
	s_delay_alu instid0(VALU_DEP_1) | instskip(SKIP_1) | instid1(VALU_DEP_2)
	v_add3_u32 v2, v2, v3, v0
	v_add_nc_u32_e32 v0, s16, v4
	v_lshlrev_b64 v[1:2], 3, v[1:2]
	s_delay_alu instid0(VALU_DEP_2) | instskip(SKIP_2) | instid1(VALU_DEP_3)
	v_cmp_le_i32_e64 s0, v5, v0
	s_waitcnt lgkmcnt(0)
	v_cmp_gt_i32_e32 vcc_lo, s4, v0
	v_add_co_u32 v4, s1, s2, v1
	s_delay_alu instid0(VALU_DEP_1) | instskip(SKIP_1) | instid1(SALU_CYCLE_1)
	v_add_co_ci_u32_e64 v10, s1, s3, v2, s1
	s_and_b32 s0, s0, vcc_lo
	s_and_saveexec_b32 s1, s0
	s_cbranch_execz .LBB1568_5
; %bb.4:
	v_ashrrev_i32_e32 v1, 31, v0
	v_mul_f32_e32 v2, s6, v17
	v_mul_f32_e32 v3, s7, v17
	s_delay_alu instid0(VALU_DEP_3) | instskip(NEXT) | instid1(VALU_DEP_3)
	v_lshlrev_b64 v[15:16], 3, v[0:1]
	v_fmac_f32_e32 v2, s7, v14
	s_delay_alu instid0(VALU_DEP_3) | instskip(NEXT) | instid1(VALU_DEP_3)
	v_fma_f32 v1, v14, s6, -v3
	v_add_co_u32 v14, s0, v4, v15
	s_delay_alu instid0(VALU_DEP_1)
	v_add_co_ci_u32_e64 v15, s0, v10, v16, s0
	global_store_b64 v[14:15], v[1:2], off
.LBB1568_5:
	s_or_b32 exec_lo, exec_lo, s1
	v_add_nc_u32_e32 v2, 16, v0
	s_delay_alu instid0(VALU_DEP_1) | instskip(SKIP_1) | instid1(VALU_DEP_1)
	v_cmp_le_i32_e64 s1, v5, v2
	v_cmp_gt_i32_e64 s0, s4, v2
	s_and_b32 s1, s1, s0
	s_delay_alu instid0(SALU_CYCLE_1)
	s_and_saveexec_b32 s4, s1
	s_cbranch_execz .LBB1568_7
; %bb.6:
	v_ashrrev_i32_e32 v3, 31, v2
	v_mul_f32_e32 v1, s7, v12
	v_mul_f32_e32 v12, s6, v12
	s_delay_alu instid0(VALU_DEP_3) | instskip(NEXT) | instid1(VALU_DEP_2)
	v_lshlrev_b64 v[14:15], 3, v[2:3]
	v_fmac_f32_e32 v12, s7, v13
	s_delay_alu instid0(VALU_DEP_4) | instskip(NEXT) | instid1(VALU_DEP_3)
	v_fma_f32 v11, v13, s6, -v1
	v_add_co_u32 v3, s1, v4, v14
	s_delay_alu instid0(VALU_DEP_1)
	v_add_co_ci_u32_e64 v4, s1, v10, v15, s1
	global_store_b64 v[3:4], v[11:12], off
.LBB1568_7:
	s_or_b32 exec_lo, exec_lo, s4
	v_add_nc_u32_e32 v3, 16, v5
	s_delay_alu instid0(VALU_DEP_1) | instskip(SKIP_3) | instid1(VALU_DEP_4)
	v_ashrrev_i32_e32 v1, 31, v3
	v_mul_lo_u32 v10, v3, s19
	v_mad_u64_u32 v[4:5], null, v3, s18, 0
	v_cmp_le_i32_e64 s1, v3, v0
	v_mul_lo_u32 v1, v1, s18
	s_delay_alu instid0(VALU_DEP_1) | instskip(NEXT) | instid1(VALU_DEP_1)
	v_add3_u32 v5, v5, v10, v1
	v_lshlrev_b64 v[4:5], 3, v[4:5]
	s_delay_alu instid0(VALU_DEP_1) | instskip(NEXT) | instid1(VALU_DEP_1)
	v_add_co_u32 v4, s2, s2, v4
	v_add_co_ci_u32_e64 v5, s2, s3, v5, s2
	s_and_b32 s2, s1, vcc_lo
	s_delay_alu instid0(SALU_CYCLE_1)
	s_and_saveexec_b32 s1, s2
	s_cbranch_execz .LBB1568_9
; %bb.8:
	v_ashrrev_i32_e32 v1, 31, v0
	v_mul_f32_e32 v10, s6, v9
	v_mul_f32_e32 v11, s7, v9
	s_delay_alu instid0(VALU_DEP_3) | instskip(NEXT) | instid1(VALU_DEP_3)
	v_lshlrev_b64 v[0:1], 3, v[0:1]
	v_fmac_f32_e32 v10, s7, v8
	s_delay_alu instid0(VALU_DEP_3) | instskip(NEXT) | instid1(VALU_DEP_3)
	v_fma_f32 v9, v8, s6, -v11
	v_add_co_u32 v0, vcc_lo, v4, v0
	s_delay_alu instid0(VALU_DEP_4)
	v_add_co_ci_u32_e32 v1, vcc_lo, v5, v1, vcc_lo
	global_store_b64 v[0:1], v[9:10], off
.LBB1568_9:
	s_or_b32 exec_lo, exec_lo, s1
	v_cmp_le_i32_e32 vcc_lo, v3, v2
	s_and_b32 s0, vcc_lo, s0
	s_delay_alu instid0(SALU_CYCLE_1)
	s_and_saveexec_b32 s1, s0
	s_cbranch_execz .LBB1568_11
; %bb.10:
	v_ashrrev_i32_e32 v3, 31, v2
	v_mul_f32_e32 v1, s6, v6
	v_mul_f32_e32 v0, s7, v6
	s_delay_alu instid0(VALU_DEP_3) | instskip(NEXT) | instid1(VALU_DEP_3)
	v_lshlrev_b64 v[2:3], 3, v[2:3]
	v_fmac_f32_e32 v1, s7, v7
	s_delay_alu instid0(VALU_DEP_3) | instskip(NEXT) | instid1(VALU_DEP_3)
	v_fma_f32 v0, v7, s6, -v0
	v_add_co_u32 v2, vcc_lo, v4, v2
	s_delay_alu instid0(VALU_DEP_4)
	v_add_co_ci_u32_e32 v3, vcc_lo, v5, v3, vcc_lo
	global_store_b64 v[2:3], v[0:1], off
.LBB1568_11:
	s_nop 0
	s_sendmsg sendmsg(MSG_DEALLOC_VGPRS)
	s_endpgm
	.section	.rodata,"a",@progbits
	.p2align	6, 0x0
	.amdhsa_kernel _ZL37rocblas_syrkx_herkx_restricted_kernelIl19rocblas_complex_numIfELi16ELi32ELi8ELb1ELb0ELc78ELc76EKPKS1_KPS1_EviT_T0_PT8_S7_lSA_S7_lS8_PT9_S7_li
		.amdhsa_group_segment_fixed_size 4096
		.amdhsa_private_segment_fixed_size 0
		.amdhsa_kernarg_size 108
		.amdhsa_user_sgpr_count 13
		.amdhsa_user_sgpr_dispatch_ptr 0
		.amdhsa_user_sgpr_queue_ptr 0
		.amdhsa_user_sgpr_kernarg_segment_ptr 1
		.amdhsa_user_sgpr_dispatch_id 0
		.amdhsa_user_sgpr_private_segment_size 0
		.amdhsa_wavefront_size32 1
		.amdhsa_uses_dynamic_stack 0
		.amdhsa_enable_private_segment 0
		.amdhsa_system_sgpr_workgroup_id_x 1
		.amdhsa_system_sgpr_workgroup_id_y 1
		.amdhsa_system_sgpr_workgroup_id_z 1
		.amdhsa_system_sgpr_workgroup_info 0
		.amdhsa_system_vgpr_workitem_id 1
		.amdhsa_next_free_vgpr 92
		.amdhsa_next_free_sgpr 22
		.amdhsa_reserve_vcc 1
		.amdhsa_float_round_mode_32 0
		.amdhsa_float_round_mode_16_64 0
		.amdhsa_float_denorm_mode_32 3
		.amdhsa_float_denorm_mode_16_64 3
		.amdhsa_dx10_clamp 1
		.amdhsa_ieee_mode 1
		.amdhsa_fp16_overflow 0
		.amdhsa_workgroup_processor_mode 1
		.amdhsa_memory_ordered 1
		.amdhsa_forward_progress 0
		.amdhsa_shared_vgpr_count 0
		.amdhsa_exception_fp_ieee_invalid_op 0
		.amdhsa_exception_fp_denorm_src 0
		.amdhsa_exception_fp_ieee_div_zero 0
		.amdhsa_exception_fp_ieee_overflow 0
		.amdhsa_exception_fp_ieee_underflow 0
		.amdhsa_exception_fp_ieee_inexact 0
		.amdhsa_exception_int_div_zero 0
	.end_amdhsa_kernel
	.section	.text._ZL37rocblas_syrkx_herkx_restricted_kernelIl19rocblas_complex_numIfELi16ELi32ELi8ELb1ELb0ELc78ELc76EKPKS1_KPS1_EviT_T0_PT8_S7_lSA_S7_lS8_PT9_S7_li,"axG",@progbits,_ZL37rocblas_syrkx_herkx_restricted_kernelIl19rocblas_complex_numIfELi16ELi32ELi8ELb1ELb0ELc78ELc76EKPKS1_KPS1_EviT_T0_PT8_S7_lSA_S7_lS8_PT9_S7_li,comdat
.Lfunc_end1568:
	.size	_ZL37rocblas_syrkx_herkx_restricted_kernelIl19rocblas_complex_numIfELi16ELi32ELi8ELb1ELb0ELc78ELc76EKPKS1_KPS1_EviT_T0_PT8_S7_lSA_S7_lS8_PT9_S7_li, .Lfunc_end1568-_ZL37rocblas_syrkx_herkx_restricted_kernelIl19rocblas_complex_numIfELi16ELi32ELi8ELb1ELb0ELc78ELc76EKPKS1_KPS1_EviT_T0_PT8_S7_lSA_S7_lS8_PT9_S7_li
                                        ; -- End function
	.section	.AMDGPU.csdata,"",@progbits
; Kernel info:
; codeLenInByte = 2212
; NumSgprs: 24
; NumVgprs: 92
; ScratchSize: 0
; MemoryBound: 0
; FloatMode: 240
; IeeeMode: 1
; LDSByteSize: 4096 bytes/workgroup (compile time only)
; SGPRBlocks: 2
; VGPRBlocks: 11
; NumSGPRsForWavesPerEU: 24
; NumVGPRsForWavesPerEU: 92
; Occupancy: 16
; WaveLimiterHint : 1
; COMPUTE_PGM_RSRC2:SCRATCH_EN: 0
; COMPUTE_PGM_RSRC2:USER_SGPR: 13
; COMPUTE_PGM_RSRC2:TRAP_HANDLER: 0
; COMPUTE_PGM_RSRC2:TGID_X_EN: 1
; COMPUTE_PGM_RSRC2:TGID_Y_EN: 1
; COMPUTE_PGM_RSRC2:TGID_Z_EN: 1
; COMPUTE_PGM_RSRC2:TIDIG_COMP_CNT: 1
	.section	.text._ZL37rocblas_syrkx_herkx_restricted_kernelIl19rocblas_complex_numIfELi16ELi32ELi8ELb1ELb0ELc84ELc85EKPKS1_KPS1_EviT_T0_PT8_S7_lSA_S7_lS8_PT9_S7_li,"axG",@progbits,_ZL37rocblas_syrkx_herkx_restricted_kernelIl19rocblas_complex_numIfELi16ELi32ELi8ELb1ELb0ELc84ELc85EKPKS1_KPS1_EviT_T0_PT8_S7_lSA_S7_lS8_PT9_S7_li,comdat
	.globl	_ZL37rocblas_syrkx_herkx_restricted_kernelIl19rocblas_complex_numIfELi16ELi32ELi8ELb1ELb0ELc84ELc85EKPKS1_KPS1_EviT_T0_PT8_S7_lSA_S7_lS8_PT9_S7_li ; -- Begin function _ZL37rocblas_syrkx_herkx_restricted_kernelIl19rocblas_complex_numIfELi16ELi32ELi8ELb1ELb0ELc84ELc85EKPKS1_KPS1_EviT_T0_PT8_S7_lSA_S7_lS8_PT9_S7_li
	.p2align	8
	.type	_ZL37rocblas_syrkx_herkx_restricted_kernelIl19rocblas_complex_numIfELi16ELi32ELi8ELb1ELb0ELc84ELc85EKPKS1_KPS1_EviT_T0_PT8_S7_lSA_S7_lS8_PT9_S7_li,@function
_ZL37rocblas_syrkx_herkx_restricted_kernelIl19rocblas_complex_numIfELi16ELi32ELi8ELb1ELb0ELc84ELc85EKPKS1_KPS1_EviT_T0_PT8_S7_lSA_S7_lS8_PT9_S7_li: ; @_ZL37rocblas_syrkx_herkx_restricted_kernelIl19rocblas_complex_numIfELi16ELi32ELi8ELb1ELb0ELc84ELc85EKPKS1_KPS1_EviT_T0_PT8_S7_lSA_S7_lS8_PT9_S7_li
; %bb.0:
	s_clause 0x1
	s_load_b128 s[16:19], s[0:1], 0x50
	s_load_b256 s[4:11], s[0:1], 0x8
	s_mov_b32 s2, s15
	s_mov_b32 s3, 0
	v_dual_mov_b32 v17, 0 :: v_dual_and_b32 v6, 0x3ff, v0
	s_lshl_b64 s[20:21], s[2:3], 3
	v_bfe_u32 v7, v0, 10, 10
	v_dual_mov_b32 v16, 0 :: v_dual_mov_b32 v11, 0
	v_dual_mov_b32 v10, 0 :: v_dual_mov_b32 v9, 0
	;; [unrolled: 1-line block ×3, first 2 shown]
	v_mov_b32_e32 v0, 0
	s_waitcnt lgkmcnt(0)
	s_add_u32 s2, s16, s20
	s_addc_u32 s3, s17, s21
	v_cmp_lt_i64_e64 s12, s[4:5], 1
	s_load_b64 s[2:3], s[2:3], 0x0
	s_lshl_b32 s16, s13, 5
	s_lshl_b32 s17, s14, 5
	s_delay_alu instid0(VALU_DEP_1)
	s_and_b32 vcc_lo, exec_lo, s12
	s_cbranch_vccnz .LBB1569_3
; %bb.1:
	s_load_b128 s[12:15], s[0:1], 0x30
	v_lshl_add_u32 v2, v7, 4, v6
	v_dual_mov_b32 v1, 0 :: v_dual_and_b32 v0, 7, v6
	s_add_u32 s8, s8, s20
	s_addc_u32 s9, s9, s21
	s_delay_alu instid0(VALU_DEP_2) | instskip(SKIP_3) | instid1(VALU_DEP_3)
	v_and_b32_e32 v11, 31, v2
	v_lshrrev_b32_e32 v10, 3, v2
	v_lshrrev_b32_e32 v2, 5, v2
	s_load_b64 s[8:9], s[8:9], 0x0
	v_dual_mov_b32 v3, v1 :: v_dual_add_nc_u32 v8, s16, v11
	s_delay_alu instid0(VALU_DEP_3) | instskip(SKIP_2) | instid1(VALU_DEP_4)
	v_add_nc_u32_e32 v12, s17, v10
	v_dual_mov_b32 v16, v1 :: v_dual_lshlrev_b32 v11, 3, v11
	v_mov_b32_e32 v17, v1
	v_ashrrev_i32_e32 v13, 31, v8
	s_delay_alu instid0(VALU_DEP_4)
	v_ashrrev_i32_e32 v9, 31, v12
	v_mad_u64_u32 v[4:5], null, s10, v8, v[2:3]
	s_waitcnt lgkmcnt(0)
	s_add_u32 s12, s12, s20
	v_mul_lo_u32 v3, s11, v8
	v_mul_lo_u32 v13, s10, v13
	s_addc_u32 s13, s13, s21
	v_mul_lo_u32 v14, v9, s14
	s_load_b64 s[10:11], s[12:13], 0x0
	v_mul_lo_u32 v15, v12, s15
	v_mad_u64_u32 v[8:9], null, v12, s14, v[0:1]
	v_lshlrev_b32_e32 v0, 3, v0
	v_add3_u32 v5, v3, v5, v13
	v_lshlrev_b32_e32 v12, 3, v6
	v_lshl_add_u32 v13, v7, 6, 0x800
	v_add3_u32 v9, v14, v9, v15
	s_delay_alu instid0(VALU_DEP_4) | instskip(SKIP_4) | instid1(VALU_DEP_2)
	v_lshlrev_b64 v[3:4], 3, v[4:5]
	v_lshl_or_b32 v14, v2, 8, v11
	v_mov_b32_e32 v11, v1
	v_lshl_or_b32 v0, v10, 6, v0
	v_lshlrev_b64 v[8:9], 3, v[8:9]
	v_dual_mov_b32 v10, v1 :: v_dual_add_nc_u32 v15, 0x800, v0
	v_add_co_u32 v0, vcc_lo, v3, s8
	v_add_co_ci_u32_e32 v3, vcc_lo, s9, v4, vcc_lo
	s_waitcnt lgkmcnt(0)
	s_delay_alu instid0(VALU_DEP_4) | instskip(SKIP_3) | instid1(VALU_DEP_4)
	v_add_co_u32 v4, vcc_lo, v8, s10
	v_add_co_ci_u32_e32 v5, vcc_lo, s11, v9, vcc_lo
	v_add_co_u32 v2, vcc_lo, v0, 4
	v_add_co_ci_u32_e32 v3, vcc_lo, 0, v3, vcc_lo
	v_add_co_u32 v4, vcc_lo, v4, 4
	s_delay_alu instid0(VALU_DEP_4)
	v_add_co_ci_u32_e32 v5, vcc_lo, 0, v5, vcc_lo
	v_mov_b32_e32 v0, v1
	v_mov_b32_e32 v9, v1
	;; [unrolled: 1-line block ×3, first 2 shown]
	s_mov_b64 s[8:9], 0
.LBB1569_2:                             ; =>This Inner Loop Header: Depth=1
	global_load_b64 v[18:19], v[2:3], off offset:-4
	global_load_b64 v[20:21], v[4:5], off offset:-4
	s_add_u32 s8, s8, 8
	v_add_co_u32 v2, vcc_lo, v2, 64
	s_addc_u32 s9, s9, 0
	v_add_co_ci_u32_e32 v3, vcc_lo, 0, v3, vcc_lo
	v_cmp_ge_u64_e64 s10, s[8:9], s[4:5]
	v_add_co_u32 v4, vcc_lo, v4, 64
	v_add_co_ci_u32_e32 v5, vcc_lo, 0, v5, vcc_lo
	s_waitcnt vmcnt(1)
	ds_store_b64 v14, v[18:19]
	s_waitcnt vmcnt(0)
	ds_store_b64 v15, v[20:21]
	s_waitcnt lgkmcnt(0)
	s_barrier
	buffer_gl0_inv
	ds_load_2addr_b64 v[18:21], v12 offset1:16
	ds_load_b128 v[22:25], v13
	ds_load_b128 v[26:29], v13 offset:1024
	ds_load_b128 v[30:33], v13 offset:16
	;; [unrolled: 1-line block ×4, first 2 shown]
	ds_load_2addr_b64 v[42:45], v12 offset0:32 offset1:48
	ds_load_2addr_b64 v[46:49], v12 offset0:64 offset1:80
	ds_load_b128 v[50:53], v13 offset:1040
	ds_load_2addr_b64 v[54:57], v12 offset0:96 offset1:112
	ds_load_2addr_b64 v[58:61], v12 offset0:128 offset1:144
	;; [unrolled: 1-line block ×4, first 2 shown]
	ds_load_b128 v[70:73], v13 offset:1056
	ds_load_b128 v[74:77], v13 offset:1072
	ds_load_2addr_b64 v[78:81], v12 offset0:224 offset1:240
	s_and_b32 vcc_lo, exec_lo, s10
	s_waitcnt lgkmcnt(0)
	s_barrier
	buffer_gl0_inv
	v_dual_mul_f32 v82, v23, v19 :: v_dual_mul_f32 v85, v22, v21
	v_dual_mul_f32 v83, v22, v19 :: v_dual_mul_f32 v84, v23, v21
	v_mul_f32_e32 v86, v27, v19
	v_dual_mul_f32 v19, v26, v19 :: v_dual_mul_f32 v90, v25, v45
	v_dual_mul_f32 v87, v27, v21 :: v_dual_mul_f32 v88, v25, v43
	v_mul_f32_e32 v21, v26, v21
	v_fma_f32 v82, v22, v18, -v82
	v_fmac_f32_e32 v83, v23, v18
	v_fma_f32 v22, v22, v20, -v84
	v_fmac_f32_e32 v85, v23, v20
	v_fma_f32 v23, v26, v18, -v86
	v_dual_fmac_f32 v19, v27, v18 :: v_dual_mul_f32 v86, v30, v47
	v_fma_f32 v18, v26, v20, -v87
	v_dual_fmac_f32 v21, v27, v20 :: v_dual_mul_f32 v20, v24, v45
	v_mul_f32_e32 v89, v24, v43
	v_mul_f32_e32 v26, v29, v43
	v_mul_f32_e32 v27, v28, v43
	v_mul_f32_e32 v43, v29, v45
	v_fmac_f32_e32 v20, v25, v44
	v_fmac_f32_e32 v89, v25, v42
	v_dual_mul_f32 v25, v28, v45 :: v_dual_fmac_f32 v86, v31, v46
	v_fma_f32 v84, v24, v42, -v88
	v_fma_f32 v24, v24, v44, -v90
	v_dual_mul_f32 v45, v31, v47 :: v_dual_mul_f32 v90, v33, v57
	v_fma_f32 v26, v28, v42, -v26
	v_fma_f32 v28, v28, v44, -v43
	v_fmac_f32_e32 v25, v29, v44
	v_dual_mul_f32 v43, v50, v47 :: v_dual_mul_f32 v44, v51, v49
	v_dual_fmac_f32 v27, v29, v42 :: v_dual_mul_f32 v42, v51, v47
	v_dual_mul_f32 v88, v32, v55 :: v_dual_mul_f32 v29, v30, v49
	v_mul_f32_e32 v87, v31, v49
	v_fma_f32 v45, v30, v46, -v45
	v_add_f32_e32 v16, v16, v82
	s_delay_alu instid0(VALU_DEP_4)
	v_dual_fmac_f32 v88, v33, v54 :: v_dual_fmac_f32 v29, v31, v48
	v_fma_f32 v31, v50, v46, -v42
	v_fma_f32 v42, v50, v48, -v44
	v_mul_f32_e32 v44, v32, v57
	v_mul_f32_e32 v47, v50, v49
	v_dual_mul_f32 v50, v53, v57 :: v_dual_fmac_f32 v43, v51, v46
	v_mul_f32_e32 v46, v53, v55
	v_mul_f32_e32 v49, v33, v55
	v_fma_f32 v30, v30, v48, -v87
	v_fmac_f32_e32 v44, v33, v56
	v_dual_fmac_f32 v47, v51, v48 :: v_dual_mul_f32 v48, v52, v55
	v_mul_f32_e32 v33, v52, v57
	v_fma_f32 v46, v52, v54, -v46
	v_fma_f32 v50, v52, v56, -v50
	v_mul_f32_e32 v52, v34, v61
	v_fma_f32 v49, v32, v54, -v49
	v_fma_f32 v32, v32, v56, -v90
	v_dual_mul_f32 v51, v35, v59 :: v_dual_fmac_f32 v48, v53, v54
	v_mul_f32_e32 v54, v70, v59
	v_dual_mul_f32 v55, v34, v59 :: v_dual_fmac_f32 v52, v35, v60
	v_fmac_f32_e32 v33, v53, v56
	v_mul_f32_e32 v53, v71, v59
	v_mul_f32_e32 v56, v71, v61
	;; [unrolled: 1-line block ×3, first 2 shown]
	v_fmac_f32_e32 v54, v71, v58
	v_fmac_f32_e32 v55, v35, v58
	v_fma_f32 v35, v70, v58, -v53
	v_fma_f32 v53, v70, v60, -v56
	v_mul_f32_e32 v56, v36, v65
	v_mul_f32_e32 v59, v70, v61
	v_fma_f32 v51, v34, v58, -v51
	v_mul_f32_e32 v58, v72, v63
	v_mul_f32_e32 v87, v36, v63
	;; [unrolled: 1-line block ×4, first 2 shown]
	v_fma_f32 v34, v34, v60, -v57
	v_mul_f32_e32 v57, v73, v63
	v_fmac_f32_e32 v56, v37, v64
	v_dual_fmac_f32 v59, v71, v60 :: v_dual_mul_f32 v60, v73, v65
	v_mul_f32_e32 v63, v39, v67
	v_mul_f32_e32 v70, v39, v69
	v_fmac_f32_e32 v58, v73, v62
	v_fmac_f32_e32 v87, v37, v62
	v_mul_f32_e32 v37, v72, v65
	v_fma_f32 v61, v36, v62, -v61
	v_fma_f32 v36, v36, v64, -v90
	v_mul_f32_e32 v65, v38, v67
	v_fma_f32 v57, v72, v62, -v57
	v_fma_f32 v60, v72, v64, -v60
	v_dual_fmac_f32 v37, v73, v64 :: v_dual_mul_f32 v62, v38, v69
	v_mul_f32_e32 v64, v75, v67
	v_fma_f32 v63, v38, v66, -v63
	v_fma_f32 v38, v38, v68, -v70
	v_mul_f32_e32 v70, v76, v79
	v_mul_f32_e32 v67, v74, v67
	;; [unrolled: 1-line block ×3, first 2 shown]
	v_dual_mul_f32 v69, v74, v69 :: v_dual_add_f32 v8, v8, v23
	v_dual_mul_f32 v73, v40, v79 :: v_dual_add_f32 v10, v10, v22
	v_dual_fmac_f32 v65, v39, v66 :: v_dual_add_f32 v16, v16, v84
	v_fmac_f32_e32 v62, v39, v68
	v_fma_f32 v39, v74, v66, -v64
	v_fmac_f32_e32 v70, v77, v78
	v_dual_fmac_f32 v67, v75, v66 :: v_dual_add_f32 v10, v10, v24
	v_mul_f32_e32 v66, v40, v81
	v_mul_f32_e32 v72, v41, v79
	v_dual_mul_f32 v90, v41, v81 :: v_dual_fmac_f32 v69, v75, v68
	v_add_f32_e32 v0, v0, v18
	v_fmac_f32_e32 v73, v41, v78
	v_dual_fmac_f32 v66, v41, v80 :: v_dual_mul_f32 v41, v76, v81
	v_add_f32_e32 v10, v10, v30
	v_fma_f32 v64, v74, v68, -v71
	v_dual_mul_f32 v71, v77, v81 :: v_dual_add_f32 v8, v8, v26
	s_delay_alu instid0(VALU_DEP_4)
	v_dual_fmac_f32 v41, v77, v80 :: v_dual_add_f32 v16, v16, v45
	v_add_f32_e32 v11, v11, v85
	v_add_f32_e32 v9, v9, v19
	v_dual_add_f32 v1, v1, v21 :: v_dual_add_f32 v10, v10, v32
	v_dual_add_f32 v0, v0, v28 :: v_dual_add_f32 v17, v17, v83
	v_add_f32_e32 v8, v8, v31
	s_delay_alu instid0(VALU_DEP_4) | instskip(NEXT) | instid1(VALU_DEP_4)
	v_dual_add_f32 v16, v16, v49 :: v_dual_add_f32 v9, v9, v27
	v_dual_add_f32 v10, v10, v34 :: v_dual_add_f32 v1, v1, v25
	s_delay_alu instid0(VALU_DEP_4) | instskip(NEXT) | instid1(VALU_DEP_3)
	v_add_f32_e32 v0, v0, v42
	v_dual_add_f32 v16, v16, v51 :: v_dual_add_f32 v17, v17, v89
	v_dual_add_f32 v8, v8, v46 :: v_dual_add_f32 v11, v11, v20
	s_delay_alu instid0(VALU_DEP_3) | instskip(NEXT) | instid1(VALU_DEP_2)
	v_dual_add_f32 v0, v0, v50 :: v_dual_add_f32 v9, v9, v43
	v_dual_add_f32 v17, v17, v86 :: v_dual_add_f32 v8, v8, v35
	s_delay_alu instid0(VALU_DEP_3) | instskip(SKIP_1) | instid1(VALU_DEP_3)
	v_dual_add_f32 v11, v11, v29 :: v_dual_add_f32 v10, v10, v36
	v_dual_add_f32 v1, v1, v47 :: v_dual_add_f32 v16, v16, v61
	;; [unrolled: 1-line block ×3, first 2 shown]
	s_delay_alu instid0(VALU_DEP_3) | instskip(NEXT) | instid1(VALU_DEP_3)
	v_dual_add_f32 v11, v11, v44 :: v_dual_add_f32 v0, v0, v53
	v_dual_add_f32 v16, v16, v63 :: v_dual_add_f32 v9, v9, v48
	s_delay_alu instid0(VALU_DEP_4) | instskip(NEXT) | instid1(VALU_DEP_3)
	v_dual_add_f32 v10, v10, v38 :: v_dual_add_f32 v1, v1, v33
	v_add_f32_e32 v0, v0, v60
	v_mul_f32_e32 v68, v77, v79
	v_fma_f32 v72, v40, v78, -v72
	v_fma_f32 v40, v40, v80, -v90
	s_delay_alu instid0(VALU_DEP_4) | instskip(SKIP_1) | instid1(VALU_DEP_4)
	v_dual_add_f32 v17, v17, v55 :: v_dual_add_f32 v0, v0, v64
	v_dual_add_f32 v11, v11, v52 :: v_dual_add_f32 v8, v8, v39
	v_dual_add_f32 v9, v9, v54 :: v_dual_add_f32 v16, v16, v72
	s_delay_alu instid0(VALU_DEP_4)
	v_dual_add_f32 v1, v1, v59 :: v_dual_add_f32 v10, v10, v40
	v_fma_f32 v68, v76, v78, -v68
	v_fma_f32 v71, v76, v80, -v71
	v_add_f32_e32 v17, v17, v87
	v_add_f32_e32 v11, v11, v56
	;; [unrolled: 1-line block ×3, first 2 shown]
	s_delay_alu instid0(VALU_DEP_4) | instskip(NEXT) | instid1(VALU_DEP_4)
	v_dual_add_f32 v1, v1, v37 :: v_dual_add_f32 v0, v0, v71
	v_dual_add_f32 v8, v8, v68 :: v_dual_add_f32 v17, v17, v65
	s_delay_alu instid0(VALU_DEP_4) | instskip(NEXT) | instid1(VALU_DEP_4)
	v_add_f32_e32 v11, v11, v62
	v_add_f32_e32 v9, v9, v67
	s_delay_alu instid0(VALU_DEP_4) | instskip(NEXT) | instid1(VALU_DEP_4)
	v_add_f32_e32 v1, v1, v69
	v_add_f32_e32 v17, v17, v73
	;; [unrolled: 3-line block ×3, first 2 shown]
	s_delay_alu instid0(VALU_DEP_4)
	v_add_f32_e32 v1, v1, v41
	s_cbranch_vccz .LBB1569_2
.LBB1569_3:
	v_add_nc_u32_e32 v7, s17, v7
	s_load_b32 s4, s[0:1], 0x0
	s_delay_alu instid0(VALU_DEP_1) | instskip(SKIP_2) | instid1(VALU_DEP_3)
	v_ashrrev_i32_e32 v2, 31, v7
	v_mul_lo_u32 v5, v7, s19
	v_mad_u64_u32 v[3:4], null, v7, s18, 0
	v_mul_lo_u32 v2, v2, s18
	s_delay_alu instid0(VALU_DEP_1) | instskip(SKIP_3) | instid1(VALU_DEP_3)
	v_add3_u32 v4, v4, v5, v2
	v_add_nc_u32_e32 v2, s16, v6
	s_waitcnt lgkmcnt(0)
	v_cmp_gt_i32_e32 vcc_lo, s4, v7
	v_lshlrev_b64 v[3:4], 3, v[3:4]
	s_delay_alu instid0(VALU_DEP_3) | instskip(NEXT) | instid1(VALU_DEP_1)
	v_cmp_le_i32_e64 s0, v2, v7
	s_and_b32 s0, vcc_lo, s0
	s_delay_alu instid0(VALU_DEP_2) | instskip(NEXT) | instid1(VALU_DEP_1)
	v_add_co_u32 v6, s1, s2, v3
	v_add_co_ci_u32_e64 v12, s1, s3, v4, s1
	s_and_saveexec_b32 s1, s0
	s_cbranch_execz .LBB1569_5
; %bb.4:
	v_ashrrev_i32_e32 v3, 31, v2
	v_mul_f32_e32 v4, s6, v17
	v_mul_f32_e32 v5, s7, v17
	s_delay_alu instid0(VALU_DEP_3) | instskip(NEXT) | instid1(VALU_DEP_3)
	v_lshlrev_b64 v[13:14], 3, v[2:3]
	v_fmac_f32_e32 v4, s7, v16
	s_delay_alu instid0(VALU_DEP_3) | instskip(NEXT) | instid1(VALU_DEP_3)
	v_fma_f32 v3, v16, s6, -v5
	v_add_co_u32 v13, s0, v6, v13
	s_delay_alu instid0(VALU_DEP_1)
	v_add_co_ci_u32_e64 v14, s0, v12, v14, s0
	global_store_b64 v[13:14], v[3:4], off
.LBB1569_5:
	s_or_b32 exec_lo, exec_lo, s1
	v_add_nc_u32_e32 v4, 16, v2
	s_delay_alu instid0(VALU_DEP_1) | instskip(NEXT) | instid1(VALU_DEP_1)
	v_cmp_le_i32_e64 s0, v4, v7
	s_and_b32 s1, vcc_lo, s0
	s_delay_alu instid0(SALU_CYCLE_1)
	s_and_saveexec_b32 s0, s1
	s_cbranch_execz .LBB1569_7
; %bb.6:
	v_ashrrev_i32_e32 v5, 31, v4
	v_mul_f32_e32 v14, s6, v11
	v_mul_f32_e32 v3, s7, v11
	s_delay_alu instid0(VALU_DEP_3) | instskip(NEXT) | instid1(VALU_DEP_3)
	v_lshlrev_b64 v[15:16], 3, v[4:5]
	v_fmac_f32_e32 v14, s7, v10
	s_delay_alu instid0(VALU_DEP_3) | instskip(NEXT) | instid1(VALU_DEP_3)
	v_fma_f32 v13, v10, s6, -v3
	v_add_co_u32 v5, vcc_lo, v6, v15
	s_delay_alu instid0(VALU_DEP_4)
	v_add_co_ci_u32_e32 v6, vcc_lo, v12, v16, vcc_lo
	global_store_b64 v[5:6], v[13:14], off
.LBB1569_7:
	s_or_b32 exec_lo, exec_lo, s0
	v_add_nc_u32_e32 v5, 16, v7
	s_delay_alu instid0(VALU_DEP_1) | instskip(SKIP_3) | instid1(VALU_DEP_4)
	v_ashrrev_i32_e32 v3, 31, v5
	v_mul_lo_u32 v10, v5, s19
	v_mad_u64_u32 v[6:7], null, v5, s18, 0
	v_cmp_gt_i32_e32 vcc_lo, s4, v5
	v_mul_lo_u32 v3, v3, s18
	v_cmp_le_i32_e64 s0, v2, v5
	s_delay_alu instid0(VALU_DEP_1) | instskip(NEXT) | instid1(VALU_DEP_2)
	s_and_b32 s0, vcc_lo, s0
	v_add3_u32 v7, v7, v10, v3
	s_delay_alu instid0(VALU_DEP_1) | instskip(NEXT) | instid1(VALU_DEP_1)
	v_lshlrev_b64 v[6:7], 3, v[6:7]
	v_add_co_u32 v6, s1, s2, v6
	s_delay_alu instid0(VALU_DEP_1)
	v_add_co_ci_u32_e64 v7, s1, s3, v7, s1
	s_and_saveexec_b32 s1, s0
	s_cbranch_execz .LBB1569_9
; %bb.8:
	v_ashrrev_i32_e32 v3, 31, v2
	v_mul_f32_e32 v10, s6, v9
	v_mul_f32_e32 v11, s7, v9
	s_delay_alu instid0(VALU_DEP_3) | instskip(NEXT) | instid1(VALU_DEP_3)
	v_lshlrev_b64 v[2:3], 3, v[2:3]
	v_fmac_f32_e32 v10, s7, v8
	s_delay_alu instid0(VALU_DEP_3) | instskip(NEXT) | instid1(VALU_DEP_3)
	v_fma_f32 v9, v8, s6, -v11
	v_add_co_u32 v2, s0, v6, v2
	s_delay_alu instid0(VALU_DEP_1)
	v_add_co_ci_u32_e64 v3, s0, v7, v3, s0
	global_store_b64 v[2:3], v[9:10], off
.LBB1569_9:
	s_or_b32 exec_lo, exec_lo, s1
	v_cmp_le_i32_e64 s0, v4, v5
	s_delay_alu instid0(VALU_DEP_1) | instskip(NEXT) | instid1(SALU_CYCLE_1)
	s_and_b32 s0, vcc_lo, s0
	s_and_saveexec_b32 s1, s0
	s_cbranch_execz .LBB1569_11
; %bb.10:
	v_ashrrev_i32_e32 v5, 31, v4
	v_mul_f32_e32 v8, s7, v1
	v_mul_f32_e32 v2, s6, v1
	s_delay_alu instid0(VALU_DEP_3) | instskip(NEXT) | instid1(VALU_DEP_3)
	v_lshlrev_b64 v[3:4], 3, v[4:5]
	v_fma_f32 v1, v0, s6, -v8
	s_delay_alu instid0(VALU_DEP_3) | instskip(NEXT) | instid1(VALU_DEP_3)
	v_fmac_f32_e32 v2, s7, v0
	v_add_co_u32 v3, vcc_lo, v6, v3
	s_delay_alu instid0(VALU_DEP_4)
	v_add_co_ci_u32_e32 v4, vcc_lo, v7, v4, vcc_lo
	global_store_b64 v[3:4], v[1:2], off
.LBB1569_11:
	s_nop 0
	s_sendmsg sendmsg(MSG_DEALLOC_VGPRS)
	s_endpgm
	.section	.rodata,"a",@progbits
	.p2align	6, 0x0
	.amdhsa_kernel _ZL37rocblas_syrkx_herkx_restricted_kernelIl19rocblas_complex_numIfELi16ELi32ELi8ELb1ELb0ELc84ELc85EKPKS1_KPS1_EviT_T0_PT8_S7_lSA_S7_lS8_PT9_S7_li
		.amdhsa_group_segment_fixed_size 4096
		.amdhsa_private_segment_fixed_size 0
		.amdhsa_kernarg_size 108
		.amdhsa_user_sgpr_count 13
		.amdhsa_user_sgpr_dispatch_ptr 0
		.amdhsa_user_sgpr_queue_ptr 0
		.amdhsa_user_sgpr_kernarg_segment_ptr 1
		.amdhsa_user_sgpr_dispatch_id 0
		.amdhsa_user_sgpr_private_segment_size 0
		.amdhsa_wavefront_size32 1
		.amdhsa_uses_dynamic_stack 0
		.amdhsa_enable_private_segment 0
		.amdhsa_system_sgpr_workgroup_id_x 1
		.amdhsa_system_sgpr_workgroup_id_y 1
		.amdhsa_system_sgpr_workgroup_id_z 1
		.amdhsa_system_sgpr_workgroup_info 0
		.amdhsa_system_vgpr_workitem_id 1
		.amdhsa_next_free_vgpr 91
		.amdhsa_next_free_sgpr 22
		.amdhsa_reserve_vcc 1
		.amdhsa_float_round_mode_32 0
		.amdhsa_float_round_mode_16_64 0
		.amdhsa_float_denorm_mode_32 3
		.amdhsa_float_denorm_mode_16_64 3
		.amdhsa_dx10_clamp 1
		.amdhsa_ieee_mode 1
		.amdhsa_fp16_overflow 0
		.amdhsa_workgroup_processor_mode 1
		.amdhsa_memory_ordered 1
		.amdhsa_forward_progress 0
		.amdhsa_shared_vgpr_count 0
		.amdhsa_exception_fp_ieee_invalid_op 0
		.amdhsa_exception_fp_denorm_src 0
		.amdhsa_exception_fp_ieee_div_zero 0
		.amdhsa_exception_fp_ieee_overflow 0
		.amdhsa_exception_fp_ieee_underflow 0
		.amdhsa_exception_fp_ieee_inexact 0
		.amdhsa_exception_int_div_zero 0
	.end_amdhsa_kernel
	.section	.text._ZL37rocblas_syrkx_herkx_restricted_kernelIl19rocblas_complex_numIfELi16ELi32ELi8ELb1ELb0ELc84ELc85EKPKS1_KPS1_EviT_T0_PT8_S7_lSA_S7_lS8_PT9_S7_li,"axG",@progbits,_ZL37rocblas_syrkx_herkx_restricted_kernelIl19rocblas_complex_numIfELi16ELi32ELi8ELb1ELb0ELc84ELc85EKPKS1_KPS1_EviT_T0_PT8_S7_lSA_S7_lS8_PT9_S7_li,comdat
.Lfunc_end1569:
	.size	_ZL37rocblas_syrkx_herkx_restricted_kernelIl19rocblas_complex_numIfELi16ELi32ELi8ELb1ELb0ELc84ELc85EKPKS1_KPS1_EviT_T0_PT8_S7_lSA_S7_lS8_PT9_S7_li, .Lfunc_end1569-_ZL37rocblas_syrkx_herkx_restricted_kernelIl19rocblas_complex_numIfELi16ELi32ELi8ELb1ELb0ELc84ELc85EKPKS1_KPS1_EviT_T0_PT8_S7_lSA_S7_lS8_PT9_S7_li
                                        ; -- End function
	.section	.AMDGPU.csdata,"",@progbits
; Kernel info:
; codeLenInByte = 2228
; NumSgprs: 24
; NumVgprs: 91
; ScratchSize: 0
; MemoryBound: 0
; FloatMode: 240
; IeeeMode: 1
; LDSByteSize: 4096 bytes/workgroup (compile time only)
; SGPRBlocks: 2
; VGPRBlocks: 11
; NumSGPRsForWavesPerEU: 24
; NumVGPRsForWavesPerEU: 91
; Occupancy: 16
; WaveLimiterHint : 1
; COMPUTE_PGM_RSRC2:SCRATCH_EN: 0
; COMPUTE_PGM_RSRC2:USER_SGPR: 13
; COMPUTE_PGM_RSRC2:TRAP_HANDLER: 0
; COMPUTE_PGM_RSRC2:TGID_X_EN: 1
; COMPUTE_PGM_RSRC2:TGID_Y_EN: 1
; COMPUTE_PGM_RSRC2:TGID_Z_EN: 1
; COMPUTE_PGM_RSRC2:TIDIG_COMP_CNT: 1
	.section	.text._ZL37rocblas_syrkx_herkx_restricted_kernelIl19rocblas_complex_numIfELi16ELi32ELi8ELb1ELb0ELc67ELc85EKPKS1_KPS1_EviT_T0_PT8_S7_lSA_S7_lS8_PT9_S7_li,"axG",@progbits,_ZL37rocblas_syrkx_herkx_restricted_kernelIl19rocblas_complex_numIfELi16ELi32ELi8ELb1ELb0ELc67ELc85EKPKS1_KPS1_EviT_T0_PT8_S7_lSA_S7_lS8_PT9_S7_li,comdat
	.globl	_ZL37rocblas_syrkx_herkx_restricted_kernelIl19rocblas_complex_numIfELi16ELi32ELi8ELb1ELb0ELc67ELc85EKPKS1_KPS1_EviT_T0_PT8_S7_lSA_S7_lS8_PT9_S7_li ; -- Begin function _ZL37rocblas_syrkx_herkx_restricted_kernelIl19rocblas_complex_numIfELi16ELi32ELi8ELb1ELb0ELc67ELc85EKPKS1_KPS1_EviT_T0_PT8_S7_lSA_S7_lS8_PT9_S7_li
	.p2align	8
	.type	_ZL37rocblas_syrkx_herkx_restricted_kernelIl19rocblas_complex_numIfELi16ELi32ELi8ELb1ELb0ELc67ELc85EKPKS1_KPS1_EviT_T0_PT8_S7_lSA_S7_lS8_PT9_S7_li,@function
_ZL37rocblas_syrkx_herkx_restricted_kernelIl19rocblas_complex_numIfELi16ELi32ELi8ELb1ELb0ELc67ELc85EKPKS1_KPS1_EviT_T0_PT8_S7_lSA_S7_lS8_PT9_S7_li: ; @_ZL37rocblas_syrkx_herkx_restricted_kernelIl19rocblas_complex_numIfELi16ELi32ELi8ELb1ELb0ELc67ELc85EKPKS1_KPS1_EviT_T0_PT8_S7_lSA_S7_lS8_PT9_S7_li
; %bb.0:
	s_clause 0x1
	s_load_b128 s[16:19], s[0:1], 0x50
	s_load_b256 s[4:11], s[0:1], 0x8
	s_mov_b32 s2, s15
	s_mov_b32 s3, 0
	v_dual_mov_b32 v17, 0 :: v_dual_and_b32 v6, 0x3ff, v0
	s_lshl_b64 s[20:21], s[2:3], 3
	v_bfe_u32 v7, v0, 10, 10
	v_dual_mov_b32 v16, 0 :: v_dual_mov_b32 v11, 0
	v_dual_mov_b32 v10, 0 :: v_dual_mov_b32 v9, 0
	;; [unrolled: 1-line block ×3, first 2 shown]
	v_mov_b32_e32 v0, 0
	s_waitcnt lgkmcnt(0)
	s_add_u32 s2, s16, s20
	s_addc_u32 s3, s17, s21
	v_cmp_lt_i64_e64 s12, s[4:5], 1
	s_load_b64 s[2:3], s[2:3], 0x0
	s_lshl_b32 s16, s13, 5
	s_lshl_b32 s17, s14, 5
	s_delay_alu instid0(VALU_DEP_1)
	s_and_b32 vcc_lo, exec_lo, s12
	s_cbranch_vccnz .LBB1570_3
; %bb.1:
	s_load_b128 s[12:15], s[0:1], 0x30
	v_lshl_add_u32 v2, v7, 4, v6
	v_dual_mov_b32 v1, 0 :: v_dual_and_b32 v0, 7, v6
	s_add_u32 s8, s8, s20
	s_addc_u32 s9, s9, s21
	s_delay_alu instid0(VALU_DEP_2) | instskip(SKIP_3) | instid1(VALU_DEP_3)
	v_and_b32_e32 v11, 31, v2
	v_lshrrev_b32_e32 v10, 3, v2
	v_lshrrev_b32_e32 v2, 5, v2
	s_load_b64 s[8:9], s[8:9], 0x0
	v_dual_mov_b32 v3, v1 :: v_dual_add_nc_u32 v8, s16, v11
	s_delay_alu instid0(VALU_DEP_3) | instskip(SKIP_2) | instid1(VALU_DEP_4)
	v_add_nc_u32_e32 v12, s17, v10
	v_dual_mov_b32 v16, v1 :: v_dual_lshlrev_b32 v11, 3, v11
	v_mov_b32_e32 v17, v1
	v_ashrrev_i32_e32 v13, 31, v8
	s_delay_alu instid0(VALU_DEP_4)
	v_ashrrev_i32_e32 v9, 31, v12
	v_mad_u64_u32 v[4:5], null, s10, v8, v[2:3]
	s_waitcnt lgkmcnt(0)
	s_add_u32 s12, s12, s20
	v_mul_lo_u32 v3, s11, v8
	v_mul_lo_u32 v13, s10, v13
	s_addc_u32 s13, s13, s21
	v_mul_lo_u32 v14, v9, s14
	s_load_b64 s[10:11], s[12:13], 0x0
	v_mul_lo_u32 v15, v12, s15
	v_mad_u64_u32 v[8:9], null, v12, s14, v[0:1]
	v_lshlrev_b32_e32 v0, 3, v0
	v_add3_u32 v5, v3, v5, v13
	v_lshlrev_b32_e32 v12, 3, v6
	v_lshl_add_u32 v13, v7, 6, 0x800
	v_add3_u32 v9, v14, v9, v15
	s_delay_alu instid0(VALU_DEP_4) | instskip(SKIP_4) | instid1(VALU_DEP_2)
	v_lshlrev_b64 v[3:4], 3, v[4:5]
	v_lshl_or_b32 v14, v2, 8, v11
	v_mov_b32_e32 v11, v1
	v_lshl_or_b32 v0, v10, 6, v0
	v_lshlrev_b64 v[8:9], 3, v[8:9]
	v_dual_mov_b32 v10, v1 :: v_dual_add_nc_u32 v15, 0x800, v0
	v_add_co_u32 v0, vcc_lo, v3, s8
	v_add_co_ci_u32_e32 v3, vcc_lo, s9, v4, vcc_lo
	s_waitcnt lgkmcnt(0)
	s_delay_alu instid0(VALU_DEP_4) | instskip(SKIP_3) | instid1(VALU_DEP_4)
	v_add_co_u32 v4, vcc_lo, v8, s10
	v_add_co_ci_u32_e32 v5, vcc_lo, s11, v9, vcc_lo
	v_add_co_u32 v2, vcc_lo, v0, 4
	v_add_co_ci_u32_e32 v3, vcc_lo, 0, v3, vcc_lo
	v_add_co_u32 v4, vcc_lo, v4, 4
	s_delay_alu instid0(VALU_DEP_4)
	v_add_co_ci_u32_e32 v5, vcc_lo, 0, v5, vcc_lo
	v_mov_b32_e32 v0, v1
	v_mov_b32_e32 v9, v1
	;; [unrolled: 1-line block ×3, first 2 shown]
	s_mov_b64 s[8:9], 0
.LBB1570_2:                             ; =>This Inner Loop Header: Depth=1
	global_load_b64 v[18:19], v[2:3], off offset:-4
	global_load_b64 v[20:21], v[4:5], off offset:-4
	s_add_u32 s8, s8, 8
	v_add_co_u32 v2, vcc_lo, v2, 64
	s_addc_u32 s9, s9, 0
	v_add_co_ci_u32_e32 v3, vcc_lo, 0, v3, vcc_lo
	v_cmp_ge_u64_e64 s10, s[8:9], s[4:5]
	v_add_co_u32 v4, vcc_lo, v4, 64
	v_add_co_ci_u32_e32 v5, vcc_lo, 0, v5, vcc_lo
	s_waitcnt vmcnt(1)
	ds_store_b64 v14, v[18:19]
	s_waitcnt vmcnt(0)
	ds_store_b64 v15, v[20:21]
	s_waitcnt lgkmcnt(0)
	s_barrier
	buffer_gl0_inv
	ds_load_2addr_b64 v[18:21], v12 offset1:16
	ds_load_b128 v[22:25], v13
	ds_load_b128 v[26:29], v13 offset:1024
	ds_load_b128 v[30:33], v13 offset:16
	;; [unrolled: 1-line block ×4, first 2 shown]
	ds_load_2addr_b64 v[42:45], v12 offset0:32 offset1:48
	ds_load_2addr_b64 v[46:49], v12 offset0:64 offset1:80
	ds_load_b128 v[50:53], v13 offset:1040
	ds_load_2addr_b64 v[54:57], v12 offset0:96 offset1:112
	ds_load_2addr_b64 v[58:61], v12 offset0:128 offset1:144
	;; [unrolled: 1-line block ×4, first 2 shown]
	ds_load_b128 v[70:73], v13 offset:1056
	ds_load_b128 v[74:77], v13 offset:1072
	ds_load_2addr_b64 v[78:81], v12 offset0:224 offset1:240
	s_and_b32 vcc_lo, exec_lo, s10
	s_waitcnt lgkmcnt(0)
	s_barrier
	buffer_gl0_inv
	v_dual_mul_f32 v82, v23, v19 :: v_dual_mul_f32 v85, v22, v21
	v_dual_mul_f32 v83, v22, v19 :: v_dual_mul_f32 v84, v23, v21
	v_mul_f32_e32 v86, v27, v19
	v_dual_mul_f32 v19, v26, v19 :: v_dual_mul_f32 v90, v25, v45
	v_dual_mul_f32 v87, v27, v21 :: v_dual_mul_f32 v88, v25, v43
	v_mul_f32_e32 v21, v26, v21
	v_fma_f32 v82, v22, v18, -v82
	v_fmac_f32_e32 v83, v23, v18
	v_fma_f32 v22, v22, v20, -v84
	v_fmac_f32_e32 v85, v23, v20
	v_fma_f32 v23, v26, v18, -v86
	v_dual_fmac_f32 v19, v27, v18 :: v_dual_mul_f32 v86, v30, v47
	v_fma_f32 v18, v26, v20, -v87
	v_dual_fmac_f32 v21, v27, v20 :: v_dual_mul_f32 v20, v24, v45
	v_mul_f32_e32 v89, v24, v43
	v_mul_f32_e32 v26, v29, v43
	;; [unrolled: 1-line block ×4, first 2 shown]
	v_fmac_f32_e32 v20, v25, v44
	v_fmac_f32_e32 v89, v25, v42
	v_dual_mul_f32 v25, v28, v45 :: v_dual_fmac_f32 v86, v31, v46
	v_fma_f32 v84, v24, v42, -v88
	v_fma_f32 v24, v24, v44, -v90
	v_dual_mul_f32 v45, v31, v47 :: v_dual_mul_f32 v90, v33, v57
	v_fma_f32 v26, v28, v42, -v26
	v_fma_f32 v28, v28, v44, -v43
	v_fmac_f32_e32 v25, v29, v44
	v_dual_mul_f32 v43, v50, v47 :: v_dual_mul_f32 v44, v51, v49
	v_dual_fmac_f32 v27, v29, v42 :: v_dual_mul_f32 v42, v51, v47
	v_dual_mul_f32 v88, v32, v55 :: v_dual_mul_f32 v29, v30, v49
	v_mul_f32_e32 v87, v31, v49
	v_fma_f32 v45, v30, v46, -v45
	v_add_f32_e32 v16, v16, v82
	s_delay_alu instid0(VALU_DEP_4)
	v_dual_fmac_f32 v88, v33, v54 :: v_dual_fmac_f32 v29, v31, v48
	v_fma_f32 v31, v50, v46, -v42
	v_fma_f32 v42, v50, v48, -v44
	v_mul_f32_e32 v44, v32, v57
	v_mul_f32_e32 v47, v50, v49
	v_dual_mul_f32 v50, v53, v57 :: v_dual_fmac_f32 v43, v51, v46
	v_mul_f32_e32 v46, v53, v55
	v_mul_f32_e32 v49, v33, v55
	v_fma_f32 v30, v30, v48, -v87
	v_fmac_f32_e32 v44, v33, v56
	v_dual_fmac_f32 v47, v51, v48 :: v_dual_mul_f32 v48, v52, v55
	v_mul_f32_e32 v33, v52, v57
	v_fma_f32 v46, v52, v54, -v46
	v_fma_f32 v50, v52, v56, -v50
	v_mul_f32_e32 v52, v34, v61
	v_fma_f32 v49, v32, v54, -v49
	v_fma_f32 v32, v32, v56, -v90
	v_dual_mul_f32 v51, v35, v59 :: v_dual_fmac_f32 v48, v53, v54
	v_mul_f32_e32 v54, v70, v59
	v_dual_mul_f32 v55, v34, v59 :: v_dual_fmac_f32 v52, v35, v60
	v_fmac_f32_e32 v33, v53, v56
	v_mul_f32_e32 v53, v71, v59
	v_mul_f32_e32 v56, v71, v61
	;; [unrolled: 1-line block ×3, first 2 shown]
	v_fmac_f32_e32 v54, v71, v58
	v_fmac_f32_e32 v55, v35, v58
	v_fma_f32 v35, v70, v58, -v53
	v_fma_f32 v53, v70, v60, -v56
	v_mul_f32_e32 v56, v36, v65
	v_mul_f32_e32 v59, v70, v61
	v_fma_f32 v51, v34, v58, -v51
	v_mul_f32_e32 v58, v72, v63
	v_mul_f32_e32 v87, v36, v63
	;; [unrolled: 1-line block ×4, first 2 shown]
	v_fma_f32 v34, v34, v60, -v57
	v_mul_f32_e32 v57, v73, v63
	v_fmac_f32_e32 v56, v37, v64
	v_dual_fmac_f32 v59, v71, v60 :: v_dual_mul_f32 v60, v73, v65
	v_mul_f32_e32 v63, v39, v67
	v_mul_f32_e32 v70, v39, v69
	v_fmac_f32_e32 v58, v73, v62
	v_fmac_f32_e32 v87, v37, v62
	v_mul_f32_e32 v37, v72, v65
	v_fma_f32 v61, v36, v62, -v61
	v_fma_f32 v36, v36, v64, -v90
	v_mul_f32_e32 v65, v38, v67
	v_fma_f32 v57, v72, v62, -v57
	v_fma_f32 v60, v72, v64, -v60
	v_dual_fmac_f32 v37, v73, v64 :: v_dual_mul_f32 v62, v38, v69
	v_mul_f32_e32 v64, v75, v67
	v_fma_f32 v63, v38, v66, -v63
	v_fma_f32 v38, v38, v68, -v70
	v_mul_f32_e32 v70, v76, v79
	v_mul_f32_e32 v67, v74, v67
	;; [unrolled: 1-line block ×3, first 2 shown]
	v_dual_mul_f32 v69, v74, v69 :: v_dual_add_f32 v8, v8, v23
	v_dual_mul_f32 v73, v40, v79 :: v_dual_add_f32 v10, v10, v22
	v_dual_fmac_f32 v65, v39, v66 :: v_dual_add_f32 v16, v16, v84
	v_fmac_f32_e32 v62, v39, v68
	v_fma_f32 v39, v74, v66, -v64
	v_fmac_f32_e32 v70, v77, v78
	v_dual_fmac_f32 v67, v75, v66 :: v_dual_add_f32 v10, v10, v24
	v_mul_f32_e32 v66, v40, v81
	v_mul_f32_e32 v72, v41, v79
	v_dual_mul_f32 v90, v41, v81 :: v_dual_fmac_f32 v69, v75, v68
	v_add_f32_e32 v0, v0, v18
	v_fmac_f32_e32 v73, v41, v78
	v_dual_fmac_f32 v66, v41, v80 :: v_dual_mul_f32 v41, v76, v81
	v_add_f32_e32 v10, v10, v30
	v_fma_f32 v64, v74, v68, -v71
	v_dual_mul_f32 v71, v77, v81 :: v_dual_add_f32 v8, v8, v26
	s_delay_alu instid0(VALU_DEP_4)
	v_dual_fmac_f32 v41, v77, v80 :: v_dual_add_f32 v16, v16, v45
	v_add_f32_e32 v11, v11, v85
	v_add_f32_e32 v9, v9, v19
	v_dual_add_f32 v1, v1, v21 :: v_dual_add_f32 v10, v10, v32
	v_dual_add_f32 v0, v0, v28 :: v_dual_add_f32 v17, v17, v83
	v_add_f32_e32 v8, v8, v31
	s_delay_alu instid0(VALU_DEP_4) | instskip(NEXT) | instid1(VALU_DEP_4)
	v_dual_add_f32 v16, v16, v49 :: v_dual_add_f32 v9, v9, v27
	v_dual_add_f32 v10, v10, v34 :: v_dual_add_f32 v1, v1, v25
	s_delay_alu instid0(VALU_DEP_4) | instskip(NEXT) | instid1(VALU_DEP_3)
	v_add_f32_e32 v0, v0, v42
	v_dual_add_f32 v16, v16, v51 :: v_dual_add_f32 v17, v17, v89
	v_dual_add_f32 v8, v8, v46 :: v_dual_add_f32 v11, v11, v20
	s_delay_alu instid0(VALU_DEP_3) | instskip(NEXT) | instid1(VALU_DEP_2)
	v_dual_add_f32 v0, v0, v50 :: v_dual_add_f32 v9, v9, v43
	v_dual_add_f32 v17, v17, v86 :: v_dual_add_f32 v8, v8, v35
	s_delay_alu instid0(VALU_DEP_3) | instskip(SKIP_1) | instid1(VALU_DEP_3)
	v_dual_add_f32 v11, v11, v29 :: v_dual_add_f32 v10, v10, v36
	v_dual_add_f32 v1, v1, v47 :: v_dual_add_f32 v16, v16, v61
	;; [unrolled: 1-line block ×3, first 2 shown]
	s_delay_alu instid0(VALU_DEP_3) | instskip(NEXT) | instid1(VALU_DEP_3)
	v_dual_add_f32 v11, v11, v44 :: v_dual_add_f32 v0, v0, v53
	v_dual_add_f32 v16, v16, v63 :: v_dual_add_f32 v9, v9, v48
	s_delay_alu instid0(VALU_DEP_4) | instskip(NEXT) | instid1(VALU_DEP_3)
	v_dual_add_f32 v10, v10, v38 :: v_dual_add_f32 v1, v1, v33
	v_add_f32_e32 v0, v0, v60
	v_mul_f32_e32 v68, v77, v79
	v_fma_f32 v72, v40, v78, -v72
	v_fma_f32 v40, v40, v80, -v90
	s_delay_alu instid0(VALU_DEP_4) | instskip(SKIP_1) | instid1(VALU_DEP_4)
	v_dual_add_f32 v17, v17, v55 :: v_dual_add_f32 v0, v0, v64
	v_dual_add_f32 v11, v11, v52 :: v_dual_add_f32 v8, v8, v39
	;; [unrolled: 1-line block ×3, first 2 shown]
	s_delay_alu instid0(VALU_DEP_4)
	v_dual_add_f32 v1, v1, v59 :: v_dual_add_f32 v10, v10, v40
	v_fma_f32 v68, v76, v78, -v68
	v_fma_f32 v71, v76, v80, -v71
	v_add_f32_e32 v17, v17, v87
	v_add_f32_e32 v11, v11, v56
	;; [unrolled: 1-line block ×3, first 2 shown]
	s_delay_alu instid0(VALU_DEP_4) | instskip(NEXT) | instid1(VALU_DEP_4)
	v_dual_add_f32 v1, v1, v37 :: v_dual_add_f32 v0, v0, v71
	v_dual_add_f32 v8, v8, v68 :: v_dual_add_f32 v17, v17, v65
	s_delay_alu instid0(VALU_DEP_4) | instskip(NEXT) | instid1(VALU_DEP_4)
	v_add_f32_e32 v11, v11, v62
	v_add_f32_e32 v9, v9, v67
	s_delay_alu instid0(VALU_DEP_4) | instskip(NEXT) | instid1(VALU_DEP_4)
	v_add_f32_e32 v1, v1, v69
	v_add_f32_e32 v17, v17, v73
	;; [unrolled: 3-line block ×3, first 2 shown]
	s_delay_alu instid0(VALU_DEP_4)
	v_add_f32_e32 v1, v1, v41
	s_cbranch_vccz .LBB1570_2
.LBB1570_3:
	v_add_nc_u32_e32 v7, s17, v7
	s_load_b32 s4, s[0:1], 0x0
	s_delay_alu instid0(VALU_DEP_1) | instskip(SKIP_2) | instid1(VALU_DEP_3)
	v_ashrrev_i32_e32 v2, 31, v7
	v_mul_lo_u32 v5, v7, s19
	v_mad_u64_u32 v[3:4], null, v7, s18, 0
	v_mul_lo_u32 v2, v2, s18
	s_delay_alu instid0(VALU_DEP_1) | instskip(SKIP_3) | instid1(VALU_DEP_3)
	v_add3_u32 v4, v4, v5, v2
	v_add_nc_u32_e32 v2, s16, v6
	s_waitcnt lgkmcnt(0)
	v_cmp_gt_i32_e32 vcc_lo, s4, v7
	v_lshlrev_b64 v[3:4], 3, v[3:4]
	s_delay_alu instid0(VALU_DEP_3) | instskip(NEXT) | instid1(VALU_DEP_1)
	v_cmp_le_i32_e64 s0, v2, v7
	s_and_b32 s0, vcc_lo, s0
	s_delay_alu instid0(VALU_DEP_2) | instskip(NEXT) | instid1(VALU_DEP_1)
	v_add_co_u32 v6, s1, s2, v3
	v_add_co_ci_u32_e64 v12, s1, s3, v4, s1
	s_and_saveexec_b32 s1, s0
	s_cbranch_execz .LBB1570_5
; %bb.4:
	v_ashrrev_i32_e32 v3, 31, v2
	v_mul_f32_e32 v4, s6, v17
	v_mul_f32_e32 v5, s7, v17
	s_delay_alu instid0(VALU_DEP_3) | instskip(NEXT) | instid1(VALU_DEP_3)
	v_lshlrev_b64 v[13:14], 3, v[2:3]
	v_fmac_f32_e32 v4, s7, v16
	s_delay_alu instid0(VALU_DEP_3) | instskip(NEXT) | instid1(VALU_DEP_3)
	v_fma_f32 v3, v16, s6, -v5
	v_add_co_u32 v13, s0, v6, v13
	s_delay_alu instid0(VALU_DEP_1)
	v_add_co_ci_u32_e64 v14, s0, v12, v14, s0
	global_store_b64 v[13:14], v[3:4], off
.LBB1570_5:
	s_or_b32 exec_lo, exec_lo, s1
	v_add_nc_u32_e32 v4, 16, v2
	s_delay_alu instid0(VALU_DEP_1) | instskip(NEXT) | instid1(VALU_DEP_1)
	v_cmp_le_i32_e64 s0, v4, v7
	s_and_b32 s1, vcc_lo, s0
	s_delay_alu instid0(SALU_CYCLE_1)
	s_and_saveexec_b32 s0, s1
	s_cbranch_execz .LBB1570_7
; %bb.6:
	v_ashrrev_i32_e32 v5, 31, v4
	v_mul_f32_e32 v14, s6, v11
	v_mul_f32_e32 v3, s7, v11
	s_delay_alu instid0(VALU_DEP_3) | instskip(NEXT) | instid1(VALU_DEP_3)
	v_lshlrev_b64 v[15:16], 3, v[4:5]
	v_fmac_f32_e32 v14, s7, v10
	s_delay_alu instid0(VALU_DEP_3) | instskip(NEXT) | instid1(VALU_DEP_3)
	v_fma_f32 v13, v10, s6, -v3
	v_add_co_u32 v5, vcc_lo, v6, v15
	s_delay_alu instid0(VALU_DEP_4)
	v_add_co_ci_u32_e32 v6, vcc_lo, v12, v16, vcc_lo
	global_store_b64 v[5:6], v[13:14], off
.LBB1570_7:
	s_or_b32 exec_lo, exec_lo, s0
	v_add_nc_u32_e32 v5, 16, v7
	s_delay_alu instid0(VALU_DEP_1) | instskip(SKIP_3) | instid1(VALU_DEP_4)
	v_ashrrev_i32_e32 v3, 31, v5
	v_mul_lo_u32 v10, v5, s19
	v_mad_u64_u32 v[6:7], null, v5, s18, 0
	v_cmp_gt_i32_e32 vcc_lo, s4, v5
	v_mul_lo_u32 v3, v3, s18
	v_cmp_le_i32_e64 s0, v2, v5
	s_delay_alu instid0(VALU_DEP_1) | instskip(NEXT) | instid1(VALU_DEP_2)
	s_and_b32 s0, vcc_lo, s0
	v_add3_u32 v7, v7, v10, v3
	s_delay_alu instid0(VALU_DEP_1) | instskip(NEXT) | instid1(VALU_DEP_1)
	v_lshlrev_b64 v[6:7], 3, v[6:7]
	v_add_co_u32 v6, s1, s2, v6
	s_delay_alu instid0(VALU_DEP_1)
	v_add_co_ci_u32_e64 v7, s1, s3, v7, s1
	s_and_saveexec_b32 s1, s0
	s_cbranch_execz .LBB1570_9
; %bb.8:
	v_ashrrev_i32_e32 v3, 31, v2
	v_mul_f32_e32 v10, s6, v9
	v_mul_f32_e32 v11, s7, v9
	s_delay_alu instid0(VALU_DEP_3) | instskip(NEXT) | instid1(VALU_DEP_3)
	v_lshlrev_b64 v[2:3], 3, v[2:3]
	v_fmac_f32_e32 v10, s7, v8
	s_delay_alu instid0(VALU_DEP_3) | instskip(NEXT) | instid1(VALU_DEP_3)
	v_fma_f32 v9, v8, s6, -v11
	v_add_co_u32 v2, s0, v6, v2
	s_delay_alu instid0(VALU_DEP_1)
	v_add_co_ci_u32_e64 v3, s0, v7, v3, s0
	global_store_b64 v[2:3], v[9:10], off
.LBB1570_9:
	s_or_b32 exec_lo, exec_lo, s1
	v_cmp_le_i32_e64 s0, v4, v5
	s_delay_alu instid0(VALU_DEP_1) | instskip(NEXT) | instid1(SALU_CYCLE_1)
	s_and_b32 s0, vcc_lo, s0
	s_and_saveexec_b32 s1, s0
	s_cbranch_execz .LBB1570_11
; %bb.10:
	v_ashrrev_i32_e32 v5, 31, v4
	v_mul_f32_e32 v8, s7, v1
	v_mul_f32_e32 v2, s6, v1
	s_delay_alu instid0(VALU_DEP_3) | instskip(NEXT) | instid1(VALU_DEP_3)
	v_lshlrev_b64 v[3:4], 3, v[4:5]
	v_fma_f32 v1, v0, s6, -v8
	s_delay_alu instid0(VALU_DEP_3) | instskip(NEXT) | instid1(VALU_DEP_3)
	v_fmac_f32_e32 v2, s7, v0
	v_add_co_u32 v3, vcc_lo, v6, v3
	s_delay_alu instid0(VALU_DEP_4)
	v_add_co_ci_u32_e32 v4, vcc_lo, v7, v4, vcc_lo
	global_store_b64 v[3:4], v[1:2], off
.LBB1570_11:
	s_nop 0
	s_sendmsg sendmsg(MSG_DEALLOC_VGPRS)
	s_endpgm
	.section	.rodata,"a",@progbits
	.p2align	6, 0x0
	.amdhsa_kernel _ZL37rocblas_syrkx_herkx_restricted_kernelIl19rocblas_complex_numIfELi16ELi32ELi8ELb1ELb0ELc67ELc85EKPKS1_KPS1_EviT_T0_PT8_S7_lSA_S7_lS8_PT9_S7_li
		.amdhsa_group_segment_fixed_size 4096
		.amdhsa_private_segment_fixed_size 0
		.amdhsa_kernarg_size 108
		.amdhsa_user_sgpr_count 13
		.amdhsa_user_sgpr_dispatch_ptr 0
		.amdhsa_user_sgpr_queue_ptr 0
		.amdhsa_user_sgpr_kernarg_segment_ptr 1
		.amdhsa_user_sgpr_dispatch_id 0
		.amdhsa_user_sgpr_private_segment_size 0
		.amdhsa_wavefront_size32 1
		.amdhsa_uses_dynamic_stack 0
		.amdhsa_enable_private_segment 0
		.amdhsa_system_sgpr_workgroup_id_x 1
		.amdhsa_system_sgpr_workgroup_id_y 1
		.amdhsa_system_sgpr_workgroup_id_z 1
		.amdhsa_system_sgpr_workgroup_info 0
		.amdhsa_system_vgpr_workitem_id 1
		.amdhsa_next_free_vgpr 91
		.amdhsa_next_free_sgpr 22
		.amdhsa_reserve_vcc 1
		.amdhsa_float_round_mode_32 0
		.amdhsa_float_round_mode_16_64 0
		.amdhsa_float_denorm_mode_32 3
		.amdhsa_float_denorm_mode_16_64 3
		.amdhsa_dx10_clamp 1
		.amdhsa_ieee_mode 1
		.amdhsa_fp16_overflow 0
		.amdhsa_workgroup_processor_mode 1
		.amdhsa_memory_ordered 1
		.amdhsa_forward_progress 0
		.amdhsa_shared_vgpr_count 0
		.amdhsa_exception_fp_ieee_invalid_op 0
		.amdhsa_exception_fp_denorm_src 0
		.amdhsa_exception_fp_ieee_div_zero 0
		.amdhsa_exception_fp_ieee_overflow 0
		.amdhsa_exception_fp_ieee_underflow 0
		.amdhsa_exception_fp_ieee_inexact 0
		.amdhsa_exception_int_div_zero 0
	.end_amdhsa_kernel
	.section	.text._ZL37rocblas_syrkx_herkx_restricted_kernelIl19rocblas_complex_numIfELi16ELi32ELi8ELb1ELb0ELc67ELc85EKPKS1_KPS1_EviT_T0_PT8_S7_lSA_S7_lS8_PT9_S7_li,"axG",@progbits,_ZL37rocblas_syrkx_herkx_restricted_kernelIl19rocblas_complex_numIfELi16ELi32ELi8ELb1ELb0ELc67ELc85EKPKS1_KPS1_EviT_T0_PT8_S7_lSA_S7_lS8_PT9_S7_li,comdat
.Lfunc_end1570:
	.size	_ZL37rocblas_syrkx_herkx_restricted_kernelIl19rocblas_complex_numIfELi16ELi32ELi8ELb1ELb0ELc67ELc85EKPKS1_KPS1_EviT_T0_PT8_S7_lSA_S7_lS8_PT9_S7_li, .Lfunc_end1570-_ZL37rocblas_syrkx_herkx_restricted_kernelIl19rocblas_complex_numIfELi16ELi32ELi8ELb1ELb0ELc67ELc85EKPKS1_KPS1_EviT_T0_PT8_S7_lSA_S7_lS8_PT9_S7_li
                                        ; -- End function
	.section	.AMDGPU.csdata,"",@progbits
; Kernel info:
; codeLenInByte = 2228
; NumSgprs: 24
; NumVgprs: 91
; ScratchSize: 0
; MemoryBound: 0
; FloatMode: 240
; IeeeMode: 1
; LDSByteSize: 4096 bytes/workgroup (compile time only)
; SGPRBlocks: 2
; VGPRBlocks: 11
; NumSGPRsForWavesPerEU: 24
; NumVGPRsForWavesPerEU: 91
; Occupancy: 16
; WaveLimiterHint : 1
; COMPUTE_PGM_RSRC2:SCRATCH_EN: 0
; COMPUTE_PGM_RSRC2:USER_SGPR: 13
; COMPUTE_PGM_RSRC2:TRAP_HANDLER: 0
; COMPUTE_PGM_RSRC2:TGID_X_EN: 1
; COMPUTE_PGM_RSRC2:TGID_Y_EN: 1
; COMPUTE_PGM_RSRC2:TGID_Z_EN: 1
; COMPUTE_PGM_RSRC2:TIDIG_COMP_CNT: 1
	.section	.text._ZL37rocblas_syrkx_herkx_restricted_kernelIl19rocblas_complex_numIfELi16ELi32ELi8ELb1ELb0ELc78ELc85EKPKS1_KPS1_EviT_T0_PT8_S7_lSA_S7_lS8_PT9_S7_li,"axG",@progbits,_ZL37rocblas_syrkx_herkx_restricted_kernelIl19rocblas_complex_numIfELi16ELi32ELi8ELb1ELb0ELc78ELc85EKPKS1_KPS1_EviT_T0_PT8_S7_lSA_S7_lS8_PT9_S7_li,comdat
	.globl	_ZL37rocblas_syrkx_herkx_restricted_kernelIl19rocblas_complex_numIfELi16ELi32ELi8ELb1ELb0ELc78ELc85EKPKS1_KPS1_EviT_T0_PT8_S7_lSA_S7_lS8_PT9_S7_li ; -- Begin function _ZL37rocblas_syrkx_herkx_restricted_kernelIl19rocblas_complex_numIfELi16ELi32ELi8ELb1ELb0ELc78ELc85EKPKS1_KPS1_EviT_T0_PT8_S7_lSA_S7_lS8_PT9_S7_li
	.p2align	8
	.type	_ZL37rocblas_syrkx_herkx_restricted_kernelIl19rocblas_complex_numIfELi16ELi32ELi8ELb1ELb0ELc78ELc85EKPKS1_KPS1_EviT_T0_PT8_S7_lSA_S7_lS8_PT9_S7_li,@function
_ZL37rocblas_syrkx_herkx_restricted_kernelIl19rocblas_complex_numIfELi16ELi32ELi8ELb1ELb0ELc78ELc85EKPKS1_KPS1_EviT_T0_PT8_S7_lSA_S7_lS8_PT9_S7_li: ; @_ZL37rocblas_syrkx_herkx_restricted_kernelIl19rocblas_complex_numIfELi16ELi32ELi8ELb1ELb0ELc78ELc85EKPKS1_KPS1_EviT_T0_PT8_S7_lSA_S7_lS8_PT9_S7_li
; %bb.0:
	s_clause 0x1
	s_load_b128 s[16:19], s[0:1], 0x50
	s_load_b256 s[4:11], s[0:1], 0x8
	s_mov_b32 s2, s15
	s_mov_b32 s3, 0
	v_dual_mov_b32 v17, 0 :: v_dual_and_b32 v4, 0x3ff, v0
	s_lshl_b64 s[20:21], s[2:3], 3
	v_bfe_u32 v5, v0, 10, 10
	v_dual_mov_b32 v14, 0 :: v_dual_mov_b32 v13, 0
	v_dual_mov_b32 v12, 0 :: v_dual_mov_b32 v9, 0
	v_dual_mov_b32 v8, 0 :: v_dual_mov_b32 v7, 0
	v_mov_b32_e32 v6, 0
	s_waitcnt lgkmcnt(0)
	s_add_u32 s2, s16, s20
	s_addc_u32 s3, s17, s21
	v_cmp_lt_i64_e64 s12, s[4:5], 1
	s_load_b64 s[2:3], s[2:3], 0x0
	s_lshl_b32 s16, s13, 5
	s_lshl_b32 s17, s14, 5
	s_delay_alu instid0(VALU_DEP_1)
	s_and_b32 vcc_lo, exec_lo, s12
	s_cbranch_vccnz .LBB1571_3
; %bb.1:
	v_lshl_add_u32 v1, v5, 4, v4
	s_load_b128 s[12:15], s[0:1], 0x30
	s_add_u32 s8, s8, s20
	s_addc_u32 s9, s9, s21
	v_lshl_add_u32 v11, v5, 6, 0x800
	v_dual_mov_b32 v7, 0 :: v_dual_and_b32 v14, 31, v1
	v_lshrrev_b32_e32 v15, 3, v1
	v_lshrrev_b32_e32 v16, 5, v1
	s_load_b64 s[8:9], s[8:9], 0x0
	s_delay_alu instid0(VALU_DEP_3) | instskip(SKIP_2) | instid1(VALU_DEP_3)
	v_add_nc_u32_e32 v0, s16, v14
	v_lshlrev_b32_e32 v14, 3, v14
	v_add_nc_u32_e32 v2, s17, v15
	v_ashrrev_i32_e32 v1, 31, v0
	s_delay_alu instid0(VALU_DEP_2) | instskip(NEXT) | instid1(VALU_DEP_2)
	v_ashrrev_i32_e32 v3, 31, v2
	v_mad_u64_u32 v[12:13], null, v16, s10, v[0:1]
	v_and_b32_e32 v17, 7, v4
	s_waitcnt lgkmcnt(0)
	s_add_u32 s12, s12, s20
	s_addc_u32 s13, s13, s21
	s_load_b64 s[12:13], s[12:13], 0x0
	v_mad_u64_u32 v[0:1], null, v17, s14, v[2:3]
	s_delay_alu instid0(VALU_DEP_3) | instskip(SKIP_1) | instid1(VALU_DEP_2)
	v_mov_b32_e32 v2, v13
	v_mov_b32_e32 v6, 0
	v_mad_u64_u32 v[8:9], null, v16, s11, v[2:3]
	s_delay_alu instid0(VALU_DEP_4) | instskip(SKIP_2) | instid1(VALU_DEP_4)
	v_mad_u64_u32 v[2:3], null, v17, s15, v[1:2]
	v_lshlrev_b32_e32 v1, 3, v17
	v_dual_mov_b32 v9, 0 :: v_dual_lshlrev_b32 v10, 3, v4
	v_mov_b32_e32 v13, v8
	s_delay_alu instid0(VALU_DEP_3)
	v_lshl_or_b32 v17, v15, 6, v1
	v_mov_b32_e32 v1, v2
	v_lshl_or_b32 v15, v16, 8, v14
	v_mov_b32_e32 v8, 0
	v_lshlrev_b64 v[2:3], 3, v[12:13]
	v_mov_b32_e32 v12, 0
	v_lshlrev_b64 v[0:1], 3, v[0:1]
	v_dual_mov_b32 v17, 0 :: v_dual_add_nc_u32 v16, 0x800, v17
	s_delay_alu instid0(VALU_DEP_4) | instskip(SKIP_2) | instid1(VALU_DEP_4)
	v_add_co_u32 v2, vcc_lo, v2, s8
	v_add_co_ci_u32_e32 v3, vcc_lo, s9, v3, vcc_lo
	s_waitcnt lgkmcnt(0)
	v_add_co_u32 v13, vcc_lo, v0, s12
	v_add_co_ci_u32_e32 v14, vcc_lo, s13, v1, vcc_lo
	v_add_co_u32 v0, vcc_lo, v2, 4
	v_add_co_ci_u32_e32 v1, vcc_lo, 0, v3, vcc_lo
	s_delay_alu instid0(VALU_DEP_4)
	v_add_co_u32 v2, vcc_lo, v13, 4
	v_mov_b32_e32 v13, 0
	v_add_co_ci_u32_e32 v3, vcc_lo, 0, v14, vcc_lo
	v_mov_b32_e32 v14, 0
	s_lshl_b64 s[8:9], s[10:11], 6
	s_lshl_b64 s[10:11], s[14:15], 6
	s_mov_b64 s[12:13], 0
.LBB1571_2:                             ; =>This Inner Loop Header: Depth=1
	global_load_b64 v[18:19], v[0:1], off offset:-4
	global_load_b64 v[20:21], v[2:3], off offset:-4
	s_add_u32 s12, s12, 8
	v_add_co_u32 v0, vcc_lo, v0, s8
	s_addc_u32 s13, s13, 0
	v_add_co_ci_u32_e32 v1, vcc_lo, s9, v1, vcc_lo
	v_cmp_ge_u64_e64 s14, s[12:13], s[4:5]
	v_add_co_u32 v2, vcc_lo, v2, s10
	v_add_co_ci_u32_e32 v3, vcc_lo, s11, v3, vcc_lo
	s_waitcnt vmcnt(1)
	ds_store_b64 v15, v[18:19]
	s_waitcnt vmcnt(0)
	ds_store_b64 v16, v[20:21]
	s_waitcnt lgkmcnt(0)
	s_barrier
	buffer_gl0_inv
	ds_load_2addr_b64 v[18:21], v10 offset1:16
	ds_load_b128 v[22:25], v11
	ds_load_b128 v[26:29], v11 offset:1024
	ds_load_b128 v[30:33], v11 offset:16
	;; [unrolled: 1-line block ×4, first 2 shown]
	ds_load_2addr_b64 v[42:45], v10 offset0:32 offset1:48
	ds_load_2addr_b64 v[46:49], v10 offset0:64 offset1:80
	ds_load_b128 v[50:53], v11 offset:1040
	ds_load_2addr_b64 v[54:57], v10 offset0:96 offset1:112
	ds_load_2addr_b64 v[58:61], v10 offset0:128 offset1:144
	;; [unrolled: 1-line block ×4, first 2 shown]
	ds_load_b128 v[70:73], v11 offset:1056
	ds_load_b128 v[74:77], v11 offset:1072
	ds_load_2addr_b64 v[78:81], v10 offset0:224 offset1:240
	s_and_b32 vcc_lo, exec_lo, s14
	s_waitcnt lgkmcnt(0)
	s_barrier
	buffer_gl0_inv
	v_dual_mul_f32 v82, v23, v19 :: v_dual_mul_f32 v85, v22, v21
	v_dual_mul_f32 v83, v22, v19 :: v_dual_mul_f32 v84, v23, v21
	v_mul_f32_e32 v86, v27, v19
	v_dual_mul_f32 v19, v26, v19 :: v_dual_mul_f32 v90, v25, v45
	v_dual_mul_f32 v87, v27, v21 :: v_dual_mul_f32 v88, v25, v43
	v_mul_f32_e32 v21, v26, v21
	v_mul_f32_e32 v89, v24, v43
	;; [unrolled: 1-line block ×3, first 2 shown]
	v_fma_f32 v82, v22, v18, -v82
	v_fmac_f32_e32 v83, v23, v18
	v_fma_f32 v22, v22, v20, -v84
	v_dual_fmac_f32 v85, v23, v20 :: v_dual_mul_f32 v84, v30, v47
	v_fma_f32 v23, v26, v18, -v86
	v_fmac_f32_e32 v19, v27, v18
	v_fma_f32 v18, v26, v20, -v87
	v_dual_mul_f32 v26, v28, v43 :: v_dual_fmac_f32 v21, v27, v20
	v_mul_f32_e32 v20, v29, v43
	v_mul_f32_e32 v27, v29, v45
	v_dual_mul_f32 v43, v28, v45 :: v_dual_fmac_f32 v84, v31, v46
	v_fma_f32 v45, v24, v42, -v88
	v_fma_f32 v24, v24, v44, -v90
	v_dual_fmac_f32 v91, v25, v44 :: v_dual_mul_f32 v90, v32, v57
	v_dual_mul_f32 v86, v31, v49 :: v_dual_fmac_f32 v89, v25, v42
	v_dual_mul_f32 v25, v31, v47 :: v_dual_mul_f32 v88, v33, v57
	v_fma_f32 v20, v28, v42, -v20
	v_fmac_f32_e32 v26, v29, v42
	v_fma_f32 v27, v28, v44, -v27
	v_dual_fmac_f32 v43, v29, v44 :: v_dual_mul_f32 v28, v51, v47
	v_dual_mul_f32 v29, v50, v47 :: v_dual_mul_f32 v42, v51, v49
	v_mul_f32_e32 v44, v50, v49
	v_mul_f32_e32 v87, v30, v49
	;; [unrolled: 1-line block ×3, first 2 shown]
	v_dual_mul_f32 v49, v32, v55 :: v_dual_fmac_f32 v90, v33, v56
	v_fma_f32 v25, v30, v46, -v25
	v_fma_f32 v30, v30, v48, -v86
	;; [unrolled: 1-line block ×3, first 2 shown]
	v_fmac_f32_e32 v44, v51, v48
	v_fmac_f32_e32 v87, v31, v48
	v_fma_f32 v31, v50, v48, -v42
	v_mul_f32_e32 v42, v53, v55
	v_mul_f32_e32 v48, v53, v57
	v_dual_mul_f32 v50, v52, v57 :: v_dual_fmac_f32 v29, v51, v46
	v_mul_f32_e32 v46, v52, v55
	v_fma_f32 v47, v32, v54, -v47
	v_fmac_f32_e32 v49, v33, v54
	v_fma_f32 v32, v32, v56, -v88
	s_delay_alu instid0(VALU_DEP_4)
	v_dual_mul_f32 v33, v35, v59 :: v_dual_fmac_f32 v46, v53, v54
	v_mul_f32_e32 v51, v34, v59
	v_mul_f32_e32 v55, v35, v61
	v_fma_f32 v42, v52, v54, -v42
	v_fma_f32 v48, v52, v56, -v48
	v_fmac_f32_e32 v50, v53, v56
	v_mul_f32_e32 v52, v71, v59
	v_dual_mul_f32 v53, v70, v59 :: v_dual_mul_f32 v86, v37, v65
	v_mul_f32_e32 v54, v71, v61
	v_dual_mul_f32 v56, v70, v61 :: v_dual_mul_f32 v59, v37, v63
	v_mul_f32_e32 v57, v34, v61
	v_mul_f32_e32 v61, v36, v63
	v_dual_mul_f32 v88, v36, v65 :: v_dual_fmac_f32 v51, v35, v58
	v_fma_f32 v33, v34, v58, -v33
	v_fmac_f32_e32 v53, v71, v58
	v_fmac_f32_e32 v56, v71, v60
	s_delay_alu instid0(VALU_DEP_4)
	v_fmac_f32_e32 v88, v37, v64
	v_fmac_f32_e32 v57, v35, v60
	v_fma_f32 v35, v70, v58, -v52
	v_fma_f32 v52, v70, v60, -v54
	v_mul_f32_e32 v54, v73, v63
	v_fma_f32 v34, v34, v60, -v55
	v_mul_f32_e32 v60, v72, v65
	v_dual_mul_f32 v55, v72, v63 :: v_dual_mul_f32 v70, v38, v69
	v_mul_f32_e32 v58, v73, v65
	v_fma_f32 v59, v36, v62, -v59
	v_fmac_f32_e32 v61, v37, v62
	v_fma_f32 v36, v36, v64, -v86
	v_dual_mul_f32 v37, v39, v67 :: v_dual_fmac_f32 v60, v73, v64
	v_dual_mul_f32 v63, v38, v67 :: v_dual_mul_f32 v86, v40, v81
	v_mul_f32_e32 v65, v39, v69
	v_fma_f32 v54, v72, v62, -v54
	v_fmac_f32_e32 v55, v73, v62
	v_fma_f32 v58, v72, v64, -v58
	v_mul_f32_e32 v72, v40, v79
	v_mul_f32_e32 v62, v75, v67
	v_dual_mul_f32 v64, v74, v67 :: v_dual_mul_f32 v67, v75, v69
	v_dual_mul_f32 v69, v74, v69 :: v_dual_fmac_f32 v70, v39, v68
	s_delay_alu instid0(VALU_DEP_2)
	v_dual_mul_f32 v71, v41, v79 :: v_dual_fmac_f32 v64, v75, v66
	v_dual_mul_f32 v73, v41, v81 :: v_dual_add_f32 v14, v14, v82
	v_fma_f32 v37, v38, v66, -v37
	v_fmac_f32_e32 v63, v39, v66
	v_fma_f32 v38, v38, v68, -v65
	v_fma_f32 v39, v74, v66, -v62
	v_dual_mul_f32 v65, v77, v79 :: v_dual_add_f32 v12, v12, v85
	v_mul_f32_e32 v66, v76, v79
	v_fma_f32 v62, v74, v68, -v67
	v_dual_mul_f32 v67, v77, v81 :: v_dual_add_f32 v8, v8, v23
	v_dual_fmac_f32 v86, v41, v80 :: v_dual_add_f32 v7, v7, v18
	v_dual_add_f32 v17, v17, v83 :: v_dual_add_f32 v6, v6, v21
	v_dual_add_f32 v13, v13, v22 :: v_dual_add_f32 v14, v14, v45
	s_delay_alu instid0(VALU_DEP_4)
	v_dual_add_f32 v9, v9, v19 :: v_dual_add_f32 v8, v8, v20
	v_dual_fmac_f32 v69, v75, v68 :: v_dual_fmac_f32 v72, v41, v78
	v_mul_f32_e32 v68, v76, v81
	v_dual_fmac_f32 v66, v77, v78 :: v_dual_add_f32 v7, v7, v27
	v_dual_add_f32 v17, v17, v89 :: v_dual_add_f32 v12, v12, v91
	v_dual_add_f32 v13, v13, v24 :: v_dual_add_f32 v6, v6, v43
	;; [unrolled: 1-line block ×3, first 2 shown]
	s_delay_alu instid0(VALU_DEP_4) | instskip(NEXT) | instid1(VALU_DEP_4)
	v_dual_fmac_f32 v68, v77, v80 :: v_dual_add_f32 v7, v7, v31
	v_dual_add_f32 v17, v17, v84 :: v_dual_add_f32 v12, v12, v87
	s_delay_alu instid0(VALU_DEP_4) | instskip(NEXT) | instid1(VALU_DEP_4)
	v_dual_add_f32 v13, v13, v30 :: v_dual_add_f32 v8, v8, v28
	v_dual_add_f32 v9, v9, v29 :: v_dual_add_f32 v6, v6, v44
	s_delay_alu instid0(VALU_DEP_3) | instskip(NEXT) | instid1(VALU_DEP_3)
	v_dual_add_f32 v14, v14, v47 :: v_dual_add_f32 v17, v17, v49
	v_dual_add_f32 v13, v13, v32 :: v_dual_add_f32 v12, v12, v90
	s_delay_alu instid0(VALU_DEP_4) | instskip(NEXT) | instid1(VALU_DEP_3)
	v_dual_add_f32 v8, v8, v42 :: v_dual_add_f32 v7, v7, v48
	v_dual_add_f32 v9, v9, v46 :: v_dual_add_f32 v14, v14, v33
	s_delay_alu instid0(VALU_DEP_4) | instskip(NEXT) | instid1(VALU_DEP_4)
	v_dual_add_f32 v6, v6, v50 :: v_dual_add_f32 v17, v17, v51
	v_dual_add_f32 v13, v13, v34 :: v_dual_add_f32 v12, v12, v57
	s_delay_alu instid0(VALU_DEP_3) | instskip(NEXT) | instid1(VALU_DEP_4)
	v_dual_add_f32 v8, v8, v35 :: v_dual_add_f32 v9, v9, v53
	v_dual_add_f32 v7, v7, v52 :: v_dual_add_f32 v14, v14, v59
	s_delay_alu instid0(VALU_DEP_4) | instskip(NEXT) | instid1(VALU_DEP_3)
	v_dual_add_f32 v6, v6, v56 :: v_dual_add_f32 v17, v17, v61
	v_dual_add_f32 v13, v13, v36 :: v_dual_add_f32 v8, v8, v54
	s_delay_alu instid0(VALU_DEP_4) | instskip(NEXT) | instid1(VALU_DEP_3)
	v_dual_add_f32 v12, v12, v88 :: v_dual_add_f32 v9, v9, v55
	v_dual_add_f32 v7, v7, v58 :: v_dual_add_f32 v6, v6, v60
	v_fma_f32 v71, v40, v78, -v71
	v_fma_f32 v40, v40, v80, -v73
	;; [unrolled: 1-line block ×4, first 2 shown]
	v_dual_add_f32 v14, v14, v37 :: v_dual_add_f32 v17, v17, v63
	v_dual_add_f32 v13, v13, v38 :: v_dual_add_f32 v8, v8, v39
	;; [unrolled: 1-line block ×4, first 2 shown]
	s_delay_alu instid0(VALU_DEP_4) | instskip(NEXT) | instid1(VALU_DEP_3)
	v_dual_add_f32 v14, v14, v71 :: v_dual_add_f32 v17, v17, v72
	v_dual_add_f32 v13, v13, v40 :: v_dual_add_f32 v12, v12, v86
	s_delay_alu instid0(VALU_DEP_4) | instskip(NEXT) | instid1(VALU_DEP_4)
	v_dual_add_f32 v8, v8, v41 :: v_dual_add_f32 v9, v9, v66
	v_dual_add_f32 v7, v7, v65 :: v_dual_add_f32 v6, v6, v68
	s_cbranch_vccz .LBB1571_2
.LBB1571_3:
	v_add_nc_u32_e32 v5, s17, v5
	s_load_b32 s4, s[0:1], 0x0
	s_delay_alu instid0(VALU_DEP_1) | instskip(SKIP_2) | instid1(VALU_DEP_3)
	v_ashrrev_i32_e32 v0, 31, v5
	v_mul_lo_u32 v3, v5, s19
	v_mad_u64_u32 v[1:2], null, v5, s18, 0
	v_mul_lo_u32 v0, v0, s18
	s_delay_alu instid0(VALU_DEP_1) | instskip(SKIP_3) | instid1(VALU_DEP_3)
	v_add3_u32 v2, v2, v3, v0
	v_add_nc_u32_e32 v0, s16, v4
	s_waitcnt lgkmcnt(0)
	v_cmp_gt_i32_e32 vcc_lo, s4, v5
	v_lshlrev_b64 v[1:2], 3, v[1:2]
	s_delay_alu instid0(VALU_DEP_3) | instskip(NEXT) | instid1(VALU_DEP_1)
	v_cmp_le_i32_e64 s0, v0, v5
	s_and_b32 s0, vcc_lo, s0
	s_delay_alu instid0(VALU_DEP_2) | instskip(NEXT) | instid1(VALU_DEP_1)
	v_add_co_u32 v4, s1, s2, v1
	v_add_co_ci_u32_e64 v10, s1, s3, v2, s1
	s_and_saveexec_b32 s1, s0
	s_cbranch_execz .LBB1571_5
; %bb.4:
	v_ashrrev_i32_e32 v1, 31, v0
	v_mul_f32_e32 v2, s6, v17
	v_mul_f32_e32 v3, s7, v17
	s_delay_alu instid0(VALU_DEP_3) | instskip(NEXT) | instid1(VALU_DEP_3)
	v_lshlrev_b64 v[15:16], 3, v[0:1]
	v_fmac_f32_e32 v2, s7, v14
	s_delay_alu instid0(VALU_DEP_3) | instskip(NEXT) | instid1(VALU_DEP_3)
	v_fma_f32 v1, v14, s6, -v3
	v_add_co_u32 v14, s0, v4, v15
	s_delay_alu instid0(VALU_DEP_1)
	v_add_co_ci_u32_e64 v15, s0, v10, v16, s0
	global_store_b64 v[14:15], v[1:2], off
.LBB1571_5:
	s_or_b32 exec_lo, exec_lo, s1
	v_add_nc_u32_e32 v2, 16, v0
	s_delay_alu instid0(VALU_DEP_1) | instskip(NEXT) | instid1(VALU_DEP_1)
	v_cmp_le_i32_e64 s0, v2, v5
	s_and_b32 s1, vcc_lo, s0
	s_delay_alu instid0(SALU_CYCLE_1)
	s_and_saveexec_b32 s0, s1
	s_cbranch_execz .LBB1571_7
; %bb.6:
	v_ashrrev_i32_e32 v3, 31, v2
	v_mul_f32_e32 v1, s7, v12
	v_mul_f32_e32 v12, s6, v12
	s_delay_alu instid0(VALU_DEP_3) | instskip(NEXT) | instid1(VALU_DEP_2)
	v_lshlrev_b64 v[14:15], 3, v[2:3]
	v_fmac_f32_e32 v12, s7, v13
	s_delay_alu instid0(VALU_DEP_4) | instskip(NEXT) | instid1(VALU_DEP_3)
	v_fma_f32 v11, v13, s6, -v1
	v_add_co_u32 v3, vcc_lo, v4, v14
	s_delay_alu instid0(VALU_DEP_4)
	v_add_co_ci_u32_e32 v4, vcc_lo, v10, v15, vcc_lo
	global_store_b64 v[3:4], v[11:12], off
.LBB1571_7:
	s_or_b32 exec_lo, exec_lo, s0
	v_add_nc_u32_e32 v3, 16, v5
	s_delay_alu instid0(VALU_DEP_1) | instskip(SKIP_3) | instid1(VALU_DEP_4)
	v_ashrrev_i32_e32 v1, 31, v3
	v_mul_lo_u32 v10, v3, s19
	v_mad_u64_u32 v[4:5], null, v3, s18, 0
	v_cmp_gt_i32_e32 vcc_lo, s4, v3
	v_mul_lo_u32 v1, v1, s18
	v_cmp_le_i32_e64 s0, v0, v3
	s_delay_alu instid0(VALU_DEP_1) | instskip(NEXT) | instid1(VALU_DEP_2)
	s_and_b32 s0, vcc_lo, s0
	v_add3_u32 v5, v5, v10, v1
	s_delay_alu instid0(VALU_DEP_1) | instskip(NEXT) | instid1(VALU_DEP_1)
	v_lshlrev_b64 v[4:5], 3, v[4:5]
	v_add_co_u32 v4, s1, s2, v4
	s_delay_alu instid0(VALU_DEP_1)
	v_add_co_ci_u32_e64 v5, s1, s3, v5, s1
	s_and_saveexec_b32 s1, s0
	s_cbranch_execz .LBB1571_9
; %bb.8:
	v_ashrrev_i32_e32 v1, 31, v0
	v_mul_f32_e32 v10, s6, v9
	v_mul_f32_e32 v11, s7, v9
	s_delay_alu instid0(VALU_DEP_3) | instskip(NEXT) | instid1(VALU_DEP_3)
	v_lshlrev_b64 v[0:1], 3, v[0:1]
	v_fmac_f32_e32 v10, s7, v8
	s_delay_alu instid0(VALU_DEP_3) | instskip(NEXT) | instid1(VALU_DEP_3)
	v_fma_f32 v9, v8, s6, -v11
	v_add_co_u32 v0, s0, v4, v0
	s_delay_alu instid0(VALU_DEP_1)
	v_add_co_ci_u32_e64 v1, s0, v5, v1, s0
	global_store_b64 v[0:1], v[9:10], off
.LBB1571_9:
	s_or_b32 exec_lo, exec_lo, s1
	v_cmp_le_i32_e64 s0, v2, v3
	s_delay_alu instid0(VALU_DEP_1) | instskip(NEXT) | instid1(SALU_CYCLE_1)
	s_and_b32 s0, vcc_lo, s0
	s_and_saveexec_b32 s1, s0
	s_cbranch_execz .LBB1571_11
; %bb.10:
	v_ashrrev_i32_e32 v3, 31, v2
	v_mul_f32_e32 v1, s6, v6
	v_mul_f32_e32 v0, s7, v6
	s_delay_alu instid0(VALU_DEP_3) | instskip(NEXT) | instid1(VALU_DEP_3)
	v_lshlrev_b64 v[2:3], 3, v[2:3]
	v_fmac_f32_e32 v1, s7, v7
	s_delay_alu instid0(VALU_DEP_3) | instskip(NEXT) | instid1(VALU_DEP_3)
	v_fma_f32 v0, v7, s6, -v0
	v_add_co_u32 v2, vcc_lo, v4, v2
	s_delay_alu instid0(VALU_DEP_4)
	v_add_co_ci_u32_e32 v3, vcc_lo, v5, v3, vcc_lo
	global_store_b64 v[2:3], v[0:1], off
.LBB1571_11:
	s_nop 0
	s_sendmsg sendmsg(MSG_DEALLOC_VGPRS)
	s_endpgm
	.section	.rodata,"a",@progbits
	.p2align	6, 0x0
	.amdhsa_kernel _ZL37rocblas_syrkx_herkx_restricted_kernelIl19rocblas_complex_numIfELi16ELi32ELi8ELb1ELb0ELc78ELc85EKPKS1_KPS1_EviT_T0_PT8_S7_lSA_S7_lS8_PT9_S7_li
		.amdhsa_group_segment_fixed_size 4096
		.amdhsa_private_segment_fixed_size 0
		.amdhsa_kernarg_size 108
		.amdhsa_user_sgpr_count 13
		.amdhsa_user_sgpr_dispatch_ptr 0
		.amdhsa_user_sgpr_queue_ptr 0
		.amdhsa_user_sgpr_kernarg_segment_ptr 1
		.amdhsa_user_sgpr_dispatch_id 0
		.amdhsa_user_sgpr_private_segment_size 0
		.amdhsa_wavefront_size32 1
		.amdhsa_uses_dynamic_stack 0
		.amdhsa_enable_private_segment 0
		.amdhsa_system_sgpr_workgroup_id_x 1
		.amdhsa_system_sgpr_workgroup_id_y 1
		.amdhsa_system_sgpr_workgroup_id_z 1
		.amdhsa_system_sgpr_workgroup_info 0
		.amdhsa_system_vgpr_workitem_id 1
		.amdhsa_next_free_vgpr 92
		.amdhsa_next_free_sgpr 22
		.amdhsa_reserve_vcc 1
		.amdhsa_float_round_mode_32 0
		.amdhsa_float_round_mode_16_64 0
		.amdhsa_float_denorm_mode_32 3
		.amdhsa_float_denorm_mode_16_64 3
		.amdhsa_dx10_clamp 1
		.amdhsa_ieee_mode 1
		.amdhsa_fp16_overflow 0
		.amdhsa_workgroup_processor_mode 1
		.amdhsa_memory_ordered 1
		.amdhsa_forward_progress 0
		.amdhsa_shared_vgpr_count 0
		.amdhsa_exception_fp_ieee_invalid_op 0
		.amdhsa_exception_fp_denorm_src 0
		.amdhsa_exception_fp_ieee_div_zero 0
		.amdhsa_exception_fp_ieee_overflow 0
		.amdhsa_exception_fp_ieee_underflow 0
		.amdhsa_exception_fp_ieee_inexact 0
		.amdhsa_exception_int_div_zero 0
	.end_amdhsa_kernel
	.section	.text._ZL37rocblas_syrkx_herkx_restricted_kernelIl19rocblas_complex_numIfELi16ELi32ELi8ELb1ELb0ELc78ELc85EKPKS1_KPS1_EviT_T0_PT8_S7_lSA_S7_lS8_PT9_S7_li,"axG",@progbits,_ZL37rocblas_syrkx_herkx_restricted_kernelIl19rocblas_complex_numIfELi16ELi32ELi8ELb1ELb0ELc78ELc85EKPKS1_KPS1_EviT_T0_PT8_S7_lSA_S7_lS8_PT9_S7_li,comdat
.Lfunc_end1571:
	.size	_ZL37rocblas_syrkx_herkx_restricted_kernelIl19rocblas_complex_numIfELi16ELi32ELi8ELb1ELb0ELc78ELc85EKPKS1_KPS1_EviT_T0_PT8_S7_lSA_S7_lS8_PT9_S7_li, .Lfunc_end1571-_ZL37rocblas_syrkx_herkx_restricted_kernelIl19rocblas_complex_numIfELi16ELi32ELi8ELb1ELb0ELc78ELc85EKPKS1_KPS1_EviT_T0_PT8_S7_lSA_S7_lS8_PT9_S7_li
                                        ; -- End function
	.section	.AMDGPU.csdata,"",@progbits
; Kernel info:
; codeLenInByte = 2212
; NumSgprs: 24
; NumVgprs: 92
; ScratchSize: 0
; MemoryBound: 0
; FloatMode: 240
; IeeeMode: 1
; LDSByteSize: 4096 bytes/workgroup (compile time only)
; SGPRBlocks: 2
; VGPRBlocks: 11
; NumSGPRsForWavesPerEU: 24
; NumVGPRsForWavesPerEU: 92
; Occupancy: 16
; WaveLimiterHint : 1
; COMPUTE_PGM_RSRC2:SCRATCH_EN: 0
; COMPUTE_PGM_RSRC2:USER_SGPR: 13
; COMPUTE_PGM_RSRC2:TRAP_HANDLER: 0
; COMPUTE_PGM_RSRC2:TGID_X_EN: 1
; COMPUTE_PGM_RSRC2:TGID_Y_EN: 1
; COMPUTE_PGM_RSRC2:TGID_Z_EN: 1
; COMPUTE_PGM_RSRC2:TIDIG_COMP_CNT: 1
	.section	.text._ZL37rocblas_syrkx_herkx_restricted_kernelIl19rocblas_complex_numIfELi16ELi32ELi8ELb0ELb0ELc84ELc76EKPKS1_KPS1_EviT_T0_PT8_S7_lSA_S7_lS8_PT9_S7_li,"axG",@progbits,_ZL37rocblas_syrkx_herkx_restricted_kernelIl19rocblas_complex_numIfELi16ELi32ELi8ELb0ELb0ELc84ELc76EKPKS1_KPS1_EviT_T0_PT8_S7_lSA_S7_lS8_PT9_S7_li,comdat
	.globl	_ZL37rocblas_syrkx_herkx_restricted_kernelIl19rocblas_complex_numIfELi16ELi32ELi8ELb0ELb0ELc84ELc76EKPKS1_KPS1_EviT_T0_PT8_S7_lSA_S7_lS8_PT9_S7_li ; -- Begin function _ZL37rocblas_syrkx_herkx_restricted_kernelIl19rocblas_complex_numIfELi16ELi32ELi8ELb0ELb0ELc84ELc76EKPKS1_KPS1_EviT_T0_PT8_S7_lSA_S7_lS8_PT9_S7_li
	.p2align	8
	.type	_ZL37rocblas_syrkx_herkx_restricted_kernelIl19rocblas_complex_numIfELi16ELi32ELi8ELb0ELb0ELc84ELc76EKPKS1_KPS1_EviT_T0_PT8_S7_lSA_S7_lS8_PT9_S7_li,@function
_ZL37rocblas_syrkx_herkx_restricted_kernelIl19rocblas_complex_numIfELi16ELi32ELi8ELb0ELb0ELc84ELc76EKPKS1_KPS1_EviT_T0_PT8_S7_lSA_S7_lS8_PT9_S7_li: ; @_ZL37rocblas_syrkx_herkx_restricted_kernelIl19rocblas_complex_numIfELi16ELi32ELi8ELb0ELb0ELc84ELc76EKPKS1_KPS1_EviT_T0_PT8_S7_lSA_S7_lS8_PT9_S7_li
; %bb.0:
	s_clause 0x1
	s_load_b128 s[16:19], s[0:1], 0x48
	s_load_b256 s[4:11], s[0:1], 0x8
	s_mov_b32 s2, s15
	s_mov_b32 s3, 0
	v_dual_mov_b32 v17, 0 :: v_dual_and_b32 v6, 0x3ff, v0
	s_lshl_b64 s[20:21], s[2:3], 3
	v_bfe_u32 v7, v0, 10, 10
	v_dual_mov_b32 v16, 0 :: v_dual_mov_b32 v11, 0
	v_dual_mov_b32 v10, 0 :: v_dual_mov_b32 v9, 0
	;; [unrolled: 1-line block ×3, first 2 shown]
	v_mov_b32_e32 v0, 0
	s_waitcnt lgkmcnt(0)
	s_add_u32 s2, s18, s20
	s_addc_u32 s3, s19, s21
	s_load_b64 s[18:19], s[0:1], 0x58
	s_load_b64 s[2:3], s[2:3], 0x0
	v_cmp_lt_i64_e64 s12, s[4:5], 1
	s_lshl_b32 s22, s13, 5
	s_lshl_b32 s23, s14, 5
	s_delay_alu instid0(VALU_DEP_1)
	s_and_b32 vcc_lo, exec_lo, s12
	s_cbranch_vccnz .LBB1572_3
; %bb.1:
	s_load_b128 s[12:15], s[0:1], 0x30
	v_lshl_add_u32 v2, v7, 4, v6
	v_dual_mov_b32 v1, 0 :: v_dual_and_b32 v0, 7, v6
	s_add_u32 s8, s8, s20
	s_addc_u32 s9, s9, s21
	s_delay_alu instid0(VALU_DEP_2) | instskip(SKIP_3) | instid1(VALU_DEP_3)
	v_and_b32_e32 v11, 31, v2
	v_lshrrev_b32_e32 v10, 3, v2
	v_lshrrev_b32_e32 v2, 5, v2
	s_load_b64 s[8:9], s[8:9], 0x0
	v_dual_mov_b32 v3, v1 :: v_dual_add_nc_u32 v8, s22, v11
	s_delay_alu instid0(VALU_DEP_3) | instskip(SKIP_2) | instid1(VALU_DEP_4)
	v_add_nc_u32_e32 v12, s23, v10
	v_dual_mov_b32 v16, v1 :: v_dual_lshlrev_b32 v11, 3, v11
	v_mov_b32_e32 v17, v1
	v_ashrrev_i32_e32 v13, 31, v8
	s_delay_alu instid0(VALU_DEP_4)
	v_ashrrev_i32_e32 v9, 31, v12
	v_mad_u64_u32 v[4:5], null, s10, v8, v[2:3]
	s_waitcnt lgkmcnt(0)
	s_add_u32 s12, s12, s20
	v_mul_lo_u32 v3, s11, v8
	v_mul_lo_u32 v13, s10, v13
	s_addc_u32 s13, s13, s21
	v_mul_lo_u32 v14, v9, s14
	s_load_b64 s[10:11], s[12:13], 0x0
	v_mul_lo_u32 v15, v12, s15
	v_mad_u64_u32 v[8:9], null, v12, s14, v[0:1]
	v_lshlrev_b32_e32 v0, 3, v0
	v_add3_u32 v5, v3, v5, v13
	v_lshlrev_b32_e32 v12, 3, v6
	v_lshl_add_u32 v13, v7, 6, 0x800
	v_add3_u32 v9, v14, v9, v15
	s_delay_alu instid0(VALU_DEP_4) | instskip(SKIP_4) | instid1(VALU_DEP_2)
	v_lshlrev_b64 v[3:4], 3, v[4:5]
	v_lshl_or_b32 v14, v2, 8, v11
	v_mov_b32_e32 v11, v1
	v_lshl_or_b32 v0, v10, 6, v0
	v_lshlrev_b64 v[8:9], 3, v[8:9]
	v_dual_mov_b32 v10, v1 :: v_dual_add_nc_u32 v15, 0x800, v0
	v_add_co_u32 v0, vcc_lo, v3, s8
	v_add_co_ci_u32_e32 v3, vcc_lo, s9, v4, vcc_lo
	s_waitcnt lgkmcnt(0)
	s_delay_alu instid0(VALU_DEP_4) | instskip(SKIP_3) | instid1(VALU_DEP_4)
	v_add_co_u32 v4, vcc_lo, v8, s10
	v_add_co_ci_u32_e32 v5, vcc_lo, s11, v9, vcc_lo
	v_add_co_u32 v2, vcc_lo, v0, 4
	v_add_co_ci_u32_e32 v3, vcc_lo, 0, v3, vcc_lo
	v_add_co_u32 v4, vcc_lo, v4, 4
	s_delay_alu instid0(VALU_DEP_4)
	v_add_co_ci_u32_e32 v5, vcc_lo, 0, v5, vcc_lo
	v_mov_b32_e32 v0, v1
	v_mov_b32_e32 v9, v1
	;; [unrolled: 1-line block ×3, first 2 shown]
	s_mov_b64 s[8:9], 0
.LBB1572_2:                             ; =>This Inner Loop Header: Depth=1
	global_load_b64 v[18:19], v[2:3], off offset:-4
	global_load_b64 v[20:21], v[4:5], off offset:-4
	s_add_u32 s8, s8, 8
	v_add_co_u32 v2, vcc_lo, v2, 64
	s_addc_u32 s9, s9, 0
	v_add_co_ci_u32_e32 v3, vcc_lo, 0, v3, vcc_lo
	v_cmp_ge_u64_e64 s10, s[8:9], s[4:5]
	v_add_co_u32 v4, vcc_lo, v4, 64
	v_add_co_ci_u32_e32 v5, vcc_lo, 0, v5, vcc_lo
	s_waitcnt vmcnt(1)
	ds_store_b64 v14, v[18:19]
	s_waitcnt vmcnt(0)
	ds_store_b64 v15, v[20:21]
	s_waitcnt lgkmcnt(0)
	s_barrier
	buffer_gl0_inv
	ds_load_2addr_b64 v[18:21], v12 offset1:16
	ds_load_b128 v[22:25], v13
	ds_load_b128 v[26:29], v13 offset:1024
	ds_load_b128 v[30:33], v13 offset:16
	;; [unrolled: 1-line block ×4, first 2 shown]
	ds_load_2addr_b64 v[42:45], v12 offset0:32 offset1:48
	ds_load_2addr_b64 v[46:49], v12 offset0:64 offset1:80
	ds_load_b128 v[50:53], v13 offset:1040
	ds_load_2addr_b64 v[54:57], v12 offset0:96 offset1:112
	ds_load_2addr_b64 v[58:61], v12 offset0:128 offset1:144
	;; [unrolled: 1-line block ×4, first 2 shown]
	ds_load_b128 v[70:73], v13 offset:1056
	ds_load_b128 v[74:77], v13 offset:1072
	ds_load_2addr_b64 v[78:81], v12 offset0:224 offset1:240
	s_and_b32 vcc_lo, exec_lo, s10
	s_waitcnt lgkmcnt(0)
	s_barrier
	buffer_gl0_inv
	v_dual_mul_f32 v82, v23, v19 :: v_dual_mul_f32 v85, v22, v21
	v_dual_mul_f32 v83, v22, v19 :: v_dual_mul_f32 v84, v23, v21
	v_mul_f32_e32 v86, v27, v19
	v_dual_mul_f32 v19, v26, v19 :: v_dual_mul_f32 v90, v25, v45
	v_dual_mul_f32 v87, v27, v21 :: v_dual_mul_f32 v88, v25, v43
	v_mul_f32_e32 v21, v26, v21
	v_fma_f32 v82, v22, v18, -v82
	v_fmac_f32_e32 v83, v23, v18
	v_fma_f32 v22, v22, v20, -v84
	v_fmac_f32_e32 v85, v23, v20
	v_fma_f32 v23, v26, v18, -v86
	v_dual_fmac_f32 v19, v27, v18 :: v_dual_mul_f32 v86, v30, v47
	v_fma_f32 v18, v26, v20, -v87
	v_dual_fmac_f32 v21, v27, v20 :: v_dual_mul_f32 v20, v24, v45
	v_mul_f32_e32 v89, v24, v43
	v_mul_f32_e32 v26, v29, v43
	;; [unrolled: 1-line block ×4, first 2 shown]
	v_fmac_f32_e32 v20, v25, v44
	v_fmac_f32_e32 v89, v25, v42
	v_dual_mul_f32 v25, v28, v45 :: v_dual_fmac_f32 v86, v31, v46
	v_fma_f32 v84, v24, v42, -v88
	v_fma_f32 v24, v24, v44, -v90
	v_dual_mul_f32 v45, v31, v47 :: v_dual_mul_f32 v90, v33, v57
	v_fma_f32 v26, v28, v42, -v26
	v_fma_f32 v28, v28, v44, -v43
	v_fmac_f32_e32 v25, v29, v44
	v_dual_mul_f32 v43, v50, v47 :: v_dual_mul_f32 v44, v51, v49
	v_dual_fmac_f32 v27, v29, v42 :: v_dual_mul_f32 v42, v51, v47
	v_dual_mul_f32 v88, v32, v55 :: v_dual_mul_f32 v29, v30, v49
	v_mul_f32_e32 v87, v31, v49
	v_fma_f32 v45, v30, v46, -v45
	v_add_f32_e32 v16, v16, v82
	s_delay_alu instid0(VALU_DEP_4)
	v_dual_fmac_f32 v88, v33, v54 :: v_dual_fmac_f32 v29, v31, v48
	v_fma_f32 v31, v50, v46, -v42
	v_fma_f32 v42, v50, v48, -v44
	v_mul_f32_e32 v44, v32, v57
	v_mul_f32_e32 v47, v50, v49
	v_dual_mul_f32 v50, v53, v57 :: v_dual_fmac_f32 v43, v51, v46
	v_mul_f32_e32 v46, v53, v55
	v_mul_f32_e32 v49, v33, v55
	v_fma_f32 v30, v30, v48, -v87
	v_fmac_f32_e32 v44, v33, v56
	v_dual_fmac_f32 v47, v51, v48 :: v_dual_mul_f32 v48, v52, v55
	v_mul_f32_e32 v33, v52, v57
	v_fma_f32 v46, v52, v54, -v46
	v_fma_f32 v50, v52, v56, -v50
	v_mul_f32_e32 v52, v34, v61
	v_fma_f32 v49, v32, v54, -v49
	v_fma_f32 v32, v32, v56, -v90
	v_dual_mul_f32 v51, v35, v59 :: v_dual_fmac_f32 v48, v53, v54
	v_mul_f32_e32 v54, v70, v59
	v_dual_mul_f32 v55, v34, v59 :: v_dual_fmac_f32 v52, v35, v60
	v_fmac_f32_e32 v33, v53, v56
	v_mul_f32_e32 v53, v71, v59
	v_mul_f32_e32 v56, v71, v61
	;; [unrolled: 1-line block ×3, first 2 shown]
	v_fmac_f32_e32 v54, v71, v58
	v_fmac_f32_e32 v55, v35, v58
	v_fma_f32 v35, v70, v58, -v53
	v_fma_f32 v53, v70, v60, -v56
	v_mul_f32_e32 v56, v36, v65
	v_mul_f32_e32 v59, v70, v61
	v_fma_f32 v51, v34, v58, -v51
	v_mul_f32_e32 v58, v72, v63
	v_mul_f32_e32 v87, v36, v63
	;; [unrolled: 1-line block ×4, first 2 shown]
	v_fma_f32 v34, v34, v60, -v57
	v_mul_f32_e32 v57, v73, v63
	v_fmac_f32_e32 v56, v37, v64
	v_dual_fmac_f32 v59, v71, v60 :: v_dual_mul_f32 v60, v73, v65
	v_mul_f32_e32 v63, v39, v67
	v_mul_f32_e32 v70, v39, v69
	v_fmac_f32_e32 v58, v73, v62
	v_fmac_f32_e32 v87, v37, v62
	v_mul_f32_e32 v37, v72, v65
	v_fma_f32 v61, v36, v62, -v61
	v_fma_f32 v36, v36, v64, -v90
	v_mul_f32_e32 v65, v38, v67
	v_fma_f32 v57, v72, v62, -v57
	v_fma_f32 v60, v72, v64, -v60
	v_dual_fmac_f32 v37, v73, v64 :: v_dual_mul_f32 v62, v38, v69
	v_mul_f32_e32 v64, v75, v67
	v_fma_f32 v63, v38, v66, -v63
	v_fma_f32 v38, v38, v68, -v70
	v_mul_f32_e32 v70, v76, v79
	v_mul_f32_e32 v67, v74, v67
	;; [unrolled: 1-line block ×3, first 2 shown]
	v_dual_mul_f32 v69, v74, v69 :: v_dual_add_f32 v8, v8, v23
	v_dual_mul_f32 v73, v40, v79 :: v_dual_add_f32 v10, v10, v22
	v_dual_fmac_f32 v65, v39, v66 :: v_dual_add_f32 v16, v16, v84
	v_fmac_f32_e32 v62, v39, v68
	v_fma_f32 v39, v74, v66, -v64
	v_fmac_f32_e32 v70, v77, v78
	v_dual_fmac_f32 v67, v75, v66 :: v_dual_add_f32 v10, v10, v24
	v_mul_f32_e32 v66, v40, v81
	v_mul_f32_e32 v72, v41, v79
	v_dual_mul_f32 v90, v41, v81 :: v_dual_fmac_f32 v69, v75, v68
	v_add_f32_e32 v0, v0, v18
	v_fmac_f32_e32 v73, v41, v78
	v_dual_fmac_f32 v66, v41, v80 :: v_dual_mul_f32 v41, v76, v81
	v_add_f32_e32 v10, v10, v30
	v_fma_f32 v64, v74, v68, -v71
	v_dual_mul_f32 v71, v77, v81 :: v_dual_add_f32 v8, v8, v26
	s_delay_alu instid0(VALU_DEP_4)
	v_dual_fmac_f32 v41, v77, v80 :: v_dual_add_f32 v16, v16, v45
	v_add_f32_e32 v11, v11, v85
	v_add_f32_e32 v9, v9, v19
	v_dual_add_f32 v1, v1, v21 :: v_dual_add_f32 v10, v10, v32
	v_dual_add_f32 v0, v0, v28 :: v_dual_add_f32 v17, v17, v83
	v_add_f32_e32 v8, v8, v31
	s_delay_alu instid0(VALU_DEP_4) | instskip(NEXT) | instid1(VALU_DEP_4)
	v_dual_add_f32 v16, v16, v49 :: v_dual_add_f32 v9, v9, v27
	v_dual_add_f32 v10, v10, v34 :: v_dual_add_f32 v1, v1, v25
	s_delay_alu instid0(VALU_DEP_4) | instskip(NEXT) | instid1(VALU_DEP_3)
	v_add_f32_e32 v0, v0, v42
	v_dual_add_f32 v16, v16, v51 :: v_dual_add_f32 v17, v17, v89
	v_dual_add_f32 v8, v8, v46 :: v_dual_add_f32 v11, v11, v20
	s_delay_alu instid0(VALU_DEP_3) | instskip(NEXT) | instid1(VALU_DEP_2)
	v_dual_add_f32 v0, v0, v50 :: v_dual_add_f32 v9, v9, v43
	v_dual_add_f32 v17, v17, v86 :: v_dual_add_f32 v8, v8, v35
	s_delay_alu instid0(VALU_DEP_3) | instskip(SKIP_1) | instid1(VALU_DEP_3)
	v_dual_add_f32 v11, v11, v29 :: v_dual_add_f32 v10, v10, v36
	v_dual_add_f32 v1, v1, v47 :: v_dual_add_f32 v16, v16, v61
	;; [unrolled: 1-line block ×3, first 2 shown]
	s_delay_alu instid0(VALU_DEP_3) | instskip(NEXT) | instid1(VALU_DEP_3)
	v_dual_add_f32 v11, v11, v44 :: v_dual_add_f32 v0, v0, v53
	v_dual_add_f32 v16, v16, v63 :: v_dual_add_f32 v9, v9, v48
	s_delay_alu instid0(VALU_DEP_4) | instskip(NEXT) | instid1(VALU_DEP_3)
	v_dual_add_f32 v10, v10, v38 :: v_dual_add_f32 v1, v1, v33
	v_add_f32_e32 v0, v0, v60
	v_mul_f32_e32 v68, v77, v79
	v_fma_f32 v72, v40, v78, -v72
	v_fma_f32 v40, v40, v80, -v90
	s_delay_alu instid0(VALU_DEP_4) | instskip(SKIP_1) | instid1(VALU_DEP_4)
	v_dual_add_f32 v17, v17, v55 :: v_dual_add_f32 v0, v0, v64
	v_dual_add_f32 v11, v11, v52 :: v_dual_add_f32 v8, v8, v39
	;; [unrolled: 1-line block ×3, first 2 shown]
	s_delay_alu instid0(VALU_DEP_4)
	v_dual_add_f32 v1, v1, v59 :: v_dual_add_f32 v10, v10, v40
	v_fma_f32 v68, v76, v78, -v68
	v_fma_f32 v71, v76, v80, -v71
	v_add_f32_e32 v17, v17, v87
	v_add_f32_e32 v11, v11, v56
	;; [unrolled: 1-line block ×3, first 2 shown]
	s_delay_alu instid0(VALU_DEP_4) | instskip(NEXT) | instid1(VALU_DEP_4)
	v_dual_add_f32 v1, v1, v37 :: v_dual_add_f32 v0, v0, v71
	v_dual_add_f32 v8, v8, v68 :: v_dual_add_f32 v17, v17, v65
	s_delay_alu instid0(VALU_DEP_4) | instskip(NEXT) | instid1(VALU_DEP_4)
	v_add_f32_e32 v11, v11, v62
	v_add_f32_e32 v9, v9, v67
	s_delay_alu instid0(VALU_DEP_4) | instskip(NEXT) | instid1(VALU_DEP_4)
	v_add_f32_e32 v1, v1, v69
	v_add_f32_e32 v17, v17, v73
	;; [unrolled: 3-line block ×3, first 2 shown]
	s_delay_alu instid0(VALU_DEP_4)
	v_add_f32_e32 v1, v1, v41
	s_cbranch_vccz .LBB1572_2
.LBB1572_3:
	v_add_nc_u32_e32 v7, s23, v7
	s_load_b32 s4, s[0:1], 0x0
	s_delay_alu instid0(VALU_DEP_1) | instskip(SKIP_3) | instid1(VALU_DEP_3)
	v_ashrrev_i32_e32 v2, 31, v7
	s_waitcnt lgkmcnt(0)
	v_mul_lo_u32 v5, v7, s19
	v_mad_u64_u32 v[3:4], null, v7, s18, 0
	v_mul_lo_u32 v2, v2, s18
	s_delay_alu instid0(VALU_DEP_1) | instskip(SKIP_1) | instid1(VALU_DEP_2)
	v_add3_u32 v4, v4, v5, v2
	v_add_nc_u32_e32 v2, s22, v6
	v_lshlrev_b64 v[3:4], 3, v[3:4]
	s_delay_alu instid0(VALU_DEP_2) | instskip(SKIP_1) | instid1(VALU_DEP_3)
	v_cmp_le_i32_e64 s0, v7, v2
	v_cmp_gt_i32_e32 vcc_lo, s4, v2
	v_add_co_u32 v6, s1, s2, v3
	s_delay_alu instid0(VALU_DEP_1) | instskip(NEXT) | instid1(VALU_DEP_4)
	v_add_co_ci_u32_e64 v12, s1, s3, v4, s1
	s_and_b32 s0, s0, vcc_lo
	s_delay_alu instid0(SALU_CYCLE_1)
	s_and_saveexec_b32 s1, s0
	s_cbranch_execz .LBB1572_5
; %bb.4:
	v_ashrrev_i32_e32 v3, 31, v2
	v_mul_f32_e32 v15, s6, v17
	s_delay_alu instid0(VALU_DEP_2) | instskip(NEXT) | instid1(VALU_DEP_2)
	v_lshlrev_b64 v[3:4], 3, v[2:3]
	v_fmac_f32_e32 v15, s7, v16
	s_delay_alu instid0(VALU_DEP_2) | instskip(NEXT) | instid1(VALU_DEP_1)
	v_add_co_u32 v3, s0, v6, v3
	v_add_co_ci_u32_e64 v4, s0, v12, v4, s0
	global_load_b64 v[13:14], v[3:4], off
	v_mul_f32_e32 v5, s7, v17
	s_waitcnt vmcnt(0)
	v_mul_f32_e32 v17, s17, v14
	v_mul_f32_e32 v14, s16, v14
	s_delay_alu instid0(VALU_DEP_3) | instskip(NEXT) | instid1(VALU_DEP_2)
	v_fma_f32 v5, v16, s6, -v5
	v_fmac_f32_e32 v14, s17, v13
	s_delay_alu instid0(VALU_DEP_4) | instskip(NEXT) | instid1(VALU_DEP_1)
	v_fma_f32 v16, v13, s16, -v17
	v_dual_add_f32 v14, v15, v14 :: v_dual_add_f32 v13, v5, v16
	global_store_b64 v[3:4], v[13:14], off
.LBB1572_5:
	s_or_b32 exec_lo, exec_lo, s1
	v_add_nc_u32_e32 v4, 16, v2
	s_delay_alu instid0(VALU_DEP_1) | instskip(SKIP_1) | instid1(VALU_DEP_1)
	v_cmp_le_i32_e64 s1, v7, v4
	v_cmp_gt_i32_e64 s0, s4, v4
	s_and_b32 s1, s1, s0
	s_delay_alu instid0(SALU_CYCLE_1)
	s_and_saveexec_b32 s4, s1
	s_cbranch_execz .LBB1572_7
; %bb.6:
	v_ashrrev_i32_e32 v5, 31, v4
	s_delay_alu instid0(VALU_DEP_1) | instskip(NEXT) | instid1(VALU_DEP_1)
	v_lshlrev_b64 v[13:14], 3, v[4:5]
	v_add_co_u32 v5, s1, v6, v13
	s_delay_alu instid0(VALU_DEP_1) | instskip(SKIP_4) | instid1(VALU_DEP_2)
	v_add_co_ci_u32_e64 v6, s1, v12, v14, s1
	global_load_b64 v[12:13], v[5:6], off
	s_waitcnt vmcnt(0)
	v_dual_mul_f32 v3, s7, v11 :: v_dual_mul_f32 v14, s17, v13
	v_mul_f32_e32 v13, s16, v13
	v_fma_f32 v3, v10, s6, -v3
	v_mul_f32_e32 v11, s6, v11
	s_delay_alu instid0(VALU_DEP_3) | instskip(NEXT) | instid1(VALU_DEP_2)
	v_fmac_f32_e32 v13, s17, v12
	v_fmac_f32_e32 v11, s7, v10
	v_fma_f32 v10, v12, s16, -v14
	s_delay_alu instid0(VALU_DEP_2) | instskip(NEXT) | instid1(VALU_DEP_2)
	v_add_f32_e32 v11, v11, v13
	v_add_f32_e32 v10, v3, v10
	global_store_b64 v[5:6], v[10:11], off
.LBB1572_7:
	s_or_b32 exec_lo, exec_lo, s4
	v_add_nc_u32_e32 v5, 16, v7
	s_delay_alu instid0(VALU_DEP_1) | instskip(SKIP_3) | instid1(VALU_DEP_4)
	v_ashrrev_i32_e32 v3, 31, v5
	v_mul_lo_u32 v10, v5, s19
	v_mad_u64_u32 v[6:7], null, v5, s18, 0
	v_cmp_le_i32_e64 s1, v5, v2
	v_mul_lo_u32 v3, v3, s18
	s_delay_alu instid0(VALU_DEP_1) | instskip(NEXT) | instid1(VALU_DEP_1)
	v_add3_u32 v7, v7, v10, v3
	v_lshlrev_b64 v[6:7], 3, v[6:7]
	s_delay_alu instid0(VALU_DEP_1) | instskip(NEXT) | instid1(VALU_DEP_1)
	v_add_co_u32 v6, s2, s2, v6
	v_add_co_ci_u32_e64 v7, s2, s3, v7, s2
	s_and_b32 s2, s1, vcc_lo
	s_delay_alu instid0(SALU_CYCLE_1)
	s_and_saveexec_b32 s1, s2
	s_cbranch_execz .LBB1572_9
; %bb.8:
	v_ashrrev_i32_e32 v3, 31, v2
	s_delay_alu instid0(VALU_DEP_1) | instskip(NEXT) | instid1(VALU_DEP_1)
	v_lshlrev_b64 v[2:3], 3, v[2:3]
	v_add_co_u32 v2, vcc_lo, v6, v2
	s_delay_alu instid0(VALU_DEP_2) | instskip(SKIP_4) | instid1(VALU_DEP_2)
	v_add_co_ci_u32_e32 v3, vcc_lo, v7, v3, vcc_lo
	global_load_b64 v[10:11], v[2:3], off
	s_waitcnt vmcnt(0)
	v_dual_mul_f32 v12, s7, v9 :: v_dual_mul_f32 v13, s17, v11
	v_mul_f32_e32 v11, s16, v11
	v_fma_f32 v12, v8, s6, -v12
	v_mul_f32_e32 v9, s6, v9
	s_delay_alu instid0(VALU_DEP_3) | instskip(NEXT) | instid1(VALU_DEP_2)
	v_fmac_f32_e32 v11, s17, v10
	v_fmac_f32_e32 v9, s7, v8
	v_fma_f32 v8, v10, s16, -v13
	s_delay_alu instid0(VALU_DEP_1)
	v_dual_add_f32 v9, v9, v11 :: v_dual_add_f32 v8, v12, v8
	global_store_b64 v[2:3], v[8:9], off
.LBB1572_9:
	s_or_b32 exec_lo, exec_lo, s1
	v_cmp_le_i32_e32 vcc_lo, v5, v4
	s_and_b32 s0, vcc_lo, s0
	s_delay_alu instid0(SALU_CYCLE_1)
	s_and_saveexec_b32 s1, s0
	s_cbranch_execz .LBB1572_11
; %bb.10:
	v_ashrrev_i32_e32 v5, 31, v4
	s_delay_alu instid0(VALU_DEP_1) | instskip(NEXT) | instid1(VALU_DEP_1)
	v_lshlrev_b64 v[2:3], 3, v[4:5]
	v_add_co_u32 v2, vcc_lo, v6, v2
	s_delay_alu instid0(VALU_DEP_2)
	v_add_co_ci_u32_e32 v3, vcc_lo, v7, v3, vcc_lo
	v_mul_f32_e32 v6, s7, v1
	v_mul_f32_e32 v1, s6, v1
	global_load_b64 v[4:5], v[2:3], off
	v_fmac_f32_e32 v1, s7, v0
	v_fma_f32 v6, v0, s6, -v6
	s_waitcnt vmcnt(0)
	v_mul_f32_e32 v7, s17, v5
	v_mul_f32_e32 v5, s16, v5
	s_delay_alu instid0(VALU_DEP_2) | instskip(NEXT) | instid1(VALU_DEP_2)
	v_fma_f32 v0, v4, s16, -v7
	v_fmac_f32_e32 v5, s17, v4
	s_delay_alu instid0(VALU_DEP_1)
	v_dual_add_f32 v0, v6, v0 :: v_dual_add_f32 v1, v1, v5
	global_store_b64 v[2:3], v[0:1], off
.LBB1572_11:
	s_nop 0
	s_sendmsg sendmsg(MSG_DEALLOC_VGPRS)
	s_endpgm
	.section	.rodata,"a",@progbits
	.p2align	6, 0x0
	.amdhsa_kernel _ZL37rocblas_syrkx_herkx_restricted_kernelIl19rocblas_complex_numIfELi16ELi32ELi8ELb0ELb0ELc84ELc76EKPKS1_KPS1_EviT_T0_PT8_S7_lSA_S7_lS8_PT9_S7_li
		.amdhsa_group_segment_fixed_size 4096
		.amdhsa_private_segment_fixed_size 0
		.amdhsa_kernarg_size 108
		.amdhsa_user_sgpr_count 13
		.amdhsa_user_sgpr_dispatch_ptr 0
		.amdhsa_user_sgpr_queue_ptr 0
		.amdhsa_user_sgpr_kernarg_segment_ptr 1
		.amdhsa_user_sgpr_dispatch_id 0
		.amdhsa_user_sgpr_private_segment_size 0
		.amdhsa_wavefront_size32 1
		.amdhsa_uses_dynamic_stack 0
		.amdhsa_enable_private_segment 0
		.amdhsa_system_sgpr_workgroup_id_x 1
		.amdhsa_system_sgpr_workgroup_id_y 1
		.amdhsa_system_sgpr_workgroup_id_z 1
		.amdhsa_system_sgpr_workgroup_info 0
		.amdhsa_system_vgpr_workitem_id 1
		.amdhsa_next_free_vgpr 91
		.amdhsa_next_free_sgpr 24
		.amdhsa_reserve_vcc 1
		.amdhsa_float_round_mode_32 0
		.amdhsa_float_round_mode_16_64 0
		.amdhsa_float_denorm_mode_32 3
		.amdhsa_float_denorm_mode_16_64 3
		.amdhsa_dx10_clamp 1
		.amdhsa_ieee_mode 1
		.amdhsa_fp16_overflow 0
		.amdhsa_workgroup_processor_mode 1
		.amdhsa_memory_ordered 1
		.amdhsa_forward_progress 0
		.amdhsa_shared_vgpr_count 0
		.amdhsa_exception_fp_ieee_invalid_op 0
		.amdhsa_exception_fp_denorm_src 0
		.amdhsa_exception_fp_ieee_div_zero 0
		.amdhsa_exception_fp_ieee_overflow 0
		.amdhsa_exception_fp_ieee_underflow 0
		.amdhsa_exception_fp_ieee_inexact 0
		.amdhsa_exception_int_div_zero 0
	.end_amdhsa_kernel
	.section	.text._ZL37rocblas_syrkx_herkx_restricted_kernelIl19rocblas_complex_numIfELi16ELi32ELi8ELb0ELb0ELc84ELc76EKPKS1_KPS1_EviT_T0_PT8_S7_lSA_S7_lS8_PT9_S7_li,"axG",@progbits,_ZL37rocblas_syrkx_herkx_restricted_kernelIl19rocblas_complex_numIfELi16ELi32ELi8ELb0ELb0ELc84ELc76EKPKS1_KPS1_EviT_T0_PT8_S7_lSA_S7_lS8_PT9_S7_li,comdat
.Lfunc_end1572:
	.size	_ZL37rocblas_syrkx_herkx_restricted_kernelIl19rocblas_complex_numIfELi16ELi32ELi8ELb0ELb0ELc84ELc76EKPKS1_KPS1_EviT_T0_PT8_S7_lSA_S7_lS8_PT9_S7_li, .Lfunc_end1572-_ZL37rocblas_syrkx_herkx_restricted_kernelIl19rocblas_complex_numIfELi16ELi32ELi8ELb0ELb0ELc84ELc76EKPKS1_KPS1_EviT_T0_PT8_S7_lSA_S7_lS8_PT9_S7_li
                                        ; -- End function
	.section	.AMDGPU.csdata,"",@progbits
; Kernel info:
; codeLenInByte = 2416
; NumSgprs: 26
; NumVgprs: 91
; ScratchSize: 0
; MemoryBound: 0
; FloatMode: 240
; IeeeMode: 1
; LDSByteSize: 4096 bytes/workgroup (compile time only)
; SGPRBlocks: 3
; VGPRBlocks: 11
; NumSGPRsForWavesPerEU: 26
; NumVGPRsForWavesPerEU: 91
; Occupancy: 16
; WaveLimiterHint : 1
; COMPUTE_PGM_RSRC2:SCRATCH_EN: 0
; COMPUTE_PGM_RSRC2:USER_SGPR: 13
; COMPUTE_PGM_RSRC2:TRAP_HANDLER: 0
; COMPUTE_PGM_RSRC2:TGID_X_EN: 1
; COMPUTE_PGM_RSRC2:TGID_Y_EN: 1
; COMPUTE_PGM_RSRC2:TGID_Z_EN: 1
; COMPUTE_PGM_RSRC2:TIDIG_COMP_CNT: 1
	.section	.text._ZL37rocblas_syrkx_herkx_restricted_kernelIl19rocblas_complex_numIfELi16ELi32ELi8ELb0ELb0ELc67ELc76EKPKS1_KPS1_EviT_T0_PT8_S7_lSA_S7_lS8_PT9_S7_li,"axG",@progbits,_ZL37rocblas_syrkx_herkx_restricted_kernelIl19rocblas_complex_numIfELi16ELi32ELi8ELb0ELb0ELc67ELc76EKPKS1_KPS1_EviT_T0_PT8_S7_lSA_S7_lS8_PT9_S7_li,comdat
	.globl	_ZL37rocblas_syrkx_herkx_restricted_kernelIl19rocblas_complex_numIfELi16ELi32ELi8ELb0ELb0ELc67ELc76EKPKS1_KPS1_EviT_T0_PT8_S7_lSA_S7_lS8_PT9_S7_li ; -- Begin function _ZL37rocblas_syrkx_herkx_restricted_kernelIl19rocblas_complex_numIfELi16ELi32ELi8ELb0ELb0ELc67ELc76EKPKS1_KPS1_EviT_T0_PT8_S7_lSA_S7_lS8_PT9_S7_li
	.p2align	8
	.type	_ZL37rocblas_syrkx_herkx_restricted_kernelIl19rocblas_complex_numIfELi16ELi32ELi8ELb0ELb0ELc67ELc76EKPKS1_KPS1_EviT_T0_PT8_S7_lSA_S7_lS8_PT9_S7_li,@function
_ZL37rocblas_syrkx_herkx_restricted_kernelIl19rocblas_complex_numIfELi16ELi32ELi8ELb0ELb0ELc67ELc76EKPKS1_KPS1_EviT_T0_PT8_S7_lSA_S7_lS8_PT9_S7_li: ; @_ZL37rocblas_syrkx_herkx_restricted_kernelIl19rocblas_complex_numIfELi16ELi32ELi8ELb0ELb0ELc67ELc76EKPKS1_KPS1_EviT_T0_PT8_S7_lSA_S7_lS8_PT9_S7_li
; %bb.0:
	s_clause 0x1
	s_load_b128 s[16:19], s[0:1], 0x48
	s_load_b256 s[4:11], s[0:1], 0x8
	s_mov_b32 s2, s15
	s_mov_b32 s3, 0
	v_dual_mov_b32 v17, 0 :: v_dual_and_b32 v6, 0x3ff, v0
	s_lshl_b64 s[20:21], s[2:3], 3
	v_bfe_u32 v7, v0, 10, 10
	v_dual_mov_b32 v16, 0 :: v_dual_mov_b32 v11, 0
	v_dual_mov_b32 v10, 0 :: v_dual_mov_b32 v9, 0
	v_dual_mov_b32 v8, 0 :: v_dual_mov_b32 v1, 0
	v_mov_b32_e32 v0, 0
	s_waitcnt lgkmcnt(0)
	s_add_u32 s2, s18, s20
	s_addc_u32 s3, s19, s21
	s_load_b64 s[18:19], s[0:1], 0x58
	s_load_b64 s[2:3], s[2:3], 0x0
	v_cmp_lt_i64_e64 s12, s[4:5], 1
	s_lshl_b32 s22, s13, 5
	s_lshl_b32 s23, s14, 5
	s_delay_alu instid0(VALU_DEP_1)
	s_and_b32 vcc_lo, exec_lo, s12
	s_cbranch_vccnz .LBB1573_3
; %bb.1:
	s_load_b128 s[12:15], s[0:1], 0x30
	v_lshl_add_u32 v2, v7, 4, v6
	v_dual_mov_b32 v1, 0 :: v_dual_and_b32 v0, 7, v6
	s_add_u32 s8, s8, s20
	s_addc_u32 s9, s9, s21
	s_delay_alu instid0(VALU_DEP_2) | instskip(SKIP_3) | instid1(VALU_DEP_3)
	v_and_b32_e32 v11, 31, v2
	v_lshrrev_b32_e32 v10, 3, v2
	v_lshrrev_b32_e32 v2, 5, v2
	s_load_b64 s[8:9], s[8:9], 0x0
	v_dual_mov_b32 v3, v1 :: v_dual_add_nc_u32 v8, s22, v11
	s_delay_alu instid0(VALU_DEP_3) | instskip(SKIP_2) | instid1(VALU_DEP_4)
	v_add_nc_u32_e32 v12, s23, v10
	v_dual_mov_b32 v16, v1 :: v_dual_lshlrev_b32 v11, 3, v11
	v_mov_b32_e32 v17, v1
	v_ashrrev_i32_e32 v13, 31, v8
	s_delay_alu instid0(VALU_DEP_4)
	v_ashrrev_i32_e32 v9, 31, v12
	v_mad_u64_u32 v[4:5], null, s10, v8, v[2:3]
	s_waitcnt lgkmcnt(0)
	s_add_u32 s12, s12, s20
	v_mul_lo_u32 v3, s11, v8
	v_mul_lo_u32 v13, s10, v13
	s_addc_u32 s13, s13, s21
	v_mul_lo_u32 v14, v9, s14
	s_load_b64 s[10:11], s[12:13], 0x0
	v_mul_lo_u32 v15, v12, s15
	v_mad_u64_u32 v[8:9], null, v12, s14, v[0:1]
	v_lshlrev_b32_e32 v0, 3, v0
	v_add3_u32 v5, v3, v5, v13
	v_lshlrev_b32_e32 v12, 3, v6
	v_lshl_add_u32 v13, v7, 6, 0x800
	v_add3_u32 v9, v14, v9, v15
	s_delay_alu instid0(VALU_DEP_4) | instskip(SKIP_4) | instid1(VALU_DEP_2)
	v_lshlrev_b64 v[3:4], 3, v[4:5]
	v_lshl_or_b32 v14, v2, 8, v11
	v_mov_b32_e32 v11, v1
	v_lshl_or_b32 v0, v10, 6, v0
	v_lshlrev_b64 v[8:9], 3, v[8:9]
	v_dual_mov_b32 v10, v1 :: v_dual_add_nc_u32 v15, 0x800, v0
	v_add_co_u32 v0, vcc_lo, v3, s8
	v_add_co_ci_u32_e32 v3, vcc_lo, s9, v4, vcc_lo
	s_waitcnt lgkmcnt(0)
	s_delay_alu instid0(VALU_DEP_4) | instskip(SKIP_3) | instid1(VALU_DEP_4)
	v_add_co_u32 v4, vcc_lo, v8, s10
	v_add_co_ci_u32_e32 v5, vcc_lo, s11, v9, vcc_lo
	v_add_co_u32 v2, vcc_lo, v0, 4
	v_add_co_ci_u32_e32 v3, vcc_lo, 0, v3, vcc_lo
	v_add_co_u32 v4, vcc_lo, v4, 4
	s_delay_alu instid0(VALU_DEP_4)
	v_add_co_ci_u32_e32 v5, vcc_lo, 0, v5, vcc_lo
	v_mov_b32_e32 v0, v1
	v_mov_b32_e32 v9, v1
	;; [unrolled: 1-line block ×3, first 2 shown]
	s_mov_b64 s[8:9], 0
.LBB1573_2:                             ; =>This Inner Loop Header: Depth=1
	global_load_b64 v[18:19], v[2:3], off offset:-4
	global_load_b64 v[20:21], v[4:5], off offset:-4
	s_add_u32 s8, s8, 8
	v_add_co_u32 v2, vcc_lo, v2, 64
	s_addc_u32 s9, s9, 0
	v_add_co_ci_u32_e32 v3, vcc_lo, 0, v3, vcc_lo
	v_cmp_ge_u64_e64 s10, s[8:9], s[4:5]
	v_add_co_u32 v4, vcc_lo, v4, 64
	v_add_co_ci_u32_e32 v5, vcc_lo, 0, v5, vcc_lo
	s_waitcnt vmcnt(1)
	ds_store_b64 v14, v[18:19]
	s_waitcnt vmcnt(0)
	ds_store_b64 v15, v[20:21]
	s_waitcnt lgkmcnt(0)
	s_barrier
	buffer_gl0_inv
	ds_load_2addr_b64 v[18:21], v12 offset1:16
	ds_load_b128 v[22:25], v13
	ds_load_b128 v[26:29], v13 offset:1024
	ds_load_b128 v[30:33], v13 offset:16
	;; [unrolled: 1-line block ×4, first 2 shown]
	ds_load_2addr_b64 v[42:45], v12 offset0:32 offset1:48
	ds_load_2addr_b64 v[46:49], v12 offset0:64 offset1:80
	ds_load_b128 v[50:53], v13 offset:1040
	ds_load_2addr_b64 v[54:57], v12 offset0:96 offset1:112
	ds_load_2addr_b64 v[58:61], v12 offset0:128 offset1:144
	;; [unrolled: 1-line block ×4, first 2 shown]
	ds_load_b128 v[70:73], v13 offset:1056
	ds_load_b128 v[74:77], v13 offset:1072
	ds_load_2addr_b64 v[78:81], v12 offset0:224 offset1:240
	s_and_b32 vcc_lo, exec_lo, s10
	s_waitcnt lgkmcnt(0)
	s_barrier
	buffer_gl0_inv
	v_dual_mul_f32 v82, v23, v19 :: v_dual_mul_f32 v85, v22, v21
	v_dual_mul_f32 v83, v22, v19 :: v_dual_mul_f32 v84, v23, v21
	v_mul_f32_e32 v86, v27, v19
	v_dual_mul_f32 v19, v26, v19 :: v_dual_mul_f32 v90, v25, v45
	v_dual_mul_f32 v87, v27, v21 :: v_dual_mul_f32 v88, v25, v43
	v_mul_f32_e32 v21, v26, v21
	v_fma_f32 v82, v22, v18, -v82
	v_fmac_f32_e32 v83, v23, v18
	v_fma_f32 v22, v22, v20, -v84
	v_fmac_f32_e32 v85, v23, v20
	v_fma_f32 v23, v26, v18, -v86
	v_dual_fmac_f32 v19, v27, v18 :: v_dual_mul_f32 v86, v30, v47
	v_fma_f32 v18, v26, v20, -v87
	v_dual_fmac_f32 v21, v27, v20 :: v_dual_mul_f32 v20, v24, v45
	v_mul_f32_e32 v89, v24, v43
	v_mul_f32_e32 v26, v29, v43
	;; [unrolled: 1-line block ×4, first 2 shown]
	v_fmac_f32_e32 v20, v25, v44
	v_fmac_f32_e32 v89, v25, v42
	v_dual_mul_f32 v25, v28, v45 :: v_dual_fmac_f32 v86, v31, v46
	v_fma_f32 v84, v24, v42, -v88
	v_fma_f32 v24, v24, v44, -v90
	v_dual_mul_f32 v45, v31, v47 :: v_dual_mul_f32 v90, v33, v57
	v_fma_f32 v26, v28, v42, -v26
	v_fma_f32 v28, v28, v44, -v43
	v_fmac_f32_e32 v25, v29, v44
	v_dual_mul_f32 v43, v50, v47 :: v_dual_mul_f32 v44, v51, v49
	v_dual_fmac_f32 v27, v29, v42 :: v_dual_mul_f32 v42, v51, v47
	v_dual_mul_f32 v88, v32, v55 :: v_dual_mul_f32 v29, v30, v49
	v_mul_f32_e32 v87, v31, v49
	v_fma_f32 v45, v30, v46, -v45
	v_add_f32_e32 v16, v16, v82
	s_delay_alu instid0(VALU_DEP_4)
	v_dual_fmac_f32 v88, v33, v54 :: v_dual_fmac_f32 v29, v31, v48
	v_fma_f32 v31, v50, v46, -v42
	v_fma_f32 v42, v50, v48, -v44
	v_mul_f32_e32 v44, v32, v57
	v_mul_f32_e32 v47, v50, v49
	v_dual_mul_f32 v50, v53, v57 :: v_dual_fmac_f32 v43, v51, v46
	v_mul_f32_e32 v46, v53, v55
	v_mul_f32_e32 v49, v33, v55
	v_fma_f32 v30, v30, v48, -v87
	v_fmac_f32_e32 v44, v33, v56
	v_dual_fmac_f32 v47, v51, v48 :: v_dual_mul_f32 v48, v52, v55
	v_mul_f32_e32 v33, v52, v57
	v_fma_f32 v46, v52, v54, -v46
	v_fma_f32 v50, v52, v56, -v50
	v_mul_f32_e32 v52, v34, v61
	v_fma_f32 v49, v32, v54, -v49
	v_fma_f32 v32, v32, v56, -v90
	v_dual_mul_f32 v51, v35, v59 :: v_dual_fmac_f32 v48, v53, v54
	v_mul_f32_e32 v54, v70, v59
	v_dual_mul_f32 v55, v34, v59 :: v_dual_fmac_f32 v52, v35, v60
	v_fmac_f32_e32 v33, v53, v56
	v_mul_f32_e32 v53, v71, v59
	v_mul_f32_e32 v56, v71, v61
	;; [unrolled: 1-line block ×3, first 2 shown]
	v_fmac_f32_e32 v54, v71, v58
	v_fmac_f32_e32 v55, v35, v58
	v_fma_f32 v35, v70, v58, -v53
	v_fma_f32 v53, v70, v60, -v56
	v_mul_f32_e32 v56, v36, v65
	v_mul_f32_e32 v59, v70, v61
	v_fma_f32 v51, v34, v58, -v51
	v_mul_f32_e32 v58, v72, v63
	v_mul_f32_e32 v87, v36, v63
	v_mul_f32_e32 v61, v37, v63
	v_mul_f32_e32 v90, v37, v65
	v_fma_f32 v34, v34, v60, -v57
	v_mul_f32_e32 v57, v73, v63
	v_fmac_f32_e32 v56, v37, v64
	v_dual_fmac_f32 v59, v71, v60 :: v_dual_mul_f32 v60, v73, v65
	v_mul_f32_e32 v63, v39, v67
	v_mul_f32_e32 v70, v39, v69
	v_fmac_f32_e32 v58, v73, v62
	v_fmac_f32_e32 v87, v37, v62
	v_mul_f32_e32 v37, v72, v65
	v_fma_f32 v61, v36, v62, -v61
	v_fma_f32 v36, v36, v64, -v90
	v_mul_f32_e32 v65, v38, v67
	v_fma_f32 v57, v72, v62, -v57
	v_fma_f32 v60, v72, v64, -v60
	v_dual_fmac_f32 v37, v73, v64 :: v_dual_mul_f32 v62, v38, v69
	v_mul_f32_e32 v64, v75, v67
	v_fma_f32 v63, v38, v66, -v63
	v_fma_f32 v38, v38, v68, -v70
	v_mul_f32_e32 v70, v76, v79
	v_mul_f32_e32 v67, v74, v67
	;; [unrolled: 1-line block ×3, first 2 shown]
	v_dual_mul_f32 v69, v74, v69 :: v_dual_add_f32 v8, v8, v23
	v_dual_mul_f32 v73, v40, v79 :: v_dual_add_f32 v10, v10, v22
	v_dual_fmac_f32 v65, v39, v66 :: v_dual_add_f32 v16, v16, v84
	v_fmac_f32_e32 v62, v39, v68
	v_fma_f32 v39, v74, v66, -v64
	v_fmac_f32_e32 v70, v77, v78
	v_dual_fmac_f32 v67, v75, v66 :: v_dual_add_f32 v10, v10, v24
	v_mul_f32_e32 v66, v40, v81
	v_mul_f32_e32 v72, v41, v79
	v_dual_mul_f32 v90, v41, v81 :: v_dual_fmac_f32 v69, v75, v68
	v_add_f32_e32 v0, v0, v18
	v_fmac_f32_e32 v73, v41, v78
	v_dual_fmac_f32 v66, v41, v80 :: v_dual_mul_f32 v41, v76, v81
	v_add_f32_e32 v10, v10, v30
	v_fma_f32 v64, v74, v68, -v71
	v_dual_mul_f32 v71, v77, v81 :: v_dual_add_f32 v8, v8, v26
	s_delay_alu instid0(VALU_DEP_4)
	v_dual_fmac_f32 v41, v77, v80 :: v_dual_add_f32 v16, v16, v45
	v_add_f32_e32 v11, v11, v85
	v_add_f32_e32 v9, v9, v19
	v_dual_add_f32 v1, v1, v21 :: v_dual_add_f32 v10, v10, v32
	v_dual_add_f32 v0, v0, v28 :: v_dual_add_f32 v17, v17, v83
	v_add_f32_e32 v8, v8, v31
	s_delay_alu instid0(VALU_DEP_4) | instskip(NEXT) | instid1(VALU_DEP_4)
	v_dual_add_f32 v16, v16, v49 :: v_dual_add_f32 v9, v9, v27
	v_dual_add_f32 v10, v10, v34 :: v_dual_add_f32 v1, v1, v25
	s_delay_alu instid0(VALU_DEP_4) | instskip(NEXT) | instid1(VALU_DEP_3)
	v_add_f32_e32 v0, v0, v42
	v_dual_add_f32 v16, v16, v51 :: v_dual_add_f32 v17, v17, v89
	v_dual_add_f32 v8, v8, v46 :: v_dual_add_f32 v11, v11, v20
	s_delay_alu instid0(VALU_DEP_3) | instskip(NEXT) | instid1(VALU_DEP_2)
	v_dual_add_f32 v0, v0, v50 :: v_dual_add_f32 v9, v9, v43
	v_dual_add_f32 v17, v17, v86 :: v_dual_add_f32 v8, v8, v35
	s_delay_alu instid0(VALU_DEP_3) | instskip(SKIP_1) | instid1(VALU_DEP_3)
	v_dual_add_f32 v11, v11, v29 :: v_dual_add_f32 v10, v10, v36
	v_dual_add_f32 v1, v1, v47 :: v_dual_add_f32 v16, v16, v61
	;; [unrolled: 1-line block ×3, first 2 shown]
	s_delay_alu instid0(VALU_DEP_3) | instskip(NEXT) | instid1(VALU_DEP_3)
	v_dual_add_f32 v11, v11, v44 :: v_dual_add_f32 v0, v0, v53
	v_dual_add_f32 v16, v16, v63 :: v_dual_add_f32 v9, v9, v48
	s_delay_alu instid0(VALU_DEP_4) | instskip(NEXT) | instid1(VALU_DEP_3)
	v_dual_add_f32 v10, v10, v38 :: v_dual_add_f32 v1, v1, v33
	v_add_f32_e32 v0, v0, v60
	v_mul_f32_e32 v68, v77, v79
	v_fma_f32 v72, v40, v78, -v72
	v_fma_f32 v40, v40, v80, -v90
	s_delay_alu instid0(VALU_DEP_4) | instskip(SKIP_1) | instid1(VALU_DEP_4)
	v_dual_add_f32 v17, v17, v55 :: v_dual_add_f32 v0, v0, v64
	v_dual_add_f32 v11, v11, v52 :: v_dual_add_f32 v8, v8, v39
	;; [unrolled: 1-line block ×3, first 2 shown]
	s_delay_alu instid0(VALU_DEP_4)
	v_dual_add_f32 v1, v1, v59 :: v_dual_add_f32 v10, v10, v40
	v_fma_f32 v68, v76, v78, -v68
	v_fma_f32 v71, v76, v80, -v71
	v_add_f32_e32 v17, v17, v87
	v_add_f32_e32 v11, v11, v56
	;; [unrolled: 1-line block ×3, first 2 shown]
	s_delay_alu instid0(VALU_DEP_4) | instskip(NEXT) | instid1(VALU_DEP_4)
	v_dual_add_f32 v1, v1, v37 :: v_dual_add_f32 v0, v0, v71
	v_dual_add_f32 v8, v8, v68 :: v_dual_add_f32 v17, v17, v65
	s_delay_alu instid0(VALU_DEP_4) | instskip(NEXT) | instid1(VALU_DEP_4)
	v_add_f32_e32 v11, v11, v62
	v_add_f32_e32 v9, v9, v67
	s_delay_alu instid0(VALU_DEP_4) | instskip(NEXT) | instid1(VALU_DEP_4)
	v_add_f32_e32 v1, v1, v69
	v_add_f32_e32 v17, v17, v73
	;; [unrolled: 3-line block ×3, first 2 shown]
	s_delay_alu instid0(VALU_DEP_4)
	v_add_f32_e32 v1, v1, v41
	s_cbranch_vccz .LBB1573_2
.LBB1573_3:
	v_add_nc_u32_e32 v7, s23, v7
	s_load_b32 s4, s[0:1], 0x0
	s_delay_alu instid0(VALU_DEP_1) | instskip(SKIP_3) | instid1(VALU_DEP_3)
	v_ashrrev_i32_e32 v2, 31, v7
	s_waitcnt lgkmcnt(0)
	v_mul_lo_u32 v5, v7, s19
	v_mad_u64_u32 v[3:4], null, v7, s18, 0
	v_mul_lo_u32 v2, v2, s18
	s_delay_alu instid0(VALU_DEP_1) | instskip(SKIP_1) | instid1(VALU_DEP_2)
	v_add3_u32 v4, v4, v5, v2
	v_add_nc_u32_e32 v2, s22, v6
	v_lshlrev_b64 v[3:4], 3, v[3:4]
	s_delay_alu instid0(VALU_DEP_2) | instskip(SKIP_1) | instid1(VALU_DEP_3)
	v_cmp_le_i32_e64 s0, v7, v2
	v_cmp_gt_i32_e32 vcc_lo, s4, v2
	v_add_co_u32 v6, s1, s2, v3
	s_delay_alu instid0(VALU_DEP_1) | instskip(NEXT) | instid1(VALU_DEP_4)
	v_add_co_ci_u32_e64 v12, s1, s3, v4, s1
	s_and_b32 s0, s0, vcc_lo
	s_delay_alu instid0(SALU_CYCLE_1)
	s_and_saveexec_b32 s1, s0
	s_cbranch_execz .LBB1573_5
; %bb.4:
	v_ashrrev_i32_e32 v3, 31, v2
	v_mul_f32_e32 v15, s6, v17
	s_delay_alu instid0(VALU_DEP_2) | instskip(NEXT) | instid1(VALU_DEP_2)
	v_lshlrev_b64 v[3:4], 3, v[2:3]
	v_fmac_f32_e32 v15, s7, v16
	s_delay_alu instid0(VALU_DEP_2) | instskip(NEXT) | instid1(VALU_DEP_1)
	v_add_co_u32 v3, s0, v6, v3
	v_add_co_ci_u32_e64 v4, s0, v12, v4, s0
	global_load_b64 v[13:14], v[3:4], off
	v_mul_f32_e32 v5, s7, v17
	s_waitcnt vmcnt(0)
	v_mul_f32_e32 v17, s17, v14
	v_mul_f32_e32 v14, s16, v14
	s_delay_alu instid0(VALU_DEP_3) | instskip(NEXT) | instid1(VALU_DEP_2)
	v_fma_f32 v5, v16, s6, -v5
	v_fmac_f32_e32 v14, s17, v13
	s_delay_alu instid0(VALU_DEP_4) | instskip(NEXT) | instid1(VALU_DEP_1)
	v_fma_f32 v16, v13, s16, -v17
	v_dual_add_f32 v14, v15, v14 :: v_dual_add_f32 v13, v5, v16
	global_store_b64 v[3:4], v[13:14], off
.LBB1573_5:
	s_or_b32 exec_lo, exec_lo, s1
	v_add_nc_u32_e32 v4, 16, v2
	s_delay_alu instid0(VALU_DEP_1) | instskip(SKIP_1) | instid1(VALU_DEP_1)
	v_cmp_le_i32_e64 s1, v7, v4
	v_cmp_gt_i32_e64 s0, s4, v4
	s_and_b32 s1, s1, s0
	s_delay_alu instid0(SALU_CYCLE_1)
	s_and_saveexec_b32 s4, s1
	s_cbranch_execz .LBB1573_7
; %bb.6:
	v_ashrrev_i32_e32 v5, 31, v4
	s_delay_alu instid0(VALU_DEP_1) | instskip(NEXT) | instid1(VALU_DEP_1)
	v_lshlrev_b64 v[13:14], 3, v[4:5]
	v_add_co_u32 v5, s1, v6, v13
	s_delay_alu instid0(VALU_DEP_1) | instskip(SKIP_4) | instid1(VALU_DEP_2)
	v_add_co_ci_u32_e64 v6, s1, v12, v14, s1
	global_load_b64 v[12:13], v[5:6], off
	s_waitcnt vmcnt(0)
	v_dual_mul_f32 v3, s7, v11 :: v_dual_mul_f32 v14, s17, v13
	v_mul_f32_e32 v13, s16, v13
	v_fma_f32 v3, v10, s6, -v3
	v_mul_f32_e32 v11, s6, v11
	s_delay_alu instid0(VALU_DEP_3) | instskip(NEXT) | instid1(VALU_DEP_2)
	v_fmac_f32_e32 v13, s17, v12
	v_fmac_f32_e32 v11, s7, v10
	v_fma_f32 v10, v12, s16, -v14
	s_delay_alu instid0(VALU_DEP_2) | instskip(NEXT) | instid1(VALU_DEP_2)
	v_add_f32_e32 v11, v11, v13
	v_add_f32_e32 v10, v3, v10
	global_store_b64 v[5:6], v[10:11], off
.LBB1573_7:
	s_or_b32 exec_lo, exec_lo, s4
	v_add_nc_u32_e32 v5, 16, v7
	s_delay_alu instid0(VALU_DEP_1) | instskip(SKIP_3) | instid1(VALU_DEP_4)
	v_ashrrev_i32_e32 v3, 31, v5
	v_mul_lo_u32 v10, v5, s19
	v_mad_u64_u32 v[6:7], null, v5, s18, 0
	v_cmp_le_i32_e64 s1, v5, v2
	v_mul_lo_u32 v3, v3, s18
	s_delay_alu instid0(VALU_DEP_1) | instskip(NEXT) | instid1(VALU_DEP_1)
	v_add3_u32 v7, v7, v10, v3
	v_lshlrev_b64 v[6:7], 3, v[6:7]
	s_delay_alu instid0(VALU_DEP_1) | instskip(NEXT) | instid1(VALU_DEP_1)
	v_add_co_u32 v6, s2, s2, v6
	v_add_co_ci_u32_e64 v7, s2, s3, v7, s2
	s_and_b32 s2, s1, vcc_lo
	s_delay_alu instid0(SALU_CYCLE_1)
	s_and_saveexec_b32 s1, s2
	s_cbranch_execz .LBB1573_9
; %bb.8:
	v_ashrrev_i32_e32 v3, 31, v2
	s_delay_alu instid0(VALU_DEP_1) | instskip(NEXT) | instid1(VALU_DEP_1)
	v_lshlrev_b64 v[2:3], 3, v[2:3]
	v_add_co_u32 v2, vcc_lo, v6, v2
	s_delay_alu instid0(VALU_DEP_2) | instskip(SKIP_4) | instid1(VALU_DEP_2)
	v_add_co_ci_u32_e32 v3, vcc_lo, v7, v3, vcc_lo
	global_load_b64 v[10:11], v[2:3], off
	s_waitcnt vmcnt(0)
	v_dual_mul_f32 v12, s7, v9 :: v_dual_mul_f32 v13, s17, v11
	v_mul_f32_e32 v11, s16, v11
	v_fma_f32 v12, v8, s6, -v12
	v_mul_f32_e32 v9, s6, v9
	s_delay_alu instid0(VALU_DEP_3) | instskip(NEXT) | instid1(VALU_DEP_2)
	v_fmac_f32_e32 v11, s17, v10
	v_fmac_f32_e32 v9, s7, v8
	v_fma_f32 v8, v10, s16, -v13
	s_delay_alu instid0(VALU_DEP_1)
	v_dual_add_f32 v9, v9, v11 :: v_dual_add_f32 v8, v12, v8
	global_store_b64 v[2:3], v[8:9], off
.LBB1573_9:
	s_or_b32 exec_lo, exec_lo, s1
	v_cmp_le_i32_e32 vcc_lo, v5, v4
	s_and_b32 s0, vcc_lo, s0
	s_delay_alu instid0(SALU_CYCLE_1)
	s_and_saveexec_b32 s1, s0
	s_cbranch_execz .LBB1573_11
; %bb.10:
	v_ashrrev_i32_e32 v5, 31, v4
	s_delay_alu instid0(VALU_DEP_1) | instskip(NEXT) | instid1(VALU_DEP_1)
	v_lshlrev_b64 v[2:3], 3, v[4:5]
	v_add_co_u32 v2, vcc_lo, v6, v2
	s_delay_alu instid0(VALU_DEP_2)
	v_add_co_ci_u32_e32 v3, vcc_lo, v7, v3, vcc_lo
	v_mul_f32_e32 v6, s7, v1
	v_mul_f32_e32 v1, s6, v1
	global_load_b64 v[4:5], v[2:3], off
	v_fmac_f32_e32 v1, s7, v0
	v_fma_f32 v6, v0, s6, -v6
	s_waitcnt vmcnt(0)
	v_mul_f32_e32 v7, s17, v5
	v_mul_f32_e32 v5, s16, v5
	s_delay_alu instid0(VALU_DEP_2) | instskip(NEXT) | instid1(VALU_DEP_2)
	v_fma_f32 v0, v4, s16, -v7
	v_fmac_f32_e32 v5, s17, v4
	s_delay_alu instid0(VALU_DEP_1)
	v_dual_add_f32 v0, v6, v0 :: v_dual_add_f32 v1, v1, v5
	global_store_b64 v[2:3], v[0:1], off
.LBB1573_11:
	s_nop 0
	s_sendmsg sendmsg(MSG_DEALLOC_VGPRS)
	s_endpgm
	.section	.rodata,"a",@progbits
	.p2align	6, 0x0
	.amdhsa_kernel _ZL37rocblas_syrkx_herkx_restricted_kernelIl19rocblas_complex_numIfELi16ELi32ELi8ELb0ELb0ELc67ELc76EKPKS1_KPS1_EviT_T0_PT8_S7_lSA_S7_lS8_PT9_S7_li
		.amdhsa_group_segment_fixed_size 4096
		.amdhsa_private_segment_fixed_size 0
		.amdhsa_kernarg_size 108
		.amdhsa_user_sgpr_count 13
		.amdhsa_user_sgpr_dispatch_ptr 0
		.amdhsa_user_sgpr_queue_ptr 0
		.amdhsa_user_sgpr_kernarg_segment_ptr 1
		.amdhsa_user_sgpr_dispatch_id 0
		.amdhsa_user_sgpr_private_segment_size 0
		.amdhsa_wavefront_size32 1
		.amdhsa_uses_dynamic_stack 0
		.amdhsa_enable_private_segment 0
		.amdhsa_system_sgpr_workgroup_id_x 1
		.amdhsa_system_sgpr_workgroup_id_y 1
		.amdhsa_system_sgpr_workgroup_id_z 1
		.amdhsa_system_sgpr_workgroup_info 0
		.amdhsa_system_vgpr_workitem_id 1
		.amdhsa_next_free_vgpr 91
		.amdhsa_next_free_sgpr 24
		.amdhsa_reserve_vcc 1
		.amdhsa_float_round_mode_32 0
		.amdhsa_float_round_mode_16_64 0
		.amdhsa_float_denorm_mode_32 3
		.amdhsa_float_denorm_mode_16_64 3
		.amdhsa_dx10_clamp 1
		.amdhsa_ieee_mode 1
		.amdhsa_fp16_overflow 0
		.amdhsa_workgroup_processor_mode 1
		.amdhsa_memory_ordered 1
		.amdhsa_forward_progress 0
		.amdhsa_shared_vgpr_count 0
		.amdhsa_exception_fp_ieee_invalid_op 0
		.amdhsa_exception_fp_denorm_src 0
		.amdhsa_exception_fp_ieee_div_zero 0
		.amdhsa_exception_fp_ieee_overflow 0
		.amdhsa_exception_fp_ieee_underflow 0
		.amdhsa_exception_fp_ieee_inexact 0
		.amdhsa_exception_int_div_zero 0
	.end_amdhsa_kernel
	.section	.text._ZL37rocblas_syrkx_herkx_restricted_kernelIl19rocblas_complex_numIfELi16ELi32ELi8ELb0ELb0ELc67ELc76EKPKS1_KPS1_EviT_T0_PT8_S7_lSA_S7_lS8_PT9_S7_li,"axG",@progbits,_ZL37rocblas_syrkx_herkx_restricted_kernelIl19rocblas_complex_numIfELi16ELi32ELi8ELb0ELb0ELc67ELc76EKPKS1_KPS1_EviT_T0_PT8_S7_lSA_S7_lS8_PT9_S7_li,comdat
.Lfunc_end1573:
	.size	_ZL37rocblas_syrkx_herkx_restricted_kernelIl19rocblas_complex_numIfELi16ELi32ELi8ELb0ELb0ELc67ELc76EKPKS1_KPS1_EviT_T0_PT8_S7_lSA_S7_lS8_PT9_S7_li, .Lfunc_end1573-_ZL37rocblas_syrkx_herkx_restricted_kernelIl19rocblas_complex_numIfELi16ELi32ELi8ELb0ELb0ELc67ELc76EKPKS1_KPS1_EviT_T0_PT8_S7_lSA_S7_lS8_PT9_S7_li
                                        ; -- End function
	.section	.AMDGPU.csdata,"",@progbits
; Kernel info:
; codeLenInByte = 2416
; NumSgprs: 26
; NumVgprs: 91
; ScratchSize: 0
; MemoryBound: 0
; FloatMode: 240
; IeeeMode: 1
; LDSByteSize: 4096 bytes/workgroup (compile time only)
; SGPRBlocks: 3
; VGPRBlocks: 11
; NumSGPRsForWavesPerEU: 26
; NumVGPRsForWavesPerEU: 91
; Occupancy: 16
; WaveLimiterHint : 1
; COMPUTE_PGM_RSRC2:SCRATCH_EN: 0
; COMPUTE_PGM_RSRC2:USER_SGPR: 13
; COMPUTE_PGM_RSRC2:TRAP_HANDLER: 0
; COMPUTE_PGM_RSRC2:TGID_X_EN: 1
; COMPUTE_PGM_RSRC2:TGID_Y_EN: 1
; COMPUTE_PGM_RSRC2:TGID_Z_EN: 1
; COMPUTE_PGM_RSRC2:TIDIG_COMP_CNT: 1
	.section	.text._ZL37rocblas_syrkx_herkx_restricted_kernelIl19rocblas_complex_numIfELi16ELi32ELi8ELb0ELb0ELc78ELc76EKPKS1_KPS1_EviT_T0_PT8_S7_lSA_S7_lS8_PT9_S7_li,"axG",@progbits,_ZL37rocblas_syrkx_herkx_restricted_kernelIl19rocblas_complex_numIfELi16ELi32ELi8ELb0ELb0ELc78ELc76EKPKS1_KPS1_EviT_T0_PT8_S7_lSA_S7_lS8_PT9_S7_li,comdat
	.globl	_ZL37rocblas_syrkx_herkx_restricted_kernelIl19rocblas_complex_numIfELi16ELi32ELi8ELb0ELb0ELc78ELc76EKPKS1_KPS1_EviT_T0_PT8_S7_lSA_S7_lS8_PT9_S7_li ; -- Begin function _ZL37rocblas_syrkx_herkx_restricted_kernelIl19rocblas_complex_numIfELi16ELi32ELi8ELb0ELb0ELc78ELc76EKPKS1_KPS1_EviT_T0_PT8_S7_lSA_S7_lS8_PT9_S7_li
	.p2align	8
	.type	_ZL37rocblas_syrkx_herkx_restricted_kernelIl19rocblas_complex_numIfELi16ELi32ELi8ELb0ELb0ELc78ELc76EKPKS1_KPS1_EviT_T0_PT8_S7_lSA_S7_lS8_PT9_S7_li,@function
_ZL37rocblas_syrkx_herkx_restricted_kernelIl19rocblas_complex_numIfELi16ELi32ELi8ELb0ELb0ELc78ELc76EKPKS1_KPS1_EviT_T0_PT8_S7_lSA_S7_lS8_PT9_S7_li: ; @_ZL37rocblas_syrkx_herkx_restricted_kernelIl19rocblas_complex_numIfELi16ELi32ELi8ELb0ELb0ELc78ELc76EKPKS1_KPS1_EviT_T0_PT8_S7_lSA_S7_lS8_PT9_S7_li
; %bb.0:
	s_clause 0x1
	s_load_b128 s[16:19], s[0:1], 0x48
	s_load_b256 s[4:11], s[0:1], 0x8
	s_mov_b32 s2, s15
	s_mov_b32 s3, 0
	v_dual_mov_b32 v15, 0 :: v_dual_and_b32 v6, 0x3ff, v0
	s_lshl_b64 s[20:21], s[2:3], 3
	v_bfe_u32 v7, v0, 10, 10
	v_dual_mov_b32 v14, 0 :: v_dual_mov_b32 v11, 0
	v_dual_mov_b32 v10, 0 :: v_dual_mov_b32 v9, 0
	;; [unrolled: 1-line block ×3, first 2 shown]
	v_mov_b32_e32 v4, 0
	s_waitcnt lgkmcnt(0)
	s_add_u32 s2, s18, s20
	s_addc_u32 s3, s19, s21
	s_load_b64 s[18:19], s[0:1], 0x58
	s_load_b64 s[2:3], s[2:3], 0x0
	v_cmp_lt_i64_e64 s12, s[4:5], 1
	s_lshl_b32 s22, s13, 5
	s_lshl_b32 s23, s14, 5
	s_delay_alu instid0(VALU_DEP_1)
	s_and_b32 vcc_lo, exec_lo, s12
	s_cbranch_vccnz .LBB1574_3
; %bb.1:
	v_lshl_add_u32 v1, v7, 4, v6
	s_load_b128 s[12:15], s[0:1], 0x30
	v_and_b32_e32 v8, 7, v6
	s_add_u32 s8, s8, s20
	s_addc_u32 s9, s9, s21
	v_dual_mov_b32 v5, 0 :: v_dual_and_b32 v16, 31, v1
	v_lshrrev_b32_e32 v17, 3, v1
	v_lshrrev_b32_e32 v18, 5, v1
	s_load_b64 s[8:9], s[8:9], 0x0
	s_delay_alu instid0(VALU_DEP_3) | instskip(NEXT) | instid1(VALU_DEP_3)
	v_dual_mov_b32 v9, 0 :: v_dual_add_nc_u32 v0, s22, v16
	v_add_nc_u32_e32 v2, s23, v17
	v_lshlrev_b32_e32 v12, 3, v6
	v_lshl_add_u32 v13, v7, 6, 0x800
	s_delay_alu instid0(VALU_DEP_4) | instskip(NEXT) | instid1(VALU_DEP_4)
	v_ashrrev_i32_e32 v1, 31, v0
	v_ashrrev_i32_e32 v3, 31, v2
	s_delay_alu instid0(VALU_DEP_2) | instskip(SKIP_1) | instid1(VALU_DEP_2)
	v_mad_u64_u32 v[10:11], null, v18, s10, v[0:1]
	s_waitcnt lgkmcnt(0)
	v_mad_u64_u32 v[0:1], null, v8, s14, v[2:3]
	s_add_u32 s12, s12, s20
	s_addc_u32 s13, s13, s21
	s_load_b64 s[12:13], s[12:13], 0x0
	s_delay_alu instid0(VALU_DEP_2) | instskip(NEXT) | instid1(VALU_DEP_1)
	v_mov_b32_e32 v2, v11
	v_mad_u64_u32 v[14:15], null, v8, s15, v[1:2]
	v_lshlrev_b32_e32 v1, 3, v8
	v_mad_u64_u32 v[3:4], null, v18, s11, v[2:3]
	v_dual_mov_b32 v4, 0 :: v_dual_lshlrev_b32 v15, 3, v16
	s_delay_alu instid0(VALU_DEP_3) | instskip(SKIP_1) | instid1(VALU_DEP_4)
	v_lshl_or_b32 v17, v17, 6, v1
	v_dual_mov_b32 v1, v14 :: v_dual_mov_b32 v8, 0
	v_mov_b32_e32 v11, v3
	s_delay_alu instid0(VALU_DEP_3) | instskip(NEXT) | instid1(VALU_DEP_3)
	v_add_nc_u32_e32 v17, 0x800, v17
	v_lshlrev_b64 v[0:1], 3, v[0:1]
	v_lshl_or_b32 v16, v18, 8, v15
	v_mov_b32_e32 v15, 0
	v_lshlrev_b64 v[2:3], 3, v[10:11]
	v_mov_b32_e32 v10, 0
	s_delay_alu instid0(VALU_DEP_2) | instskip(NEXT) | instid1(VALU_DEP_3)
	v_add_co_u32 v2, vcc_lo, v2, s8
	v_add_co_ci_u32_e32 v3, vcc_lo, s9, v3, vcc_lo
	s_waitcnt lgkmcnt(0)
	v_add_co_u32 v11, vcc_lo, v0, s12
	v_add_co_ci_u32_e32 v14, vcc_lo, s13, v1, vcc_lo
	v_add_co_u32 v0, vcc_lo, v2, 4
	v_add_co_ci_u32_e32 v1, vcc_lo, 0, v3, vcc_lo
	s_delay_alu instid0(VALU_DEP_4) | instskip(NEXT) | instid1(VALU_DEP_4)
	v_add_co_u32 v2, vcc_lo, v11, 4
	v_add_co_ci_u32_e32 v3, vcc_lo, 0, v14, vcc_lo
	v_dual_mov_b32 v11, 0 :: v_dual_mov_b32 v14, 0
	s_lshl_b64 s[8:9], s[10:11], 6
	s_lshl_b64 s[10:11], s[14:15], 6
	s_mov_b64 s[12:13], 0
.LBB1574_2:                             ; =>This Inner Loop Header: Depth=1
	global_load_b64 v[18:19], v[0:1], off offset:-4
	global_load_b64 v[20:21], v[2:3], off offset:-4
	s_add_u32 s12, s12, 8
	v_add_co_u32 v0, vcc_lo, v0, s8
	s_addc_u32 s13, s13, 0
	v_add_co_ci_u32_e32 v1, vcc_lo, s9, v1, vcc_lo
	v_cmp_ge_u64_e64 s14, s[12:13], s[4:5]
	v_add_co_u32 v2, vcc_lo, v2, s10
	v_add_co_ci_u32_e32 v3, vcc_lo, s11, v3, vcc_lo
	s_waitcnt vmcnt(1)
	ds_store_b64 v16, v[18:19]
	s_waitcnt vmcnt(0)
	ds_store_b64 v17, v[20:21]
	s_waitcnt lgkmcnt(0)
	s_barrier
	buffer_gl0_inv
	ds_load_2addr_b64 v[18:21], v12 offset1:16
	ds_load_b128 v[22:25], v13
	ds_load_b128 v[26:29], v13 offset:1024
	ds_load_b128 v[30:33], v13 offset:16
	;; [unrolled: 1-line block ×4, first 2 shown]
	ds_load_2addr_b64 v[42:45], v12 offset0:32 offset1:48
	ds_load_2addr_b64 v[46:49], v12 offset0:64 offset1:80
	ds_load_b128 v[50:53], v13 offset:1040
	ds_load_2addr_b64 v[54:57], v12 offset0:96 offset1:112
	ds_load_2addr_b64 v[58:61], v12 offset0:128 offset1:144
	;; [unrolled: 1-line block ×4, first 2 shown]
	ds_load_b128 v[70:73], v13 offset:1056
	ds_load_b128 v[74:77], v13 offset:1072
	ds_load_2addr_b64 v[78:81], v12 offset0:224 offset1:240
	s_and_b32 vcc_lo, exec_lo, s14
	s_waitcnt lgkmcnt(0)
	s_barrier
	buffer_gl0_inv
	v_dual_mul_f32 v82, v23, v19 :: v_dual_mul_f32 v85, v22, v21
	v_dual_mul_f32 v83, v22, v19 :: v_dual_mul_f32 v84, v23, v21
	v_mul_f32_e32 v86, v27, v19
	v_dual_mul_f32 v19, v26, v19 :: v_dual_mul_f32 v90, v25, v45
	v_dual_mul_f32 v87, v27, v21 :: v_dual_mul_f32 v88, v25, v43
	v_mul_f32_e32 v21, v26, v21
	v_mul_f32_e32 v89, v24, v43
	;; [unrolled: 1-line block ×3, first 2 shown]
	v_fma_f32 v82, v22, v18, -v82
	v_fmac_f32_e32 v83, v23, v18
	v_fma_f32 v22, v22, v20, -v84
	v_dual_fmac_f32 v85, v23, v20 :: v_dual_mul_f32 v84, v30, v47
	v_fma_f32 v23, v26, v18, -v86
	v_fmac_f32_e32 v19, v27, v18
	v_fma_f32 v18, v26, v20, -v87
	v_dual_mul_f32 v26, v28, v43 :: v_dual_fmac_f32 v21, v27, v20
	v_mul_f32_e32 v20, v29, v43
	v_mul_f32_e32 v27, v29, v45
	v_dual_mul_f32 v43, v28, v45 :: v_dual_fmac_f32 v84, v31, v46
	v_fma_f32 v45, v24, v42, -v88
	v_fma_f32 v24, v24, v44, -v90
	v_dual_fmac_f32 v91, v25, v44 :: v_dual_mul_f32 v90, v32, v57
	v_dual_mul_f32 v86, v31, v49 :: v_dual_fmac_f32 v89, v25, v42
	v_dual_mul_f32 v25, v31, v47 :: v_dual_mul_f32 v88, v33, v57
	v_fma_f32 v20, v28, v42, -v20
	v_fmac_f32_e32 v26, v29, v42
	v_fma_f32 v27, v28, v44, -v27
	v_dual_fmac_f32 v43, v29, v44 :: v_dual_mul_f32 v28, v51, v47
	v_dual_mul_f32 v29, v50, v47 :: v_dual_mul_f32 v42, v51, v49
	v_mul_f32_e32 v44, v50, v49
	v_mul_f32_e32 v87, v30, v49
	;; [unrolled: 1-line block ×3, first 2 shown]
	v_dual_mul_f32 v49, v32, v55 :: v_dual_fmac_f32 v90, v33, v56
	v_fma_f32 v25, v30, v46, -v25
	v_fma_f32 v30, v30, v48, -v86
	;; [unrolled: 1-line block ×3, first 2 shown]
	v_fmac_f32_e32 v44, v51, v48
	v_fmac_f32_e32 v87, v31, v48
	v_fma_f32 v31, v50, v48, -v42
	v_mul_f32_e32 v42, v53, v55
	v_mul_f32_e32 v48, v53, v57
	v_dual_mul_f32 v50, v52, v57 :: v_dual_fmac_f32 v29, v51, v46
	v_mul_f32_e32 v46, v52, v55
	v_fma_f32 v47, v32, v54, -v47
	v_fmac_f32_e32 v49, v33, v54
	v_fma_f32 v32, v32, v56, -v88
	s_delay_alu instid0(VALU_DEP_4)
	v_dual_mul_f32 v33, v35, v59 :: v_dual_fmac_f32 v46, v53, v54
	v_mul_f32_e32 v51, v34, v59
	v_mul_f32_e32 v55, v35, v61
	v_fma_f32 v42, v52, v54, -v42
	v_fma_f32 v48, v52, v56, -v48
	v_fmac_f32_e32 v50, v53, v56
	v_mul_f32_e32 v52, v71, v59
	v_dual_mul_f32 v53, v70, v59 :: v_dual_mul_f32 v86, v37, v65
	v_mul_f32_e32 v54, v71, v61
	v_dual_mul_f32 v56, v70, v61 :: v_dual_mul_f32 v59, v37, v63
	v_mul_f32_e32 v57, v34, v61
	v_mul_f32_e32 v61, v36, v63
	v_dual_mul_f32 v88, v36, v65 :: v_dual_fmac_f32 v51, v35, v58
	v_fma_f32 v33, v34, v58, -v33
	v_fmac_f32_e32 v53, v71, v58
	v_fmac_f32_e32 v56, v71, v60
	s_delay_alu instid0(VALU_DEP_4)
	v_fmac_f32_e32 v88, v37, v64
	v_fmac_f32_e32 v57, v35, v60
	v_fma_f32 v35, v70, v58, -v52
	v_fma_f32 v52, v70, v60, -v54
	v_mul_f32_e32 v54, v73, v63
	v_fma_f32 v34, v34, v60, -v55
	v_mul_f32_e32 v60, v72, v65
	v_dual_mul_f32 v55, v72, v63 :: v_dual_mul_f32 v70, v38, v69
	v_mul_f32_e32 v58, v73, v65
	v_fma_f32 v59, v36, v62, -v59
	v_fmac_f32_e32 v61, v37, v62
	v_fma_f32 v36, v36, v64, -v86
	v_dual_mul_f32 v37, v39, v67 :: v_dual_fmac_f32 v60, v73, v64
	v_dual_mul_f32 v63, v38, v67 :: v_dual_mul_f32 v86, v40, v81
	v_mul_f32_e32 v65, v39, v69
	v_fma_f32 v54, v72, v62, -v54
	v_fmac_f32_e32 v55, v73, v62
	v_fma_f32 v58, v72, v64, -v58
	v_mul_f32_e32 v72, v40, v79
	v_mul_f32_e32 v62, v75, v67
	v_dual_mul_f32 v64, v74, v67 :: v_dual_mul_f32 v67, v75, v69
	v_dual_mul_f32 v69, v74, v69 :: v_dual_fmac_f32 v70, v39, v68
	s_delay_alu instid0(VALU_DEP_2)
	v_dual_mul_f32 v71, v41, v79 :: v_dual_fmac_f32 v64, v75, v66
	v_fma_f32 v37, v38, v66, -v37
	v_fmac_f32_e32 v63, v39, v66
	v_fma_f32 v38, v38, v68, -v65
	v_fma_f32 v39, v74, v66, -v62
	v_dual_fmac_f32 v69, v75, v68 :: v_dual_fmac_f32 v72, v41, v78
	v_mul_f32_e32 v66, v76, v79
	v_fma_f32 v62, v74, v68, -v67
	v_mul_f32_e32 v68, v76, v81
	v_dual_mul_f32 v73, v41, v81 :: v_dual_add_f32 v14, v14, v82
	v_dual_mul_f32 v65, v77, v79 :: v_dual_add_f32 v10, v10, v85
	;; [unrolled: 1-line block ×3, first 2 shown]
	v_dual_fmac_f32 v86, v41, v80 :: v_dual_add_f32 v15, v15, v83
	v_dual_fmac_f32 v68, v77, v80 :: v_dual_add_f32 v11, v11, v22
	v_dual_add_f32 v9, v9, v19 :: v_dual_add_f32 v4, v4, v21
	v_dual_add_f32 v5, v5, v18 :: v_dual_add_f32 v14, v14, v45
	s_delay_alu instid0(VALU_DEP_4) | instskip(NEXT) | instid1(VALU_DEP_4)
	v_dual_fmac_f32 v66, v77, v78 :: v_dual_add_f32 v15, v15, v89
	v_dual_add_f32 v11, v11, v24 :: v_dual_add_f32 v10, v10, v91
	s_delay_alu instid0(VALU_DEP_4) | instskip(NEXT) | instid1(VALU_DEP_4)
	v_dual_add_f32 v8, v8, v20 :: v_dual_add_f32 v9, v9, v26
	v_dual_add_f32 v5, v5, v27 :: v_dual_add_f32 v14, v14, v25
	s_delay_alu instid0(VALU_DEP_4) | instskip(NEXT) | instid1(VALU_DEP_4)
	v_dual_add_f32 v4, v4, v43 :: v_dual_add_f32 v15, v15, v84
	v_dual_add_f32 v11, v11, v30 :: v_dual_add_f32 v10, v10, v87
	s_delay_alu instid0(VALU_DEP_4) | instskip(NEXT) | instid1(VALU_DEP_3)
	v_dual_add_f32 v8, v8, v28 :: v_dual_add_f32 v9, v9, v29
	v_dual_add_f32 v5, v5, v31 :: v_dual_add_f32 v4, v4, v44
	s_delay_alu instid0(VALU_DEP_4) | instskip(NEXT) | instid1(VALU_DEP_4)
	v_dual_add_f32 v14, v14, v47 :: v_dual_add_f32 v15, v15, v49
	v_dual_add_f32 v11, v11, v32 :: v_dual_add_f32 v10, v10, v90
	s_delay_alu instid0(VALU_DEP_3) | instskip(NEXT) | instid1(VALU_DEP_3)
	v_dual_add_f32 v8, v8, v42 :: v_dual_add_f32 v5, v5, v48
	v_dual_add_f32 v9, v9, v46 :: v_dual_add_f32 v14, v14, v33
	s_delay_alu instid0(VALU_DEP_4) | instskip(NEXT) | instid1(VALU_DEP_4)
	v_dual_add_f32 v4, v4, v50 :: v_dual_add_f32 v15, v15, v51
	v_dual_add_f32 v11, v11, v34 :: v_dual_add_f32 v10, v10, v57
	s_delay_alu instid0(VALU_DEP_3) | instskip(NEXT) | instid1(VALU_DEP_4)
	v_dual_add_f32 v8, v8, v35 :: v_dual_add_f32 v9, v9, v53
	v_dual_add_f32 v5, v5, v52 :: v_dual_add_f32 v14, v14, v59
	s_delay_alu instid0(VALU_DEP_4) | instskip(NEXT) | instid1(VALU_DEP_3)
	v_dual_add_f32 v4, v4, v56 :: v_dual_add_f32 v15, v15, v61
	v_dual_add_f32 v11, v11, v36 :: v_dual_add_f32 v8, v8, v54
	s_delay_alu instid0(VALU_DEP_4) | instskip(NEXT) | instid1(VALU_DEP_3)
	v_dual_add_f32 v10, v10, v88 :: v_dual_add_f32 v9, v9, v55
	v_dual_add_f32 v5, v5, v58 :: v_dual_add_f32 v4, v4, v60
	v_fma_f32 v71, v40, v78, -v71
	v_fma_f32 v40, v40, v80, -v73
	;; [unrolled: 1-line block ×4, first 2 shown]
	v_dual_add_f32 v14, v14, v37 :: v_dual_add_f32 v15, v15, v63
	v_dual_add_f32 v11, v11, v38 :: v_dual_add_f32 v8, v8, v39
	;; [unrolled: 1-line block ×4, first 2 shown]
	s_delay_alu instid0(VALU_DEP_4) | instskip(NEXT) | instid1(VALU_DEP_3)
	v_dual_add_f32 v14, v14, v71 :: v_dual_add_f32 v15, v15, v72
	v_dual_add_f32 v11, v11, v40 :: v_dual_add_f32 v10, v10, v86
	s_delay_alu instid0(VALU_DEP_4) | instskip(NEXT) | instid1(VALU_DEP_4)
	v_dual_add_f32 v8, v8, v41 :: v_dual_add_f32 v9, v9, v66
	v_dual_add_f32 v5, v5, v65 :: v_dual_add_f32 v4, v4, v68
	s_cbranch_vccz .LBB1574_2
.LBB1574_3:
	v_add_nc_u32_e32 v7, s23, v7
	s_load_b32 s4, s[0:1], 0x0
	s_delay_alu instid0(VALU_DEP_1) | instskip(SKIP_3) | instid1(VALU_DEP_3)
	v_ashrrev_i32_e32 v0, 31, v7
	s_waitcnt lgkmcnt(0)
	v_mul_lo_u32 v3, v7, s19
	v_mad_u64_u32 v[1:2], null, v7, s18, 0
	v_mul_lo_u32 v0, v0, s18
	s_delay_alu instid0(VALU_DEP_1) | instskip(SKIP_1) | instid1(VALU_DEP_2)
	v_add3_u32 v2, v2, v3, v0
	v_add_nc_u32_e32 v0, s22, v6
	v_lshlrev_b64 v[1:2], 3, v[1:2]
	s_delay_alu instid0(VALU_DEP_2) | instskip(SKIP_1) | instid1(VALU_DEP_3)
	v_cmp_le_i32_e64 s0, v7, v0
	v_cmp_gt_i32_e32 vcc_lo, s4, v0
	v_add_co_u32 v6, s1, s2, v1
	s_delay_alu instid0(VALU_DEP_1) | instskip(NEXT) | instid1(VALU_DEP_4)
	v_add_co_ci_u32_e64 v12, s1, s3, v2, s1
	s_and_b32 s0, s0, vcc_lo
	s_delay_alu instid0(SALU_CYCLE_1)
	s_and_saveexec_b32 s1, s0
	s_cbranch_execz .LBB1574_5
; %bb.4:
	v_ashrrev_i32_e32 v1, 31, v0
	s_delay_alu instid0(VALU_DEP_1) | instskip(NEXT) | instid1(VALU_DEP_1)
	v_lshlrev_b64 v[1:2], 3, v[0:1]
	v_add_co_u32 v1, s0, v6, v1
	s_delay_alu instid0(VALU_DEP_1) | instskip(SKIP_4) | instid1(VALU_DEP_2)
	v_add_co_ci_u32_e64 v2, s0, v12, v2, s0
	global_load_b64 v[16:17], v[1:2], off
	s_waitcnt vmcnt(0)
	v_mul_f32_e32 v13, s17, v17
	v_mul_f32_e32 v17, s16, v17
	v_fma_f32 v13, v16, s16, -v13
	s_delay_alu instid0(VALU_DEP_2) | instskip(SKIP_2) | instid1(VALU_DEP_2)
	v_fmac_f32_e32 v17, s17, v16
	v_mul_f32_e32 v3, s7, v15
	v_mul_f32_e32 v15, s6, v15
	v_fma_f32 v3, v14, s6, -v3
	s_delay_alu instid0(VALU_DEP_2) | instskip(NEXT) | instid1(VALU_DEP_2)
	v_fmac_f32_e32 v15, s7, v14
	v_add_f32_e32 v13, v3, v13
	s_delay_alu instid0(VALU_DEP_2)
	v_add_f32_e32 v14, v15, v17
	global_store_b64 v[1:2], v[13:14], off
.LBB1574_5:
	s_or_b32 exec_lo, exec_lo, s1
	v_add_nc_u32_e32 v2, 16, v0
	s_delay_alu instid0(VALU_DEP_1) | instskip(SKIP_1) | instid1(VALU_DEP_1)
	v_cmp_le_i32_e64 s1, v7, v2
	v_cmp_gt_i32_e64 s0, s4, v2
	s_and_b32 s1, s1, s0
	s_delay_alu instid0(SALU_CYCLE_1)
	s_and_saveexec_b32 s4, s1
	s_cbranch_execz .LBB1574_7
; %bb.6:
	v_ashrrev_i32_e32 v3, 31, v2
	s_delay_alu instid0(VALU_DEP_1) | instskip(NEXT) | instid1(VALU_DEP_1)
	v_lshlrev_b64 v[13:14], 3, v[2:3]
	v_add_co_u32 v13, s1, v6, v13
	s_delay_alu instid0(VALU_DEP_1)
	v_add_co_ci_u32_e64 v14, s1, v12, v14, s1
	global_load_b64 v[15:16], v[13:14], off
	v_mul_f32_e32 v1, s7, v10
	s_waitcnt vmcnt(0)
	v_dual_mul_f32 v3, s6, v10 :: v_dual_mul_f32 v12, s16, v16
	v_mul_f32_e32 v6, s17, v16
	s_delay_alu instid0(VALU_DEP_3) | instskip(NEXT) | instid1(VALU_DEP_3)
	v_fma_f32 v1, v11, s6, -v1
	v_fmac_f32_e32 v12, s17, v15
	s_delay_alu instid0(VALU_DEP_3) | instskip(NEXT) | instid1(VALU_DEP_1)
	v_fma_f32 v6, v15, s16, -v6
	v_dual_fmac_f32 v3, s7, v11 :: v_dual_add_f32 v10, v1, v6
	s_delay_alu instid0(VALU_DEP_1)
	v_add_f32_e32 v11, v3, v12
	global_store_b64 v[13:14], v[10:11], off
.LBB1574_7:
	s_or_b32 exec_lo, exec_lo, s4
	v_add_nc_u32_e32 v3, 16, v7
	s_delay_alu instid0(VALU_DEP_1) | instskip(SKIP_3) | instid1(VALU_DEP_4)
	v_ashrrev_i32_e32 v1, 31, v3
	v_mul_lo_u32 v10, v3, s19
	v_mad_u64_u32 v[6:7], null, v3, s18, 0
	v_cmp_le_i32_e64 s1, v3, v0
	v_mul_lo_u32 v1, v1, s18
	s_delay_alu instid0(VALU_DEP_1) | instskip(NEXT) | instid1(VALU_DEP_1)
	v_add3_u32 v7, v7, v10, v1
	v_lshlrev_b64 v[6:7], 3, v[6:7]
	s_delay_alu instid0(VALU_DEP_1) | instskip(NEXT) | instid1(VALU_DEP_1)
	v_add_co_u32 v6, s2, s2, v6
	v_add_co_ci_u32_e64 v7, s2, s3, v7, s2
	s_and_b32 s2, s1, vcc_lo
	s_delay_alu instid0(SALU_CYCLE_1)
	s_and_saveexec_b32 s1, s2
	s_cbranch_execz .LBB1574_9
; %bb.8:
	v_ashrrev_i32_e32 v1, 31, v0
	s_delay_alu instid0(VALU_DEP_1) | instskip(NEXT) | instid1(VALU_DEP_1)
	v_lshlrev_b64 v[0:1], 3, v[0:1]
	v_add_co_u32 v0, vcc_lo, v6, v0
	s_delay_alu instid0(VALU_DEP_2) | instskip(SKIP_4) | instid1(VALU_DEP_2)
	v_add_co_ci_u32_e32 v1, vcc_lo, v7, v1, vcc_lo
	global_load_b64 v[10:11], v[0:1], off
	s_waitcnt vmcnt(0)
	v_dual_mul_f32 v12, s7, v9 :: v_dual_mul_f32 v13, s17, v11
	v_mul_f32_e32 v11, s16, v11
	v_fma_f32 v12, v8, s6, -v12
	v_mul_f32_e32 v9, s6, v9
	s_delay_alu instid0(VALU_DEP_3) | instskip(NEXT) | instid1(VALU_DEP_2)
	v_fmac_f32_e32 v11, s17, v10
	v_fmac_f32_e32 v9, s7, v8
	v_fma_f32 v8, v10, s16, -v13
	s_delay_alu instid0(VALU_DEP_1)
	v_dual_add_f32 v9, v9, v11 :: v_dual_add_f32 v8, v12, v8
	global_store_b64 v[0:1], v[8:9], off
.LBB1574_9:
	s_or_b32 exec_lo, exec_lo, s1
	v_cmp_le_i32_e32 vcc_lo, v3, v2
	s_and_b32 s0, vcc_lo, s0
	s_delay_alu instid0(SALU_CYCLE_1)
	s_and_saveexec_b32 s1, s0
	s_cbranch_execz .LBB1574_11
; %bb.10:
	v_ashrrev_i32_e32 v3, 31, v2
	s_delay_alu instid0(VALU_DEP_1) | instskip(NEXT) | instid1(VALU_DEP_1)
	v_lshlrev_b64 v[0:1], 3, v[2:3]
	v_add_co_u32 v0, vcc_lo, v6, v0
	s_delay_alu instid0(VALU_DEP_2)
	v_add_co_ci_u32_e32 v1, vcc_lo, v7, v1, vcc_lo
	global_load_b64 v[2:3], v[0:1], off
	v_mul_f32_e32 v6, s7, v4
	s_waitcnt vmcnt(0)
	v_dual_mul_f32 v4, s6, v4 :: v_dual_mul_f32 v7, s17, v3
	v_mul_f32_e32 v3, s16, v3
	s_delay_alu instid0(VALU_DEP_3) | instskip(NEXT) | instid1(VALU_DEP_3)
	v_fma_f32 v6, v5, s6, -v6
	v_fmac_f32_e32 v4, s7, v5
	s_delay_alu instid0(VALU_DEP_4) | instskip(NEXT) | instid1(VALU_DEP_1)
	v_fma_f32 v5, v2, s16, -v7
	v_dual_fmac_f32 v3, s17, v2 :: v_dual_add_f32 v2, v6, v5
	s_delay_alu instid0(VALU_DEP_1)
	v_add_f32_e32 v3, v4, v3
	global_store_b64 v[0:1], v[2:3], off
.LBB1574_11:
	s_nop 0
	s_sendmsg sendmsg(MSG_DEALLOC_VGPRS)
	s_endpgm
	.section	.rodata,"a",@progbits
	.p2align	6, 0x0
	.amdhsa_kernel _ZL37rocblas_syrkx_herkx_restricted_kernelIl19rocblas_complex_numIfELi16ELi32ELi8ELb0ELb0ELc78ELc76EKPKS1_KPS1_EviT_T0_PT8_S7_lSA_S7_lS8_PT9_S7_li
		.amdhsa_group_segment_fixed_size 4096
		.amdhsa_private_segment_fixed_size 0
		.amdhsa_kernarg_size 108
		.amdhsa_user_sgpr_count 13
		.amdhsa_user_sgpr_dispatch_ptr 0
		.amdhsa_user_sgpr_queue_ptr 0
		.amdhsa_user_sgpr_kernarg_segment_ptr 1
		.amdhsa_user_sgpr_dispatch_id 0
		.amdhsa_user_sgpr_private_segment_size 0
		.amdhsa_wavefront_size32 1
		.amdhsa_uses_dynamic_stack 0
		.amdhsa_enable_private_segment 0
		.amdhsa_system_sgpr_workgroup_id_x 1
		.amdhsa_system_sgpr_workgroup_id_y 1
		.amdhsa_system_sgpr_workgroup_id_z 1
		.amdhsa_system_sgpr_workgroup_info 0
		.amdhsa_system_vgpr_workitem_id 1
		.amdhsa_next_free_vgpr 92
		.amdhsa_next_free_sgpr 24
		.amdhsa_reserve_vcc 1
		.amdhsa_float_round_mode_32 0
		.amdhsa_float_round_mode_16_64 0
		.amdhsa_float_denorm_mode_32 3
		.amdhsa_float_denorm_mode_16_64 3
		.amdhsa_dx10_clamp 1
		.amdhsa_ieee_mode 1
		.amdhsa_fp16_overflow 0
		.amdhsa_workgroup_processor_mode 1
		.amdhsa_memory_ordered 1
		.amdhsa_forward_progress 0
		.amdhsa_shared_vgpr_count 0
		.amdhsa_exception_fp_ieee_invalid_op 0
		.amdhsa_exception_fp_denorm_src 0
		.amdhsa_exception_fp_ieee_div_zero 0
		.amdhsa_exception_fp_ieee_overflow 0
		.amdhsa_exception_fp_ieee_underflow 0
		.amdhsa_exception_fp_ieee_inexact 0
		.amdhsa_exception_int_div_zero 0
	.end_amdhsa_kernel
	.section	.text._ZL37rocblas_syrkx_herkx_restricted_kernelIl19rocblas_complex_numIfELi16ELi32ELi8ELb0ELb0ELc78ELc76EKPKS1_KPS1_EviT_T0_PT8_S7_lSA_S7_lS8_PT9_S7_li,"axG",@progbits,_ZL37rocblas_syrkx_herkx_restricted_kernelIl19rocblas_complex_numIfELi16ELi32ELi8ELb0ELb0ELc78ELc76EKPKS1_KPS1_EviT_T0_PT8_S7_lSA_S7_lS8_PT9_S7_li,comdat
.Lfunc_end1574:
	.size	_ZL37rocblas_syrkx_herkx_restricted_kernelIl19rocblas_complex_numIfELi16ELi32ELi8ELb0ELb0ELc78ELc76EKPKS1_KPS1_EviT_T0_PT8_S7_lSA_S7_lS8_PT9_S7_li, .Lfunc_end1574-_ZL37rocblas_syrkx_herkx_restricted_kernelIl19rocblas_complex_numIfELi16ELi32ELi8ELb0ELb0ELc78ELc76EKPKS1_KPS1_EviT_T0_PT8_S7_lSA_S7_lS8_PT9_S7_li
                                        ; -- End function
	.section	.AMDGPU.csdata,"",@progbits
; Kernel info:
; codeLenInByte = 2420
; NumSgprs: 26
; NumVgprs: 92
; ScratchSize: 0
; MemoryBound: 0
; FloatMode: 240
; IeeeMode: 1
; LDSByteSize: 4096 bytes/workgroup (compile time only)
; SGPRBlocks: 3
; VGPRBlocks: 11
; NumSGPRsForWavesPerEU: 26
; NumVGPRsForWavesPerEU: 92
; Occupancy: 16
; WaveLimiterHint : 1
; COMPUTE_PGM_RSRC2:SCRATCH_EN: 0
; COMPUTE_PGM_RSRC2:USER_SGPR: 13
; COMPUTE_PGM_RSRC2:TRAP_HANDLER: 0
; COMPUTE_PGM_RSRC2:TGID_X_EN: 1
; COMPUTE_PGM_RSRC2:TGID_Y_EN: 1
; COMPUTE_PGM_RSRC2:TGID_Z_EN: 1
; COMPUTE_PGM_RSRC2:TIDIG_COMP_CNT: 1
	.section	.text._ZL37rocblas_syrkx_herkx_restricted_kernelIl19rocblas_complex_numIfELi16ELi32ELi8ELb0ELb0ELc84ELc85EKPKS1_KPS1_EviT_T0_PT8_S7_lSA_S7_lS8_PT9_S7_li,"axG",@progbits,_ZL37rocblas_syrkx_herkx_restricted_kernelIl19rocblas_complex_numIfELi16ELi32ELi8ELb0ELb0ELc84ELc85EKPKS1_KPS1_EviT_T0_PT8_S7_lSA_S7_lS8_PT9_S7_li,comdat
	.globl	_ZL37rocblas_syrkx_herkx_restricted_kernelIl19rocblas_complex_numIfELi16ELi32ELi8ELb0ELb0ELc84ELc85EKPKS1_KPS1_EviT_T0_PT8_S7_lSA_S7_lS8_PT9_S7_li ; -- Begin function _ZL37rocblas_syrkx_herkx_restricted_kernelIl19rocblas_complex_numIfELi16ELi32ELi8ELb0ELb0ELc84ELc85EKPKS1_KPS1_EviT_T0_PT8_S7_lSA_S7_lS8_PT9_S7_li
	.p2align	8
	.type	_ZL37rocblas_syrkx_herkx_restricted_kernelIl19rocblas_complex_numIfELi16ELi32ELi8ELb0ELb0ELc84ELc85EKPKS1_KPS1_EviT_T0_PT8_S7_lSA_S7_lS8_PT9_S7_li,@function
_ZL37rocblas_syrkx_herkx_restricted_kernelIl19rocblas_complex_numIfELi16ELi32ELi8ELb0ELb0ELc84ELc85EKPKS1_KPS1_EviT_T0_PT8_S7_lSA_S7_lS8_PT9_S7_li: ; @_ZL37rocblas_syrkx_herkx_restricted_kernelIl19rocblas_complex_numIfELi16ELi32ELi8ELb0ELb0ELc84ELc85EKPKS1_KPS1_EviT_T0_PT8_S7_lSA_S7_lS8_PT9_S7_li
; %bb.0:
	s_clause 0x1
	s_load_b128 s[16:19], s[0:1], 0x48
	s_load_b256 s[4:11], s[0:1], 0x8
	s_mov_b32 s2, s15
	s_mov_b32 s3, 0
	v_dual_mov_b32 v17, 0 :: v_dual_and_b32 v6, 0x3ff, v0
	s_lshl_b64 s[20:21], s[2:3], 3
	v_bfe_u32 v7, v0, 10, 10
	v_dual_mov_b32 v16, 0 :: v_dual_mov_b32 v11, 0
	v_dual_mov_b32 v10, 0 :: v_dual_mov_b32 v9, 0
	;; [unrolled: 1-line block ×3, first 2 shown]
	v_mov_b32_e32 v0, 0
	s_waitcnt lgkmcnt(0)
	s_add_u32 s2, s18, s20
	s_addc_u32 s3, s19, s21
	s_load_b64 s[18:19], s[0:1], 0x58
	s_load_b64 s[2:3], s[2:3], 0x0
	v_cmp_lt_i64_e64 s12, s[4:5], 1
	s_lshl_b32 s22, s13, 5
	s_lshl_b32 s23, s14, 5
	s_delay_alu instid0(VALU_DEP_1)
	s_and_b32 vcc_lo, exec_lo, s12
	s_cbranch_vccnz .LBB1575_3
; %bb.1:
	s_load_b128 s[12:15], s[0:1], 0x30
	v_lshl_add_u32 v2, v7, 4, v6
	v_dual_mov_b32 v1, 0 :: v_dual_and_b32 v0, 7, v6
	s_add_u32 s8, s8, s20
	s_addc_u32 s9, s9, s21
	s_delay_alu instid0(VALU_DEP_2) | instskip(SKIP_3) | instid1(VALU_DEP_3)
	v_and_b32_e32 v11, 31, v2
	v_lshrrev_b32_e32 v10, 3, v2
	v_lshrrev_b32_e32 v2, 5, v2
	s_load_b64 s[8:9], s[8:9], 0x0
	v_dual_mov_b32 v3, v1 :: v_dual_add_nc_u32 v8, s22, v11
	s_delay_alu instid0(VALU_DEP_3) | instskip(SKIP_2) | instid1(VALU_DEP_4)
	v_add_nc_u32_e32 v12, s23, v10
	v_dual_mov_b32 v16, v1 :: v_dual_lshlrev_b32 v11, 3, v11
	v_mov_b32_e32 v17, v1
	v_ashrrev_i32_e32 v13, 31, v8
	s_delay_alu instid0(VALU_DEP_4)
	v_ashrrev_i32_e32 v9, 31, v12
	v_mad_u64_u32 v[4:5], null, s10, v8, v[2:3]
	s_waitcnt lgkmcnt(0)
	s_add_u32 s12, s12, s20
	v_mul_lo_u32 v3, s11, v8
	v_mul_lo_u32 v13, s10, v13
	s_addc_u32 s13, s13, s21
	v_mul_lo_u32 v14, v9, s14
	s_load_b64 s[10:11], s[12:13], 0x0
	v_mul_lo_u32 v15, v12, s15
	v_mad_u64_u32 v[8:9], null, v12, s14, v[0:1]
	v_lshlrev_b32_e32 v0, 3, v0
	v_add3_u32 v5, v3, v5, v13
	v_lshlrev_b32_e32 v12, 3, v6
	v_lshl_add_u32 v13, v7, 6, 0x800
	v_add3_u32 v9, v14, v9, v15
	s_delay_alu instid0(VALU_DEP_4) | instskip(SKIP_4) | instid1(VALU_DEP_2)
	v_lshlrev_b64 v[3:4], 3, v[4:5]
	v_lshl_or_b32 v14, v2, 8, v11
	v_mov_b32_e32 v11, v1
	v_lshl_or_b32 v0, v10, 6, v0
	v_lshlrev_b64 v[8:9], 3, v[8:9]
	v_dual_mov_b32 v10, v1 :: v_dual_add_nc_u32 v15, 0x800, v0
	v_add_co_u32 v0, vcc_lo, v3, s8
	v_add_co_ci_u32_e32 v3, vcc_lo, s9, v4, vcc_lo
	s_waitcnt lgkmcnt(0)
	s_delay_alu instid0(VALU_DEP_4) | instskip(SKIP_3) | instid1(VALU_DEP_4)
	v_add_co_u32 v4, vcc_lo, v8, s10
	v_add_co_ci_u32_e32 v5, vcc_lo, s11, v9, vcc_lo
	v_add_co_u32 v2, vcc_lo, v0, 4
	v_add_co_ci_u32_e32 v3, vcc_lo, 0, v3, vcc_lo
	v_add_co_u32 v4, vcc_lo, v4, 4
	s_delay_alu instid0(VALU_DEP_4)
	v_add_co_ci_u32_e32 v5, vcc_lo, 0, v5, vcc_lo
	v_mov_b32_e32 v0, v1
	v_mov_b32_e32 v9, v1
	;; [unrolled: 1-line block ×3, first 2 shown]
	s_mov_b64 s[8:9], 0
.LBB1575_2:                             ; =>This Inner Loop Header: Depth=1
	global_load_b64 v[18:19], v[2:3], off offset:-4
	global_load_b64 v[20:21], v[4:5], off offset:-4
	s_add_u32 s8, s8, 8
	v_add_co_u32 v2, vcc_lo, v2, 64
	s_addc_u32 s9, s9, 0
	v_add_co_ci_u32_e32 v3, vcc_lo, 0, v3, vcc_lo
	v_cmp_ge_u64_e64 s10, s[8:9], s[4:5]
	v_add_co_u32 v4, vcc_lo, v4, 64
	v_add_co_ci_u32_e32 v5, vcc_lo, 0, v5, vcc_lo
	s_waitcnt vmcnt(1)
	ds_store_b64 v14, v[18:19]
	s_waitcnt vmcnt(0)
	ds_store_b64 v15, v[20:21]
	s_waitcnt lgkmcnt(0)
	s_barrier
	buffer_gl0_inv
	ds_load_2addr_b64 v[18:21], v12 offset1:16
	ds_load_b128 v[22:25], v13
	ds_load_b128 v[26:29], v13 offset:1024
	ds_load_b128 v[30:33], v13 offset:16
	;; [unrolled: 1-line block ×4, first 2 shown]
	ds_load_2addr_b64 v[42:45], v12 offset0:32 offset1:48
	ds_load_2addr_b64 v[46:49], v12 offset0:64 offset1:80
	ds_load_b128 v[50:53], v13 offset:1040
	ds_load_2addr_b64 v[54:57], v12 offset0:96 offset1:112
	ds_load_2addr_b64 v[58:61], v12 offset0:128 offset1:144
	;; [unrolled: 1-line block ×4, first 2 shown]
	ds_load_b128 v[70:73], v13 offset:1056
	ds_load_b128 v[74:77], v13 offset:1072
	ds_load_2addr_b64 v[78:81], v12 offset0:224 offset1:240
	s_and_b32 vcc_lo, exec_lo, s10
	s_waitcnt lgkmcnt(0)
	s_barrier
	buffer_gl0_inv
	v_dual_mul_f32 v82, v23, v19 :: v_dual_mul_f32 v85, v22, v21
	v_dual_mul_f32 v83, v22, v19 :: v_dual_mul_f32 v84, v23, v21
	v_mul_f32_e32 v86, v27, v19
	v_dual_mul_f32 v19, v26, v19 :: v_dual_mul_f32 v90, v25, v45
	v_dual_mul_f32 v87, v27, v21 :: v_dual_mul_f32 v88, v25, v43
	v_mul_f32_e32 v21, v26, v21
	v_fma_f32 v82, v22, v18, -v82
	v_fmac_f32_e32 v83, v23, v18
	v_fma_f32 v22, v22, v20, -v84
	v_fmac_f32_e32 v85, v23, v20
	v_fma_f32 v23, v26, v18, -v86
	v_dual_fmac_f32 v19, v27, v18 :: v_dual_mul_f32 v86, v30, v47
	v_fma_f32 v18, v26, v20, -v87
	v_dual_fmac_f32 v21, v27, v20 :: v_dual_mul_f32 v20, v24, v45
	v_mul_f32_e32 v89, v24, v43
	v_mul_f32_e32 v26, v29, v43
	;; [unrolled: 1-line block ×4, first 2 shown]
	v_fmac_f32_e32 v20, v25, v44
	v_fmac_f32_e32 v89, v25, v42
	v_dual_mul_f32 v25, v28, v45 :: v_dual_fmac_f32 v86, v31, v46
	v_fma_f32 v84, v24, v42, -v88
	v_fma_f32 v24, v24, v44, -v90
	v_dual_mul_f32 v45, v31, v47 :: v_dual_mul_f32 v90, v33, v57
	v_fma_f32 v26, v28, v42, -v26
	v_fma_f32 v28, v28, v44, -v43
	v_fmac_f32_e32 v25, v29, v44
	v_dual_mul_f32 v43, v50, v47 :: v_dual_mul_f32 v44, v51, v49
	v_dual_fmac_f32 v27, v29, v42 :: v_dual_mul_f32 v42, v51, v47
	v_dual_mul_f32 v88, v32, v55 :: v_dual_mul_f32 v29, v30, v49
	v_mul_f32_e32 v87, v31, v49
	v_fma_f32 v45, v30, v46, -v45
	v_add_f32_e32 v16, v16, v82
	s_delay_alu instid0(VALU_DEP_4)
	v_dual_fmac_f32 v88, v33, v54 :: v_dual_fmac_f32 v29, v31, v48
	v_fma_f32 v31, v50, v46, -v42
	v_fma_f32 v42, v50, v48, -v44
	v_mul_f32_e32 v44, v32, v57
	v_mul_f32_e32 v47, v50, v49
	v_dual_mul_f32 v50, v53, v57 :: v_dual_fmac_f32 v43, v51, v46
	v_mul_f32_e32 v46, v53, v55
	v_mul_f32_e32 v49, v33, v55
	v_fma_f32 v30, v30, v48, -v87
	v_fmac_f32_e32 v44, v33, v56
	v_dual_fmac_f32 v47, v51, v48 :: v_dual_mul_f32 v48, v52, v55
	v_mul_f32_e32 v33, v52, v57
	v_fma_f32 v46, v52, v54, -v46
	v_fma_f32 v50, v52, v56, -v50
	v_mul_f32_e32 v52, v34, v61
	v_fma_f32 v49, v32, v54, -v49
	v_fma_f32 v32, v32, v56, -v90
	v_dual_mul_f32 v51, v35, v59 :: v_dual_fmac_f32 v48, v53, v54
	v_mul_f32_e32 v54, v70, v59
	v_dual_mul_f32 v55, v34, v59 :: v_dual_fmac_f32 v52, v35, v60
	v_fmac_f32_e32 v33, v53, v56
	v_mul_f32_e32 v53, v71, v59
	v_mul_f32_e32 v56, v71, v61
	;; [unrolled: 1-line block ×3, first 2 shown]
	v_fmac_f32_e32 v54, v71, v58
	v_fmac_f32_e32 v55, v35, v58
	v_fma_f32 v35, v70, v58, -v53
	v_fma_f32 v53, v70, v60, -v56
	v_mul_f32_e32 v56, v36, v65
	v_mul_f32_e32 v59, v70, v61
	v_fma_f32 v51, v34, v58, -v51
	v_mul_f32_e32 v58, v72, v63
	v_mul_f32_e32 v87, v36, v63
	v_mul_f32_e32 v61, v37, v63
	v_mul_f32_e32 v90, v37, v65
	v_fma_f32 v34, v34, v60, -v57
	v_mul_f32_e32 v57, v73, v63
	v_fmac_f32_e32 v56, v37, v64
	v_dual_fmac_f32 v59, v71, v60 :: v_dual_mul_f32 v60, v73, v65
	v_mul_f32_e32 v63, v39, v67
	v_mul_f32_e32 v70, v39, v69
	v_fmac_f32_e32 v58, v73, v62
	v_fmac_f32_e32 v87, v37, v62
	v_mul_f32_e32 v37, v72, v65
	v_fma_f32 v61, v36, v62, -v61
	v_fma_f32 v36, v36, v64, -v90
	v_mul_f32_e32 v65, v38, v67
	v_fma_f32 v57, v72, v62, -v57
	v_fma_f32 v60, v72, v64, -v60
	v_dual_fmac_f32 v37, v73, v64 :: v_dual_mul_f32 v62, v38, v69
	v_mul_f32_e32 v64, v75, v67
	v_fma_f32 v63, v38, v66, -v63
	v_fma_f32 v38, v38, v68, -v70
	v_mul_f32_e32 v70, v76, v79
	v_mul_f32_e32 v67, v74, v67
	;; [unrolled: 1-line block ×3, first 2 shown]
	v_dual_mul_f32 v69, v74, v69 :: v_dual_add_f32 v8, v8, v23
	v_dual_mul_f32 v73, v40, v79 :: v_dual_add_f32 v10, v10, v22
	v_dual_fmac_f32 v65, v39, v66 :: v_dual_add_f32 v16, v16, v84
	v_fmac_f32_e32 v62, v39, v68
	v_fma_f32 v39, v74, v66, -v64
	v_fmac_f32_e32 v70, v77, v78
	v_dual_fmac_f32 v67, v75, v66 :: v_dual_add_f32 v10, v10, v24
	v_mul_f32_e32 v66, v40, v81
	v_mul_f32_e32 v72, v41, v79
	v_dual_mul_f32 v90, v41, v81 :: v_dual_fmac_f32 v69, v75, v68
	v_add_f32_e32 v0, v0, v18
	v_fmac_f32_e32 v73, v41, v78
	v_dual_fmac_f32 v66, v41, v80 :: v_dual_mul_f32 v41, v76, v81
	v_add_f32_e32 v10, v10, v30
	v_fma_f32 v64, v74, v68, -v71
	v_dual_mul_f32 v71, v77, v81 :: v_dual_add_f32 v8, v8, v26
	s_delay_alu instid0(VALU_DEP_4)
	v_dual_fmac_f32 v41, v77, v80 :: v_dual_add_f32 v16, v16, v45
	v_add_f32_e32 v11, v11, v85
	v_add_f32_e32 v9, v9, v19
	v_dual_add_f32 v1, v1, v21 :: v_dual_add_f32 v10, v10, v32
	v_dual_add_f32 v0, v0, v28 :: v_dual_add_f32 v17, v17, v83
	v_add_f32_e32 v8, v8, v31
	s_delay_alu instid0(VALU_DEP_4) | instskip(NEXT) | instid1(VALU_DEP_4)
	v_dual_add_f32 v16, v16, v49 :: v_dual_add_f32 v9, v9, v27
	v_dual_add_f32 v10, v10, v34 :: v_dual_add_f32 v1, v1, v25
	s_delay_alu instid0(VALU_DEP_4) | instskip(NEXT) | instid1(VALU_DEP_3)
	v_add_f32_e32 v0, v0, v42
	v_dual_add_f32 v16, v16, v51 :: v_dual_add_f32 v17, v17, v89
	v_dual_add_f32 v8, v8, v46 :: v_dual_add_f32 v11, v11, v20
	s_delay_alu instid0(VALU_DEP_3) | instskip(NEXT) | instid1(VALU_DEP_2)
	v_dual_add_f32 v0, v0, v50 :: v_dual_add_f32 v9, v9, v43
	v_dual_add_f32 v17, v17, v86 :: v_dual_add_f32 v8, v8, v35
	s_delay_alu instid0(VALU_DEP_3) | instskip(SKIP_1) | instid1(VALU_DEP_3)
	v_dual_add_f32 v11, v11, v29 :: v_dual_add_f32 v10, v10, v36
	v_dual_add_f32 v1, v1, v47 :: v_dual_add_f32 v16, v16, v61
	v_dual_add_f32 v17, v17, v88 :: v_dual_add_f32 v8, v8, v57
	s_delay_alu instid0(VALU_DEP_3) | instskip(NEXT) | instid1(VALU_DEP_3)
	v_dual_add_f32 v11, v11, v44 :: v_dual_add_f32 v0, v0, v53
	v_dual_add_f32 v16, v16, v63 :: v_dual_add_f32 v9, v9, v48
	s_delay_alu instid0(VALU_DEP_4) | instskip(NEXT) | instid1(VALU_DEP_3)
	v_dual_add_f32 v10, v10, v38 :: v_dual_add_f32 v1, v1, v33
	v_add_f32_e32 v0, v0, v60
	v_mul_f32_e32 v68, v77, v79
	v_fma_f32 v72, v40, v78, -v72
	v_fma_f32 v40, v40, v80, -v90
	s_delay_alu instid0(VALU_DEP_4) | instskip(SKIP_1) | instid1(VALU_DEP_4)
	v_dual_add_f32 v17, v17, v55 :: v_dual_add_f32 v0, v0, v64
	v_dual_add_f32 v11, v11, v52 :: v_dual_add_f32 v8, v8, v39
	v_dual_add_f32 v9, v9, v54 :: v_dual_add_f32 v16, v16, v72
	s_delay_alu instid0(VALU_DEP_4)
	v_dual_add_f32 v1, v1, v59 :: v_dual_add_f32 v10, v10, v40
	v_fma_f32 v68, v76, v78, -v68
	v_fma_f32 v71, v76, v80, -v71
	v_add_f32_e32 v17, v17, v87
	v_add_f32_e32 v11, v11, v56
	;; [unrolled: 1-line block ×3, first 2 shown]
	s_delay_alu instid0(VALU_DEP_4) | instskip(NEXT) | instid1(VALU_DEP_4)
	v_dual_add_f32 v1, v1, v37 :: v_dual_add_f32 v0, v0, v71
	v_dual_add_f32 v8, v8, v68 :: v_dual_add_f32 v17, v17, v65
	s_delay_alu instid0(VALU_DEP_4) | instskip(NEXT) | instid1(VALU_DEP_4)
	v_add_f32_e32 v11, v11, v62
	v_add_f32_e32 v9, v9, v67
	s_delay_alu instid0(VALU_DEP_4) | instskip(NEXT) | instid1(VALU_DEP_4)
	v_add_f32_e32 v1, v1, v69
	v_add_f32_e32 v17, v17, v73
	;; [unrolled: 3-line block ×3, first 2 shown]
	s_delay_alu instid0(VALU_DEP_4)
	v_add_f32_e32 v1, v1, v41
	s_cbranch_vccz .LBB1575_2
.LBB1575_3:
	v_add_nc_u32_e32 v7, s23, v7
	s_load_b32 s4, s[0:1], 0x0
	s_delay_alu instid0(VALU_DEP_1) | instskip(SKIP_3) | instid1(VALU_DEP_3)
	v_ashrrev_i32_e32 v2, 31, v7
	s_waitcnt lgkmcnt(0)
	v_mul_lo_u32 v5, v7, s19
	v_mad_u64_u32 v[3:4], null, v7, s18, 0
	v_mul_lo_u32 v2, v2, s18
	s_delay_alu instid0(VALU_DEP_1) | instskip(SKIP_2) | instid1(VALU_DEP_3)
	v_add3_u32 v4, v4, v5, v2
	v_add_nc_u32_e32 v2, s22, v6
	v_cmp_gt_i32_e32 vcc_lo, s4, v7
	v_lshlrev_b64 v[3:4], 3, v[3:4]
	s_delay_alu instid0(VALU_DEP_3) | instskip(NEXT) | instid1(VALU_DEP_1)
	v_cmp_le_i32_e64 s0, v2, v7
	s_and_b32 s0, vcc_lo, s0
	s_delay_alu instid0(VALU_DEP_2) | instskip(NEXT) | instid1(VALU_DEP_1)
	v_add_co_u32 v6, s1, s2, v3
	v_add_co_ci_u32_e64 v12, s1, s3, v4, s1
	s_and_saveexec_b32 s1, s0
	s_cbranch_execz .LBB1575_5
; %bb.4:
	v_ashrrev_i32_e32 v3, 31, v2
	v_mul_f32_e32 v15, s6, v17
	s_delay_alu instid0(VALU_DEP_2) | instskip(NEXT) | instid1(VALU_DEP_2)
	v_lshlrev_b64 v[3:4], 3, v[2:3]
	v_fmac_f32_e32 v15, s7, v16
	s_delay_alu instid0(VALU_DEP_2) | instskip(NEXT) | instid1(VALU_DEP_1)
	v_add_co_u32 v3, s0, v6, v3
	v_add_co_ci_u32_e64 v4, s0, v12, v4, s0
	global_load_b64 v[13:14], v[3:4], off
	v_mul_f32_e32 v5, s7, v17
	s_waitcnt vmcnt(0)
	v_mul_f32_e32 v17, s17, v14
	v_mul_f32_e32 v14, s16, v14
	s_delay_alu instid0(VALU_DEP_3) | instskip(NEXT) | instid1(VALU_DEP_2)
	v_fma_f32 v5, v16, s6, -v5
	v_fmac_f32_e32 v14, s17, v13
	s_delay_alu instid0(VALU_DEP_4) | instskip(NEXT) | instid1(VALU_DEP_1)
	v_fma_f32 v16, v13, s16, -v17
	v_dual_add_f32 v14, v15, v14 :: v_dual_add_f32 v13, v5, v16
	global_store_b64 v[3:4], v[13:14], off
.LBB1575_5:
	s_or_b32 exec_lo, exec_lo, s1
	v_add_nc_u32_e32 v4, 16, v2
	s_delay_alu instid0(VALU_DEP_1) | instskip(NEXT) | instid1(VALU_DEP_1)
	v_cmp_le_i32_e64 s0, v4, v7
	s_and_b32 s1, vcc_lo, s0
	s_delay_alu instid0(SALU_CYCLE_1)
	s_and_saveexec_b32 s0, s1
	s_cbranch_execz .LBB1575_7
; %bb.6:
	v_ashrrev_i32_e32 v5, 31, v4
	s_delay_alu instid0(VALU_DEP_1) | instskip(NEXT) | instid1(VALU_DEP_1)
	v_lshlrev_b64 v[13:14], 3, v[4:5]
	v_add_co_u32 v5, vcc_lo, v6, v13
	s_delay_alu instid0(VALU_DEP_2) | instskip(SKIP_4) | instid1(VALU_DEP_2)
	v_add_co_ci_u32_e32 v6, vcc_lo, v12, v14, vcc_lo
	global_load_b64 v[12:13], v[5:6], off
	s_waitcnt vmcnt(0)
	v_dual_mul_f32 v3, s7, v11 :: v_dual_mul_f32 v14, s17, v13
	v_mul_f32_e32 v13, s16, v13
	v_fma_f32 v3, v10, s6, -v3
	v_mul_f32_e32 v11, s6, v11
	s_delay_alu instid0(VALU_DEP_3) | instskip(NEXT) | instid1(VALU_DEP_2)
	v_fmac_f32_e32 v13, s17, v12
	v_fmac_f32_e32 v11, s7, v10
	v_fma_f32 v10, v12, s16, -v14
	s_delay_alu instid0(VALU_DEP_2) | instskip(NEXT) | instid1(VALU_DEP_2)
	v_add_f32_e32 v11, v11, v13
	v_add_f32_e32 v10, v3, v10
	global_store_b64 v[5:6], v[10:11], off
.LBB1575_7:
	s_or_b32 exec_lo, exec_lo, s0
	v_add_nc_u32_e32 v5, 16, v7
	s_delay_alu instid0(VALU_DEP_1) | instskip(SKIP_3) | instid1(VALU_DEP_4)
	v_ashrrev_i32_e32 v3, 31, v5
	v_mul_lo_u32 v10, v5, s19
	v_mad_u64_u32 v[6:7], null, v5, s18, 0
	v_cmp_gt_i32_e32 vcc_lo, s4, v5
	v_mul_lo_u32 v3, v3, s18
	v_cmp_le_i32_e64 s0, v2, v5
	s_delay_alu instid0(VALU_DEP_1) | instskip(NEXT) | instid1(VALU_DEP_2)
	s_and_b32 s0, vcc_lo, s0
	v_add3_u32 v7, v7, v10, v3
	s_delay_alu instid0(VALU_DEP_1) | instskip(NEXT) | instid1(VALU_DEP_1)
	v_lshlrev_b64 v[6:7], 3, v[6:7]
	v_add_co_u32 v6, s1, s2, v6
	s_delay_alu instid0(VALU_DEP_1)
	v_add_co_ci_u32_e64 v7, s1, s3, v7, s1
	s_and_saveexec_b32 s1, s0
	s_cbranch_execz .LBB1575_9
; %bb.8:
	v_ashrrev_i32_e32 v3, 31, v2
	s_delay_alu instid0(VALU_DEP_1) | instskip(NEXT) | instid1(VALU_DEP_1)
	v_lshlrev_b64 v[2:3], 3, v[2:3]
	v_add_co_u32 v2, s0, v6, v2
	s_delay_alu instid0(VALU_DEP_1) | instskip(SKIP_4) | instid1(VALU_DEP_2)
	v_add_co_ci_u32_e64 v3, s0, v7, v3, s0
	global_load_b64 v[10:11], v[2:3], off
	s_waitcnt vmcnt(0)
	v_dual_mul_f32 v12, s7, v9 :: v_dual_mul_f32 v13, s17, v11
	v_mul_f32_e32 v11, s16, v11
	v_fma_f32 v12, v8, s6, -v12
	v_mul_f32_e32 v9, s6, v9
	s_delay_alu instid0(VALU_DEP_3) | instskip(NEXT) | instid1(VALU_DEP_2)
	v_fmac_f32_e32 v11, s17, v10
	v_fmac_f32_e32 v9, s7, v8
	v_fma_f32 v8, v10, s16, -v13
	s_delay_alu instid0(VALU_DEP_1)
	v_dual_add_f32 v9, v9, v11 :: v_dual_add_f32 v8, v12, v8
	global_store_b64 v[2:3], v[8:9], off
.LBB1575_9:
	s_or_b32 exec_lo, exec_lo, s1
	v_cmp_le_i32_e64 s0, v4, v5
	s_delay_alu instid0(VALU_DEP_1) | instskip(NEXT) | instid1(SALU_CYCLE_1)
	s_and_b32 s0, vcc_lo, s0
	s_and_saveexec_b32 s1, s0
	s_cbranch_execz .LBB1575_11
; %bb.10:
	v_ashrrev_i32_e32 v5, 31, v4
	s_delay_alu instid0(VALU_DEP_1) | instskip(NEXT) | instid1(VALU_DEP_1)
	v_lshlrev_b64 v[2:3], 3, v[4:5]
	v_add_co_u32 v2, vcc_lo, v6, v2
	s_delay_alu instid0(VALU_DEP_2)
	v_add_co_ci_u32_e32 v3, vcc_lo, v7, v3, vcc_lo
	v_mul_f32_e32 v6, s7, v1
	v_mul_f32_e32 v1, s6, v1
	global_load_b64 v[4:5], v[2:3], off
	v_fmac_f32_e32 v1, s7, v0
	v_fma_f32 v6, v0, s6, -v6
	s_waitcnt vmcnt(0)
	v_mul_f32_e32 v7, s17, v5
	v_mul_f32_e32 v5, s16, v5
	s_delay_alu instid0(VALU_DEP_2) | instskip(NEXT) | instid1(VALU_DEP_2)
	v_fma_f32 v0, v4, s16, -v7
	v_fmac_f32_e32 v5, s17, v4
	s_delay_alu instid0(VALU_DEP_1)
	v_dual_add_f32 v0, v6, v0 :: v_dual_add_f32 v1, v1, v5
	global_store_b64 v[2:3], v[0:1], off
.LBB1575_11:
	s_nop 0
	s_sendmsg sendmsg(MSG_DEALLOC_VGPRS)
	s_endpgm
	.section	.rodata,"a",@progbits
	.p2align	6, 0x0
	.amdhsa_kernel _ZL37rocblas_syrkx_herkx_restricted_kernelIl19rocblas_complex_numIfELi16ELi32ELi8ELb0ELb0ELc84ELc85EKPKS1_KPS1_EviT_T0_PT8_S7_lSA_S7_lS8_PT9_S7_li
		.amdhsa_group_segment_fixed_size 4096
		.amdhsa_private_segment_fixed_size 0
		.amdhsa_kernarg_size 108
		.amdhsa_user_sgpr_count 13
		.amdhsa_user_sgpr_dispatch_ptr 0
		.amdhsa_user_sgpr_queue_ptr 0
		.amdhsa_user_sgpr_kernarg_segment_ptr 1
		.amdhsa_user_sgpr_dispatch_id 0
		.amdhsa_user_sgpr_private_segment_size 0
		.amdhsa_wavefront_size32 1
		.amdhsa_uses_dynamic_stack 0
		.amdhsa_enable_private_segment 0
		.amdhsa_system_sgpr_workgroup_id_x 1
		.amdhsa_system_sgpr_workgroup_id_y 1
		.amdhsa_system_sgpr_workgroup_id_z 1
		.amdhsa_system_sgpr_workgroup_info 0
		.amdhsa_system_vgpr_workitem_id 1
		.amdhsa_next_free_vgpr 91
		.amdhsa_next_free_sgpr 24
		.amdhsa_reserve_vcc 1
		.amdhsa_float_round_mode_32 0
		.amdhsa_float_round_mode_16_64 0
		.amdhsa_float_denorm_mode_32 3
		.amdhsa_float_denorm_mode_16_64 3
		.amdhsa_dx10_clamp 1
		.amdhsa_ieee_mode 1
		.amdhsa_fp16_overflow 0
		.amdhsa_workgroup_processor_mode 1
		.amdhsa_memory_ordered 1
		.amdhsa_forward_progress 0
		.amdhsa_shared_vgpr_count 0
		.amdhsa_exception_fp_ieee_invalid_op 0
		.amdhsa_exception_fp_denorm_src 0
		.amdhsa_exception_fp_ieee_div_zero 0
		.amdhsa_exception_fp_ieee_overflow 0
		.amdhsa_exception_fp_ieee_underflow 0
		.amdhsa_exception_fp_ieee_inexact 0
		.amdhsa_exception_int_div_zero 0
	.end_amdhsa_kernel
	.section	.text._ZL37rocblas_syrkx_herkx_restricted_kernelIl19rocblas_complex_numIfELi16ELi32ELi8ELb0ELb0ELc84ELc85EKPKS1_KPS1_EviT_T0_PT8_S7_lSA_S7_lS8_PT9_S7_li,"axG",@progbits,_ZL37rocblas_syrkx_herkx_restricted_kernelIl19rocblas_complex_numIfELi16ELi32ELi8ELb0ELb0ELc84ELc85EKPKS1_KPS1_EviT_T0_PT8_S7_lSA_S7_lS8_PT9_S7_li,comdat
.Lfunc_end1575:
	.size	_ZL37rocblas_syrkx_herkx_restricted_kernelIl19rocblas_complex_numIfELi16ELi32ELi8ELb0ELb0ELc84ELc85EKPKS1_KPS1_EviT_T0_PT8_S7_lSA_S7_lS8_PT9_S7_li, .Lfunc_end1575-_ZL37rocblas_syrkx_herkx_restricted_kernelIl19rocblas_complex_numIfELi16ELi32ELi8ELb0ELb0ELc84ELc85EKPKS1_KPS1_EviT_T0_PT8_S7_lSA_S7_lS8_PT9_S7_li
                                        ; -- End function
	.section	.AMDGPU.csdata,"",@progbits
; Kernel info:
; codeLenInByte = 2412
; NumSgprs: 26
; NumVgprs: 91
; ScratchSize: 0
; MemoryBound: 0
; FloatMode: 240
; IeeeMode: 1
; LDSByteSize: 4096 bytes/workgroup (compile time only)
; SGPRBlocks: 3
; VGPRBlocks: 11
; NumSGPRsForWavesPerEU: 26
; NumVGPRsForWavesPerEU: 91
; Occupancy: 16
; WaveLimiterHint : 1
; COMPUTE_PGM_RSRC2:SCRATCH_EN: 0
; COMPUTE_PGM_RSRC2:USER_SGPR: 13
; COMPUTE_PGM_RSRC2:TRAP_HANDLER: 0
; COMPUTE_PGM_RSRC2:TGID_X_EN: 1
; COMPUTE_PGM_RSRC2:TGID_Y_EN: 1
; COMPUTE_PGM_RSRC2:TGID_Z_EN: 1
; COMPUTE_PGM_RSRC2:TIDIG_COMP_CNT: 1
	.section	.text._ZL37rocblas_syrkx_herkx_restricted_kernelIl19rocblas_complex_numIfELi16ELi32ELi8ELb0ELb0ELc67ELc85EKPKS1_KPS1_EviT_T0_PT8_S7_lSA_S7_lS8_PT9_S7_li,"axG",@progbits,_ZL37rocblas_syrkx_herkx_restricted_kernelIl19rocblas_complex_numIfELi16ELi32ELi8ELb0ELb0ELc67ELc85EKPKS1_KPS1_EviT_T0_PT8_S7_lSA_S7_lS8_PT9_S7_li,comdat
	.globl	_ZL37rocblas_syrkx_herkx_restricted_kernelIl19rocblas_complex_numIfELi16ELi32ELi8ELb0ELb0ELc67ELc85EKPKS1_KPS1_EviT_T0_PT8_S7_lSA_S7_lS8_PT9_S7_li ; -- Begin function _ZL37rocblas_syrkx_herkx_restricted_kernelIl19rocblas_complex_numIfELi16ELi32ELi8ELb0ELb0ELc67ELc85EKPKS1_KPS1_EviT_T0_PT8_S7_lSA_S7_lS8_PT9_S7_li
	.p2align	8
	.type	_ZL37rocblas_syrkx_herkx_restricted_kernelIl19rocblas_complex_numIfELi16ELi32ELi8ELb0ELb0ELc67ELc85EKPKS1_KPS1_EviT_T0_PT8_S7_lSA_S7_lS8_PT9_S7_li,@function
_ZL37rocblas_syrkx_herkx_restricted_kernelIl19rocblas_complex_numIfELi16ELi32ELi8ELb0ELb0ELc67ELc85EKPKS1_KPS1_EviT_T0_PT8_S7_lSA_S7_lS8_PT9_S7_li: ; @_ZL37rocblas_syrkx_herkx_restricted_kernelIl19rocblas_complex_numIfELi16ELi32ELi8ELb0ELb0ELc67ELc85EKPKS1_KPS1_EviT_T0_PT8_S7_lSA_S7_lS8_PT9_S7_li
; %bb.0:
	s_clause 0x1
	s_load_b128 s[16:19], s[0:1], 0x48
	s_load_b256 s[4:11], s[0:1], 0x8
	s_mov_b32 s2, s15
	s_mov_b32 s3, 0
	v_dual_mov_b32 v17, 0 :: v_dual_and_b32 v6, 0x3ff, v0
	s_lshl_b64 s[20:21], s[2:3], 3
	v_bfe_u32 v7, v0, 10, 10
	v_dual_mov_b32 v16, 0 :: v_dual_mov_b32 v11, 0
	v_dual_mov_b32 v10, 0 :: v_dual_mov_b32 v9, 0
	;; [unrolled: 1-line block ×3, first 2 shown]
	v_mov_b32_e32 v0, 0
	s_waitcnt lgkmcnt(0)
	s_add_u32 s2, s18, s20
	s_addc_u32 s3, s19, s21
	s_load_b64 s[18:19], s[0:1], 0x58
	s_load_b64 s[2:3], s[2:3], 0x0
	v_cmp_lt_i64_e64 s12, s[4:5], 1
	s_lshl_b32 s22, s13, 5
	s_lshl_b32 s23, s14, 5
	s_delay_alu instid0(VALU_DEP_1)
	s_and_b32 vcc_lo, exec_lo, s12
	s_cbranch_vccnz .LBB1576_3
; %bb.1:
	s_load_b128 s[12:15], s[0:1], 0x30
	v_lshl_add_u32 v2, v7, 4, v6
	v_dual_mov_b32 v1, 0 :: v_dual_and_b32 v0, 7, v6
	s_add_u32 s8, s8, s20
	s_addc_u32 s9, s9, s21
	s_delay_alu instid0(VALU_DEP_2) | instskip(SKIP_3) | instid1(VALU_DEP_3)
	v_and_b32_e32 v11, 31, v2
	v_lshrrev_b32_e32 v10, 3, v2
	v_lshrrev_b32_e32 v2, 5, v2
	s_load_b64 s[8:9], s[8:9], 0x0
	v_dual_mov_b32 v3, v1 :: v_dual_add_nc_u32 v8, s22, v11
	s_delay_alu instid0(VALU_DEP_3) | instskip(SKIP_2) | instid1(VALU_DEP_4)
	v_add_nc_u32_e32 v12, s23, v10
	v_dual_mov_b32 v16, v1 :: v_dual_lshlrev_b32 v11, 3, v11
	v_mov_b32_e32 v17, v1
	v_ashrrev_i32_e32 v13, 31, v8
	s_delay_alu instid0(VALU_DEP_4)
	v_ashrrev_i32_e32 v9, 31, v12
	v_mad_u64_u32 v[4:5], null, s10, v8, v[2:3]
	s_waitcnt lgkmcnt(0)
	s_add_u32 s12, s12, s20
	v_mul_lo_u32 v3, s11, v8
	v_mul_lo_u32 v13, s10, v13
	s_addc_u32 s13, s13, s21
	v_mul_lo_u32 v14, v9, s14
	s_load_b64 s[10:11], s[12:13], 0x0
	v_mul_lo_u32 v15, v12, s15
	v_mad_u64_u32 v[8:9], null, v12, s14, v[0:1]
	v_lshlrev_b32_e32 v0, 3, v0
	v_add3_u32 v5, v3, v5, v13
	v_lshlrev_b32_e32 v12, 3, v6
	v_lshl_add_u32 v13, v7, 6, 0x800
	v_add3_u32 v9, v14, v9, v15
	s_delay_alu instid0(VALU_DEP_4) | instskip(SKIP_4) | instid1(VALU_DEP_2)
	v_lshlrev_b64 v[3:4], 3, v[4:5]
	v_lshl_or_b32 v14, v2, 8, v11
	v_mov_b32_e32 v11, v1
	v_lshl_or_b32 v0, v10, 6, v0
	v_lshlrev_b64 v[8:9], 3, v[8:9]
	v_dual_mov_b32 v10, v1 :: v_dual_add_nc_u32 v15, 0x800, v0
	v_add_co_u32 v0, vcc_lo, v3, s8
	v_add_co_ci_u32_e32 v3, vcc_lo, s9, v4, vcc_lo
	s_waitcnt lgkmcnt(0)
	s_delay_alu instid0(VALU_DEP_4) | instskip(SKIP_3) | instid1(VALU_DEP_4)
	v_add_co_u32 v4, vcc_lo, v8, s10
	v_add_co_ci_u32_e32 v5, vcc_lo, s11, v9, vcc_lo
	v_add_co_u32 v2, vcc_lo, v0, 4
	v_add_co_ci_u32_e32 v3, vcc_lo, 0, v3, vcc_lo
	v_add_co_u32 v4, vcc_lo, v4, 4
	s_delay_alu instid0(VALU_DEP_4)
	v_add_co_ci_u32_e32 v5, vcc_lo, 0, v5, vcc_lo
	v_mov_b32_e32 v0, v1
	v_mov_b32_e32 v9, v1
	;; [unrolled: 1-line block ×3, first 2 shown]
	s_mov_b64 s[8:9], 0
.LBB1576_2:                             ; =>This Inner Loop Header: Depth=1
	global_load_b64 v[18:19], v[2:3], off offset:-4
	global_load_b64 v[20:21], v[4:5], off offset:-4
	s_add_u32 s8, s8, 8
	v_add_co_u32 v2, vcc_lo, v2, 64
	s_addc_u32 s9, s9, 0
	v_add_co_ci_u32_e32 v3, vcc_lo, 0, v3, vcc_lo
	v_cmp_ge_u64_e64 s10, s[8:9], s[4:5]
	v_add_co_u32 v4, vcc_lo, v4, 64
	v_add_co_ci_u32_e32 v5, vcc_lo, 0, v5, vcc_lo
	s_waitcnt vmcnt(1)
	ds_store_b64 v14, v[18:19]
	s_waitcnt vmcnt(0)
	ds_store_b64 v15, v[20:21]
	s_waitcnt lgkmcnt(0)
	s_barrier
	buffer_gl0_inv
	ds_load_2addr_b64 v[18:21], v12 offset1:16
	ds_load_b128 v[22:25], v13
	ds_load_b128 v[26:29], v13 offset:1024
	ds_load_b128 v[30:33], v13 offset:16
	;; [unrolled: 1-line block ×4, first 2 shown]
	ds_load_2addr_b64 v[42:45], v12 offset0:32 offset1:48
	ds_load_2addr_b64 v[46:49], v12 offset0:64 offset1:80
	ds_load_b128 v[50:53], v13 offset:1040
	ds_load_2addr_b64 v[54:57], v12 offset0:96 offset1:112
	ds_load_2addr_b64 v[58:61], v12 offset0:128 offset1:144
	;; [unrolled: 1-line block ×4, first 2 shown]
	ds_load_b128 v[70:73], v13 offset:1056
	ds_load_b128 v[74:77], v13 offset:1072
	ds_load_2addr_b64 v[78:81], v12 offset0:224 offset1:240
	s_and_b32 vcc_lo, exec_lo, s10
	s_waitcnt lgkmcnt(0)
	s_barrier
	buffer_gl0_inv
	v_dual_mul_f32 v82, v23, v19 :: v_dual_mul_f32 v85, v22, v21
	v_dual_mul_f32 v83, v22, v19 :: v_dual_mul_f32 v84, v23, v21
	v_mul_f32_e32 v86, v27, v19
	v_dual_mul_f32 v19, v26, v19 :: v_dual_mul_f32 v90, v25, v45
	v_dual_mul_f32 v87, v27, v21 :: v_dual_mul_f32 v88, v25, v43
	v_mul_f32_e32 v21, v26, v21
	v_fma_f32 v82, v22, v18, -v82
	v_fmac_f32_e32 v83, v23, v18
	v_fma_f32 v22, v22, v20, -v84
	v_fmac_f32_e32 v85, v23, v20
	v_fma_f32 v23, v26, v18, -v86
	v_dual_fmac_f32 v19, v27, v18 :: v_dual_mul_f32 v86, v30, v47
	v_fma_f32 v18, v26, v20, -v87
	v_dual_fmac_f32 v21, v27, v20 :: v_dual_mul_f32 v20, v24, v45
	v_mul_f32_e32 v89, v24, v43
	v_mul_f32_e32 v26, v29, v43
	;; [unrolled: 1-line block ×4, first 2 shown]
	v_fmac_f32_e32 v20, v25, v44
	v_fmac_f32_e32 v89, v25, v42
	v_dual_mul_f32 v25, v28, v45 :: v_dual_fmac_f32 v86, v31, v46
	v_fma_f32 v84, v24, v42, -v88
	v_fma_f32 v24, v24, v44, -v90
	v_dual_mul_f32 v45, v31, v47 :: v_dual_mul_f32 v90, v33, v57
	v_fma_f32 v26, v28, v42, -v26
	v_fma_f32 v28, v28, v44, -v43
	v_fmac_f32_e32 v25, v29, v44
	v_dual_mul_f32 v43, v50, v47 :: v_dual_mul_f32 v44, v51, v49
	v_dual_fmac_f32 v27, v29, v42 :: v_dual_mul_f32 v42, v51, v47
	v_dual_mul_f32 v88, v32, v55 :: v_dual_mul_f32 v29, v30, v49
	v_mul_f32_e32 v87, v31, v49
	v_fma_f32 v45, v30, v46, -v45
	v_add_f32_e32 v16, v16, v82
	s_delay_alu instid0(VALU_DEP_4)
	v_dual_fmac_f32 v88, v33, v54 :: v_dual_fmac_f32 v29, v31, v48
	v_fma_f32 v31, v50, v46, -v42
	v_fma_f32 v42, v50, v48, -v44
	v_mul_f32_e32 v44, v32, v57
	v_mul_f32_e32 v47, v50, v49
	v_dual_mul_f32 v50, v53, v57 :: v_dual_fmac_f32 v43, v51, v46
	v_mul_f32_e32 v46, v53, v55
	v_mul_f32_e32 v49, v33, v55
	v_fma_f32 v30, v30, v48, -v87
	v_fmac_f32_e32 v44, v33, v56
	v_dual_fmac_f32 v47, v51, v48 :: v_dual_mul_f32 v48, v52, v55
	v_mul_f32_e32 v33, v52, v57
	v_fma_f32 v46, v52, v54, -v46
	v_fma_f32 v50, v52, v56, -v50
	v_mul_f32_e32 v52, v34, v61
	v_fma_f32 v49, v32, v54, -v49
	v_fma_f32 v32, v32, v56, -v90
	v_dual_mul_f32 v51, v35, v59 :: v_dual_fmac_f32 v48, v53, v54
	v_mul_f32_e32 v54, v70, v59
	v_dual_mul_f32 v55, v34, v59 :: v_dual_fmac_f32 v52, v35, v60
	v_fmac_f32_e32 v33, v53, v56
	v_mul_f32_e32 v53, v71, v59
	v_mul_f32_e32 v56, v71, v61
	;; [unrolled: 1-line block ×3, first 2 shown]
	v_fmac_f32_e32 v54, v71, v58
	v_fmac_f32_e32 v55, v35, v58
	v_fma_f32 v35, v70, v58, -v53
	v_fma_f32 v53, v70, v60, -v56
	v_mul_f32_e32 v56, v36, v65
	v_mul_f32_e32 v59, v70, v61
	v_fma_f32 v51, v34, v58, -v51
	v_mul_f32_e32 v58, v72, v63
	v_mul_f32_e32 v87, v36, v63
	;; [unrolled: 1-line block ×4, first 2 shown]
	v_fma_f32 v34, v34, v60, -v57
	v_mul_f32_e32 v57, v73, v63
	v_fmac_f32_e32 v56, v37, v64
	v_dual_fmac_f32 v59, v71, v60 :: v_dual_mul_f32 v60, v73, v65
	v_mul_f32_e32 v63, v39, v67
	v_mul_f32_e32 v70, v39, v69
	v_fmac_f32_e32 v58, v73, v62
	v_fmac_f32_e32 v87, v37, v62
	v_mul_f32_e32 v37, v72, v65
	v_fma_f32 v61, v36, v62, -v61
	v_fma_f32 v36, v36, v64, -v90
	v_mul_f32_e32 v65, v38, v67
	v_fma_f32 v57, v72, v62, -v57
	v_fma_f32 v60, v72, v64, -v60
	v_dual_fmac_f32 v37, v73, v64 :: v_dual_mul_f32 v62, v38, v69
	v_mul_f32_e32 v64, v75, v67
	v_fma_f32 v63, v38, v66, -v63
	v_fma_f32 v38, v38, v68, -v70
	v_mul_f32_e32 v70, v76, v79
	v_mul_f32_e32 v67, v74, v67
	;; [unrolled: 1-line block ×3, first 2 shown]
	v_dual_mul_f32 v69, v74, v69 :: v_dual_add_f32 v8, v8, v23
	v_dual_mul_f32 v73, v40, v79 :: v_dual_add_f32 v10, v10, v22
	v_dual_fmac_f32 v65, v39, v66 :: v_dual_add_f32 v16, v16, v84
	v_fmac_f32_e32 v62, v39, v68
	v_fma_f32 v39, v74, v66, -v64
	v_fmac_f32_e32 v70, v77, v78
	v_dual_fmac_f32 v67, v75, v66 :: v_dual_add_f32 v10, v10, v24
	v_mul_f32_e32 v66, v40, v81
	v_mul_f32_e32 v72, v41, v79
	v_dual_mul_f32 v90, v41, v81 :: v_dual_fmac_f32 v69, v75, v68
	v_add_f32_e32 v0, v0, v18
	v_fmac_f32_e32 v73, v41, v78
	v_dual_fmac_f32 v66, v41, v80 :: v_dual_mul_f32 v41, v76, v81
	v_add_f32_e32 v10, v10, v30
	v_fma_f32 v64, v74, v68, -v71
	v_dual_mul_f32 v71, v77, v81 :: v_dual_add_f32 v8, v8, v26
	s_delay_alu instid0(VALU_DEP_4)
	v_dual_fmac_f32 v41, v77, v80 :: v_dual_add_f32 v16, v16, v45
	v_add_f32_e32 v11, v11, v85
	v_add_f32_e32 v9, v9, v19
	v_dual_add_f32 v1, v1, v21 :: v_dual_add_f32 v10, v10, v32
	v_dual_add_f32 v0, v0, v28 :: v_dual_add_f32 v17, v17, v83
	v_add_f32_e32 v8, v8, v31
	s_delay_alu instid0(VALU_DEP_4) | instskip(NEXT) | instid1(VALU_DEP_4)
	v_dual_add_f32 v16, v16, v49 :: v_dual_add_f32 v9, v9, v27
	v_dual_add_f32 v10, v10, v34 :: v_dual_add_f32 v1, v1, v25
	s_delay_alu instid0(VALU_DEP_4) | instskip(NEXT) | instid1(VALU_DEP_3)
	v_add_f32_e32 v0, v0, v42
	v_dual_add_f32 v16, v16, v51 :: v_dual_add_f32 v17, v17, v89
	v_dual_add_f32 v8, v8, v46 :: v_dual_add_f32 v11, v11, v20
	s_delay_alu instid0(VALU_DEP_3) | instskip(NEXT) | instid1(VALU_DEP_2)
	v_dual_add_f32 v0, v0, v50 :: v_dual_add_f32 v9, v9, v43
	v_dual_add_f32 v17, v17, v86 :: v_dual_add_f32 v8, v8, v35
	s_delay_alu instid0(VALU_DEP_3) | instskip(SKIP_1) | instid1(VALU_DEP_3)
	v_dual_add_f32 v11, v11, v29 :: v_dual_add_f32 v10, v10, v36
	v_dual_add_f32 v1, v1, v47 :: v_dual_add_f32 v16, v16, v61
	;; [unrolled: 1-line block ×3, first 2 shown]
	s_delay_alu instid0(VALU_DEP_3) | instskip(NEXT) | instid1(VALU_DEP_3)
	v_dual_add_f32 v11, v11, v44 :: v_dual_add_f32 v0, v0, v53
	v_dual_add_f32 v16, v16, v63 :: v_dual_add_f32 v9, v9, v48
	s_delay_alu instid0(VALU_DEP_4) | instskip(NEXT) | instid1(VALU_DEP_3)
	v_dual_add_f32 v10, v10, v38 :: v_dual_add_f32 v1, v1, v33
	v_add_f32_e32 v0, v0, v60
	v_mul_f32_e32 v68, v77, v79
	v_fma_f32 v72, v40, v78, -v72
	v_fma_f32 v40, v40, v80, -v90
	s_delay_alu instid0(VALU_DEP_4) | instskip(SKIP_1) | instid1(VALU_DEP_4)
	v_dual_add_f32 v17, v17, v55 :: v_dual_add_f32 v0, v0, v64
	v_dual_add_f32 v11, v11, v52 :: v_dual_add_f32 v8, v8, v39
	;; [unrolled: 1-line block ×3, first 2 shown]
	s_delay_alu instid0(VALU_DEP_4)
	v_dual_add_f32 v1, v1, v59 :: v_dual_add_f32 v10, v10, v40
	v_fma_f32 v68, v76, v78, -v68
	v_fma_f32 v71, v76, v80, -v71
	v_add_f32_e32 v17, v17, v87
	v_add_f32_e32 v11, v11, v56
	;; [unrolled: 1-line block ×3, first 2 shown]
	s_delay_alu instid0(VALU_DEP_4) | instskip(NEXT) | instid1(VALU_DEP_4)
	v_dual_add_f32 v1, v1, v37 :: v_dual_add_f32 v0, v0, v71
	v_dual_add_f32 v8, v8, v68 :: v_dual_add_f32 v17, v17, v65
	s_delay_alu instid0(VALU_DEP_4) | instskip(NEXT) | instid1(VALU_DEP_4)
	v_add_f32_e32 v11, v11, v62
	v_add_f32_e32 v9, v9, v67
	s_delay_alu instid0(VALU_DEP_4) | instskip(NEXT) | instid1(VALU_DEP_4)
	v_add_f32_e32 v1, v1, v69
	v_add_f32_e32 v17, v17, v73
	;; [unrolled: 3-line block ×3, first 2 shown]
	s_delay_alu instid0(VALU_DEP_4)
	v_add_f32_e32 v1, v1, v41
	s_cbranch_vccz .LBB1576_2
.LBB1576_3:
	v_add_nc_u32_e32 v7, s23, v7
	s_load_b32 s4, s[0:1], 0x0
	s_delay_alu instid0(VALU_DEP_1) | instskip(SKIP_3) | instid1(VALU_DEP_3)
	v_ashrrev_i32_e32 v2, 31, v7
	s_waitcnt lgkmcnt(0)
	v_mul_lo_u32 v5, v7, s19
	v_mad_u64_u32 v[3:4], null, v7, s18, 0
	v_mul_lo_u32 v2, v2, s18
	s_delay_alu instid0(VALU_DEP_1) | instskip(SKIP_2) | instid1(VALU_DEP_3)
	v_add3_u32 v4, v4, v5, v2
	v_add_nc_u32_e32 v2, s22, v6
	v_cmp_gt_i32_e32 vcc_lo, s4, v7
	v_lshlrev_b64 v[3:4], 3, v[3:4]
	s_delay_alu instid0(VALU_DEP_3) | instskip(NEXT) | instid1(VALU_DEP_1)
	v_cmp_le_i32_e64 s0, v2, v7
	s_and_b32 s0, vcc_lo, s0
	s_delay_alu instid0(VALU_DEP_2) | instskip(NEXT) | instid1(VALU_DEP_1)
	v_add_co_u32 v6, s1, s2, v3
	v_add_co_ci_u32_e64 v12, s1, s3, v4, s1
	s_and_saveexec_b32 s1, s0
	s_cbranch_execz .LBB1576_5
; %bb.4:
	v_ashrrev_i32_e32 v3, 31, v2
	v_mul_f32_e32 v15, s6, v17
	s_delay_alu instid0(VALU_DEP_2) | instskip(NEXT) | instid1(VALU_DEP_2)
	v_lshlrev_b64 v[3:4], 3, v[2:3]
	v_fmac_f32_e32 v15, s7, v16
	s_delay_alu instid0(VALU_DEP_2) | instskip(NEXT) | instid1(VALU_DEP_1)
	v_add_co_u32 v3, s0, v6, v3
	v_add_co_ci_u32_e64 v4, s0, v12, v4, s0
	global_load_b64 v[13:14], v[3:4], off
	v_mul_f32_e32 v5, s7, v17
	s_waitcnt vmcnt(0)
	v_mul_f32_e32 v17, s17, v14
	v_mul_f32_e32 v14, s16, v14
	s_delay_alu instid0(VALU_DEP_3) | instskip(NEXT) | instid1(VALU_DEP_2)
	v_fma_f32 v5, v16, s6, -v5
	v_fmac_f32_e32 v14, s17, v13
	s_delay_alu instid0(VALU_DEP_4) | instskip(NEXT) | instid1(VALU_DEP_1)
	v_fma_f32 v16, v13, s16, -v17
	v_dual_add_f32 v14, v15, v14 :: v_dual_add_f32 v13, v5, v16
	global_store_b64 v[3:4], v[13:14], off
.LBB1576_5:
	s_or_b32 exec_lo, exec_lo, s1
	v_add_nc_u32_e32 v4, 16, v2
	s_delay_alu instid0(VALU_DEP_1) | instskip(NEXT) | instid1(VALU_DEP_1)
	v_cmp_le_i32_e64 s0, v4, v7
	s_and_b32 s1, vcc_lo, s0
	s_delay_alu instid0(SALU_CYCLE_1)
	s_and_saveexec_b32 s0, s1
	s_cbranch_execz .LBB1576_7
; %bb.6:
	v_ashrrev_i32_e32 v5, 31, v4
	s_delay_alu instid0(VALU_DEP_1) | instskip(NEXT) | instid1(VALU_DEP_1)
	v_lshlrev_b64 v[13:14], 3, v[4:5]
	v_add_co_u32 v5, vcc_lo, v6, v13
	s_delay_alu instid0(VALU_DEP_2) | instskip(SKIP_4) | instid1(VALU_DEP_2)
	v_add_co_ci_u32_e32 v6, vcc_lo, v12, v14, vcc_lo
	global_load_b64 v[12:13], v[5:6], off
	s_waitcnt vmcnt(0)
	v_dual_mul_f32 v3, s7, v11 :: v_dual_mul_f32 v14, s17, v13
	v_mul_f32_e32 v13, s16, v13
	v_fma_f32 v3, v10, s6, -v3
	v_mul_f32_e32 v11, s6, v11
	s_delay_alu instid0(VALU_DEP_3) | instskip(NEXT) | instid1(VALU_DEP_2)
	v_fmac_f32_e32 v13, s17, v12
	v_fmac_f32_e32 v11, s7, v10
	v_fma_f32 v10, v12, s16, -v14
	s_delay_alu instid0(VALU_DEP_2) | instskip(NEXT) | instid1(VALU_DEP_2)
	v_add_f32_e32 v11, v11, v13
	v_add_f32_e32 v10, v3, v10
	global_store_b64 v[5:6], v[10:11], off
.LBB1576_7:
	s_or_b32 exec_lo, exec_lo, s0
	v_add_nc_u32_e32 v5, 16, v7
	s_delay_alu instid0(VALU_DEP_1) | instskip(SKIP_3) | instid1(VALU_DEP_4)
	v_ashrrev_i32_e32 v3, 31, v5
	v_mul_lo_u32 v10, v5, s19
	v_mad_u64_u32 v[6:7], null, v5, s18, 0
	v_cmp_gt_i32_e32 vcc_lo, s4, v5
	v_mul_lo_u32 v3, v3, s18
	v_cmp_le_i32_e64 s0, v2, v5
	s_delay_alu instid0(VALU_DEP_1) | instskip(NEXT) | instid1(VALU_DEP_2)
	s_and_b32 s0, vcc_lo, s0
	v_add3_u32 v7, v7, v10, v3
	s_delay_alu instid0(VALU_DEP_1) | instskip(NEXT) | instid1(VALU_DEP_1)
	v_lshlrev_b64 v[6:7], 3, v[6:7]
	v_add_co_u32 v6, s1, s2, v6
	s_delay_alu instid0(VALU_DEP_1)
	v_add_co_ci_u32_e64 v7, s1, s3, v7, s1
	s_and_saveexec_b32 s1, s0
	s_cbranch_execz .LBB1576_9
; %bb.8:
	v_ashrrev_i32_e32 v3, 31, v2
	s_delay_alu instid0(VALU_DEP_1) | instskip(NEXT) | instid1(VALU_DEP_1)
	v_lshlrev_b64 v[2:3], 3, v[2:3]
	v_add_co_u32 v2, s0, v6, v2
	s_delay_alu instid0(VALU_DEP_1) | instskip(SKIP_4) | instid1(VALU_DEP_2)
	v_add_co_ci_u32_e64 v3, s0, v7, v3, s0
	global_load_b64 v[10:11], v[2:3], off
	s_waitcnt vmcnt(0)
	v_dual_mul_f32 v12, s7, v9 :: v_dual_mul_f32 v13, s17, v11
	v_mul_f32_e32 v11, s16, v11
	v_fma_f32 v12, v8, s6, -v12
	v_mul_f32_e32 v9, s6, v9
	s_delay_alu instid0(VALU_DEP_3) | instskip(NEXT) | instid1(VALU_DEP_2)
	v_fmac_f32_e32 v11, s17, v10
	v_fmac_f32_e32 v9, s7, v8
	v_fma_f32 v8, v10, s16, -v13
	s_delay_alu instid0(VALU_DEP_1)
	v_dual_add_f32 v9, v9, v11 :: v_dual_add_f32 v8, v12, v8
	global_store_b64 v[2:3], v[8:9], off
.LBB1576_9:
	s_or_b32 exec_lo, exec_lo, s1
	v_cmp_le_i32_e64 s0, v4, v5
	s_delay_alu instid0(VALU_DEP_1) | instskip(NEXT) | instid1(SALU_CYCLE_1)
	s_and_b32 s0, vcc_lo, s0
	s_and_saveexec_b32 s1, s0
	s_cbranch_execz .LBB1576_11
; %bb.10:
	v_ashrrev_i32_e32 v5, 31, v4
	s_delay_alu instid0(VALU_DEP_1) | instskip(NEXT) | instid1(VALU_DEP_1)
	v_lshlrev_b64 v[2:3], 3, v[4:5]
	v_add_co_u32 v2, vcc_lo, v6, v2
	s_delay_alu instid0(VALU_DEP_2)
	v_add_co_ci_u32_e32 v3, vcc_lo, v7, v3, vcc_lo
	v_mul_f32_e32 v6, s7, v1
	v_mul_f32_e32 v1, s6, v1
	global_load_b64 v[4:5], v[2:3], off
	v_fmac_f32_e32 v1, s7, v0
	v_fma_f32 v6, v0, s6, -v6
	s_waitcnt vmcnt(0)
	v_mul_f32_e32 v7, s17, v5
	v_mul_f32_e32 v5, s16, v5
	s_delay_alu instid0(VALU_DEP_2) | instskip(NEXT) | instid1(VALU_DEP_2)
	v_fma_f32 v0, v4, s16, -v7
	v_fmac_f32_e32 v5, s17, v4
	s_delay_alu instid0(VALU_DEP_1)
	v_dual_add_f32 v0, v6, v0 :: v_dual_add_f32 v1, v1, v5
	global_store_b64 v[2:3], v[0:1], off
.LBB1576_11:
	s_nop 0
	s_sendmsg sendmsg(MSG_DEALLOC_VGPRS)
	s_endpgm
	.section	.rodata,"a",@progbits
	.p2align	6, 0x0
	.amdhsa_kernel _ZL37rocblas_syrkx_herkx_restricted_kernelIl19rocblas_complex_numIfELi16ELi32ELi8ELb0ELb0ELc67ELc85EKPKS1_KPS1_EviT_T0_PT8_S7_lSA_S7_lS8_PT9_S7_li
		.amdhsa_group_segment_fixed_size 4096
		.amdhsa_private_segment_fixed_size 0
		.amdhsa_kernarg_size 108
		.amdhsa_user_sgpr_count 13
		.amdhsa_user_sgpr_dispatch_ptr 0
		.amdhsa_user_sgpr_queue_ptr 0
		.amdhsa_user_sgpr_kernarg_segment_ptr 1
		.amdhsa_user_sgpr_dispatch_id 0
		.amdhsa_user_sgpr_private_segment_size 0
		.amdhsa_wavefront_size32 1
		.amdhsa_uses_dynamic_stack 0
		.amdhsa_enable_private_segment 0
		.amdhsa_system_sgpr_workgroup_id_x 1
		.amdhsa_system_sgpr_workgroup_id_y 1
		.amdhsa_system_sgpr_workgroup_id_z 1
		.amdhsa_system_sgpr_workgroup_info 0
		.amdhsa_system_vgpr_workitem_id 1
		.amdhsa_next_free_vgpr 91
		.amdhsa_next_free_sgpr 24
		.amdhsa_reserve_vcc 1
		.amdhsa_float_round_mode_32 0
		.amdhsa_float_round_mode_16_64 0
		.amdhsa_float_denorm_mode_32 3
		.amdhsa_float_denorm_mode_16_64 3
		.amdhsa_dx10_clamp 1
		.amdhsa_ieee_mode 1
		.amdhsa_fp16_overflow 0
		.amdhsa_workgroup_processor_mode 1
		.amdhsa_memory_ordered 1
		.amdhsa_forward_progress 0
		.amdhsa_shared_vgpr_count 0
		.amdhsa_exception_fp_ieee_invalid_op 0
		.amdhsa_exception_fp_denorm_src 0
		.amdhsa_exception_fp_ieee_div_zero 0
		.amdhsa_exception_fp_ieee_overflow 0
		.amdhsa_exception_fp_ieee_underflow 0
		.amdhsa_exception_fp_ieee_inexact 0
		.amdhsa_exception_int_div_zero 0
	.end_amdhsa_kernel
	.section	.text._ZL37rocblas_syrkx_herkx_restricted_kernelIl19rocblas_complex_numIfELi16ELi32ELi8ELb0ELb0ELc67ELc85EKPKS1_KPS1_EviT_T0_PT8_S7_lSA_S7_lS8_PT9_S7_li,"axG",@progbits,_ZL37rocblas_syrkx_herkx_restricted_kernelIl19rocblas_complex_numIfELi16ELi32ELi8ELb0ELb0ELc67ELc85EKPKS1_KPS1_EviT_T0_PT8_S7_lSA_S7_lS8_PT9_S7_li,comdat
.Lfunc_end1576:
	.size	_ZL37rocblas_syrkx_herkx_restricted_kernelIl19rocblas_complex_numIfELi16ELi32ELi8ELb0ELb0ELc67ELc85EKPKS1_KPS1_EviT_T0_PT8_S7_lSA_S7_lS8_PT9_S7_li, .Lfunc_end1576-_ZL37rocblas_syrkx_herkx_restricted_kernelIl19rocblas_complex_numIfELi16ELi32ELi8ELb0ELb0ELc67ELc85EKPKS1_KPS1_EviT_T0_PT8_S7_lSA_S7_lS8_PT9_S7_li
                                        ; -- End function
	.section	.AMDGPU.csdata,"",@progbits
; Kernel info:
; codeLenInByte = 2412
; NumSgprs: 26
; NumVgprs: 91
; ScratchSize: 0
; MemoryBound: 0
; FloatMode: 240
; IeeeMode: 1
; LDSByteSize: 4096 bytes/workgroup (compile time only)
; SGPRBlocks: 3
; VGPRBlocks: 11
; NumSGPRsForWavesPerEU: 26
; NumVGPRsForWavesPerEU: 91
; Occupancy: 16
; WaveLimiterHint : 1
; COMPUTE_PGM_RSRC2:SCRATCH_EN: 0
; COMPUTE_PGM_RSRC2:USER_SGPR: 13
; COMPUTE_PGM_RSRC2:TRAP_HANDLER: 0
; COMPUTE_PGM_RSRC2:TGID_X_EN: 1
; COMPUTE_PGM_RSRC2:TGID_Y_EN: 1
; COMPUTE_PGM_RSRC2:TGID_Z_EN: 1
; COMPUTE_PGM_RSRC2:TIDIG_COMP_CNT: 1
	.section	.text._ZL37rocblas_syrkx_herkx_restricted_kernelIl19rocblas_complex_numIfELi16ELi32ELi8ELb0ELb0ELc78ELc85EKPKS1_KPS1_EviT_T0_PT8_S7_lSA_S7_lS8_PT9_S7_li,"axG",@progbits,_ZL37rocblas_syrkx_herkx_restricted_kernelIl19rocblas_complex_numIfELi16ELi32ELi8ELb0ELb0ELc78ELc85EKPKS1_KPS1_EviT_T0_PT8_S7_lSA_S7_lS8_PT9_S7_li,comdat
	.globl	_ZL37rocblas_syrkx_herkx_restricted_kernelIl19rocblas_complex_numIfELi16ELi32ELi8ELb0ELb0ELc78ELc85EKPKS1_KPS1_EviT_T0_PT8_S7_lSA_S7_lS8_PT9_S7_li ; -- Begin function _ZL37rocblas_syrkx_herkx_restricted_kernelIl19rocblas_complex_numIfELi16ELi32ELi8ELb0ELb0ELc78ELc85EKPKS1_KPS1_EviT_T0_PT8_S7_lSA_S7_lS8_PT9_S7_li
	.p2align	8
	.type	_ZL37rocblas_syrkx_herkx_restricted_kernelIl19rocblas_complex_numIfELi16ELi32ELi8ELb0ELb0ELc78ELc85EKPKS1_KPS1_EviT_T0_PT8_S7_lSA_S7_lS8_PT9_S7_li,@function
_ZL37rocblas_syrkx_herkx_restricted_kernelIl19rocblas_complex_numIfELi16ELi32ELi8ELb0ELb0ELc78ELc85EKPKS1_KPS1_EviT_T0_PT8_S7_lSA_S7_lS8_PT9_S7_li: ; @_ZL37rocblas_syrkx_herkx_restricted_kernelIl19rocblas_complex_numIfELi16ELi32ELi8ELb0ELb0ELc78ELc85EKPKS1_KPS1_EviT_T0_PT8_S7_lSA_S7_lS8_PT9_S7_li
; %bb.0:
	s_clause 0x1
	s_load_b128 s[16:19], s[0:1], 0x48
	s_load_b256 s[4:11], s[0:1], 0x8
	s_mov_b32 s2, s15
	s_mov_b32 s3, 0
	v_dual_mov_b32 v15, 0 :: v_dual_and_b32 v6, 0x3ff, v0
	s_lshl_b64 s[20:21], s[2:3], 3
	v_bfe_u32 v7, v0, 10, 10
	v_dual_mov_b32 v14, 0 :: v_dual_mov_b32 v11, 0
	v_dual_mov_b32 v10, 0 :: v_dual_mov_b32 v9, 0
	;; [unrolled: 1-line block ×3, first 2 shown]
	v_mov_b32_e32 v4, 0
	s_waitcnt lgkmcnt(0)
	s_add_u32 s2, s18, s20
	s_addc_u32 s3, s19, s21
	s_load_b64 s[18:19], s[0:1], 0x58
	s_load_b64 s[2:3], s[2:3], 0x0
	v_cmp_lt_i64_e64 s12, s[4:5], 1
	s_lshl_b32 s22, s13, 5
	s_lshl_b32 s23, s14, 5
	s_delay_alu instid0(VALU_DEP_1)
	s_and_b32 vcc_lo, exec_lo, s12
	s_cbranch_vccnz .LBB1577_3
; %bb.1:
	v_lshl_add_u32 v1, v7, 4, v6
	s_load_b128 s[12:15], s[0:1], 0x30
	v_and_b32_e32 v8, 7, v6
	s_add_u32 s8, s8, s20
	s_addc_u32 s9, s9, s21
	v_dual_mov_b32 v5, 0 :: v_dual_and_b32 v16, 31, v1
	v_lshrrev_b32_e32 v17, 3, v1
	v_lshrrev_b32_e32 v18, 5, v1
	s_load_b64 s[8:9], s[8:9], 0x0
	s_delay_alu instid0(VALU_DEP_3) | instskip(NEXT) | instid1(VALU_DEP_3)
	v_dual_mov_b32 v9, 0 :: v_dual_add_nc_u32 v0, s22, v16
	v_add_nc_u32_e32 v2, s23, v17
	v_lshlrev_b32_e32 v12, 3, v6
	v_lshl_add_u32 v13, v7, 6, 0x800
	s_delay_alu instid0(VALU_DEP_4) | instskip(NEXT) | instid1(VALU_DEP_4)
	v_ashrrev_i32_e32 v1, 31, v0
	v_ashrrev_i32_e32 v3, 31, v2
	s_delay_alu instid0(VALU_DEP_2) | instskip(SKIP_1) | instid1(VALU_DEP_2)
	v_mad_u64_u32 v[10:11], null, v18, s10, v[0:1]
	s_waitcnt lgkmcnt(0)
	v_mad_u64_u32 v[0:1], null, v8, s14, v[2:3]
	s_add_u32 s12, s12, s20
	s_addc_u32 s13, s13, s21
	s_load_b64 s[12:13], s[12:13], 0x0
	s_delay_alu instid0(VALU_DEP_2) | instskip(NEXT) | instid1(VALU_DEP_1)
	v_mov_b32_e32 v2, v11
	v_mad_u64_u32 v[14:15], null, v8, s15, v[1:2]
	v_lshlrev_b32_e32 v1, 3, v8
	v_mad_u64_u32 v[3:4], null, v18, s11, v[2:3]
	v_dual_mov_b32 v4, 0 :: v_dual_lshlrev_b32 v15, 3, v16
	s_delay_alu instid0(VALU_DEP_3) | instskip(SKIP_1) | instid1(VALU_DEP_4)
	v_lshl_or_b32 v17, v17, 6, v1
	v_dual_mov_b32 v1, v14 :: v_dual_mov_b32 v8, 0
	v_mov_b32_e32 v11, v3
	s_delay_alu instid0(VALU_DEP_3) | instskip(NEXT) | instid1(VALU_DEP_3)
	v_add_nc_u32_e32 v17, 0x800, v17
	v_lshlrev_b64 v[0:1], 3, v[0:1]
	v_lshl_or_b32 v16, v18, 8, v15
	v_mov_b32_e32 v15, 0
	v_lshlrev_b64 v[2:3], 3, v[10:11]
	v_mov_b32_e32 v10, 0
	s_delay_alu instid0(VALU_DEP_2) | instskip(NEXT) | instid1(VALU_DEP_3)
	v_add_co_u32 v2, vcc_lo, v2, s8
	v_add_co_ci_u32_e32 v3, vcc_lo, s9, v3, vcc_lo
	s_waitcnt lgkmcnt(0)
	v_add_co_u32 v11, vcc_lo, v0, s12
	v_add_co_ci_u32_e32 v14, vcc_lo, s13, v1, vcc_lo
	v_add_co_u32 v0, vcc_lo, v2, 4
	v_add_co_ci_u32_e32 v1, vcc_lo, 0, v3, vcc_lo
	s_delay_alu instid0(VALU_DEP_4) | instskip(NEXT) | instid1(VALU_DEP_4)
	v_add_co_u32 v2, vcc_lo, v11, 4
	v_add_co_ci_u32_e32 v3, vcc_lo, 0, v14, vcc_lo
	v_dual_mov_b32 v11, 0 :: v_dual_mov_b32 v14, 0
	s_lshl_b64 s[8:9], s[10:11], 6
	s_lshl_b64 s[10:11], s[14:15], 6
	s_mov_b64 s[12:13], 0
.LBB1577_2:                             ; =>This Inner Loop Header: Depth=1
	global_load_b64 v[18:19], v[0:1], off offset:-4
	global_load_b64 v[20:21], v[2:3], off offset:-4
	s_add_u32 s12, s12, 8
	v_add_co_u32 v0, vcc_lo, v0, s8
	s_addc_u32 s13, s13, 0
	v_add_co_ci_u32_e32 v1, vcc_lo, s9, v1, vcc_lo
	v_cmp_ge_u64_e64 s14, s[12:13], s[4:5]
	v_add_co_u32 v2, vcc_lo, v2, s10
	v_add_co_ci_u32_e32 v3, vcc_lo, s11, v3, vcc_lo
	s_waitcnt vmcnt(1)
	ds_store_b64 v16, v[18:19]
	s_waitcnt vmcnt(0)
	ds_store_b64 v17, v[20:21]
	s_waitcnt lgkmcnt(0)
	s_barrier
	buffer_gl0_inv
	ds_load_2addr_b64 v[18:21], v12 offset1:16
	ds_load_b128 v[22:25], v13
	ds_load_b128 v[26:29], v13 offset:1024
	ds_load_b128 v[30:33], v13 offset:16
	;; [unrolled: 1-line block ×4, first 2 shown]
	ds_load_2addr_b64 v[42:45], v12 offset0:32 offset1:48
	ds_load_2addr_b64 v[46:49], v12 offset0:64 offset1:80
	ds_load_b128 v[50:53], v13 offset:1040
	ds_load_2addr_b64 v[54:57], v12 offset0:96 offset1:112
	ds_load_2addr_b64 v[58:61], v12 offset0:128 offset1:144
	;; [unrolled: 1-line block ×4, first 2 shown]
	ds_load_b128 v[70:73], v13 offset:1056
	ds_load_b128 v[74:77], v13 offset:1072
	ds_load_2addr_b64 v[78:81], v12 offset0:224 offset1:240
	s_and_b32 vcc_lo, exec_lo, s14
	s_waitcnt lgkmcnt(0)
	s_barrier
	buffer_gl0_inv
	v_dual_mul_f32 v82, v23, v19 :: v_dual_mul_f32 v85, v22, v21
	v_dual_mul_f32 v83, v22, v19 :: v_dual_mul_f32 v84, v23, v21
	v_mul_f32_e32 v86, v27, v19
	v_dual_mul_f32 v19, v26, v19 :: v_dual_mul_f32 v90, v25, v45
	v_dual_mul_f32 v87, v27, v21 :: v_dual_mul_f32 v88, v25, v43
	v_mul_f32_e32 v21, v26, v21
	v_mul_f32_e32 v89, v24, v43
	;; [unrolled: 1-line block ×3, first 2 shown]
	v_fma_f32 v82, v22, v18, -v82
	v_fmac_f32_e32 v83, v23, v18
	v_fma_f32 v22, v22, v20, -v84
	v_dual_fmac_f32 v85, v23, v20 :: v_dual_mul_f32 v84, v30, v47
	v_fma_f32 v23, v26, v18, -v86
	v_fmac_f32_e32 v19, v27, v18
	v_fma_f32 v18, v26, v20, -v87
	v_dual_mul_f32 v26, v28, v43 :: v_dual_fmac_f32 v21, v27, v20
	v_mul_f32_e32 v20, v29, v43
	v_mul_f32_e32 v27, v29, v45
	v_dual_mul_f32 v43, v28, v45 :: v_dual_fmac_f32 v84, v31, v46
	v_fma_f32 v45, v24, v42, -v88
	v_fma_f32 v24, v24, v44, -v90
	v_dual_fmac_f32 v91, v25, v44 :: v_dual_mul_f32 v90, v32, v57
	v_dual_mul_f32 v86, v31, v49 :: v_dual_fmac_f32 v89, v25, v42
	v_dual_mul_f32 v25, v31, v47 :: v_dual_mul_f32 v88, v33, v57
	v_fma_f32 v20, v28, v42, -v20
	v_fmac_f32_e32 v26, v29, v42
	v_fma_f32 v27, v28, v44, -v27
	v_dual_fmac_f32 v43, v29, v44 :: v_dual_mul_f32 v28, v51, v47
	v_dual_mul_f32 v29, v50, v47 :: v_dual_mul_f32 v42, v51, v49
	v_mul_f32_e32 v44, v50, v49
	v_mul_f32_e32 v87, v30, v49
	;; [unrolled: 1-line block ×3, first 2 shown]
	v_dual_mul_f32 v49, v32, v55 :: v_dual_fmac_f32 v90, v33, v56
	v_fma_f32 v25, v30, v46, -v25
	v_fma_f32 v30, v30, v48, -v86
	;; [unrolled: 1-line block ×3, first 2 shown]
	v_fmac_f32_e32 v44, v51, v48
	v_fmac_f32_e32 v87, v31, v48
	v_fma_f32 v31, v50, v48, -v42
	v_mul_f32_e32 v42, v53, v55
	v_mul_f32_e32 v48, v53, v57
	v_dual_mul_f32 v50, v52, v57 :: v_dual_fmac_f32 v29, v51, v46
	v_mul_f32_e32 v46, v52, v55
	v_fma_f32 v47, v32, v54, -v47
	v_fmac_f32_e32 v49, v33, v54
	v_fma_f32 v32, v32, v56, -v88
	s_delay_alu instid0(VALU_DEP_4)
	v_dual_mul_f32 v33, v35, v59 :: v_dual_fmac_f32 v46, v53, v54
	v_mul_f32_e32 v51, v34, v59
	v_mul_f32_e32 v55, v35, v61
	v_fma_f32 v42, v52, v54, -v42
	v_fma_f32 v48, v52, v56, -v48
	v_fmac_f32_e32 v50, v53, v56
	v_mul_f32_e32 v52, v71, v59
	v_dual_mul_f32 v53, v70, v59 :: v_dual_mul_f32 v86, v37, v65
	v_mul_f32_e32 v54, v71, v61
	v_dual_mul_f32 v56, v70, v61 :: v_dual_mul_f32 v59, v37, v63
	v_mul_f32_e32 v57, v34, v61
	v_mul_f32_e32 v61, v36, v63
	v_dual_mul_f32 v88, v36, v65 :: v_dual_fmac_f32 v51, v35, v58
	v_fma_f32 v33, v34, v58, -v33
	v_fmac_f32_e32 v53, v71, v58
	v_fmac_f32_e32 v56, v71, v60
	s_delay_alu instid0(VALU_DEP_4)
	v_fmac_f32_e32 v88, v37, v64
	v_fmac_f32_e32 v57, v35, v60
	v_fma_f32 v35, v70, v58, -v52
	v_fma_f32 v52, v70, v60, -v54
	v_mul_f32_e32 v54, v73, v63
	v_fma_f32 v34, v34, v60, -v55
	v_mul_f32_e32 v60, v72, v65
	v_dual_mul_f32 v55, v72, v63 :: v_dual_mul_f32 v70, v38, v69
	v_mul_f32_e32 v58, v73, v65
	v_fma_f32 v59, v36, v62, -v59
	v_fmac_f32_e32 v61, v37, v62
	v_fma_f32 v36, v36, v64, -v86
	v_dual_mul_f32 v37, v39, v67 :: v_dual_fmac_f32 v60, v73, v64
	v_dual_mul_f32 v63, v38, v67 :: v_dual_mul_f32 v86, v40, v81
	v_mul_f32_e32 v65, v39, v69
	v_fma_f32 v54, v72, v62, -v54
	v_fmac_f32_e32 v55, v73, v62
	v_fma_f32 v58, v72, v64, -v58
	v_mul_f32_e32 v72, v40, v79
	v_mul_f32_e32 v62, v75, v67
	v_dual_mul_f32 v64, v74, v67 :: v_dual_mul_f32 v67, v75, v69
	v_dual_mul_f32 v69, v74, v69 :: v_dual_fmac_f32 v70, v39, v68
	s_delay_alu instid0(VALU_DEP_2)
	v_dual_mul_f32 v71, v41, v79 :: v_dual_fmac_f32 v64, v75, v66
	v_fma_f32 v37, v38, v66, -v37
	v_fmac_f32_e32 v63, v39, v66
	v_fma_f32 v38, v38, v68, -v65
	v_fma_f32 v39, v74, v66, -v62
	v_dual_fmac_f32 v69, v75, v68 :: v_dual_fmac_f32 v72, v41, v78
	v_mul_f32_e32 v66, v76, v79
	v_fma_f32 v62, v74, v68, -v67
	v_mul_f32_e32 v68, v76, v81
	v_dual_mul_f32 v73, v41, v81 :: v_dual_add_f32 v14, v14, v82
	v_dual_mul_f32 v65, v77, v79 :: v_dual_add_f32 v10, v10, v85
	;; [unrolled: 1-line block ×3, first 2 shown]
	v_dual_fmac_f32 v86, v41, v80 :: v_dual_add_f32 v15, v15, v83
	v_dual_fmac_f32 v68, v77, v80 :: v_dual_add_f32 v11, v11, v22
	v_dual_add_f32 v9, v9, v19 :: v_dual_add_f32 v4, v4, v21
	v_dual_add_f32 v5, v5, v18 :: v_dual_add_f32 v14, v14, v45
	s_delay_alu instid0(VALU_DEP_4) | instskip(NEXT) | instid1(VALU_DEP_4)
	v_dual_fmac_f32 v66, v77, v78 :: v_dual_add_f32 v15, v15, v89
	v_dual_add_f32 v11, v11, v24 :: v_dual_add_f32 v10, v10, v91
	s_delay_alu instid0(VALU_DEP_4) | instskip(NEXT) | instid1(VALU_DEP_4)
	v_dual_add_f32 v8, v8, v20 :: v_dual_add_f32 v9, v9, v26
	v_dual_add_f32 v5, v5, v27 :: v_dual_add_f32 v14, v14, v25
	s_delay_alu instid0(VALU_DEP_4) | instskip(NEXT) | instid1(VALU_DEP_4)
	v_dual_add_f32 v4, v4, v43 :: v_dual_add_f32 v15, v15, v84
	v_dual_add_f32 v11, v11, v30 :: v_dual_add_f32 v10, v10, v87
	s_delay_alu instid0(VALU_DEP_4) | instskip(NEXT) | instid1(VALU_DEP_3)
	v_dual_add_f32 v8, v8, v28 :: v_dual_add_f32 v9, v9, v29
	v_dual_add_f32 v5, v5, v31 :: v_dual_add_f32 v4, v4, v44
	s_delay_alu instid0(VALU_DEP_4) | instskip(NEXT) | instid1(VALU_DEP_4)
	v_dual_add_f32 v14, v14, v47 :: v_dual_add_f32 v15, v15, v49
	v_dual_add_f32 v11, v11, v32 :: v_dual_add_f32 v10, v10, v90
	s_delay_alu instid0(VALU_DEP_3) | instskip(NEXT) | instid1(VALU_DEP_3)
	v_dual_add_f32 v8, v8, v42 :: v_dual_add_f32 v5, v5, v48
	v_dual_add_f32 v9, v9, v46 :: v_dual_add_f32 v14, v14, v33
	s_delay_alu instid0(VALU_DEP_4) | instskip(NEXT) | instid1(VALU_DEP_4)
	v_dual_add_f32 v4, v4, v50 :: v_dual_add_f32 v15, v15, v51
	v_dual_add_f32 v11, v11, v34 :: v_dual_add_f32 v10, v10, v57
	s_delay_alu instid0(VALU_DEP_3) | instskip(NEXT) | instid1(VALU_DEP_4)
	v_dual_add_f32 v8, v8, v35 :: v_dual_add_f32 v9, v9, v53
	v_dual_add_f32 v5, v5, v52 :: v_dual_add_f32 v14, v14, v59
	s_delay_alu instid0(VALU_DEP_4) | instskip(NEXT) | instid1(VALU_DEP_3)
	v_dual_add_f32 v4, v4, v56 :: v_dual_add_f32 v15, v15, v61
	v_dual_add_f32 v11, v11, v36 :: v_dual_add_f32 v8, v8, v54
	s_delay_alu instid0(VALU_DEP_4) | instskip(NEXT) | instid1(VALU_DEP_3)
	v_dual_add_f32 v10, v10, v88 :: v_dual_add_f32 v9, v9, v55
	v_dual_add_f32 v5, v5, v58 :: v_dual_add_f32 v4, v4, v60
	v_fma_f32 v71, v40, v78, -v71
	v_fma_f32 v40, v40, v80, -v73
	;; [unrolled: 1-line block ×4, first 2 shown]
	v_dual_add_f32 v14, v14, v37 :: v_dual_add_f32 v15, v15, v63
	v_dual_add_f32 v11, v11, v38 :: v_dual_add_f32 v8, v8, v39
	;; [unrolled: 1-line block ×4, first 2 shown]
	s_delay_alu instid0(VALU_DEP_4) | instskip(NEXT) | instid1(VALU_DEP_3)
	v_dual_add_f32 v14, v14, v71 :: v_dual_add_f32 v15, v15, v72
	v_dual_add_f32 v11, v11, v40 :: v_dual_add_f32 v10, v10, v86
	s_delay_alu instid0(VALU_DEP_4) | instskip(NEXT) | instid1(VALU_DEP_4)
	v_dual_add_f32 v8, v8, v41 :: v_dual_add_f32 v9, v9, v66
	v_dual_add_f32 v5, v5, v65 :: v_dual_add_f32 v4, v4, v68
	s_cbranch_vccz .LBB1577_2
.LBB1577_3:
	v_add_nc_u32_e32 v7, s23, v7
	s_load_b32 s4, s[0:1], 0x0
	s_delay_alu instid0(VALU_DEP_1) | instskip(SKIP_3) | instid1(VALU_DEP_3)
	v_ashrrev_i32_e32 v0, 31, v7
	s_waitcnt lgkmcnt(0)
	v_mul_lo_u32 v3, v7, s19
	v_mad_u64_u32 v[1:2], null, v7, s18, 0
	v_mul_lo_u32 v0, v0, s18
	s_delay_alu instid0(VALU_DEP_1) | instskip(SKIP_2) | instid1(VALU_DEP_3)
	v_add3_u32 v2, v2, v3, v0
	v_add_nc_u32_e32 v0, s22, v6
	v_cmp_gt_i32_e32 vcc_lo, s4, v7
	v_lshlrev_b64 v[1:2], 3, v[1:2]
	s_delay_alu instid0(VALU_DEP_3) | instskip(NEXT) | instid1(VALU_DEP_1)
	v_cmp_le_i32_e64 s0, v0, v7
	s_and_b32 s0, vcc_lo, s0
	s_delay_alu instid0(VALU_DEP_2) | instskip(NEXT) | instid1(VALU_DEP_1)
	v_add_co_u32 v6, s1, s2, v1
	v_add_co_ci_u32_e64 v12, s1, s3, v2, s1
	s_and_saveexec_b32 s1, s0
	s_cbranch_execz .LBB1577_5
; %bb.4:
	v_ashrrev_i32_e32 v1, 31, v0
	s_delay_alu instid0(VALU_DEP_1) | instskip(NEXT) | instid1(VALU_DEP_1)
	v_lshlrev_b64 v[1:2], 3, v[0:1]
	v_add_co_u32 v1, s0, v6, v1
	s_delay_alu instid0(VALU_DEP_1) | instskip(SKIP_4) | instid1(VALU_DEP_2)
	v_add_co_ci_u32_e64 v2, s0, v12, v2, s0
	global_load_b64 v[16:17], v[1:2], off
	s_waitcnt vmcnt(0)
	v_mul_f32_e32 v13, s17, v17
	v_mul_f32_e32 v17, s16, v17
	v_fma_f32 v13, v16, s16, -v13
	s_delay_alu instid0(VALU_DEP_2) | instskip(SKIP_2) | instid1(VALU_DEP_2)
	v_fmac_f32_e32 v17, s17, v16
	v_mul_f32_e32 v3, s7, v15
	v_mul_f32_e32 v15, s6, v15
	v_fma_f32 v3, v14, s6, -v3
	s_delay_alu instid0(VALU_DEP_2) | instskip(NEXT) | instid1(VALU_DEP_2)
	v_fmac_f32_e32 v15, s7, v14
	v_add_f32_e32 v13, v3, v13
	s_delay_alu instid0(VALU_DEP_2)
	v_add_f32_e32 v14, v15, v17
	global_store_b64 v[1:2], v[13:14], off
.LBB1577_5:
	s_or_b32 exec_lo, exec_lo, s1
	v_add_nc_u32_e32 v2, 16, v0
	s_delay_alu instid0(VALU_DEP_1) | instskip(NEXT) | instid1(VALU_DEP_1)
	v_cmp_le_i32_e64 s0, v2, v7
	s_and_b32 s1, vcc_lo, s0
	s_delay_alu instid0(SALU_CYCLE_1)
	s_and_saveexec_b32 s0, s1
	s_cbranch_execz .LBB1577_7
; %bb.6:
	v_ashrrev_i32_e32 v3, 31, v2
	s_delay_alu instid0(VALU_DEP_1) | instskip(NEXT) | instid1(VALU_DEP_1)
	v_lshlrev_b64 v[13:14], 3, v[2:3]
	v_add_co_u32 v13, vcc_lo, v6, v13
	s_delay_alu instid0(VALU_DEP_2)
	v_add_co_ci_u32_e32 v14, vcc_lo, v12, v14, vcc_lo
	global_load_b64 v[15:16], v[13:14], off
	v_mul_f32_e32 v1, s7, v10
	s_waitcnt vmcnt(0)
	v_dual_mul_f32 v3, s6, v10 :: v_dual_mul_f32 v12, s16, v16
	v_mul_f32_e32 v6, s17, v16
	s_delay_alu instid0(VALU_DEP_3) | instskip(NEXT) | instid1(VALU_DEP_3)
	v_fma_f32 v1, v11, s6, -v1
	v_fmac_f32_e32 v12, s17, v15
	s_delay_alu instid0(VALU_DEP_3) | instskip(NEXT) | instid1(VALU_DEP_1)
	v_fma_f32 v6, v15, s16, -v6
	v_dual_fmac_f32 v3, s7, v11 :: v_dual_add_f32 v10, v1, v6
	s_delay_alu instid0(VALU_DEP_1)
	v_add_f32_e32 v11, v3, v12
	global_store_b64 v[13:14], v[10:11], off
.LBB1577_7:
	s_or_b32 exec_lo, exec_lo, s0
	v_add_nc_u32_e32 v3, 16, v7
	s_delay_alu instid0(VALU_DEP_1) | instskip(SKIP_3) | instid1(VALU_DEP_4)
	v_ashrrev_i32_e32 v1, 31, v3
	v_mul_lo_u32 v10, v3, s19
	v_mad_u64_u32 v[6:7], null, v3, s18, 0
	v_cmp_gt_i32_e32 vcc_lo, s4, v3
	v_mul_lo_u32 v1, v1, s18
	v_cmp_le_i32_e64 s0, v0, v3
	s_delay_alu instid0(VALU_DEP_1) | instskip(NEXT) | instid1(VALU_DEP_2)
	s_and_b32 s0, vcc_lo, s0
	v_add3_u32 v7, v7, v10, v1
	s_delay_alu instid0(VALU_DEP_1) | instskip(NEXT) | instid1(VALU_DEP_1)
	v_lshlrev_b64 v[6:7], 3, v[6:7]
	v_add_co_u32 v6, s1, s2, v6
	s_delay_alu instid0(VALU_DEP_1)
	v_add_co_ci_u32_e64 v7, s1, s3, v7, s1
	s_and_saveexec_b32 s1, s0
	s_cbranch_execz .LBB1577_9
; %bb.8:
	v_ashrrev_i32_e32 v1, 31, v0
	s_delay_alu instid0(VALU_DEP_1) | instskip(NEXT) | instid1(VALU_DEP_1)
	v_lshlrev_b64 v[0:1], 3, v[0:1]
	v_add_co_u32 v0, s0, v6, v0
	s_delay_alu instid0(VALU_DEP_1) | instskip(SKIP_4) | instid1(VALU_DEP_2)
	v_add_co_ci_u32_e64 v1, s0, v7, v1, s0
	global_load_b64 v[10:11], v[0:1], off
	s_waitcnt vmcnt(0)
	v_dual_mul_f32 v12, s7, v9 :: v_dual_mul_f32 v13, s17, v11
	v_mul_f32_e32 v11, s16, v11
	v_fma_f32 v12, v8, s6, -v12
	v_mul_f32_e32 v9, s6, v9
	s_delay_alu instid0(VALU_DEP_3) | instskip(NEXT) | instid1(VALU_DEP_2)
	v_fmac_f32_e32 v11, s17, v10
	v_fmac_f32_e32 v9, s7, v8
	v_fma_f32 v8, v10, s16, -v13
	s_delay_alu instid0(VALU_DEP_1)
	v_dual_add_f32 v9, v9, v11 :: v_dual_add_f32 v8, v12, v8
	global_store_b64 v[0:1], v[8:9], off
.LBB1577_9:
	s_or_b32 exec_lo, exec_lo, s1
	v_cmp_le_i32_e64 s0, v2, v3
	s_delay_alu instid0(VALU_DEP_1) | instskip(NEXT) | instid1(SALU_CYCLE_1)
	s_and_b32 s0, vcc_lo, s0
	s_and_saveexec_b32 s1, s0
	s_cbranch_execz .LBB1577_11
; %bb.10:
	v_ashrrev_i32_e32 v3, 31, v2
	s_delay_alu instid0(VALU_DEP_1) | instskip(NEXT) | instid1(VALU_DEP_1)
	v_lshlrev_b64 v[0:1], 3, v[2:3]
	v_add_co_u32 v0, vcc_lo, v6, v0
	s_delay_alu instid0(VALU_DEP_2)
	v_add_co_ci_u32_e32 v1, vcc_lo, v7, v1, vcc_lo
	global_load_b64 v[2:3], v[0:1], off
	v_mul_f32_e32 v6, s7, v4
	s_waitcnt vmcnt(0)
	v_dual_mul_f32 v4, s6, v4 :: v_dual_mul_f32 v7, s17, v3
	v_mul_f32_e32 v3, s16, v3
	s_delay_alu instid0(VALU_DEP_3) | instskip(NEXT) | instid1(VALU_DEP_3)
	v_fma_f32 v6, v5, s6, -v6
	v_fmac_f32_e32 v4, s7, v5
	s_delay_alu instid0(VALU_DEP_4) | instskip(NEXT) | instid1(VALU_DEP_1)
	v_fma_f32 v5, v2, s16, -v7
	v_dual_fmac_f32 v3, s17, v2 :: v_dual_add_f32 v2, v6, v5
	s_delay_alu instid0(VALU_DEP_1)
	v_add_f32_e32 v3, v4, v3
	global_store_b64 v[0:1], v[2:3], off
.LBB1577_11:
	s_nop 0
	s_sendmsg sendmsg(MSG_DEALLOC_VGPRS)
	s_endpgm
	.section	.rodata,"a",@progbits
	.p2align	6, 0x0
	.amdhsa_kernel _ZL37rocblas_syrkx_herkx_restricted_kernelIl19rocblas_complex_numIfELi16ELi32ELi8ELb0ELb0ELc78ELc85EKPKS1_KPS1_EviT_T0_PT8_S7_lSA_S7_lS8_PT9_S7_li
		.amdhsa_group_segment_fixed_size 4096
		.amdhsa_private_segment_fixed_size 0
		.amdhsa_kernarg_size 108
		.amdhsa_user_sgpr_count 13
		.amdhsa_user_sgpr_dispatch_ptr 0
		.amdhsa_user_sgpr_queue_ptr 0
		.amdhsa_user_sgpr_kernarg_segment_ptr 1
		.amdhsa_user_sgpr_dispatch_id 0
		.amdhsa_user_sgpr_private_segment_size 0
		.amdhsa_wavefront_size32 1
		.amdhsa_uses_dynamic_stack 0
		.amdhsa_enable_private_segment 0
		.amdhsa_system_sgpr_workgroup_id_x 1
		.amdhsa_system_sgpr_workgroup_id_y 1
		.amdhsa_system_sgpr_workgroup_id_z 1
		.amdhsa_system_sgpr_workgroup_info 0
		.amdhsa_system_vgpr_workitem_id 1
		.amdhsa_next_free_vgpr 92
		.amdhsa_next_free_sgpr 24
		.amdhsa_reserve_vcc 1
		.amdhsa_float_round_mode_32 0
		.amdhsa_float_round_mode_16_64 0
		.amdhsa_float_denorm_mode_32 3
		.amdhsa_float_denorm_mode_16_64 3
		.amdhsa_dx10_clamp 1
		.amdhsa_ieee_mode 1
		.amdhsa_fp16_overflow 0
		.amdhsa_workgroup_processor_mode 1
		.amdhsa_memory_ordered 1
		.amdhsa_forward_progress 0
		.amdhsa_shared_vgpr_count 0
		.amdhsa_exception_fp_ieee_invalid_op 0
		.amdhsa_exception_fp_denorm_src 0
		.amdhsa_exception_fp_ieee_div_zero 0
		.amdhsa_exception_fp_ieee_overflow 0
		.amdhsa_exception_fp_ieee_underflow 0
		.amdhsa_exception_fp_ieee_inexact 0
		.amdhsa_exception_int_div_zero 0
	.end_amdhsa_kernel
	.section	.text._ZL37rocblas_syrkx_herkx_restricted_kernelIl19rocblas_complex_numIfELi16ELi32ELi8ELb0ELb0ELc78ELc85EKPKS1_KPS1_EviT_T0_PT8_S7_lSA_S7_lS8_PT9_S7_li,"axG",@progbits,_ZL37rocblas_syrkx_herkx_restricted_kernelIl19rocblas_complex_numIfELi16ELi32ELi8ELb0ELb0ELc78ELc85EKPKS1_KPS1_EviT_T0_PT8_S7_lSA_S7_lS8_PT9_S7_li,comdat
.Lfunc_end1577:
	.size	_ZL37rocblas_syrkx_herkx_restricted_kernelIl19rocblas_complex_numIfELi16ELi32ELi8ELb0ELb0ELc78ELc85EKPKS1_KPS1_EviT_T0_PT8_S7_lSA_S7_lS8_PT9_S7_li, .Lfunc_end1577-_ZL37rocblas_syrkx_herkx_restricted_kernelIl19rocblas_complex_numIfELi16ELi32ELi8ELb0ELb0ELc78ELc85EKPKS1_KPS1_EviT_T0_PT8_S7_lSA_S7_lS8_PT9_S7_li
                                        ; -- End function
	.section	.AMDGPU.csdata,"",@progbits
; Kernel info:
; codeLenInByte = 2416
; NumSgprs: 26
; NumVgprs: 92
; ScratchSize: 0
; MemoryBound: 0
; FloatMode: 240
; IeeeMode: 1
; LDSByteSize: 4096 bytes/workgroup (compile time only)
; SGPRBlocks: 3
; VGPRBlocks: 11
; NumSGPRsForWavesPerEU: 26
; NumVGPRsForWavesPerEU: 92
; Occupancy: 16
; WaveLimiterHint : 1
; COMPUTE_PGM_RSRC2:SCRATCH_EN: 0
; COMPUTE_PGM_RSRC2:USER_SGPR: 13
; COMPUTE_PGM_RSRC2:TRAP_HANDLER: 0
; COMPUTE_PGM_RSRC2:TGID_X_EN: 1
; COMPUTE_PGM_RSRC2:TGID_Y_EN: 1
; COMPUTE_PGM_RSRC2:TGID_Z_EN: 1
; COMPUTE_PGM_RSRC2:TIDIG_COMP_CNT: 1
	.section	.text._ZL41rocblas_syrkx_herkx_small_restrict_kernelIl19rocblas_complex_numIfELi16ELb1ELb0ELc84ELc76EKPKS1_KPS1_EviT_T0_PT6_S7_lSA_S7_lS8_PT7_S7_li,"axG",@progbits,_ZL41rocblas_syrkx_herkx_small_restrict_kernelIl19rocblas_complex_numIfELi16ELb1ELb0ELc84ELc76EKPKS1_KPS1_EviT_T0_PT6_S7_lSA_S7_lS8_PT7_S7_li,comdat
	.globl	_ZL41rocblas_syrkx_herkx_small_restrict_kernelIl19rocblas_complex_numIfELi16ELb1ELb0ELc84ELc76EKPKS1_KPS1_EviT_T0_PT6_S7_lSA_S7_lS8_PT7_S7_li ; -- Begin function _ZL41rocblas_syrkx_herkx_small_restrict_kernelIl19rocblas_complex_numIfELi16ELb1ELb0ELc84ELc76EKPKS1_KPS1_EviT_T0_PT6_S7_lSA_S7_lS8_PT7_S7_li
	.p2align	8
	.type	_ZL41rocblas_syrkx_herkx_small_restrict_kernelIl19rocblas_complex_numIfELi16ELb1ELb0ELc84ELc76EKPKS1_KPS1_EviT_T0_PT6_S7_lSA_S7_lS8_PT7_S7_li,@function
_ZL41rocblas_syrkx_herkx_small_restrict_kernelIl19rocblas_complex_numIfELi16ELb1ELb0ELc84ELc76EKPKS1_KPS1_EviT_T0_PT6_S7_lSA_S7_lS8_PT7_S7_li: ; @_ZL41rocblas_syrkx_herkx_small_restrict_kernelIl19rocblas_complex_numIfELi16ELb1ELb0ELc84ELc76EKPKS1_KPS1_EviT_T0_PT6_S7_lSA_S7_lS8_PT7_S7_li
; %bb.0:
	s_clause 0x1
	s_load_b128 s[16:19], s[0:1], 0x50
	s_load_b256 s[4:11], s[0:1], 0x8
	s_mov_b32 s2, s15
	s_mov_b32 s3, 0
	v_dual_mov_b32 v13, 0 :: v_dual_and_b32 v2, 0x3ff, v0
	s_lshl_b64 s[20:21], s[2:3], 3
	v_bfe_u32 v3, v0, 10, 10
	v_mov_b32_e32 v12, 0
	s_delay_alu instid0(VALU_DEP_3) | instskip(NEXT) | instid1(VALU_DEP_3)
	v_lshl_add_u32 v0, s13, 4, v2
	v_lshl_add_u32 v6, s14, 4, v3
	s_delay_alu instid0(VALU_DEP_2) | instskip(NEXT) | instid1(VALU_DEP_2)
	v_ashrrev_i32_e32 v1, 31, v0
	v_ashrrev_i32_e32 v7, 31, v6
	s_waitcnt lgkmcnt(0)
	s_add_u32 s2, s16, s20
	s_addc_u32 s3, s17, s21
	v_cmp_lt_i64_e64 s12, s[4:5], 1
	s_load_b64 s[2:3], s[2:3], 0x0
	s_delay_alu instid0(VALU_DEP_1)
	s_and_b32 vcc_lo, exec_lo, s12
	s_cbranch_vccnz .LBB1578_3
; %bb.1:
	s_load_b128 s[12:15], s[0:1], 0x30
	v_mul_lo_u32 v10, v0, s11
	v_mul_lo_u32 v11, v1, s10
	v_mad_u64_u32 v[4:5], null, v0, s10, 0
	v_lshlrev_b32_e32 v8, 3, v2
	v_lshlrev_b32_e32 v17, 3, v3
	;; [unrolled: 1-line block ×3, first 2 shown]
	s_delay_alu instid0(VALU_DEP_4) | instskip(NEXT) | instid1(VALU_DEP_1)
	v_add3_u32 v5, v5, v10, v11
	v_lshlrev_b64 v[4:5], 3, v[4:5]
	s_waitcnt lgkmcnt(0)
	s_add_u32 s0, s12, s20
	s_addc_u32 s1, s13, s21
	s_add_u32 s8, s8, s20
	s_load_b64 s[0:1], s[0:1], 0x0
	s_addc_u32 s9, s9, s21
	v_mul_lo_u32 v12, v6, s15
	s_load_b64 s[8:9], s[8:9], 0x0
	v_mul_lo_u32 v15, v7, s14
	v_mad_u64_u32 v[13:14], null, v6, s14, 0
	s_delay_alu instid0(VALU_DEP_1) | instskip(SKIP_1) | instid1(VALU_DEP_2)
	v_add3_u32 v14, v14, v12, v15
	v_mov_b32_e32 v12, 0
	v_lshlrev_b64 v[2:3], 3, v[13:14]
	s_waitcnt lgkmcnt(0)
	v_add_co_u32 v13, s0, s0, v8
	s_delay_alu instid0(VALU_DEP_1) | instskip(SKIP_1) | instid1(VALU_DEP_3)
	v_add_co_ci_u32_e64 v14, null, s1, 0, s0
	v_add_co_u32 v15, s0, s8, v17
	v_add_co_u32 v2, vcc_lo, v13, v2
	v_mov_b32_e32 v13, 0
	v_add_nc_u32_e32 v9, 0x800, v16
	v_add_nc_u32_e32 v10, v8, v16
	v_add_co_ci_u32_e64 v16, null, s9, 0, s0
	v_add_co_ci_u32_e32 v3, vcc_lo, v14, v3, vcc_lo
	v_add_co_u32 v4, vcc_lo, v15, v4
	v_add_nc_u32_e32 v11, v9, v8
	s_delay_alu instid0(VALU_DEP_4)
	v_add_co_ci_u32_e32 v5, vcc_lo, v16, v5, vcc_lo
	s_mov_b64 s[0:1], 0
.LBB1578_2:                             ; =>This Inner Loop Header: Depth=1
	global_load_b64 v[14:15], v[4:5], off
	global_load_b64 v[16:17], v[2:3], off
	s_add_u32 s0, s0, 16
	v_add_co_u32 v2, vcc_lo, 0x80, v2
	s_addc_u32 s1, s1, 0
	v_add_co_ci_u32_e32 v3, vcc_lo, 0, v3, vcc_lo
	v_cmp_lt_i64_e64 s8, s[0:1], s[4:5]
	v_add_co_u32 v4, vcc_lo, 0x80, v4
	v_add_co_ci_u32_e32 v5, vcc_lo, 0, v5, vcc_lo
	s_waitcnt vmcnt(1)
	ds_store_b64 v10, v[14:15]
	s_waitcnt vmcnt(0)
	ds_store_b64 v11, v[16:17]
	s_waitcnt lgkmcnt(0)
	s_barrier
	buffer_gl0_inv
	ds_load_2addr_b64 v[14:17], v8 offset1:16
	ds_load_b128 v[18:21], v9
	ds_load_b128 v[22:25], v9 offset:16
	ds_load_2addr_b64 v[26:29], v8 offset0:32 offset1:48
	ds_load_2addr_b64 v[30:33], v8 offset0:64 offset1:80
	ds_load_b128 v[34:37], v9 offset:32
	ds_load_b128 v[38:41], v9 offset:48
	ds_load_2addr_b64 v[42:45], v8 offset0:96 offset1:112
	ds_load_2addr_b64 v[46:49], v8 offset0:128 offset1:144
	ds_load_2addr_b64 v[50:53], v8 offset0:160 offset1:176
	ds_load_b128 v[54:57], v9 offset:64
	ds_load_b128 v[58:61], v9 offset:80
	ds_load_2addr_b64 v[62:65], v8 offset0:192 offset1:208
	ds_load_2addr_b64 v[66:69], v8 offset0:224 offset1:240
	ds_load_b128 v[70:73], v9 offset:96
	ds_load_b128 v[74:77], v9 offset:112
	s_and_b32 vcc_lo, exec_lo, s8
	s_waitcnt lgkmcnt(0)
	s_barrier
	buffer_gl0_inv
	v_dual_mul_f32 v78, v19, v15 :: v_dual_mul_f32 v79, v21, v17
	v_mul_f32_e32 v15, v18, v15
	v_dual_mul_f32 v17, v20, v17 :: v_dual_mul_f32 v80, v23, v27
	v_mul_f32_e32 v27, v22, v27
	s_delay_alu instid0(VALU_DEP_4) | instskip(SKIP_1) | instid1(VALU_DEP_4)
	v_fma_f32 v18, v18, v14, -v78
	v_dual_mul_f32 v81, v25, v29 :: v_dual_mul_f32 v82, v35, v31
	v_fmac_f32_e32 v17, v21, v16
	s_delay_alu instid0(VALU_DEP_4) | instskip(SKIP_4) | instid1(VALU_DEP_4)
	v_fmac_f32_e32 v27, v23, v26
	v_fmac_f32_e32 v15, v19, v14
	v_mul_f32_e32 v85, v41, v45
	v_dual_mul_f32 v29, v24, v29 :: v_dual_mul_f32 v84, v39, v43
	v_mul_f32_e32 v45, v40, v45
	v_add_f32_e32 v12, v12, v15
	v_mul_f32_e32 v31, v34, v31
	v_dual_add_f32 v13, v13, v18 :: v_dual_mul_f32 v18, v74, v67
	v_mul_f32_e32 v19, v56, v49
	s_delay_alu instid0(VALU_DEP_4) | instskip(SKIP_1) | instid1(VALU_DEP_3)
	v_add_f32_e32 v12, v12, v17
	v_dual_mul_f32 v83, v37, v33 :: v_dual_mul_f32 v86, v55, v47
	v_dual_fmac_f32 v18, v75, v66 :: v_dual_fmac_f32 v19, v57, v48
	s_delay_alu instid0(VALU_DEP_3) | instskip(SKIP_3) | instid1(VALU_DEP_4)
	v_dual_fmac_f32 v29, v25, v28 :: v_dual_add_f32 v12, v12, v27
	v_mul_f32_e32 v33, v36, v33
	v_mul_f32_e32 v47, v54, v47
	v_fmac_f32_e32 v31, v35, v30
	v_dual_mul_f32 v43, v38, v43 :: v_dual_add_f32 v12, v12, v29
	v_fma_f32 v14, v20, v16, -v79
	v_dual_mul_f32 v20, v59, v51 :: v_dual_fmac_f32 v33, v37, v32
	v_mul_f32_e32 v16, v57, v49
	s_delay_alu instid0(VALU_DEP_4) | instskip(SKIP_3) | instid1(VALU_DEP_4)
	v_add_f32_e32 v12, v12, v31
	v_mul_f32_e32 v21, v58, v51
	v_add_f32_e32 v13, v13, v14
	v_dual_mul_f32 v14, v77, v69 :: v_dual_fmac_f32 v43, v39, v42
	v_add_f32_e32 v12, v12, v33
	v_mul_f32_e32 v49, v61, v53
	v_fmac_f32_e32 v45, v41, v44
	v_mul_f32_e32 v51, v60, v53
	s_delay_alu instid0(VALU_DEP_4) | instskip(SKIP_2) | instid1(VALU_DEP_4)
	v_dual_fmac_f32 v47, v55, v46 :: v_dual_add_f32 v12, v12, v43
	v_mul_f32_e32 v53, v71, v63
	v_fmac_f32_e32 v21, v59, v50
	v_fmac_f32_e32 v51, v61, v52
	v_mul_f32_e32 v25, v72, v65
	v_add_f32_e32 v12, v12, v45
	v_fma_f32 v22, v22, v26, -v80
	v_mul_f32_e32 v17, v76, v69
	v_fma_f32 v23, v24, v28, -v81
	s_delay_alu instid0(VALU_DEP_4) | instskip(SKIP_1) | instid1(VALU_DEP_4)
	v_dual_fmac_f32 v25, v73, v64 :: v_dual_add_f32 v12, v12, v47
	v_fma_f32 v16, v56, v48, -v16
	v_fmac_f32_e32 v17, v77, v68
	v_fma_f32 v20, v58, v50, -v20
	v_mul_f32_e32 v24, v73, v65
	v_add_f32_e32 v12, v12, v19
	v_mul_f32_e32 v63, v70, v63
	v_fma_f32 v19, v70, v62, -v53
	v_fma_f32 v14, v76, v68, -v14
	s_delay_alu instid0(VALU_DEP_3) | instskip(NEXT) | instid1(VALU_DEP_1)
	v_dual_add_f32 v12, v12, v21 :: v_dual_fmac_f32 v63, v71, v62
	v_add_f32_e32 v12, v12, v51
	s_delay_alu instid0(VALU_DEP_1) | instskip(NEXT) | instid1(VALU_DEP_1)
	v_add_f32_e32 v12, v12, v63
	v_dual_mul_f32 v15, v75, v67 :: v_dual_add_f32 v12, v12, v25
	s_delay_alu instid0(VALU_DEP_1) | instskip(NEXT) | instid1(VALU_DEP_2)
	v_fma_f32 v15, v74, v66, -v15
	v_add_f32_e32 v12, v12, v18
	v_add_f32_e32 v13, v13, v22
	v_fma_f32 v22, v34, v30, -v82
	s_delay_alu instid0(VALU_DEP_2) | instskip(SKIP_1) | instid1(VALU_DEP_2)
	v_dual_add_f32 v12, v12, v17 :: v_dual_add_f32 v13, v13, v23
	v_fma_f32 v23, v36, v32, -v83
	v_add_f32_e32 v13, v13, v22
	v_fma_f32 v22, v38, v42, -v84
	s_delay_alu instid0(VALU_DEP_2) | instskip(SKIP_1) | instid1(VALU_DEP_2)
	v_add_f32_e32 v13, v13, v23
	v_fma_f32 v23, v40, v44, -v85
	v_add_f32_e32 v13, v13, v22
	v_fma_f32 v22, v54, v46, -v86
	s_delay_alu instid0(VALU_DEP_2) | instskip(NEXT) | instid1(VALU_DEP_1)
	v_add_f32_e32 v13, v13, v23
	v_add_f32_e32 v13, v13, v22
	s_delay_alu instid0(VALU_DEP_1) | instskip(SKIP_1) | instid1(VALU_DEP_2)
	v_add_f32_e32 v13, v13, v16
	v_fma_f32 v16, v60, v52, -v49
	v_add_f32_e32 v13, v13, v20
	s_delay_alu instid0(VALU_DEP_1) | instskip(SKIP_1) | instid1(VALU_DEP_2)
	v_add_f32_e32 v13, v13, v16
	v_fma_f32 v16, v72, v64, -v24
	v_add_f32_e32 v13, v13, v19
	s_delay_alu instid0(VALU_DEP_1) | instskip(NEXT) | instid1(VALU_DEP_1)
	v_add_f32_e32 v13, v13, v16
	v_add_f32_e32 v13, v13, v15
	s_delay_alu instid0(VALU_DEP_1)
	v_add_f32_e32 v13, v13, v14
	s_cbranch_vccnz .LBB1578_2
.LBB1578_3:
	s_mov_b32 s0, exec_lo
	v_cmpx_le_i32_e64 v6, v0
	s_cbranch_execz .LBB1578_5
; %bb.4:
	v_mul_lo_u32 v4, v6, s19
	v_mul_lo_u32 v5, v7, s18
	v_mad_u64_u32 v[2:3], null, v6, s18, 0
	v_lshlrev_b64 v[0:1], 3, v[0:1]
	s_delay_alu instid0(VALU_DEP_2) | instskip(SKIP_2) | instid1(VALU_DEP_3)
	v_add3_u32 v3, v3, v4, v5
	v_mul_f32_e32 v5, s6, v12
	v_mul_f32_e32 v4, s7, v12
	v_lshlrev_b64 v[2:3], 3, v[2:3]
	s_delay_alu instid0(VALU_DEP_3) | instskip(NEXT) | instid1(VALU_DEP_3)
	v_fmac_f32_e32 v5, s7, v13
	v_fma_f32 v4, v13, s6, -v4
	s_waitcnt lgkmcnt(0)
	s_delay_alu instid0(VALU_DEP_3) | instskip(NEXT) | instid1(VALU_DEP_4)
	v_add_co_u32 v2, vcc_lo, s2, v2
	v_add_co_ci_u32_e32 v3, vcc_lo, s3, v3, vcc_lo
	s_delay_alu instid0(VALU_DEP_2) | instskip(NEXT) | instid1(VALU_DEP_2)
	v_add_co_u32 v0, vcc_lo, v2, v0
	v_add_co_ci_u32_e32 v1, vcc_lo, v3, v1, vcc_lo
	global_store_b64 v[0:1], v[4:5], off
.LBB1578_5:
	s_nop 0
	s_sendmsg sendmsg(MSG_DEALLOC_VGPRS)
	s_endpgm
	.section	.rodata,"a",@progbits
	.p2align	6, 0x0
	.amdhsa_kernel _ZL41rocblas_syrkx_herkx_small_restrict_kernelIl19rocblas_complex_numIfELi16ELb1ELb0ELc84ELc76EKPKS1_KPS1_EviT_T0_PT6_S7_lSA_S7_lS8_PT7_S7_li
		.amdhsa_group_segment_fixed_size 4096
		.amdhsa_private_segment_fixed_size 0
		.amdhsa_kernarg_size 108
		.amdhsa_user_sgpr_count 13
		.amdhsa_user_sgpr_dispatch_ptr 0
		.amdhsa_user_sgpr_queue_ptr 0
		.amdhsa_user_sgpr_kernarg_segment_ptr 1
		.amdhsa_user_sgpr_dispatch_id 0
		.amdhsa_user_sgpr_private_segment_size 0
		.amdhsa_wavefront_size32 1
		.amdhsa_uses_dynamic_stack 0
		.amdhsa_enable_private_segment 0
		.amdhsa_system_sgpr_workgroup_id_x 1
		.amdhsa_system_sgpr_workgroup_id_y 1
		.amdhsa_system_sgpr_workgroup_id_z 1
		.amdhsa_system_sgpr_workgroup_info 0
		.amdhsa_system_vgpr_workitem_id 1
		.amdhsa_next_free_vgpr 87
		.amdhsa_next_free_sgpr 22
		.amdhsa_reserve_vcc 1
		.amdhsa_float_round_mode_32 0
		.amdhsa_float_round_mode_16_64 0
		.amdhsa_float_denorm_mode_32 3
		.amdhsa_float_denorm_mode_16_64 3
		.amdhsa_dx10_clamp 1
		.amdhsa_ieee_mode 1
		.amdhsa_fp16_overflow 0
		.amdhsa_workgroup_processor_mode 1
		.amdhsa_memory_ordered 1
		.amdhsa_forward_progress 0
		.amdhsa_shared_vgpr_count 0
		.amdhsa_exception_fp_ieee_invalid_op 0
		.amdhsa_exception_fp_denorm_src 0
		.amdhsa_exception_fp_ieee_div_zero 0
		.amdhsa_exception_fp_ieee_overflow 0
		.amdhsa_exception_fp_ieee_underflow 0
		.amdhsa_exception_fp_ieee_inexact 0
		.amdhsa_exception_int_div_zero 0
	.end_amdhsa_kernel
	.section	.text._ZL41rocblas_syrkx_herkx_small_restrict_kernelIl19rocblas_complex_numIfELi16ELb1ELb0ELc84ELc76EKPKS1_KPS1_EviT_T0_PT6_S7_lSA_S7_lS8_PT7_S7_li,"axG",@progbits,_ZL41rocblas_syrkx_herkx_small_restrict_kernelIl19rocblas_complex_numIfELi16ELb1ELb0ELc84ELc76EKPKS1_KPS1_EviT_T0_PT6_S7_lSA_S7_lS8_PT7_S7_li,comdat
.Lfunc_end1578:
	.size	_ZL41rocblas_syrkx_herkx_small_restrict_kernelIl19rocblas_complex_numIfELi16ELb1ELb0ELc84ELc76EKPKS1_KPS1_EviT_T0_PT6_S7_lSA_S7_lS8_PT7_S7_li, .Lfunc_end1578-_ZL41rocblas_syrkx_herkx_small_restrict_kernelIl19rocblas_complex_numIfELi16ELb1ELb0ELc84ELc76EKPKS1_KPS1_EviT_T0_PT6_S7_lSA_S7_lS8_PT7_S7_li
                                        ; -- End function
	.section	.AMDGPU.csdata,"",@progbits
; Kernel info:
; codeLenInByte = 1288
; NumSgprs: 24
; NumVgprs: 87
; ScratchSize: 0
; MemoryBound: 0
; FloatMode: 240
; IeeeMode: 1
; LDSByteSize: 4096 bytes/workgroup (compile time only)
; SGPRBlocks: 2
; VGPRBlocks: 10
; NumSGPRsForWavesPerEU: 24
; NumVGPRsForWavesPerEU: 87
; Occupancy: 16
; WaveLimiterHint : 1
; COMPUTE_PGM_RSRC2:SCRATCH_EN: 0
; COMPUTE_PGM_RSRC2:USER_SGPR: 13
; COMPUTE_PGM_RSRC2:TRAP_HANDLER: 0
; COMPUTE_PGM_RSRC2:TGID_X_EN: 1
; COMPUTE_PGM_RSRC2:TGID_Y_EN: 1
; COMPUTE_PGM_RSRC2:TGID_Z_EN: 1
; COMPUTE_PGM_RSRC2:TIDIG_COMP_CNT: 1
	.section	.text._ZL41rocblas_syrkx_herkx_small_restrict_kernelIl19rocblas_complex_numIfELi16ELb1ELb0ELc67ELc76EKPKS1_KPS1_EviT_T0_PT6_S7_lSA_S7_lS8_PT7_S7_li,"axG",@progbits,_ZL41rocblas_syrkx_herkx_small_restrict_kernelIl19rocblas_complex_numIfELi16ELb1ELb0ELc67ELc76EKPKS1_KPS1_EviT_T0_PT6_S7_lSA_S7_lS8_PT7_S7_li,comdat
	.globl	_ZL41rocblas_syrkx_herkx_small_restrict_kernelIl19rocblas_complex_numIfELi16ELb1ELb0ELc67ELc76EKPKS1_KPS1_EviT_T0_PT6_S7_lSA_S7_lS8_PT7_S7_li ; -- Begin function _ZL41rocblas_syrkx_herkx_small_restrict_kernelIl19rocblas_complex_numIfELi16ELb1ELb0ELc67ELc76EKPKS1_KPS1_EviT_T0_PT6_S7_lSA_S7_lS8_PT7_S7_li
	.p2align	8
	.type	_ZL41rocblas_syrkx_herkx_small_restrict_kernelIl19rocblas_complex_numIfELi16ELb1ELb0ELc67ELc76EKPKS1_KPS1_EviT_T0_PT6_S7_lSA_S7_lS8_PT7_S7_li,@function
_ZL41rocblas_syrkx_herkx_small_restrict_kernelIl19rocblas_complex_numIfELi16ELb1ELb0ELc67ELc76EKPKS1_KPS1_EviT_T0_PT6_S7_lSA_S7_lS8_PT7_S7_li: ; @_ZL41rocblas_syrkx_herkx_small_restrict_kernelIl19rocblas_complex_numIfELi16ELb1ELb0ELc67ELc76EKPKS1_KPS1_EviT_T0_PT6_S7_lSA_S7_lS8_PT7_S7_li
; %bb.0:
	s_clause 0x1
	s_load_b128 s[16:19], s[0:1], 0x50
	s_load_b256 s[4:11], s[0:1], 0x8
	s_mov_b32 s2, s15
	s_mov_b32 s3, 0
	v_dual_mov_b32 v12, 0 :: v_dual_and_b32 v3, 0x3ff, v0
	s_lshl_b64 s[20:21], s[2:3], 3
	v_bfe_u32 v2, v0, 10, 10
	v_mov_b32_e32 v13, 0
	s_delay_alu instid0(VALU_DEP_3) | instskip(NEXT) | instid1(VALU_DEP_3)
	v_lshl_add_u32 v0, s13, 4, v3
	v_lshl_add_u32 v6, s14, 4, v2
	s_delay_alu instid0(VALU_DEP_2) | instskip(NEXT) | instid1(VALU_DEP_2)
	v_ashrrev_i32_e32 v1, 31, v0
	v_ashrrev_i32_e32 v7, 31, v6
	s_waitcnt lgkmcnt(0)
	s_add_u32 s2, s16, s20
	s_addc_u32 s3, s17, s21
	v_cmp_lt_i64_e64 s12, s[4:5], 1
	s_load_b64 s[2:3], s[2:3], 0x0
	s_delay_alu instid0(VALU_DEP_1)
	s_and_b32 vcc_lo, exec_lo, s12
	s_cbranch_vccnz .LBB1579_3
; %bb.1:
	s_load_b128 s[12:15], s[0:1], 0x30
	v_mul_lo_u32 v8, s11, v0
	v_mul_lo_u32 v9, s10, v1
	v_mad_u64_u32 v[4:5], null, s10, v0, 0
	v_lshlrev_b32_e32 v10, 7, v2
	v_dual_mov_b32 v12, 0 :: v_dual_lshlrev_b32 v17, 3, v2
	s_delay_alu instid0(VALU_DEP_3) | instskip(SKIP_1) | instid1(VALU_DEP_2)
	v_add3_u32 v5, v5, v9, v8
	v_lshlrev_b32_e32 v8, 3, v3
	v_lshlrev_b64 v[2:3], 3, v[4:5]
	s_waitcnt lgkmcnt(0)
	s_add_u32 s0, s12, s20
	s_addc_u32 s1, s13, s21
	s_add_u32 s8, s8, s20
	s_load_b64 s[0:1], s[0:1], 0x0
	s_addc_u32 s9, s9, s21
	v_mul_lo_u32 v15, v6, s15
	s_load_b64 s[8:9], s[8:9], 0x0
	v_mul_lo_u32 v16, v7, s14
	v_mad_u64_u32 v[13:14], null, v6, s14, 0
	v_add_co_u32 v4, vcc_lo, v2, v17
	v_add_co_ci_u32_e32 v5, vcc_lo, 0, v3, vcc_lo
	s_delay_alu instid0(VALU_DEP_3) | instskip(NEXT) | instid1(VALU_DEP_1)
	v_add3_u32 v14, v14, v15, v16
	v_lshlrev_b64 v[2:3], 3, v[13:14]
	s_waitcnt lgkmcnt(0)
	v_add_co_u32 v13, s0, s0, v8
	s_delay_alu instid0(VALU_DEP_1) | instskip(SKIP_2) | instid1(VALU_DEP_4)
	v_add_co_ci_u32_e64 v14, null, s1, 0, s0
	v_add_co_u32 v4, vcc_lo, v4, s8
	v_add_co_ci_u32_e32 v5, vcc_lo, s9, v5, vcc_lo
	v_add_co_u32 v2, vcc_lo, v13, v2
	v_mov_b32_e32 v13, 0
	v_add_nc_u32_e32 v9, 0x800, v10
	v_add_co_ci_u32_e32 v3, vcc_lo, v14, v3, vcc_lo
	v_add_co_u32 v4, vcc_lo, v4, 4
	v_add_nc_u32_e32 v10, v8, v10
	s_delay_alu instid0(VALU_DEP_4)
	v_add_nc_u32_e32 v11, v9, v8
	v_add_co_ci_u32_e32 v5, vcc_lo, 0, v5, vcc_lo
	s_mov_b64 s[0:1], 0
.LBB1579_2:                             ; =>This Inner Loop Header: Depth=1
	global_load_b64 v[14:15], v[4:5], off offset:-4
	global_load_b64 v[16:17], v[2:3], off
	s_add_u32 s0, s0, 16
	v_add_co_u32 v2, vcc_lo, 0x80, v2
	s_addc_u32 s1, s1, 0
	v_add_co_ci_u32_e32 v3, vcc_lo, 0, v3, vcc_lo
	v_cmp_lt_i64_e64 s8, s[0:1], s[4:5]
	v_add_co_u32 v4, vcc_lo, 0x80, v4
	v_add_co_ci_u32_e32 v5, vcc_lo, 0, v5, vcc_lo
	s_waitcnt vmcnt(1)
	ds_store_b64 v10, v[14:15]
	s_waitcnt vmcnt(0)
	ds_store_b64 v11, v[16:17]
	s_waitcnt lgkmcnt(0)
	s_barrier
	buffer_gl0_inv
	ds_load_2addr_b64 v[14:17], v8 offset1:16
	ds_load_b128 v[18:21], v9
	ds_load_b128 v[22:25], v9 offset:16
	ds_load_2addr_b64 v[26:29], v8 offset0:32 offset1:48
	ds_load_2addr_b64 v[30:33], v8 offset0:64 offset1:80
	ds_load_b128 v[34:37], v9 offset:32
	ds_load_b128 v[38:41], v9 offset:48
	ds_load_2addr_b64 v[42:45], v8 offset0:96 offset1:112
	ds_load_2addr_b64 v[46:49], v8 offset0:128 offset1:144
	;; [unrolled: 1-line block ×3, first 2 shown]
	ds_load_b128 v[54:57], v9 offset:64
	ds_load_b128 v[58:61], v9 offset:80
	ds_load_2addr_b64 v[62:65], v8 offset0:192 offset1:208
	ds_load_2addr_b64 v[66:69], v8 offset0:224 offset1:240
	ds_load_b128 v[70:73], v9 offset:96
	ds_load_b128 v[74:77], v9 offset:112
	s_and_b32 vcc_lo, exec_lo, s8
	s_waitcnt lgkmcnt(0)
	s_barrier
	buffer_gl0_inv
	v_dual_mul_f32 v78, v19, v15 :: v_dual_mul_f32 v79, v21, v17
	v_mul_f32_e32 v15, v18, v15
	v_dual_mul_f32 v17, v20, v17 :: v_dual_mul_f32 v80, v23, v27
	v_mul_f32_e32 v27, v22, v27
	s_delay_alu instid0(VALU_DEP_4) | instskip(SKIP_1) | instid1(VALU_DEP_4)
	v_fma_f32 v18, v18, v14, -v78
	v_dual_mul_f32 v81, v25, v29 :: v_dual_mul_f32 v82, v35, v31
	v_fmac_f32_e32 v17, v21, v16
	s_delay_alu instid0(VALU_DEP_4) | instskip(SKIP_4) | instid1(VALU_DEP_4)
	v_fmac_f32_e32 v27, v23, v26
	v_fmac_f32_e32 v15, v19, v14
	v_mul_f32_e32 v85, v41, v45
	v_dual_mul_f32 v29, v24, v29 :: v_dual_mul_f32 v84, v39, v43
	v_mul_f32_e32 v45, v40, v45
	v_add_f32_e32 v12, v12, v15
	v_mul_f32_e32 v31, v34, v31
	v_dual_add_f32 v13, v13, v18 :: v_dual_mul_f32 v18, v74, v67
	v_mul_f32_e32 v19, v56, v49
	s_delay_alu instid0(VALU_DEP_4) | instskip(SKIP_1) | instid1(VALU_DEP_3)
	v_add_f32_e32 v12, v12, v17
	v_dual_mul_f32 v83, v37, v33 :: v_dual_mul_f32 v86, v55, v47
	v_dual_fmac_f32 v18, v75, v66 :: v_dual_fmac_f32 v19, v57, v48
	s_delay_alu instid0(VALU_DEP_3) | instskip(SKIP_3) | instid1(VALU_DEP_4)
	v_dual_fmac_f32 v29, v25, v28 :: v_dual_add_f32 v12, v12, v27
	v_mul_f32_e32 v33, v36, v33
	v_mul_f32_e32 v47, v54, v47
	v_fmac_f32_e32 v31, v35, v30
	v_dual_mul_f32 v43, v38, v43 :: v_dual_add_f32 v12, v12, v29
	v_fma_f32 v14, v20, v16, -v79
	v_dual_mul_f32 v20, v59, v51 :: v_dual_fmac_f32 v33, v37, v32
	v_mul_f32_e32 v16, v57, v49
	s_delay_alu instid0(VALU_DEP_4) | instskip(SKIP_3) | instid1(VALU_DEP_4)
	v_add_f32_e32 v12, v12, v31
	v_mul_f32_e32 v21, v58, v51
	v_add_f32_e32 v13, v13, v14
	v_dual_mul_f32 v14, v77, v69 :: v_dual_fmac_f32 v43, v39, v42
	v_add_f32_e32 v12, v12, v33
	v_mul_f32_e32 v49, v61, v53
	v_fmac_f32_e32 v45, v41, v44
	v_mul_f32_e32 v51, v60, v53
	s_delay_alu instid0(VALU_DEP_4) | instskip(SKIP_2) | instid1(VALU_DEP_4)
	v_dual_fmac_f32 v47, v55, v46 :: v_dual_add_f32 v12, v12, v43
	v_mul_f32_e32 v53, v71, v63
	v_fmac_f32_e32 v21, v59, v50
	v_fmac_f32_e32 v51, v61, v52
	v_mul_f32_e32 v25, v72, v65
	v_add_f32_e32 v12, v12, v45
	v_fma_f32 v22, v22, v26, -v80
	v_mul_f32_e32 v17, v76, v69
	v_fma_f32 v23, v24, v28, -v81
	s_delay_alu instid0(VALU_DEP_4) | instskip(SKIP_1) | instid1(VALU_DEP_4)
	v_dual_fmac_f32 v25, v73, v64 :: v_dual_add_f32 v12, v12, v47
	v_fma_f32 v16, v56, v48, -v16
	v_fmac_f32_e32 v17, v77, v68
	v_fma_f32 v20, v58, v50, -v20
	v_mul_f32_e32 v24, v73, v65
	v_add_f32_e32 v12, v12, v19
	v_mul_f32_e32 v63, v70, v63
	v_fma_f32 v19, v70, v62, -v53
	v_fma_f32 v14, v76, v68, -v14
	s_delay_alu instid0(VALU_DEP_3) | instskip(NEXT) | instid1(VALU_DEP_1)
	v_dual_add_f32 v12, v12, v21 :: v_dual_fmac_f32 v63, v71, v62
	v_add_f32_e32 v12, v12, v51
	s_delay_alu instid0(VALU_DEP_1) | instskip(NEXT) | instid1(VALU_DEP_1)
	v_add_f32_e32 v12, v12, v63
	v_dual_mul_f32 v15, v75, v67 :: v_dual_add_f32 v12, v12, v25
	s_delay_alu instid0(VALU_DEP_1) | instskip(NEXT) | instid1(VALU_DEP_2)
	v_fma_f32 v15, v74, v66, -v15
	v_add_f32_e32 v12, v12, v18
	v_add_f32_e32 v13, v13, v22
	v_fma_f32 v22, v34, v30, -v82
	s_delay_alu instid0(VALU_DEP_2) | instskip(SKIP_1) | instid1(VALU_DEP_2)
	v_dual_add_f32 v12, v12, v17 :: v_dual_add_f32 v13, v13, v23
	v_fma_f32 v23, v36, v32, -v83
	v_add_f32_e32 v13, v13, v22
	v_fma_f32 v22, v38, v42, -v84
	s_delay_alu instid0(VALU_DEP_2) | instskip(SKIP_1) | instid1(VALU_DEP_2)
	v_add_f32_e32 v13, v13, v23
	v_fma_f32 v23, v40, v44, -v85
	v_add_f32_e32 v13, v13, v22
	v_fma_f32 v22, v54, v46, -v86
	s_delay_alu instid0(VALU_DEP_2) | instskip(NEXT) | instid1(VALU_DEP_1)
	v_add_f32_e32 v13, v13, v23
	v_add_f32_e32 v13, v13, v22
	s_delay_alu instid0(VALU_DEP_1) | instskip(SKIP_1) | instid1(VALU_DEP_2)
	v_add_f32_e32 v13, v13, v16
	v_fma_f32 v16, v60, v52, -v49
	v_add_f32_e32 v13, v13, v20
	s_delay_alu instid0(VALU_DEP_1) | instskip(SKIP_1) | instid1(VALU_DEP_2)
	v_add_f32_e32 v13, v13, v16
	v_fma_f32 v16, v72, v64, -v24
	v_add_f32_e32 v13, v13, v19
	s_delay_alu instid0(VALU_DEP_1) | instskip(NEXT) | instid1(VALU_DEP_1)
	v_add_f32_e32 v13, v13, v16
	v_add_f32_e32 v13, v13, v15
	s_delay_alu instid0(VALU_DEP_1)
	v_add_f32_e32 v13, v13, v14
	s_cbranch_vccnz .LBB1579_2
.LBB1579_3:
	s_mov_b32 s0, exec_lo
	v_cmpx_le_i32_e64 v6, v0
	s_cbranch_execz .LBB1579_5
; %bb.4:
	v_mul_lo_u32 v4, v6, s19
	v_mul_lo_u32 v5, v7, s18
	v_mad_u64_u32 v[2:3], null, v6, s18, 0
	v_lshlrev_b64 v[0:1], 3, v[0:1]
	s_delay_alu instid0(VALU_DEP_2) | instskip(SKIP_2) | instid1(VALU_DEP_3)
	v_add3_u32 v3, v3, v4, v5
	v_mul_f32_e32 v5, s6, v12
	v_mul_f32_e32 v4, s7, v12
	v_lshlrev_b64 v[2:3], 3, v[2:3]
	s_delay_alu instid0(VALU_DEP_3) | instskip(NEXT) | instid1(VALU_DEP_3)
	v_fmac_f32_e32 v5, s7, v13
	v_fma_f32 v4, v13, s6, -v4
	s_waitcnt lgkmcnt(0)
	s_delay_alu instid0(VALU_DEP_3) | instskip(NEXT) | instid1(VALU_DEP_4)
	v_add_co_u32 v2, vcc_lo, s2, v2
	v_add_co_ci_u32_e32 v3, vcc_lo, s3, v3, vcc_lo
	s_delay_alu instid0(VALU_DEP_2) | instskip(NEXT) | instid1(VALU_DEP_2)
	v_add_co_u32 v0, vcc_lo, v2, v0
	v_add_co_ci_u32_e32 v1, vcc_lo, v3, v1, vcc_lo
	global_store_b64 v[0:1], v[4:5], off
.LBB1579_5:
	s_nop 0
	s_sendmsg sendmsg(MSG_DEALLOC_VGPRS)
	s_endpgm
	.section	.rodata,"a",@progbits
	.p2align	6, 0x0
	.amdhsa_kernel _ZL41rocblas_syrkx_herkx_small_restrict_kernelIl19rocblas_complex_numIfELi16ELb1ELb0ELc67ELc76EKPKS1_KPS1_EviT_T0_PT6_S7_lSA_S7_lS8_PT7_S7_li
		.amdhsa_group_segment_fixed_size 4096
		.amdhsa_private_segment_fixed_size 0
		.amdhsa_kernarg_size 108
		.amdhsa_user_sgpr_count 13
		.amdhsa_user_sgpr_dispatch_ptr 0
		.amdhsa_user_sgpr_queue_ptr 0
		.amdhsa_user_sgpr_kernarg_segment_ptr 1
		.amdhsa_user_sgpr_dispatch_id 0
		.amdhsa_user_sgpr_private_segment_size 0
		.amdhsa_wavefront_size32 1
		.amdhsa_uses_dynamic_stack 0
		.amdhsa_enable_private_segment 0
		.amdhsa_system_sgpr_workgroup_id_x 1
		.amdhsa_system_sgpr_workgroup_id_y 1
		.amdhsa_system_sgpr_workgroup_id_z 1
		.amdhsa_system_sgpr_workgroup_info 0
		.amdhsa_system_vgpr_workitem_id 1
		.amdhsa_next_free_vgpr 87
		.amdhsa_next_free_sgpr 22
		.amdhsa_reserve_vcc 1
		.amdhsa_float_round_mode_32 0
		.amdhsa_float_round_mode_16_64 0
		.amdhsa_float_denorm_mode_32 3
		.amdhsa_float_denorm_mode_16_64 3
		.amdhsa_dx10_clamp 1
		.amdhsa_ieee_mode 1
		.amdhsa_fp16_overflow 0
		.amdhsa_workgroup_processor_mode 1
		.amdhsa_memory_ordered 1
		.amdhsa_forward_progress 0
		.amdhsa_shared_vgpr_count 0
		.amdhsa_exception_fp_ieee_invalid_op 0
		.amdhsa_exception_fp_denorm_src 0
		.amdhsa_exception_fp_ieee_div_zero 0
		.amdhsa_exception_fp_ieee_overflow 0
		.amdhsa_exception_fp_ieee_underflow 0
		.amdhsa_exception_fp_ieee_inexact 0
		.amdhsa_exception_int_div_zero 0
	.end_amdhsa_kernel
	.section	.text._ZL41rocblas_syrkx_herkx_small_restrict_kernelIl19rocblas_complex_numIfELi16ELb1ELb0ELc67ELc76EKPKS1_KPS1_EviT_T0_PT6_S7_lSA_S7_lS8_PT7_S7_li,"axG",@progbits,_ZL41rocblas_syrkx_herkx_small_restrict_kernelIl19rocblas_complex_numIfELi16ELb1ELb0ELc67ELc76EKPKS1_KPS1_EviT_T0_PT6_S7_lSA_S7_lS8_PT7_S7_li,comdat
.Lfunc_end1579:
	.size	_ZL41rocblas_syrkx_herkx_small_restrict_kernelIl19rocblas_complex_numIfELi16ELb1ELb0ELc67ELc76EKPKS1_KPS1_EviT_T0_PT6_S7_lSA_S7_lS8_PT7_S7_li, .Lfunc_end1579-_ZL41rocblas_syrkx_herkx_small_restrict_kernelIl19rocblas_complex_numIfELi16ELb1ELb0ELc67ELc76EKPKS1_KPS1_EviT_T0_PT6_S7_lSA_S7_lS8_PT7_S7_li
                                        ; -- End function
	.section	.AMDGPU.csdata,"",@progbits
; Kernel info:
; codeLenInByte = 1296
; NumSgprs: 24
; NumVgprs: 87
; ScratchSize: 0
; MemoryBound: 0
; FloatMode: 240
; IeeeMode: 1
; LDSByteSize: 4096 bytes/workgroup (compile time only)
; SGPRBlocks: 2
; VGPRBlocks: 10
; NumSGPRsForWavesPerEU: 24
; NumVGPRsForWavesPerEU: 87
; Occupancy: 16
; WaveLimiterHint : 1
; COMPUTE_PGM_RSRC2:SCRATCH_EN: 0
; COMPUTE_PGM_RSRC2:USER_SGPR: 13
; COMPUTE_PGM_RSRC2:TRAP_HANDLER: 0
; COMPUTE_PGM_RSRC2:TGID_X_EN: 1
; COMPUTE_PGM_RSRC2:TGID_Y_EN: 1
; COMPUTE_PGM_RSRC2:TGID_Z_EN: 1
; COMPUTE_PGM_RSRC2:TIDIG_COMP_CNT: 1
	.section	.text._ZL41rocblas_syrkx_herkx_small_restrict_kernelIl19rocblas_complex_numIfELi16ELb1ELb0ELc78ELc76EKPKS1_KPS1_EviT_T0_PT6_S7_lSA_S7_lS8_PT7_S7_li,"axG",@progbits,_ZL41rocblas_syrkx_herkx_small_restrict_kernelIl19rocblas_complex_numIfELi16ELb1ELb0ELc78ELc76EKPKS1_KPS1_EviT_T0_PT6_S7_lSA_S7_lS8_PT7_S7_li,comdat
	.globl	_ZL41rocblas_syrkx_herkx_small_restrict_kernelIl19rocblas_complex_numIfELi16ELb1ELb0ELc78ELc76EKPKS1_KPS1_EviT_T0_PT6_S7_lSA_S7_lS8_PT7_S7_li ; -- Begin function _ZL41rocblas_syrkx_herkx_small_restrict_kernelIl19rocblas_complex_numIfELi16ELb1ELb0ELc78ELc76EKPKS1_KPS1_EviT_T0_PT6_S7_lSA_S7_lS8_PT7_S7_li
	.p2align	8
	.type	_ZL41rocblas_syrkx_herkx_small_restrict_kernelIl19rocblas_complex_numIfELi16ELb1ELb0ELc78ELc76EKPKS1_KPS1_EviT_T0_PT6_S7_lSA_S7_lS8_PT7_S7_li,@function
_ZL41rocblas_syrkx_herkx_small_restrict_kernelIl19rocblas_complex_numIfELi16ELb1ELb0ELc78ELc76EKPKS1_KPS1_EviT_T0_PT6_S7_lSA_S7_lS8_PT7_S7_li: ; @_ZL41rocblas_syrkx_herkx_small_restrict_kernelIl19rocblas_complex_numIfELi16ELb1ELb0ELc78ELc76EKPKS1_KPS1_EviT_T0_PT6_S7_lSA_S7_lS8_PT7_S7_li
; %bb.0:
	s_clause 0x1
	s_load_b128 s[16:19], s[0:1], 0x50
	s_load_b256 s[4:11], s[0:1], 0x8
	s_mov_b32 s2, s15
	s_mov_b32 s3, 0
	v_dual_mov_b32 v12, 0 :: v_dual_and_b32 v5, 0x3ff, v0
	s_lshl_b64 s[20:21], s[2:3], 3
	v_bfe_u32 v4, v0, 10, 10
	v_mov_b32_e32 v13, 0
	s_delay_alu instid0(VALU_DEP_3) | instskip(NEXT) | instid1(VALU_DEP_3)
	v_lshl_add_u32 v0, s13, 4, v5
	v_lshl_add_u32 v2, s14, 4, v4
	s_delay_alu instid0(VALU_DEP_2) | instskip(NEXT) | instid1(VALU_DEP_2)
	v_ashrrev_i32_e32 v1, 31, v0
	v_ashrrev_i32_e32 v3, 31, v2
	s_waitcnt lgkmcnt(0)
	s_add_u32 s2, s16, s20
	s_addc_u32 s3, s17, s21
	s_load_b64 s[16:17], s[2:3], 0x0
	v_cmp_lt_i64_e64 s2, s[4:5], 1
	s_delay_alu instid0(VALU_DEP_1)
	s_and_b32 vcc_lo, exec_lo, s2
	s_cbranch_vccnz .LBB1580_3
; %bb.1:
	s_load_b128 s[0:3], s[0:1], 0x30
	v_mad_u64_u32 v[13:14], null, s10, v4, 0
	v_lshlrev_b32_e32 v8, 3, v5
	v_lshlrev_b64 v[15:16], 3, v[2:3]
	v_lshlrev_b64 v[17:18], 3, v[0:1]
	s_delay_alu instid0(VALU_DEP_4)
	v_mov_b32_e32 v9, v14
	s_waitcnt lgkmcnt(0)
	v_mad_u64_u32 v[6:7], null, s2, v5, 0
	s_add_u32 s0, s0, s20
	s_addc_u32 s1, s1, s21
	s_add_u32 s8, s8, s20
	s_load_b64 s[0:1], s[0:1], 0x0
	s_addc_u32 s9, s9, s21
	s_load_b64 s[8:9], s[8:9], 0x0
	s_delay_alu instid0(VALU_DEP_1) | instskip(NEXT) | instid1(VALU_DEP_1)
	v_mad_u64_u32 v[10:11], null, s3, v5, v[7:8]
	v_mad_u64_u32 v[11:12], null, s11, v4, v[9:10]
	v_dual_mov_b32 v7, v10 :: v_dual_mov_b32 v12, 0
	v_lshlrev_b32_e32 v19, 7, v4
	s_delay_alu instid0(VALU_DEP_2) | instskip(NEXT) | instid1(VALU_DEP_2)
	v_lshlrev_b64 v[4:5], 3, v[6:7]
	v_dual_mov_b32 v14, v11 :: v_dual_add_nc_u32 v9, 0x800, v19
	v_add_nc_u32_e32 v10, v8, v19
	s_delay_alu instid0(VALU_DEP_3) | instskip(NEXT) | instid1(VALU_DEP_3)
	v_add_co_u32 v4, vcc_lo, v4, v15
	v_lshlrev_b64 v[6:7], 3, v[13:14]
	v_add_co_ci_u32_e32 v5, vcc_lo, v5, v16, vcc_lo
	v_add_nc_u32_e32 v11, v9, v8
	s_delay_alu instid0(VALU_DEP_3) | instskip(NEXT) | instid1(VALU_DEP_4)
	v_add_co_u32 v6, vcc_lo, v6, v17
	v_add_co_ci_u32_e32 v7, vcc_lo, v7, v18, vcc_lo
	s_waitcnt lgkmcnt(0)
	v_add_co_u32 v13, vcc_lo, v4, s0
	v_add_co_ci_u32_e32 v14, vcc_lo, s1, v5, vcc_lo
	v_add_co_u32 v4, vcc_lo, s8, v6
	v_add_co_ci_u32_e32 v5, vcc_lo, s9, v7, vcc_lo
	s_delay_alu instid0(VALU_DEP_4)
	v_add_co_u32 v6, vcc_lo, v13, 4
	v_mov_b32_e32 v13, 0
	v_add_co_ci_u32_e32 v7, vcc_lo, 0, v14, vcc_lo
	s_lshl_b64 s[0:1], s[2:3], 7
	s_lshl_b64 s[2:3], s[10:11], 7
	s_mov_b64 s[8:9], 0
.LBB1580_2:                             ; =>This Inner Loop Header: Depth=1
	global_load_b64 v[14:15], v[4:5], off
	global_load_b64 v[16:17], v[6:7], off offset:-4
	s_add_u32 s8, s8, 16
	v_add_co_u32 v6, vcc_lo, v6, s0
	s_addc_u32 s9, s9, 0
	v_add_co_ci_u32_e32 v7, vcc_lo, s1, v7, vcc_lo
	v_cmp_lt_i64_e64 s10, s[8:9], s[4:5]
	v_add_co_u32 v4, vcc_lo, v4, s2
	v_add_co_ci_u32_e32 v5, vcc_lo, s3, v5, vcc_lo
	s_waitcnt vmcnt(1)
	ds_store_b64 v10, v[14:15]
	s_waitcnt vmcnt(0)
	ds_store_b64 v11, v[16:17]
	s_waitcnt lgkmcnt(0)
	s_barrier
	buffer_gl0_inv
	ds_load_2addr_b64 v[14:17], v8 offset1:16
	ds_load_b128 v[18:21], v9
	ds_load_b128 v[22:25], v9 offset:16
	ds_load_2addr_b64 v[26:29], v8 offset0:32 offset1:48
	ds_load_2addr_b64 v[30:33], v8 offset0:64 offset1:80
	ds_load_b128 v[34:37], v9 offset:32
	ds_load_b128 v[38:41], v9 offset:48
	ds_load_2addr_b64 v[42:45], v8 offset0:96 offset1:112
	ds_load_2addr_b64 v[46:49], v8 offset0:128 offset1:144
	;; [unrolled: 1-line block ×3, first 2 shown]
	ds_load_b128 v[54:57], v9 offset:64
	ds_load_b128 v[58:61], v9 offset:80
	ds_load_2addr_b64 v[62:65], v8 offset0:192 offset1:208
	ds_load_2addr_b64 v[66:69], v8 offset0:224 offset1:240
	ds_load_b128 v[70:73], v9 offset:96
	ds_load_b128 v[74:77], v9 offset:112
	s_and_b32 vcc_lo, exec_lo, s10
	s_waitcnt lgkmcnt(0)
	s_barrier
	buffer_gl0_inv
	v_dual_mul_f32 v78, v19, v15 :: v_dual_mul_f32 v79, v21, v17
	v_mul_f32_e32 v15, v18, v15
	v_dual_mul_f32 v17, v20, v17 :: v_dual_mul_f32 v80, v23, v27
	v_mul_f32_e32 v27, v22, v27
	s_delay_alu instid0(VALU_DEP_4) | instskip(SKIP_1) | instid1(VALU_DEP_4)
	v_fma_f32 v18, v18, v14, -v78
	v_dual_mul_f32 v81, v25, v29 :: v_dual_mul_f32 v82, v35, v31
	v_fmac_f32_e32 v17, v21, v16
	s_delay_alu instid0(VALU_DEP_4) | instskip(SKIP_4) | instid1(VALU_DEP_4)
	v_fmac_f32_e32 v27, v23, v26
	v_fmac_f32_e32 v15, v19, v14
	v_mul_f32_e32 v85, v41, v45
	v_dual_mul_f32 v29, v24, v29 :: v_dual_mul_f32 v84, v39, v43
	v_mul_f32_e32 v45, v40, v45
	v_add_f32_e32 v12, v12, v15
	v_mul_f32_e32 v31, v34, v31
	v_dual_add_f32 v13, v13, v18 :: v_dual_mul_f32 v18, v74, v67
	v_mul_f32_e32 v19, v56, v49
	s_delay_alu instid0(VALU_DEP_4) | instskip(SKIP_1) | instid1(VALU_DEP_3)
	v_add_f32_e32 v12, v12, v17
	v_dual_mul_f32 v83, v37, v33 :: v_dual_mul_f32 v86, v55, v47
	v_dual_fmac_f32 v18, v75, v66 :: v_dual_fmac_f32 v19, v57, v48
	s_delay_alu instid0(VALU_DEP_3) | instskip(SKIP_3) | instid1(VALU_DEP_4)
	v_dual_fmac_f32 v29, v25, v28 :: v_dual_add_f32 v12, v12, v27
	v_mul_f32_e32 v33, v36, v33
	v_mul_f32_e32 v47, v54, v47
	v_fmac_f32_e32 v31, v35, v30
	v_dual_mul_f32 v43, v38, v43 :: v_dual_add_f32 v12, v12, v29
	v_fma_f32 v14, v20, v16, -v79
	v_dual_mul_f32 v20, v59, v51 :: v_dual_fmac_f32 v33, v37, v32
	v_mul_f32_e32 v16, v57, v49
	s_delay_alu instid0(VALU_DEP_4) | instskip(SKIP_3) | instid1(VALU_DEP_4)
	v_add_f32_e32 v12, v12, v31
	v_mul_f32_e32 v21, v58, v51
	v_add_f32_e32 v13, v13, v14
	v_dual_mul_f32 v14, v77, v69 :: v_dual_fmac_f32 v43, v39, v42
	v_add_f32_e32 v12, v12, v33
	v_mul_f32_e32 v49, v61, v53
	v_fmac_f32_e32 v45, v41, v44
	v_mul_f32_e32 v51, v60, v53
	s_delay_alu instid0(VALU_DEP_4) | instskip(SKIP_2) | instid1(VALU_DEP_4)
	v_dual_fmac_f32 v47, v55, v46 :: v_dual_add_f32 v12, v12, v43
	v_mul_f32_e32 v53, v71, v63
	v_fmac_f32_e32 v21, v59, v50
	v_fmac_f32_e32 v51, v61, v52
	v_mul_f32_e32 v25, v72, v65
	v_add_f32_e32 v12, v12, v45
	v_fma_f32 v22, v22, v26, -v80
	v_mul_f32_e32 v17, v76, v69
	v_fma_f32 v23, v24, v28, -v81
	s_delay_alu instid0(VALU_DEP_4) | instskip(SKIP_1) | instid1(VALU_DEP_4)
	v_dual_fmac_f32 v25, v73, v64 :: v_dual_add_f32 v12, v12, v47
	v_fma_f32 v16, v56, v48, -v16
	v_fmac_f32_e32 v17, v77, v68
	v_fma_f32 v20, v58, v50, -v20
	v_mul_f32_e32 v24, v73, v65
	v_add_f32_e32 v12, v12, v19
	v_mul_f32_e32 v63, v70, v63
	v_fma_f32 v19, v70, v62, -v53
	v_fma_f32 v14, v76, v68, -v14
	s_delay_alu instid0(VALU_DEP_3) | instskip(NEXT) | instid1(VALU_DEP_1)
	v_dual_add_f32 v12, v12, v21 :: v_dual_fmac_f32 v63, v71, v62
	v_add_f32_e32 v12, v12, v51
	s_delay_alu instid0(VALU_DEP_1) | instskip(NEXT) | instid1(VALU_DEP_1)
	v_add_f32_e32 v12, v12, v63
	v_dual_mul_f32 v15, v75, v67 :: v_dual_add_f32 v12, v12, v25
	s_delay_alu instid0(VALU_DEP_1) | instskip(NEXT) | instid1(VALU_DEP_2)
	v_fma_f32 v15, v74, v66, -v15
	v_add_f32_e32 v12, v12, v18
	v_add_f32_e32 v13, v13, v22
	v_fma_f32 v22, v34, v30, -v82
	s_delay_alu instid0(VALU_DEP_2) | instskip(SKIP_1) | instid1(VALU_DEP_2)
	v_dual_add_f32 v12, v12, v17 :: v_dual_add_f32 v13, v13, v23
	v_fma_f32 v23, v36, v32, -v83
	v_add_f32_e32 v13, v13, v22
	v_fma_f32 v22, v38, v42, -v84
	s_delay_alu instid0(VALU_DEP_2) | instskip(SKIP_1) | instid1(VALU_DEP_2)
	v_add_f32_e32 v13, v13, v23
	v_fma_f32 v23, v40, v44, -v85
	v_add_f32_e32 v13, v13, v22
	v_fma_f32 v22, v54, v46, -v86
	s_delay_alu instid0(VALU_DEP_2) | instskip(NEXT) | instid1(VALU_DEP_1)
	v_add_f32_e32 v13, v13, v23
	v_add_f32_e32 v13, v13, v22
	s_delay_alu instid0(VALU_DEP_1) | instskip(SKIP_1) | instid1(VALU_DEP_2)
	v_add_f32_e32 v13, v13, v16
	v_fma_f32 v16, v60, v52, -v49
	v_add_f32_e32 v13, v13, v20
	s_delay_alu instid0(VALU_DEP_1) | instskip(SKIP_1) | instid1(VALU_DEP_2)
	v_add_f32_e32 v13, v13, v16
	v_fma_f32 v16, v72, v64, -v24
	v_add_f32_e32 v13, v13, v19
	s_delay_alu instid0(VALU_DEP_1) | instskip(NEXT) | instid1(VALU_DEP_1)
	v_add_f32_e32 v13, v13, v16
	v_add_f32_e32 v13, v13, v15
	s_delay_alu instid0(VALU_DEP_1)
	v_add_f32_e32 v13, v13, v14
	s_cbranch_vccnz .LBB1580_2
.LBB1580_3:
	s_mov_b32 s0, exec_lo
	v_cmpx_le_i32_e64 v2, v0
	s_cbranch_execz .LBB1580_5
; %bb.4:
	v_mul_lo_u32 v5, v2, s19
	v_mul_lo_u32 v6, v3, s18
	v_mad_u64_u32 v[3:4], null, v2, s18, 0
	v_lshlrev_b64 v[0:1], 3, v[0:1]
	s_delay_alu instid0(VALU_DEP_2) | instskip(SKIP_2) | instid1(VALU_DEP_3)
	v_add3_u32 v4, v4, v5, v6
	v_mul_f32_e32 v5, s6, v12
	v_mul_f32_e32 v6, s7, v12
	v_lshlrev_b64 v[2:3], 3, v[3:4]
	s_delay_alu instid0(VALU_DEP_3) | instskip(NEXT) | instid1(VALU_DEP_3)
	v_fmac_f32_e32 v5, s7, v13
	v_fma_f32 v4, v13, s6, -v6
	s_waitcnt lgkmcnt(0)
	s_delay_alu instid0(VALU_DEP_3) | instskip(NEXT) | instid1(VALU_DEP_4)
	v_add_co_u32 v2, vcc_lo, s16, v2
	v_add_co_ci_u32_e32 v3, vcc_lo, s17, v3, vcc_lo
	s_delay_alu instid0(VALU_DEP_2) | instskip(NEXT) | instid1(VALU_DEP_2)
	v_add_co_u32 v0, vcc_lo, v2, v0
	v_add_co_ci_u32_e32 v1, vcc_lo, v3, v1, vcc_lo
	global_store_b64 v[0:1], v[4:5], off
.LBB1580_5:
	s_nop 0
	s_sendmsg sendmsg(MSG_DEALLOC_VGPRS)
	s_endpgm
	.section	.rodata,"a",@progbits
	.p2align	6, 0x0
	.amdhsa_kernel _ZL41rocblas_syrkx_herkx_small_restrict_kernelIl19rocblas_complex_numIfELi16ELb1ELb0ELc78ELc76EKPKS1_KPS1_EviT_T0_PT6_S7_lSA_S7_lS8_PT7_S7_li
		.amdhsa_group_segment_fixed_size 4096
		.amdhsa_private_segment_fixed_size 0
		.amdhsa_kernarg_size 108
		.amdhsa_user_sgpr_count 13
		.amdhsa_user_sgpr_dispatch_ptr 0
		.amdhsa_user_sgpr_queue_ptr 0
		.amdhsa_user_sgpr_kernarg_segment_ptr 1
		.amdhsa_user_sgpr_dispatch_id 0
		.amdhsa_user_sgpr_private_segment_size 0
		.amdhsa_wavefront_size32 1
		.amdhsa_uses_dynamic_stack 0
		.amdhsa_enable_private_segment 0
		.amdhsa_system_sgpr_workgroup_id_x 1
		.amdhsa_system_sgpr_workgroup_id_y 1
		.amdhsa_system_sgpr_workgroup_id_z 1
		.amdhsa_system_sgpr_workgroup_info 0
		.amdhsa_system_vgpr_workitem_id 1
		.amdhsa_next_free_vgpr 87
		.amdhsa_next_free_sgpr 22
		.amdhsa_reserve_vcc 1
		.amdhsa_float_round_mode_32 0
		.amdhsa_float_round_mode_16_64 0
		.amdhsa_float_denorm_mode_32 3
		.amdhsa_float_denorm_mode_16_64 3
		.amdhsa_dx10_clamp 1
		.amdhsa_ieee_mode 1
		.amdhsa_fp16_overflow 0
		.amdhsa_workgroup_processor_mode 1
		.amdhsa_memory_ordered 1
		.amdhsa_forward_progress 0
		.amdhsa_shared_vgpr_count 0
		.amdhsa_exception_fp_ieee_invalid_op 0
		.amdhsa_exception_fp_denorm_src 0
		.amdhsa_exception_fp_ieee_div_zero 0
		.amdhsa_exception_fp_ieee_overflow 0
		.amdhsa_exception_fp_ieee_underflow 0
		.amdhsa_exception_fp_ieee_inexact 0
		.amdhsa_exception_int_div_zero 0
	.end_amdhsa_kernel
	.section	.text._ZL41rocblas_syrkx_herkx_small_restrict_kernelIl19rocblas_complex_numIfELi16ELb1ELb0ELc78ELc76EKPKS1_KPS1_EviT_T0_PT6_S7_lSA_S7_lS8_PT7_S7_li,"axG",@progbits,_ZL41rocblas_syrkx_herkx_small_restrict_kernelIl19rocblas_complex_numIfELi16ELb1ELb0ELc78ELc76EKPKS1_KPS1_EviT_T0_PT6_S7_lSA_S7_lS8_PT7_S7_li,comdat
.Lfunc_end1580:
	.size	_ZL41rocblas_syrkx_herkx_small_restrict_kernelIl19rocblas_complex_numIfELi16ELb1ELb0ELc78ELc76EKPKS1_KPS1_EviT_T0_PT6_S7_lSA_S7_lS8_PT7_S7_li, .Lfunc_end1580-_ZL41rocblas_syrkx_herkx_small_restrict_kernelIl19rocblas_complex_numIfELi16ELb1ELb0ELc78ELc76EKPKS1_KPS1_EviT_T0_PT6_S7_lSA_S7_lS8_PT7_S7_li
                                        ; -- End function
	.section	.AMDGPU.csdata,"",@progbits
; Kernel info:
; codeLenInByte = 1292
; NumSgprs: 24
; NumVgprs: 87
; ScratchSize: 0
; MemoryBound: 0
; FloatMode: 240
; IeeeMode: 1
; LDSByteSize: 4096 bytes/workgroup (compile time only)
; SGPRBlocks: 2
; VGPRBlocks: 10
; NumSGPRsForWavesPerEU: 24
; NumVGPRsForWavesPerEU: 87
; Occupancy: 16
; WaveLimiterHint : 1
; COMPUTE_PGM_RSRC2:SCRATCH_EN: 0
; COMPUTE_PGM_RSRC2:USER_SGPR: 13
; COMPUTE_PGM_RSRC2:TRAP_HANDLER: 0
; COMPUTE_PGM_RSRC2:TGID_X_EN: 1
; COMPUTE_PGM_RSRC2:TGID_Y_EN: 1
; COMPUTE_PGM_RSRC2:TGID_Z_EN: 1
; COMPUTE_PGM_RSRC2:TIDIG_COMP_CNT: 1
	.section	.text._ZL41rocblas_syrkx_herkx_small_restrict_kernelIl19rocblas_complex_numIfELi16ELb1ELb0ELc84ELc85EKPKS1_KPS1_EviT_T0_PT6_S7_lSA_S7_lS8_PT7_S7_li,"axG",@progbits,_ZL41rocblas_syrkx_herkx_small_restrict_kernelIl19rocblas_complex_numIfELi16ELb1ELb0ELc84ELc85EKPKS1_KPS1_EviT_T0_PT6_S7_lSA_S7_lS8_PT7_S7_li,comdat
	.globl	_ZL41rocblas_syrkx_herkx_small_restrict_kernelIl19rocblas_complex_numIfELi16ELb1ELb0ELc84ELc85EKPKS1_KPS1_EviT_T0_PT6_S7_lSA_S7_lS8_PT7_S7_li ; -- Begin function _ZL41rocblas_syrkx_herkx_small_restrict_kernelIl19rocblas_complex_numIfELi16ELb1ELb0ELc84ELc85EKPKS1_KPS1_EviT_T0_PT6_S7_lSA_S7_lS8_PT7_S7_li
	.p2align	8
	.type	_ZL41rocblas_syrkx_herkx_small_restrict_kernelIl19rocblas_complex_numIfELi16ELb1ELb0ELc84ELc85EKPKS1_KPS1_EviT_T0_PT6_S7_lSA_S7_lS8_PT7_S7_li,@function
_ZL41rocblas_syrkx_herkx_small_restrict_kernelIl19rocblas_complex_numIfELi16ELb1ELb0ELc84ELc85EKPKS1_KPS1_EviT_T0_PT6_S7_lSA_S7_lS8_PT7_S7_li: ; @_ZL41rocblas_syrkx_herkx_small_restrict_kernelIl19rocblas_complex_numIfELi16ELb1ELb0ELc84ELc85EKPKS1_KPS1_EviT_T0_PT6_S7_lSA_S7_lS8_PT7_S7_li
; %bb.0:
	s_clause 0x1
	s_load_b128 s[16:19], s[0:1], 0x50
	s_load_b256 s[4:11], s[0:1], 0x8
	s_mov_b32 s2, s15
	s_mov_b32 s3, 0
	v_dual_mov_b32 v13, 0 :: v_dual_and_b32 v2, 0x3ff, v0
	s_lshl_b64 s[20:21], s[2:3], 3
	v_bfe_u32 v3, v0, 10, 10
	v_mov_b32_e32 v12, 0
	s_delay_alu instid0(VALU_DEP_3) | instskip(NEXT) | instid1(VALU_DEP_3)
	v_lshl_add_u32 v0, s13, 4, v2
	v_lshl_add_u32 v6, s14, 4, v3
	s_delay_alu instid0(VALU_DEP_2) | instskip(NEXT) | instid1(VALU_DEP_2)
	v_ashrrev_i32_e32 v1, 31, v0
	v_ashrrev_i32_e32 v7, 31, v6
	s_waitcnt lgkmcnt(0)
	s_add_u32 s2, s16, s20
	s_addc_u32 s3, s17, s21
	v_cmp_lt_i64_e64 s12, s[4:5], 1
	s_load_b64 s[2:3], s[2:3], 0x0
	s_delay_alu instid0(VALU_DEP_1)
	s_and_b32 vcc_lo, exec_lo, s12
	s_cbranch_vccnz .LBB1581_3
; %bb.1:
	s_load_b128 s[12:15], s[0:1], 0x30
	v_mul_lo_u32 v10, v0, s11
	v_mul_lo_u32 v11, v1, s10
	v_mad_u64_u32 v[4:5], null, v0, s10, 0
	v_lshlrev_b32_e32 v8, 3, v2
	v_lshlrev_b32_e32 v17, 3, v3
	;; [unrolled: 1-line block ×3, first 2 shown]
	s_delay_alu instid0(VALU_DEP_4) | instskip(NEXT) | instid1(VALU_DEP_1)
	v_add3_u32 v5, v5, v10, v11
	v_lshlrev_b64 v[4:5], 3, v[4:5]
	s_waitcnt lgkmcnt(0)
	s_add_u32 s0, s12, s20
	s_addc_u32 s1, s13, s21
	s_add_u32 s8, s8, s20
	s_load_b64 s[0:1], s[0:1], 0x0
	s_addc_u32 s9, s9, s21
	v_mul_lo_u32 v12, v6, s15
	s_load_b64 s[8:9], s[8:9], 0x0
	v_mul_lo_u32 v15, v7, s14
	v_mad_u64_u32 v[13:14], null, v6, s14, 0
	s_delay_alu instid0(VALU_DEP_1) | instskip(SKIP_1) | instid1(VALU_DEP_2)
	v_add3_u32 v14, v14, v12, v15
	v_mov_b32_e32 v12, 0
	v_lshlrev_b64 v[2:3], 3, v[13:14]
	s_waitcnt lgkmcnt(0)
	v_add_co_u32 v13, s0, s0, v8
	s_delay_alu instid0(VALU_DEP_1) | instskip(SKIP_1) | instid1(VALU_DEP_3)
	v_add_co_ci_u32_e64 v14, null, s1, 0, s0
	v_add_co_u32 v15, s0, s8, v17
	v_add_co_u32 v2, vcc_lo, v13, v2
	v_mov_b32_e32 v13, 0
	v_add_nc_u32_e32 v9, 0x800, v16
	v_add_nc_u32_e32 v10, v8, v16
	v_add_co_ci_u32_e64 v16, null, s9, 0, s0
	v_add_co_ci_u32_e32 v3, vcc_lo, v14, v3, vcc_lo
	v_add_co_u32 v4, vcc_lo, v15, v4
	v_add_nc_u32_e32 v11, v9, v8
	s_delay_alu instid0(VALU_DEP_4)
	v_add_co_ci_u32_e32 v5, vcc_lo, v16, v5, vcc_lo
	s_mov_b64 s[0:1], 0
.LBB1581_2:                             ; =>This Inner Loop Header: Depth=1
	global_load_b64 v[14:15], v[4:5], off
	global_load_b64 v[16:17], v[2:3], off
	s_add_u32 s0, s0, 16
	v_add_co_u32 v2, vcc_lo, 0x80, v2
	s_addc_u32 s1, s1, 0
	v_add_co_ci_u32_e32 v3, vcc_lo, 0, v3, vcc_lo
	v_cmp_lt_i64_e64 s8, s[0:1], s[4:5]
	v_add_co_u32 v4, vcc_lo, 0x80, v4
	v_add_co_ci_u32_e32 v5, vcc_lo, 0, v5, vcc_lo
	s_waitcnt vmcnt(1)
	ds_store_b64 v10, v[14:15]
	s_waitcnt vmcnt(0)
	ds_store_b64 v11, v[16:17]
	s_waitcnt lgkmcnt(0)
	s_barrier
	buffer_gl0_inv
	ds_load_2addr_b64 v[14:17], v8 offset1:16
	ds_load_b128 v[18:21], v9
	ds_load_b128 v[22:25], v9 offset:16
	ds_load_2addr_b64 v[26:29], v8 offset0:32 offset1:48
	ds_load_2addr_b64 v[30:33], v8 offset0:64 offset1:80
	ds_load_b128 v[34:37], v9 offset:32
	ds_load_b128 v[38:41], v9 offset:48
	ds_load_2addr_b64 v[42:45], v8 offset0:96 offset1:112
	ds_load_2addr_b64 v[46:49], v8 offset0:128 offset1:144
	;; [unrolled: 1-line block ×3, first 2 shown]
	ds_load_b128 v[54:57], v9 offset:64
	ds_load_b128 v[58:61], v9 offset:80
	ds_load_2addr_b64 v[62:65], v8 offset0:192 offset1:208
	ds_load_2addr_b64 v[66:69], v8 offset0:224 offset1:240
	ds_load_b128 v[70:73], v9 offset:96
	ds_load_b128 v[74:77], v9 offset:112
	s_and_b32 vcc_lo, exec_lo, s8
	s_waitcnt lgkmcnt(0)
	s_barrier
	buffer_gl0_inv
	v_dual_mul_f32 v78, v19, v15 :: v_dual_mul_f32 v79, v21, v17
	v_mul_f32_e32 v15, v18, v15
	v_dual_mul_f32 v17, v20, v17 :: v_dual_mul_f32 v80, v23, v27
	v_mul_f32_e32 v27, v22, v27
	s_delay_alu instid0(VALU_DEP_4) | instskip(SKIP_1) | instid1(VALU_DEP_4)
	v_fma_f32 v18, v18, v14, -v78
	v_dual_mul_f32 v81, v25, v29 :: v_dual_mul_f32 v82, v35, v31
	v_fmac_f32_e32 v17, v21, v16
	s_delay_alu instid0(VALU_DEP_4) | instskip(SKIP_4) | instid1(VALU_DEP_4)
	v_fmac_f32_e32 v27, v23, v26
	v_fmac_f32_e32 v15, v19, v14
	v_mul_f32_e32 v85, v41, v45
	v_dual_mul_f32 v29, v24, v29 :: v_dual_mul_f32 v84, v39, v43
	v_mul_f32_e32 v45, v40, v45
	v_add_f32_e32 v12, v12, v15
	v_mul_f32_e32 v31, v34, v31
	v_dual_add_f32 v13, v13, v18 :: v_dual_mul_f32 v18, v74, v67
	v_mul_f32_e32 v19, v56, v49
	s_delay_alu instid0(VALU_DEP_4) | instskip(SKIP_1) | instid1(VALU_DEP_3)
	v_add_f32_e32 v12, v12, v17
	v_dual_mul_f32 v83, v37, v33 :: v_dual_mul_f32 v86, v55, v47
	v_dual_fmac_f32 v18, v75, v66 :: v_dual_fmac_f32 v19, v57, v48
	s_delay_alu instid0(VALU_DEP_3) | instskip(SKIP_3) | instid1(VALU_DEP_4)
	v_dual_fmac_f32 v29, v25, v28 :: v_dual_add_f32 v12, v12, v27
	v_mul_f32_e32 v33, v36, v33
	v_mul_f32_e32 v47, v54, v47
	v_fmac_f32_e32 v31, v35, v30
	v_dual_mul_f32 v43, v38, v43 :: v_dual_add_f32 v12, v12, v29
	v_fma_f32 v14, v20, v16, -v79
	v_dual_mul_f32 v20, v59, v51 :: v_dual_fmac_f32 v33, v37, v32
	v_mul_f32_e32 v16, v57, v49
	s_delay_alu instid0(VALU_DEP_4) | instskip(SKIP_3) | instid1(VALU_DEP_4)
	v_add_f32_e32 v12, v12, v31
	v_mul_f32_e32 v21, v58, v51
	v_add_f32_e32 v13, v13, v14
	v_dual_mul_f32 v14, v77, v69 :: v_dual_fmac_f32 v43, v39, v42
	v_add_f32_e32 v12, v12, v33
	v_mul_f32_e32 v49, v61, v53
	v_fmac_f32_e32 v45, v41, v44
	v_mul_f32_e32 v51, v60, v53
	s_delay_alu instid0(VALU_DEP_4) | instskip(SKIP_2) | instid1(VALU_DEP_4)
	v_dual_fmac_f32 v47, v55, v46 :: v_dual_add_f32 v12, v12, v43
	v_mul_f32_e32 v53, v71, v63
	v_fmac_f32_e32 v21, v59, v50
	v_fmac_f32_e32 v51, v61, v52
	v_mul_f32_e32 v25, v72, v65
	v_add_f32_e32 v12, v12, v45
	v_fma_f32 v22, v22, v26, -v80
	v_mul_f32_e32 v17, v76, v69
	v_fma_f32 v23, v24, v28, -v81
	s_delay_alu instid0(VALU_DEP_4) | instskip(SKIP_1) | instid1(VALU_DEP_4)
	v_dual_fmac_f32 v25, v73, v64 :: v_dual_add_f32 v12, v12, v47
	v_fma_f32 v16, v56, v48, -v16
	v_fmac_f32_e32 v17, v77, v68
	v_fma_f32 v20, v58, v50, -v20
	v_mul_f32_e32 v24, v73, v65
	v_add_f32_e32 v12, v12, v19
	v_mul_f32_e32 v63, v70, v63
	v_fma_f32 v19, v70, v62, -v53
	v_fma_f32 v14, v76, v68, -v14
	s_delay_alu instid0(VALU_DEP_3) | instskip(NEXT) | instid1(VALU_DEP_1)
	v_dual_add_f32 v12, v12, v21 :: v_dual_fmac_f32 v63, v71, v62
	v_add_f32_e32 v12, v12, v51
	s_delay_alu instid0(VALU_DEP_1) | instskip(NEXT) | instid1(VALU_DEP_1)
	v_add_f32_e32 v12, v12, v63
	v_dual_mul_f32 v15, v75, v67 :: v_dual_add_f32 v12, v12, v25
	s_delay_alu instid0(VALU_DEP_1) | instskip(NEXT) | instid1(VALU_DEP_2)
	v_fma_f32 v15, v74, v66, -v15
	v_add_f32_e32 v12, v12, v18
	v_add_f32_e32 v13, v13, v22
	v_fma_f32 v22, v34, v30, -v82
	s_delay_alu instid0(VALU_DEP_2) | instskip(SKIP_1) | instid1(VALU_DEP_2)
	v_dual_add_f32 v12, v12, v17 :: v_dual_add_f32 v13, v13, v23
	v_fma_f32 v23, v36, v32, -v83
	v_add_f32_e32 v13, v13, v22
	v_fma_f32 v22, v38, v42, -v84
	s_delay_alu instid0(VALU_DEP_2) | instskip(SKIP_1) | instid1(VALU_DEP_2)
	v_add_f32_e32 v13, v13, v23
	v_fma_f32 v23, v40, v44, -v85
	v_add_f32_e32 v13, v13, v22
	v_fma_f32 v22, v54, v46, -v86
	s_delay_alu instid0(VALU_DEP_2) | instskip(NEXT) | instid1(VALU_DEP_1)
	v_add_f32_e32 v13, v13, v23
	v_add_f32_e32 v13, v13, v22
	s_delay_alu instid0(VALU_DEP_1) | instskip(SKIP_1) | instid1(VALU_DEP_2)
	v_add_f32_e32 v13, v13, v16
	v_fma_f32 v16, v60, v52, -v49
	v_add_f32_e32 v13, v13, v20
	s_delay_alu instid0(VALU_DEP_1) | instskip(SKIP_1) | instid1(VALU_DEP_2)
	v_add_f32_e32 v13, v13, v16
	v_fma_f32 v16, v72, v64, -v24
	v_add_f32_e32 v13, v13, v19
	s_delay_alu instid0(VALU_DEP_1) | instskip(NEXT) | instid1(VALU_DEP_1)
	v_add_f32_e32 v13, v13, v16
	v_add_f32_e32 v13, v13, v15
	s_delay_alu instid0(VALU_DEP_1)
	v_add_f32_e32 v13, v13, v14
	s_cbranch_vccnz .LBB1581_2
.LBB1581_3:
	s_mov_b32 s0, exec_lo
	v_cmpx_le_i32_e64 v0, v6
	s_cbranch_execz .LBB1581_5
; %bb.4:
	v_mul_lo_u32 v4, v6, s19
	v_mul_lo_u32 v5, v7, s18
	v_mad_u64_u32 v[2:3], null, v6, s18, 0
	v_lshlrev_b64 v[0:1], 3, v[0:1]
	s_delay_alu instid0(VALU_DEP_2) | instskip(SKIP_2) | instid1(VALU_DEP_3)
	v_add3_u32 v3, v3, v4, v5
	v_mul_f32_e32 v5, s6, v12
	v_mul_f32_e32 v4, s7, v12
	v_lshlrev_b64 v[2:3], 3, v[2:3]
	s_delay_alu instid0(VALU_DEP_3) | instskip(NEXT) | instid1(VALU_DEP_3)
	v_fmac_f32_e32 v5, s7, v13
	v_fma_f32 v4, v13, s6, -v4
	s_waitcnt lgkmcnt(0)
	s_delay_alu instid0(VALU_DEP_3) | instskip(NEXT) | instid1(VALU_DEP_4)
	v_add_co_u32 v2, vcc_lo, s2, v2
	v_add_co_ci_u32_e32 v3, vcc_lo, s3, v3, vcc_lo
	s_delay_alu instid0(VALU_DEP_2) | instskip(NEXT) | instid1(VALU_DEP_2)
	v_add_co_u32 v0, vcc_lo, v2, v0
	v_add_co_ci_u32_e32 v1, vcc_lo, v3, v1, vcc_lo
	global_store_b64 v[0:1], v[4:5], off
.LBB1581_5:
	s_nop 0
	s_sendmsg sendmsg(MSG_DEALLOC_VGPRS)
	s_endpgm
	.section	.rodata,"a",@progbits
	.p2align	6, 0x0
	.amdhsa_kernel _ZL41rocblas_syrkx_herkx_small_restrict_kernelIl19rocblas_complex_numIfELi16ELb1ELb0ELc84ELc85EKPKS1_KPS1_EviT_T0_PT6_S7_lSA_S7_lS8_PT7_S7_li
		.amdhsa_group_segment_fixed_size 4096
		.amdhsa_private_segment_fixed_size 0
		.amdhsa_kernarg_size 108
		.amdhsa_user_sgpr_count 13
		.amdhsa_user_sgpr_dispatch_ptr 0
		.amdhsa_user_sgpr_queue_ptr 0
		.amdhsa_user_sgpr_kernarg_segment_ptr 1
		.amdhsa_user_sgpr_dispatch_id 0
		.amdhsa_user_sgpr_private_segment_size 0
		.amdhsa_wavefront_size32 1
		.amdhsa_uses_dynamic_stack 0
		.amdhsa_enable_private_segment 0
		.amdhsa_system_sgpr_workgroup_id_x 1
		.amdhsa_system_sgpr_workgroup_id_y 1
		.amdhsa_system_sgpr_workgroup_id_z 1
		.amdhsa_system_sgpr_workgroup_info 0
		.amdhsa_system_vgpr_workitem_id 1
		.amdhsa_next_free_vgpr 87
		.amdhsa_next_free_sgpr 22
		.amdhsa_reserve_vcc 1
		.amdhsa_float_round_mode_32 0
		.amdhsa_float_round_mode_16_64 0
		.amdhsa_float_denorm_mode_32 3
		.amdhsa_float_denorm_mode_16_64 3
		.amdhsa_dx10_clamp 1
		.amdhsa_ieee_mode 1
		.amdhsa_fp16_overflow 0
		.amdhsa_workgroup_processor_mode 1
		.amdhsa_memory_ordered 1
		.amdhsa_forward_progress 0
		.amdhsa_shared_vgpr_count 0
		.amdhsa_exception_fp_ieee_invalid_op 0
		.amdhsa_exception_fp_denorm_src 0
		.amdhsa_exception_fp_ieee_div_zero 0
		.amdhsa_exception_fp_ieee_overflow 0
		.amdhsa_exception_fp_ieee_underflow 0
		.amdhsa_exception_fp_ieee_inexact 0
		.amdhsa_exception_int_div_zero 0
	.end_amdhsa_kernel
	.section	.text._ZL41rocblas_syrkx_herkx_small_restrict_kernelIl19rocblas_complex_numIfELi16ELb1ELb0ELc84ELc85EKPKS1_KPS1_EviT_T0_PT6_S7_lSA_S7_lS8_PT7_S7_li,"axG",@progbits,_ZL41rocblas_syrkx_herkx_small_restrict_kernelIl19rocblas_complex_numIfELi16ELb1ELb0ELc84ELc85EKPKS1_KPS1_EviT_T0_PT6_S7_lSA_S7_lS8_PT7_S7_li,comdat
.Lfunc_end1581:
	.size	_ZL41rocblas_syrkx_herkx_small_restrict_kernelIl19rocblas_complex_numIfELi16ELb1ELb0ELc84ELc85EKPKS1_KPS1_EviT_T0_PT6_S7_lSA_S7_lS8_PT7_S7_li, .Lfunc_end1581-_ZL41rocblas_syrkx_herkx_small_restrict_kernelIl19rocblas_complex_numIfELi16ELb1ELb0ELc84ELc85EKPKS1_KPS1_EviT_T0_PT6_S7_lSA_S7_lS8_PT7_S7_li
                                        ; -- End function
	.section	.AMDGPU.csdata,"",@progbits
; Kernel info:
; codeLenInByte = 1288
; NumSgprs: 24
; NumVgprs: 87
; ScratchSize: 0
; MemoryBound: 0
; FloatMode: 240
; IeeeMode: 1
; LDSByteSize: 4096 bytes/workgroup (compile time only)
; SGPRBlocks: 2
; VGPRBlocks: 10
; NumSGPRsForWavesPerEU: 24
; NumVGPRsForWavesPerEU: 87
; Occupancy: 16
; WaveLimiterHint : 1
; COMPUTE_PGM_RSRC2:SCRATCH_EN: 0
; COMPUTE_PGM_RSRC2:USER_SGPR: 13
; COMPUTE_PGM_RSRC2:TRAP_HANDLER: 0
; COMPUTE_PGM_RSRC2:TGID_X_EN: 1
; COMPUTE_PGM_RSRC2:TGID_Y_EN: 1
; COMPUTE_PGM_RSRC2:TGID_Z_EN: 1
; COMPUTE_PGM_RSRC2:TIDIG_COMP_CNT: 1
	.section	.text._ZL41rocblas_syrkx_herkx_small_restrict_kernelIl19rocblas_complex_numIfELi16ELb1ELb0ELc67ELc85EKPKS1_KPS1_EviT_T0_PT6_S7_lSA_S7_lS8_PT7_S7_li,"axG",@progbits,_ZL41rocblas_syrkx_herkx_small_restrict_kernelIl19rocblas_complex_numIfELi16ELb1ELb0ELc67ELc85EKPKS1_KPS1_EviT_T0_PT6_S7_lSA_S7_lS8_PT7_S7_li,comdat
	.globl	_ZL41rocblas_syrkx_herkx_small_restrict_kernelIl19rocblas_complex_numIfELi16ELb1ELb0ELc67ELc85EKPKS1_KPS1_EviT_T0_PT6_S7_lSA_S7_lS8_PT7_S7_li ; -- Begin function _ZL41rocblas_syrkx_herkx_small_restrict_kernelIl19rocblas_complex_numIfELi16ELb1ELb0ELc67ELc85EKPKS1_KPS1_EviT_T0_PT6_S7_lSA_S7_lS8_PT7_S7_li
	.p2align	8
	.type	_ZL41rocblas_syrkx_herkx_small_restrict_kernelIl19rocblas_complex_numIfELi16ELb1ELb0ELc67ELc85EKPKS1_KPS1_EviT_T0_PT6_S7_lSA_S7_lS8_PT7_S7_li,@function
_ZL41rocblas_syrkx_herkx_small_restrict_kernelIl19rocblas_complex_numIfELi16ELb1ELb0ELc67ELc85EKPKS1_KPS1_EviT_T0_PT6_S7_lSA_S7_lS8_PT7_S7_li: ; @_ZL41rocblas_syrkx_herkx_small_restrict_kernelIl19rocblas_complex_numIfELi16ELb1ELb0ELc67ELc85EKPKS1_KPS1_EviT_T0_PT6_S7_lSA_S7_lS8_PT7_S7_li
; %bb.0:
	s_clause 0x1
	s_load_b128 s[16:19], s[0:1], 0x50
	s_load_b256 s[4:11], s[0:1], 0x8
	s_mov_b32 s2, s15
	s_mov_b32 s3, 0
	v_dual_mov_b32 v12, 0 :: v_dual_and_b32 v3, 0x3ff, v0
	s_lshl_b64 s[20:21], s[2:3], 3
	v_bfe_u32 v2, v0, 10, 10
	v_mov_b32_e32 v13, 0
	s_delay_alu instid0(VALU_DEP_3) | instskip(NEXT) | instid1(VALU_DEP_3)
	v_lshl_add_u32 v0, s13, 4, v3
	v_lshl_add_u32 v6, s14, 4, v2
	s_delay_alu instid0(VALU_DEP_2) | instskip(NEXT) | instid1(VALU_DEP_2)
	v_ashrrev_i32_e32 v1, 31, v0
	v_ashrrev_i32_e32 v7, 31, v6
	s_waitcnt lgkmcnt(0)
	s_add_u32 s2, s16, s20
	s_addc_u32 s3, s17, s21
	v_cmp_lt_i64_e64 s12, s[4:5], 1
	s_load_b64 s[2:3], s[2:3], 0x0
	s_delay_alu instid0(VALU_DEP_1)
	s_and_b32 vcc_lo, exec_lo, s12
	s_cbranch_vccnz .LBB1582_3
; %bb.1:
	s_load_b128 s[12:15], s[0:1], 0x30
	v_mul_lo_u32 v8, s11, v0
	v_mul_lo_u32 v9, s10, v1
	v_mad_u64_u32 v[4:5], null, s10, v0, 0
	v_lshlrev_b32_e32 v10, 7, v2
	v_dual_mov_b32 v12, 0 :: v_dual_lshlrev_b32 v17, 3, v2
	s_delay_alu instid0(VALU_DEP_3) | instskip(SKIP_1) | instid1(VALU_DEP_2)
	v_add3_u32 v5, v5, v9, v8
	v_lshlrev_b32_e32 v8, 3, v3
	v_lshlrev_b64 v[2:3], 3, v[4:5]
	s_waitcnt lgkmcnt(0)
	s_add_u32 s0, s12, s20
	s_addc_u32 s1, s13, s21
	s_add_u32 s8, s8, s20
	s_load_b64 s[0:1], s[0:1], 0x0
	s_addc_u32 s9, s9, s21
	v_mul_lo_u32 v15, v6, s15
	s_load_b64 s[8:9], s[8:9], 0x0
	v_mul_lo_u32 v16, v7, s14
	v_mad_u64_u32 v[13:14], null, v6, s14, 0
	v_add_co_u32 v4, vcc_lo, v2, v17
	v_add_co_ci_u32_e32 v5, vcc_lo, 0, v3, vcc_lo
	s_delay_alu instid0(VALU_DEP_3) | instskip(NEXT) | instid1(VALU_DEP_1)
	v_add3_u32 v14, v14, v15, v16
	v_lshlrev_b64 v[2:3], 3, v[13:14]
	s_waitcnt lgkmcnt(0)
	v_add_co_u32 v13, s0, s0, v8
	s_delay_alu instid0(VALU_DEP_1) | instskip(SKIP_2) | instid1(VALU_DEP_4)
	v_add_co_ci_u32_e64 v14, null, s1, 0, s0
	v_add_co_u32 v4, vcc_lo, v4, s8
	v_add_co_ci_u32_e32 v5, vcc_lo, s9, v5, vcc_lo
	v_add_co_u32 v2, vcc_lo, v13, v2
	v_mov_b32_e32 v13, 0
	v_add_nc_u32_e32 v9, 0x800, v10
	v_add_co_ci_u32_e32 v3, vcc_lo, v14, v3, vcc_lo
	v_add_co_u32 v4, vcc_lo, v4, 4
	v_add_nc_u32_e32 v10, v8, v10
	s_delay_alu instid0(VALU_DEP_4)
	v_add_nc_u32_e32 v11, v9, v8
	v_add_co_ci_u32_e32 v5, vcc_lo, 0, v5, vcc_lo
	s_mov_b64 s[0:1], 0
.LBB1582_2:                             ; =>This Inner Loop Header: Depth=1
	global_load_b64 v[14:15], v[4:5], off offset:-4
	global_load_b64 v[16:17], v[2:3], off
	s_add_u32 s0, s0, 16
	v_add_co_u32 v2, vcc_lo, 0x80, v2
	s_addc_u32 s1, s1, 0
	v_add_co_ci_u32_e32 v3, vcc_lo, 0, v3, vcc_lo
	v_cmp_lt_i64_e64 s8, s[0:1], s[4:5]
	v_add_co_u32 v4, vcc_lo, 0x80, v4
	v_add_co_ci_u32_e32 v5, vcc_lo, 0, v5, vcc_lo
	s_waitcnt vmcnt(1)
	ds_store_b64 v10, v[14:15]
	s_waitcnt vmcnt(0)
	ds_store_b64 v11, v[16:17]
	s_waitcnt lgkmcnt(0)
	s_barrier
	buffer_gl0_inv
	ds_load_2addr_b64 v[14:17], v8 offset1:16
	ds_load_b128 v[18:21], v9
	ds_load_b128 v[22:25], v9 offset:16
	ds_load_2addr_b64 v[26:29], v8 offset0:32 offset1:48
	ds_load_2addr_b64 v[30:33], v8 offset0:64 offset1:80
	ds_load_b128 v[34:37], v9 offset:32
	ds_load_b128 v[38:41], v9 offset:48
	ds_load_2addr_b64 v[42:45], v8 offset0:96 offset1:112
	ds_load_2addr_b64 v[46:49], v8 offset0:128 offset1:144
	;; [unrolled: 1-line block ×3, first 2 shown]
	ds_load_b128 v[54:57], v9 offset:64
	ds_load_b128 v[58:61], v9 offset:80
	ds_load_2addr_b64 v[62:65], v8 offset0:192 offset1:208
	ds_load_2addr_b64 v[66:69], v8 offset0:224 offset1:240
	ds_load_b128 v[70:73], v9 offset:96
	ds_load_b128 v[74:77], v9 offset:112
	s_and_b32 vcc_lo, exec_lo, s8
	s_waitcnt lgkmcnt(0)
	s_barrier
	buffer_gl0_inv
	v_dual_mul_f32 v78, v19, v15 :: v_dual_mul_f32 v79, v21, v17
	v_mul_f32_e32 v15, v18, v15
	v_dual_mul_f32 v17, v20, v17 :: v_dual_mul_f32 v80, v23, v27
	v_mul_f32_e32 v27, v22, v27
	s_delay_alu instid0(VALU_DEP_4) | instskip(SKIP_1) | instid1(VALU_DEP_4)
	v_fma_f32 v18, v18, v14, -v78
	v_dual_mul_f32 v81, v25, v29 :: v_dual_mul_f32 v82, v35, v31
	v_fmac_f32_e32 v17, v21, v16
	s_delay_alu instid0(VALU_DEP_4) | instskip(SKIP_4) | instid1(VALU_DEP_4)
	v_fmac_f32_e32 v27, v23, v26
	v_fmac_f32_e32 v15, v19, v14
	v_mul_f32_e32 v85, v41, v45
	v_dual_mul_f32 v29, v24, v29 :: v_dual_mul_f32 v84, v39, v43
	v_mul_f32_e32 v45, v40, v45
	v_add_f32_e32 v12, v12, v15
	v_mul_f32_e32 v31, v34, v31
	v_dual_add_f32 v13, v13, v18 :: v_dual_mul_f32 v18, v74, v67
	v_mul_f32_e32 v19, v56, v49
	s_delay_alu instid0(VALU_DEP_4) | instskip(SKIP_1) | instid1(VALU_DEP_3)
	v_add_f32_e32 v12, v12, v17
	v_dual_mul_f32 v83, v37, v33 :: v_dual_mul_f32 v86, v55, v47
	v_dual_fmac_f32 v18, v75, v66 :: v_dual_fmac_f32 v19, v57, v48
	s_delay_alu instid0(VALU_DEP_3) | instskip(SKIP_3) | instid1(VALU_DEP_4)
	v_dual_fmac_f32 v29, v25, v28 :: v_dual_add_f32 v12, v12, v27
	v_mul_f32_e32 v33, v36, v33
	v_mul_f32_e32 v47, v54, v47
	v_fmac_f32_e32 v31, v35, v30
	v_dual_mul_f32 v43, v38, v43 :: v_dual_add_f32 v12, v12, v29
	v_fma_f32 v14, v20, v16, -v79
	v_dual_mul_f32 v20, v59, v51 :: v_dual_fmac_f32 v33, v37, v32
	v_mul_f32_e32 v16, v57, v49
	s_delay_alu instid0(VALU_DEP_4) | instskip(SKIP_3) | instid1(VALU_DEP_4)
	v_add_f32_e32 v12, v12, v31
	v_mul_f32_e32 v21, v58, v51
	v_add_f32_e32 v13, v13, v14
	v_dual_mul_f32 v14, v77, v69 :: v_dual_fmac_f32 v43, v39, v42
	v_add_f32_e32 v12, v12, v33
	v_mul_f32_e32 v49, v61, v53
	v_fmac_f32_e32 v45, v41, v44
	v_mul_f32_e32 v51, v60, v53
	s_delay_alu instid0(VALU_DEP_4) | instskip(SKIP_2) | instid1(VALU_DEP_4)
	v_dual_fmac_f32 v47, v55, v46 :: v_dual_add_f32 v12, v12, v43
	v_mul_f32_e32 v53, v71, v63
	v_fmac_f32_e32 v21, v59, v50
	v_fmac_f32_e32 v51, v61, v52
	v_mul_f32_e32 v25, v72, v65
	v_add_f32_e32 v12, v12, v45
	v_fma_f32 v22, v22, v26, -v80
	v_mul_f32_e32 v17, v76, v69
	v_fma_f32 v23, v24, v28, -v81
	s_delay_alu instid0(VALU_DEP_4) | instskip(SKIP_1) | instid1(VALU_DEP_4)
	v_dual_fmac_f32 v25, v73, v64 :: v_dual_add_f32 v12, v12, v47
	v_fma_f32 v16, v56, v48, -v16
	v_fmac_f32_e32 v17, v77, v68
	v_fma_f32 v20, v58, v50, -v20
	v_mul_f32_e32 v24, v73, v65
	v_add_f32_e32 v12, v12, v19
	v_mul_f32_e32 v63, v70, v63
	v_fma_f32 v19, v70, v62, -v53
	v_fma_f32 v14, v76, v68, -v14
	s_delay_alu instid0(VALU_DEP_3) | instskip(NEXT) | instid1(VALU_DEP_1)
	v_dual_add_f32 v12, v12, v21 :: v_dual_fmac_f32 v63, v71, v62
	v_add_f32_e32 v12, v12, v51
	s_delay_alu instid0(VALU_DEP_1) | instskip(NEXT) | instid1(VALU_DEP_1)
	v_add_f32_e32 v12, v12, v63
	v_dual_mul_f32 v15, v75, v67 :: v_dual_add_f32 v12, v12, v25
	s_delay_alu instid0(VALU_DEP_1) | instskip(NEXT) | instid1(VALU_DEP_2)
	v_fma_f32 v15, v74, v66, -v15
	v_add_f32_e32 v12, v12, v18
	v_add_f32_e32 v13, v13, v22
	v_fma_f32 v22, v34, v30, -v82
	s_delay_alu instid0(VALU_DEP_2) | instskip(SKIP_1) | instid1(VALU_DEP_2)
	v_dual_add_f32 v12, v12, v17 :: v_dual_add_f32 v13, v13, v23
	v_fma_f32 v23, v36, v32, -v83
	v_add_f32_e32 v13, v13, v22
	v_fma_f32 v22, v38, v42, -v84
	s_delay_alu instid0(VALU_DEP_2) | instskip(SKIP_1) | instid1(VALU_DEP_2)
	v_add_f32_e32 v13, v13, v23
	v_fma_f32 v23, v40, v44, -v85
	v_add_f32_e32 v13, v13, v22
	v_fma_f32 v22, v54, v46, -v86
	s_delay_alu instid0(VALU_DEP_2) | instskip(NEXT) | instid1(VALU_DEP_1)
	v_add_f32_e32 v13, v13, v23
	v_add_f32_e32 v13, v13, v22
	s_delay_alu instid0(VALU_DEP_1) | instskip(SKIP_1) | instid1(VALU_DEP_2)
	v_add_f32_e32 v13, v13, v16
	v_fma_f32 v16, v60, v52, -v49
	v_add_f32_e32 v13, v13, v20
	s_delay_alu instid0(VALU_DEP_1) | instskip(SKIP_1) | instid1(VALU_DEP_2)
	v_add_f32_e32 v13, v13, v16
	v_fma_f32 v16, v72, v64, -v24
	v_add_f32_e32 v13, v13, v19
	s_delay_alu instid0(VALU_DEP_1) | instskip(NEXT) | instid1(VALU_DEP_1)
	v_add_f32_e32 v13, v13, v16
	v_add_f32_e32 v13, v13, v15
	s_delay_alu instid0(VALU_DEP_1)
	v_add_f32_e32 v13, v13, v14
	s_cbranch_vccnz .LBB1582_2
.LBB1582_3:
	s_mov_b32 s0, exec_lo
	v_cmpx_le_i32_e64 v0, v6
	s_cbranch_execz .LBB1582_5
; %bb.4:
	v_mul_lo_u32 v4, v6, s19
	v_mul_lo_u32 v5, v7, s18
	v_mad_u64_u32 v[2:3], null, v6, s18, 0
	v_lshlrev_b64 v[0:1], 3, v[0:1]
	s_delay_alu instid0(VALU_DEP_2) | instskip(SKIP_2) | instid1(VALU_DEP_3)
	v_add3_u32 v3, v3, v4, v5
	v_mul_f32_e32 v5, s6, v12
	v_mul_f32_e32 v4, s7, v12
	v_lshlrev_b64 v[2:3], 3, v[2:3]
	s_delay_alu instid0(VALU_DEP_3) | instskip(NEXT) | instid1(VALU_DEP_3)
	v_fmac_f32_e32 v5, s7, v13
	v_fma_f32 v4, v13, s6, -v4
	s_waitcnt lgkmcnt(0)
	s_delay_alu instid0(VALU_DEP_3) | instskip(NEXT) | instid1(VALU_DEP_4)
	v_add_co_u32 v2, vcc_lo, s2, v2
	v_add_co_ci_u32_e32 v3, vcc_lo, s3, v3, vcc_lo
	s_delay_alu instid0(VALU_DEP_2) | instskip(NEXT) | instid1(VALU_DEP_2)
	v_add_co_u32 v0, vcc_lo, v2, v0
	v_add_co_ci_u32_e32 v1, vcc_lo, v3, v1, vcc_lo
	global_store_b64 v[0:1], v[4:5], off
.LBB1582_5:
	s_nop 0
	s_sendmsg sendmsg(MSG_DEALLOC_VGPRS)
	s_endpgm
	.section	.rodata,"a",@progbits
	.p2align	6, 0x0
	.amdhsa_kernel _ZL41rocblas_syrkx_herkx_small_restrict_kernelIl19rocblas_complex_numIfELi16ELb1ELb0ELc67ELc85EKPKS1_KPS1_EviT_T0_PT6_S7_lSA_S7_lS8_PT7_S7_li
		.amdhsa_group_segment_fixed_size 4096
		.amdhsa_private_segment_fixed_size 0
		.amdhsa_kernarg_size 108
		.amdhsa_user_sgpr_count 13
		.amdhsa_user_sgpr_dispatch_ptr 0
		.amdhsa_user_sgpr_queue_ptr 0
		.amdhsa_user_sgpr_kernarg_segment_ptr 1
		.amdhsa_user_sgpr_dispatch_id 0
		.amdhsa_user_sgpr_private_segment_size 0
		.amdhsa_wavefront_size32 1
		.amdhsa_uses_dynamic_stack 0
		.amdhsa_enable_private_segment 0
		.amdhsa_system_sgpr_workgroup_id_x 1
		.amdhsa_system_sgpr_workgroup_id_y 1
		.amdhsa_system_sgpr_workgroup_id_z 1
		.amdhsa_system_sgpr_workgroup_info 0
		.amdhsa_system_vgpr_workitem_id 1
		.amdhsa_next_free_vgpr 87
		.amdhsa_next_free_sgpr 22
		.amdhsa_reserve_vcc 1
		.amdhsa_float_round_mode_32 0
		.amdhsa_float_round_mode_16_64 0
		.amdhsa_float_denorm_mode_32 3
		.amdhsa_float_denorm_mode_16_64 3
		.amdhsa_dx10_clamp 1
		.amdhsa_ieee_mode 1
		.amdhsa_fp16_overflow 0
		.amdhsa_workgroup_processor_mode 1
		.amdhsa_memory_ordered 1
		.amdhsa_forward_progress 0
		.amdhsa_shared_vgpr_count 0
		.amdhsa_exception_fp_ieee_invalid_op 0
		.amdhsa_exception_fp_denorm_src 0
		.amdhsa_exception_fp_ieee_div_zero 0
		.amdhsa_exception_fp_ieee_overflow 0
		.amdhsa_exception_fp_ieee_underflow 0
		.amdhsa_exception_fp_ieee_inexact 0
		.amdhsa_exception_int_div_zero 0
	.end_amdhsa_kernel
	.section	.text._ZL41rocblas_syrkx_herkx_small_restrict_kernelIl19rocblas_complex_numIfELi16ELb1ELb0ELc67ELc85EKPKS1_KPS1_EviT_T0_PT6_S7_lSA_S7_lS8_PT7_S7_li,"axG",@progbits,_ZL41rocblas_syrkx_herkx_small_restrict_kernelIl19rocblas_complex_numIfELi16ELb1ELb0ELc67ELc85EKPKS1_KPS1_EviT_T0_PT6_S7_lSA_S7_lS8_PT7_S7_li,comdat
.Lfunc_end1582:
	.size	_ZL41rocblas_syrkx_herkx_small_restrict_kernelIl19rocblas_complex_numIfELi16ELb1ELb0ELc67ELc85EKPKS1_KPS1_EviT_T0_PT6_S7_lSA_S7_lS8_PT7_S7_li, .Lfunc_end1582-_ZL41rocblas_syrkx_herkx_small_restrict_kernelIl19rocblas_complex_numIfELi16ELb1ELb0ELc67ELc85EKPKS1_KPS1_EviT_T0_PT6_S7_lSA_S7_lS8_PT7_S7_li
                                        ; -- End function
	.section	.AMDGPU.csdata,"",@progbits
; Kernel info:
; codeLenInByte = 1296
; NumSgprs: 24
; NumVgprs: 87
; ScratchSize: 0
; MemoryBound: 0
; FloatMode: 240
; IeeeMode: 1
; LDSByteSize: 4096 bytes/workgroup (compile time only)
; SGPRBlocks: 2
; VGPRBlocks: 10
; NumSGPRsForWavesPerEU: 24
; NumVGPRsForWavesPerEU: 87
; Occupancy: 16
; WaveLimiterHint : 1
; COMPUTE_PGM_RSRC2:SCRATCH_EN: 0
; COMPUTE_PGM_RSRC2:USER_SGPR: 13
; COMPUTE_PGM_RSRC2:TRAP_HANDLER: 0
; COMPUTE_PGM_RSRC2:TGID_X_EN: 1
; COMPUTE_PGM_RSRC2:TGID_Y_EN: 1
; COMPUTE_PGM_RSRC2:TGID_Z_EN: 1
; COMPUTE_PGM_RSRC2:TIDIG_COMP_CNT: 1
	.section	.text._ZL41rocblas_syrkx_herkx_small_restrict_kernelIl19rocblas_complex_numIfELi16ELb1ELb0ELc78ELc85EKPKS1_KPS1_EviT_T0_PT6_S7_lSA_S7_lS8_PT7_S7_li,"axG",@progbits,_ZL41rocblas_syrkx_herkx_small_restrict_kernelIl19rocblas_complex_numIfELi16ELb1ELb0ELc78ELc85EKPKS1_KPS1_EviT_T0_PT6_S7_lSA_S7_lS8_PT7_S7_li,comdat
	.globl	_ZL41rocblas_syrkx_herkx_small_restrict_kernelIl19rocblas_complex_numIfELi16ELb1ELb0ELc78ELc85EKPKS1_KPS1_EviT_T0_PT6_S7_lSA_S7_lS8_PT7_S7_li ; -- Begin function _ZL41rocblas_syrkx_herkx_small_restrict_kernelIl19rocblas_complex_numIfELi16ELb1ELb0ELc78ELc85EKPKS1_KPS1_EviT_T0_PT6_S7_lSA_S7_lS8_PT7_S7_li
	.p2align	8
	.type	_ZL41rocblas_syrkx_herkx_small_restrict_kernelIl19rocblas_complex_numIfELi16ELb1ELb0ELc78ELc85EKPKS1_KPS1_EviT_T0_PT6_S7_lSA_S7_lS8_PT7_S7_li,@function
_ZL41rocblas_syrkx_herkx_small_restrict_kernelIl19rocblas_complex_numIfELi16ELb1ELb0ELc78ELc85EKPKS1_KPS1_EviT_T0_PT6_S7_lSA_S7_lS8_PT7_S7_li: ; @_ZL41rocblas_syrkx_herkx_small_restrict_kernelIl19rocblas_complex_numIfELi16ELb1ELb0ELc78ELc85EKPKS1_KPS1_EviT_T0_PT6_S7_lSA_S7_lS8_PT7_S7_li
; %bb.0:
	s_clause 0x1
	s_load_b128 s[16:19], s[0:1], 0x50
	s_load_b256 s[4:11], s[0:1], 0x8
	s_mov_b32 s2, s15
	s_mov_b32 s3, 0
	v_dual_mov_b32 v12, 0 :: v_dual_and_b32 v5, 0x3ff, v0
	s_lshl_b64 s[20:21], s[2:3], 3
	v_bfe_u32 v4, v0, 10, 10
	v_mov_b32_e32 v13, 0
	s_delay_alu instid0(VALU_DEP_3) | instskip(NEXT) | instid1(VALU_DEP_3)
	v_lshl_add_u32 v0, s13, 4, v5
	v_lshl_add_u32 v2, s14, 4, v4
	s_delay_alu instid0(VALU_DEP_2) | instskip(NEXT) | instid1(VALU_DEP_2)
	v_ashrrev_i32_e32 v1, 31, v0
	v_ashrrev_i32_e32 v3, 31, v2
	s_waitcnt lgkmcnt(0)
	s_add_u32 s2, s16, s20
	s_addc_u32 s3, s17, s21
	s_load_b64 s[16:17], s[2:3], 0x0
	v_cmp_lt_i64_e64 s2, s[4:5], 1
	s_delay_alu instid0(VALU_DEP_1)
	s_and_b32 vcc_lo, exec_lo, s2
	s_cbranch_vccnz .LBB1583_3
; %bb.1:
	s_load_b128 s[0:3], s[0:1], 0x30
	v_mad_u64_u32 v[13:14], null, s10, v4, 0
	v_lshlrev_b32_e32 v8, 3, v5
	v_lshlrev_b64 v[15:16], 3, v[2:3]
	v_lshlrev_b64 v[17:18], 3, v[0:1]
	s_delay_alu instid0(VALU_DEP_4)
	v_mov_b32_e32 v9, v14
	s_waitcnt lgkmcnt(0)
	v_mad_u64_u32 v[6:7], null, s2, v5, 0
	s_add_u32 s0, s0, s20
	s_addc_u32 s1, s1, s21
	s_add_u32 s8, s8, s20
	s_load_b64 s[0:1], s[0:1], 0x0
	s_addc_u32 s9, s9, s21
	s_load_b64 s[8:9], s[8:9], 0x0
	s_delay_alu instid0(VALU_DEP_1) | instskip(NEXT) | instid1(VALU_DEP_1)
	v_mad_u64_u32 v[10:11], null, s3, v5, v[7:8]
	v_mad_u64_u32 v[11:12], null, s11, v4, v[9:10]
	v_dual_mov_b32 v7, v10 :: v_dual_mov_b32 v12, 0
	v_lshlrev_b32_e32 v19, 7, v4
	s_delay_alu instid0(VALU_DEP_2) | instskip(NEXT) | instid1(VALU_DEP_2)
	v_lshlrev_b64 v[4:5], 3, v[6:7]
	v_dual_mov_b32 v14, v11 :: v_dual_add_nc_u32 v9, 0x800, v19
	v_add_nc_u32_e32 v10, v8, v19
	s_delay_alu instid0(VALU_DEP_3) | instskip(NEXT) | instid1(VALU_DEP_3)
	v_add_co_u32 v4, vcc_lo, v4, v15
	v_lshlrev_b64 v[6:7], 3, v[13:14]
	v_add_co_ci_u32_e32 v5, vcc_lo, v5, v16, vcc_lo
	v_add_nc_u32_e32 v11, v9, v8
	s_delay_alu instid0(VALU_DEP_3) | instskip(NEXT) | instid1(VALU_DEP_4)
	v_add_co_u32 v6, vcc_lo, v6, v17
	v_add_co_ci_u32_e32 v7, vcc_lo, v7, v18, vcc_lo
	s_waitcnt lgkmcnt(0)
	v_add_co_u32 v13, vcc_lo, v4, s0
	v_add_co_ci_u32_e32 v14, vcc_lo, s1, v5, vcc_lo
	v_add_co_u32 v4, vcc_lo, s8, v6
	v_add_co_ci_u32_e32 v5, vcc_lo, s9, v7, vcc_lo
	s_delay_alu instid0(VALU_DEP_4)
	v_add_co_u32 v6, vcc_lo, v13, 4
	v_mov_b32_e32 v13, 0
	v_add_co_ci_u32_e32 v7, vcc_lo, 0, v14, vcc_lo
	s_lshl_b64 s[0:1], s[2:3], 7
	s_lshl_b64 s[2:3], s[10:11], 7
	s_mov_b64 s[8:9], 0
.LBB1583_2:                             ; =>This Inner Loop Header: Depth=1
	global_load_b64 v[14:15], v[4:5], off
	global_load_b64 v[16:17], v[6:7], off offset:-4
	s_add_u32 s8, s8, 16
	v_add_co_u32 v6, vcc_lo, v6, s0
	s_addc_u32 s9, s9, 0
	v_add_co_ci_u32_e32 v7, vcc_lo, s1, v7, vcc_lo
	v_cmp_lt_i64_e64 s10, s[8:9], s[4:5]
	v_add_co_u32 v4, vcc_lo, v4, s2
	v_add_co_ci_u32_e32 v5, vcc_lo, s3, v5, vcc_lo
	s_waitcnt vmcnt(1)
	ds_store_b64 v10, v[14:15]
	s_waitcnt vmcnt(0)
	ds_store_b64 v11, v[16:17]
	s_waitcnt lgkmcnt(0)
	s_barrier
	buffer_gl0_inv
	ds_load_2addr_b64 v[14:17], v8 offset1:16
	ds_load_b128 v[18:21], v9
	ds_load_b128 v[22:25], v9 offset:16
	ds_load_2addr_b64 v[26:29], v8 offset0:32 offset1:48
	ds_load_2addr_b64 v[30:33], v8 offset0:64 offset1:80
	ds_load_b128 v[34:37], v9 offset:32
	ds_load_b128 v[38:41], v9 offset:48
	ds_load_2addr_b64 v[42:45], v8 offset0:96 offset1:112
	ds_load_2addr_b64 v[46:49], v8 offset0:128 offset1:144
	;; [unrolled: 1-line block ×3, first 2 shown]
	ds_load_b128 v[54:57], v9 offset:64
	ds_load_b128 v[58:61], v9 offset:80
	ds_load_2addr_b64 v[62:65], v8 offset0:192 offset1:208
	ds_load_2addr_b64 v[66:69], v8 offset0:224 offset1:240
	ds_load_b128 v[70:73], v9 offset:96
	ds_load_b128 v[74:77], v9 offset:112
	s_and_b32 vcc_lo, exec_lo, s10
	s_waitcnt lgkmcnt(0)
	s_barrier
	buffer_gl0_inv
	v_dual_mul_f32 v78, v19, v15 :: v_dual_mul_f32 v79, v21, v17
	v_mul_f32_e32 v15, v18, v15
	v_dual_mul_f32 v17, v20, v17 :: v_dual_mul_f32 v80, v23, v27
	v_mul_f32_e32 v27, v22, v27
	s_delay_alu instid0(VALU_DEP_4) | instskip(SKIP_1) | instid1(VALU_DEP_4)
	v_fma_f32 v18, v18, v14, -v78
	v_dual_mul_f32 v81, v25, v29 :: v_dual_mul_f32 v82, v35, v31
	v_fmac_f32_e32 v17, v21, v16
	s_delay_alu instid0(VALU_DEP_4) | instskip(SKIP_4) | instid1(VALU_DEP_4)
	v_fmac_f32_e32 v27, v23, v26
	v_fmac_f32_e32 v15, v19, v14
	v_mul_f32_e32 v85, v41, v45
	v_dual_mul_f32 v29, v24, v29 :: v_dual_mul_f32 v84, v39, v43
	v_mul_f32_e32 v45, v40, v45
	v_add_f32_e32 v12, v12, v15
	v_mul_f32_e32 v31, v34, v31
	v_dual_add_f32 v13, v13, v18 :: v_dual_mul_f32 v18, v74, v67
	v_mul_f32_e32 v19, v56, v49
	s_delay_alu instid0(VALU_DEP_4) | instskip(SKIP_1) | instid1(VALU_DEP_3)
	v_add_f32_e32 v12, v12, v17
	v_dual_mul_f32 v83, v37, v33 :: v_dual_mul_f32 v86, v55, v47
	v_dual_fmac_f32 v18, v75, v66 :: v_dual_fmac_f32 v19, v57, v48
	s_delay_alu instid0(VALU_DEP_3) | instskip(SKIP_3) | instid1(VALU_DEP_4)
	v_dual_fmac_f32 v29, v25, v28 :: v_dual_add_f32 v12, v12, v27
	v_mul_f32_e32 v33, v36, v33
	v_mul_f32_e32 v47, v54, v47
	v_fmac_f32_e32 v31, v35, v30
	v_dual_mul_f32 v43, v38, v43 :: v_dual_add_f32 v12, v12, v29
	v_fma_f32 v14, v20, v16, -v79
	v_dual_mul_f32 v20, v59, v51 :: v_dual_fmac_f32 v33, v37, v32
	v_mul_f32_e32 v16, v57, v49
	s_delay_alu instid0(VALU_DEP_4) | instskip(SKIP_3) | instid1(VALU_DEP_4)
	v_add_f32_e32 v12, v12, v31
	v_mul_f32_e32 v21, v58, v51
	v_add_f32_e32 v13, v13, v14
	v_dual_mul_f32 v14, v77, v69 :: v_dual_fmac_f32 v43, v39, v42
	v_add_f32_e32 v12, v12, v33
	v_mul_f32_e32 v49, v61, v53
	v_fmac_f32_e32 v45, v41, v44
	v_mul_f32_e32 v51, v60, v53
	s_delay_alu instid0(VALU_DEP_4) | instskip(SKIP_2) | instid1(VALU_DEP_4)
	v_dual_fmac_f32 v47, v55, v46 :: v_dual_add_f32 v12, v12, v43
	v_mul_f32_e32 v53, v71, v63
	v_fmac_f32_e32 v21, v59, v50
	v_fmac_f32_e32 v51, v61, v52
	v_mul_f32_e32 v25, v72, v65
	v_add_f32_e32 v12, v12, v45
	v_fma_f32 v22, v22, v26, -v80
	v_mul_f32_e32 v17, v76, v69
	v_fma_f32 v23, v24, v28, -v81
	s_delay_alu instid0(VALU_DEP_4) | instskip(SKIP_1) | instid1(VALU_DEP_4)
	v_dual_fmac_f32 v25, v73, v64 :: v_dual_add_f32 v12, v12, v47
	v_fma_f32 v16, v56, v48, -v16
	v_fmac_f32_e32 v17, v77, v68
	v_fma_f32 v20, v58, v50, -v20
	v_mul_f32_e32 v24, v73, v65
	v_add_f32_e32 v12, v12, v19
	v_mul_f32_e32 v63, v70, v63
	v_fma_f32 v19, v70, v62, -v53
	v_fma_f32 v14, v76, v68, -v14
	s_delay_alu instid0(VALU_DEP_3) | instskip(NEXT) | instid1(VALU_DEP_1)
	v_dual_add_f32 v12, v12, v21 :: v_dual_fmac_f32 v63, v71, v62
	v_add_f32_e32 v12, v12, v51
	s_delay_alu instid0(VALU_DEP_1) | instskip(NEXT) | instid1(VALU_DEP_1)
	v_add_f32_e32 v12, v12, v63
	v_dual_mul_f32 v15, v75, v67 :: v_dual_add_f32 v12, v12, v25
	s_delay_alu instid0(VALU_DEP_1) | instskip(NEXT) | instid1(VALU_DEP_2)
	v_fma_f32 v15, v74, v66, -v15
	v_add_f32_e32 v12, v12, v18
	v_add_f32_e32 v13, v13, v22
	v_fma_f32 v22, v34, v30, -v82
	s_delay_alu instid0(VALU_DEP_2) | instskip(SKIP_1) | instid1(VALU_DEP_2)
	v_dual_add_f32 v12, v12, v17 :: v_dual_add_f32 v13, v13, v23
	v_fma_f32 v23, v36, v32, -v83
	v_add_f32_e32 v13, v13, v22
	v_fma_f32 v22, v38, v42, -v84
	s_delay_alu instid0(VALU_DEP_2) | instskip(SKIP_1) | instid1(VALU_DEP_2)
	v_add_f32_e32 v13, v13, v23
	v_fma_f32 v23, v40, v44, -v85
	v_add_f32_e32 v13, v13, v22
	v_fma_f32 v22, v54, v46, -v86
	s_delay_alu instid0(VALU_DEP_2) | instskip(NEXT) | instid1(VALU_DEP_1)
	v_add_f32_e32 v13, v13, v23
	v_add_f32_e32 v13, v13, v22
	s_delay_alu instid0(VALU_DEP_1) | instskip(SKIP_1) | instid1(VALU_DEP_2)
	v_add_f32_e32 v13, v13, v16
	v_fma_f32 v16, v60, v52, -v49
	v_add_f32_e32 v13, v13, v20
	s_delay_alu instid0(VALU_DEP_1) | instskip(SKIP_1) | instid1(VALU_DEP_2)
	v_add_f32_e32 v13, v13, v16
	v_fma_f32 v16, v72, v64, -v24
	v_add_f32_e32 v13, v13, v19
	s_delay_alu instid0(VALU_DEP_1) | instskip(NEXT) | instid1(VALU_DEP_1)
	v_add_f32_e32 v13, v13, v16
	v_add_f32_e32 v13, v13, v15
	s_delay_alu instid0(VALU_DEP_1)
	v_add_f32_e32 v13, v13, v14
	s_cbranch_vccnz .LBB1583_2
.LBB1583_3:
	s_mov_b32 s0, exec_lo
	v_cmpx_le_i32_e64 v0, v2
	s_cbranch_execz .LBB1583_5
; %bb.4:
	v_mul_lo_u32 v5, v2, s19
	v_mul_lo_u32 v6, v3, s18
	v_mad_u64_u32 v[3:4], null, v2, s18, 0
	v_lshlrev_b64 v[0:1], 3, v[0:1]
	s_delay_alu instid0(VALU_DEP_2) | instskip(SKIP_2) | instid1(VALU_DEP_3)
	v_add3_u32 v4, v4, v5, v6
	v_mul_f32_e32 v5, s6, v12
	v_mul_f32_e32 v6, s7, v12
	v_lshlrev_b64 v[2:3], 3, v[3:4]
	s_delay_alu instid0(VALU_DEP_3) | instskip(NEXT) | instid1(VALU_DEP_3)
	v_fmac_f32_e32 v5, s7, v13
	v_fma_f32 v4, v13, s6, -v6
	s_waitcnt lgkmcnt(0)
	s_delay_alu instid0(VALU_DEP_3) | instskip(NEXT) | instid1(VALU_DEP_4)
	v_add_co_u32 v2, vcc_lo, s16, v2
	v_add_co_ci_u32_e32 v3, vcc_lo, s17, v3, vcc_lo
	s_delay_alu instid0(VALU_DEP_2) | instskip(NEXT) | instid1(VALU_DEP_2)
	v_add_co_u32 v0, vcc_lo, v2, v0
	v_add_co_ci_u32_e32 v1, vcc_lo, v3, v1, vcc_lo
	global_store_b64 v[0:1], v[4:5], off
.LBB1583_5:
	s_nop 0
	s_sendmsg sendmsg(MSG_DEALLOC_VGPRS)
	s_endpgm
	.section	.rodata,"a",@progbits
	.p2align	6, 0x0
	.amdhsa_kernel _ZL41rocblas_syrkx_herkx_small_restrict_kernelIl19rocblas_complex_numIfELi16ELb1ELb0ELc78ELc85EKPKS1_KPS1_EviT_T0_PT6_S7_lSA_S7_lS8_PT7_S7_li
		.amdhsa_group_segment_fixed_size 4096
		.amdhsa_private_segment_fixed_size 0
		.amdhsa_kernarg_size 108
		.amdhsa_user_sgpr_count 13
		.amdhsa_user_sgpr_dispatch_ptr 0
		.amdhsa_user_sgpr_queue_ptr 0
		.amdhsa_user_sgpr_kernarg_segment_ptr 1
		.amdhsa_user_sgpr_dispatch_id 0
		.amdhsa_user_sgpr_private_segment_size 0
		.amdhsa_wavefront_size32 1
		.amdhsa_uses_dynamic_stack 0
		.amdhsa_enable_private_segment 0
		.amdhsa_system_sgpr_workgroup_id_x 1
		.amdhsa_system_sgpr_workgroup_id_y 1
		.amdhsa_system_sgpr_workgroup_id_z 1
		.amdhsa_system_sgpr_workgroup_info 0
		.amdhsa_system_vgpr_workitem_id 1
		.amdhsa_next_free_vgpr 87
		.amdhsa_next_free_sgpr 22
		.amdhsa_reserve_vcc 1
		.amdhsa_float_round_mode_32 0
		.amdhsa_float_round_mode_16_64 0
		.amdhsa_float_denorm_mode_32 3
		.amdhsa_float_denorm_mode_16_64 3
		.amdhsa_dx10_clamp 1
		.amdhsa_ieee_mode 1
		.amdhsa_fp16_overflow 0
		.amdhsa_workgroup_processor_mode 1
		.amdhsa_memory_ordered 1
		.amdhsa_forward_progress 0
		.amdhsa_shared_vgpr_count 0
		.amdhsa_exception_fp_ieee_invalid_op 0
		.amdhsa_exception_fp_denorm_src 0
		.amdhsa_exception_fp_ieee_div_zero 0
		.amdhsa_exception_fp_ieee_overflow 0
		.amdhsa_exception_fp_ieee_underflow 0
		.amdhsa_exception_fp_ieee_inexact 0
		.amdhsa_exception_int_div_zero 0
	.end_amdhsa_kernel
	.section	.text._ZL41rocblas_syrkx_herkx_small_restrict_kernelIl19rocblas_complex_numIfELi16ELb1ELb0ELc78ELc85EKPKS1_KPS1_EviT_T0_PT6_S7_lSA_S7_lS8_PT7_S7_li,"axG",@progbits,_ZL41rocblas_syrkx_herkx_small_restrict_kernelIl19rocblas_complex_numIfELi16ELb1ELb0ELc78ELc85EKPKS1_KPS1_EviT_T0_PT6_S7_lSA_S7_lS8_PT7_S7_li,comdat
.Lfunc_end1583:
	.size	_ZL41rocblas_syrkx_herkx_small_restrict_kernelIl19rocblas_complex_numIfELi16ELb1ELb0ELc78ELc85EKPKS1_KPS1_EviT_T0_PT6_S7_lSA_S7_lS8_PT7_S7_li, .Lfunc_end1583-_ZL41rocblas_syrkx_herkx_small_restrict_kernelIl19rocblas_complex_numIfELi16ELb1ELb0ELc78ELc85EKPKS1_KPS1_EviT_T0_PT6_S7_lSA_S7_lS8_PT7_S7_li
                                        ; -- End function
	.section	.AMDGPU.csdata,"",@progbits
; Kernel info:
; codeLenInByte = 1292
; NumSgprs: 24
; NumVgprs: 87
; ScratchSize: 0
; MemoryBound: 0
; FloatMode: 240
; IeeeMode: 1
; LDSByteSize: 4096 bytes/workgroup (compile time only)
; SGPRBlocks: 2
; VGPRBlocks: 10
; NumSGPRsForWavesPerEU: 24
; NumVGPRsForWavesPerEU: 87
; Occupancy: 16
; WaveLimiterHint : 1
; COMPUTE_PGM_RSRC2:SCRATCH_EN: 0
; COMPUTE_PGM_RSRC2:USER_SGPR: 13
; COMPUTE_PGM_RSRC2:TRAP_HANDLER: 0
; COMPUTE_PGM_RSRC2:TGID_X_EN: 1
; COMPUTE_PGM_RSRC2:TGID_Y_EN: 1
; COMPUTE_PGM_RSRC2:TGID_Z_EN: 1
; COMPUTE_PGM_RSRC2:TIDIG_COMP_CNT: 1
	.section	.text._ZL41rocblas_syrkx_herkx_small_restrict_kernelIl19rocblas_complex_numIfELi16ELb0ELb0ELc84ELc76EKPKS1_KPS1_EviT_T0_PT6_S7_lSA_S7_lS8_PT7_S7_li,"axG",@progbits,_ZL41rocblas_syrkx_herkx_small_restrict_kernelIl19rocblas_complex_numIfELi16ELb0ELb0ELc84ELc76EKPKS1_KPS1_EviT_T0_PT6_S7_lSA_S7_lS8_PT7_S7_li,comdat
	.globl	_ZL41rocblas_syrkx_herkx_small_restrict_kernelIl19rocblas_complex_numIfELi16ELb0ELb0ELc84ELc76EKPKS1_KPS1_EviT_T0_PT6_S7_lSA_S7_lS8_PT7_S7_li ; -- Begin function _ZL41rocblas_syrkx_herkx_small_restrict_kernelIl19rocblas_complex_numIfELi16ELb0ELb0ELc84ELc76EKPKS1_KPS1_EviT_T0_PT6_S7_lSA_S7_lS8_PT7_S7_li
	.p2align	8
	.type	_ZL41rocblas_syrkx_herkx_small_restrict_kernelIl19rocblas_complex_numIfELi16ELb0ELb0ELc84ELc76EKPKS1_KPS1_EviT_T0_PT6_S7_lSA_S7_lS8_PT7_S7_li,@function
_ZL41rocblas_syrkx_herkx_small_restrict_kernelIl19rocblas_complex_numIfELi16ELb0ELb0ELc84ELc76EKPKS1_KPS1_EviT_T0_PT6_S7_lSA_S7_lS8_PT7_S7_li: ; @_ZL41rocblas_syrkx_herkx_small_restrict_kernelIl19rocblas_complex_numIfELi16ELb0ELb0ELc84ELc76EKPKS1_KPS1_EviT_T0_PT6_S7_lSA_S7_lS8_PT7_S7_li
; %bb.0:
	s_clause 0x1
	s_load_b128 s[16:19], s[0:1], 0x48
	s_load_b256 s[4:11], s[0:1], 0x8
	s_mov_b32 s2, s15
	s_mov_b32 s3, 0
	v_dual_mov_b32 v13, 0 :: v_dual_and_b32 v2, 0x3ff, v0
	s_lshl_b64 s[20:21], s[2:3], 3
	v_bfe_u32 v3, v0, 10, 10
	v_mov_b32_e32 v12, 0
	s_delay_alu instid0(VALU_DEP_3) | instskip(NEXT) | instid1(VALU_DEP_3)
	v_lshl_add_u32 v0, s13, 4, v2
	v_lshl_add_u32 v6, s14, 4, v3
	s_delay_alu instid0(VALU_DEP_2) | instskip(NEXT) | instid1(VALU_DEP_2)
	v_ashrrev_i32_e32 v1, 31, v0
	v_ashrrev_i32_e32 v7, 31, v6
	s_waitcnt lgkmcnt(0)
	s_add_u32 s2, s18, s20
	s_addc_u32 s3, s19, s21
	s_load_b64 s[18:19], s[0:1], 0x58
	s_load_b64 s[2:3], s[2:3], 0x0
	v_cmp_lt_i64_e64 s12, s[4:5], 1
	s_delay_alu instid0(VALU_DEP_1)
	s_and_b32 vcc_lo, exec_lo, s12
	s_cbranch_vccnz .LBB1584_3
; %bb.1:
	s_load_b128 s[12:15], s[0:1], 0x30
	v_mul_lo_u32 v10, v0, s11
	v_mul_lo_u32 v11, v1, s10
	v_mad_u64_u32 v[4:5], null, v0, s10, 0
	v_lshlrev_b32_e32 v8, 3, v2
	v_lshlrev_b32_e32 v17, 3, v3
	;; [unrolled: 1-line block ×3, first 2 shown]
	s_delay_alu instid0(VALU_DEP_4) | instskip(NEXT) | instid1(VALU_DEP_1)
	v_add3_u32 v5, v5, v10, v11
	v_lshlrev_b64 v[4:5], 3, v[4:5]
	s_waitcnt lgkmcnt(0)
	s_add_u32 s0, s12, s20
	s_addc_u32 s1, s13, s21
	s_add_u32 s8, s8, s20
	s_load_b64 s[0:1], s[0:1], 0x0
	s_addc_u32 s9, s9, s21
	v_mul_lo_u32 v12, v6, s15
	s_load_b64 s[8:9], s[8:9], 0x0
	v_mul_lo_u32 v15, v7, s14
	v_mad_u64_u32 v[13:14], null, v6, s14, 0
	s_delay_alu instid0(VALU_DEP_1) | instskip(SKIP_1) | instid1(VALU_DEP_2)
	v_add3_u32 v14, v14, v12, v15
	v_mov_b32_e32 v12, 0
	v_lshlrev_b64 v[2:3], 3, v[13:14]
	s_waitcnt lgkmcnt(0)
	v_add_co_u32 v13, s0, s0, v8
	s_delay_alu instid0(VALU_DEP_1) | instskip(SKIP_1) | instid1(VALU_DEP_3)
	v_add_co_ci_u32_e64 v14, null, s1, 0, s0
	v_add_co_u32 v15, s0, s8, v17
	v_add_co_u32 v2, vcc_lo, v13, v2
	v_mov_b32_e32 v13, 0
	v_add_nc_u32_e32 v9, 0x800, v16
	v_add_nc_u32_e32 v10, v8, v16
	v_add_co_ci_u32_e64 v16, null, s9, 0, s0
	v_add_co_ci_u32_e32 v3, vcc_lo, v14, v3, vcc_lo
	v_add_co_u32 v4, vcc_lo, v15, v4
	v_add_nc_u32_e32 v11, v9, v8
	s_delay_alu instid0(VALU_DEP_4)
	v_add_co_ci_u32_e32 v5, vcc_lo, v16, v5, vcc_lo
	s_mov_b64 s[0:1], 0
.LBB1584_2:                             ; =>This Inner Loop Header: Depth=1
	global_load_b64 v[14:15], v[4:5], off
	global_load_b64 v[16:17], v[2:3], off
	s_add_u32 s0, s0, 16
	v_add_co_u32 v2, vcc_lo, 0x80, v2
	s_addc_u32 s1, s1, 0
	v_add_co_ci_u32_e32 v3, vcc_lo, 0, v3, vcc_lo
	v_cmp_lt_i64_e64 s8, s[0:1], s[4:5]
	v_add_co_u32 v4, vcc_lo, 0x80, v4
	v_add_co_ci_u32_e32 v5, vcc_lo, 0, v5, vcc_lo
	s_waitcnt vmcnt(1)
	ds_store_b64 v10, v[14:15]
	s_waitcnt vmcnt(0)
	ds_store_b64 v11, v[16:17]
	s_waitcnt lgkmcnt(0)
	s_barrier
	buffer_gl0_inv
	ds_load_2addr_b64 v[14:17], v8 offset1:16
	ds_load_b128 v[18:21], v9
	ds_load_b128 v[22:25], v9 offset:16
	ds_load_2addr_b64 v[26:29], v8 offset0:32 offset1:48
	ds_load_2addr_b64 v[30:33], v8 offset0:64 offset1:80
	ds_load_b128 v[34:37], v9 offset:32
	ds_load_b128 v[38:41], v9 offset:48
	ds_load_2addr_b64 v[42:45], v8 offset0:96 offset1:112
	ds_load_2addr_b64 v[46:49], v8 offset0:128 offset1:144
	;; [unrolled: 1-line block ×3, first 2 shown]
	ds_load_b128 v[54:57], v9 offset:64
	ds_load_b128 v[58:61], v9 offset:80
	ds_load_2addr_b64 v[62:65], v8 offset0:192 offset1:208
	ds_load_2addr_b64 v[66:69], v8 offset0:224 offset1:240
	ds_load_b128 v[70:73], v9 offset:96
	ds_load_b128 v[74:77], v9 offset:112
	s_and_b32 vcc_lo, exec_lo, s8
	s_waitcnt lgkmcnt(0)
	s_barrier
	buffer_gl0_inv
	v_dual_mul_f32 v78, v19, v15 :: v_dual_mul_f32 v79, v21, v17
	v_mul_f32_e32 v15, v18, v15
	v_dual_mul_f32 v17, v20, v17 :: v_dual_mul_f32 v80, v23, v27
	v_mul_f32_e32 v27, v22, v27
	s_delay_alu instid0(VALU_DEP_4) | instskip(SKIP_1) | instid1(VALU_DEP_4)
	v_fma_f32 v18, v18, v14, -v78
	v_dual_mul_f32 v81, v25, v29 :: v_dual_mul_f32 v82, v35, v31
	v_fmac_f32_e32 v17, v21, v16
	s_delay_alu instid0(VALU_DEP_4) | instskip(SKIP_4) | instid1(VALU_DEP_4)
	v_fmac_f32_e32 v27, v23, v26
	v_fmac_f32_e32 v15, v19, v14
	v_mul_f32_e32 v85, v41, v45
	v_dual_mul_f32 v29, v24, v29 :: v_dual_mul_f32 v84, v39, v43
	v_mul_f32_e32 v45, v40, v45
	v_add_f32_e32 v12, v12, v15
	v_mul_f32_e32 v31, v34, v31
	v_dual_add_f32 v13, v13, v18 :: v_dual_mul_f32 v18, v74, v67
	v_mul_f32_e32 v19, v56, v49
	s_delay_alu instid0(VALU_DEP_4) | instskip(SKIP_1) | instid1(VALU_DEP_3)
	v_add_f32_e32 v12, v12, v17
	v_dual_mul_f32 v83, v37, v33 :: v_dual_mul_f32 v86, v55, v47
	v_dual_fmac_f32 v18, v75, v66 :: v_dual_fmac_f32 v19, v57, v48
	s_delay_alu instid0(VALU_DEP_3) | instskip(SKIP_3) | instid1(VALU_DEP_4)
	v_dual_fmac_f32 v29, v25, v28 :: v_dual_add_f32 v12, v12, v27
	v_mul_f32_e32 v33, v36, v33
	v_mul_f32_e32 v47, v54, v47
	v_fmac_f32_e32 v31, v35, v30
	v_dual_mul_f32 v43, v38, v43 :: v_dual_add_f32 v12, v12, v29
	v_fma_f32 v14, v20, v16, -v79
	v_dual_mul_f32 v20, v59, v51 :: v_dual_fmac_f32 v33, v37, v32
	v_mul_f32_e32 v16, v57, v49
	s_delay_alu instid0(VALU_DEP_4) | instskip(SKIP_3) | instid1(VALU_DEP_4)
	v_add_f32_e32 v12, v12, v31
	v_mul_f32_e32 v21, v58, v51
	v_add_f32_e32 v13, v13, v14
	v_dual_mul_f32 v14, v77, v69 :: v_dual_fmac_f32 v43, v39, v42
	v_add_f32_e32 v12, v12, v33
	v_mul_f32_e32 v49, v61, v53
	v_fmac_f32_e32 v45, v41, v44
	v_mul_f32_e32 v51, v60, v53
	s_delay_alu instid0(VALU_DEP_4) | instskip(SKIP_2) | instid1(VALU_DEP_4)
	v_dual_fmac_f32 v47, v55, v46 :: v_dual_add_f32 v12, v12, v43
	v_mul_f32_e32 v53, v71, v63
	v_fmac_f32_e32 v21, v59, v50
	v_fmac_f32_e32 v51, v61, v52
	v_mul_f32_e32 v25, v72, v65
	v_add_f32_e32 v12, v12, v45
	v_fma_f32 v22, v22, v26, -v80
	v_mul_f32_e32 v17, v76, v69
	v_fma_f32 v23, v24, v28, -v81
	s_delay_alu instid0(VALU_DEP_4) | instskip(SKIP_1) | instid1(VALU_DEP_4)
	v_dual_fmac_f32 v25, v73, v64 :: v_dual_add_f32 v12, v12, v47
	v_fma_f32 v16, v56, v48, -v16
	v_fmac_f32_e32 v17, v77, v68
	v_fma_f32 v20, v58, v50, -v20
	v_mul_f32_e32 v24, v73, v65
	v_add_f32_e32 v12, v12, v19
	v_mul_f32_e32 v63, v70, v63
	v_fma_f32 v19, v70, v62, -v53
	v_fma_f32 v14, v76, v68, -v14
	s_delay_alu instid0(VALU_DEP_3) | instskip(NEXT) | instid1(VALU_DEP_1)
	v_dual_add_f32 v12, v12, v21 :: v_dual_fmac_f32 v63, v71, v62
	v_add_f32_e32 v12, v12, v51
	s_delay_alu instid0(VALU_DEP_1) | instskip(NEXT) | instid1(VALU_DEP_1)
	v_add_f32_e32 v12, v12, v63
	v_dual_mul_f32 v15, v75, v67 :: v_dual_add_f32 v12, v12, v25
	s_delay_alu instid0(VALU_DEP_1) | instskip(NEXT) | instid1(VALU_DEP_2)
	v_fma_f32 v15, v74, v66, -v15
	v_add_f32_e32 v12, v12, v18
	v_add_f32_e32 v13, v13, v22
	v_fma_f32 v22, v34, v30, -v82
	s_delay_alu instid0(VALU_DEP_2) | instskip(SKIP_1) | instid1(VALU_DEP_2)
	v_dual_add_f32 v12, v12, v17 :: v_dual_add_f32 v13, v13, v23
	v_fma_f32 v23, v36, v32, -v83
	v_add_f32_e32 v13, v13, v22
	v_fma_f32 v22, v38, v42, -v84
	s_delay_alu instid0(VALU_DEP_2) | instskip(SKIP_1) | instid1(VALU_DEP_2)
	v_add_f32_e32 v13, v13, v23
	v_fma_f32 v23, v40, v44, -v85
	v_add_f32_e32 v13, v13, v22
	v_fma_f32 v22, v54, v46, -v86
	s_delay_alu instid0(VALU_DEP_2) | instskip(NEXT) | instid1(VALU_DEP_1)
	v_add_f32_e32 v13, v13, v23
	v_add_f32_e32 v13, v13, v22
	s_delay_alu instid0(VALU_DEP_1) | instskip(SKIP_1) | instid1(VALU_DEP_2)
	v_add_f32_e32 v13, v13, v16
	v_fma_f32 v16, v60, v52, -v49
	v_add_f32_e32 v13, v13, v20
	s_delay_alu instid0(VALU_DEP_1) | instskip(SKIP_1) | instid1(VALU_DEP_2)
	v_add_f32_e32 v13, v13, v16
	v_fma_f32 v16, v72, v64, -v24
	v_add_f32_e32 v13, v13, v19
	s_delay_alu instid0(VALU_DEP_1) | instskip(NEXT) | instid1(VALU_DEP_1)
	v_add_f32_e32 v13, v13, v16
	v_add_f32_e32 v13, v13, v15
	s_delay_alu instid0(VALU_DEP_1)
	v_add_f32_e32 v13, v13, v14
	s_cbranch_vccnz .LBB1584_2
.LBB1584_3:
	s_mov_b32 s0, exec_lo
	v_cmpx_le_i32_e64 v6, v0
	s_cbranch_execz .LBB1584_5
; %bb.4:
	s_waitcnt lgkmcnt(0)
	v_mul_lo_u32 v4, v6, s19
	v_mul_lo_u32 v5, v7, s18
	v_mad_u64_u32 v[2:3], null, v6, s18, 0
	v_lshlrev_b64 v[0:1], 3, v[0:1]
	s_delay_alu instid0(VALU_DEP_2) | instskip(NEXT) | instid1(VALU_DEP_1)
	v_add3_u32 v3, v3, v4, v5
	v_lshlrev_b64 v[2:3], 3, v[2:3]
	s_delay_alu instid0(VALU_DEP_1) | instskip(NEXT) | instid1(VALU_DEP_2)
	v_add_co_u32 v2, vcc_lo, s2, v2
	v_add_co_ci_u32_e32 v3, vcc_lo, s3, v3, vcc_lo
	s_delay_alu instid0(VALU_DEP_2) | instskip(NEXT) | instid1(VALU_DEP_2)
	v_add_co_u32 v0, vcc_lo, v2, v0
	v_add_co_ci_u32_e32 v1, vcc_lo, v3, v1, vcc_lo
	global_load_b64 v[2:3], v[0:1], off
	v_mul_f32_e32 v4, s7, v12
	s_waitcnt vmcnt(0)
	v_dual_mul_f32 v5, s6, v12 :: v_dual_mul_f32 v6, s17, v3
	v_mul_f32_e32 v3, s16, v3
	s_delay_alu instid0(VALU_DEP_3) | instskip(NEXT) | instid1(VALU_DEP_3)
	v_fma_f32 v4, v13, s6, -v4
	v_fma_f32 v6, v2, s16, -v6
	s_delay_alu instid0(VALU_DEP_4) | instskip(NEXT) | instid1(VALU_DEP_4)
	v_fmac_f32_e32 v5, s7, v13
	v_fmac_f32_e32 v3, s17, v2
	s_delay_alu instid0(VALU_DEP_1)
	v_dual_add_f32 v2, v4, v6 :: v_dual_add_f32 v3, v5, v3
	global_store_b64 v[0:1], v[2:3], off
.LBB1584_5:
	s_nop 0
	s_sendmsg sendmsg(MSG_DEALLOC_VGPRS)
	s_endpgm
	.section	.rodata,"a",@progbits
	.p2align	6, 0x0
	.amdhsa_kernel _ZL41rocblas_syrkx_herkx_small_restrict_kernelIl19rocblas_complex_numIfELi16ELb0ELb0ELc84ELc76EKPKS1_KPS1_EviT_T0_PT6_S7_lSA_S7_lS8_PT7_S7_li
		.amdhsa_group_segment_fixed_size 4096
		.amdhsa_private_segment_fixed_size 0
		.amdhsa_kernarg_size 108
		.amdhsa_user_sgpr_count 13
		.amdhsa_user_sgpr_dispatch_ptr 0
		.amdhsa_user_sgpr_queue_ptr 0
		.amdhsa_user_sgpr_kernarg_segment_ptr 1
		.amdhsa_user_sgpr_dispatch_id 0
		.amdhsa_user_sgpr_private_segment_size 0
		.amdhsa_wavefront_size32 1
		.amdhsa_uses_dynamic_stack 0
		.amdhsa_enable_private_segment 0
		.amdhsa_system_sgpr_workgroup_id_x 1
		.amdhsa_system_sgpr_workgroup_id_y 1
		.amdhsa_system_sgpr_workgroup_id_z 1
		.amdhsa_system_sgpr_workgroup_info 0
		.amdhsa_system_vgpr_workitem_id 1
		.amdhsa_next_free_vgpr 87
		.amdhsa_next_free_sgpr 22
		.amdhsa_reserve_vcc 1
		.amdhsa_float_round_mode_32 0
		.amdhsa_float_round_mode_16_64 0
		.amdhsa_float_denorm_mode_32 3
		.amdhsa_float_denorm_mode_16_64 3
		.amdhsa_dx10_clamp 1
		.amdhsa_ieee_mode 1
		.amdhsa_fp16_overflow 0
		.amdhsa_workgroup_processor_mode 1
		.amdhsa_memory_ordered 1
		.amdhsa_forward_progress 0
		.amdhsa_shared_vgpr_count 0
		.amdhsa_exception_fp_ieee_invalid_op 0
		.amdhsa_exception_fp_denorm_src 0
		.amdhsa_exception_fp_ieee_div_zero 0
		.amdhsa_exception_fp_ieee_overflow 0
		.amdhsa_exception_fp_ieee_underflow 0
		.amdhsa_exception_fp_ieee_inexact 0
		.amdhsa_exception_int_div_zero 0
	.end_amdhsa_kernel
	.section	.text._ZL41rocblas_syrkx_herkx_small_restrict_kernelIl19rocblas_complex_numIfELi16ELb0ELb0ELc84ELc76EKPKS1_KPS1_EviT_T0_PT6_S7_lSA_S7_lS8_PT7_S7_li,"axG",@progbits,_ZL41rocblas_syrkx_herkx_small_restrict_kernelIl19rocblas_complex_numIfELi16ELb0ELb0ELc84ELc76EKPKS1_KPS1_EviT_T0_PT6_S7_lSA_S7_lS8_PT7_S7_li,comdat
.Lfunc_end1584:
	.size	_ZL41rocblas_syrkx_herkx_small_restrict_kernelIl19rocblas_complex_numIfELi16ELb0ELb0ELc84ELc76EKPKS1_KPS1_EviT_T0_PT6_S7_lSA_S7_lS8_PT7_S7_li, .Lfunc_end1584-_ZL41rocblas_syrkx_herkx_small_restrict_kernelIl19rocblas_complex_numIfELi16ELb0ELb0ELc84ELc76EKPKS1_KPS1_EviT_T0_PT6_S7_lSA_S7_lS8_PT7_S7_li
                                        ; -- End function
	.section	.AMDGPU.csdata,"",@progbits
; Kernel info:
; codeLenInByte = 1344
; NumSgprs: 24
; NumVgprs: 87
; ScratchSize: 0
; MemoryBound: 0
; FloatMode: 240
; IeeeMode: 1
; LDSByteSize: 4096 bytes/workgroup (compile time only)
; SGPRBlocks: 2
; VGPRBlocks: 10
; NumSGPRsForWavesPerEU: 24
; NumVGPRsForWavesPerEU: 87
; Occupancy: 16
; WaveLimiterHint : 1
; COMPUTE_PGM_RSRC2:SCRATCH_EN: 0
; COMPUTE_PGM_RSRC2:USER_SGPR: 13
; COMPUTE_PGM_RSRC2:TRAP_HANDLER: 0
; COMPUTE_PGM_RSRC2:TGID_X_EN: 1
; COMPUTE_PGM_RSRC2:TGID_Y_EN: 1
; COMPUTE_PGM_RSRC2:TGID_Z_EN: 1
; COMPUTE_PGM_RSRC2:TIDIG_COMP_CNT: 1
	.section	.text._ZL41rocblas_syrkx_herkx_small_restrict_kernelIl19rocblas_complex_numIfELi16ELb0ELb0ELc67ELc76EKPKS1_KPS1_EviT_T0_PT6_S7_lSA_S7_lS8_PT7_S7_li,"axG",@progbits,_ZL41rocblas_syrkx_herkx_small_restrict_kernelIl19rocblas_complex_numIfELi16ELb0ELb0ELc67ELc76EKPKS1_KPS1_EviT_T0_PT6_S7_lSA_S7_lS8_PT7_S7_li,comdat
	.globl	_ZL41rocblas_syrkx_herkx_small_restrict_kernelIl19rocblas_complex_numIfELi16ELb0ELb0ELc67ELc76EKPKS1_KPS1_EviT_T0_PT6_S7_lSA_S7_lS8_PT7_S7_li ; -- Begin function _ZL41rocblas_syrkx_herkx_small_restrict_kernelIl19rocblas_complex_numIfELi16ELb0ELb0ELc67ELc76EKPKS1_KPS1_EviT_T0_PT6_S7_lSA_S7_lS8_PT7_S7_li
	.p2align	8
	.type	_ZL41rocblas_syrkx_herkx_small_restrict_kernelIl19rocblas_complex_numIfELi16ELb0ELb0ELc67ELc76EKPKS1_KPS1_EviT_T0_PT6_S7_lSA_S7_lS8_PT7_S7_li,@function
_ZL41rocblas_syrkx_herkx_small_restrict_kernelIl19rocblas_complex_numIfELi16ELb0ELb0ELc67ELc76EKPKS1_KPS1_EviT_T0_PT6_S7_lSA_S7_lS8_PT7_S7_li: ; @_ZL41rocblas_syrkx_herkx_small_restrict_kernelIl19rocblas_complex_numIfELi16ELb0ELb0ELc67ELc76EKPKS1_KPS1_EviT_T0_PT6_S7_lSA_S7_lS8_PT7_S7_li
; %bb.0:
	s_clause 0x1
	s_load_b128 s[16:19], s[0:1], 0x48
	s_load_b256 s[4:11], s[0:1], 0x8
	s_mov_b32 s2, s15
	s_mov_b32 s3, 0
	v_dual_mov_b32 v12, 0 :: v_dual_and_b32 v3, 0x3ff, v0
	s_lshl_b64 s[20:21], s[2:3], 3
	v_bfe_u32 v2, v0, 10, 10
	v_mov_b32_e32 v13, 0
	s_delay_alu instid0(VALU_DEP_3) | instskip(NEXT) | instid1(VALU_DEP_3)
	v_lshl_add_u32 v0, s13, 4, v3
	v_lshl_add_u32 v6, s14, 4, v2
	s_delay_alu instid0(VALU_DEP_2) | instskip(NEXT) | instid1(VALU_DEP_2)
	v_ashrrev_i32_e32 v1, 31, v0
	v_ashrrev_i32_e32 v7, 31, v6
	s_waitcnt lgkmcnt(0)
	s_add_u32 s2, s18, s20
	s_addc_u32 s3, s19, s21
	s_load_b64 s[18:19], s[0:1], 0x58
	s_load_b64 s[2:3], s[2:3], 0x0
	v_cmp_lt_i64_e64 s12, s[4:5], 1
	s_delay_alu instid0(VALU_DEP_1)
	s_and_b32 vcc_lo, exec_lo, s12
	s_cbranch_vccnz .LBB1585_3
; %bb.1:
	s_load_b128 s[12:15], s[0:1], 0x30
	v_mul_lo_u32 v8, s11, v0
	v_mul_lo_u32 v9, s10, v1
	v_mad_u64_u32 v[4:5], null, s10, v0, 0
	v_lshlrev_b32_e32 v10, 7, v2
	v_dual_mov_b32 v12, 0 :: v_dual_lshlrev_b32 v17, 3, v2
	s_delay_alu instid0(VALU_DEP_3) | instskip(SKIP_1) | instid1(VALU_DEP_2)
	v_add3_u32 v5, v5, v9, v8
	v_lshlrev_b32_e32 v8, 3, v3
	v_lshlrev_b64 v[2:3], 3, v[4:5]
	s_waitcnt lgkmcnt(0)
	s_add_u32 s0, s12, s20
	s_addc_u32 s1, s13, s21
	s_add_u32 s8, s8, s20
	s_load_b64 s[0:1], s[0:1], 0x0
	s_addc_u32 s9, s9, s21
	v_mul_lo_u32 v15, v6, s15
	s_load_b64 s[8:9], s[8:9], 0x0
	v_mul_lo_u32 v16, v7, s14
	v_mad_u64_u32 v[13:14], null, v6, s14, 0
	v_add_co_u32 v4, vcc_lo, v2, v17
	v_add_co_ci_u32_e32 v5, vcc_lo, 0, v3, vcc_lo
	s_delay_alu instid0(VALU_DEP_3) | instskip(NEXT) | instid1(VALU_DEP_1)
	v_add3_u32 v14, v14, v15, v16
	v_lshlrev_b64 v[2:3], 3, v[13:14]
	s_waitcnt lgkmcnt(0)
	v_add_co_u32 v13, s0, s0, v8
	s_delay_alu instid0(VALU_DEP_1) | instskip(SKIP_2) | instid1(VALU_DEP_4)
	v_add_co_ci_u32_e64 v14, null, s1, 0, s0
	v_add_co_u32 v4, vcc_lo, v4, s8
	v_add_co_ci_u32_e32 v5, vcc_lo, s9, v5, vcc_lo
	v_add_co_u32 v2, vcc_lo, v13, v2
	v_mov_b32_e32 v13, 0
	v_add_nc_u32_e32 v9, 0x800, v10
	v_add_co_ci_u32_e32 v3, vcc_lo, v14, v3, vcc_lo
	v_add_co_u32 v4, vcc_lo, v4, 4
	v_add_nc_u32_e32 v10, v8, v10
	s_delay_alu instid0(VALU_DEP_4)
	v_add_nc_u32_e32 v11, v9, v8
	v_add_co_ci_u32_e32 v5, vcc_lo, 0, v5, vcc_lo
	s_mov_b64 s[0:1], 0
.LBB1585_2:                             ; =>This Inner Loop Header: Depth=1
	global_load_b64 v[14:15], v[4:5], off offset:-4
	global_load_b64 v[16:17], v[2:3], off
	s_add_u32 s0, s0, 16
	v_add_co_u32 v2, vcc_lo, 0x80, v2
	s_addc_u32 s1, s1, 0
	v_add_co_ci_u32_e32 v3, vcc_lo, 0, v3, vcc_lo
	v_cmp_lt_i64_e64 s8, s[0:1], s[4:5]
	v_add_co_u32 v4, vcc_lo, 0x80, v4
	v_add_co_ci_u32_e32 v5, vcc_lo, 0, v5, vcc_lo
	s_waitcnt vmcnt(1)
	ds_store_b64 v10, v[14:15]
	s_waitcnt vmcnt(0)
	ds_store_b64 v11, v[16:17]
	s_waitcnt lgkmcnt(0)
	s_barrier
	buffer_gl0_inv
	ds_load_2addr_b64 v[14:17], v8 offset1:16
	ds_load_b128 v[18:21], v9
	ds_load_b128 v[22:25], v9 offset:16
	ds_load_2addr_b64 v[26:29], v8 offset0:32 offset1:48
	ds_load_2addr_b64 v[30:33], v8 offset0:64 offset1:80
	ds_load_b128 v[34:37], v9 offset:32
	ds_load_b128 v[38:41], v9 offset:48
	ds_load_2addr_b64 v[42:45], v8 offset0:96 offset1:112
	ds_load_2addr_b64 v[46:49], v8 offset0:128 offset1:144
	;; [unrolled: 1-line block ×3, first 2 shown]
	ds_load_b128 v[54:57], v9 offset:64
	ds_load_b128 v[58:61], v9 offset:80
	ds_load_2addr_b64 v[62:65], v8 offset0:192 offset1:208
	ds_load_2addr_b64 v[66:69], v8 offset0:224 offset1:240
	ds_load_b128 v[70:73], v9 offset:96
	ds_load_b128 v[74:77], v9 offset:112
	s_and_b32 vcc_lo, exec_lo, s8
	s_waitcnt lgkmcnt(0)
	s_barrier
	buffer_gl0_inv
	v_dual_mul_f32 v78, v19, v15 :: v_dual_mul_f32 v79, v21, v17
	v_mul_f32_e32 v15, v18, v15
	v_dual_mul_f32 v17, v20, v17 :: v_dual_mul_f32 v80, v23, v27
	v_mul_f32_e32 v27, v22, v27
	s_delay_alu instid0(VALU_DEP_4) | instskip(SKIP_1) | instid1(VALU_DEP_4)
	v_fma_f32 v18, v18, v14, -v78
	v_dual_mul_f32 v81, v25, v29 :: v_dual_mul_f32 v82, v35, v31
	v_fmac_f32_e32 v17, v21, v16
	s_delay_alu instid0(VALU_DEP_4) | instskip(SKIP_4) | instid1(VALU_DEP_4)
	v_fmac_f32_e32 v27, v23, v26
	v_fmac_f32_e32 v15, v19, v14
	v_mul_f32_e32 v85, v41, v45
	v_dual_mul_f32 v29, v24, v29 :: v_dual_mul_f32 v84, v39, v43
	v_mul_f32_e32 v45, v40, v45
	v_add_f32_e32 v12, v12, v15
	v_mul_f32_e32 v31, v34, v31
	v_dual_add_f32 v13, v13, v18 :: v_dual_mul_f32 v18, v74, v67
	v_mul_f32_e32 v19, v56, v49
	s_delay_alu instid0(VALU_DEP_4) | instskip(SKIP_1) | instid1(VALU_DEP_3)
	v_add_f32_e32 v12, v12, v17
	v_dual_mul_f32 v83, v37, v33 :: v_dual_mul_f32 v86, v55, v47
	v_dual_fmac_f32 v18, v75, v66 :: v_dual_fmac_f32 v19, v57, v48
	s_delay_alu instid0(VALU_DEP_3) | instskip(SKIP_3) | instid1(VALU_DEP_4)
	v_dual_fmac_f32 v29, v25, v28 :: v_dual_add_f32 v12, v12, v27
	v_mul_f32_e32 v33, v36, v33
	v_mul_f32_e32 v47, v54, v47
	v_fmac_f32_e32 v31, v35, v30
	v_dual_mul_f32 v43, v38, v43 :: v_dual_add_f32 v12, v12, v29
	v_fma_f32 v14, v20, v16, -v79
	v_dual_mul_f32 v20, v59, v51 :: v_dual_fmac_f32 v33, v37, v32
	v_mul_f32_e32 v16, v57, v49
	s_delay_alu instid0(VALU_DEP_4) | instskip(SKIP_3) | instid1(VALU_DEP_4)
	v_add_f32_e32 v12, v12, v31
	v_mul_f32_e32 v21, v58, v51
	v_add_f32_e32 v13, v13, v14
	v_dual_mul_f32 v14, v77, v69 :: v_dual_fmac_f32 v43, v39, v42
	v_add_f32_e32 v12, v12, v33
	v_mul_f32_e32 v49, v61, v53
	v_fmac_f32_e32 v45, v41, v44
	v_mul_f32_e32 v51, v60, v53
	s_delay_alu instid0(VALU_DEP_4) | instskip(SKIP_2) | instid1(VALU_DEP_4)
	v_dual_fmac_f32 v47, v55, v46 :: v_dual_add_f32 v12, v12, v43
	v_mul_f32_e32 v53, v71, v63
	v_fmac_f32_e32 v21, v59, v50
	v_fmac_f32_e32 v51, v61, v52
	v_mul_f32_e32 v25, v72, v65
	v_add_f32_e32 v12, v12, v45
	v_fma_f32 v22, v22, v26, -v80
	v_mul_f32_e32 v17, v76, v69
	v_fma_f32 v23, v24, v28, -v81
	s_delay_alu instid0(VALU_DEP_4) | instskip(SKIP_1) | instid1(VALU_DEP_4)
	v_dual_fmac_f32 v25, v73, v64 :: v_dual_add_f32 v12, v12, v47
	v_fma_f32 v16, v56, v48, -v16
	v_fmac_f32_e32 v17, v77, v68
	v_fma_f32 v20, v58, v50, -v20
	v_mul_f32_e32 v24, v73, v65
	v_add_f32_e32 v12, v12, v19
	v_mul_f32_e32 v63, v70, v63
	v_fma_f32 v19, v70, v62, -v53
	v_fma_f32 v14, v76, v68, -v14
	s_delay_alu instid0(VALU_DEP_3) | instskip(NEXT) | instid1(VALU_DEP_1)
	v_dual_add_f32 v12, v12, v21 :: v_dual_fmac_f32 v63, v71, v62
	v_add_f32_e32 v12, v12, v51
	s_delay_alu instid0(VALU_DEP_1) | instskip(NEXT) | instid1(VALU_DEP_1)
	v_add_f32_e32 v12, v12, v63
	v_dual_mul_f32 v15, v75, v67 :: v_dual_add_f32 v12, v12, v25
	s_delay_alu instid0(VALU_DEP_1) | instskip(NEXT) | instid1(VALU_DEP_2)
	v_fma_f32 v15, v74, v66, -v15
	v_add_f32_e32 v12, v12, v18
	v_add_f32_e32 v13, v13, v22
	v_fma_f32 v22, v34, v30, -v82
	s_delay_alu instid0(VALU_DEP_2) | instskip(SKIP_1) | instid1(VALU_DEP_2)
	v_dual_add_f32 v12, v12, v17 :: v_dual_add_f32 v13, v13, v23
	v_fma_f32 v23, v36, v32, -v83
	v_add_f32_e32 v13, v13, v22
	v_fma_f32 v22, v38, v42, -v84
	s_delay_alu instid0(VALU_DEP_2) | instskip(SKIP_1) | instid1(VALU_DEP_2)
	v_add_f32_e32 v13, v13, v23
	v_fma_f32 v23, v40, v44, -v85
	v_add_f32_e32 v13, v13, v22
	v_fma_f32 v22, v54, v46, -v86
	s_delay_alu instid0(VALU_DEP_2) | instskip(NEXT) | instid1(VALU_DEP_1)
	v_add_f32_e32 v13, v13, v23
	v_add_f32_e32 v13, v13, v22
	s_delay_alu instid0(VALU_DEP_1) | instskip(SKIP_1) | instid1(VALU_DEP_2)
	v_add_f32_e32 v13, v13, v16
	v_fma_f32 v16, v60, v52, -v49
	v_add_f32_e32 v13, v13, v20
	s_delay_alu instid0(VALU_DEP_1) | instskip(SKIP_1) | instid1(VALU_DEP_2)
	v_add_f32_e32 v13, v13, v16
	v_fma_f32 v16, v72, v64, -v24
	v_add_f32_e32 v13, v13, v19
	s_delay_alu instid0(VALU_DEP_1) | instskip(NEXT) | instid1(VALU_DEP_1)
	v_add_f32_e32 v13, v13, v16
	v_add_f32_e32 v13, v13, v15
	s_delay_alu instid0(VALU_DEP_1)
	v_add_f32_e32 v13, v13, v14
	s_cbranch_vccnz .LBB1585_2
.LBB1585_3:
	s_mov_b32 s0, exec_lo
	v_cmpx_le_i32_e64 v6, v0
	s_cbranch_execz .LBB1585_5
; %bb.4:
	s_waitcnt lgkmcnt(0)
	v_mul_lo_u32 v4, v6, s19
	v_mul_lo_u32 v5, v7, s18
	v_mad_u64_u32 v[2:3], null, v6, s18, 0
	v_lshlrev_b64 v[0:1], 3, v[0:1]
	s_delay_alu instid0(VALU_DEP_2) | instskip(NEXT) | instid1(VALU_DEP_1)
	v_add3_u32 v3, v3, v4, v5
	v_lshlrev_b64 v[2:3], 3, v[2:3]
	s_delay_alu instid0(VALU_DEP_1) | instskip(NEXT) | instid1(VALU_DEP_2)
	v_add_co_u32 v2, vcc_lo, s2, v2
	v_add_co_ci_u32_e32 v3, vcc_lo, s3, v3, vcc_lo
	s_delay_alu instid0(VALU_DEP_2) | instskip(NEXT) | instid1(VALU_DEP_2)
	v_add_co_u32 v0, vcc_lo, v2, v0
	v_add_co_ci_u32_e32 v1, vcc_lo, v3, v1, vcc_lo
	global_load_b64 v[2:3], v[0:1], off
	v_mul_f32_e32 v4, s7, v12
	s_waitcnt vmcnt(0)
	v_dual_mul_f32 v5, s6, v12 :: v_dual_mul_f32 v6, s17, v3
	v_mul_f32_e32 v3, s16, v3
	s_delay_alu instid0(VALU_DEP_3) | instskip(NEXT) | instid1(VALU_DEP_3)
	v_fma_f32 v4, v13, s6, -v4
	v_fma_f32 v6, v2, s16, -v6
	s_delay_alu instid0(VALU_DEP_4) | instskip(NEXT) | instid1(VALU_DEP_4)
	v_fmac_f32_e32 v5, s7, v13
	v_fmac_f32_e32 v3, s17, v2
	s_delay_alu instid0(VALU_DEP_1)
	v_dual_add_f32 v2, v4, v6 :: v_dual_add_f32 v3, v5, v3
	global_store_b64 v[0:1], v[2:3], off
.LBB1585_5:
	s_nop 0
	s_sendmsg sendmsg(MSG_DEALLOC_VGPRS)
	s_endpgm
	.section	.rodata,"a",@progbits
	.p2align	6, 0x0
	.amdhsa_kernel _ZL41rocblas_syrkx_herkx_small_restrict_kernelIl19rocblas_complex_numIfELi16ELb0ELb0ELc67ELc76EKPKS1_KPS1_EviT_T0_PT6_S7_lSA_S7_lS8_PT7_S7_li
		.amdhsa_group_segment_fixed_size 4096
		.amdhsa_private_segment_fixed_size 0
		.amdhsa_kernarg_size 108
		.amdhsa_user_sgpr_count 13
		.amdhsa_user_sgpr_dispatch_ptr 0
		.amdhsa_user_sgpr_queue_ptr 0
		.amdhsa_user_sgpr_kernarg_segment_ptr 1
		.amdhsa_user_sgpr_dispatch_id 0
		.amdhsa_user_sgpr_private_segment_size 0
		.amdhsa_wavefront_size32 1
		.amdhsa_uses_dynamic_stack 0
		.amdhsa_enable_private_segment 0
		.amdhsa_system_sgpr_workgroup_id_x 1
		.amdhsa_system_sgpr_workgroup_id_y 1
		.amdhsa_system_sgpr_workgroup_id_z 1
		.amdhsa_system_sgpr_workgroup_info 0
		.amdhsa_system_vgpr_workitem_id 1
		.amdhsa_next_free_vgpr 87
		.amdhsa_next_free_sgpr 22
		.amdhsa_reserve_vcc 1
		.amdhsa_float_round_mode_32 0
		.amdhsa_float_round_mode_16_64 0
		.amdhsa_float_denorm_mode_32 3
		.amdhsa_float_denorm_mode_16_64 3
		.amdhsa_dx10_clamp 1
		.amdhsa_ieee_mode 1
		.amdhsa_fp16_overflow 0
		.amdhsa_workgroup_processor_mode 1
		.amdhsa_memory_ordered 1
		.amdhsa_forward_progress 0
		.amdhsa_shared_vgpr_count 0
		.amdhsa_exception_fp_ieee_invalid_op 0
		.amdhsa_exception_fp_denorm_src 0
		.amdhsa_exception_fp_ieee_div_zero 0
		.amdhsa_exception_fp_ieee_overflow 0
		.amdhsa_exception_fp_ieee_underflow 0
		.amdhsa_exception_fp_ieee_inexact 0
		.amdhsa_exception_int_div_zero 0
	.end_amdhsa_kernel
	.section	.text._ZL41rocblas_syrkx_herkx_small_restrict_kernelIl19rocblas_complex_numIfELi16ELb0ELb0ELc67ELc76EKPKS1_KPS1_EviT_T0_PT6_S7_lSA_S7_lS8_PT7_S7_li,"axG",@progbits,_ZL41rocblas_syrkx_herkx_small_restrict_kernelIl19rocblas_complex_numIfELi16ELb0ELb0ELc67ELc76EKPKS1_KPS1_EviT_T0_PT6_S7_lSA_S7_lS8_PT7_S7_li,comdat
.Lfunc_end1585:
	.size	_ZL41rocblas_syrkx_herkx_small_restrict_kernelIl19rocblas_complex_numIfELi16ELb0ELb0ELc67ELc76EKPKS1_KPS1_EviT_T0_PT6_S7_lSA_S7_lS8_PT7_S7_li, .Lfunc_end1585-_ZL41rocblas_syrkx_herkx_small_restrict_kernelIl19rocblas_complex_numIfELi16ELb0ELb0ELc67ELc76EKPKS1_KPS1_EviT_T0_PT6_S7_lSA_S7_lS8_PT7_S7_li
                                        ; -- End function
	.section	.AMDGPU.csdata,"",@progbits
; Kernel info:
; codeLenInByte = 1352
; NumSgprs: 24
; NumVgprs: 87
; ScratchSize: 0
; MemoryBound: 0
; FloatMode: 240
; IeeeMode: 1
; LDSByteSize: 4096 bytes/workgroup (compile time only)
; SGPRBlocks: 2
; VGPRBlocks: 10
; NumSGPRsForWavesPerEU: 24
; NumVGPRsForWavesPerEU: 87
; Occupancy: 16
; WaveLimiterHint : 1
; COMPUTE_PGM_RSRC2:SCRATCH_EN: 0
; COMPUTE_PGM_RSRC2:USER_SGPR: 13
; COMPUTE_PGM_RSRC2:TRAP_HANDLER: 0
; COMPUTE_PGM_RSRC2:TGID_X_EN: 1
; COMPUTE_PGM_RSRC2:TGID_Y_EN: 1
; COMPUTE_PGM_RSRC2:TGID_Z_EN: 1
; COMPUTE_PGM_RSRC2:TIDIG_COMP_CNT: 1
	.section	.text._ZL41rocblas_syrkx_herkx_small_restrict_kernelIl19rocblas_complex_numIfELi16ELb0ELb0ELc78ELc76EKPKS1_KPS1_EviT_T0_PT6_S7_lSA_S7_lS8_PT7_S7_li,"axG",@progbits,_ZL41rocblas_syrkx_herkx_small_restrict_kernelIl19rocblas_complex_numIfELi16ELb0ELb0ELc78ELc76EKPKS1_KPS1_EviT_T0_PT6_S7_lSA_S7_lS8_PT7_S7_li,comdat
	.globl	_ZL41rocblas_syrkx_herkx_small_restrict_kernelIl19rocblas_complex_numIfELi16ELb0ELb0ELc78ELc76EKPKS1_KPS1_EviT_T0_PT6_S7_lSA_S7_lS8_PT7_S7_li ; -- Begin function _ZL41rocblas_syrkx_herkx_small_restrict_kernelIl19rocblas_complex_numIfELi16ELb0ELb0ELc78ELc76EKPKS1_KPS1_EviT_T0_PT6_S7_lSA_S7_lS8_PT7_S7_li
	.p2align	8
	.type	_ZL41rocblas_syrkx_herkx_small_restrict_kernelIl19rocblas_complex_numIfELi16ELb0ELb0ELc78ELc76EKPKS1_KPS1_EviT_T0_PT6_S7_lSA_S7_lS8_PT7_S7_li,@function
_ZL41rocblas_syrkx_herkx_small_restrict_kernelIl19rocblas_complex_numIfELi16ELb0ELb0ELc78ELc76EKPKS1_KPS1_EviT_T0_PT6_S7_lSA_S7_lS8_PT7_S7_li: ; @_ZL41rocblas_syrkx_herkx_small_restrict_kernelIl19rocblas_complex_numIfELi16ELb0ELb0ELc78ELc76EKPKS1_KPS1_EviT_T0_PT6_S7_lSA_S7_lS8_PT7_S7_li
; %bb.0:
	s_clause 0x1
	s_load_b128 s[16:19], s[0:1], 0x48
	s_load_b256 s[4:11], s[0:1], 0x8
	s_mov_b32 s2, s15
	s_mov_b32 s3, 0
	v_dual_mov_b32 v12, 0 :: v_dual_and_b32 v5, 0x3ff, v0
	s_lshl_b64 s[22:23], s[2:3], 3
	v_bfe_u32 v4, v0, 10, 10
	v_mov_b32_e32 v13, 0
	s_delay_alu instid0(VALU_DEP_3) | instskip(NEXT) | instid1(VALU_DEP_3)
	v_lshl_add_u32 v0, s13, 4, v5
	v_lshl_add_u32 v2, s14, 4, v4
	s_delay_alu instid0(VALU_DEP_2) | instskip(NEXT) | instid1(VALU_DEP_2)
	v_ashrrev_i32_e32 v1, 31, v0
	v_ashrrev_i32_e32 v3, 31, v2
	s_waitcnt lgkmcnt(0)
	s_add_u32 s2, s18, s22
	s_addc_u32 s3, s19, s23
	s_load_b64 s[20:21], s[0:1], 0x58
	s_load_b64 s[18:19], s[2:3], 0x0
	v_cmp_lt_i64_e64 s2, s[4:5], 1
	s_delay_alu instid0(VALU_DEP_1)
	s_and_b32 vcc_lo, exec_lo, s2
	s_cbranch_vccnz .LBB1586_3
; %bb.1:
	s_load_b128 s[0:3], s[0:1], 0x30
	v_mad_u64_u32 v[13:14], null, s10, v4, 0
	v_lshlrev_b32_e32 v8, 3, v5
	v_lshlrev_b64 v[15:16], 3, v[2:3]
	v_lshlrev_b64 v[17:18], 3, v[0:1]
	s_delay_alu instid0(VALU_DEP_4)
	v_mov_b32_e32 v9, v14
	s_waitcnt lgkmcnt(0)
	v_mad_u64_u32 v[6:7], null, s2, v5, 0
	s_add_u32 s0, s0, s22
	s_addc_u32 s1, s1, s23
	s_add_u32 s8, s8, s22
	s_load_b64 s[0:1], s[0:1], 0x0
	s_addc_u32 s9, s9, s23
	s_load_b64 s[8:9], s[8:9], 0x0
	s_delay_alu instid0(VALU_DEP_1) | instskip(NEXT) | instid1(VALU_DEP_1)
	v_mad_u64_u32 v[10:11], null, s3, v5, v[7:8]
	v_mad_u64_u32 v[11:12], null, s11, v4, v[9:10]
	v_dual_mov_b32 v7, v10 :: v_dual_mov_b32 v12, 0
	v_lshlrev_b32_e32 v19, 7, v4
	s_delay_alu instid0(VALU_DEP_2) | instskip(NEXT) | instid1(VALU_DEP_2)
	v_lshlrev_b64 v[4:5], 3, v[6:7]
	v_dual_mov_b32 v14, v11 :: v_dual_add_nc_u32 v9, 0x800, v19
	v_add_nc_u32_e32 v10, v8, v19
	s_delay_alu instid0(VALU_DEP_3) | instskip(NEXT) | instid1(VALU_DEP_3)
	v_add_co_u32 v4, vcc_lo, v4, v15
	v_lshlrev_b64 v[6:7], 3, v[13:14]
	v_add_co_ci_u32_e32 v5, vcc_lo, v5, v16, vcc_lo
	v_add_nc_u32_e32 v11, v9, v8
	s_delay_alu instid0(VALU_DEP_3) | instskip(NEXT) | instid1(VALU_DEP_4)
	v_add_co_u32 v6, vcc_lo, v6, v17
	v_add_co_ci_u32_e32 v7, vcc_lo, v7, v18, vcc_lo
	s_waitcnt lgkmcnt(0)
	v_add_co_u32 v13, vcc_lo, v4, s0
	v_add_co_ci_u32_e32 v14, vcc_lo, s1, v5, vcc_lo
	v_add_co_u32 v4, vcc_lo, s8, v6
	v_add_co_ci_u32_e32 v5, vcc_lo, s9, v7, vcc_lo
	s_delay_alu instid0(VALU_DEP_4)
	v_add_co_u32 v6, vcc_lo, v13, 4
	v_mov_b32_e32 v13, 0
	v_add_co_ci_u32_e32 v7, vcc_lo, 0, v14, vcc_lo
	s_lshl_b64 s[0:1], s[2:3], 7
	s_lshl_b64 s[2:3], s[10:11], 7
	s_mov_b64 s[8:9], 0
.LBB1586_2:                             ; =>This Inner Loop Header: Depth=1
	global_load_b64 v[14:15], v[4:5], off
	global_load_b64 v[16:17], v[6:7], off offset:-4
	s_add_u32 s8, s8, 16
	v_add_co_u32 v6, vcc_lo, v6, s0
	s_addc_u32 s9, s9, 0
	v_add_co_ci_u32_e32 v7, vcc_lo, s1, v7, vcc_lo
	v_cmp_lt_i64_e64 s10, s[8:9], s[4:5]
	v_add_co_u32 v4, vcc_lo, v4, s2
	v_add_co_ci_u32_e32 v5, vcc_lo, s3, v5, vcc_lo
	s_waitcnt vmcnt(1)
	ds_store_b64 v10, v[14:15]
	s_waitcnt vmcnt(0)
	ds_store_b64 v11, v[16:17]
	s_waitcnt lgkmcnt(0)
	s_barrier
	buffer_gl0_inv
	ds_load_2addr_b64 v[14:17], v8 offset1:16
	ds_load_b128 v[18:21], v9
	ds_load_b128 v[22:25], v9 offset:16
	ds_load_2addr_b64 v[26:29], v8 offset0:32 offset1:48
	ds_load_2addr_b64 v[30:33], v8 offset0:64 offset1:80
	ds_load_b128 v[34:37], v9 offset:32
	ds_load_b128 v[38:41], v9 offset:48
	ds_load_2addr_b64 v[42:45], v8 offset0:96 offset1:112
	ds_load_2addr_b64 v[46:49], v8 offset0:128 offset1:144
	;; [unrolled: 1-line block ×3, first 2 shown]
	ds_load_b128 v[54:57], v9 offset:64
	ds_load_b128 v[58:61], v9 offset:80
	ds_load_2addr_b64 v[62:65], v8 offset0:192 offset1:208
	ds_load_2addr_b64 v[66:69], v8 offset0:224 offset1:240
	ds_load_b128 v[70:73], v9 offset:96
	ds_load_b128 v[74:77], v9 offset:112
	s_and_b32 vcc_lo, exec_lo, s10
	s_waitcnt lgkmcnt(0)
	s_barrier
	buffer_gl0_inv
	v_dual_mul_f32 v78, v19, v15 :: v_dual_mul_f32 v79, v21, v17
	v_mul_f32_e32 v15, v18, v15
	v_dual_mul_f32 v17, v20, v17 :: v_dual_mul_f32 v80, v23, v27
	v_mul_f32_e32 v27, v22, v27
	s_delay_alu instid0(VALU_DEP_4) | instskip(SKIP_1) | instid1(VALU_DEP_4)
	v_fma_f32 v18, v18, v14, -v78
	v_dual_mul_f32 v81, v25, v29 :: v_dual_mul_f32 v82, v35, v31
	v_fmac_f32_e32 v17, v21, v16
	s_delay_alu instid0(VALU_DEP_4) | instskip(SKIP_4) | instid1(VALU_DEP_4)
	v_fmac_f32_e32 v27, v23, v26
	v_fmac_f32_e32 v15, v19, v14
	v_mul_f32_e32 v85, v41, v45
	v_dual_mul_f32 v29, v24, v29 :: v_dual_mul_f32 v84, v39, v43
	v_mul_f32_e32 v45, v40, v45
	v_add_f32_e32 v12, v12, v15
	v_mul_f32_e32 v31, v34, v31
	v_dual_add_f32 v13, v13, v18 :: v_dual_mul_f32 v18, v74, v67
	v_mul_f32_e32 v19, v56, v49
	s_delay_alu instid0(VALU_DEP_4) | instskip(SKIP_1) | instid1(VALU_DEP_3)
	v_add_f32_e32 v12, v12, v17
	v_dual_mul_f32 v83, v37, v33 :: v_dual_mul_f32 v86, v55, v47
	v_dual_fmac_f32 v18, v75, v66 :: v_dual_fmac_f32 v19, v57, v48
	s_delay_alu instid0(VALU_DEP_3) | instskip(SKIP_3) | instid1(VALU_DEP_4)
	v_dual_fmac_f32 v29, v25, v28 :: v_dual_add_f32 v12, v12, v27
	v_mul_f32_e32 v33, v36, v33
	v_mul_f32_e32 v47, v54, v47
	v_fmac_f32_e32 v31, v35, v30
	v_dual_mul_f32 v43, v38, v43 :: v_dual_add_f32 v12, v12, v29
	v_fma_f32 v14, v20, v16, -v79
	v_dual_mul_f32 v20, v59, v51 :: v_dual_fmac_f32 v33, v37, v32
	v_mul_f32_e32 v16, v57, v49
	s_delay_alu instid0(VALU_DEP_4) | instskip(SKIP_3) | instid1(VALU_DEP_4)
	v_add_f32_e32 v12, v12, v31
	v_mul_f32_e32 v21, v58, v51
	v_add_f32_e32 v13, v13, v14
	v_dual_mul_f32 v14, v77, v69 :: v_dual_fmac_f32 v43, v39, v42
	v_add_f32_e32 v12, v12, v33
	v_mul_f32_e32 v49, v61, v53
	v_fmac_f32_e32 v45, v41, v44
	v_mul_f32_e32 v51, v60, v53
	s_delay_alu instid0(VALU_DEP_4) | instskip(SKIP_2) | instid1(VALU_DEP_4)
	v_dual_fmac_f32 v47, v55, v46 :: v_dual_add_f32 v12, v12, v43
	v_mul_f32_e32 v53, v71, v63
	v_fmac_f32_e32 v21, v59, v50
	v_fmac_f32_e32 v51, v61, v52
	v_mul_f32_e32 v25, v72, v65
	v_add_f32_e32 v12, v12, v45
	v_fma_f32 v22, v22, v26, -v80
	v_mul_f32_e32 v17, v76, v69
	v_fma_f32 v23, v24, v28, -v81
	s_delay_alu instid0(VALU_DEP_4) | instskip(SKIP_1) | instid1(VALU_DEP_4)
	v_dual_fmac_f32 v25, v73, v64 :: v_dual_add_f32 v12, v12, v47
	v_fma_f32 v16, v56, v48, -v16
	v_fmac_f32_e32 v17, v77, v68
	v_fma_f32 v20, v58, v50, -v20
	v_mul_f32_e32 v24, v73, v65
	v_add_f32_e32 v12, v12, v19
	v_mul_f32_e32 v63, v70, v63
	v_fma_f32 v19, v70, v62, -v53
	v_fma_f32 v14, v76, v68, -v14
	s_delay_alu instid0(VALU_DEP_3) | instskip(NEXT) | instid1(VALU_DEP_1)
	v_dual_add_f32 v12, v12, v21 :: v_dual_fmac_f32 v63, v71, v62
	v_add_f32_e32 v12, v12, v51
	s_delay_alu instid0(VALU_DEP_1) | instskip(NEXT) | instid1(VALU_DEP_1)
	v_add_f32_e32 v12, v12, v63
	v_dual_mul_f32 v15, v75, v67 :: v_dual_add_f32 v12, v12, v25
	s_delay_alu instid0(VALU_DEP_1) | instskip(NEXT) | instid1(VALU_DEP_2)
	v_fma_f32 v15, v74, v66, -v15
	v_add_f32_e32 v12, v12, v18
	v_add_f32_e32 v13, v13, v22
	v_fma_f32 v22, v34, v30, -v82
	s_delay_alu instid0(VALU_DEP_2) | instskip(SKIP_1) | instid1(VALU_DEP_2)
	v_dual_add_f32 v12, v12, v17 :: v_dual_add_f32 v13, v13, v23
	v_fma_f32 v23, v36, v32, -v83
	v_add_f32_e32 v13, v13, v22
	v_fma_f32 v22, v38, v42, -v84
	s_delay_alu instid0(VALU_DEP_2) | instskip(SKIP_1) | instid1(VALU_DEP_2)
	v_add_f32_e32 v13, v13, v23
	v_fma_f32 v23, v40, v44, -v85
	v_add_f32_e32 v13, v13, v22
	v_fma_f32 v22, v54, v46, -v86
	s_delay_alu instid0(VALU_DEP_2) | instskip(NEXT) | instid1(VALU_DEP_1)
	v_add_f32_e32 v13, v13, v23
	v_add_f32_e32 v13, v13, v22
	s_delay_alu instid0(VALU_DEP_1) | instskip(SKIP_1) | instid1(VALU_DEP_2)
	v_add_f32_e32 v13, v13, v16
	v_fma_f32 v16, v60, v52, -v49
	v_add_f32_e32 v13, v13, v20
	s_delay_alu instid0(VALU_DEP_1) | instskip(SKIP_1) | instid1(VALU_DEP_2)
	v_add_f32_e32 v13, v13, v16
	v_fma_f32 v16, v72, v64, -v24
	v_add_f32_e32 v13, v13, v19
	s_delay_alu instid0(VALU_DEP_1) | instskip(NEXT) | instid1(VALU_DEP_1)
	v_add_f32_e32 v13, v13, v16
	v_add_f32_e32 v13, v13, v15
	s_delay_alu instid0(VALU_DEP_1)
	v_add_f32_e32 v13, v13, v14
	s_cbranch_vccnz .LBB1586_2
.LBB1586_3:
	s_mov_b32 s0, exec_lo
	v_cmpx_le_i32_e64 v2, v0
	s_cbranch_execz .LBB1586_5
; %bb.4:
	s_waitcnt lgkmcnt(0)
	v_mul_lo_u32 v5, v2, s21
	v_mul_lo_u32 v6, v3, s20
	v_mad_u64_u32 v[3:4], null, v2, s20, 0
	v_lshlrev_b64 v[0:1], 3, v[0:1]
	s_delay_alu instid0(VALU_DEP_2) | instskip(NEXT) | instid1(VALU_DEP_1)
	v_add3_u32 v4, v4, v5, v6
	v_lshlrev_b64 v[2:3], 3, v[3:4]
	s_delay_alu instid0(VALU_DEP_1) | instskip(NEXT) | instid1(VALU_DEP_2)
	v_add_co_u32 v2, vcc_lo, s18, v2
	v_add_co_ci_u32_e32 v3, vcc_lo, s19, v3, vcc_lo
	s_delay_alu instid0(VALU_DEP_2) | instskip(NEXT) | instid1(VALU_DEP_2)
	v_add_co_u32 v0, vcc_lo, v2, v0
	v_add_co_ci_u32_e32 v1, vcc_lo, v3, v1, vcc_lo
	global_load_b64 v[2:3], v[0:1], off
	v_mul_f32_e32 v4, s7, v12
	s_waitcnt vmcnt(0)
	v_dual_mul_f32 v5, s6, v12 :: v_dual_mul_f32 v6, s17, v3
	v_mul_f32_e32 v3, s16, v3
	s_delay_alu instid0(VALU_DEP_3) | instskip(NEXT) | instid1(VALU_DEP_3)
	v_fma_f32 v4, v13, s6, -v4
	v_fma_f32 v6, v2, s16, -v6
	s_delay_alu instid0(VALU_DEP_4) | instskip(NEXT) | instid1(VALU_DEP_4)
	v_fmac_f32_e32 v5, s7, v13
	v_fmac_f32_e32 v3, s17, v2
	s_delay_alu instid0(VALU_DEP_1)
	v_dual_add_f32 v2, v4, v6 :: v_dual_add_f32 v3, v5, v3
	global_store_b64 v[0:1], v[2:3], off
.LBB1586_5:
	s_nop 0
	s_sendmsg sendmsg(MSG_DEALLOC_VGPRS)
	s_endpgm
	.section	.rodata,"a",@progbits
	.p2align	6, 0x0
	.amdhsa_kernel _ZL41rocblas_syrkx_herkx_small_restrict_kernelIl19rocblas_complex_numIfELi16ELb0ELb0ELc78ELc76EKPKS1_KPS1_EviT_T0_PT6_S7_lSA_S7_lS8_PT7_S7_li
		.amdhsa_group_segment_fixed_size 4096
		.amdhsa_private_segment_fixed_size 0
		.amdhsa_kernarg_size 108
		.amdhsa_user_sgpr_count 13
		.amdhsa_user_sgpr_dispatch_ptr 0
		.amdhsa_user_sgpr_queue_ptr 0
		.amdhsa_user_sgpr_kernarg_segment_ptr 1
		.amdhsa_user_sgpr_dispatch_id 0
		.amdhsa_user_sgpr_private_segment_size 0
		.amdhsa_wavefront_size32 1
		.amdhsa_uses_dynamic_stack 0
		.amdhsa_enable_private_segment 0
		.amdhsa_system_sgpr_workgroup_id_x 1
		.amdhsa_system_sgpr_workgroup_id_y 1
		.amdhsa_system_sgpr_workgroup_id_z 1
		.amdhsa_system_sgpr_workgroup_info 0
		.amdhsa_system_vgpr_workitem_id 1
		.amdhsa_next_free_vgpr 87
		.amdhsa_next_free_sgpr 24
		.amdhsa_reserve_vcc 1
		.amdhsa_float_round_mode_32 0
		.amdhsa_float_round_mode_16_64 0
		.amdhsa_float_denorm_mode_32 3
		.amdhsa_float_denorm_mode_16_64 3
		.amdhsa_dx10_clamp 1
		.amdhsa_ieee_mode 1
		.amdhsa_fp16_overflow 0
		.amdhsa_workgroup_processor_mode 1
		.amdhsa_memory_ordered 1
		.amdhsa_forward_progress 0
		.amdhsa_shared_vgpr_count 0
		.amdhsa_exception_fp_ieee_invalid_op 0
		.amdhsa_exception_fp_denorm_src 0
		.amdhsa_exception_fp_ieee_div_zero 0
		.amdhsa_exception_fp_ieee_overflow 0
		.amdhsa_exception_fp_ieee_underflow 0
		.amdhsa_exception_fp_ieee_inexact 0
		.amdhsa_exception_int_div_zero 0
	.end_amdhsa_kernel
	.section	.text._ZL41rocblas_syrkx_herkx_small_restrict_kernelIl19rocblas_complex_numIfELi16ELb0ELb0ELc78ELc76EKPKS1_KPS1_EviT_T0_PT6_S7_lSA_S7_lS8_PT7_S7_li,"axG",@progbits,_ZL41rocblas_syrkx_herkx_small_restrict_kernelIl19rocblas_complex_numIfELi16ELb0ELb0ELc78ELc76EKPKS1_KPS1_EviT_T0_PT6_S7_lSA_S7_lS8_PT7_S7_li,comdat
.Lfunc_end1586:
	.size	_ZL41rocblas_syrkx_herkx_small_restrict_kernelIl19rocblas_complex_numIfELi16ELb0ELb0ELc78ELc76EKPKS1_KPS1_EviT_T0_PT6_S7_lSA_S7_lS8_PT7_S7_li, .Lfunc_end1586-_ZL41rocblas_syrkx_herkx_small_restrict_kernelIl19rocblas_complex_numIfELi16ELb0ELb0ELc78ELc76EKPKS1_KPS1_EviT_T0_PT6_S7_lSA_S7_lS8_PT7_S7_li
                                        ; -- End function
	.section	.AMDGPU.csdata,"",@progbits
; Kernel info:
; codeLenInByte = 1348
; NumSgprs: 26
; NumVgprs: 87
; ScratchSize: 0
; MemoryBound: 0
; FloatMode: 240
; IeeeMode: 1
; LDSByteSize: 4096 bytes/workgroup (compile time only)
; SGPRBlocks: 3
; VGPRBlocks: 10
; NumSGPRsForWavesPerEU: 26
; NumVGPRsForWavesPerEU: 87
; Occupancy: 16
; WaveLimiterHint : 1
; COMPUTE_PGM_RSRC2:SCRATCH_EN: 0
; COMPUTE_PGM_RSRC2:USER_SGPR: 13
; COMPUTE_PGM_RSRC2:TRAP_HANDLER: 0
; COMPUTE_PGM_RSRC2:TGID_X_EN: 1
; COMPUTE_PGM_RSRC2:TGID_Y_EN: 1
; COMPUTE_PGM_RSRC2:TGID_Z_EN: 1
; COMPUTE_PGM_RSRC2:TIDIG_COMP_CNT: 1
	.section	.text._ZL41rocblas_syrkx_herkx_small_restrict_kernelIl19rocblas_complex_numIfELi16ELb0ELb0ELc84ELc85EKPKS1_KPS1_EviT_T0_PT6_S7_lSA_S7_lS8_PT7_S7_li,"axG",@progbits,_ZL41rocblas_syrkx_herkx_small_restrict_kernelIl19rocblas_complex_numIfELi16ELb0ELb0ELc84ELc85EKPKS1_KPS1_EviT_T0_PT6_S7_lSA_S7_lS8_PT7_S7_li,comdat
	.globl	_ZL41rocblas_syrkx_herkx_small_restrict_kernelIl19rocblas_complex_numIfELi16ELb0ELb0ELc84ELc85EKPKS1_KPS1_EviT_T0_PT6_S7_lSA_S7_lS8_PT7_S7_li ; -- Begin function _ZL41rocblas_syrkx_herkx_small_restrict_kernelIl19rocblas_complex_numIfELi16ELb0ELb0ELc84ELc85EKPKS1_KPS1_EviT_T0_PT6_S7_lSA_S7_lS8_PT7_S7_li
	.p2align	8
	.type	_ZL41rocblas_syrkx_herkx_small_restrict_kernelIl19rocblas_complex_numIfELi16ELb0ELb0ELc84ELc85EKPKS1_KPS1_EviT_T0_PT6_S7_lSA_S7_lS8_PT7_S7_li,@function
_ZL41rocblas_syrkx_herkx_small_restrict_kernelIl19rocblas_complex_numIfELi16ELb0ELb0ELc84ELc85EKPKS1_KPS1_EviT_T0_PT6_S7_lSA_S7_lS8_PT7_S7_li: ; @_ZL41rocblas_syrkx_herkx_small_restrict_kernelIl19rocblas_complex_numIfELi16ELb0ELb0ELc84ELc85EKPKS1_KPS1_EviT_T0_PT6_S7_lSA_S7_lS8_PT7_S7_li
; %bb.0:
	s_clause 0x1
	s_load_b128 s[16:19], s[0:1], 0x48
	s_load_b256 s[4:11], s[0:1], 0x8
	s_mov_b32 s2, s15
	s_mov_b32 s3, 0
	v_dual_mov_b32 v13, 0 :: v_dual_and_b32 v2, 0x3ff, v0
	s_lshl_b64 s[20:21], s[2:3], 3
	v_bfe_u32 v3, v0, 10, 10
	v_mov_b32_e32 v12, 0
	s_delay_alu instid0(VALU_DEP_3) | instskip(NEXT) | instid1(VALU_DEP_3)
	v_lshl_add_u32 v0, s13, 4, v2
	v_lshl_add_u32 v6, s14, 4, v3
	s_delay_alu instid0(VALU_DEP_2) | instskip(NEXT) | instid1(VALU_DEP_2)
	v_ashrrev_i32_e32 v1, 31, v0
	v_ashrrev_i32_e32 v7, 31, v6
	s_waitcnt lgkmcnt(0)
	s_add_u32 s2, s18, s20
	s_addc_u32 s3, s19, s21
	s_load_b64 s[18:19], s[0:1], 0x58
	s_load_b64 s[2:3], s[2:3], 0x0
	v_cmp_lt_i64_e64 s12, s[4:5], 1
	s_delay_alu instid0(VALU_DEP_1)
	s_and_b32 vcc_lo, exec_lo, s12
	s_cbranch_vccnz .LBB1587_3
; %bb.1:
	s_load_b128 s[12:15], s[0:1], 0x30
	v_mul_lo_u32 v10, v0, s11
	v_mul_lo_u32 v11, v1, s10
	v_mad_u64_u32 v[4:5], null, v0, s10, 0
	v_lshlrev_b32_e32 v8, 3, v2
	v_lshlrev_b32_e32 v17, 3, v3
	;; [unrolled: 1-line block ×3, first 2 shown]
	s_delay_alu instid0(VALU_DEP_4) | instskip(NEXT) | instid1(VALU_DEP_1)
	v_add3_u32 v5, v5, v10, v11
	v_lshlrev_b64 v[4:5], 3, v[4:5]
	s_waitcnt lgkmcnt(0)
	s_add_u32 s0, s12, s20
	s_addc_u32 s1, s13, s21
	s_add_u32 s8, s8, s20
	s_load_b64 s[0:1], s[0:1], 0x0
	s_addc_u32 s9, s9, s21
	v_mul_lo_u32 v12, v6, s15
	s_load_b64 s[8:9], s[8:9], 0x0
	v_mul_lo_u32 v15, v7, s14
	v_mad_u64_u32 v[13:14], null, v6, s14, 0
	s_delay_alu instid0(VALU_DEP_1) | instskip(SKIP_1) | instid1(VALU_DEP_2)
	v_add3_u32 v14, v14, v12, v15
	v_mov_b32_e32 v12, 0
	v_lshlrev_b64 v[2:3], 3, v[13:14]
	s_waitcnt lgkmcnt(0)
	v_add_co_u32 v13, s0, s0, v8
	s_delay_alu instid0(VALU_DEP_1) | instskip(SKIP_1) | instid1(VALU_DEP_3)
	v_add_co_ci_u32_e64 v14, null, s1, 0, s0
	v_add_co_u32 v15, s0, s8, v17
	v_add_co_u32 v2, vcc_lo, v13, v2
	v_mov_b32_e32 v13, 0
	v_add_nc_u32_e32 v9, 0x800, v16
	v_add_nc_u32_e32 v10, v8, v16
	v_add_co_ci_u32_e64 v16, null, s9, 0, s0
	v_add_co_ci_u32_e32 v3, vcc_lo, v14, v3, vcc_lo
	v_add_co_u32 v4, vcc_lo, v15, v4
	v_add_nc_u32_e32 v11, v9, v8
	s_delay_alu instid0(VALU_DEP_4)
	v_add_co_ci_u32_e32 v5, vcc_lo, v16, v5, vcc_lo
	s_mov_b64 s[0:1], 0
.LBB1587_2:                             ; =>This Inner Loop Header: Depth=1
	global_load_b64 v[14:15], v[4:5], off
	global_load_b64 v[16:17], v[2:3], off
	s_add_u32 s0, s0, 16
	v_add_co_u32 v2, vcc_lo, 0x80, v2
	s_addc_u32 s1, s1, 0
	v_add_co_ci_u32_e32 v3, vcc_lo, 0, v3, vcc_lo
	v_cmp_lt_i64_e64 s8, s[0:1], s[4:5]
	v_add_co_u32 v4, vcc_lo, 0x80, v4
	v_add_co_ci_u32_e32 v5, vcc_lo, 0, v5, vcc_lo
	s_waitcnt vmcnt(1)
	ds_store_b64 v10, v[14:15]
	s_waitcnt vmcnt(0)
	ds_store_b64 v11, v[16:17]
	s_waitcnt lgkmcnt(0)
	s_barrier
	buffer_gl0_inv
	ds_load_2addr_b64 v[14:17], v8 offset1:16
	ds_load_b128 v[18:21], v9
	ds_load_b128 v[22:25], v9 offset:16
	ds_load_2addr_b64 v[26:29], v8 offset0:32 offset1:48
	ds_load_2addr_b64 v[30:33], v8 offset0:64 offset1:80
	ds_load_b128 v[34:37], v9 offset:32
	ds_load_b128 v[38:41], v9 offset:48
	ds_load_2addr_b64 v[42:45], v8 offset0:96 offset1:112
	ds_load_2addr_b64 v[46:49], v8 offset0:128 offset1:144
	;; [unrolled: 1-line block ×3, first 2 shown]
	ds_load_b128 v[54:57], v9 offset:64
	ds_load_b128 v[58:61], v9 offset:80
	ds_load_2addr_b64 v[62:65], v8 offset0:192 offset1:208
	ds_load_2addr_b64 v[66:69], v8 offset0:224 offset1:240
	ds_load_b128 v[70:73], v9 offset:96
	ds_load_b128 v[74:77], v9 offset:112
	s_and_b32 vcc_lo, exec_lo, s8
	s_waitcnt lgkmcnt(0)
	s_barrier
	buffer_gl0_inv
	v_dual_mul_f32 v78, v19, v15 :: v_dual_mul_f32 v79, v21, v17
	v_mul_f32_e32 v15, v18, v15
	v_dual_mul_f32 v17, v20, v17 :: v_dual_mul_f32 v80, v23, v27
	v_mul_f32_e32 v27, v22, v27
	s_delay_alu instid0(VALU_DEP_4) | instskip(SKIP_1) | instid1(VALU_DEP_4)
	v_fma_f32 v18, v18, v14, -v78
	v_dual_mul_f32 v81, v25, v29 :: v_dual_mul_f32 v82, v35, v31
	v_fmac_f32_e32 v17, v21, v16
	s_delay_alu instid0(VALU_DEP_4) | instskip(SKIP_4) | instid1(VALU_DEP_4)
	v_fmac_f32_e32 v27, v23, v26
	v_fmac_f32_e32 v15, v19, v14
	v_mul_f32_e32 v85, v41, v45
	v_dual_mul_f32 v29, v24, v29 :: v_dual_mul_f32 v84, v39, v43
	v_mul_f32_e32 v45, v40, v45
	v_add_f32_e32 v12, v12, v15
	v_mul_f32_e32 v31, v34, v31
	v_dual_add_f32 v13, v13, v18 :: v_dual_mul_f32 v18, v74, v67
	v_mul_f32_e32 v19, v56, v49
	s_delay_alu instid0(VALU_DEP_4) | instskip(SKIP_1) | instid1(VALU_DEP_3)
	v_add_f32_e32 v12, v12, v17
	v_dual_mul_f32 v83, v37, v33 :: v_dual_mul_f32 v86, v55, v47
	v_dual_fmac_f32 v18, v75, v66 :: v_dual_fmac_f32 v19, v57, v48
	s_delay_alu instid0(VALU_DEP_3) | instskip(SKIP_3) | instid1(VALU_DEP_4)
	v_dual_fmac_f32 v29, v25, v28 :: v_dual_add_f32 v12, v12, v27
	v_mul_f32_e32 v33, v36, v33
	v_mul_f32_e32 v47, v54, v47
	v_fmac_f32_e32 v31, v35, v30
	v_dual_mul_f32 v43, v38, v43 :: v_dual_add_f32 v12, v12, v29
	v_fma_f32 v14, v20, v16, -v79
	v_dual_mul_f32 v20, v59, v51 :: v_dual_fmac_f32 v33, v37, v32
	v_mul_f32_e32 v16, v57, v49
	s_delay_alu instid0(VALU_DEP_4) | instskip(SKIP_3) | instid1(VALU_DEP_4)
	v_add_f32_e32 v12, v12, v31
	v_mul_f32_e32 v21, v58, v51
	v_add_f32_e32 v13, v13, v14
	v_dual_mul_f32 v14, v77, v69 :: v_dual_fmac_f32 v43, v39, v42
	v_add_f32_e32 v12, v12, v33
	v_mul_f32_e32 v49, v61, v53
	v_fmac_f32_e32 v45, v41, v44
	v_mul_f32_e32 v51, v60, v53
	s_delay_alu instid0(VALU_DEP_4) | instskip(SKIP_2) | instid1(VALU_DEP_4)
	v_dual_fmac_f32 v47, v55, v46 :: v_dual_add_f32 v12, v12, v43
	v_mul_f32_e32 v53, v71, v63
	v_fmac_f32_e32 v21, v59, v50
	v_fmac_f32_e32 v51, v61, v52
	v_mul_f32_e32 v25, v72, v65
	v_add_f32_e32 v12, v12, v45
	v_fma_f32 v22, v22, v26, -v80
	v_mul_f32_e32 v17, v76, v69
	v_fma_f32 v23, v24, v28, -v81
	s_delay_alu instid0(VALU_DEP_4) | instskip(SKIP_1) | instid1(VALU_DEP_4)
	v_dual_fmac_f32 v25, v73, v64 :: v_dual_add_f32 v12, v12, v47
	v_fma_f32 v16, v56, v48, -v16
	v_fmac_f32_e32 v17, v77, v68
	v_fma_f32 v20, v58, v50, -v20
	v_mul_f32_e32 v24, v73, v65
	v_add_f32_e32 v12, v12, v19
	v_mul_f32_e32 v63, v70, v63
	v_fma_f32 v19, v70, v62, -v53
	v_fma_f32 v14, v76, v68, -v14
	s_delay_alu instid0(VALU_DEP_3) | instskip(NEXT) | instid1(VALU_DEP_1)
	v_dual_add_f32 v12, v12, v21 :: v_dual_fmac_f32 v63, v71, v62
	v_add_f32_e32 v12, v12, v51
	s_delay_alu instid0(VALU_DEP_1) | instskip(NEXT) | instid1(VALU_DEP_1)
	v_add_f32_e32 v12, v12, v63
	v_dual_mul_f32 v15, v75, v67 :: v_dual_add_f32 v12, v12, v25
	s_delay_alu instid0(VALU_DEP_1) | instskip(NEXT) | instid1(VALU_DEP_2)
	v_fma_f32 v15, v74, v66, -v15
	v_add_f32_e32 v12, v12, v18
	v_add_f32_e32 v13, v13, v22
	v_fma_f32 v22, v34, v30, -v82
	s_delay_alu instid0(VALU_DEP_2) | instskip(SKIP_1) | instid1(VALU_DEP_2)
	v_dual_add_f32 v12, v12, v17 :: v_dual_add_f32 v13, v13, v23
	v_fma_f32 v23, v36, v32, -v83
	v_add_f32_e32 v13, v13, v22
	v_fma_f32 v22, v38, v42, -v84
	s_delay_alu instid0(VALU_DEP_2) | instskip(SKIP_1) | instid1(VALU_DEP_2)
	v_add_f32_e32 v13, v13, v23
	v_fma_f32 v23, v40, v44, -v85
	v_add_f32_e32 v13, v13, v22
	v_fma_f32 v22, v54, v46, -v86
	s_delay_alu instid0(VALU_DEP_2) | instskip(NEXT) | instid1(VALU_DEP_1)
	v_add_f32_e32 v13, v13, v23
	v_add_f32_e32 v13, v13, v22
	s_delay_alu instid0(VALU_DEP_1) | instskip(SKIP_1) | instid1(VALU_DEP_2)
	v_add_f32_e32 v13, v13, v16
	v_fma_f32 v16, v60, v52, -v49
	v_add_f32_e32 v13, v13, v20
	s_delay_alu instid0(VALU_DEP_1) | instskip(SKIP_1) | instid1(VALU_DEP_2)
	v_add_f32_e32 v13, v13, v16
	v_fma_f32 v16, v72, v64, -v24
	v_add_f32_e32 v13, v13, v19
	s_delay_alu instid0(VALU_DEP_1) | instskip(NEXT) | instid1(VALU_DEP_1)
	v_add_f32_e32 v13, v13, v16
	v_add_f32_e32 v13, v13, v15
	s_delay_alu instid0(VALU_DEP_1)
	v_add_f32_e32 v13, v13, v14
	s_cbranch_vccnz .LBB1587_2
.LBB1587_3:
	s_mov_b32 s0, exec_lo
	v_cmpx_le_i32_e64 v0, v6
	s_cbranch_execz .LBB1587_5
; %bb.4:
	s_waitcnt lgkmcnt(0)
	v_mul_lo_u32 v4, v6, s19
	v_mul_lo_u32 v5, v7, s18
	v_mad_u64_u32 v[2:3], null, v6, s18, 0
	v_lshlrev_b64 v[0:1], 3, v[0:1]
	s_delay_alu instid0(VALU_DEP_2) | instskip(NEXT) | instid1(VALU_DEP_1)
	v_add3_u32 v3, v3, v4, v5
	v_lshlrev_b64 v[2:3], 3, v[2:3]
	s_delay_alu instid0(VALU_DEP_1) | instskip(NEXT) | instid1(VALU_DEP_2)
	v_add_co_u32 v2, vcc_lo, s2, v2
	v_add_co_ci_u32_e32 v3, vcc_lo, s3, v3, vcc_lo
	s_delay_alu instid0(VALU_DEP_2) | instskip(NEXT) | instid1(VALU_DEP_2)
	v_add_co_u32 v0, vcc_lo, v2, v0
	v_add_co_ci_u32_e32 v1, vcc_lo, v3, v1, vcc_lo
	global_load_b64 v[2:3], v[0:1], off
	v_mul_f32_e32 v4, s7, v12
	s_waitcnt vmcnt(0)
	v_dual_mul_f32 v5, s6, v12 :: v_dual_mul_f32 v6, s17, v3
	v_mul_f32_e32 v3, s16, v3
	s_delay_alu instid0(VALU_DEP_3) | instskip(NEXT) | instid1(VALU_DEP_3)
	v_fma_f32 v4, v13, s6, -v4
	v_fma_f32 v6, v2, s16, -v6
	s_delay_alu instid0(VALU_DEP_4) | instskip(NEXT) | instid1(VALU_DEP_4)
	v_fmac_f32_e32 v5, s7, v13
	v_fmac_f32_e32 v3, s17, v2
	s_delay_alu instid0(VALU_DEP_1)
	v_dual_add_f32 v2, v4, v6 :: v_dual_add_f32 v3, v5, v3
	global_store_b64 v[0:1], v[2:3], off
.LBB1587_5:
	s_nop 0
	s_sendmsg sendmsg(MSG_DEALLOC_VGPRS)
	s_endpgm
	.section	.rodata,"a",@progbits
	.p2align	6, 0x0
	.amdhsa_kernel _ZL41rocblas_syrkx_herkx_small_restrict_kernelIl19rocblas_complex_numIfELi16ELb0ELb0ELc84ELc85EKPKS1_KPS1_EviT_T0_PT6_S7_lSA_S7_lS8_PT7_S7_li
		.amdhsa_group_segment_fixed_size 4096
		.amdhsa_private_segment_fixed_size 0
		.amdhsa_kernarg_size 108
		.amdhsa_user_sgpr_count 13
		.amdhsa_user_sgpr_dispatch_ptr 0
		.amdhsa_user_sgpr_queue_ptr 0
		.amdhsa_user_sgpr_kernarg_segment_ptr 1
		.amdhsa_user_sgpr_dispatch_id 0
		.amdhsa_user_sgpr_private_segment_size 0
		.amdhsa_wavefront_size32 1
		.amdhsa_uses_dynamic_stack 0
		.amdhsa_enable_private_segment 0
		.amdhsa_system_sgpr_workgroup_id_x 1
		.amdhsa_system_sgpr_workgroup_id_y 1
		.amdhsa_system_sgpr_workgroup_id_z 1
		.amdhsa_system_sgpr_workgroup_info 0
		.amdhsa_system_vgpr_workitem_id 1
		.amdhsa_next_free_vgpr 87
		.amdhsa_next_free_sgpr 22
		.amdhsa_reserve_vcc 1
		.amdhsa_float_round_mode_32 0
		.amdhsa_float_round_mode_16_64 0
		.amdhsa_float_denorm_mode_32 3
		.amdhsa_float_denorm_mode_16_64 3
		.amdhsa_dx10_clamp 1
		.amdhsa_ieee_mode 1
		.amdhsa_fp16_overflow 0
		.amdhsa_workgroup_processor_mode 1
		.amdhsa_memory_ordered 1
		.amdhsa_forward_progress 0
		.amdhsa_shared_vgpr_count 0
		.amdhsa_exception_fp_ieee_invalid_op 0
		.amdhsa_exception_fp_denorm_src 0
		.amdhsa_exception_fp_ieee_div_zero 0
		.amdhsa_exception_fp_ieee_overflow 0
		.amdhsa_exception_fp_ieee_underflow 0
		.amdhsa_exception_fp_ieee_inexact 0
		.amdhsa_exception_int_div_zero 0
	.end_amdhsa_kernel
	.section	.text._ZL41rocblas_syrkx_herkx_small_restrict_kernelIl19rocblas_complex_numIfELi16ELb0ELb0ELc84ELc85EKPKS1_KPS1_EviT_T0_PT6_S7_lSA_S7_lS8_PT7_S7_li,"axG",@progbits,_ZL41rocblas_syrkx_herkx_small_restrict_kernelIl19rocblas_complex_numIfELi16ELb0ELb0ELc84ELc85EKPKS1_KPS1_EviT_T0_PT6_S7_lSA_S7_lS8_PT7_S7_li,comdat
.Lfunc_end1587:
	.size	_ZL41rocblas_syrkx_herkx_small_restrict_kernelIl19rocblas_complex_numIfELi16ELb0ELb0ELc84ELc85EKPKS1_KPS1_EviT_T0_PT6_S7_lSA_S7_lS8_PT7_S7_li, .Lfunc_end1587-_ZL41rocblas_syrkx_herkx_small_restrict_kernelIl19rocblas_complex_numIfELi16ELb0ELb0ELc84ELc85EKPKS1_KPS1_EviT_T0_PT6_S7_lSA_S7_lS8_PT7_S7_li
                                        ; -- End function
	.section	.AMDGPU.csdata,"",@progbits
; Kernel info:
; codeLenInByte = 1344
; NumSgprs: 24
; NumVgprs: 87
; ScratchSize: 0
; MemoryBound: 0
; FloatMode: 240
; IeeeMode: 1
; LDSByteSize: 4096 bytes/workgroup (compile time only)
; SGPRBlocks: 2
; VGPRBlocks: 10
; NumSGPRsForWavesPerEU: 24
; NumVGPRsForWavesPerEU: 87
; Occupancy: 16
; WaveLimiterHint : 1
; COMPUTE_PGM_RSRC2:SCRATCH_EN: 0
; COMPUTE_PGM_RSRC2:USER_SGPR: 13
; COMPUTE_PGM_RSRC2:TRAP_HANDLER: 0
; COMPUTE_PGM_RSRC2:TGID_X_EN: 1
; COMPUTE_PGM_RSRC2:TGID_Y_EN: 1
; COMPUTE_PGM_RSRC2:TGID_Z_EN: 1
; COMPUTE_PGM_RSRC2:TIDIG_COMP_CNT: 1
	.section	.text._ZL41rocblas_syrkx_herkx_small_restrict_kernelIl19rocblas_complex_numIfELi16ELb0ELb0ELc67ELc85EKPKS1_KPS1_EviT_T0_PT6_S7_lSA_S7_lS8_PT7_S7_li,"axG",@progbits,_ZL41rocblas_syrkx_herkx_small_restrict_kernelIl19rocblas_complex_numIfELi16ELb0ELb0ELc67ELc85EKPKS1_KPS1_EviT_T0_PT6_S7_lSA_S7_lS8_PT7_S7_li,comdat
	.globl	_ZL41rocblas_syrkx_herkx_small_restrict_kernelIl19rocblas_complex_numIfELi16ELb0ELb0ELc67ELc85EKPKS1_KPS1_EviT_T0_PT6_S7_lSA_S7_lS8_PT7_S7_li ; -- Begin function _ZL41rocblas_syrkx_herkx_small_restrict_kernelIl19rocblas_complex_numIfELi16ELb0ELb0ELc67ELc85EKPKS1_KPS1_EviT_T0_PT6_S7_lSA_S7_lS8_PT7_S7_li
	.p2align	8
	.type	_ZL41rocblas_syrkx_herkx_small_restrict_kernelIl19rocblas_complex_numIfELi16ELb0ELb0ELc67ELc85EKPKS1_KPS1_EviT_T0_PT6_S7_lSA_S7_lS8_PT7_S7_li,@function
_ZL41rocblas_syrkx_herkx_small_restrict_kernelIl19rocblas_complex_numIfELi16ELb0ELb0ELc67ELc85EKPKS1_KPS1_EviT_T0_PT6_S7_lSA_S7_lS8_PT7_S7_li: ; @_ZL41rocblas_syrkx_herkx_small_restrict_kernelIl19rocblas_complex_numIfELi16ELb0ELb0ELc67ELc85EKPKS1_KPS1_EviT_T0_PT6_S7_lSA_S7_lS8_PT7_S7_li
; %bb.0:
	s_clause 0x1
	s_load_b128 s[16:19], s[0:1], 0x48
	s_load_b256 s[4:11], s[0:1], 0x8
	s_mov_b32 s2, s15
	s_mov_b32 s3, 0
	v_dual_mov_b32 v12, 0 :: v_dual_and_b32 v3, 0x3ff, v0
	s_lshl_b64 s[20:21], s[2:3], 3
	v_bfe_u32 v2, v0, 10, 10
	v_mov_b32_e32 v13, 0
	s_delay_alu instid0(VALU_DEP_3) | instskip(NEXT) | instid1(VALU_DEP_3)
	v_lshl_add_u32 v0, s13, 4, v3
	v_lshl_add_u32 v6, s14, 4, v2
	s_delay_alu instid0(VALU_DEP_2) | instskip(NEXT) | instid1(VALU_DEP_2)
	v_ashrrev_i32_e32 v1, 31, v0
	v_ashrrev_i32_e32 v7, 31, v6
	s_waitcnt lgkmcnt(0)
	s_add_u32 s2, s18, s20
	s_addc_u32 s3, s19, s21
	s_load_b64 s[18:19], s[0:1], 0x58
	s_load_b64 s[2:3], s[2:3], 0x0
	v_cmp_lt_i64_e64 s12, s[4:5], 1
	s_delay_alu instid0(VALU_DEP_1)
	s_and_b32 vcc_lo, exec_lo, s12
	s_cbranch_vccnz .LBB1588_3
; %bb.1:
	s_load_b128 s[12:15], s[0:1], 0x30
	v_mul_lo_u32 v8, s11, v0
	v_mul_lo_u32 v9, s10, v1
	v_mad_u64_u32 v[4:5], null, s10, v0, 0
	v_lshlrev_b32_e32 v10, 7, v2
	v_dual_mov_b32 v12, 0 :: v_dual_lshlrev_b32 v17, 3, v2
	s_delay_alu instid0(VALU_DEP_3) | instskip(SKIP_1) | instid1(VALU_DEP_2)
	v_add3_u32 v5, v5, v9, v8
	v_lshlrev_b32_e32 v8, 3, v3
	v_lshlrev_b64 v[2:3], 3, v[4:5]
	s_waitcnt lgkmcnt(0)
	s_add_u32 s0, s12, s20
	s_addc_u32 s1, s13, s21
	s_add_u32 s8, s8, s20
	s_load_b64 s[0:1], s[0:1], 0x0
	s_addc_u32 s9, s9, s21
	v_mul_lo_u32 v15, v6, s15
	s_load_b64 s[8:9], s[8:9], 0x0
	v_mul_lo_u32 v16, v7, s14
	v_mad_u64_u32 v[13:14], null, v6, s14, 0
	v_add_co_u32 v4, vcc_lo, v2, v17
	v_add_co_ci_u32_e32 v5, vcc_lo, 0, v3, vcc_lo
	s_delay_alu instid0(VALU_DEP_3) | instskip(NEXT) | instid1(VALU_DEP_1)
	v_add3_u32 v14, v14, v15, v16
	v_lshlrev_b64 v[2:3], 3, v[13:14]
	s_waitcnt lgkmcnt(0)
	v_add_co_u32 v13, s0, s0, v8
	s_delay_alu instid0(VALU_DEP_1) | instskip(SKIP_2) | instid1(VALU_DEP_4)
	v_add_co_ci_u32_e64 v14, null, s1, 0, s0
	v_add_co_u32 v4, vcc_lo, v4, s8
	v_add_co_ci_u32_e32 v5, vcc_lo, s9, v5, vcc_lo
	v_add_co_u32 v2, vcc_lo, v13, v2
	v_mov_b32_e32 v13, 0
	v_add_nc_u32_e32 v9, 0x800, v10
	v_add_co_ci_u32_e32 v3, vcc_lo, v14, v3, vcc_lo
	v_add_co_u32 v4, vcc_lo, v4, 4
	v_add_nc_u32_e32 v10, v8, v10
	s_delay_alu instid0(VALU_DEP_4)
	v_add_nc_u32_e32 v11, v9, v8
	v_add_co_ci_u32_e32 v5, vcc_lo, 0, v5, vcc_lo
	s_mov_b64 s[0:1], 0
.LBB1588_2:                             ; =>This Inner Loop Header: Depth=1
	global_load_b64 v[14:15], v[4:5], off offset:-4
	global_load_b64 v[16:17], v[2:3], off
	s_add_u32 s0, s0, 16
	v_add_co_u32 v2, vcc_lo, 0x80, v2
	s_addc_u32 s1, s1, 0
	v_add_co_ci_u32_e32 v3, vcc_lo, 0, v3, vcc_lo
	v_cmp_lt_i64_e64 s8, s[0:1], s[4:5]
	v_add_co_u32 v4, vcc_lo, 0x80, v4
	v_add_co_ci_u32_e32 v5, vcc_lo, 0, v5, vcc_lo
	s_waitcnt vmcnt(1)
	ds_store_b64 v10, v[14:15]
	s_waitcnt vmcnt(0)
	ds_store_b64 v11, v[16:17]
	s_waitcnt lgkmcnt(0)
	s_barrier
	buffer_gl0_inv
	ds_load_2addr_b64 v[14:17], v8 offset1:16
	ds_load_b128 v[18:21], v9
	ds_load_b128 v[22:25], v9 offset:16
	ds_load_2addr_b64 v[26:29], v8 offset0:32 offset1:48
	ds_load_2addr_b64 v[30:33], v8 offset0:64 offset1:80
	ds_load_b128 v[34:37], v9 offset:32
	ds_load_b128 v[38:41], v9 offset:48
	ds_load_2addr_b64 v[42:45], v8 offset0:96 offset1:112
	ds_load_2addr_b64 v[46:49], v8 offset0:128 offset1:144
	;; [unrolled: 1-line block ×3, first 2 shown]
	ds_load_b128 v[54:57], v9 offset:64
	ds_load_b128 v[58:61], v9 offset:80
	ds_load_2addr_b64 v[62:65], v8 offset0:192 offset1:208
	ds_load_2addr_b64 v[66:69], v8 offset0:224 offset1:240
	ds_load_b128 v[70:73], v9 offset:96
	ds_load_b128 v[74:77], v9 offset:112
	s_and_b32 vcc_lo, exec_lo, s8
	s_waitcnt lgkmcnt(0)
	s_barrier
	buffer_gl0_inv
	v_dual_mul_f32 v78, v19, v15 :: v_dual_mul_f32 v79, v21, v17
	v_mul_f32_e32 v15, v18, v15
	v_dual_mul_f32 v17, v20, v17 :: v_dual_mul_f32 v80, v23, v27
	v_mul_f32_e32 v27, v22, v27
	s_delay_alu instid0(VALU_DEP_4) | instskip(SKIP_1) | instid1(VALU_DEP_4)
	v_fma_f32 v18, v18, v14, -v78
	v_dual_mul_f32 v81, v25, v29 :: v_dual_mul_f32 v82, v35, v31
	v_fmac_f32_e32 v17, v21, v16
	s_delay_alu instid0(VALU_DEP_4) | instskip(SKIP_4) | instid1(VALU_DEP_4)
	v_fmac_f32_e32 v27, v23, v26
	v_fmac_f32_e32 v15, v19, v14
	v_mul_f32_e32 v85, v41, v45
	v_dual_mul_f32 v29, v24, v29 :: v_dual_mul_f32 v84, v39, v43
	v_mul_f32_e32 v45, v40, v45
	v_add_f32_e32 v12, v12, v15
	v_mul_f32_e32 v31, v34, v31
	v_dual_add_f32 v13, v13, v18 :: v_dual_mul_f32 v18, v74, v67
	v_mul_f32_e32 v19, v56, v49
	s_delay_alu instid0(VALU_DEP_4) | instskip(SKIP_1) | instid1(VALU_DEP_3)
	v_add_f32_e32 v12, v12, v17
	v_dual_mul_f32 v83, v37, v33 :: v_dual_mul_f32 v86, v55, v47
	v_dual_fmac_f32 v18, v75, v66 :: v_dual_fmac_f32 v19, v57, v48
	s_delay_alu instid0(VALU_DEP_3) | instskip(SKIP_3) | instid1(VALU_DEP_4)
	v_dual_fmac_f32 v29, v25, v28 :: v_dual_add_f32 v12, v12, v27
	v_mul_f32_e32 v33, v36, v33
	v_mul_f32_e32 v47, v54, v47
	v_fmac_f32_e32 v31, v35, v30
	v_dual_mul_f32 v43, v38, v43 :: v_dual_add_f32 v12, v12, v29
	v_fma_f32 v14, v20, v16, -v79
	v_dual_mul_f32 v20, v59, v51 :: v_dual_fmac_f32 v33, v37, v32
	v_mul_f32_e32 v16, v57, v49
	s_delay_alu instid0(VALU_DEP_4) | instskip(SKIP_3) | instid1(VALU_DEP_4)
	v_add_f32_e32 v12, v12, v31
	v_mul_f32_e32 v21, v58, v51
	v_add_f32_e32 v13, v13, v14
	v_dual_mul_f32 v14, v77, v69 :: v_dual_fmac_f32 v43, v39, v42
	v_add_f32_e32 v12, v12, v33
	v_mul_f32_e32 v49, v61, v53
	v_fmac_f32_e32 v45, v41, v44
	v_mul_f32_e32 v51, v60, v53
	s_delay_alu instid0(VALU_DEP_4) | instskip(SKIP_2) | instid1(VALU_DEP_4)
	v_dual_fmac_f32 v47, v55, v46 :: v_dual_add_f32 v12, v12, v43
	v_mul_f32_e32 v53, v71, v63
	v_fmac_f32_e32 v21, v59, v50
	v_fmac_f32_e32 v51, v61, v52
	v_mul_f32_e32 v25, v72, v65
	v_add_f32_e32 v12, v12, v45
	v_fma_f32 v22, v22, v26, -v80
	v_mul_f32_e32 v17, v76, v69
	v_fma_f32 v23, v24, v28, -v81
	s_delay_alu instid0(VALU_DEP_4) | instskip(SKIP_1) | instid1(VALU_DEP_4)
	v_dual_fmac_f32 v25, v73, v64 :: v_dual_add_f32 v12, v12, v47
	v_fma_f32 v16, v56, v48, -v16
	v_fmac_f32_e32 v17, v77, v68
	v_fma_f32 v20, v58, v50, -v20
	v_mul_f32_e32 v24, v73, v65
	v_add_f32_e32 v12, v12, v19
	v_mul_f32_e32 v63, v70, v63
	v_fma_f32 v19, v70, v62, -v53
	v_fma_f32 v14, v76, v68, -v14
	s_delay_alu instid0(VALU_DEP_3) | instskip(NEXT) | instid1(VALU_DEP_1)
	v_dual_add_f32 v12, v12, v21 :: v_dual_fmac_f32 v63, v71, v62
	v_add_f32_e32 v12, v12, v51
	s_delay_alu instid0(VALU_DEP_1) | instskip(NEXT) | instid1(VALU_DEP_1)
	v_add_f32_e32 v12, v12, v63
	v_dual_mul_f32 v15, v75, v67 :: v_dual_add_f32 v12, v12, v25
	s_delay_alu instid0(VALU_DEP_1) | instskip(NEXT) | instid1(VALU_DEP_2)
	v_fma_f32 v15, v74, v66, -v15
	v_add_f32_e32 v12, v12, v18
	v_add_f32_e32 v13, v13, v22
	v_fma_f32 v22, v34, v30, -v82
	s_delay_alu instid0(VALU_DEP_2) | instskip(SKIP_1) | instid1(VALU_DEP_2)
	v_dual_add_f32 v12, v12, v17 :: v_dual_add_f32 v13, v13, v23
	v_fma_f32 v23, v36, v32, -v83
	v_add_f32_e32 v13, v13, v22
	v_fma_f32 v22, v38, v42, -v84
	s_delay_alu instid0(VALU_DEP_2) | instskip(SKIP_1) | instid1(VALU_DEP_2)
	v_add_f32_e32 v13, v13, v23
	v_fma_f32 v23, v40, v44, -v85
	v_add_f32_e32 v13, v13, v22
	v_fma_f32 v22, v54, v46, -v86
	s_delay_alu instid0(VALU_DEP_2) | instskip(NEXT) | instid1(VALU_DEP_1)
	v_add_f32_e32 v13, v13, v23
	v_add_f32_e32 v13, v13, v22
	s_delay_alu instid0(VALU_DEP_1) | instskip(SKIP_1) | instid1(VALU_DEP_2)
	v_add_f32_e32 v13, v13, v16
	v_fma_f32 v16, v60, v52, -v49
	v_add_f32_e32 v13, v13, v20
	s_delay_alu instid0(VALU_DEP_1) | instskip(SKIP_1) | instid1(VALU_DEP_2)
	v_add_f32_e32 v13, v13, v16
	v_fma_f32 v16, v72, v64, -v24
	v_add_f32_e32 v13, v13, v19
	s_delay_alu instid0(VALU_DEP_1) | instskip(NEXT) | instid1(VALU_DEP_1)
	v_add_f32_e32 v13, v13, v16
	v_add_f32_e32 v13, v13, v15
	s_delay_alu instid0(VALU_DEP_1)
	v_add_f32_e32 v13, v13, v14
	s_cbranch_vccnz .LBB1588_2
.LBB1588_3:
	s_mov_b32 s0, exec_lo
	v_cmpx_le_i32_e64 v0, v6
	s_cbranch_execz .LBB1588_5
; %bb.4:
	s_waitcnt lgkmcnt(0)
	v_mul_lo_u32 v4, v6, s19
	v_mul_lo_u32 v5, v7, s18
	v_mad_u64_u32 v[2:3], null, v6, s18, 0
	v_lshlrev_b64 v[0:1], 3, v[0:1]
	s_delay_alu instid0(VALU_DEP_2) | instskip(NEXT) | instid1(VALU_DEP_1)
	v_add3_u32 v3, v3, v4, v5
	v_lshlrev_b64 v[2:3], 3, v[2:3]
	s_delay_alu instid0(VALU_DEP_1) | instskip(NEXT) | instid1(VALU_DEP_2)
	v_add_co_u32 v2, vcc_lo, s2, v2
	v_add_co_ci_u32_e32 v3, vcc_lo, s3, v3, vcc_lo
	s_delay_alu instid0(VALU_DEP_2) | instskip(NEXT) | instid1(VALU_DEP_2)
	v_add_co_u32 v0, vcc_lo, v2, v0
	v_add_co_ci_u32_e32 v1, vcc_lo, v3, v1, vcc_lo
	global_load_b64 v[2:3], v[0:1], off
	v_mul_f32_e32 v4, s7, v12
	s_waitcnt vmcnt(0)
	v_dual_mul_f32 v5, s6, v12 :: v_dual_mul_f32 v6, s17, v3
	v_mul_f32_e32 v3, s16, v3
	s_delay_alu instid0(VALU_DEP_3) | instskip(NEXT) | instid1(VALU_DEP_3)
	v_fma_f32 v4, v13, s6, -v4
	v_fma_f32 v6, v2, s16, -v6
	s_delay_alu instid0(VALU_DEP_4) | instskip(NEXT) | instid1(VALU_DEP_4)
	v_fmac_f32_e32 v5, s7, v13
	v_fmac_f32_e32 v3, s17, v2
	s_delay_alu instid0(VALU_DEP_1)
	v_dual_add_f32 v2, v4, v6 :: v_dual_add_f32 v3, v5, v3
	global_store_b64 v[0:1], v[2:3], off
.LBB1588_5:
	s_nop 0
	s_sendmsg sendmsg(MSG_DEALLOC_VGPRS)
	s_endpgm
	.section	.rodata,"a",@progbits
	.p2align	6, 0x0
	.amdhsa_kernel _ZL41rocblas_syrkx_herkx_small_restrict_kernelIl19rocblas_complex_numIfELi16ELb0ELb0ELc67ELc85EKPKS1_KPS1_EviT_T0_PT6_S7_lSA_S7_lS8_PT7_S7_li
		.amdhsa_group_segment_fixed_size 4096
		.amdhsa_private_segment_fixed_size 0
		.amdhsa_kernarg_size 108
		.amdhsa_user_sgpr_count 13
		.amdhsa_user_sgpr_dispatch_ptr 0
		.amdhsa_user_sgpr_queue_ptr 0
		.amdhsa_user_sgpr_kernarg_segment_ptr 1
		.amdhsa_user_sgpr_dispatch_id 0
		.amdhsa_user_sgpr_private_segment_size 0
		.amdhsa_wavefront_size32 1
		.amdhsa_uses_dynamic_stack 0
		.amdhsa_enable_private_segment 0
		.amdhsa_system_sgpr_workgroup_id_x 1
		.amdhsa_system_sgpr_workgroup_id_y 1
		.amdhsa_system_sgpr_workgroup_id_z 1
		.amdhsa_system_sgpr_workgroup_info 0
		.amdhsa_system_vgpr_workitem_id 1
		.amdhsa_next_free_vgpr 87
		.amdhsa_next_free_sgpr 22
		.amdhsa_reserve_vcc 1
		.amdhsa_float_round_mode_32 0
		.amdhsa_float_round_mode_16_64 0
		.amdhsa_float_denorm_mode_32 3
		.amdhsa_float_denorm_mode_16_64 3
		.amdhsa_dx10_clamp 1
		.amdhsa_ieee_mode 1
		.amdhsa_fp16_overflow 0
		.amdhsa_workgroup_processor_mode 1
		.amdhsa_memory_ordered 1
		.amdhsa_forward_progress 0
		.amdhsa_shared_vgpr_count 0
		.amdhsa_exception_fp_ieee_invalid_op 0
		.amdhsa_exception_fp_denorm_src 0
		.amdhsa_exception_fp_ieee_div_zero 0
		.amdhsa_exception_fp_ieee_overflow 0
		.amdhsa_exception_fp_ieee_underflow 0
		.amdhsa_exception_fp_ieee_inexact 0
		.amdhsa_exception_int_div_zero 0
	.end_amdhsa_kernel
	.section	.text._ZL41rocblas_syrkx_herkx_small_restrict_kernelIl19rocblas_complex_numIfELi16ELb0ELb0ELc67ELc85EKPKS1_KPS1_EviT_T0_PT6_S7_lSA_S7_lS8_PT7_S7_li,"axG",@progbits,_ZL41rocblas_syrkx_herkx_small_restrict_kernelIl19rocblas_complex_numIfELi16ELb0ELb0ELc67ELc85EKPKS1_KPS1_EviT_T0_PT6_S7_lSA_S7_lS8_PT7_S7_li,comdat
.Lfunc_end1588:
	.size	_ZL41rocblas_syrkx_herkx_small_restrict_kernelIl19rocblas_complex_numIfELi16ELb0ELb0ELc67ELc85EKPKS1_KPS1_EviT_T0_PT6_S7_lSA_S7_lS8_PT7_S7_li, .Lfunc_end1588-_ZL41rocblas_syrkx_herkx_small_restrict_kernelIl19rocblas_complex_numIfELi16ELb0ELb0ELc67ELc85EKPKS1_KPS1_EviT_T0_PT6_S7_lSA_S7_lS8_PT7_S7_li
                                        ; -- End function
	.section	.AMDGPU.csdata,"",@progbits
; Kernel info:
; codeLenInByte = 1352
; NumSgprs: 24
; NumVgprs: 87
; ScratchSize: 0
; MemoryBound: 0
; FloatMode: 240
; IeeeMode: 1
; LDSByteSize: 4096 bytes/workgroup (compile time only)
; SGPRBlocks: 2
; VGPRBlocks: 10
; NumSGPRsForWavesPerEU: 24
; NumVGPRsForWavesPerEU: 87
; Occupancy: 16
; WaveLimiterHint : 1
; COMPUTE_PGM_RSRC2:SCRATCH_EN: 0
; COMPUTE_PGM_RSRC2:USER_SGPR: 13
; COMPUTE_PGM_RSRC2:TRAP_HANDLER: 0
; COMPUTE_PGM_RSRC2:TGID_X_EN: 1
; COMPUTE_PGM_RSRC2:TGID_Y_EN: 1
; COMPUTE_PGM_RSRC2:TGID_Z_EN: 1
; COMPUTE_PGM_RSRC2:TIDIG_COMP_CNT: 1
	.section	.text._ZL41rocblas_syrkx_herkx_small_restrict_kernelIl19rocblas_complex_numIfELi16ELb0ELb0ELc78ELc85EKPKS1_KPS1_EviT_T0_PT6_S7_lSA_S7_lS8_PT7_S7_li,"axG",@progbits,_ZL41rocblas_syrkx_herkx_small_restrict_kernelIl19rocblas_complex_numIfELi16ELb0ELb0ELc78ELc85EKPKS1_KPS1_EviT_T0_PT6_S7_lSA_S7_lS8_PT7_S7_li,comdat
	.globl	_ZL41rocblas_syrkx_herkx_small_restrict_kernelIl19rocblas_complex_numIfELi16ELb0ELb0ELc78ELc85EKPKS1_KPS1_EviT_T0_PT6_S7_lSA_S7_lS8_PT7_S7_li ; -- Begin function _ZL41rocblas_syrkx_herkx_small_restrict_kernelIl19rocblas_complex_numIfELi16ELb0ELb0ELc78ELc85EKPKS1_KPS1_EviT_T0_PT6_S7_lSA_S7_lS8_PT7_S7_li
	.p2align	8
	.type	_ZL41rocblas_syrkx_herkx_small_restrict_kernelIl19rocblas_complex_numIfELi16ELb0ELb0ELc78ELc85EKPKS1_KPS1_EviT_T0_PT6_S7_lSA_S7_lS8_PT7_S7_li,@function
_ZL41rocblas_syrkx_herkx_small_restrict_kernelIl19rocblas_complex_numIfELi16ELb0ELb0ELc78ELc85EKPKS1_KPS1_EviT_T0_PT6_S7_lSA_S7_lS8_PT7_S7_li: ; @_ZL41rocblas_syrkx_herkx_small_restrict_kernelIl19rocblas_complex_numIfELi16ELb0ELb0ELc78ELc85EKPKS1_KPS1_EviT_T0_PT6_S7_lSA_S7_lS8_PT7_S7_li
; %bb.0:
	s_clause 0x1
	s_load_b128 s[16:19], s[0:1], 0x48
	s_load_b256 s[4:11], s[0:1], 0x8
	s_mov_b32 s2, s15
	s_mov_b32 s3, 0
	v_dual_mov_b32 v12, 0 :: v_dual_and_b32 v5, 0x3ff, v0
	s_lshl_b64 s[22:23], s[2:3], 3
	v_bfe_u32 v4, v0, 10, 10
	v_mov_b32_e32 v13, 0
	s_delay_alu instid0(VALU_DEP_3) | instskip(NEXT) | instid1(VALU_DEP_3)
	v_lshl_add_u32 v0, s13, 4, v5
	v_lshl_add_u32 v2, s14, 4, v4
	s_delay_alu instid0(VALU_DEP_2) | instskip(NEXT) | instid1(VALU_DEP_2)
	v_ashrrev_i32_e32 v1, 31, v0
	v_ashrrev_i32_e32 v3, 31, v2
	s_waitcnt lgkmcnt(0)
	s_add_u32 s2, s18, s22
	s_addc_u32 s3, s19, s23
	s_load_b64 s[20:21], s[0:1], 0x58
	s_load_b64 s[18:19], s[2:3], 0x0
	v_cmp_lt_i64_e64 s2, s[4:5], 1
	s_delay_alu instid0(VALU_DEP_1)
	s_and_b32 vcc_lo, exec_lo, s2
	s_cbranch_vccnz .LBB1589_3
; %bb.1:
	s_load_b128 s[0:3], s[0:1], 0x30
	v_mad_u64_u32 v[13:14], null, s10, v4, 0
	v_lshlrev_b32_e32 v8, 3, v5
	v_lshlrev_b64 v[15:16], 3, v[2:3]
	v_lshlrev_b64 v[17:18], 3, v[0:1]
	s_delay_alu instid0(VALU_DEP_4)
	v_mov_b32_e32 v9, v14
	s_waitcnt lgkmcnt(0)
	v_mad_u64_u32 v[6:7], null, s2, v5, 0
	s_add_u32 s0, s0, s22
	s_addc_u32 s1, s1, s23
	s_add_u32 s8, s8, s22
	s_load_b64 s[0:1], s[0:1], 0x0
	s_addc_u32 s9, s9, s23
	s_load_b64 s[8:9], s[8:9], 0x0
	s_delay_alu instid0(VALU_DEP_1) | instskip(NEXT) | instid1(VALU_DEP_1)
	v_mad_u64_u32 v[10:11], null, s3, v5, v[7:8]
	v_mad_u64_u32 v[11:12], null, s11, v4, v[9:10]
	v_dual_mov_b32 v7, v10 :: v_dual_mov_b32 v12, 0
	v_lshlrev_b32_e32 v19, 7, v4
	s_delay_alu instid0(VALU_DEP_2) | instskip(NEXT) | instid1(VALU_DEP_2)
	v_lshlrev_b64 v[4:5], 3, v[6:7]
	v_dual_mov_b32 v14, v11 :: v_dual_add_nc_u32 v9, 0x800, v19
	v_add_nc_u32_e32 v10, v8, v19
	s_delay_alu instid0(VALU_DEP_3) | instskip(NEXT) | instid1(VALU_DEP_3)
	v_add_co_u32 v4, vcc_lo, v4, v15
	v_lshlrev_b64 v[6:7], 3, v[13:14]
	v_add_co_ci_u32_e32 v5, vcc_lo, v5, v16, vcc_lo
	v_add_nc_u32_e32 v11, v9, v8
	s_delay_alu instid0(VALU_DEP_3) | instskip(NEXT) | instid1(VALU_DEP_4)
	v_add_co_u32 v6, vcc_lo, v6, v17
	v_add_co_ci_u32_e32 v7, vcc_lo, v7, v18, vcc_lo
	s_waitcnt lgkmcnt(0)
	v_add_co_u32 v13, vcc_lo, v4, s0
	v_add_co_ci_u32_e32 v14, vcc_lo, s1, v5, vcc_lo
	v_add_co_u32 v4, vcc_lo, s8, v6
	v_add_co_ci_u32_e32 v5, vcc_lo, s9, v7, vcc_lo
	s_delay_alu instid0(VALU_DEP_4)
	v_add_co_u32 v6, vcc_lo, v13, 4
	v_mov_b32_e32 v13, 0
	v_add_co_ci_u32_e32 v7, vcc_lo, 0, v14, vcc_lo
	s_lshl_b64 s[0:1], s[2:3], 7
	s_lshl_b64 s[2:3], s[10:11], 7
	s_mov_b64 s[8:9], 0
.LBB1589_2:                             ; =>This Inner Loop Header: Depth=1
	global_load_b64 v[14:15], v[4:5], off
	global_load_b64 v[16:17], v[6:7], off offset:-4
	s_add_u32 s8, s8, 16
	v_add_co_u32 v6, vcc_lo, v6, s0
	s_addc_u32 s9, s9, 0
	v_add_co_ci_u32_e32 v7, vcc_lo, s1, v7, vcc_lo
	v_cmp_lt_i64_e64 s10, s[8:9], s[4:5]
	v_add_co_u32 v4, vcc_lo, v4, s2
	v_add_co_ci_u32_e32 v5, vcc_lo, s3, v5, vcc_lo
	s_waitcnt vmcnt(1)
	ds_store_b64 v10, v[14:15]
	s_waitcnt vmcnt(0)
	ds_store_b64 v11, v[16:17]
	s_waitcnt lgkmcnt(0)
	s_barrier
	buffer_gl0_inv
	ds_load_2addr_b64 v[14:17], v8 offset1:16
	ds_load_b128 v[18:21], v9
	ds_load_b128 v[22:25], v9 offset:16
	ds_load_2addr_b64 v[26:29], v8 offset0:32 offset1:48
	ds_load_2addr_b64 v[30:33], v8 offset0:64 offset1:80
	ds_load_b128 v[34:37], v9 offset:32
	ds_load_b128 v[38:41], v9 offset:48
	ds_load_2addr_b64 v[42:45], v8 offset0:96 offset1:112
	ds_load_2addr_b64 v[46:49], v8 offset0:128 offset1:144
	;; [unrolled: 1-line block ×3, first 2 shown]
	ds_load_b128 v[54:57], v9 offset:64
	ds_load_b128 v[58:61], v9 offset:80
	ds_load_2addr_b64 v[62:65], v8 offset0:192 offset1:208
	ds_load_2addr_b64 v[66:69], v8 offset0:224 offset1:240
	ds_load_b128 v[70:73], v9 offset:96
	ds_load_b128 v[74:77], v9 offset:112
	s_and_b32 vcc_lo, exec_lo, s10
	s_waitcnt lgkmcnt(0)
	s_barrier
	buffer_gl0_inv
	v_dual_mul_f32 v78, v19, v15 :: v_dual_mul_f32 v79, v21, v17
	v_mul_f32_e32 v15, v18, v15
	v_dual_mul_f32 v17, v20, v17 :: v_dual_mul_f32 v80, v23, v27
	v_mul_f32_e32 v27, v22, v27
	s_delay_alu instid0(VALU_DEP_4) | instskip(SKIP_1) | instid1(VALU_DEP_4)
	v_fma_f32 v18, v18, v14, -v78
	v_dual_mul_f32 v81, v25, v29 :: v_dual_mul_f32 v82, v35, v31
	v_fmac_f32_e32 v17, v21, v16
	s_delay_alu instid0(VALU_DEP_4) | instskip(SKIP_4) | instid1(VALU_DEP_4)
	v_fmac_f32_e32 v27, v23, v26
	v_fmac_f32_e32 v15, v19, v14
	v_mul_f32_e32 v85, v41, v45
	v_dual_mul_f32 v29, v24, v29 :: v_dual_mul_f32 v84, v39, v43
	v_mul_f32_e32 v45, v40, v45
	v_add_f32_e32 v12, v12, v15
	v_mul_f32_e32 v31, v34, v31
	v_dual_add_f32 v13, v13, v18 :: v_dual_mul_f32 v18, v74, v67
	v_mul_f32_e32 v19, v56, v49
	s_delay_alu instid0(VALU_DEP_4) | instskip(SKIP_1) | instid1(VALU_DEP_3)
	v_add_f32_e32 v12, v12, v17
	v_dual_mul_f32 v83, v37, v33 :: v_dual_mul_f32 v86, v55, v47
	v_dual_fmac_f32 v18, v75, v66 :: v_dual_fmac_f32 v19, v57, v48
	s_delay_alu instid0(VALU_DEP_3) | instskip(SKIP_3) | instid1(VALU_DEP_4)
	v_dual_fmac_f32 v29, v25, v28 :: v_dual_add_f32 v12, v12, v27
	v_mul_f32_e32 v33, v36, v33
	v_mul_f32_e32 v47, v54, v47
	v_fmac_f32_e32 v31, v35, v30
	v_dual_mul_f32 v43, v38, v43 :: v_dual_add_f32 v12, v12, v29
	v_fma_f32 v14, v20, v16, -v79
	v_dual_mul_f32 v20, v59, v51 :: v_dual_fmac_f32 v33, v37, v32
	v_mul_f32_e32 v16, v57, v49
	s_delay_alu instid0(VALU_DEP_4) | instskip(SKIP_3) | instid1(VALU_DEP_4)
	v_add_f32_e32 v12, v12, v31
	v_mul_f32_e32 v21, v58, v51
	v_add_f32_e32 v13, v13, v14
	v_dual_mul_f32 v14, v77, v69 :: v_dual_fmac_f32 v43, v39, v42
	v_add_f32_e32 v12, v12, v33
	v_mul_f32_e32 v49, v61, v53
	v_fmac_f32_e32 v45, v41, v44
	v_mul_f32_e32 v51, v60, v53
	s_delay_alu instid0(VALU_DEP_4) | instskip(SKIP_2) | instid1(VALU_DEP_4)
	v_dual_fmac_f32 v47, v55, v46 :: v_dual_add_f32 v12, v12, v43
	v_mul_f32_e32 v53, v71, v63
	v_fmac_f32_e32 v21, v59, v50
	v_fmac_f32_e32 v51, v61, v52
	v_mul_f32_e32 v25, v72, v65
	v_add_f32_e32 v12, v12, v45
	v_fma_f32 v22, v22, v26, -v80
	v_mul_f32_e32 v17, v76, v69
	v_fma_f32 v23, v24, v28, -v81
	s_delay_alu instid0(VALU_DEP_4) | instskip(SKIP_1) | instid1(VALU_DEP_4)
	v_dual_fmac_f32 v25, v73, v64 :: v_dual_add_f32 v12, v12, v47
	v_fma_f32 v16, v56, v48, -v16
	v_fmac_f32_e32 v17, v77, v68
	v_fma_f32 v20, v58, v50, -v20
	v_mul_f32_e32 v24, v73, v65
	v_add_f32_e32 v12, v12, v19
	v_mul_f32_e32 v63, v70, v63
	v_fma_f32 v19, v70, v62, -v53
	v_fma_f32 v14, v76, v68, -v14
	s_delay_alu instid0(VALU_DEP_3) | instskip(NEXT) | instid1(VALU_DEP_1)
	v_dual_add_f32 v12, v12, v21 :: v_dual_fmac_f32 v63, v71, v62
	v_add_f32_e32 v12, v12, v51
	s_delay_alu instid0(VALU_DEP_1) | instskip(NEXT) | instid1(VALU_DEP_1)
	v_add_f32_e32 v12, v12, v63
	v_dual_mul_f32 v15, v75, v67 :: v_dual_add_f32 v12, v12, v25
	s_delay_alu instid0(VALU_DEP_1) | instskip(NEXT) | instid1(VALU_DEP_2)
	v_fma_f32 v15, v74, v66, -v15
	v_add_f32_e32 v12, v12, v18
	v_add_f32_e32 v13, v13, v22
	v_fma_f32 v22, v34, v30, -v82
	s_delay_alu instid0(VALU_DEP_2) | instskip(SKIP_1) | instid1(VALU_DEP_2)
	v_dual_add_f32 v12, v12, v17 :: v_dual_add_f32 v13, v13, v23
	v_fma_f32 v23, v36, v32, -v83
	v_add_f32_e32 v13, v13, v22
	v_fma_f32 v22, v38, v42, -v84
	s_delay_alu instid0(VALU_DEP_2) | instskip(SKIP_1) | instid1(VALU_DEP_2)
	v_add_f32_e32 v13, v13, v23
	v_fma_f32 v23, v40, v44, -v85
	v_add_f32_e32 v13, v13, v22
	v_fma_f32 v22, v54, v46, -v86
	s_delay_alu instid0(VALU_DEP_2) | instskip(NEXT) | instid1(VALU_DEP_1)
	v_add_f32_e32 v13, v13, v23
	v_add_f32_e32 v13, v13, v22
	s_delay_alu instid0(VALU_DEP_1) | instskip(SKIP_1) | instid1(VALU_DEP_2)
	v_add_f32_e32 v13, v13, v16
	v_fma_f32 v16, v60, v52, -v49
	v_add_f32_e32 v13, v13, v20
	s_delay_alu instid0(VALU_DEP_1) | instskip(SKIP_1) | instid1(VALU_DEP_2)
	v_add_f32_e32 v13, v13, v16
	v_fma_f32 v16, v72, v64, -v24
	v_add_f32_e32 v13, v13, v19
	s_delay_alu instid0(VALU_DEP_1) | instskip(NEXT) | instid1(VALU_DEP_1)
	v_add_f32_e32 v13, v13, v16
	v_add_f32_e32 v13, v13, v15
	s_delay_alu instid0(VALU_DEP_1)
	v_add_f32_e32 v13, v13, v14
	s_cbranch_vccnz .LBB1589_2
.LBB1589_3:
	s_mov_b32 s0, exec_lo
	v_cmpx_le_i32_e64 v0, v2
	s_cbranch_execz .LBB1589_5
; %bb.4:
	s_waitcnt lgkmcnt(0)
	v_mul_lo_u32 v5, v2, s21
	v_mul_lo_u32 v6, v3, s20
	v_mad_u64_u32 v[3:4], null, v2, s20, 0
	v_lshlrev_b64 v[0:1], 3, v[0:1]
	s_delay_alu instid0(VALU_DEP_2) | instskip(NEXT) | instid1(VALU_DEP_1)
	v_add3_u32 v4, v4, v5, v6
	v_lshlrev_b64 v[2:3], 3, v[3:4]
	s_delay_alu instid0(VALU_DEP_1) | instskip(NEXT) | instid1(VALU_DEP_2)
	v_add_co_u32 v2, vcc_lo, s18, v2
	v_add_co_ci_u32_e32 v3, vcc_lo, s19, v3, vcc_lo
	s_delay_alu instid0(VALU_DEP_2) | instskip(NEXT) | instid1(VALU_DEP_2)
	v_add_co_u32 v0, vcc_lo, v2, v0
	v_add_co_ci_u32_e32 v1, vcc_lo, v3, v1, vcc_lo
	global_load_b64 v[2:3], v[0:1], off
	v_mul_f32_e32 v4, s7, v12
	s_waitcnt vmcnt(0)
	v_dual_mul_f32 v5, s6, v12 :: v_dual_mul_f32 v6, s17, v3
	v_mul_f32_e32 v3, s16, v3
	s_delay_alu instid0(VALU_DEP_3) | instskip(NEXT) | instid1(VALU_DEP_3)
	v_fma_f32 v4, v13, s6, -v4
	v_fma_f32 v6, v2, s16, -v6
	s_delay_alu instid0(VALU_DEP_4) | instskip(NEXT) | instid1(VALU_DEP_4)
	v_fmac_f32_e32 v5, s7, v13
	v_fmac_f32_e32 v3, s17, v2
	s_delay_alu instid0(VALU_DEP_1)
	v_dual_add_f32 v2, v4, v6 :: v_dual_add_f32 v3, v5, v3
	global_store_b64 v[0:1], v[2:3], off
.LBB1589_5:
	s_nop 0
	s_sendmsg sendmsg(MSG_DEALLOC_VGPRS)
	s_endpgm
	.section	.rodata,"a",@progbits
	.p2align	6, 0x0
	.amdhsa_kernel _ZL41rocblas_syrkx_herkx_small_restrict_kernelIl19rocblas_complex_numIfELi16ELb0ELb0ELc78ELc85EKPKS1_KPS1_EviT_T0_PT6_S7_lSA_S7_lS8_PT7_S7_li
		.amdhsa_group_segment_fixed_size 4096
		.amdhsa_private_segment_fixed_size 0
		.amdhsa_kernarg_size 108
		.amdhsa_user_sgpr_count 13
		.amdhsa_user_sgpr_dispatch_ptr 0
		.amdhsa_user_sgpr_queue_ptr 0
		.amdhsa_user_sgpr_kernarg_segment_ptr 1
		.amdhsa_user_sgpr_dispatch_id 0
		.amdhsa_user_sgpr_private_segment_size 0
		.amdhsa_wavefront_size32 1
		.amdhsa_uses_dynamic_stack 0
		.amdhsa_enable_private_segment 0
		.amdhsa_system_sgpr_workgroup_id_x 1
		.amdhsa_system_sgpr_workgroup_id_y 1
		.amdhsa_system_sgpr_workgroup_id_z 1
		.amdhsa_system_sgpr_workgroup_info 0
		.amdhsa_system_vgpr_workitem_id 1
		.amdhsa_next_free_vgpr 87
		.amdhsa_next_free_sgpr 24
		.amdhsa_reserve_vcc 1
		.amdhsa_float_round_mode_32 0
		.amdhsa_float_round_mode_16_64 0
		.amdhsa_float_denorm_mode_32 3
		.amdhsa_float_denorm_mode_16_64 3
		.amdhsa_dx10_clamp 1
		.amdhsa_ieee_mode 1
		.amdhsa_fp16_overflow 0
		.amdhsa_workgroup_processor_mode 1
		.amdhsa_memory_ordered 1
		.amdhsa_forward_progress 0
		.amdhsa_shared_vgpr_count 0
		.amdhsa_exception_fp_ieee_invalid_op 0
		.amdhsa_exception_fp_denorm_src 0
		.amdhsa_exception_fp_ieee_div_zero 0
		.amdhsa_exception_fp_ieee_overflow 0
		.amdhsa_exception_fp_ieee_underflow 0
		.amdhsa_exception_fp_ieee_inexact 0
		.amdhsa_exception_int_div_zero 0
	.end_amdhsa_kernel
	.section	.text._ZL41rocblas_syrkx_herkx_small_restrict_kernelIl19rocblas_complex_numIfELi16ELb0ELb0ELc78ELc85EKPKS1_KPS1_EviT_T0_PT6_S7_lSA_S7_lS8_PT7_S7_li,"axG",@progbits,_ZL41rocblas_syrkx_herkx_small_restrict_kernelIl19rocblas_complex_numIfELi16ELb0ELb0ELc78ELc85EKPKS1_KPS1_EviT_T0_PT6_S7_lSA_S7_lS8_PT7_S7_li,comdat
.Lfunc_end1589:
	.size	_ZL41rocblas_syrkx_herkx_small_restrict_kernelIl19rocblas_complex_numIfELi16ELb0ELb0ELc78ELc85EKPKS1_KPS1_EviT_T0_PT6_S7_lSA_S7_lS8_PT7_S7_li, .Lfunc_end1589-_ZL41rocblas_syrkx_herkx_small_restrict_kernelIl19rocblas_complex_numIfELi16ELb0ELb0ELc78ELc85EKPKS1_KPS1_EviT_T0_PT6_S7_lSA_S7_lS8_PT7_S7_li
                                        ; -- End function
	.section	.AMDGPU.csdata,"",@progbits
; Kernel info:
; codeLenInByte = 1348
; NumSgprs: 26
; NumVgprs: 87
; ScratchSize: 0
; MemoryBound: 0
; FloatMode: 240
; IeeeMode: 1
; LDSByteSize: 4096 bytes/workgroup (compile time only)
; SGPRBlocks: 3
; VGPRBlocks: 10
; NumSGPRsForWavesPerEU: 26
; NumVGPRsForWavesPerEU: 87
; Occupancy: 16
; WaveLimiterHint : 1
; COMPUTE_PGM_RSRC2:SCRATCH_EN: 0
; COMPUTE_PGM_RSRC2:USER_SGPR: 13
; COMPUTE_PGM_RSRC2:TRAP_HANDLER: 0
; COMPUTE_PGM_RSRC2:TGID_X_EN: 1
; COMPUTE_PGM_RSRC2:TGID_Y_EN: 1
; COMPUTE_PGM_RSRC2:TGID_Z_EN: 1
; COMPUTE_PGM_RSRC2:TIDIG_COMP_CNT: 1
	.section	.text._ZL32rocblas_syrkx_herkx_small_kernelIl19rocblas_complex_numIfELi16ELb1ELb0ELc84ELc76EKPKS1_KPS1_EviT_T0_PT6_S7_lSA_S7_lS8_PT7_S7_li,"axG",@progbits,_ZL32rocblas_syrkx_herkx_small_kernelIl19rocblas_complex_numIfELi16ELb1ELb0ELc84ELc76EKPKS1_KPS1_EviT_T0_PT6_S7_lSA_S7_lS8_PT7_S7_li,comdat
	.globl	_ZL32rocblas_syrkx_herkx_small_kernelIl19rocblas_complex_numIfELi16ELb1ELb0ELc84ELc76EKPKS1_KPS1_EviT_T0_PT6_S7_lSA_S7_lS8_PT7_S7_li ; -- Begin function _ZL32rocblas_syrkx_herkx_small_kernelIl19rocblas_complex_numIfELi16ELb1ELb0ELc84ELc76EKPKS1_KPS1_EviT_T0_PT6_S7_lSA_S7_lS8_PT7_S7_li
	.p2align	8
	.type	_ZL32rocblas_syrkx_herkx_small_kernelIl19rocblas_complex_numIfELi16ELb1ELb0ELc84ELc76EKPKS1_KPS1_EviT_T0_PT6_S7_lSA_S7_lS8_PT7_S7_li,@function
_ZL32rocblas_syrkx_herkx_small_kernelIl19rocblas_complex_numIfELi16ELb1ELb0ELc84ELc76EKPKS1_KPS1_EviT_T0_PT6_S7_lSA_S7_lS8_PT7_S7_li: ; @_ZL32rocblas_syrkx_herkx_small_kernelIl19rocblas_complex_numIfELi16ELb1ELb0ELc84ELc76EKPKS1_KPS1_EviT_T0_PT6_S7_lSA_S7_lS8_PT7_S7_li
; %bb.0:
	s_clause 0x2
	s_load_b128 s[16:19], s[0:1], 0x50
	s_load_b256 s[4:11], s[0:1], 0x8
	s_load_b32 s3, s[0:1], 0x0
	s_mov_b32 s20, s15
	s_mov_b32 s21, 0
	v_dual_mov_b32 v17, 0 :: v_dual_and_b32 v10, 0x3ff, v0
	s_lshl_b64 s[20:21], s[20:21], 3
	v_bfe_u32 v11, v0, 10, 10
	v_mov_b32_e32 v16, 0
	s_delay_alu instid0(VALU_DEP_3) | instskip(NEXT) | instid1(VALU_DEP_3)
	v_lshl_add_u32 v0, s13, 4, v10
	v_lshl_add_u32 v8, s14, 4, v11
	s_delay_alu instid0(VALU_DEP_2) | instskip(NEXT) | instid1(VALU_DEP_2)
	v_ashrrev_i32_e32 v1, 31, v0
	v_ashrrev_i32_e32 v9, 31, v8
	s_waitcnt lgkmcnt(0)
	s_add_u32 s16, s16, s20
	s_addc_u32 s17, s17, s21
	v_cmp_lt_i64_e64 s2, s[4:5], 1
	s_load_b64 s[16:17], s[16:17], 0x0
	s_delay_alu instid0(VALU_DEP_1)
	s_and_b32 vcc_lo, exec_lo, s2
	v_cmp_gt_i32_e64 s2, s3, v0
	s_cbranch_vccnz .LBB1590_11
; %bb.1:
	s_load_b128 s[12:15], s[0:1], 0x30
	v_mul_lo_u32 v14, s11, v0
	v_mul_lo_u32 v15, s10, v1
	v_mad_u64_u32 v[5:6], null, s10, v0, 0
	v_lshlrev_b32_e32 v12, 3, v10
	v_dual_mov_b32 v2, 0 :: v_dual_lshlrev_b32 v7, 7, v11
	v_lshlrev_b32_e32 v17, 3, v11
	v_cmp_gt_i32_e32 vcc_lo, s3, v8
	v_add3_u32 v6, v6, v15, v14
	s_delay_alu instid0(VALU_DEP_4) | instskip(NEXT) | instid1(VALU_DEP_2)
	v_add_nc_u32_e32 v14, v12, v7
	v_lshlrev_b64 v[5:6], 3, v[5:6]
	s_waitcnt lgkmcnt(0)
	v_mul_lo_u32 v13, s15, v8
	v_mul_lo_u32 v16, s14, v9
	v_mad_u64_u32 v[3:4], null, s14, v8, 0
	s_add_u32 s0, s12, s20
	s_addc_u32 s1, s13, s21
	s_add_u32 s8, s8, s20
	s_load_b64 s[10:11], s[0:1], 0x0
	s_addc_u32 s9, s9, s21
	s_xor_b32 s2, s2, -1
	s_delay_alu instid0(VALU_DEP_1) | instskip(SKIP_3) | instid1(VALU_DEP_3)
	v_add3_u32 v4, v4, v16, v13
	v_mov_b32_e32 v16, 0
	s_load_b64 s[8:9], s[8:9], 0x0
	v_add_nc_u32_e32 v13, 0x800, v7
	v_lshlrev_b64 v[3:4], 3, v[3:4]
	s_delay_alu instid0(VALU_DEP_1) | instskip(NEXT) | instid1(VALU_DEP_1)
	v_add_co_u32 v3, s0, v3, v12
	v_add_co_ci_u32_e64 v7, s0, 0, v4, s0
	v_add_co_u32 v17, s0, v5, v17
	s_delay_alu instid0(VALU_DEP_1) | instskip(SKIP_2) | instid1(VALU_DEP_1)
	v_add_co_ci_u32_e64 v18, s0, 0, v6, s0
	s_waitcnt lgkmcnt(0)
	v_add_co_u32 v4, s0, s10, v3
	v_add_co_ci_u32_e64 v5, s0, s11, v7, s0
	v_add_co_u32 v6, s0, s8, v17
	s_delay_alu instid0(VALU_DEP_1)
	v_add_co_ci_u32_e64 v7, s0, s9, v18, s0
	v_mov_b32_e32 v17, 0
	v_add_nc_u32_e32 v15, v13, v12
	s_mov_b64 s[0:1], 0
	s_xor_b32 s8, vcc_lo, -1
	s_branch .LBB1590_3
.LBB1590_2:                             ;   in Loop: Header=BB1590_3 Depth=1
	s_or_b32 exec_lo, exec_lo, s9
	s_waitcnt lgkmcnt(0)
	s_barrier
	buffer_gl0_inv
	ds_load_2addr_b64 v[18:21], v12 offset1:16
	ds_load_b128 v[22:25], v13
	ds_load_b128 v[26:29], v13 offset:16
	ds_load_2addr_b64 v[30:33], v12 offset0:32 offset1:48
	ds_load_2addr_b64 v[34:37], v12 offset0:64 offset1:80
	ds_load_b128 v[38:41], v13 offset:32
	ds_load_b128 v[42:45], v13 offset:48
	ds_load_2addr_b64 v[46:49], v12 offset0:96 offset1:112
	ds_load_2addr_b64 v[50:53], v12 offset0:128 offset1:144
	;; [unrolled: 1-line block ×3, first 2 shown]
	ds_load_b128 v[58:61], v13 offset:64
	ds_load_b128 v[62:65], v13 offset:80
	s_add_u32 s0, s0, 16
	s_addc_u32 s1, s1, 0
	v_add_co_u32 v4, vcc_lo, 0x80, v4
	v_cmp_ge_i64_e64 s9, s[0:1], s[4:5]
	v_add_co_ci_u32_e32 v5, vcc_lo, 0, v5, vcc_lo
	v_add_co_u32 v6, vcc_lo, 0x80, v6
	s_waitcnt lgkmcnt(10)
	v_dual_mul_f32 v3, v23, v19 :: v_dual_mul_f32 v66, v25, v21
	s_waitcnt lgkmcnt(8)
	v_dual_mul_f32 v19, v22, v19 :: v_dual_mul_f32 v68, v29, v33
	v_mul_f32_e32 v21, v24, v21
	v_mul_f32_e32 v67, v27, v31
	;; [unrolled: 1-line block ×3, first 2 shown]
	s_delay_alu instid0(VALU_DEP_4)
	v_fmac_f32_e32 v19, v23, v18
	v_fma_f32 v3, v22, v18, -v3
	s_waitcnt lgkmcnt(6)
	v_dual_fmac_f32 v21, v25, v20 :: v_dual_mul_f32 v18, v40, v37
	v_mul_f32_e32 v33, v28, v33
	v_add_f32_e32 v16, v16, v19
	v_mul_f32_e32 v69, v39, v35
	v_fmac_f32_e32 v31, v27, v30
	v_fma_f32 v23, v24, v20, -v66
	v_fmac_f32_e32 v18, v41, v36
	v_dual_add_f32 v16, v16, v21 :: v_dual_fmac_f32 v33, v29, v32
	s_waitcnt lgkmcnt(1)
	v_mul_f32_e32 v24, v58, v51
	v_mul_f32_e32 v20, v42, v47
	v_add_f32_e32 v3, v17, v3
	v_add_f32_e32 v16, v16, v31
	v_mul_f32_e32 v35, v38, v35
	v_fma_f32 v21, v28, v32, -v68
	s_waitcnt lgkmcnt(0)
	v_mul_f32_e32 v32, v62, v55
	v_mul_f32_e32 v22, v41, v37
	v_dual_add_f32 v16, v16, v33 :: v_dual_fmac_f32 v35, v39, v34
	v_fma_f32 v19, v26, v30, -v67
	v_dual_fmac_f32 v20, v43, v46 :: v_dual_mul_f32 v27, v60, v53
	s_delay_alu instid0(VALU_DEP_4) | instskip(NEXT) | instid1(VALU_DEP_4)
	v_fma_f32 v22, v40, v36, -v22
	v_add_f32_e32 v16, v16, v35
	v_mul_f32_e32 v17, v43, v47
	v_add_co_ci_u32_e32 v7, vcc_lo, 0, v7, vcc_lo
	v_fmac_f32_e32 v24, v59, v50
	s_delay_alu instid0(VALU_DEP_4) | instskip(SKIP_3) | instid1(VALU_DEP_4)
	v_dual_add_f32 v16, v16, v18 :: v_dual_add_f32 v3, v3, v23
	v_mul_f32_e32 v26, v61, v53
	v_fma_f32 v23, v38, v34, -v69
	v_fmac_f32_e32 v27, v61, v52
	v_dual_add_f32 v20, v16, v20 :: v_dual_add_f32 v3, v3, v19
	v_mul_f32_e32 v19, v45, v49
	v_fma_f32 v17, v42, v46, -v17
	v_fmac_f32_e32 v32, v63, v54
	s_and_b32 vcc_lo, exec_lo, s9
	v_add_f32_e32 v3, v3, v21
	v_mul_f32_e32 v21, v44, v49
	s_delay_alu instid0(VALU_DEP_1) | instskip(NEXT) | instid1(VALU_DEP_1)
	v_dual_mul_f32 v36, v64, v57 :: v_dual_fmac_f32 v21, v45, v48
	v_dual_fmac_f32 v36, v65, v56 :: v_dual_add_f32 v25, v20, v21
	s_delay_alu instid0(VALU_DEP_1) | instskip(SKIP_2) | instid1(VALU_DEP_3)
	v_dual_add_f32 v24, v25, v24 :: v_dual_add_f32 v3, v3, v23
	v_fma_f32 v25, v60, v52, -v26
	v_mul_f32_e32 v26, v63, v55
	v_add_f32_e32 v33, v24, v27
	s_delay_alu instid0(VALU_DEP_4) | instskip(SKIP_3) | instid1(VALU_DEP_4)
	v_add_f32_e32 v3, v3, v22
	v_mul_f32_e32 v23, v59, v51
	v_fma_f32 v22, v44, v48, -v19
	v_fma_f32 v34, v62, v54, -v26
	v_dual_add_f32 v32, v33, v32 :: v_dual_add_f32 v3, v3, v17
	ds_load_2addr_b64 v[16:19], v12 offset0:192 offset1:208
	v_fma_f32 v23, v58, v50, -v23
	v_dual_add_f32 v32, v32, v36 :: v_dual_add_f32 v3, v3, v22
	s_delay_alu instid0(VALU_DEP_1)
	v_add_f32_e32 v3, v3, v23
	ds_load_b128 v[20:23], v13 offset:96
	v_add_f32_e32 v3, v3, v25
	ds_load_2addr_b64 v[24:27], v12 offset0:224 offset1:240
	ds_load_b128 v[28:31], v13 offset:112
	v_mul_f32_e32 v35, v65, v57
	s_waitcnt lgkmcnt(0)
	s_barrier
	v_add_f32_e32 v3, v3, v34
	buffer_gl0_inv
	v_fma_f32 v33, v64, v56, -v35
	s_delay_alu instid0(VALU_DEP_1) | instskip(SKIP_2) | instid1(VALU_DEP_2)
	v_add_f32_e32 v3, v3, v33
	v_mul_f32_e32 v34, v21, v17
	v_mul_f32_e32 v17, v20, v17
	v_fma_f32 v20, v20, v16, -v34
	s_delay_alu instid0(VALU_DEP_2) | instskip(SKIP_1) | instid1(VALU_DEP_3)
	v_dual_fmac_f32 v17, v21, v16 :: v_dual_mul_f32 v16, v23, v19
	v_mul_f32_e32 v19, v22, v19
	v_add_f32_e32 v3, v3, v20
	s_delay_alu instid0(VALU_DEP_3) | instskip(NEXT) | instid1(VALU_DEP_4)
	v_add_f32_e32 v17, v32, v17
	v_fma_f32 v16, v22, v18, -v16
	s_delay_alu instid0(VALU_DEP_4) | instskip(NEXT) | instid1(VALU_DEP_2)
	v_dual_fmac_f32 v19, v23, v18 :: v_dual_mul_f32 v18, v29, v25
	v_dual_mul_f32 v20, v28, v25 :: v_dual_add_f32 v3, v3, v16
	s_delay_alu instid0(VALU_DEP_2) | instskip(NEXT) | instid1(VALU_DEP_3)
	v_add_f32_e32 v16, v17, v19
	v_fma_f32 v17, v28, v24, -v18
	s_delay_alu instid0(VALU_DEP_3) | instskip(SKIP_2) | instid1(VALU_DEP_3)
	v_fmac_f32_e32 v20, v29, v24
	v_mul_f32_e32 v18, v31, v27
	v_mul_f32_e32 v19, v30, v27
	v_dual_add_f32 v3, v3, v17 :: v_dual_add_f32 v16, v16, v20
	s_delay_alu instid0(VALU_DEP_3) | instskip(NEXT) | instid1(VALU_DEP_3)
	v_fma_f32 v17, v30, v26, -v18
	v_fmac_f32_e32 v19, v31, v26
	s_delay_alu instid0(VALU_DEP_1)
	v_dual_add_f32 v17, v3, v17 :: v_dual_add_f32 v16, v16, v19
	s_cbranch_vccnz .LBB1590_11
.LBB1590_3:                             ; =>This Inner Loop Header: Depth=1
	v_add_co_u32 v18, s9, v11, s0
	s_delay_alu instid0(VALU_DEP_1) | instskip(NEXT) | instid1(VALU_DEP_1)
	v_add_co_ci_u32_e64 v19, null, 0, s1, s9
	v_cmp_le_i64_e32 vcc_lo, s[4:5], v[18:19]
	s_or_b32 s9, s2, vcc_lo
	s_delay_alu instid0(SALU_CYCLE_1) | instskip(NEXT) | instid1(SALU_CYCLE_1)
	s_and_saveexec_b32 s10, s9
	s_xor_b32 s9, exec_lo, s10
	s_cbranch_execz .LBB1590_5
; %bb.4:                                ;   in Loop: Header=BB1590_3 Depth=1
	v_mov_b32_e32 v3, v2
	ds_store_b64 v14, v[2:3]
.LBB1590_5:                             ;   in Loop: Header=BB1590_3 Depth=1
	s_and_not1_saveexec_b32 s9, s9
	s_cbranch_execz .LBB1590_7
; %bb.6:                                ;   in Loop: Header=BB1590_3 Depth=1
	global_load_b64 v[18:19], v[6:7], off
	s_waitcnt vmcnt(0)
	ds_store_b64 v14, v[18:19]
.LBB1590_7:                             ;   in Loop: Header=BB1590_3 Depth=1
	s_or_b32 exec_lo, exec_lo, s9
	v_add_co_u32 v18, s9, v10, s0
	s_delay_alu instid0(VALU_DEP_1) | instskip(NEXT) | instid1(VALU_DEP_1)
	v_add_co_ci_u32_e64 v19, null, 0, s1, s9
	v_cmp_le_i64_e32 vcc_lo, s[4:5], v[18:19]
	s_or_b32 s9, s8, vcc_lo
	s_delay_alu instid0(SALU_CYCLE_1) | instskip(NEXT) | instid1(SALU_CYCLE_1)
	s_and_saveexec_b32 s10, s9
	s_xor_b32 s9, exec_lo, s10
	s_cbranch_execz .LBB1590_9
; %bb.8:                                ;   in Loop: Header=BB1590_3 Depth=1
	v_mov_b32_e32 v3, v2
	ds_store_b64 v15, v[2:3]
.LBB1590_9:                             ;   in Loop: Header=BB1590_3 Depth=1
	s_and_not1_saveexec_b32 s9, s9
	s_cbranch_execz .LBB1590_2
; %bb.10:                               ;   in Loop: Header=BB1590_3 Depth=1
	global_load_b64 v[18:19], v[4:5], off
	s_waitcnt vmcnt(0)
	ds_store_b64 v15, v[18:19]
	s_branch .LBB1590_2
.LBB1590_11:
	v_cmp_le_i32_e32 vcc_lo, v8, v0
	v_cmp_gt_i32_e64 s0, s3, v0
	s_delay_alu instid0(VALU_DEP_1) | instskip(NEXT) | instid1(SALU_CYCLE_1)
	s_and_b32 s0, vcc_lo, s0
	s_and_saveexec_b32 s1, s0
	s_cbranch_execz .LBB1590_13
; %bb.12:
	v_mul_lo_u32 v4, v8, s19
	v_mul_lo_u32 v5, v9, s18
	v_mad_u64_u32 v[2:3], null, v8, s18, 0
	v_lshlrev_b64 v[0:1], 3, v[0:1]
	s_delay_alu instid0(VALU_DEP_2) | instskip(SKIP_2) | instid1(VALU_DEP_3)
	v_add3_u32 v3, v3, v4, v5
	v_mul_f32_e32 v5, s6, v16
	v_mul_f32_e32 v4, s7, v16
	v_lshlrev_b64 v[2:3], 3, v[2:3]
	s_delay_alu instid0(VALU_DEP_3) | instskip(NEXT) | instid1(VALU_DEP_3)
	v_fmac_f32_e32 v5, s7, v17
	v_fma_f32 v4, v17, s6, -v4
	s_waitcnt lgkmcnt(0)
	s_delay_alu instid0(VALU_DEP_3) | instskip(NEXT) | instid1(VALU_DEP_4)
	v_add_co_u32 v2, vcc_lo, s16, v2
	v_add_co_ci_u32_e32 v3, vcc_lo, s17, v3, vcc_lo
	s_delay_alu instid0(VALU_DEP_2) | instskip(NEXT) | instid1(VALU_DEP_2)
	v_add_co_u32 v0, vcc_lo, v2, v0
	v_add_co_ci_u32_e32 v1, vcc_lo, v3, v1, vcc_lo
	global_store_b64 v[0:1], v[4:5], off
.LBB1590_13:
	s_nop 0
	s_sendmsg sendmsg(MSG_DEALLOC_VGPRS)
	s_endpgm
	.section	.rodata,"a",@progbits
	.p2align	6, 0x0
	.amdhsa_kernel _ZL32rocblas_syrkx_herkx_small_kernelIl19rocblas_complex_numIfELi16ELb1ELb0ELc84ELc76EKPKS1_KPS1_EviT_T0_PT6_S7_lSA_S7_lS8_PT7_S7_li
		.amdhsa_group_segment_fixed_size 4096
		.amdhsa_private_segment_fixed_size 0
		.amdhsa_kernarg_size 108
		.amdhsa_user_sgpr_count 13
		.amdhsa_user_sgpr_dispatch_ptr 0
		.amdhsa_user_sgpr_queue_ptr 0
		.amdhsa_user_sgpr_kernarg_segment_ptr 1
		.amdhsa_user_sgpr_dispatch_id 0
		.amdhsa_user_sgpr_private_segment_size 0
		.amdhsa_wavefront_size32 1
		.amdhsa_uses_dynamic_stack 0
		.amdhsa_enable_private_segment 0
		.amdhsa_system_sgpr_workgroup_id_x 1
		.amdhsa_system_sgpr_workgroup_id_y 1
		.amdhsa_system_sgpr_workgroup_id_z 1
		.amdhsa_system_sgpr_workgroup_info 0
		.amdhsa_system_vgpr_workitem_id 1
		.amdhsa_next_free_vgpr 70
		.amdhsa_next_free_sgpr 22
		.amdhsa_reserve_vcc 1
		.amdhsa_float_round_mode_32 0
		.amdhsa_float_round_mode_16_64 0
		.amdhsa_float_denorm_mode_32 3
		.amdhsa_float_denorm_mode_16_64 3
		.amdhsa_dx10_clamp 1
		.amdhsa_ieee_mode 1
		.amdhsa_fp16_overflow 0
		.amdhsa_workgroup_processor_mode 1
		.amdhsa_memory_ordered 1
		.amdhsa_forward_progress 0
		.amdhsa_shared_vgpr_count 0
		.amdhsa_exception_fp_ieee_invalid_op 0
		.amdhsa_exception_fp_denorm_src 0
		.amdhsa_exception_fp_ieee_div_zero 0
		.amdhsa_exception_fp_ieee_overflow 0
		.amdhsa_exception_fp_ieee_underflow 0
		.amdhsa_exception_fp_ieee_inexact 0
		.amdhsa_exception_int_div_zero 0
	.end_amdhsa_kernel
	.section	.text._ZL32rocblas_syrkx_herkx_small_kernelIl19rocblas_complex_numIfELi16ELb1ELb0ELc84ELc76EKPKS1_KPS1_EviT_T0_PT6_S7_lSA_S7_lS8_PT7_S7_li,"axG",@progbits,_ZL32rocblas_syrkx_herkx_small_kernelIl19rocblas_complex_numIfELi16ELb1ELb0ELc84ELc76EKPKS1_KPS1_EviT_T0_PT6_S7_lSA_S7_lS8_PT7_S7_li,comdat
.Lfunc_end1590:
	.size	_ZL32rocblas_syrkx_herkx_small_kernelIl19rocblas_complex_numIfELi16ELb1ELb0ELc84ELc76EKPKS1_KPS1_EviT_T0_PT6_S7_lSA_S7_lS8_PT7_S7_li, .Lfunc_end1590-_ZL32rocblas_syrkx_herkx_small_kernelIl19rocblas_complex_numIfELi16ELb1ELb0ELc84ELc76EKPKS1_KPS1_EviT_T0_PT6_S7_lSA_S7_lS8_PT7_S7_li
                                        ; -- End function
	.section	.AMDGPU.csdata,"",@progbits
; Kernel info:
; codeLenInByte = 1500
; NumSgprs: 24
; NumVgprs: 70
; ScratchSize: 0
; MemoryBound: 1
; FloatMode: 240
; IeeeMode: 1
; LDSByteSize: 4096 bytes/workgroup (compile time only)
; SGPRBlocks: 2
; VGPRBlocks: 8
; NumSGPRsForWavesPerEU: 24
; NumVGPRsForWavesPerEU: 70
; Occupancy: 16
; WaveLimiterHint : 1
; COMPUTE_PGM_RSRC2:SCRATCH_EN: 0
; COMPUTE_PGM_RSRC2:USER_SGPR: 13
; COMPUTE_PGM_RSRC2:TRAP_HANDLER: 0
; COMPUTE_PGM_RSRC2:TGID_X_EN: 1
; COMPUTE_PGM_RSRC2:TGID_Y_EN: 1
; COMPUTE_PGM_RSRC2:TGID_Z_EN: 1
; COMPUTE_PGM_RSRC2:TIDIG_COMP_CNT: 1
	.section	.text._ZL32rocblas_syrkx_herkx_small_kernelIl19rocblas_complex_numIfELi16ELb1ELb0ELc67ELc76EKPKS1_KPS1_EviT_T0_PT6_S7_lSA_S7_lS8_PT7_S7_li,"axG",@progbits,_ZL32rocblas_syrkx_herkx_small_kernelIl19rocblas_complex_numIfELi16ELb1ELb0ELc67ELc76EKPKS1_KPS1_EviT_T0_PT6_S7_lSA_S7_lS8_PT7_S7_li,comdat
	.globl	_ZL32rocblas_syrkx_herkx_small_kernelIl19rocblas_complex_numIfELi16ELb1ELb0ELc67ELc76EKPKS1_KPS1_EviT_T0_PT6_S7_lSA_S7_lS8_PT7_S7_li ; -- Begin function _ZL32rocblas_syrkx_herkx_small_kernelIl19rocblas_complex_numIfELi16ELb1ELb0ELc67ELc76EKPKS1_KPS1_EviT_T0_PT6_S7_lSA_S7_lS8_PT7_S7_li
	.p2align	8
	.type	_ZL32rocblas_syrkx_herkx_small_kernelIl19rocblas_complex_numIfELi16ELb1ELb0ELc67ELc76EKPKS1_KPS1_EviT_T0_PT6_S7_lSA_S7_lS8_PT7_S7_li,@function
_ZL32rocblas_syrkx_herkx_small_kernelIl19rocblas_complex_numIfELi16ELb1ELb0ELc67ELc76EKPKS1_KPS1_EviT_T0_PT6_S7_lSA_S7_lS8_PT7_S7_li: ; @_ZL32rocblas_syrkx_herkx_small_kernelIl19rocblas_complex_numIfELi16ELb1ELb0ELc67ELc76EKPKS1_KPS1_EviT_T0_PT6_S7_lSA_S7_lS8_PT7_S7_li
; %bb.0:
	s_clause 0x2
	s_load_b128 s[16:19], s[0:1], 0x50
	s_load_b256 s[4:11], s[0:1], 0x8
	s_load_b32 s3, s[0:1], 0x0
	s_mov_b32 s20, s15
	s_mov_b32 s21, 0
	v_dual_mov_b32 v19, 0 :: v_dual_and_b32 v12, 0x3ff, v0
	s_lshl_b64 s[20:21], s[20:21], 3
	v_bfe_u32 v13, v0, 10, 10
	v_mov_b32_e32 v18, 0
	s_delay_alu instid0(VALU_DEP_3) | instskip(NEXT) | instid1(VALU_DEP_3)
	v_lshl_add_u32 v0, s13, 4, v12
	v_lshl_add_u32 v10, s14, 4, v13
	s_delay_alu instid0(VALU_DEP_2) | instskip(NEXT) | instid1(VALU_DEP_2)
	v_ashrrev_i32_e32 v1, 31, v0
	v_ashrrev_i32_e32 v11, 31, v10
	s_waitcnt lgkmcnt(0)
	s_add_u32 s16, s16, s20
	s_addc_u32 s17, s17, s21
	v_cmp_lt_i64_e64 s2, s[4:5], 1
	s_load_b64 s[16:17], s[16:17], 0x0
	s_delay_alu instid0(VALU_DEP_1)
	s_and_b32 vcc_lo, exec_lo, s2
	v_cmp_gt_i32_e64 s2, s3, v0
	s_cbranch_vccnz .LBB1591_9
; %bb.1:
	s_load_b128 s[12:15], s[0:1], 0x30
	v_mul_lo_u32 v8, s11, v0
	v_mul_lo_u32 v9, s10, v1
	v_mad_u64_u32 v[3:4], null, s10, v0, 0
	v_dual_mov_b32 v19, 0 :: v_dual_lshlrev_b32 v14, 3, v12
	v_dual_mov_b32 v2, 0 :: v_dual_lshlrev_b32 v7, 7, v13
	v_cmp_gt_i32_e32 vcc_lo, s3, v10
	v_mov_b32_e32 v18, 0
	v_add3_u32 v4, v4, v9, v8
	v_lshlrev_b32_e32 v8, 3, v13
	v_add_nc_u32_e32 v15, 0x800, v7
	s_delay_alu instid0(VALU_DEP_3)
	v_lshlrev_b64 v[3:4], 3, v[3:4]
	s_waitcnt lgkmcnt(0)
	s_add_u32 s0, s12, s20
	s_addc_u32 s1, s13, s21
	s_add_u32 s8, s8, s20
	v_mul_lo_u32 v16, s15, v10
	v_mul_lo_u32 v17, s14, v11
	v_mad_u64_u32 v[5:6], null, s14, v10, 0
	s_addc_u32 s9, s9, s21
	s_load_b64 s[10:11], s[0:1], 0x0
	s_load_b64 s[8:9], s[8:9], 0x0
	v_add_co_u32 v3, s0, v3, v8
	s_delay_alu instid0(VALU_DEP_1) | instskip(NEXT) | instid1(VALU_DEP_3)
	v_add_co_ci_u32_e64 v4, s0, 0, v4, s0
	v_add3_u32 v6, v6, v17, v16
	v_add_nc_u32_e32 v16, v14, v7
	v_add_nc_u32_e32 v17, v15, v14
	s_delay_alu instid0(VALU_DEP_3) | instskip(NEXT) | instid1(VALU_DEP_1)
	v_lshlrev_b64 v[5:6], 3, v[5:6]
	v_add_co_u32 v5, s0, v5, v14
	s_delay_alu instid0(VALU_DEP_1) | instskip(SKIP_2) | instid1(VALU_DEP_1)
	v_add_co_ci_u32_e64 v6, s0, 0, v6, s0
	s_waitcnt lgkmcnt(0)
	v_add_co_u32 v3, s0, v3, s8
	v_add_co_ci_u32_e64 v7, s0, s9, v4, s0
	v_add_co_u32 v4, s0, s10, v5
	s_delay_alu instid0(VALU_DEP_1) | instskip(NEXT) | instid1(VALU_DEP_4)
	v_add_co_ci_u32_e64 v5, s0, s11, v6, s0
	v_add_co_u32 v6, s0, v3, 4
	s_delay_alu instid0(VALU_DEP_1)
	v_add_co_ci_u32_e64 v7, s0, 0, v7, s0
	s_mov_b64 s[0:1], 0
	s_xor_b32 s8, vcc_lo, -1
	s_branch .LBB1591_3
.LBB1591_2:                             ;   in Loop: Header=BB1591_3 Depth=1
	s_or_b32 exec_lo, exec_lo, s9
	s_waitcnt lgkmcnt(0)
	s_barrier
	buffer_gl0_inv
	ds_load_2addr_b64 v[20:23], v14 offset1:16
	ds_load_b128 v[24:27], v15
	ds_load_b128 v[28:31], v15 offset:16
	ds_load_2addr_b64 v[32:35], v14 offset0:32 offset1:48
	ds_load_2addr_b64 v[36:39], v14 offset0:64 offset1:80
	ds_load_b128 v[40:43], v15 offset:32
	ds_load_b128 v[44:47], v15 offset:48
	ds_load_2addr_b64 v[48:51], v14 offset0:96 offset1:112
	ds_load_2addr_b64 v[52:55], v14 offset0:128 offset1:144
	;; [unrolled: 1-line block ×3, first 2 shown]
	ds_load_b128 v[60:63], v15 offset:64
	ds_load_b128 v[64:67], v15 offset:80
	s_add_u32 s0, s0, 16
	s_addc_u32 s1, s1, 0
	v_add_co_u32 v4, vcc_lo, 0x80, v4
	v_cmp_ge_i64_e64 s9, s[0:1], s[4:5]
	v_add_co_ci_u32_e32 v5, vcc_lo, 0, v5, vcc_lo
	v_add_co_u32 v6, vcc_lo, 0x80, v6
	s_waitcnt lgkmcnt(10)
	v_mul_f32_e32 v3, v25, v21
	v_dual_mul_f32 v8, v24, v21 :: v_dual_mul_f32 v9, v27, v23
	v_mul_f32_e32 v21, v26, v23
	s_waitcnt lgkmcnt(8)
	v_mul_f32_e32 v23, v29, v33
	v_dual_mul_f32 v33, v28, v33 :: v_dual_mul_f32 v68, v31, v35
	v_fma_f32 v3, v24, v20, -v3
	v_fmac_f32_e32 v8, v25, v20
	s_waitcnt lgkmcnt(6)
	v_dual_mul_f32 v20, v42, v39 :: v_dual_mul_f32 v69, v41, v37
	v_mul_f32_e32 v37, v40, v37
	v_mul_f32_e32 v35, v30, v35
	v_add_f32_e32 v8, v18, v8
	s_waitcnt lgkmcnt(4)
	v_mul_f32_e32 v18, v45, v49
	v_dual_fmac_f32 v20, v43, v38 :: v_dual_fmac_f32 v37, v41, v36
	v_fmac_f32_e32 v33, v29, v32
	v_fmac_f32_e32 v21, v27, v22
	v_add_f32_e32 v3, v19, v3
	v_fma_f32 v9, v26, v22, -v9
	v_fmac_f32_e32 v35, v31, v34
	v_mul_f32_e32 v24, v43, v39
	v_add_f32_e32 v8, v8, v21
	v_fma_f32 v19, v28, v32, -v23
	s_waitcnt lgkmcnt(1)
	v_mul_f32_e32 v26, v60, v53
	v_fma_f32 v21, v30, v34, -v68
	v_fma_f32 v22, v40, v36, -v69
	v_add_f32_e32 v8, v8, v33
	v_add_f32_e32 v3, v3, v9
	v_dual_mul_f32 v9, v44, v49 :: v_dual_fmac_f32 v26, v61, v52
	v_mul_f32_e32 v23, v46, v51
	s_delay_alu instid0(VALU_DEP_4) | instskip(NEXT) | instid1(VALU_DEP_4)
	v_add_f32_e32 v8, v8, v35
	v_add_f32_e32 v3, v3, v19
	v_mul_f32_e32 v19, v47, v51
	v_fmac_f32_e32 v9, v45, v48
	s_waitcnt lgkmcnt(0)
	v_dual_fmac_f32 v23, v47, v50 :: v_dual_mul_f32 v34, v64, v57
	v_add_f32_e32 v8, v8, v37
	v_fma_f32 v18, v44, v48, -v18
	v_mul_f32_e32 v27, v63, v55
	v_mul_f32_e32 v28, v62, v55
	v_fmac_f32_e32 v34, v65, v56
	v_add_f32_e32 v8, v8, v20
	v_add_co_ci_u32_e32 v7, vcc_lo, 0, v7, vcc_lo
	s_delay_alu instid0(VALU_DEP_4) | instskip(SKIP_1) | instid1(VALU_DEP_3)
	v_fmac_f32_e32 v28, v63, v54
	s_and_b32 vcc_lo, exec_lo, s9
	v_add_f32_e32 v8, v8, v9
	v_add_f32_e32 v3, v3, v21
	v_fma_f32 v21, v42, v38, -v24
	v_fma_f32 v24, v46, v50, -v19
	v_mul_f32_e32 v36, v66, v59
	s_delay_alu instid0(VALU_DEP_4) | instskip(SKIP_1) | instid1(VALU_DEP_2)
	v_dual_add_f32 v8, v8, v23 :: v_dual_add_f32 v3, v3, v22
	v_mul_f32_e32 v22, v61, v53
	v_dual_add_f32 v8, v8, v26 :: v_dual_add_f32 v3, v3, v21
	s_delay_alu instid0(VALU_DEP_2) | instskip(SKIP_1) | instid1(VALU_DEP_3)
	v_fma_f32 v9, v60, v52, -v22
	v_mul_f32_e32 v26, v65, v57
	v_dual_add_f32 v8, v8, v28 :: v_dual_add_f32 v3, v3, v18
	ds_load_2addr_b64 v[18:21], v14 offset0:192 offset1:208
	v_dual_add_f32 v8, v8, v34 :: v_dual_add_f32 v3, v3, v24
	ds_load_b128 v[22:25], v15 offset:96
	v_fmac_f32_e32 v36, v67, v58
	v_mul_f32_e32 v35, v67, v59
	v_add_f32_e32 v3, v3, v9
	v_fma_f32 v9, v62, v54, -v27
	s_waitcnt lgkmcnt(0)
	v_mul_f32_e32 v34, v23, v19
	v_mul_f32_e32 v19, v22, v19
	s_delay_alu instid0(VALU_DEP_3)
	v_dual_add_f32 v3, v3, v9 :: v_dual_add_f32 v8, v8, v36
	v_fma_f32 v9, v64, v56, -v26
	ds_load_2addr_b64 v[26:29], v14 offset0:224 offset1:240
	ds_load_b128 v[30:33], v15 offset:112
	v_fmac_f32_e32 v19, v23, v18
	s_waitcnt lgkmcnt(0)
	s_barrier
	v_add_f32_e32 v3, v3, v9
	v_fma_f32 v9, v66, v58, -v35
	v_add_f32_e32 v8, v8, v19
	buffer_gl0_inv
	v_mul_f32_e32 v19, v30, v27
	s_delay_alu instid0(VALU_DEP_1) | instskip(SKIP_4) | instid1(VALU_DEP_1)
	v_fmac_f32_e32 v19, v31, v26
	v_add_f32_e32 v3, v3, v9
	v_fma_f32 v9, v22, v18, -v34
	v_mul_f32_e32 v18, v25, v21
	v_mul_f32_e32 v21, v24, v21
	v_fmac_f32_e32 v21, v25, v20
	s_delay_alu instid0(VALU_DEP_1) | instskip(NEXT) | instid1(VALU_DEP_1)
	v_add_f32_e32 v8, v8, v21
	v_dual_add_f32 v8, v8, v19 :: v_dual_add_f32 v3, v3, v9
	v_fma_f32 v9, v24, v20, -v18
	v_mul_f32_e32 v18, v31, v27
	v_mul_f32_e32 v20, v32, v29
	s_delay_alu instid0(VALU_DEP_1) | instskip(NEXT) | instid1(VALU_DEP_3)
	v_dual_fmac_f32 v20, v33, v28 :: v_dual_add_f32 v3, v3, v9
	v_fma_f32 v9, v30, v26, -v18
	v_mul_f32_e32 v18, v33, v29
	s_delay_alu instid0(VALU_DEP_2) | instskip(NEXT) | instid1(VALU_DEP_2)
	v_add_f32_e32 v3, v3, v9
	v_fma_f32 v9, v32, v28, -v18
	s_delay_alu instid0(VALU_DEP_1)
	v_dual_add_f32 v18, v8, v20 :: v_dual_add_f32 v19, v3, v9
	s_cbranch_vccnz .LBB1591_9
.LBB1591_3:                             ; =>This Inner Loop Header: Depth=1
	v_add_co_u32 v8, s9, v13, s0
	s_delay_alu instid0(VALU_DEP_1) | instskip(NEXT) | instid1(VALU_DEP_1)
	v_add_co_ci_u32_e64 v9, null, 0, s1, s9
	v_cmp_gt_i64_e32 vcc_lo, s[4:5], v[8:9]
	v_dual_mov_b32 v8, 0 :: v_dual_mov_b32 v9, 0
	s_and_b32 s10, s2, vcc_lo
	s_delay_alu instid0(SALU_CYCLE_1)
	s_and_saveexec_b32 s9, s10
	s_cbranch_execz .LBB1591_5
; %bb.4:                                ;   in Loop: Header=BB1591_3 Depth=1
	global_load_b64 v[8:9], v[6:7], off offset:-4
.LBB1591_5:                             ;   in Loop: Header=BB1591_3 Depth=1
	s_or_b32 exec_lo, exec_lo, s9
	v_add_co_u32 v20, s9, v12, s0
	s_delay_alu instid0(VALU_DEP_1) | instskip(SKIP_4) | instid1(SALU_CYCLE_1)
	v_add_co_ci_u32_e64 v21, null, 0, s1, s9
	s_waitcnt vmcnt(0)
	ds_store_b64 v16, v[8:9]
	v_cmp_le_i64_e32 vcc_lo, s[4:5], v[20:21]
	s_or_b32 s9, s8, vcc_lo
	s_and_saveexec_b32 s10, s9
	s_delay_alu instid0(SALU_CYCLE_1)
	s_xor_b32 s9, exec_lo, s10
	s_cbranch_execz .LBB1591_7
; %bb.6:                                ;   in Loop: Header=BB1591_3 Depth=1
	v_mov_b32_e32 v3, v2
	ds_store_b64 v17, v[2:3]
.LBB1591_7:                             ;   in Loop: Header=BB1591_3 Depth=1
	s_and_not1_saveexec_b32 s9, s9
	s_cbranch_execz .LBB1591_2
; %bb.8:                                ;   in Loop: Header=BB1591_3 Depth=1
	global_load_b64 v[8:9], v[4:5], off
	s_waitcnt vmcnt(0)
	ds_store_b64 v17, v[8:9]
	s_branch .LBB1591_2
.LBB1591_9:
	v_cmp_le_i32_e32 vcc_lo, v10, v0
	v_cmp_gt_i32_e64 s0, s3, v0
	s_delay_alu instid0(VALU_DEP_1) | instskip(NEXT) | instid1(SALU_CYCLE_1)
	s_and_b32 s0, vcc_lo, s0
	s_and_saveexec_b32 s1, s0
	s_cbranch_execz .LBB1591_11
; %bb.10:
	v_mul_lo_u32 v4, v10, s19
	v_mul_lo_u32 v5, v11, s18
	v_mad_u64_u32 v[2:3], null, v10, s18, 0
	v_lshlrev_b64 v[0:1], 3, v[0:1]
	s_delay_alu instid0(VALU_DEP_2) | instskip(SKIP_2) | instid1(VALU_DEP_3)
	v_add3_u32 v3, v3, v4, v5
	v_mul_f32_e32 v5, s6, v18
	v_mul_f32_e32 v4, s7, v18
	v_lshlrev_b64 v[2:3], 3, v[2:3]
	s_delay_alu instid0(VALU_DEP_3) | instskip(NEXT) | instid1(VALU_DEP_3)
	v_fmac_f32_e32 v5, s7, v19
	v_fma_f32 v4, v19, s6, -v4
	s_waitcnt lgkmcnt(0)
	s_delay_alu instid0(VALU_DEP_3) | instskip(NEXT) | instid1(VALU_DEP_4)
	v_add_co_u32 v2, vcc_lo, s16, v2
	v_add_co_ci_u32_e32 v3, vcc_lo, s17, v3, vcc_lo
	s_delay_alu instid0(VALU_DEP_2) | instskip(NEXT) | instid1(VALU_DEP_2)
	v_add_co_u32 v0, vcc_lo, v2, v0
	v_add_co_ci_u32_e32 v1, vcc_lo, v3, v1, vcc_lo
	global_store_b64 v[0:1], v[4:5], off
.LBB1591_11:
	s_nop 0
	s_sendmsg sendmsg(MSG_DEALLOC_VGPRS)
	s_endpgm
	.section	.rodata,"a",@progbits
	.p2align	6, 0x0
	.amdhsa_kernel _ZL32rocblas_syrkx_herkx_small_kernelIl19rocblas_complex_numIfELi16ELb1ELb0ELc67ELc76EKPKS1_KPS1_EviT_T0_PT6_S7_lSA_S7_lS8_PT7_S7_li
		.amdhsa_group_segment_fixed_size 4096
		.amdhsa_private_segment_fixed_size 0
		.amdhsa_kernarg_size 108
		.amdhsa_user_sgpr_count 13
		.amdhsa_user_sgpr_dispatch_ptr 0
		.amdhsa_user_sgpr_queue_ptr 0
		.amdhsa_user_sgpr_kernarg_segment_ptr 1
		.amdhsa_user_sgpr_dispatch_id 0
		.amdhsa_user_sgpr_private_segment_size 0
		.amdhsa_wavefront_size32 1
		.amdhsa_uses_dynamic_stack 0
		.amdhsa_enable_private_segment 0
		.amdhsa_system_sgpr_workgroup_id_x 1
		.amdhsa_system_sgpr_workgroup_id_y 1
		.amdhsa_system_sgpr_workgroup_id_z 1
		.amdhsa_system_sgpr_workgroup_info 0
		.amdhsa_system_vgpr_workitem_id 1
		.amdhsa_next_free_vgpr 70
		.amdhsa_next_free_sgpr 22
		.amdhsa_reserve_vcc 1
		.amdhsa_float_round_mode_32 0
		.amdhsa_float_round_mode_16_64 0
		.amdhsa_float_denorm_mode_32 3
		.amdhsa_float_denorm_mode_16_64 3
		.amdhsa_dx10_clamp 1
		.amdhsa_ieee_mode 1
		.amdhsa_fp16_overflow 0
		.amdhsa_workgroup_processor_mode 1
		.amdhsa_memory_ordered 1
		.amdhsa_forward_progress 0
		.amdhsa_shared_vgpr_count 0
		.amdhsa_exception_fp_ieee_invalid_op 0
		.amdhsa_exception_fp_denorm_src 0
		.amdhsa_exception_fp_ieee_div_zero 0
		.amdhsa_exception_fp_ieee_overflow 0
		.amdhsa_exception_fp_ieee_underflow 0
		.amdhsa_exception_fp_ieee_inexact 0
		.amdhsa_exception_int_div_zero 0
	.end_amdhsa_kernel
	.section	.text._ZL32rocblas_syrkx_herkx_small_kernelIl19rocblas_complex_numIfELi16ELb1ELb0ELc67ELc76EKPKS1_KPS1_EviT_T0_PT6_S7_lSA_S7_lS8_PT7_S7_li,"axG",@progbits,_ZL32rocblas_syrkx_herkx_small_kernelIl19rocblas_complex_numIfELi16ELb1ELb0ELc67ELc76EKPKS1_KPS1_EviT_T0_PT6_S7_lSA_S7_lS8_PT7_S7_li,comdat
.Lfunc_end1591:
	.size	_ZL32rocblas_syrkx_herkx_small_kernelIl19rocblas_complex_numIfELi16ELb1ELb0ELc67ELc76EKPKS1_KPS1_EviT_T0_PT6_S7_lSA_S7_lS8_PT7_S7_li, .Lfunc_end1591-_ZL32rocblas_syrkx_herkx_small_kernelIl19rocblas_complex_numIfELi16ELb1ELb0ELc67ELc76EKPKS1_KPS1_EviT_T0_PT6_S7_lSA_S7_lS8_PT7_S7_li
                                        ; -- End function
	.section	.AMDGPU.csdata,"",@progbits
; Kernel info:
; codeLenInByte = 1488
; NumSgprs: 24
; NumVgprs: 70
; ScratchSize: 0
; MemoryBound: 1
; FloatMode: 240
; IeeeMode: 1
; LDSByteSize: 4096 bytes/workgroup (compile time only)
; SGPRBlocks: 2
; VGPRBlocks: 8
; NumSGPRsForWavesPerEU: 24
; NumVGPRsForWavesPerEU: 70
; Occupancy: 16
; WaveLimiterHint : 1
; COMPUTE_PGM_RSRC2:SCRATCH_EN: 0
; COMPUTE_PGM_RSRC2:USER_SGPR: 13
; COMPUTE_PGM_RSRC2:TRAP_HANDLER: 0
; COMPUTE_PGM_RSRC2:TGID_X_EN: 1
; COMPUTE_PGM_RSRC2:TGID_Y_EN: 1
; COMPUTE_PGM_RSRC2:TGID_Z_EN: 1
; COMPUTE_PGM_RSRC2:TIDIG_COMP_CNT: 1
	.section	.text._ZL32rocblas_syrkx_herkx_small_kernelIl19rocblas_complex_numIfELi16ELb1ELb0ELc78ELc76EKPKS1_KPS1_EviT_T0_PT6_S7_lSA_S7_lS8_PT7_S7_li,"axG",@progbits,_ZL32rocblas_syrkx_herkx_small_kernelIl19rocblas_complex_numIfELi16ELb1ELb0ELc78ELc76EKPKS1_KPS1_EviT_T0_PT6_S7_lSA_S7_lS8_PT7_S7_li,comdat
	.globl	_ZL32rocblas_syrkx_herkx_small_kernelIl19rocblas_complex_numIfELi16ELb1ELb0ELc78ELc76EKPKS1_KPS1_EviT_T0_PT6_S7_lSA_S7_lS8_PT7_S7_li ; -- Begin function _ZL32rocblas_syrkx_herkx_small_kernelIl19rocblas_complex_numIfELi16ELb1ELb0ELc78ELc76EKPKS1_KPS1_EviT_T0_PT6_S7_lSA_S7_lS8_PT7_S7_li
	.p2align	8
	.type	_ZL32rocblas_syrkx_herkx_small_kernelIl19rocblas_complex_numIfELi16ELb1ELb0ELc78ELc76EKPKS1_KPS1_EviT_T0_PT6_S7_lSA_S7_lS8_PT7_S7_li,@function
_ZL32rocblas_syrkx_herkx_small_kernelIl19rocblas_complex_numIfELi16ELb1ELb0ELc78ELc76EKPKS1_KPS1_EviT_T0_PT6_S7_lSA_S7_lS8_PT7_S7_li: ; @_ZL32rocblas_syrkx_herkx_small_kernelIl19rocblas_complex_numIfELi16ELb1ELb0ELc78ELc76EKPKS1_KPS1_EviT_T0_PT6_S7_lSA_S7_lS8_PT7_S7_li
; %bb.0:
	s_clause 0x2
	s_load_b128 s[16:19], s[0:1], 0x50
	s_load_b256 s[4:11], s[0:1], 0x8
	s_load_b32 s3, s[0:1], 0x0
	s_mov_b32 s20, s15
	s_mov_b32 s21, 0
	v_dual_mov_b32 v19, 0 :: v_dual_and_b32 v12, 0x3ff, v0
	s_lshl_b64 s[20:21], s[20:21], 3
	v_bfe_u32 v13, v0, 10, 10
	v_mov_b32_e32 v18, 0
	s_delay_alu instid0(VALU_DEP_3) | instskip(NEXT) | instid1(VALU_DEP_3)
	v_lshl_add_u32 v0, s13, 4, v12
	v_lshl_add_u32 v2, s14, 4, v13
	s_delay_alu instid0(VALU_DEP_2) | instskip(NEXT) | instid1(VALU_DEP_2)
	v_ashrrev_i32_e32 v1, 31, v0
	v_ashrrev_i32_e32 v3, 31, v2
	s_waitcnt lgkmcnt(0)
	s_add_u32 s16, s16, s20
	s_addc_u32 s17, s17, s21
	v_cmp_lt_i64_e64 s2, s[4:5], 1
	s_load_b64 s[16:17], s[16:17], 0x0
	s_delay_alu instid0(VALU_DEP_1)
	s_and_b32 vcc_lo, exec_lo, s2
	v_cmp_gt_i32_e64 s2, s3, v0
	s_cbranch_vccnz .LBB1592_9
; %bb.1:
	s_load_b128 s[12:15], s[0:1], 0x30
	v_mad_u64_u32 v[7:8], null, s10, v13, 0
	v_lshlrev_b64 v[9:10], 3, v[2:3]
	v_dual_mov_b32 v4, 0 :: v_dual_lshlrev_b32 v11, 7, v13
	v_lshlrev_b32_e32 v14, 3, v12
	v_mov_b32_e32 v18, 0
	v_lshlrev_b64 v[19:20], 3, v[0:1]
	v_cmp_gt_i32_e64 s0, s3, v2
	s_waitcnt lgkmcnt(0)
	v_mad_u64_u32 v[5:6], null, s14, v12, 0
	s_add_u32 s12, s12, s20
	s_addc_u32 s13, s13, s21
	s_add_u32 s8, s8, s20
	s_load_b64 s[12:13], s[12:13], 0x0
	s_addc_u32 s9, s9, s21
	s_xor_b32 s1, s2, -1
	s_delay_alu instid0(VALU_DEP_1) | instskip(SKIP_4) | instid1(VALU_DEP_2)
	v_mad_u64_u32 v[15:16], null, s15, v12, v[6:7]
	v_mad_u64_u32 v[16:17], null, s11, v13, v[8:9]
	s_load_b64 s[20:21], s[8:9], 0x0
	s_lshl_b64 s[8:9], s[14:15], 7
	s_lshl_b64 s[10:11], s[10:11], 7
	v_dual_mov_b32 v6, v15 :: v_dual_add_nc_u32 v15, 0x800, v11
	s_delay_alu instid0(VALU_DEP_2) | instskip(NEXT) | instid1(VALU_DEP_2)
	v_mov_b32_e32 v8, v16
	v_lshlrev_b64 v[5:6], 3, v[5:6]
	s_delay_alu instid0(VALU_DEP_2) | instskip(NEXT) | instid1(VALU_DEP_2)
	v_lshlrev_b64 v[7:8], 3, v[7:8]
	v_add_co_u32 v5, vcc_lo, v5, v9
	s_delay_alu instid0(VALU_DEP_3) | instskip(NEXT) | instid1(VALU_DEP_3)
	v_add_co_ci_u32_e32 v6, vcc_lo, v6, v10, vcc_lo
	v_add_co_u32 v7, vcc_lo, v7, v19
	s_delay_alu instid0(VALU_DEP_4)
	v_add_co_ci_u32_e32 v8, vcc_lo, v8, v20, vcc_lo
	s_waitcnt lgkmcnt(0)
	v_add_co_u32 v5, vcc_lo, v5, s12
	v_add_co_ci_u32_e32 v9, vcc_lo, s13, v6, vcc_lo
	v_add_co_u32 v6, vcc_lo, s20, v7
	v_add_co_ci_u32_e32 v7, vcc_lo, s21, v8, vcc_lo
	s_delay_alu instid0(VALU_DEP_4) | instskip(NEXT) | instid1(VALU_DEP_4)
	v_add_co_u32 v8, vcc_lo, v5, 4
	v_add_co_ci_u32_e32 v9, vcc_lo, 0, v9, vcc_lo
	v_mov_b32_e32 v19, 0
	v_add_nc_u32_e32 v17, v15, v14
	v_add_nc_u32_e32 v16, v14, v11
	s_mov_b64 s[12:13], 0
	s_branch .LBB1592_3
.LBB1592_2:                             ;   in Loop: Header=BB1592_3 Depth=1
	s_or_b32 exec_lo, exec_lo, s2
	s_waitcnt vmcnt(0)
	ds_store_b64 v17, v[10:11]
	s_waitcnt lgkmcnt(0)
	s_barrier
	buffer_gl0_inv
	ds_load_2addr_b64 v[20:23], v14 offset1:16
	ds_load_b128 v[24:27], v15
	ds_load_b128 v[28:31], v15 offset:16
	ds_load_2addr_b64 v[32:35], v14 offset0:32 offset1:48
	ds_load_2addr_b64 v[36:39], v14 offset0:64 offset1:80
	ds_load_b128 v[40:43], v15 offset:32
	ds_load_b128 v[44:47], v15 offset:48
	ds_load_2addr_b64 v[48:51], v14 offset0:96 offset1:112
	ds_load_2addr_b64 v[52:55], v14 offset0:128 offset1:144
	;; [unrolled: 1-line block ×3, first 2 shown]
	ds_load_b128 v[60:63], v15 offset:64
	ds_load_b128 v[64:67], v15 offset:80
	s_add_u32 s12, s12, 16
	s_addc_u32 s13, s13, 0
	v_add_co_u32 v8, vcc_lo, v8, s8
	v_cmp_ge_i64_e64 s2, s[12:13], s[4:5]
	v_add_co_ci_u32_e32 v9, vcc_lo, s9, v9, vcc_lo
	v_add_co_u32 v6, vcc_lo, v6, s10
	s_waitcnt lgkmcnt(10)
	v_mul_f32_e32 v5, v25, v21
	v_dual_mul_f32 v10, v24, v21 :: v_dual_mul_f32 v11, v27, v23
	s_waitcnt lgkmcnt(8)
	v_mul_f32_e32 v68, v31, v35
	v_mul_f32_e32 v21, v26, v23
	v_fma_f32 v5, v24, v20, -v5
	s_waitcnt lgkmcnt(6)
	v_dual_mul_f32 v24, v40, v37 :: v_dual_mul_f32 v35, v30, v35
	v_fmac_f32_e32 v10, v25, v20
	v_mul_f32_e32 v23, v29, v33
	v_fma_f32 v11, v26, v22, -v11
	s_delay_alu instid0(VALU_DEP_4) | instskip(NEXT) | instid1(VALU_DEP_4)
	v_dual_add_f32 v5, v19, v5 :: v_dual_fmac_f32 v24, v41, v36
	v_add_f32_e32 v10, v18, v10
	s_delay_alu instid0(VALU_DEP_4) | instskip(SKIP_1) | instid1(VALU_DEP_4)
	v_fma_f32 v18, v28, v32, -v23
	v_mul_f32_e32 v33, v28, v33
	v_add_f32_e32 v5, v5, v11
	v_fma_f32 v20, v30, v34, -v68
	s_waitcnt lgkmcnt(1)
	v_mul_f32_e32 v26, v63, v55
	v_fmac_f32_e32 v35, v31, v34
	v_mul_f32_e32 v19, v42, v39
	v_add_f32_e32 v5, v5, v18
	v_add_co_ci_u32_e32 v7, vcc_lo, s11, v7, vcc_lo
	s_and_b32 vcc_lo, exec_lo, s2
	s_delay_alu instid0(VALU_DEP_2) | instskip(SKIP_2) | instid1(VALU_DEP_3)
	v_dual_mul_f32 v18, v44, v49 :: v_dual_add_f32 v5, v5, v20
	v_dual_mul_f32 v20, v47, v51 :: v_dual_fmac_f32 v33, v29, v32
	v_fmac_f32_e32 v21, v27, v22
	v_dual_mul_f32 v27, v62, v55 :: v_dual_fmac_f32 v18, v45, v48
	s_waitcnt lgkmcnt(0)
	v_mul_f32_e32 v34, v64, v57
	s_delay_alu instid0(VALU_DEP_2) | instskip(NEXT) | instid1(VALU_DEP_2)
	v_dual_add_f32 v10, v10, v21 :: v_dual_fmac_f32 v27, v63, v54
	v_fmac_f32_e32 v34, v65, v56
	s_delay_alu instid0(VALU_DEP_2) | instskip(SKIP_2) | instid1(VALU_DEP_3)
	v_add_f32_e32 v10, v10, v33
	v_mul_f32_e32 v69, v41, v37
	v_mul_f32_e32 v37, v43, v39
	v_add_f32_e32 v10, v10, v35
	s_delay_alu instid0(VALU_DEP_3) | instskip(NEXT) | instid1(VALU_DEP_3)
	v_fma_f32 v21, v40, v36, -v69
	v_fma_f32 v22, v42, v38, -v37
	v_dual_mul_f32 v11, v45, v49 :: v_dual_mul_f32 v36, v66, v59
	s_delay_alu instid0(VALU_DEP_3) | instskip(SKIP_1) | instid1(VALU_DEP_3)
	v_dual_add_f32 v10, v10, v24 :: v_dual_add_f32 v5, v5, v21
	v_mul_f32_e32 v21, v46, v51
	v_fma_f32 v11, v44, v48, -v11
	s_delay_alu instid0(VALU_DEP_4) | instskip(NEXT) | instid1(VALU_DEP_4)
	v_fmac_f32_e32 v36, v67, v58
	v_add_f32_e32 v5, v5, v22
	s_delay_alu instid0(VALU_DEP_4) | instskip(SKIP_1) | instid1(VALU_DEP_3)
	v_dual_mul_f32 v22, v61, v53 :: v_dual_fmac_f32 v21, v47, v50
	v_fmac_f32_e32 v19, v43, v38
	v_add_f32_e32 v5, v5, v11
	s_delay_alu instid0(VALU_DEP_2) | instskip(SKIP_1) | instid1(VALU_DEP_2)
	v_dual_mul_f32 v11, v60, v53 :: v_dual_add_f32 v10, v10, v19
	v_fma_f32 v19, v46, v50, -v20
	v_dual_fmac_f32 v11, v61, v52 :: v_dual_add_f32 v10, v10, v18
	v_fma_f32 v18, v60, v52, -v22
	s_delay_alu instid0(VALU_DEP_2) | instskip(NEXT) | instid1(VALU_DEP_1)
	v_add_f32_e32 v10, v10, v21
	v_add_f32_e32 v10, v10, v11
	v_fma_f32 v11, v62, v54, -v26
	v_mul_f32_e32 v26, v65, v57
	s_delay_alu instid0(VALU_DEP_3) | instskip(NEXT) | instid1(VALU_DEP_1)
	v_add_f32_e32 v10, v10, v27
	v_dual_add_f32 v10, v10, v34 :: v_dual_add_f32 v5, v5, v19
	s_delay_alu instid0(VALU_DEP_1)
	v_dual_add_f32 v10, v10, v36 :: v_dual_add_f32 v5, v5, v18
	ds_load_2addr_b64 v[18:21], v14 offset0:192 offset1:208
	ds_load_b128 v[22:25], v15 offset:96
	s_waitcnt lgkmcnt(0)
	v_mul_f32_e32 v34, v23, v19
	v_mul_f32_e32 v19, v22, v19
	s_delay_alu instid0(VALU_DEP_1) | instskip(NEXT) | instid1(VALU_DEP_1)
	v_fmac_f32_e32 v19, v23, v18
	v_add_f32_e32 v10, v10, v19
	v_add_f32_e32 v5, v5, v11
	v_fma_f32 v11, v64, v56, -v26
	ds_load_2addr_b64 v[26:29], v14 offset0:224 offset1:240
	ds_load_b128 v[30:33], v15 offset:112
	v_mul_f32_e32 v35, v67, v59
	s_waitcnt lgkmcnt(0)
	s_barrier
	v_add_f32_e32 v5, v5, v11
	buffer_gl0_inv
	v_fma_f32 v11, v66, v58, -v35
	s_delay_alu instid0(VALU_DEP_1) | instskip(SKIP_3) | instid1(VALU_DEP_3)
	v_add_f32_e32 v5, v5, v11
	v_fma_f32 v11, v22, v18, -v34
	v_mul_f32_e32 v18, v25, v21
	v_mul_f32_e32 v21, v24, v21
	v_add_f32_e32 v5, v5, v11
	s_delay_alu instid0(VALU_DEP_3) | instskip(NEXT) | instid1(VALU_DEP_3)
	v_fma_f32 v11, v24, v20, -v18
	v_dual_mul_f32 v18, v31, v27 :: v_dual_fmac_f32 v21, v25, v20
	v_mul_f32_e32 v19, v30, v27
	s_delay_alu instid0(VALU_DEP_3) | instskip(NEXT) | instid1(VALU_DEP_3)
	v_dual_add_f32 v5, v5, v11 :: v_dual_mul_f32 v20, v32, v29
	v_fma_f32 v11, v30, v26, -v18
	s_delay_alu instid0(VALU_DEP_3) | instskip(SKIP_1) | instid1(VALU_DEP_4)
	v_dual_add_f32 v10, v10, v21 :: v_dual_fmac_f32 v19, v31, v26
	v_mul_f32_e32 v18, v33, v29
	v_fmac_f32_e32 v20, v33, v28
	s_delay_alu instid0(VALU_DEP_4) | instskip(NEXT) | instid1(VALU_DEP_4)
	v_add_f32_e32 v5, v5, v11
	v_add_f32_e32 v10, v10, v19
	s_delay_alu instid0(VALU_DEP_4) | instskip(NEXT) | instid1(VALU_DEP_1)
	v_fma_f32 v11, v32, v28, -v18
	v_dual_add_f32 v18, v10, v20 :: v_dual_add_f32 v19, v5, v11
	s_cbranch_vccnz .LBB1592_9
.LBB1592_3:                             ; =>This Inner Loop Header: Depth=1
	v_add_co_u32 v10, s2, v13, s12
	s_delay_alu instid0(VALU_DEP_1) | instskip(NEXT) | instid1(VALU_DEP_1)
	v_add_co_ci_u32_e64 v11, null, 0, s13, s2
	v_cmp_le_i64_e32 vcc_lo, s[4:5], v[10:11]
	s_or_b32 s2, s1, vcc_lo
	s_delay_alu instid0(SALU_CYCLE_1) | instskip(NEXT) | instid1(SALU_CYCLE_1)
	s_and_saveexec_b32 s14, s2
	s_xor_b32 s2, exec_lo, s14
	s_cbranch_execz .LBB1592_5
; %bb.4:                                ;   in Loop: Header=BB1592_3 Depth=1
	v_mov_b32_e32 v5, v4
	ds_store_b64 v16, v[4:5]
.LBB1592_5:                             ;   in Loop: Header=BB1592_3 Depth=1
	s_and_not1_saveexec_b32 s2, s2
	s_cbranch_execz .LBB1592_7
; %bb.6:                                ;   in Loop: Header=BB1592_3 Depth=1
	global_load_b64 v[10:11], v[6:7], off
	s_waitcnt vmcnt(0)
	ds_store_b64 v16, v[10:11]
.LBB1592_7:                             ;   in Loop: Header=BB1592_3 Depth=1
	s_or_b32 exec_lo, exec_lo, s2
	v_add_co_u32 v10, s2, v12, s12
	s_delay_alu instid0(VALU_DEP_1) | instskip(NEXT) | instid1(VALU_DEP_1)
	v_add_co_ci_u32_e64 v11, null, 0, s13, s2
	v_cmp_gt_i64_e32 vcc_lo, s[4:5], v[10:11]
	v_dual_mov_b32 v10, 0 :: v_dual_mov_b32 v11, 0
	s_and_b32 s14, s0, vcc_lo
	s_delay_alu instid0(SALU_CYCLE_1)
	s_and_saveexec_b32 s2, s14
	s_cbranch_execz .LBB1592_2
; %bb.8:                                ;   in Loop: Header=BB1592_3 Depth=1
	global_load_b64 v[10:11], v[8:9], off offset:-4
	s_branch .LBB1592_2
.LBB1592_9:
	v_cmp_le_i32_e32 vcc_lo, v2, v0
	v_cmp_gt_i32_e64 s0, s3, v0
	s_delay_alu instid0(VALU_DEP_1) | instskip(NEXT) | instid1(SALU_CYCLE_1)
	s_and_b32 s0, vcc_lo, s0
	s_and_saveexec_b32 s1, s0
	s_cbranch_execz .LBB1592_11
; %bb.10:
	v_mul_lo_u32 v5, v2, s19
	v_mul_lo_u32 v6, v3, s18
	v_mad_u64_u32 v[3:4], null, v2, s18, 0
	v_lshlrev_b64 v[0:1], 3, v[0:1]
	s_delay_alu instid0(VALU_DEP_2) | instskip(SKIP_2) | instid1(VALU_DEP_3)
	v_add3_u32 v4, v4, v5, v6
	v_mul_f32_e32 v5, s6, v18
	v_mul_f32_e32 v6, s7, v18
	v_lshlrev_b64 v[2:3], 3, v[3:4]
	s_delay_alu instid0(VALU_DEP_3) | instskip(NEXT) | instid1(VALU_DEP_3)
	v_fmac_f32_e32 v5, s7, v19
	v_fma_f32 v4, v19, s6, -v6
	s_waitcnt lgkmcnt(0)
	s_delay_alu instid0(VALU_DEP_3) | instskip(NEXT) | instid1(VALU_DEP_4)
	v_add_co_u32 v2, vcc_lo, s16, v2
	v_add_co_ci_u32_e32 v3, vcc_lo, s17, v3, vcc_lo
	s_delay_alu instid0(VALU_DEP_2) | instskip(NEXT) | instid1(VALU_DEP_2)
	v_add_co_u32 v0, vcc_lo, v2, v0
	v_add_co_ci_u32_e32 v1, vcc_lo, v3, v1, vcc_lo
	global_store_b64 v[0:1], v[4:5], off
.LBB1592_11:
	s_nop 0
	s_sendmsg sendmsg(MSG_DEALLOC_VGPRS)
	s_endpgm
	.section	.rodata,"a",@progbits
	.p2align	6, 0x0
	.amdhsa_kernel _ZL32rocblas_syrkx_herkx_small_kernelIl19rocblas_complex_numIfELi16ELb1ELb0ELc78ELc76EKPKS1_KPS1_EviT_T0_PT6_S7_lSA_S7_lS8_PT7_S7_li
		.amdhsa_group_segment_fixed_size 4096
		.amdhsa_private_segment_fixed_size 0
		.amdhsa_kernarg_size 108
		.amdhsa_user_sgpr_count 13
		.amdhsa_user_sgpr_dispatch_ptr 0
		.amdhsa_user_sgpr_queue_ptr 0
		.amdhsa_user_sgpr_kernarg_segment_ptr 1
		.amdhsa_user_sgpr_dispatch_id 0
		.amdhsa_user_sgpr_private_segment_size 0
		.amdhsa_wavefront_size32 1
		.amdhsa_uses_dynamic_stack 0
		.amdhsa_enable_private_segment 0
		.amdhsa_system_sgpr_workgroup_id_x 1
		.amdhsa_system_sgpr_workgroup_id_y 1
		.amdhsa_system_sgpr_workgroup_id_z 1
		.amdhsa_system_sgpr_workgroup_info 0
		.amdhsa_system_vgpr_workitem_id 1
		.amdhsa_next_free_vgpr 70
		.amdhsa_next_free_sgpr 22
		.amdhsa_reserve_vcc 1
		.amdhsa_float_round_mode_32 0
		.amdhsa_float_round_mode_16_64 0
		.amdhsa_float_denorm_mode_32 3
		.amdhsa_float_denorm_mode_16_64 3
		.amdhsa_dx10_clamp 1
		.amdhsa_ieee_mode 1
		.amdhsa_fp16_overflow 0
		.amdhsa_workgroup_processor_mode 1
		.amdhsa_memory_ordered 1
		.amdhsa_forward_progress 0
		.amdhsa_shared_vgpr_count 0
		.amdhsa_exception_fp_ieee_invalid_op 0
		.amdhsa_exception_fp_denorm_src 0
		.amdhsa_exception_fp_ieee_div_zero 0
		.amdhsa_exception_fp_ieee_overflow 0
		.amdhsa_exception_fp_ieee_underflow 0
		.amdhsa_exception_fp_ieee_inexact 0
		.amdhsa_exception_int_div_zero 0
	.end_amdhsa_kernel
	.section	.text._ZL32rocblas_syrkx_herkx_small_kernelIl19rocblas_complex_numIfELi16ELb1ELb0ELc78ELc76EKPKS1_KPS1_EviT_T0_PT6_S7_lSA_S7_lS8_PT7_S7_li,"axG",@progbits,_ZL32rocblas_syrkx_herkx_small_kernelIl19rocblas_complex_numIfELi16ELb1ELb0ELc78ELc76EKPKS1_KPS1_EviT_T0_PT6_S7_lSA_S7_lS8_PT7_S7_li,comdat
.Lfunc_end1592:
	.size	_ZL32rocblas_syrkx_herkx_small_kernelIl19rocblas_complex_numIfELi16ELb1ELb0ELc78ELc76EKPKS1_KPS1_EviT_T0_PT6_S7_lSA_S7_lS8_PT7_S7_li, .Lfunc_end1592-_ZL32rocblas_syrkx_herkx_small_kernelIl19rocblas_complex_numIfELi16ELb1ELb0ELc78ELc76EKPKS1_KPS1_EviT_T0_PT6_S7_lSA_S7_lS8_PT7_S7_li
                                        ; -- End function
	.section	.AMDGPU.csdata,"",@progbits
; Kernel info:
; codeLenInByte = 1496
; NumSgprs: 24
; NumVgprs: 70
; ScratchSize: 0
; MemoryBound: 1
; FloatMode: 240
; IeeeMode: 1
; LDSByteSize: 4096 bytes/workgroup (compile time only)
; SGPRBlocks: 2
; VGPRBlocks: 8
; NumSGPRsForWavesPerEU: 24
; NumVGPRsForWavesPerEU: 70
; Occupancy: 16
; WaveLimiterHint : 1
; COMPUTE_PGM_RSRC2:SCRATCH_EN: 0
; COMPUTE_PGM_RSRC2:USER_SGPR: 13
; COMPUTE_PGM_RSRC2:TRAP_HANDLER: 0
; COMPUTE_PGM_RSRC2:TGID_X_EN: 1
; COMPUTE_PGM_RSRC2:TGID_Y_EN: 1
; COMPUTE_PGM_RSRC2:TGID_Z_EN: 1
; COMPUTE_PGM_RSRC2:TIDIG_COMP_CNT: 1
	.section	.text._ZL32rocblas_syrkx_herkx_small_kernelIl19rocblas_complex_numIfELi16ELb1ELb0ELc84ELc85EKPKS1_KPS1_EviT_T0_PT6_S7_lSA_S7_lS8_PT7_S7_li,"axG",@progbits,_ZL32rocblas_syrkx_herkx_small_kernelIl19rocblas_complex_numIfELi16ELb1ELb0ELc84ELc85EKPKS1_KPS1_EviT_T0_PT6_S7_lSA_S7_lS8_PT7_S7_li,comdat
	.globl	_ZL32rocblas_syrkx_herkx_small_kernelIl19rocblas_complex_numIfELi16ELb1ELb0ELc84ELc85EKPKS1_KPS1_EviT_T0_PT6_S7_lSA_S7_lS8_PT7_S7_li ; -- Begin function _ZL32rocblas_syrkx_herkx_small_kernelIl19rocblas_complex_numIfELi16ELb1ELb0ELc84ELc85EKPKS1_KPS1_EviT_T0_PT6_S7_lSA_S7_lS8_PT7_S7_li
	.p2align	8
	.type	_ZL32rocblas_syrkx_herkx_small_kernelIl19rocblas_complex_numIfELi16ELb1ELb0ELc84ELc85EKPKS1_KPS1_EviT_T0_PT6_S7_lSA_S7_lS8_PT7_S7_li,@function
_ZL32rocblas_syrkx_herkx_small_kernelIl19rocblas_complex_numIfELi16ELb1ELb0ELc84ELc85EKPKS1_KPS1_EviT_T0_PT6_S7_lSA_S7_lS8_PT7_S7_li: ; @_ZL32rocblas_syrkx_herkx_small_kernelIl19rocblas_complex_numIfELi16ELb1ELb0ELc84ELc85EKPKS1_KPS1_EviT_T0_PT6_S7_lSA_S7_lS8_PT7_S7_li
; %bb.0:
	s_clause 0x2
	s_load_b128 s[16:19], s[0:1], 0x50
	s_load_b256 s[4:11], s[0:1], 0x8
	s_load_b32 s3, s[0:1], 0x0
	s_mov_b32 s20, s15
	s_mov_b32 s21, 0
	v_dual_mov_b32 v17, 0 :: v_dual_and_b32 v10, 0x3ff, v0
	s_lshl_b64 s[20:21], s[20:21], 3
	v_bfe_u32 v11, v0, 10, 10
	v_mov_b32_e32 v16, 0
	s_delay_alu instid0(VALU_DEP_3) | instskip(NEXT) | instid1(VALU_DEP_3)
	v_lshl_add_u32 v0, s13, 4, v10
	v_lshl_add_u32 v8, s14, 4, v11
	s_delay_alu instid0(VALU_DEP_2) | instskip(NEXT) | instid1(VALU_DEP_2)
	v_ashrrev_i32_e32 v1, 31, v0
	v_ashrrev_i32_e32 v9, 31, v8
	s_waitcnt lgkmcnt(0)
	s_add_u32 s16, s16, s20
	s_addc_u32 s17, s17, s21
	v_cmp_lt_i64_e64 s2, s[4:5], 1
	s_load_b64 s[16:17], s[16:17], 0x0
	s_delay_alu instid0(VALU_DEP_1)
	s_and_b32 vcc_lo, exec_lo, s2
	v_cmp_gt_i32_e64 s2, s3, v8
	s_cbranch_vccnz .LBB1593_11
; %bb.1:
	s_load_b128 s[12:15], s[0:1], 0x30
	v_mul_lo_u32 v14, s11, v0
	v_mul_lo_u32 v15, s10, v1
	v_mad_u64_u32 v[5:6], null, s10, v0, 0
	v_lshlrev_b32_e32 v12, 3, v10
	v_dual_mov_b32 v2, 0 :: v_dual_lshlrev_b32 v7, 7, v11
	v_lshlrev_b32_e32 v17, 3, v11
	v_cmp_gt_i32_e32 vcc_lo, s3, v0
	v_add3_u32 v6, v6, v15, v14
	s_delay_alu instid0(VALU_DEP_4) | instskip(NEXT) | instid1(VALU_DEP_2)
	v_add_nc_u32_e32 v14, v12, v7
	v_lshlrev_b64 v[5:6], 3, v[5:6]
	s_waitcnt lgkmcnt(0)
	v_mul_lo_u32 v13, s15, v8
	v_mul_lo_u32 v16, s14, v9
	v_mad_u64_u32 v[3:4], null, s14, v8, 0
	s_add_u32 s0, s12, s20
	s_addc_u32 s1, s13, s21
	s_add_u32 s8, s8, s20
	s_load_b64 s[10:11], s[0:1], 0x0
	s_addc_u32 s9, s9, s21
	s_xor_b32 s2, s2, -1
	s_delay_alu instid0(VALU_DEP_1) | instskip(SKIP_3) | instid1(VALU_DEP_3)
	v_add3_u32 v4, v4, v16, v13
	v_mov_b32_e32 v16, 0
	s_load_b64 s[8:9], s[8:9], 0x0
	v_add_nc_u32_e32 v13, 0x800, v7
	v_lshlrev_b64 v[3:4], 3, v[3:4]
	s_delay_alu instid0(VALU_DEP_1) | instskip(NEXT) | instid1(VALU_DEP_1)
	v_add_co_u32 v3, s0, v3, v12
	v_add_co_ci_u32_e64 v7, s0, 0, v4, s0
	v_add_co_u32 v17, s0, v5, v17
	s_delay_alu instid0(VALU_DEP_1) | instskip(SKIP_2) | instid1(VALU_DEP_1)
	v_add_co_ci_u32_e64 v18, s0, 0, v6, s0
	s_waitcnt lgkmcnt(0)
	v_add_co_u32 v4, s0, s10, v3
	v_add_co_ci_u32_e64 v5, s0, s11, v7, s0
	v_add_co_u32 v6, s0, s8, v17
	s_delay_alu instid0(VALU_DEP_1)
	v_add_co_ci_u32_e64 v7, s0, s9, v18, s0
	v_mov_b32_e32 v17, 0
	v_add_nc_u32_e32 v15, v13, v12
	s_mov_b64 s[0:1], 0
	s_xor_b32 s8, vcc_lo, -1
	s_branch .LBB1593_3
.LBB1593_2:                             ;   in Loop: Header=BB1593_3 Depth=1
	s_or_b32 exec_lo, exec_lo, s9
	s_waitcnt lgkmcnt(0)
	s_barrier
	buffer_gl0_inv
	ds_load_2addr_b64 v[18:21], v12 offset1:16
	ds_load_b128 v[22:25], v13
	ds_load_b128 v[26:29], v13 offset:16
	ds_load_2addr_b64 v[30:33], v12 offset0:32 offset1:48
	ds_load_2addr_b64 v[34:37], v12 offset0:64 offset1:80
	ds_load_b128 v[38:41], v13 offset:32
	ds_load_b128 v[42:45], v13 offset:48
	ds_load_2addr_b64 v[46:49], v12 offset0:96 offset1:112
	ds_load_2addr_b64 v[50:53], v12 offset0:128 offset1:144
	;; [unrolled: 1-line block ×3, first 2 shown]
	ds_load_b128 v[58:61], v13 offset:64
	ds_load_b128 v[62:65], v13 offset:80
	s_add_u32 s0, s0, 16
	s_addc_u32 s1, s1, 0
	v_add_co_u32 v4, vcc_lo, 0x80, v4
	v_cmp_ge_i64_e64 s9, s[0:1], s[4:5]
	v_add_co_ci_u32_e32 v5, vcc_lo, 0, v5, vcc_lo
	v_add_co_u32 v6, vcc_lo, 0x80, v6
	s_waitcnt lgkmcnt(10)
	v_dual_mul_f32 v3, v23, v19 :: v_dual_mul_f32 v66, v25, v21
	s_waitcnt lgkmcnt(8)
	v_dual_mul_f32 v19, v22, v19 :: v_dual_mul_f32 v68, v29, v33
	v_mul_f32_e32 v21, v24, v21
	v_mul_f32_e32 v67, v27, v31
	;; [unrolled: 1-line block ×3, first 2 shown]
	s_delay_alu instid0(VALU_DEP_4)
	v_fmac_f32_e32 v19, v23, v18
	v_fma_f32 v3, v22, v18, -v3
	s_waitcnt lgkmcnt(6)
	v_dual_fmac_f32 v21, v25, v20 :: v_dual_mul_f32 v18, v40, v37
	v_mul_f32_e32 v33, v28, v33
	v_add_f32_e32 v16, v16, v19
	v_mul_f32_e32 v69, v39, v35
	v_fmac_f32_e32 v31, v27, v30
	v_fma_f32 v23, v24, v20, -v66
	v_fmac_f32_e32 v18, v41, v36
	v_dual_add_f32 v16, v16, v21 :: v_dual_fmac_f32 v33, v29, v32
	s_waitcnt lgkmcnt(1)
	v_mul_f32_e32 v24, v58, v51
	v_mul_f32_e32 v20, v42, v47
	v_add_f32_e32 v3, v17, v3
	v_add_f32_e32 v16, v16, v31
	v_mul_f32_e32 v35, v38, v35
	v_fma_f32 v21, v28, v32, -v68
	s_waitcnt lgkmcnt(0)
	v_mul_f32_e32 v32, v62, v55
	v_mul_f32_e32 v22, v41, v37
	v_dual_add_f32 v16, v16, v33 :: v_dual_fmac_f32 v35, v39, v34
	v_fma_f32 v19, v26, v30, -v67
	v_dual_fmac_f32 v20, v43, v46 :: v_dual_mul_f32 v27, v60, v53
	s_delay_alu instid0(VALU_DEP_4) | instskip(NEXT) | instid1(VALU_DEP_4)
	v_fma_f32 v22, v40, v36, -v22
	v_add_f32_e32 v16, v16, v35
	v_mul_f32_e32 v17, v43, v47
	v_add_co_ci_u32_e32 v7, vcc_lo, 0, v7, vcc_lo
	v_fmac_f32_e32 v24, v59, v50
	s_delay_alu instid0(VALU_DEP_4) | instskip(SKIP_3) | instid1(VALU_DEP_4)
	v_dual_add_f32 v16, v16, v18 :: v_dual_add_f32 v3, v3, v23
	v_mul_f32_e32 v26, v61, v53
	v_fma_f32 v23, v38, v34, -v69
	v_fmac_f32_e32 v27, v61, v52
	v_dual_add_f32 v20, v16, v20 :: v_dual_add_f32 v3, v3, v19
	v_mul_f32_e32 v19, v45, v49
	v_fma_f32 v17, v42, v46, -v17
	v_fmac_f32_e32 v32, v63, v54
	s_and_b32 vcc_lo, exec_lo, s9
	v_add_f32_e32 v3, v3, v21
	v_mul_f32_e32 v21, v44, v49
	s_delay_alu instid0(VALU_DEP_1) | instskip(NEXT) | instid1(VALU_DEP_1)
	v_dual_mul_f32 v36, v64, v57 :: v_dual_fmac_f32 v21, v45, v48
	v_dual_fmac_f32 v36, v65, v56 :: v_dual_add_f32 v25, v20, v21
	s_delay_alu instid0(VALU_DEP_1) | instskip(SKIP_2) | instid1(VALU_DEP_3)
	v_dual_add_f32 v24, v25, v24 :: v_dual_add_f32 v3, v3, v23
	v_fma_f32 v25, v60, v52, -v26
	v_mul_f32_e32 v26, v63, v55
	v_add_f32_e32 v33, v24, v27
	s_delay_alu instid0(VALU_DEP_4) | instskip(SKIP_3) | instid1(VALU_DEP_4)
	v_add_f32_e32 v3, v3, v22
	v_mul_f32_e32 v23, v59, v51
	v_fma_f32 v22, v44, v48, -v19
	v_fma_f32 v34, v62, v54, -v26
	v_dual_add_f32 v32, v33, v32 :: v_dual_add_f32 v3, v3, v17
	ds_load_2addr_b64 v[16:19], v12 offset0:192 offset1:208
	v_fma_f32 v23, v58, v50, -v23
	v_dual_add_f32 v32, v32, v36 :: v_dual_add_f32 v3, v3, v22
	s_delay_alu instid0(VALU_DEP_1)
	v_add_f32_e32 v3, v3, v23
	ds_load_b128 v[20:23], v13 offset:96
	v_add_f32_e32 v3, v3, v25
	ds_load_2addr_b64 v[24:27], v12 offset0:224 offset1:240
	ds_load_b128 v[28:31], v13 offset:112
	v_mul_f32_e32 v35, v65, v57
	s_waitcnt lgkmcnt(0)
	s_barrier
	v_add_f32_e32 v3, v3, v34
	buffer_gl0_inv
	v_fma_f32 v33, v64, v56, -v35
	s_delay_alu instid0(VALU_DEP_1) | instskip(SKIP_2) | instid1(VALU_DEP_2)
	v_add_f32_e32 v3, v3, v33
	v_mul_f32_e32 v34, v21, v17
	v_mul_f32_e32 v17, v20, v17
	v_fma_f32 v20, v20, v16, -v34
	s_delay_alu instid0(VALU_DEP_2) | instskip(SKIP_1) | instid1(VALU_DEP_3)
	v_dual_fmac_f32 v17, v21, v16 :: v_dual_mul_f32 v16, v23, v19
	v_mul_f32_e32 v19, v22, v19
	v_add_f32_e32 v3, v3, v20
	s_delay_alu instid0(VALU_DEP_3) | instskip(NEXT) | instid1(VALU_DEP_4)
	v_add_f32_e32 v17, v32, v17
	v_fma_f32 v16, v22, v18, -v16
	s_delay_alu instid0(VALU_DEP_4) | instskip(NEXT) | instid1(VALU_DEP_2)
	v_dual_fmac_f32 v19, v23, v18 :: v_dual_mul_f32 v18, v29, v25
	v_dual_mul_f32 v20, v28, v25 :: v_dual_add_f32 v3, v3, v16
	s_delay_alu instid0(VALU_DEP_2) | instskip(NEXT) | instid1(VALU_DEP_3)
	v_add_f32_e32 v16, v17, v19
	v_fma_f32 v17, v28, v24, -v18
	s_delay_alu instid0(VALU_DEP_3) | instskip(SKIP_2) | instid1(VALU_DEP_3)
	v_fmac_f32_e32 v20, v29, v24
	v_mul_f32_e32 v18, v31, v27
	v_mul_f32_e32 v19, v30, v27
	v_dual_add_f32 v3, v3, v17 :: v_dual_add_f32 v16, v16, v20
	s_delay_alu instid0(VALU_DEP_3) | instskip(NEXT) | instid1(VALU_DEP_3)
	v_fma_f32 v17, v30, v26, -v18
	v_fmac_f32_e32 v19, v31, v26
	s_delay_alu instid0(VALU_DEP_1)
	v_dual_add_f32 v17, v3, v17 :: v_dual_add_f32 v16, v16, v19
	s_cbranch_vccnz .LBB1593_11
.LBB1593_3:                             ; =>This Inner Loop Header: Depth=1
	v_add_co_u32 v18, s9, v11, s0
	s_delay_alu instid0(VALU_DEP_1) | instskip(NEXT) | instid1(VALU_DEP_1)
	v_add_co_ci_u32_e64 v19, null, 0, s1, s9
	v_cmp_le_i64_e32 vcc_lo, s[4:5], v[18:19]
	s_or_b32 s9, s8, vcc_lo
	s_delay_alu instid0(SALU_CYCLE_1) | instskip(NEXT) | instid1(SALU_CYCLE_1)
	s_and_saveexec_b32 s10, s9
	s_xor_b32 s9, exec_lo, s10
	s_cbranch_execz .LBB1593_5
; %bb.4:                                ;   in Loop: Header=BB1593_3 Depth=1
	v_mov_b32_e32 v3, v2
	ds_store_b64 v14, v[2:3]
.LBB1593_5:                             ;   in Loop: Header=BB1593_3 Depth=1
	s_and_not1_saveexec_b32 s9, s9
	s_cbranch_execz .LBB1593_7
; %bb.6:                                ;   in Loop: Header=BB1593_3 Depth=1
	global_load_b64 v[18:19], v[6:7], off
	s_waitcnt vmcnt(0)
	ds_store_b64 v14, v[18:19]
.LBB1593_7:                             ;   in Loop: Header=BB1593_3 Depth=1
	s_or_b32 exec_lo, exec_lo, s9
	v_add_co_u32 v18, s9, v10, s0
	s_delay_alu instid0(VALU_DEP_1) | instskip(NEXT) | instid1(VALU_DEP_1)
	v_add_co_ci_u32_e64 v19, null, 0, s1, s9
	v_cmp_le_i64_e32 vcc_lo, s[4:5], v[18:19]
	s_or_b32 s9, s2, vcc_lo
	s_delay_alu instid0(SALU_CYCLE_1) | instskip(NEXT) | instid1(SALU_CYCLE_1)
	s_and_saveexec_b32 s10, s9
	s_xor_b32 s9, exec_lo, s10
	s_cbranch_execz .LBB1593_9
; %bb.8:                                ;   in Loop: Header=BB1593_3 Depth=1
	v_mov_b32_e32 v3, v2
	ds_store_b64 v15, v[2:3]
.LBB1593_9:                             ;   in Loop: Header=BB1593_3 Depth=1
	s_and_not1_saveexec_b32 s9, s9
	s_cbranch_execz .LBB1593_2
; %bb.10:                               ;   in Loop: Header=BB1593_3 Depth=1
	global_load_b64 v[18:19], v[4:5], off
	s_waitcnt vmcnt(0)
	ds_store_b64 v15, v[18:19]
	s_branch .LBB1593_2
.LBB1593_11:
	v_cmp_le_i32_e32 vcc_lo, v0, v8
	v_cmp_gt_i32_e64 s0, s3, v8
	s_delay_alu instid0(VALU_DEP_1) | instskip(NEXT) | instid1(SALU_CYCLE_1)
	s_and_b32 s0, vcc_lo, s0
	s_and_saveexec_b32 s1, s0
	s_cbranch_execz .LBB1593_13
; %bb.12:
	v_mul_lo_u32 v4, v8, s19
	v_mul_lo_u32 v5, v9, s18
	v_mad_u64_u32 v[2:3], null, v8, s18, 0
	v_lshlrev_b64 v[0:1], 3, v[0:1]
	s_delay_alu instid0(VALU_DEP_2) | instskip(SKIP_2) | instid1(VALU_DEP_3)
	v_add3_u32 v3, v3, v4, v5
	v_mul_f32_e32 v5, s6, v16
	v_mul_f32_e32 v4, s7, v16
	v_lshlrev_b64 v[2:3], 3, v[2:3]
	s_delay_alu instid0(VALU_DEP_3) | instskip(NEXT) | instid1(VALU_DEP_3)
	v_fmac_f32_e32 v5, s7, v17
	v_fma_f32 v4, v17, s6, -v4
	s_waitcnt lgkmcnt(0)
	s_delay_alu instid0(VALU_DEP_3) | instskip(NEXT) | instid1(VALU_DEP_4)
	v_add_co_u32 v2, vcc_lo, s16, v2
	v_add_co_ci_u32_e32 v3, vcc_lo, s17, v3, vcc_lo
	s_delay_alu instid0(VALU_DEP_2) | instskip(NEXT) | instid1(VALU_DEP_2)
	v_add_co_u32 v0, vcc_lo, v2, v0
	v_add_co_ci_u32_e32 v1, vcc_lo, v3, v1, vcc_lo
	global_store_b64 v[0:1], v[4:5], off
.LBB1593_13:
	s_nop 0
	s_sendmsg sendmsg(MSG_DEALLOC_VGPRS)
	s_endpgm
	.section	.rodata,"a",@progbits
	.p2align	6, 0x0
	.amdhsa_kernel _ZL32rocblas_syrkx_herkx_small_kernelIl19rocblas_complex_numIfELi16ELb1ELb0ELc84ELc85EKPKS1_KPS1_EviT_T0_PT6_S7_lSA_S7_lS8_PT7_S7_li
		.amdhsa_group_segment_fixed_size 4096
		.amdhsa_private_segment_fixed_size 0
		.amdhsa_kernarg_size 108
		.amdhsa_user_sgpr_count 13
		.amdhsa_user_sgpr_dispatch_ptr 0
		.amdhsa_user_sgpr_queue_ptr 0
		.amdhsa_user_sgpr_kernarg_segment_ptr 1
		.amdhsa_user_sgpr_dispatch_id 0
		.amdhsa_user_sgpr_private_segment_size 0
		.amdhsa_wavefront_size32 1
		.amdhsa_uses_dynamic_stack 0
		.amdhsa_enable_private_segment 0
		.amdhsa_system_sgpr_workgroup_id_x 1
		.amdhsa_system_sgpr_workgroup_id_y 1
		.amdhsa_system_sgpr_workgroup_id_z 1
		.amdhsa_system_sgpr_workgroup_info 0
		.amdhsa_system_vgpr_workitem_id 1
		.amdhsa_next_free_vgpr 70
		.amdhsa_next_free_sgpr 22
		.amdhsa_reserve_vcc 1
		.amdhsa_float_round_mode_32 0
		.amdhsa_float_round_mode_16_64 0
		.amdhsa_float_denorm_mode_32 3
		.amdhsa_float_denorm_mode_16_64 3
		.amdhsa_dx10_clamp 1
		.amdhsa_ieee_mode 1
		.amdhsa_fp16_overflow 0
		.amdhsa_workgroup_processor_mode 1
		.amdhsa_memory_ordered 1
		.amdhsa_forward_progress 0
		.amdhsa_shared_vgpr_count 0
		.amdhsa_exception_fp_ieee_invalid_op 0
		.amdhsa_exception_fp_denorm_src 0
		.amdhsa_exception_fp_ieee_div_zero 0
		.amdhsa_exception_fp_ieee_overflow 0
		.amdhsa_exception_fp_ieee_underflow 0
		.amdhsa_exception_fp_ieee_inexact 0
		.amdhsa_exception_int_div_zero 0
	.end_amdhsa_kernel
	.section	.text._ZL32rocblas_syrkx_herkx_small_kernelIl19rocblas_complex_numIfELi16ELb1ELb0ELc84ELc85EKPKS1_KPS1_EviT_T0_PT6_S7_lSA_S7_lS8_PT7_S7_li,"axG",@progbits,_ZL32rocblas_syrkx_herkx_small_kernelIl19rocblas_complex_numIfELi16ELb1ELb0ELc84ELc85EKPKS1_KPS1_EviT_T0_PT6_S7_lSA_S7_lS8_PT7_S7_li,comdat
.Lfunc_end1593:
	.size	_ZL32rocblas_syrkx_herkx_small_kernelIl19rocblas_complex_numIfELi16ELb1ELb0ELc84ELc85EKPKS1_KPS1_EviT_T0_PT6_S7_lSA_S7_lS8_PT7_S7_li, .Lfunc_end1593-_ZL32rocblas_syrkx_herkx_small_kernelIl19rocblas_complex_numIfELi16ELb1ELb0ELc84ELc85EKPKS1_KPS1_EviT_T0_PT6_S7_lSA_S7_lS8_PT7_S7_li
                                        ; -- End function
	.section	.AMDGPU.csdata,"",@progbits
; Kernel info:
; codeLenInByte = 1500
; NumSgprs: 24
; NumVgprs: 70
; ScratchSize: 0
; MemoryBound: 1
; FloatMode: 240
; IeeeMode: 1
; LDSByteSize: 4096 bytes/workgroup (compile time only)
; SGPRBlocks: 2
; VGPRBlocks: 8
; NumSGPRsForWavesPerEU: 24
; NumVGPRsForWavesPerEU: 70
; Occupancy: 16
; WaveLimiterHint : 1
; COMPUTE_PGM_RSRC2:SCRATCH_EN: 0
; COMPUTE_PGM_RSRC2:USER_SGPR: 13
; COMPUTE_PGM_RSRC2:TRAP_HANDLER: 0
; COMPUTE_PGM_RSRC2:TGID_X_EN: 1
; COMPUTE_PGM_RSRC2:TGID_Y_EN: 1
; COMPUTE_PGM_RSRC2:TGID_Z_EN: 1
; COMPUTE_PGM_RSRC2:TIDIG_COMP_CNT: 1
	.section	.text._ZL32rocblas_syrkx_herkx_small_kernelIl19rocblas_complex_numIfELi16ELb1ELb0ELc67ELc85EKPKS1_KPS1_EviT_T0_PT6_S7_lSA_S7_lS8_PT7_S7_li,"axG",@progbits,_ZL32rocblas_syrkx_herkx_small_kernelIl19rocblas_complex_numIfELi16ELb1ELb0ELc67ELc85EKPKS1_KPS1_EviT_T0_PT6_S7_lSA_S7_lS8_PT7_S7_li,comdat
	.globl	_ZL32rocblas_syrkx_herkx_small_kernelIl19rocblas_complex_numIfELi16ELb1ELb0ELc67ELc85EKPKS1_KPS1_EviT_T0_PT6_S7_lSA_S7_lS8_PT7_S7_li ; -- Begin function _ZL32rocblas_syrkx_herkx_small_kernelIl19rocblas_complex_numIfELi16ELb1ELb0ELc67ELc85EKPKS1_KPS1_EviT_T0_PT6_S7_lSA_S7_lS8_PT7_S7_li
	.p2align	8
	.type	_ZL32rocblas_syrkx_herkx_small_kernelIl19rocblas_complex_numIfELi16ELb1ELb0ELc67ELc85EKPKS1_KPS1_EviT_T0_PT6_S7_lSA_S7_lS8_PT7_S7_li,@function
_ZL32rocblas_syrkx_herkx_small_kernelIl19rocblas_complex_numIfELi16ELb1ELb0ELc67ELc85EKPKS1_KPS1_EviT_T0_PT6_S7_lSA_S7_lS8_PT7_S7_li: ; @_ZL32rocblas_syrkx_herkx_small_kernelIl19rocblas_complex_numIfELi16ELb1ELb0ELc67ELc85EKPKS1_KPS1_EviT_T0_PT6_S7_lSA_S7_lS8_PT7_S7_li
; %bb.0:
	s_clause 0x2
	s_load_b128 s[16:19], s[0:1], 0x50
	s_load_b256 s[4:11], s[0:1], 0x8
	s_load_b32 s3, s[0:1], 0x0
	s_mov_b32 s20, s15
	s_mov_b32 s21, 0
	v_dual_mov_b32 v19, 0 :: v_dual_and_b32 v12, 0x3ff, v0
	s_lshl_b64 s[20:21], s[20:21], 3
	v_bfe_u32 v13, v0, 10, 10
	v_mov_b32_e32 v18, 0
	s_delay_alu instid0(VALU_DEP_3) | instskip(NEXT) | instid1(VALU_DEP_3)
	v_lshl_add_u32 v0, s13, 4, v12
	v_lshl_add_u32 v10, s14, 4, v13
	s_delay_alu instid0(VALU_DEP_2) | instskip(NEXT) | instid1(VALU_DEP_2)
	v_ashrrev_i32_e32 v1, 31, v0
	v_ashrrev_i32_e32 v11, 31, v10
	s_waitcnt lgkmcnt(0)
	s_add_u32 s16, s16, s20
	s_addc_u32 s17, s17, s21
	v_cmp_lt_i64_e64 s2, s[4:5], 1
	s_load_b64 s[16:17], s[16:17], 0x0
	s_delay_alu instid0(VALU_DEP_1)
	s_and_b32 vcc_lo, exec_lo, s2
	v_cmp_gt_i32_e64 s2, s3, v10
	s_cbranch_vccnz .LBB1594_9
; %bb.1:
	s_load_b128 s[12:15], s[0:1], 0x30
	v_mul_lo_u32 v8, s11, v0
	v_mul_lo_u32 v9, s10, v1
	v_mad_u64_u32 v[3:4], null, s10, v0, 0
	v_dual_mov_b32 v19, 0 :: v_dual_lshlrev_b32 v14, 3, v12
	v_dual_mov_b32 v2, 0 :: v_dual_lshlrev_b32 v7, 7, v13
	v_cmp_gt_i32_e64 s0, s3, v0
	v_mov_b32_e32 v18, 0
	v_add3_u32 v4, v4, v9, v8
	v_lshlrev_b32_e32 v8, 3, v13
	v_add_nc_u32_e32 v15, 0x800, v7
	s_delay_alu instid0(VALU_DEP_3)
	v_lshlrev_b64 v[3:4], 3, v[3:4]
	s_waitcnt lgkmcnt(0)
	s_add_u32 s10, s12, s20
	s_addc_u32 s11, s13, s21
	s_add_u32 s8, s8, s20
	v_mul_lo_u32 v16, s15, v10
	v_mul_lo_u32 v17, s14, v11
	v_mad_u64_u32 v[5:6], null, s14, v10, 0
	s_addc_u32 s9, s9, s21
	s_load_b64 s[10:11], s[10:11], 0x0
	s_load_b64 s[8:9], s[8:9], 0x0
	v_add_co_u32 v3, vcc_lo, v3, v8
	v_add_co_ci_u32_e32 v4, vcc_lo, 0, v4, vcc_lo
	s_delay_alu instid0(VALU_DEP_3) | instskip(SKIP_3) | instid1(VALU_DEP_3)
	v_add3_u32 v6, v6, v17, v16
	v_add_nc_u32_e32 v16, v14, v7
	v_add_nc_u32_e32 v17, v15, v14
	s_xor_b32 s1, s2, -1
	v_lshlrev_b64 v[5:6], 3, v[5:6]
	s_delay_alu instid0(VALU_DEP_1) | instskip(NEXT) | instid1(VALU_DEP_2)
	v_add_co_u32 v5, vcc_lo, v5, v14
	v_add_co_ci_u32_e32 v6, vcc_lo, 0, v6, vcc_lo
	s_waitcnt lgkmcnt(0)
	v_add_co_u32 v3, vcc_lo, v3, s8
	v_add_co_ci_u32_e32 v7, vcc_lo, s9, v4, vcc_lo
	v_add_co_u32 v4, vcc_lo, s10, v5
	v_add_co_ci_u32_e32 v5, vcc_lo, s11, v6, vcc_lo
	s_delay_alu instid0(VALU_DEP_4) | instskip(NEXT) | instid1(VALU_DEP_4)
	v_add_co_u32 v6, vcc_lo, v3, 4
	v_add_co_ci_u32_e32 v7, vcc_lo, 0, v7, vcc_lo
	s_mov_b64 s[8:9], 0
	s_branch .LBB1594_3
.LBB1594_2:                             ;   in Loop: Header=BB1594_3 Depth=1
	s_or_b32 exec_lo, exec_lo, s2
	s_waitcnt lgkmcnt(0)
	s_barrier
	buffer_gl0_inv
	ds_load_2addr_b64 v[20:23], v14 offset1:16
	ds_load_b128 v[24:27], v15
	ds_load_b128 v[28:31], v15 offset:16
	ds_load_2addr_b64 v[32:35], v14 offset0:32 offset1:48
	ds_load_2addr_b64 v[36:39], v14 offset0:64 offset1:80
	ds_load_b128 v[40:43], v15 offset:32
	ds_load_b128 v[44:47], v15 offset:48
	ds_load_2addr_b64 v[48:51], v14 offset0:96 offset1:112
	ds_load_2addr_b64 v[52:55], v14 offset0:128 offset1:144
	;; [unrolled: 1-line block ×3, first 2 shown]
	ds_load_b128 v[60:63], v15 offset:64
	ds_load_b128 v[64:67], v15 offset:80
	s_add_u32 s8, s8, 16
	s_addc_u32 s9, s9, 0
	v_add_co_u32 v4, vcc_lo, 0x80, v4
	v_cmp_ge_i64_e64 s2, s[8:9], s[4:5]
	v_add_co_ci_u32_e32 v5, vcc_lo, 0, v5, vcc_lo
	v_add_co_u32 v6, vcc_lo, 0x80, v6
	s_waitcnt lgkmcnt(10)
	v_mul_f32_e32 v3, v25, v21
	v_dual_mul_f32 v8, v24, v21 :: v_dual_mul_f32 v9, v27, v23
	v_mul_f32_e32 v21, v26, v23
	s_waitcnt lgkmcnt(8)
	v_mul_f32_e32 v23, v29, v33
	v_dual_mul_f32 v33, v28, v33 :: v_dual_mul_f32 v68, v31, v35
	v_fma_f32 v3, v24, v20, -v3
	v_fmac_f32_e32 v8, v25, v20
	s_waitcnt lgkmcnt(6)
	v_dual_mul_f32 v20, v42, v39 :: v_dual_mul_f32 v69, v41, v37
	v_mul_f32_e32 v37, v40, v37
	v_mul_f32_e32 v35, v30, v35
	v_add_f32_e32 v8, v18, v8
	s_waitcnt lgkmcnt(4)
	v_mul_f32_e32 v18, v45, v49
	v_dual_fmac_f32 v20, v43, v38 :: v_dual_fmac_f32 v37, v41, v36
	v_fmac_f32_e32 v33, v29, v32
	v_fmac_f32_e32 v21, v27, v22
	v_add_f32_e32 v3, v19, v3
	v_fma_f32 v9, v26, v22, -v9
	v_fmac_f32_e32 v35, v31, v34
	v_mul_f32_e32 v24, v43, v39
	v_add_f32_e32 v8, v8, v21
	v_fma_f32 v19, v28, v32, -v23
	s_waitcnt lgkmcnt(1)
	v_mul_f32_e32 v26, v60, v53
	v_fma_f32 v21, v30, v34, -v68
	v_fma_f32 v22, v40, v36, -v69
	v_add_f32_e32 v8, v8, v33
	v_add_f32_e32 v3, v3, v9
	v_dual_mul_f32 v9, v44, v49 :: v_dual_fmac_f32 v26, v61, v52
	v_mul_f32_e32 v23, v46, v51
	s_delay_alu instid0(VALU_DEP_4) | instskip(NEXT) | instid1(VALU_DEP_4)
	v_add_f32_e32 v8, v8, v35
	v_add_f32_e32 v3, v3, v19
	v_mul_f32_e32 v19, v47, v51
	v_fmac_f32_e32 v9, v45, v48
	s_waitcnt lgkmcnt(0)
	v_dual_fmac_f32 v23, v47, v50 :: v_dual_mul_f32 v34, v64, v57
	v_add_f32_e32 v8, v8, v37
	v_fma_f32 v18, v44, v48, -v18
	v_mul_f32_e32 v27, v63, v55
	v_mul_f32_e32 v28, v62, v55
	v_fmac_f32_e32 v34, v65, v56
	v_add_f32_e32 v8, v8, v20
	v_add_co_ci_u32_e32 v7, vcc_lo, 0, v7, vcc_lo
	s_delay_alu instid0(VALU_DEP_4) | instskip(SKIP_1) | instid1(VALU_DEP_3)
	v_fmac_f32_e32 v28, v63, v54
	s_and_b32 vcc_lo, exec_lo, s2
	v_add_f32_e32 v8, v8, v9
	v_add_f32_e32 v3, v3, v21
	v_fma_f32 v21, v42, v38, -v24
	v_fma_f32 v24, v46, v50, -v19
	v_mul_f32_e32 v36, v66, v59
	s_delay_alu instid0(VALU_DEP_4) | instskip(SKIP_1) | instid1(VALU_DEP_2)
	v_dual_add_f32 v8, v8, v23 :: v_dual_add_f32 v3, v3, v22
	v_mul_f32_e32 v22, v61, v53
	v_dual_add_f32 v8, v8, v26 :: v_dual_add_f32 v3, v3, v21
	s_delay_alu instid0(VALU_DEP_2) | instskip(SKIP_1) | instid1(VALU_DEP_3)
	v_fma_f32 v9, v60, v52, -v22
	v_mul_f32_e32 v26, v65, v57
	v_dual_add_f32 v8, v8, v28 :: v_dual_add_f32 v3, v3, v18
	ds_load_2addr_b64 v[18:21], v14 offset0:192 offset1:208
	v_dual_add_f32 v8, v8, v34 :: v_dual_add_f32 v3, v3, v24
	ds_load_b128 v[22:25], v15 offset:96
	v_fmac_f32_e32 v36, v67, v58
	v_mul_f32_e32 v35, v67, v59
	v_add_f32_e32 v3, v3, v9
	v_fma_f32 v9, v62, v54, -v27
	s_waitcnt lgkmcnt(0)
	v_mul_f32_e32 v34, v23, v19
	v_mul_f32_e32 v19, v22, v19
	s_delay_alu instid0(VALU_DEP_3)
	v_dual_add_f32 v3, v3, v9 :: v_dual_add_f32 v8, v8, v36
	v_fma_f32 v9, v64, v56, -v26
	ds_load_2addr_b64 v[26:29], v14 offset0:224 offset1:240
	ds_load_b128 v[30:33], v15 offset:112
	v_fmac_f32_e32 v19, v23, v18
	s_waitcnt lgkmcnt(0)
	s_barrier
	v_add_f32_e32 v3, v3, v9
	v_fma_f32 v9, v66, v58, -v35
	v_add_f32_e32 v8, v8, v19
	buffer_gl0_inv
	v_mul_f32_e32 v19, v30, v27
	s_delay_alu instid0(VALU_DEP_1) | instskip(SKIP_4) | instid1(VALU_DEP_1)
	v_fmac_f32_e32 v19, v31, v26
	v_add_f32_e32 v3, v3, v9
	v_fma_f32 v9, v22, v18, -v34
	v_mul_f32_e32 v18, v25, v21
	v_mul_f32_e32 v21, v24, v21
	v_fmac_f32_e32 v21, v25, v20
	s_delay_alu instid0(VALU_DEP_1) | instskip(NEXT) | instid1(VALU_DEP_1)
	v_add_f32_e32 v8, v8, v21
	v_dual_add_f32 v8, v8, v19 :: v_dual_add_f32 v3, v3, v9
	v_fma_f32 v9, v24, v20, -v18
	v_mul_f32_e32 v18, v31, v27
	v_mul_f32_e32 v20, v32, v29
	s_delay_alu instid0(VALU_DEP_1) | instskip(NEXT) | instid1(VALU_DEP_3)
	v_dual_fmac_f32 v20, v33, v28 :: v_dual_add_f32 v3, v3, v9
	v_fma_f32 v9, v30, v26, -v18
	v_mul_f32_e32 v18, v33, v29
	s_delay_alu instid0(VALU_DEP_2) | instskip(NEXT) | instid1(VALU_DEP_2)
	v_add_f32_e32 v3, v3, v9
	v_fma_f32 v9, v32, v28, -v18
	s_delay_alu instid0(VALU_DEP_1)
	v_dual_add_f32 v18, v8, v20 :: v_dual_add_f32 v19, v3, v9
	s_cbranch_vccnz .LBB1594_9
.LBB1594_3:                             ; =>This Inner Loop Header: Depth=1
	v_add_co_u32 v8, s2, v13, s8
	s_delay_alu instid0(VALU_DEP_1) | instskip(NEXT) | instid1(VALU_DEP_1)
	v_add_co_ci_u32_e64 v9, null, 0, s9, s2
	v_cmp_gt_i64_e32 vcc_lo, s[4:5], v[8:9]
	v_dual_mov_b32 v8, 0 :: v_dual_mov_b32 v9, 0
	s_and_b32 s10, s0, vcc_lo
	s_delay_alu instid0(SALU_CYCLE_1)
	s_and_saveexec_b32 s2, s10
	s_cbranch_execz .LBB1594_5
; %bb.4:                                ;   in Loop: Header=BB1594_3 Depth=1
	global_load_b64 v[8:9], v[6:7], off offset:-4
.LBB1594_5:                             ;   in Loop: Header=BB1594_3 Depth=1
	s_or_b32 exec_lo, exec_lo, s2
	v_add_co_u32 v20, s2, v12, s8
	s_delay_alu instid0(VALU_DEP_1) | instskip(SKIP_4) | instid1(SALU_CYCLE_1)
	v_add_co_ci_u32_e64 v21, null, 0, s9, s2
	s_waitcnt vmcnt(0)
	ds_store_b64 v16, v[8:9]
	v_cmp_le_i64_e32 vcc_lo, s[4:5], v[20:21]
	s_or_b32 s2, s1, vcc_lo
	s_and_saveexec_b32 s10, s2
	s_delay_alu instid0(SALU_CYCLE_1)
	s_xor_b32 s2, exec_lo, s10
	s_cbranch_execz .LBB1594_7
; %bb.6:                                ;   in Loop: Header=BB1594_3 Depth=1
	v_mov_b32_e32 v3, v2
	ds_store_b64 v17, v[2:3]
.LBB1594_7:                             ;   in Loop: Header=BB1594_3 Depth=1
	s_and_not1_saveexec_b32 s2, s2
	s_cbranch_execz .LBB1594_2
; %bb.8:                                ;   in Loop: Header=BB1594_3 Depth=1
	global_load_b64 v[8:9], v[4:5], off
	s_waitcnt vmcnt(0)
	ds_store_b64 v17, v[8:9]
	s_branch .LBB1594_2
.LBB1594_9:
	v_cmp_le_i32_e32 vcc_lo, v0, v10
	v_cmp_gt_i32_e64 s0, s3, v10
	s_delay_alu instid0(VALU_DEP_1) | instskip(NEXT) | instid1(SALU_CYCLE_1)
	s_and_b32 s0, vcc_lo, s0
	s_and_saveexec_b32 s1, s0
	s_cbranch_execz .LBB1594_11
; %bb.10:
	v_mul_lo_u32 v4, v10, s19
	v_mul_lo_u32 v5, v11, s18
	v_mad_u64_u32 v[2:3], null, v10, s18, 0
	v_lshlrev_b64 v[0:1], 3, v[0:1]
	s_delay_alu instid0(VALU_DEP_2) | instskip(SKIP_2) | instid1(VALU_DEP_3)
	v_add3_u32 v3, v3, v4, v5
	v_mul_f32_e32 v5, s6, v18
	v_mul_f32_e32 v4, s7, v18
	v_lshlrev_b64 v[2:3], 3, v[2:3]
	s_delay_alu instid0(VALU_DEP_3) | instskip(NEXT) | instid1(VALU_DEP_3)
	v_fmac_f32_e32 v5, s7, v19
	v_fma_f32 v4, v19, s6, -v4
	s_waitcnt lgkmcnt(0)
	s_delay_alu instid0(VALU_DEP_3) | instskip(NEXT) | instid1(VALU_DEP_4)
	v_add_co_u32 v2, vcc_lo, s16, v2
	v_add_co_ci_u32_e32 v3, vcc_lo, s17, v3, vcc_lo
	s_delay_alu instid0(VALU_DEP_2) | instskip(NEXT) | instid1(VALU_DEP_2)
	v_add_co_u32 v0, vcc_lo, v2, v0
	v_add_co_ci_u32_e32 v1, vcc_lo, v3, v1, vcc_lo
	global_store_b64 v[0:1], v[4:5], off
.LBB1594_11:
	s_nop 0
	s_sendmsg sendmsg(MSG_DEALLOC_VGPRS)
	s_endpgm
	.section	.rodata,"a",@progbits
	.p2align	6, 0x0
	.amdhsa_kernel _ZL32rocblas_syrkx_herkx_small_kernelIl19rocblas_complex_numIfELi16ELb1ELb0ELc67ELc85EKPKS1_KPS1_EviT_T0_PT6_S7_lSA_S7_lS8_PT7_S7_li
		.amdhsa_group_segment_fixed_size 4096
		.amdhsa_private_segment_fixed_size 0
		.amdhsa_kernarg_size 108
		.amdhsa_user_sgpr_count 13
		.amdhsa_user_sgpr_dispatch_ptr 0
		.amdhsa_user_sgpr_queue_ptr 0
		.amdhsa_user_sgpr_kernarg_segment_ptr 1
		.amdhsa_user_sgpr_dispatch_id 0
		.amdhsa_user_sgpr_private_segment_size 0
		.amdhsa_wavefront_size32 1
		.amdhsa_uses_dynamic_stack 0
		.amdhsa_enable_private_segment 0
		.amdhsa_system_sgpr_workgroup_id_x 1
		.amdhsa_system_sgpr_workgroup_id_y 1
		.amdhsa_system_sgpr_workgroup_id_z 1
		.amdhsa_system_sgpr_workgroup_info 0
		.amdhsa_system_vgpr_workitem_id 1
		.amdhsa_next_free_vgpr 70
		.amdhsa_next_free_sgpr 22
		.amdhsa_reserve_vcc 1
		.amdhsa_float_round_mode_32 0
		.amdhsa_float_round_mode_16_64 0
		.amdhsa_float_denorm_mode_32 3
		.amdhsa_float_denorm_mode_16_64 3
		.amdhsa_dx10_clamp 1
		.amdhsa_ieee_mode 1
		.amdhsa_fp16_overflow 0
		.amdhsa_workgroup_processor_mode 1
		.amdhsa_memory_ordered 1
		.amdhsa_forward_progress 0
		.amdhsa_shared_vgpr_count 0
		.amdhsa_exception_fp_ieee_invalid_op 0
		.amdhsa_exception_fp_denorm_src 0
		.amdhsa_exception_fp_ieee_div_zero 0
		.amdhsa_exception_fp_ieee_overflow 0
		.amdhsa_exception_fp_ieee_underflow 0
		.amdhsa_exception_fp_ieee_inexact 0
		.amdhsa_exception_int_div_zero 0
	.end_amdhsa_kernel
	.section	.text._ZL32rocblas_syrkx_herkx_small_kernelIl19rocblas_complex_numIfELi16ELb1ELb0ELc67ELc85EKPKS1_KPS1_EviT_T0_PT6_S7_lSA_S7_lS8_PT7_S7_li,"axG",@progbits,_ZL32rocblas_syrkx_herkx_small_kernelIl19rocblas_complex_numIfELi16ELb1ELb0ELc67ELc85EKPKS1_KPS1_EviT_T0_PT6_S7_lSA_S7_lS8_PT7_S7_li,comdat
.Lfunc_end1594:
	.size	_ZL32rocblas_syrkx_herkx_small_kernelIl19rocblas_complex_numIfELi16ELb1ELb0ELc67ELc85EKPKS1_KPS1_EviT_T0_PT6_S7_lSA_S7_lS8_PT7_S7_li, .Lfunc_end1594-_ZL32rocblas_syrkx_herkx_small_kernelIl19rocblas_complex_numIfELi16ELb1ELb0ELc67ELc85EKPKS1_KPS1_EviT_T0_PT6_S7_lSA_S7_lS8_PT7_S7_li
                                        ; -- End function
	.section	.AMDGPU.csdata,"",@progbits
; Kernel info:
; codeLenInByte = 1464
; NumSgprs: 24
; NumVgprs: 70
; ScratchSize: 0
; MemoryBound: 1
; FloatMode: 240
; IeeeMode: 1
; LDSByteSize: 4096 bytes/workgroup (compile time only)
; SGPRBlocks: 2
; VGPRBlocks: 8
; NumSGPRsForWavesPerEU: 24
; NumVGPRsForWavesPerEU: 70
; Occupancy: 16
; WaveLimiterHint : 1
; COMPUTE_PGM_RSRC2:SCRATCH_EN: 0
; COMPUTE_PGM_RSRC2:USER_SGPR: 13
; COMPUTE_PGM_RSRC2:TRAP_HANDLER: 0
; COMPUTE_PGM_RSRC2:TGID_X_EN: 1
; COMPUTE_PGM_RSRC2:TGID_Y_EN: 1
; COMPUTE_PGM_RSRC2:TGID_Z_EN: 1
; COMPUTE_PGM_RSRC2:TIDIG_COMP_CNT: 1
	.section	.text._ZL32rocblas_syrkx_herkx_small_kernelIl19rocblas_complex_numIfELi16ELb1ELb0ELc78ELc85EKPKS1_KPS1_EviT_T0_PT6_S7_lSA_S7_lS8_PT7_S7_li,"axG",@progbits,_ZL32rocblas_syrkx_herkx_small_kernelIl19rocblas_complex_numIfELi16ELb1ELb0ELc78ELc85EKPKS1_KPS1_EviT_T0_PT6_S7_lSA_S7_lS8_PT7_S7_li,comdat
	.globl	_ZL32rocblas_syrkx_herkx_small_kernelIl19rocblas_complex_numIfELi16ELb1ELb0ELc78ELc85EKPKS1_KPS1_EviT_T0_PT6_S7_lSA_S7_lS8_PT7_S7_li ; -- Begin function _ZL32rocblas_syrkx_herkx_small_kernelIl19rocblas_complex_numIfELi16ELb1ELb0ELc78ELc85EKPKS1_KPS1_EviT_T0_PT6_S7_lSA_S7_lS8_PT7_S7_li
	.p2align	8
	.type	_ZL32rocblas_syrkx_herkx_small_kernelIl19rocblas_complex_numIfELi16ELb1ELb0ELc78ELc85EKPKS1_KPS1_EviT_T0_PT6_S7_lSA_S7_lS8_PT7_S7_li,@function
_ZL32rocblas_syrkx_herkx_small_kernelIl19rocblas_complex_numIfELi16ELb1ELb0ELc78ELc85EKPKS1_KPS1_EviT_T0_PT6_S7_lSA_S7_lS8_PT7_S7_li: ; @_ZL32rocblas_syrkx_herkx_small_kernelIl19rocblas_complex_numIfELi16ELb1ELb0ELc78ELc85EKPKS1_KPS1_EviT_T0_PT6_S7_lSA_S7_lS8_PT7_S7_li
; %bb.0:
	s_clause 0x2
	s_load_b128 s[16:19], s[0:1], 0x50
	s_load_b256 s[4:11], s[0:1], 0x8
	s_load_b32 s3, s[0:1], 0x0
	s_mov_b32 s20, s15
	s_mov_b32 s21, 0
	v_dual_mov_b32 v19, 0 :: v_dual_and_b32 v12, 0x3ff, v0
	s_lshl_b64 s[20:21], s[20:21], 3
	v_bfe_u32 v13, v0, 10, 10
	v_mov_b32_e32 v18, 0
	s_delay_alu instid0(VALU_DEP_3) | instskip(NEXT) | instid1(VALU_DEP_3)
	v_lshl_add_u32 v0, s13, 4, v12
	v_lshl_add_u32 v2, s14, 4, v13
	s_delay_alu instid0(VALU_DEP_2) | instskip(NEXT) | instid1(VALU_DEP_2)
	v_ashrrev_i32_e32 v1, 31, v0
	v_ashrrev_i32_e32 v3, 31, v2
	s_waitcnt lgkmcnt(0)
	s_add_u32 s16, s16, s20
	s_addc_u32 s17, s17, s21
	v_cmp_lt_i64_e64 s2, s[4:5], 1
	s_load_b64 s[16:17], s[16:17], 0x0
	s_delay_alu instid0(VALU_DEP_1)
	s_and_b32 vcc_lo, exec_lo, s2
	v_cmp_gt_i32_e64 s2, s3, v2
	s_cbranch_vccnz .LBB1595_9
; %bb.1:
	s_load_b128 s[12:15], s[0:1], 0x30
	v_mad_u64_u32 v[7:8], null, s10, v13, 0
	v_lshlrev_b64 v[9:10], 3, v[2:3]
	v_dual_mov_b32 v4, 0 :: v_dual_lshlrev_b32 v11, 7, v13
	v_lshlrev_b32_e32 v14, 3, v12
	v_mov_b32_e32 v18, 0
	v_lshlrev_b64 v[19:20], 3, v[0:1]
	v_cmp_gt_i32_e32 vcc_lo, s3, v0
	s_waitcnt lgkmcnt(0)
	v_mad_u64_u32 v[5:6], null, s14, v12, 0
	s_add_u32 s0, s12, s20
	s_addc_u32 s1, s13, s21
	s_add_u32 s8, s8, s20
	s_load_b64 s[12:13], s[0:1], 0x0
	s_addc_u32 s9, s9, s21
	s_load_b64 s[20:21], s[8:9], 0x0
	s_delay_alu instid0(VALU_DEP_1) | instskip(SKIP_2) | instid1(VALU_DEP_2)
	v_mad_u64_u32 v[15:16], null, s15, v12, v[6:7]
	v_mad_u64_u32 v[16:17], null, s11, v13, v[8:9]
	s_lshl_b64 s[8:9], s[14:15], 7
	v_dual_mov_b32 v6, v15 :: v_dual_add_nc_u32 v15, 0x800, v11
	s_delay_alu instid0(VALU_DEP_2) | instskip(NEXT) | instid1(VALU_DEP_2)
	v_mov_b32_e32 v8, v16
	v_lshlrev_b64 v[5:6], 3, v[5:6]
	s_delay_alu instid0(VALU_DEP_2) | instskip(NEXT) | instid1(VALU_DEP_2)
	v_lshlrev_b64 v[7:8], 3, v[7:8]
	v_add_co_u32 v5, s0, v5, v9
	s_delay_alu instid0(VALU_DEP_1) | instskip(NEXT) | instid1(VALU_DEP_3)
	v_add_co_ci_u32_e64 v6, s0, v6, v10, s0
	v_add_co_u32 v7, s0, v7, v19
	s_delay_alu instid0(VALU_DEP_1) | instskip(SKIP_2) | instid1(VALU_DEP_1)
	v_add_co_ci_u32_e64 v8, s0, v8, v20, s0
	s_waitcnt lgkmcnt(0)
	v_add_co_u32 v5, s0, v5, s12
	v_add_co_ci_u32_e64 v9, s0, s13, v6, s0
	v_add_co_u32 v6, s0, s20, v7
	s_delay_alu instid0(VALU_DEP_1) | instskip(NEXT) | instid1(VALU_DEP_4)
	v_add_co_ci_u32_e64 v7, s0, s21, v8, s0
	v_add_co_u32 v8, s0, v5, 4
	s_delay_alu instid0(VALU_DEP_1)
	v_add_co_ci_u32_e64 v9, s0, 0, v9, s0
	v_mov_b32_e32 v19, 0
	v_add_nc_u32_e32 v17, v15, v14
	v_add_nc_u32_e32 v16, v14, v11
	s_lshl_b64 s[0:1], s[10:11], 7
	s_mov_b64 s[10:11], 0
	s_xor_b32 s12, vcc_lo, -1
	s_branch .LBB1595_3
.LBB1595_2:                             ;   in Loop: Header=BB1595_3 Depth=1
	s_or_b32 exec_lo, exec_lo, s13
	s_waitcnt vmcnt(0)
	ds_store_b64 v17, v[10:11]
	s_waitcnt lgkmcnt(0)
	s_barrier
	buffer_gl0_inv
	ds_load_2addr_b64 v[20:23], v14 offset1:16
	ds_load_b128 v[24:27], v15
	ds_load_b128 v[28:31], v15 offset:16
	ds_load_2addr_b64 v[32:35], v14 offset0:32 offset1:48
	ds_load_2addr_b64 v[36:39], v14 offset0:64 offset1:80
	ds_load_b128 v[40:43], v15 offset:32
	ds_load_b128 v[44:47], v15 offset:48
	ds_load_2addr_b64 v[48:51], v14 offset0:96 offset1:112
	ds_load_2addr_b64 v[52:55], v14 offset0:128 offset1:144
	;; [unrolled: 1-line block ×3, first 2 shown]
	ds_load_b128 v[60:63], v15 offset:64
	ds_load_b128 v[64:67], v15 offset:80
	s_add_u32 s10, s10, 16
	s_addc_u32 s11, s11, 0
	v_add_co_u32 v8, vcc_lo, v8, s8
	v_cmp_ge_i64_e64 s13, s[10:11], s[4:5]
	v_add_co_ci_u32_e32 v9, vcc_lo, s9, v9, vcc_lo
	v_add_co_u32 v6, vcc_lo, v6, s0
	s_waitcnt lgkmcnt(10)
	v_mul_f32_e32 v5, v25, v21
	v_dual_mul_f32 v10, v24, v21 :: v_dual_mul_f32 v11, v27, v23
	s_waitcnt lgkmcnt(8)
	v_mul_f32_e32 v68, v31, v35
	v_mul_f32_e32 v21, v26, v23
	v_fma_f32 v5, v24, v20, -v5
	s_waitcnt lgkmcnt(6)
	v_dual_mul_f32 v24, v40, v37 :: v_dual_mul_f32 v35, v30, v35
	v_fmac_f32_e32 v10, v25, v20
	v_mul_f32_e32 v23, v29, v33
	v_fma_f32 v11, v26, v22, -v11
	s_delay_alu instid0(VALU_DEP_4) | instskip(NEXT) | instid1(VALU_DEP_4)
	v_dual_add_f32 v5, v19, v5 :: v_dual_fmac_f32 v24, v41, v36
	v_add_f32_e32 v10, v18, v10
	s_delay_alu instid0(VALU_DEP_4) | instskip(SKIP_1) | instid1(VALU_DEP_4)
	v_fma_f32 v18, v28, v32, -v23
	v_mul_f32_e32 v33, v28, v33
	v_add_f32_e32 v5, v5, v11
	v_fma_f32 v20, v30, v34, -v68
	s_waitcnt lgkmcnt(1)
	v_mul_f32_e32 v26, v63, v55
	v_fmac_f32_e32 v35, v31, v34
	v_mul_f32_e32 v19, v42, v39
	v_add_f32_e32 v5, v5, v18
	v_add_co_ci_u32_e32 v7, vcc_lo, s1, v7, vcc_lo
	s_and_b32 vcc_lo, exec_lo, s13
	s_delay_alu instid0(VALU_DEP_2) | instskip(SKIP_2) | instid1(VALU_DEP_3)
	v_dual_mul_f32 v18, v44, v49 :: v_dual_add_f32 v5, v5, v20
	v_dual_mul_f32 v20, v47, v51 :: v_dual_fmac_f32 v33, v29, v32
	v_fmac_f32_e32 v21, v27, v22
	v_dual_mul_f32 v27, v62, v55 :: v_dual_fmac_f32 v18, v45, v48
	s_waitcnt lgkmcnt(0)
	v_mul_f32_e32 v34, v64, v57
	s_delay_alu instid0(VALU_DEP_2) | instskip(NEXT) | instid1(VALU_DEP_2)
	v_dual_add_f32 v10, v10, v21 :: v_dual_fmac_f32 v27, v63, v54
	v_fmac_f32_e32 v34, v65, v56
	s_delay_alu instid0(VALU_DEP_2) | instskip(SKIP_2) | instid1(VALU_DEP_3)
	v_add_f32_e32 v10, v10, v33
	v_mul_f32_e32 v69, v41, v37
	v_mul_f32_e32 v37, v43, v39
	v_add_f32_e32 v10, v10, v35
	s_delay_alu instid0(VALU_DEP_3) | instskip(NEXT) | instid1(VALU_DEP_3)
	v_fma_f32 v21, v40, v36, -v69
	v_fma_f32 v22, v42, v38, -v37
	v_dual_mul_f32 v11, v45, v49 :: v_dual_mul_f32 v36, v66, v59
	s_delay_alu instid0(VALU_DEP_3) | instskip(SKIP_1) | instid1(VALU_DEP_3)
	v_dual_add_f32 v10, v10, v24 :: v_dual_add_f32 v5, v5, v21
	v_mul_f32_e32 v21, v46, v51
	v_fma_f32 v11, v44, v48, -v11
	s_delay_alu instid0(VALU_DEP_4) | instskip(NEXT) | instid1(VALU_DEP_4)
	v_fmac_f32_e32 v36, v67, v58
	v_add_f32_e32 v5, v5, v22
	s_delay_alu instid0(VALU_DEP_4) | instskip(SKIP_1) | instid1(VALU_DEP_3)
	v_dual_mul_f32 v22, v61, v53 :: v_dual_fmac_f32 v21, v47, v50
	v_fmac_f32_e32 v19, v43, v38
	v_add_f32_e32 v5, v5, v11
	s_delay_alu instid0(VALU_DEP_2) | instskip(SKIP_1) | instid1(VALU_DEP_2)
	v_dual_mul_f32 v11, v60, v53 :: v_dual_add_f32 v10, v10, v19
	v_fma_f32 v19, v46, v50, -v20
	v_dual_fmac_f32 v11, v61, v52 :: v_dual_add_f32 v10, v10, v18
	v_fma_f32 v18, v60, v52, -v22
	s_delay_alu instid0(VALU_DEP_2) | instskip(NEXT) | instid1(VALU_DEP_1)
	v_add_f32_e32 v10, v10, v21
	v_add_f32_e32 v10, v10, v11
	v_fma_f32 v11, v62, v54, -v26
	v_mul_f32_e32 v26, v65, v57
	s_delay_alu instid0(VALU_DEP_3) | instskip(NEXT) | instid1(VALU_DEP_1)
	v_add_f32_e32 v10, v10, v27
	v_dual_add_f32 v10, v10, v34 :: v_dual_add_f32 v5, v5, v19
	s_delay_alu instid0(VALU_DEP_1)
	v_dual_add_f32 v10, v10, v36 :: v_dual_add_f32 v5, v5, v18
	ds_load_2addr_b64 v[18:21], v14 offset0:192 offset1:208
	ds_load_b128 v[22:25], v15 offset:96
	s_waitcnt lgkmcnt(0)
	v_mul_f32_e32 v34, v23, v19
	v_mul_f32_e32 v19, v22, v19
	s_delay_alu instid0(VALU_DEP_1) | instskip(NEXT) | instid1(VALU_DEP_1)
	v_fmac_f32_e32 v19, v23, v18
	v_add_f32_e32 v10, v10, v19
	v_add_f32_e32 v5, v5, v11
	v_fma_f32 v11, v64, v56, -v26
	ds_load_2addr_b64 v[26:29], v14 offset0:224 offset1:240
	ds_load_b128 v[30:33], v15 offset:112
	v_mul_f32_e32 v35, v67, v59
	s_waitcnt lgkmcnt(0)
	s_barrier
	v_add_f32_e32 v5, v5, v11
	buffer_gl0_inv
	v_fma_f32 v11, v66, v58, -v35
	s_delay_alu instid0(VALU_DEP_1) | instskip(SKIP_3) | instid1(VALU_DEP_3)
	v_add_f32_e32 v5, v5, v11
	v_fma_f32 v11, v22, v18, -v34
	v_mul_f32_e32 v18, v25, v21
	v_mul_f32_e32 v21, v24, v21
	v_add_f32_e32 v5, v5, v11
	s_delay_alu instid0(VALU_DEP_3) | instskip(NEXT) | instid1(VALU_DEP_3)
	v_fma_f32 v11, v24, v20, -v18
	v_dual_mul_f32 v18, v31, v27 :: v_dual_fmac_f32 v21, v25, v20
	v_mul_f32_e32 v19, v30, v27
	s_delay_alu instid0(VALU_DEP_3) | instskip(NEXT) | instid1(VALU_DEP_3)
	v_dual_add_f32 v5, v5, v11 :: v_dual_mul_f32 v20, v32, v29
	v_fma_f32 v11, v30, v26, -v18
	s_delay_alu instid0(VALU_DEP_3) | instskip(SKIP_1) | instid1(VALU_DEP_4)
	v_dual_add_f32 v10, v10, v21 :: v_dual_fmac_f32 v19, v31, v26
	v_mul_f32_e32 v18, v33, v29
	v_fmac_f32_e32 v20, v33, v28
	s_delay_alu instid0(VALU_DEP_4) | instskip(NEXT) | instid1(VALU_DEP_4)
	v_add_f32_e32 v5, v5, v11
	v_add_f32_e32 v10, v10, v19
	s_delay_alu instid0(VALU_DEP_4) | instskip(NEXT) | instid1(VALU_DEP_1)
	v_fma_f32 v11, v32, v28, -v18
	v_dual_add_f32 v18, v10, v20 :: v_dual_add_f32 v19, v5, v11
	s_cbranch_vccnz .LBB1595_9
.LBB1595_3:                             ; =>This Inner Loop Header: Depth=1
	v_add_co_u32 v10, s13, v13, s10
	s_delay_alu instid0(VALU_DEP_1) | instskip(NEXT) | instid1(VALU_DEP_1)
	v_add_co_ci_u32_e64 v11, null, 0, s11, s13
	v_cmp_le_i64_e32 vcc_lo, s[4:5], v[10:11]
	s_or_b32 s13, s12, vcc_lo
	s_delay_alu instid0(SALU_CYCLE_1) | instskip(NEXT) | instid1(SALU_CYCLE_1)
	s_and_saveexec_b32 s14, s13
	s_xor_b32 s13, exec_lo, s14
	s_cbranch_execz .LBB1595_5
; %bb.4:                                ;   in Loop: Header=BB1595_3 Depth=1
	v_mov_b32_e32 v5, v4
	ds_store_b64 v16, v[4:5]
.LBB1595_5:                             ;   in Loop: Header=BB1595_3 Depth=1
	s_and_not1_saveexec_b32 s13, s13
	s_cbranch_execz .LBB1595_7
; %bb.6:                                ;   in Loop: Header=BB1595_3 Depth=1
	global_load_b64 v[10:11], v[6:7], off
	s_waitcnt vmcnt(0)
	ds_store_b64 v16, v[10:11]
.LBB1595_7:                             ;   in Loop: Header=BB1595_3 Depth=1
	s_or_b32 exec_lo, exec_lo, s13
	v_add_co_u32 v10, s13, v12, s10
	s_delay_alu instid0(VALU_DEP_1) | instskip(NEXT) | instid1(VALU_DEP_1)
	v_add_co_ci_u32_e64 v11, null, 0, s11, s13
	v_cmp_gt_i64_e32 vcc_lo, s[4:5], v[10:11]
	v_dual_mov_b32 v10, 0 :: v_dual_mov_b32 v11, 0
	s_and_b32 s14, s2, vcc_lo
	s_delay_alu instid0(SALU_CYCLE_1)
	s_and_saveexec_b32 s13, s14
	s_cbranch_execz .LBB1595_2
; %bb.8:                                ;   in Loop: Header=BB1595_3 Depth=1
	global_load_b64 v[10:11], v[8:9], off offset:-4
	s_branch .LBB1595_2
.LBB1595_9:
	v_cmp_le_i32_e32 vcc_lo, v0, v2
	v_cmp_gt_i32_e64 s0, s3, v2
	s_delay_alu instid0(VALU_DEP_1) | instskip(NEXT) | instid1(SALU_CYCLE_1)
	s_and_b32 s0, vcc_lo, s0
	s_and_saveexec_b32 s1, s0
	s_cbranch_execz .LBB1595_11
; %bb.10:
	v_mul_lo_u32 v5, v2, s19
	v_mul_lo_u32 v6, v3, s18
	v_mad_u64_u32 v[3:4], null, v2, s18, 0
	v_lshlrev_b64 v[0:1], 3, v[0:1]
	s_delay_alu instid0(VALU_DEP_2) | instskip(SKIP_2) | instid1(VALU_DEP_3)
	v_add3_u32 v4, v4, v5, v6
	v_mul_f32_e32 v5, s6, v18
	v_mul_f32_e32 v6, s7, v18
	v_lshlrev_b64 v[2:3], 3, v[3:4]
	s_delay_alu instid0(VALU_DEP_3) | instskip(NEXT) | instid1(VALU_DEP_3)
	v_fmac_f32_e32 v5, s7, v19
	v_fma_f32 v4, v19, s6, -v6
	s_waitcnt lgkmcnt(0)
	s_delay_alu instid0(VALU_DEP_3) | instskip(NEXT) | instid1(VALU_DEP_4)
	v_add_co_u32 v2, vcc_lo, s16, v2
	v_add_co_ci_u32_e32 v3, vcc_lo, s17, v3, vcc_lo
	s_delay_alu instid0(VALU_DEP_2) | instskip(NEXT) | instid1(VALU_DEP_2)
	v_add_co_u32 v0, vcc_lo, v2, v0
	v_add_co_ci_u32_e32 v1, vcc_lo, v3, v1, vcc_lo
	global_store_b64 v[0:1], v[4:5], off
.LBB1595_11:
	s_nop 0
	s_sendmsg sendmsg(MSG_DEALLOC_VGPRS)
	s_endpgm
	.section	.rodata,"a",@progbits
	.p2align	6, 0x0
	.amdhsa_kernel _ZL32rocblas_syrkx_herkx_small_kernelIl19rocblas_complex_numIfELi16ELb1ELb0ELc78ELc85EKPKS1_KPS1_EviT_T0_PT6_S7_lSA_S7_lS8_PT7_S7_li
		.amdhsa_group_segment_fixed_size 4096
		.amdhsa_private_segment_fixed_size 0
		.amdhsa_kernarg_size 108
		.amdhsa_user_sgpr_count 13
		.amdhsa_user_sgpr_dispatch_ptr 0
		.amdhsa_user_sgpr_queue_ptr 0
		.amdhsa_user_sgpr_kernarg_segment_ptr 1
		.amdhsa_user_sgpr_dispatch_id 0
		.amdhsa_user_sgpr_private_segment_size 0
		.amdhsa_wavefront_size32 1
		.amdhsa_uses_dynamic_stack 0
		.amdhsa_enable_private_segment 0
		.amdhsa_system_sgpr_workgroup_id_x 1
		.amdhsa_system_sgpr_workgroup_id_y 1
		.amdhsa_system_sgpr_workgroup_id_z 1
		.amdhsa_system_sgpr_workgroup_info 0
		.amdhsa_system_vgpr_workitem_id 1
		.amdhsa_next_free_vgpr 70
		.amdhsa_next_free_sgpr 22
		.amdhsa_reserve_vcc 1
		.amdhsa_float_round_mode_32 0
		.amdhsa_float_round_mode_16_64 0
		.amdhsa_float_denorm_mode_32 3
		.amdhsa_float_denorm_mode_16_64 3
		.amdhsa_dx10_clamp 1
		.amdhsa_ieee_mode 1
		.amdhsa_fp16_overflow 0
		.amdhsa_workgroup_processor_mode 1
		.amdhsa_memory_ordered 1
		.amdhsa_forward_progress 0
		.amdhsa_shared_vgpr_count 0
		.amdhsa_exception_fp_ieee_invalid_op 0
		.amdhsa_exception_fp_denorm_src 0
		.amdhsa_exception_fp_ieee_div_zero 0
		.amdhsa_exception_fp_ieee_overflow 0
		.amdhsa_exception_fp_ieee_underflow 0
		.amdhsa_exception_fp_ieee_inexact 0
		.amdhsa_exception_int_div_zero 0
	.end_amdhsa_kernel
	.section	.text._ZL32rocblas_syrkx_herkx_small_kernelIl19rocblas_complex_numIfELi16ELb1ELb0ELc78ELc85EKPKS1_KPS1_EviT_T0_PT6_S7_lSA_S7_lS8_PT7_S7_li,"axG",@progbits,_ZL32rocblas_syrkx_herkx_small_kernelIl19rocblas_complex_numIfELi16ELb1ELb0ELc78ELc85EKPKS1_KPS1_EviT_T0_PT6_S7_lSA_S7_lS8_PT7_S7_li,comdat
.Lfunc_end1595:
	.size	_ZL32rocblas_syrkx_herkx_small_kernelIl19rocblas_complex_numIfELi16ELb1ELb0ELc78ELc85EKPKS1_KPS1_EviT_T0_PT6_S7_lSA_S7_lS8_PT7_S7_li, .Lfunc_end1595-_ZL32rocblas_syrkx_herkx_small_kernelIl19rocblas_complex_numIfELi16ELb1ELb0ELc78ELc85EKPKS1_KPS1_EviT_T0_PT6_S7_lSA_S7_lS8_PT7_S7_li
                                        ; -- End function
	.section	.AMDGPU.csdata,"",@progbits
; Kernel info:
; codeLenInByte = 1516
; NumSgprs: 24
; NumVgprs: 70
; ScratchSize: 0
; MemoryBound: 1
; FloatMode: 240
; IeeeMode: 1
; LDSByteSize: 4096 bytes/workgroup (compile time only)
; SGPRBlocks: 2
; VGPRBlocks: 8
; NumSGPRsForWavesPerEU: 24
; NumVGPRsForWavesPerEU: 70
; Occupancy: 16
; WaveLimiterHint : 1
; COMPUTE_PGM_RSRC2:SCRATCH_EN: 0
; COMPUTE_PGM_RSRC2:USER_SGPR: 13
; COMPUTE_PGM_RSRC2:TRAP_HANDLER: 0
; COMPUTE_PGM_RSRC2:TGID_X_EN: 1
; COMPUTE_PGM_RSRC2:TGID_Y_EN: 1
; COMPUTE_PGM_RSRC2:TGID_Z_EN: 1
; COMPUTE_PGM_RSRC2:TIDIG_COMP_CNT: 1
	.section	.text._ZL32rocblas_syrkx_herkx_small_kernelIl19rocblas_complex_numIfELi16ELb0ELb0ELc84ELc76EKPKS1_KPS1_EviT_T0_PT6_S7_lSA_S7_lS8_PT7_S7_li,"axG",@progbits,_ZL32rocblas_syrkx_herkx_small_kernelIl19rocblas_complex_numIfELi16ELb0ELb0ELc84ELc76EKPKS1_KPS1_EviT_T0_PT6_S7_lSA_S7_lS8_PT7_S7_li,comdat
	.globl	_ZL32rocblas_syrkx_herkx_small_kernelIl19rocblas_complex_numIfELi16ELb0ELb0ELc84ELc76EKPKS1_KPS1_EviT_T0_PT6_S7_lSA_S7_lS8_PT7_S7_li ; -- Begin function _ZL32rocblas_syrkx_herkx_small_kernelIl19rocblas_complex_numIfELi16ELb0ELb0ELc84ELc76EKPKS1_KPS1_EviT_T0_PT6_S7_lSA_S7_lS8_PT7_S7_li
	.p2align	8
	.type	_ZL32rocblas_syrkx_herkx_small_kernelIl19rocblas_complex_numIfELi16ELb0ELb0ELc84ELc76EKPKS1_KPS1_EviT_T0_PT6_S7_lSA_S7_lS8_PT7_S7_li,@function
_ZL32rocblas_syrkx_herkx_small_kernelIl19rocblas_complex_numIfELi16ELb0ELb0ELc84ELc76EKPKS1_KPS1_EviT_T0_PT6_S7_lSA_S7_lS8_PT7_S7_li: ; @_ZL32rocblas_syrkx_herkx_small_kernelIl19rocblas_complex_numIfELi16ELb0ELb0ELc84ELc76EKPKS1_KPS1_EviT_T0_PT6_S7_lSA_S7_lS8_PT7_S7_li
; %bb.0:
	s_clause 0x2
	s_load_b128 s[16:19], s[0:1], 0x48
	s_load_b256 s[4:11], s[0:1], 0x8
	s_load_b32 s3, s[0:1], 0x0
	s_mov_b32 s20, s15
	s_mov_b32 s21, 0
	v_dual_mov_b32 v17, 0 :: v_dual_and_b32 v10, 0x3ff, v0
	s_lshl_b64 s[22:23], s[20:21], 3
	v_bfe_u32 v11, v0, 10, 10
	v_mov_b32_e32 v16, 0
	s_delay_alu instid0(VALU_DEP_3) | instskip(NEXT) | instid1(VALU_DEP_3)
	v_lshl_add_u32 v0, s13, 4, v10
	v_lshl_add_u32 v8, s14, 4, v11
	s_delay_alu instid0(VALU_DEP_2) | instskip(NEXT) | instid1(VALU_DEP_2)
	v_ashrrev_i32_e32 v1, 31, v0
	v_ashrrev_i32_e32 v9, 31, v8
	s_waitcnt lgkmcnt(0)
	s_add_u32 s18, s18, s22
	s_addc_u32 s19, s19, s23
	s_load_b64 s[20:21], s[0:1], 0x58
	s_load_b64 s[18:19], s[18:19], 0x0
	v_cmp_lt_i64_e64 s2, s[4:5], 1
	s_delay_alu instid0(VALU_DEP_1)
	s_and_b32 vcc_lo, exec_lo, s2
	v_cmp_gt_i32_e64 s2, s3, v0
	s_cbranch_vccnz .LBB1596_11
; %bb.1:
	s_load_b128 s[12:15], s[0:1], 0x30
	v_mul_lo_u32 v14, s11, v0
	v_mul_lo_u32 v15, s10, v1
	v_mad_u64_u32 v[5:6], null, s10, v0, 0
	v_lshlrev_b32_e32 v12, 3, v10
	v_dual_mov_b32 v2, 0 :: v_dual_lshlrev_b32 v7, 7, v11
	v_lshlrev_b32_e32 v17, 3, v11
	v_cmp_gt_i32_e32 vcc_lo, s3, v8
	v_add3_u32 v6, v6, v15, v14
	s_delay_alu instid0(VALU_DEP_4) | instskip(NEXT) | instid1(VALU_DEP_2)
	v_add_nc_u32_e32 v14, v12, v7
	v_lshlrev_b64 v[5:6], 3, v[5:6]
	s_waitcnt lgkmcnt(0)
	v_mul_lo_u32 v13, s15, v8
	v_mul_lo_u32 v16, s14, v9
	v_mad_u64_u32 v[3:4], null, s14, v8, 0
	s_add_u32 s0, s12, s22
	s_addc_u32 s1, s13, s23
	s_add_u32 s8, s8, s22
	s_load_b64 s[10:11], s[0:1], 0x0
	s_addc_u32 s9, s9, s23
	s_xor_b32 s2, s2, -1
	s_delay_alu instid0(VALU_DEP_1) | instskip(SKIP_3) | instid1(VALU_DEP_3)
	v_add3_u32 v4, v4, v16, v13
	v_mov_b32_e32 v16, 0
	s_load_b64 s[8:9], s[8:9], 0x0
	v_add_nc_u32_e32 v13, 0x800, v7
	v_lshlrev_b64 v[3:4], 3, v[3:4]
	s_delay_alu instid0(VALU_DEP_1) | instskip(NEXT) | instid1(VALU_DEP_1)
	v_add_co_u32 v3, s0, v3, v12
	v_add_co_ci_u32_e64 v7, s0, 0, v4, s0
	v_add_co_u32 v17, s0, v5, v17
	s_delay_alu instid0(VALU_DEP_1) | instskip(SKIP_2) | instid1(VALU_DEP_1)
	v_add_co_ci_u32_e64 v18, s0, 0, v6, s0
	s_waitcnt lgkmcnt(0)
	v_add_co_u32 v4, s0, s10, v3
	v_add_co_ci_u32_e64 v5, s0, s11, v7, s0
	v_add_co_u32 v6, s0, s8, v17
	s_delay_alu instid0(VALU_DEP_1)
	v_add_co_ci_u32_e64 v7, s0, s9, v18, s0
	v_mov_b32_e32 v17, 0
	v_add_nc_u32_e32 v15, v13, v12
	s_mov_b64 s[0:1], 0
	s_xor_b32 s8, vcc_lo, -1
	s_branch .LBB1596_3
.LBB1596_2:                             ;   in Loop: Header=BB1596_3 Depth=1
	s_or_b32 exec_lo, exec_lo, s9
	s_waitcnt lgkmcnt(0)
	s_barrier
	buffer_gl0_inv
	ds_load_2addr_b64 v[18:21], v12 offset1:16
	ds_load_b128 v[22:25], v13
	ds_load_b128 v[26:29], v13 offset:16
	ds_load_2addr_b64 v[30:33], v12 offset0:32 offset1:48
	ds_load_2addr_b64 v[34:37], v12 offset0:64 offset1:80
	ds_load_b128 v[38:41], v13 offset:32
	ds_load_b128 v[42:45], v13 offset:48
	ds_load_2addr_b64 v[46:49], v12 offset0:96 offset1:112
	ds_load_2addr_b64 v[50:53], v12 offset0:128 offset1:144
	;; [unrolled: 1-line block ×3, first 2 shown]
	ds_load_b128 v[58:61], v13 offset:64
	ds_load_b128 v[62:65], v13 offset:80
	s_add_u32 s0, s0, 16
	s_addc_u32 s1, s1, 0
	v_add_co_u32 v4, vcc_lo, 0x80, v4
	v_cmp_ge_i64_e64 s9, s[0:1], s[4:5]
	v_add_co_ci_u32_e32 v5, vcc_lo, 0, v5, vcc_lo
	v_add_co_u32 v6, vcc_lo, 0x80, v6
	s_waitcnt lgkmcnt(10)
	v_dual_mul_f32 v3, v23, v19 :: v_dual_mul_f32 v66, v25, v21
	s_waitcnt lgkmcnt(8)
	v_dual_mul_f32 v19, v22, v19 :: v_dual_mul_f32 v68, v29, v33
	v_mul_f32_e32 v21, v24, v21
	v_mul_f32_e32 v67, v27, v31
	;; [unrolled: 1-line block ×3, first 2 shown]
	s_delay_alu instid0(VALU_DEP_4)
	v_fmac_f32_e32 v19, v23, v18
	v_fma_f32 v3, v22, v18, -v3
	s_waitcnt lgkmcnt(6)
	v_dual_fmac_f32 v21, v25, v20 :: v_dual_mul_f32 v18, v40, v37
	v_mul_f32_e32 v33, v28, v33
	v_add_f32_e32 v16, v16, v19
	v_mul_f32_e32 v69, v39, v35
	v_fmac_f32_e32 v31, v27, v30
	v_fma_f32 v23, v24, v20, -v66
	v_fmac_f32_e32 v18, v41, v36
	v_dual_add_f32 v16, v16, v21 :: v_dual_fmac_f32 v33, v29, v32
	s_waitcnt lgkmcnt(1)
	v_mul_f32_e32 v24, v58, v51
	v_mul_f32_e32 v20, v42, v47
	v_add_f32_e32 v3, v17, v3
	v_add_f32_e32 v16, v16, v31
	v_mul_f32_e32 v35, v38, v35
	v_fma_f32 v21, v28, v32, -v68
	s_waitcnt lgkmcnt(0)
	v_mul_f32_e32 v32, v62, v55
	v_mul_f32_e32 v22, v41, v37
	v_dual_add_f32 v16, v16, v33 :: v_dual_fmac_f32 v35, v39, v34
	v_fma_f32 v19, v26, v30, -v67
	v_dual_fmac_f32 v20, v43, v46 :: v_dual_mul_f32 v27, v60, v53
	s_delay_alu instid0(VALU_DEP_4) | instskip(NEXT) | instid1(VALU_DEP_4)
	v_fma_f32 v22, v40, v36, -v22
	v_add_f32_e32 v16, v16, v35
	v_mul_f32_e32 v17, v43, v47
	v_add_co_ci_u32_e32 v7, vcc_lo, 0, v7, vcc_lo
	v_fmac_f32_e32 v24, v59, v50
	s_delay_alu instid0(VALU_DEP_4) | instskip(SKIP_3) | instid1(VALU_DEP_4)
	v_dual_add_f32 v16, v16, v18 :: v_dual_add_f32 v3, v3, v23
	v_mul_f32_e32 v26, v61, v53
	v_fma_f32 v23, v38, v34, -v69
	v_fmac_f32_e32 v27, v61, v52
	v_dual_add_f32 v20, v16, v20 :: v_dual_add_f32 v3, v3, v19
	v_mul_f32_e32 v19, v45, v49
	v_fma_f32 v17, v42, v46, -v17
	v_fmac_f32_e32 v32, v63, v54
	s_and_b32 vcc_lo, exec_lo, s9
	v_add_f32_e32 v3, v3, v21
	v_mul_f32_e32 v21, v44, v49
	s_delay_alu instid0(VALU_DEP_1) | instskip(NEXT) | instid1(VALU_DEP_1)
	v_dual_mul_f32 v36, v64, v57 :: v_dual_fmac_f32 v21, v45, v48
	v_dual_fmac_f32 v36, v65, v56 :: v_dual_add_f32 v25, v20, v21
	s_delay_alu instid0(VALU_DEP_1) | instskip(SKIP_2) | instid1(VALU_DEP_3)
	v_dual_add_f32 v24, v25, v24 :: v_dual_add_f32 v3, v3, v23
	v_fma_f32 v25, v60, v52, -v26
	v_mul_f32_e32 v26, v63, v55
	v_add_f32_e32 v33, v24, v27
	s_delay_alu instid0(VALU_DEP_4) | instskip(SKIP_3) | instid1(VALU_DEP_4)
	v_add_f32_e32 v3, v3, v22
	v_mul_f32_e32 v23, v59, v51
	v_fma_f32 v22, v44, v48, -v19
	v_fma_f32 v34, v62, v54, -v26
	v_dual_add_f32 v32, v33, v32 :: v_dual_add_f32 v3, v3, v17
	ds_load_2addr_b64 v[16:19], v12 offset0:192 offset1:208
	v_fma_f32 v23, v58, v50, -v23
	v_dual_add_f32 v32, v32, v36 :: v_dual_add_f32 v3, v3, v22
	s_delay_alu instid0(VALU_DEP_1)
	v_add_f32_e32 v3, v3, v23
	ds_load_b128 v[20:23], v13 offset:96
	v_add_f32_e32 v3, v3, v25
	ds_load_2addr_b64 v[24:27], v12 offset0:224 offset1:240
	ds_load_b128 v[28:31], v13 offset:112
	v_mul_f32_e32 v35, v65, v57
	s_waitcnt lgkmcnt(0)
	s_barrier
	v_add_f32_e32 v3, v3, v34
	buffer_gl0_inv
	v_fma_f32 v33, v64, v56, -v35
	s_delay_alu instid0(VALU_DEP_1) | instskip(SKIP_2) | instid1(VALU_DEP_2)
	v_add_f32_e32 v3, v3, v33
	v_mul_f32_e32 v34, v21, v17
	v_mul_f32_e32 v17, v20, v17
	v_fma_f32 v20, v20, v16, -v34
	s_delay_alu instid0(VALU_DEP_2) | instskip(SKIP_1) | instid1(VALU_DEP_3)
	v_dual_fmac_f32 v17, v21, v16 :: v_dual_mul_f32 v16, v23, v19
	v_mul_f32_e32 v19, v22, v19
	v_add_f32_e32 v3, v3, v20
	s_delay_alu instid0(VALU_DEP_3) | instskip(NEXT) | instid1(VALU_DEP_4)
	v_add_f32_e32 v17, v32, v17
	v_fma_f32 v16, v22, v18, -v16
	s_delay_alu instid0(VALU_DEP_4) | instskip(NEXT) | instid1(VALU_DEP_2)
	v_dual_fmac_f32 v19, v23, v18 :: v_dual_mul_f32 v18, v29, v25
	v_dual_mul_f32 v20, v28, v25 :: v_dual_add_f32 v3, v3, v16
	s_delay_alu instid0(VALU_DEP_2) | instskip(NEXT) | instid1(VALU_DEP_3)
	v_add_f32_e32 v16, v17, v19
	v_fma_f32 v17, v28, v24, -v18
	s_delay_alu instid0(VALU_DEP_3) | instskip(SKIP_2) | instid1(VALU_DEP_3)
	v_fmac_f32_e32 v20, v29, v24
	v_mul_f32_e32 v18, v31, v27
	v_mul_f32_e32 v19, v30, v27
	v_dual_add_f32 v3, v3, v17 :: v_dual_add_f32 v16, v16, v20
	s_delay_alu instid0(VALU_DEP_3) | instskip(NEXT) | instid1(VALU_DEP_3)
	v_fma_f32 v17, v30, v26, -v18
	v_fmac_f32_e32 v19, v31, v26
	s_delay_alu instid0(VALU_DEP_1)
	v_dual_add_f32 v17, v3, v17 :: v_dual_add_f32 v16, v16, v19
	s_cbranch_vccnz .LBB1596_11
.LBB1596_3:                             ; =>This Inner Loop Header: Depth=1
	v_add_co_u32 v18, s9, v11, s0
	s_delay_alu instid0(VALU_DEP_1) | instskip(NEXT) | instid1(VALU_DEP_1)
	v_add_co_ci_u32_e64 v19, null, 0, s1, s9
	v_cmp_le_i64_e32 vcc_lo, s[4:5], v[18:19]
	s_or_b32 s9, s2, vcc_lo
	s_delay_alu instid0(SALU_CYCLE_1) | instskip(NEXT) | instid1(SALU_CYCLE_1)
	s_and_saveexec_b32 s10, s9
	s_xor_b32 s9, exec_lo, s10
	s_cbranch_execz .LBB1596_5
; %bb.4:                                ;   in Loop: Header=BB1596_3 Depth=1
	v_mov_b32_e32 v3, v2
	ds_store_b64 v14, v[2:3]
.LBB1596_5:                             ;   in Loop: Header=BB1596_3 Depth=1
	s_and_not1_saveexec_b32 s9, s9
	s_cbranch_execz .LBB1596_7
; %bb.6:                                ;   in Loop: Header=BB1596_3 Depth=1
	global_load_b64 v[18:19], v[6:7], off
	s_waitcnt vmcnt(0)
	ds_store_b64 v14, v[18:19]
.LBB1596_7:                             ;   in Loop: Header=BB1596_3 Depth=1
	s_or_b32 exec_lo, exec_lo, s9
	v_add_co_u32 v18, s9, v10, s0
	s_delay_alu instid0(VALU_DEP_1) | instskip(NEXT) | instid1(VALU_DEP_1)
	v_add_co_ci_u32_e64 v19, null, 0, s1, s9
	v_cmp_le_i64_e32 vcc_lo, s[4:5], v[18:19]
	s_or_b32 s9, s8, vcc_lo
	s_delay_alu instid0(SALU_CYCLE_1) | instskip(NEXT) | instid1(SALU_CYCLE_1)
	s_and_saveexec_b32 s10, s9
	s_xor_b32 s9, exec_lo, s10
	s_cbranch_execz .LBB1596_9
; %bb.8:                                ;   in Loop: Header=BB1596_3 Depth=1
	v_mov_b32_e32 v3, v2
	ds_store_b64 v15, v[2:3]
.LBB1596_9:                             ;   in Loop: Header=BB1596_3 Depth=1
	s_and_not1_saveexec_b32 s9, s9
	s_cbranch_execz .LBB1596_2
; %bb.10:                               ;   in Loop: Header=BB1596_3 Depth=1
	global_load_b64 v[18:19], v[4:5], off
	s_waitcnt vmcnt(0)
	ds_store_b64 v15, v[18:19]
	s_branch .LBB1596_2
.LBB1596_11:
	v_cmp_le_i32_e32 vcc_lo, v8, v0
	v_cmp_gt_i32_e64 s0, s3, v0
	s_delay_alu instid0(VALU_DEP_1) | instskip(NEXT) | instid1(SALU_CYCLE_1)
	s_and_b32 s0, vcc_lo, s0
	s_and_saveexec_b32 s1, s0
	s_cbranch_execz .LBB1596_13
; %bb.12:
	s_waitcnt lgkmcnt(0)
	v_mul_lo_u32 v4, v8, s21
	v_mul_lo_u32 v5, v9, s20
	v_mad_u64_u32 v[2:3], null, v8, s20, 0
	v_lshlrev_b64 v[0:1], 3, v[0:1]
	s_delay_alu instid0(VALU_DEP_2) | instskip(NEXT) | instid1(VALU_DEP_1)
	v_add3_u32 v3, v3, v4, v5
	v_lshlrev_b64 v[2:3], 3, v[2:3]
	s_delay_alu instid0(VALU_DEP_1) | instskip(NEXT) | instid1(VALU_DEP_2)
	v_add_co_u32 v2, vcc_lo, s18, v2
	v_add_co_ci_u32_e32 v3, vcc_lo, s19, v3, vcc_lo
	s_delay_alu instid0(VALU_DEP_2) | instskip(NEXT) | instid1(VALU_DEP_2)
	v_add_co_u32 v0, vcc_lo, v2, v0
	v_add_co_ci_u32_e32 v1, vcc_lo, v3, v1, vcc_lo
	global_load_b64 v[2:3], v[0:1], off
	v_mul_f32_e32 v4, s7, v16
	s_waitcnt vmcnt(0)
	v_dual_mul_f32 v5, s6, v16 :: v_dual_mul_f32 v6, s17, v3
	v_mul_f32_e32 v3, s16, v3
	s_delay_alu instid0(VALU_DEP_3) | instskip(NEXT) | instid1(VALU_DEP_3)
	v_fma_f32 v4, v17, s6, -v4
	v_fma_f32 v6, v2, s16, -v6
	s_delay_alu instid0(VALU_DEP_4) | instskip(NEXT) | instid1(VALU_DEP_4)
	v_fmac_f32_e32 v5, s7, v17
	v_fmac_f32_e32 v3, s17, v2
	s_delay_alu instid0(VALU_DEP_1)
	v_dual_add_f32 v2, v4, v6 :: v_dual_add_f32 v3, v5, v3
	global_store_b64 v[0:1], v[2:3], off
.LBB1596_13:
	s_nop 0
	s_sendmsg sendmsg(MSG_DEALLOC_VGPRS)
	s_endpgm
	.section	.rodata,"a",@progbits
	.p2align	6, 0x0
	.amdhsa_kernel _ZL32rocblas_syrkx_herkx_small_kernelIl19rocblas_complex_numIfELi16ELb0ELb0ELc84ELc76EKPKS1_KPS1_EviT_T0_PT6_S7_lSA_S7_lS8_PT7_S7_li
		.amdhsa_group_segment_fixed_size 4096
		.amdhsa_private_segment_fixed_size 0
		.amdhsa_kernarg_size 108
		.amdhsa_user_sgpr_count 13
		.amdhsa_user_sgpr_dispatch_ptr 0
		.amdhsa_user_sgpr_queue_ptr 0
		.amdhsa_user_sgpr_kernarg_segment_ptr 1
		.amdhsa_user_sgpr_dispatch_id 0
		.amdhsa_user_sgpr_private_segment_size 0
		.amdhsa_wavefront_size32 1
		.amdhsa_uses_dynamic_stack 0
		.amdhsa_enable_private_segment 0
		.amdhsa_system_sgpr_workgroup_id_x 1
		.amdhsa_system_sgpr_workgroup_id_y 1
		.amdhsa_system_sgpr_workgroup_id_z 1
		.amdhsa_system_sgpr_workgroup_info 0
		.amdhsa_system_vgpr_workitem_id 1
		.amdhsa_next_free_vgpr 70
		.amdhsa_next_free_sgpr 24
		.amdhsa_reserve_vcc 1
		.amdhsa_float_round_mode_32 0
		.amdhsa_float_round_mode_16_64 0
		.amdhsa_float_denorm_mode_32 3
		.amdhsa_float_denorm_mode_16_64 3
		.amdhsa_dx10_clamp 1
		.amdhsa_ieee_mode 1
		.amdhsa_fp16_overflow 0
		.amdhsa_workgroup_processor_mode 1
		.amdhsa_memory_ordered 1
		.amdhsa_forward_progress 0
		.amdhsa_shared_vgpr_count 0
		.amdhsa_exception_fp_ieee_invalid_op 0
		.amdhsa_exception_fp_denorm_src 0
		.amdhsa_exception_fp_ieee_div_zero 0
		.amdhsa_exception_fp_ieee_overflow 0
		.amdhsa_exception_fp_ieee_underflow 0
		.amdhsa_exception_fp_ieee_inexact 0
		.amdhsa_exception_int_div_zero 0
	.end_amdhsa_kernel
	.section	.text._ZL32rocblas_syrkx_herkx_small_kernelIl19rocblas_complex_numIfELi16ELb0ELb0ELc84ELc76EKPKS1_KPS1_EviT_T0_PT6_S7_lSA_S7_lS8_PT7_S7_li,"axG",@progbits,_ZL32rocblas_syrkx_herkx_small_kernelIl19rocblas_complex_numIfELi16ELb0ELb0ELc84ELc76EKPKS1_KPS1_EviT_T0_PT6_S7_lSA_S7_lS8_PT7_S7_li,comdat
.Lfunc_end1596:
	.size	_ZL32rocblas_syrkx_herkx_small_kernelIl19rocblas_complex_numIfELi16ELb0ELb0ELc84ELc76EKPKS1_KPS1_EviT_T0_PT6_S7_lSA_S7_lS8_PT7_S7_li, .Lfunc_end1596-_ZL32rocblas_syrkx_herkx_small_kernelIl19rocblas_complex_numIfELi16ELb0ELb0ELc84ELc76EKPKS1_KPS1_EviT_T0_PT6_S7_lSA_S7_lS8_PT7_S7_li
                                        ; -- End function
	.section	.AMDGPU.csdata,"",@progbits
; Kernel info:
; codeLenInByte = 1556
; NumSgprs: 26
; NumVgprs: 70
; ScratchSize: 0
; MemoryBound: 1
; FloatMode: 240
; IeeeMode: 1
; LDSByteSize: 4096 bytes/workgroup (compile time only)
; SGPRBlocks: 3
; VGPRBlocks: 8
; NumSGPRsForWavesPerEU: 26
; NumVGPRsForWavesPerEU: 70
; Occupancy: 16
; WaveLimiterHint : 1
; COMPUTE_PGM_RSRC2:SCRATCH_EN: 0
; COMPUTE_PGM_RSRC2:USER_SGPR: 13
; COMPUTE_PGM_RSRC2:TRAP_HANDLER: 0
; COMPUTE_PGM_RSRC2:TGID_X_EN: 1
; COMPUTE_PGM_RSRC2:TGID_Y_EN: 1
; COMPUTE_PGM_RSRC2:TGID_Z_EN: 1
; COMPUTE_PGM_RSRC2:TIDIG_COMP_CNT: 1
	.section	.text._ZL32rocblas_syrkx_herkx_small_kernelIl19rocblas_complex_numIfELi16ELb0ELb0ELc67ELc76EKPKS1_KPS1_EviT_T0_PT6_S7_lSA_S7_lS8_PT7_S7_li,"axG",@progbits,_ZL32rocblas_syrkx_herkx_small_kernelIl19rocblas_complex_numIfELi16ELb0ELb0ELc67ELc76EKPKS1_KPS1_EviT_T0_PT6_S7_lSA_S7_lS8_PT7_S7_li,comdat
	.globl	_ZL32rocblas_syrkx_herkx_small_kernelIl19rocblas_complex_numIfELi16ELb0ELb0ELc67ELc76EKPKS1_KPS1_EviT_T0_PT6_S7_lSA_S7_lS8_PT7_S7_li ; -- Begin function _ZL32rocblas_syrkx_herkx_small_kernelIl19rocblas_complex_numIfELi16ELb0ELb0ELc67ELc76EKPKS1_KPS1_EviT_T0_PT6_S7_lSA_S7_lS8_PT7_S7_li
	.p2align	8
	.type	_ZL32rocblas_syrkx_herkx_small_kernelIl19rocblas_complex_numIfELi16ELb0ELb0ELc67ELc76EKPKS1_KPS1_EviT_T0_PT6_S7_lSA_S7_lS8_PT7_S7_li,@function
_ZL32rocblas_syrkx_herkx_small_kernelIl19rocblas_complex_numIfELi16ELb0ELb0ELc67ELc76EKPKS1_KPS1_EviT_T0_PT6_S7_lSA_S7_lS8_PT7_S7_li: ; @_ZL32rocblas_syrkx_herkx_small_kernelIl19rocblas_complex_numIfELi16ELb0ELb0ELc67ELc76EKPKS1_KPS1_EviT_T0_PT6_S7_lSA_S7_lS8_PT7_S7_li
; %bb.0:
	s_clause 0x2
	s_load_b128 s[16:19], s[0:1], 0x48
	s_load_b256 s[4:11], s[0:1], 0x8
	s_load_b32 s3, s[0:1], 0x0
	s_mov_b32 s20, s15
	s_mov_b32 s21, 0
	v_dual_mov_b32 v19, 0 :: v_dual_and_b32 v12, 0x3ff, v0
	s_lshl_b64 s[22:23], s[20:21], 3
	v_bfe_u32 v13, v0, 10, 10
	v_mov_b32_e32 v18, 0
	s_delay_alu instid0(VALU_DEP_3) | instskip(NEXT) | instid1(VALU_DEP_3)
	v_lshl_add_u32 v0, s13, 4, v12
	v_lshl_add_u32 v10, s14, 4, v13
	s_delay_alu instid0(VALU_DEP_2) | instskip(NEXT) | instid1(VALU_DEP_2)
	v_ashrrev_i32_e32 v1, 31, v0
	v_ashrrev_i32_e32 v11, 31, v10
	s_waitcnt lgkmcnt(0)
	s_add_u32 s18, s18, s22
	s_addc_u32 s19, s19, s23
	s_load_b64 s[20:21], s[0:1], 0x58
	s_load_b64 s[18:19], s[18:19], 0x0
	v_cmp_lt_i64_e64 s2, s[4:5], 1
	s_delay_alu instid0(VALU_DEP_1)
	s_and_b32 vcc_lo, exec_lo, s2
	v_cmp_gt_i32_e64 s2, s3, v0
	s_cbranch_vccnz .LBB1597_9
; %bb.1:
	s_load_b128 s[12:15], s[0:1], 0x30
	v_mul_lo_u32 v8, s11, v0
	v_mul_lo_u32 v9, s10, v1
	v_mad_u64_u32 v[3:4], null, s10, v0, 0
	v_dual_mov_b32 v19, 0 :: v_dual_lshlrev_b32 v14, 3, v12
	v_dual_mov_b32 v2, 0 :: v_dual_lshlrev_b32 v7, 7, v13
	v_cmp_gt_i32_e32 vcc_lo, s3, v10
	v_mov_b32_e32 v18, 0
	v_add3_u32 v4, v4, v9, v8
	v_lshlrev_b32_e32 v8, 3, v13
	v_add_nc_u32_e32 v15, 0x800, v7
	s_delay_alu instid0(VALU_DEP_3)
	v_lshlrev_b64 v[3:4], 3, v[3:4]
	s_waitcnt lgkmcnt(0)
	s_add_u32 s0, s12, s22
	s_addc_u32 s1, s13, s23
	s_add_u32 s8, s8, s22
	v_mul_lo_u32 v16, s15, v10
	v_mul_lo_u32 v17, s14, v11
	v_mad_u64_u32 v[5:6], null, s14, v10, 0
	s_addc_u32 s9, s9, s23
	s_load_b64 s[10:11], s[0:1], 0x0
	s_load_b64 s[8:9], s[8:9], 0x0
	v_add_co_u32 v3, s0, v3, v8
	s_delay_alu instid0(VALU_DEP_1) | instskip(NEXT) | instid1(VALU_DEP_3)
	v_add_co_ci_u32_e64 v4, s0, 0, v4, s0
	v_add3_u32 v6, v6, v17, v16
	v_add_nc_u32_e32 v16, v14, v7
	v_add_nc_u32_e32 v17, v15, v14
	s_delay_alu instid0(VALU_DEP_3) | instskip(NEXT) | instid1(VALU_DEP_1)
	v_lshlrev_b64 v[5:6], 3, v[5:6]
	v_add_co_u32 v5, s0, v5, v14
	s_delay_alu instid0(VALU_DEP_1) | instskip(SKIP_2) | instid1(VALU_DEP_1)
	v_add_co_ci_u32_e64 v6, s0, 0, v6, s0
	s_waitcnt lgkmcnt(0)
	v_add_co_u32 v3, s0, v3, s8
	v_add_co_ci_u32_e64 v7, s0, s9, v4, s0
	v_add_co_u32 v4, s0, s10, v5
	s_delay_alu instid0(VALU_DEP_1) | instskip(NEXT) | instid1(VALU_DEP_4)
	v_add_co_ci_u32_e64 v5, s0, s11, v6, s0
	v_add_co_u32 v6, s0, v3, 4
	s_delay_alu instid0(VALU_DEP_1)
	v_add_co_ci_u32_e64 v7, s0, 0, v7, s0
	s_mov_b64 s[0:1], 0
	s_xor_b32 s8, vcc_lo, -1
	s_branch .LBB1597_3
.LBB1597_2:                             ;   in Loop: Header=BB1597_3 Depth=1
	s_or_b32 exec_lo, exec_lo, s9
	s_waitcnt lgkmcnt(0)
	s_barrier
	buffer_gl0_inv
	ds_load_2addr_b64 v[20:23], v14 offset1:16
	ds_load_b128 v[24:27], v15
	ds_load_b128 v[28:31], v15 offset:16
	ds_load_2addr_b64 v[32:35], v14 offset0:32 offset1:48
	ds_load_2addr_b64 v[36:39], v14 offset0:64 offset1:80
	ds_load_b128 v[40:43], v15 offset:32
	ds_load_b128 v[44:47], v15 offset:48
	ds_load_2addr_b64 v[48:51], v14 offset0:96 offset1:112
	ds_load_2addr_b64 v[52:55], v14 offset0:128 offset1:144
	;; [unrolled: 1-line block ×3, first 2 shown]
	ds_load_b128 v[60:63], v15 offset:64
	ds_load_b128 v[64:67], v15 offset:80
	s_add_u32 s0, s0, 16
	s_addc_u32 s1, s1, 0
	v_add_co_u32 v4, vcc_lo, 0x80, v4
	v_cmp_ge_i64_e64 s9, s[0:1], s[4:5]
	v_add_co_ci_u32_e32 v5, vcc_lo, 0, v5, vcc_lo
	v_add_co_u32 v6, vcc_lo, 0x80, v6
	s_waitcnt lgkmcnt(10)
	v_mul_f32_e32 v3, v25, v21
	v_dual_mul_f32 v8, v24, v21 :: v_dual_mul_f32 v9, v27, v23
	v_mul_f32_e32 v21, v26, v23
	s_waitcnt lgkmcnt(8)
	v_mul_f32_e32 v23, v29, v33
	v_dual_mul_f32 v33, v28, v33 :: v_dual_mul_f32 v68, v31, v35
	v_fma_f32 v3, v24, v20, -v3
	v_fmac_f32_e32 v8, v25, v20
	s_waitcnt lgkmcnt(6)
	v_dual_mul_f32 v20, v42, v39 :: v_dual_mul_f32 v69, v41, v37
	v_mul_f32_e32 v37, v40, v37
	v_mul_f32_e32 v35, v30, v35
	v_add_f32_e32 v8, v18, v8
	s_waitcnt lgkmcnt(4)
	v_mul_f32_e32 v18, v45, v49
	v_dual_fmac_f32 v20, v43, v38 :: v_dual_fmac_f32 v37, v41, v36
	v_fmac_f32_e32 v33, v29, v32
	v_fmac_f32_e32 v21, v27, v22
	v_add_f32_e32 v3, v19, v3
	v_fma_f32 v9, v26, v22, -v9
	v_fmac_f32_e32 v35, v31, v34
	v_mul_f32_e32 v24, v43, v39
	v_add_f32_e32 v8, v8, v21
	v_fma_f32 v19, v28, v32, -v23
	s_waitcnt lgkmcnt(1)
	v_mul_f32_e32 v26, v60, v53
	v_fma_f32 v21, v30, v34, -v68
	v_fma_f32 v22, v40, v36, -v69
	v_add_f32_e32 v8, v8, v33
	v_add_f32_e32 v3, v3, v9
	v_dual_mul_f32 v9, v44, v49 :: v_dual_fmac_f32 v26, v61, v52
	v_mul_f32_e32 v23, v46, v51
	s_delay_alu instid0(VALU_DEP_4) | instskip(NEXT) | instid1(VALU_DEP_4)
	v_add_f32_e32 v8, v8, v35
	v_add_f32_e32 v3, v3, v19
	v_mul_f32_e32 v19, v47, v51
	v_fmac_f32_e32 v9, v45, v48
	s_waitcnt lgkmcnt(0)
	v_dual_fmac_f32 v23, v47, v50 :: v_dual_mul_f32 v34, v64, v57
	v_add_f32_e32 v8, v8, v37
	v_fma_f32 v18, v44, v48, -v18
	v_mul_f32_e32 v27, v63, v55
	v_mul_f32_e32 v28, v62, v55
	v_fmac_f32_e32 v34, v65, v56
	v_add_f32_e32 v8, v8, v20
	v_add_co_ci_u32_e32 v7, vcc_lo, 0, v7, vcc_lo
	s_delay_alu instid0(VALU_DEP_4) | instskip(SKIP_1) | instid1(VALU_DEP_3)
	v_fmac_f32_e32 v28, v63, v54
	s_and_b32 vcc_lo, exec_lo, s9
	v_add_f32_e32 v8, v8, v9
	v_add_f32_e32 v3, v3, v21
	v_fma_f32 v21, v42, v38, -v24
	v_fma_f32 v24, v46, v50, -v19
	v_mul_f32_e32 v36, v66, v59
	s_delay_alu instid0(VALU_DEP_4) | instskip(SKIP_1) | instid1(VALU_DEP_2)
	v_dual_add_f32 v8, v8, v23 :: v_dual_add_f32 v3, v3, v22
	v_mul_f32_e32 v22, v61, v53
	v_dual_add_f32 v8, v8, v26 :: v_dual_add_f32 v3, v3, v21
	s_delay_alu instid0(VALU_DEP_2) | instskip(SKIP_1) | instid1(VALU_DEP_3)
	v_fma_f32 v9, v60, v52, -v22
	v_mul_f32_e32 v26, v65, v57
	v_dual_add_f32 v8, v8, v28 :: v_dual_add_f32 v3, v3, v18
	ds_load_2addr_b64 v[18:21], v14 offset0:192 offset1:208
	v_dual_add_f32 v8, v8, v34 :: v_dual_add_f32 v3, v3, v24
	ds_load_b128 v[22:25], v15 offset:96
	v_fmac_f32_e32 v36, v67, v58
	v_mul_f32_e32 v35, v67, v59
	v_add_f32_e32 v3, v3, v9
	v_fma_f32 v9, v62, v54, -v27
	s_waitcnt lgkmcnt(0)
	v_mul_f32_e32 v34, v23, v19
	v_mul_f32_e32 v19, v22, v19
	s_delay_alu instid0(VALU_DEP_3)
	v_dual_add_f32 v3, v3, v9 :: v_dual_add_f32 v8, v8, v36
	v_fma_f32 v9, v64, v56, -v26
	ds_load_2addr_b64 v[26:29], v14 offset0:224 offset1:240
	ds_load_b128 v[30:33], v15 offset:112
	v_fmac_f32_e32 v19, v23, v18
	s_waitcnt lgkmcnt(0)
	s_barrier
	v_add_f32_e32 v3, v3, v9
	v_fma_f32 v9, v66, v58, -v35
	v_add_f32_e32 v8, v8, v19
	buffer_gl0_inv
	v_mul_f32_e32 v19, v30, v27
	s_delay_alu instid0(VALU_DEP_1) | instskip(SKIP_4) | instid1(VALU_DEP_1)
	v_fmac_f32_e32 v19, v31, v26
	v_add_f32_e32 v3, v3, v9
	v_fma_f32 v9, v22, v18, -v34
	v_mul_f32_e32 v18, v25, v21
	v_mul_f32_e32 v21, v24, v21
	v_fmac_f32_e32 v21, v25, v20
	s_delay_alu instid0(VALU_DEP_1) | instskip(NEXT) | instid1(VALU_DEP_1)
	v_add_f32_e32 v8, v8, v21
	v_dual_add_f32 v8, v8, v19 :: v_dual_add_f32 v3, v3, v9
	v_fma_f32 v9, v24, v20, -v18
	v_mul_f32_e32 v18, v31, v27
	v_mul_f32_e32 v20, v32, v29
	s_delay_alu instid0(VALU_DEP_1) | instskip(NEXT) | instid1(VALU_DEP_3)
	v_dual_fmac_f32 v20, v33, v28 :: v_dual_add_f32 v3, v3, v9
	v_fma_f32 v9, v30, v26, -v18
	v_mul_f32_e32 v18, v33, v29
	s_delay_alu instid0(VALU_DEP_2) | instskip(NEXT) | instid1(VALU_DEP_2)
	v_add_f32_e32 v3, v3, v9
	v_fma_f32 v9, v32, v28, -v18
	s_delay_alu instid0(VALU_DEP_1)
	v_dual_add_f32 v18, v8, v20 :: v_dual_add_f32 v19, v3, v9
	s_cbranch_vccnz .LBB1597_9
.LBB1597_3:                             ; =>This Inner Loop Header: Depth=1
	v_add_co_u32 v8, s9, v13, s0
	s_delay_alu instid0(VALU_DEP_1) | instskip(NEXT) | instid1(VALU_DEP_1)
	v_add_co_ci_u32_e64 v9, null, 0, s1, s9
	v_cmp_gt_i64_e32 vcc_lo, s[4:5], v[8:9]
	v_dual_mov_b32 v8, 0 :: v_dual_mov_b32 v9, 0
	s_and_b32 s10, s2, vcc_lo
	s_delay_alu instid0(SALU_CYCLE_1)
	s_and_saveexec_b32 s9, s10
	s_cbranch_execz .LBB1597_5
; %bb.4:                                ;   in Loop: Header=BB1597_3 Depth=1
	global_load_b64 v[8:9], v[6:7], off offset:-4
.LBB1597_5:                             ;   in Loop: Header=BB1597_3 Depth=1
	s_or_b32 exec_lo, exec_lo, s9
	v_add_co_u32 v20, s9, v12, s0
	s_delay_alu instid0(VALU_DEP_1) | instskip(SKIP_4) | instid1(SALU_CYCLE_1)
	v_add_co_ci_u32_e64 v21, null, 0, s1, s9
	s_waitcnt vmcnt(0)
	ds_store_b64 v16, v[8:9]
	v_cmp_le_i64_e32 vcc_lo, s[4:5], v[20:21]
	s_or_b32 s9, s8, vcc_lo
	s_and_saveexec_b32 s10, s9
	s_delay_alu instid0(SALU_CYCLE_1)
	s_xor_b32 s9, exec_lo, s10
	s_cbranch_execz .LBB1597_7
; %bb.6:                                ;   in Loop: Header=BB1597_3 Depth=1
	v_mov_b32_e32 v3, v2
	ds_store_b64 v17, v[2:3]
.LBB1597_7:                             ;   in Loop: Header=BB1597_3 Depth=1
	s_and_not1_saveexec_b32 s9, s9
	s_cbranch_execz .LBB1597_2
; %bb.8:                                ;   in Loop: Header=BB1597_3 Depth=1
	global_load_b64 v[8:9], v[4:5], off
	s_waitcnt vmcnt(0)
	ds_store_b64 v17, v[8:9]
	s_branch .LBB1597_2
.LBB1597_9:
	v_cmp_le_i32_e32 vcc_lo, v10, v0
	v_cmp_gt_i32_e64 s0, s3, v0
	s_delay_alu instid0(VALU_DEP_1) | instskip(NEXT) | instid1(SALU_CYCLE_1)
	s_and_b32 s0, vcc_lo, s0
	s_and_saveexec_b32 s1, s0
	s_cbranch_execz .LBB1597_11
; %bb.10:
	s_waitcnt lgkmcnt(0)
	v_mul_lo_u32 v4, v10, s21
	v_mul_lo_u32 v5, v11, s20
	v_mad_u64_u32 v[2:3], null, v10, s20, 0
	v_lshlrev_b64 v[0:1], 3, v[0:1]
	s_delay_alu instid0(VALU_DEP_2) | instskip(NEXT) | instid1(VALU_DEP_1)
	v_add3_u32 v3, v3, v4, v5
	v_lshlrev_b64 v[2:3], 3, v[2:3]
	s_delay_alu instid0(VALU_DEP_1) | instskip(NEXT) | instid1(VALU_DEP_2)
	v_add_co_u32 v2, vcc_lo, s18, v2
	v_add_co_ci_u32_e32 v3, vcc_lo, s19, v3, vcc_lo
	s_delay_alu instid0(VALU_DEP_2) | instskip(NEXT) | instid1(VALU_DEP_2)
	v_add_co_u32 v0, vcc_lo, v2, v0
	v_add_co_ci_u32_e32 v1, vcc_lo, v3, v1, vcc_lo
	global_load_b64 v[2:3], v[0:1], off
	v_mul_f32_e32 v4, s7, v18
	s_waitcnt vmcnt(0)
	v_dual_mul_f32 v5, s6, v18 :: v_dual_mul_f32 v6, s17, v3
	v_mul_f32_e32 v3, s16, v3
	s_delay_alu instid0(VALU_DEP_3) | instskip(NEXT) | instid1(VALU_DEP_3)
	v_fma_f32 v4, v19, s6, -v4
	v_fma_f32 v6, v2, s16, -v6
	s_delay_alu instid0(VALU_DEP_4) | instskip(NEXT) | instid1(VALU_DEP_4)
	v_fmac_f32_e32 v5, s7, v19
	v_fmac_f32_e32 v3, s17, v2
	s_delay_alu instid0(VALU_DEP_1)
	v_dual_add_f32 v2, v4, v6 :: v_dual_add_f32 v3, v5, v3
	global_store_b64 v[0:1], v[2:3], off
.LBB1597_11:
	s_nop 0
	s_sendmsg sendmsg(MSG_DEALLOC_VGPRS)
	s_endpgm
	.section	.rodata,"a",@progbits
	.p2align	6, 0x0
	.amdhsa_kernel _ZL32rocblas_syrkx_herkx_small_kernelIl19rocblas_complex_numIfELi16ELb0ELb0ELc67ELc76EKPKS1_KPS1_EviT_T0_PT6_S7_lSA_S7_lS8_PT7_S7_li
		.amdhsa_group_segment_fixed_size 4096
		.amdhsa_private_segment_fixed_size 0
		.amdhsa_kernarg_size 108
		.amdhsa_user_sgpr_count 13
		.amdhsa_user_sgpr_dispatch_ptr 0
		.amdhsa_user_sgpr_queue_ptr 0
		.amdhsa_user_sgpr_kernarg_segment_ptr 1
		.amdhsa_user_sgpr_dispatch_id 0
		.amdhsa_user_sgpr_private_segment_size 0
		.amdhsa_wavefront_size32 1
		.amdhsa_uses_dynamic_stack 0
		.amdhsa_enable_private_segment 0
		.amdhsa_system_sgpr_workgroup_id_x 1
		.amdhsa_system_sgpr_workgroup_id_y 1
		.amdhsa_system_sgpr_workgroup_id_z 1
		.amdhsa_system_sgpr_workgroup_info 0
		.amdhsa_system_vgpr_workitem_id 1
		.amdhsa_next_free_vgpr 70
		.amdhsa_next_free_sgpr 24
		.amdhsa_reserve_vcc 1
		.amdhsa_float_round_mode_32 0
		.amdhsa_float_round_mode_16_64 0
		.amdhsa_float_denorm_mode_32 3
		.amdhsa_float_denorm_mode_16_64 3
		.amdhsa_dx10_clamp 1
		.amdhsa_ieee_mode 1
		.amdhsa_fp16_overflow 0
		.amdhsa_workgroup_processor_mode 1
		.amdhsa_memory_ordered 1
		.amdhsa_forward_progress 0
		.amdhsa_shared_vgpr_count 0
		.amdhsa_exception_fp_ieee_invalid_op 0
		.amdhsa_exception_fp_denorm_src 0
		.amdhsa_exception_fp_ieee_div_zero 0
		.amdhsa_exception_fp_ieee_overflow 0
		.amdhsa_exception_fp_ieee_underflow 0
		.amdhsa_exception_fp_ieee_inexact 0
		.amdhsa_exception_int_div_zero 0
	.end_amdhsa_kernel
	.section	.text._ZL32rocblas_syrkx_herkx_small_kernelIl19rocblas_complex_numIfELi16ELb0ELb0ELc67ELc76EKPKS1_KPS1_EviT_T0_PT6_S7_lSA_S7_lS8_PT7_S7_li,"axG",@progbits,_ZL32rocblas_syrkx_herkx_small_kernelIl19rocblas_complex_numIfELi16ELb0ELb0ELc67ELc76EKPKS1_KPS1_EviT_T0_PT6_S7_lSA_S7_lS8_PT7_S7_li,comdat
.Lfunc_end1597:
	.size	_ZL32rocblas_syrkx_herkx_small_kernelIl19rocblas_complex_numIfELi16ELb0ELb0ELc67ELc76EKPKS1_KPS1_EviT_T0_PT6_S7_lSA_S7_lS8_PT7_S7_li, .Lfunc_end1597-_ZL32rocblas_syrkx_herkx_small_kernelIl19rocblas_complex_numIfELi16ELb0ELb0ELc67ELc76EKPKS1_KPS1_EviT_T0_PT6_S7_lSA_S7_lS8_PT7_S7_li
                                        ; -- End function
	.section	.AMDGPU.csdata,"",@progbits
; Kernel info:
; codeLenInByte = 1544
; NumSgprs: 26
; NumVgprs: 70
; ScratchSize: 0
; MemoryBound: 1
; FloatMode: 240
; IeeeMode: 1
; LDSByteSize: 4096 bytes/workgroup (compile time only)
; SGPRBlocks: 3
; VGPRBlocks: 8
; NumSGPRsForWavesPerEU: 26
; NumVGPRsForWavesPerEU: 70
; Occupancy: 16
; WaveLimiterHint : 1
; COMPUTE_PGM_RSRC2:SCRATCH_EN: 0
; COMPUTE_PGM_RSRC2:USER_SGPR: 13
; COMPUTE_PGM_RSRC2:TRAP_HANDLER: 0
; COMPUTE_PGM_RSRC2:TGID_X_EN: 1
; COMPUTE_PGM_RSRC2:TGID_Y_EN: 1
; COMPUTE_PGM_RSRC2:TGID_Z_EN: 1
; COMPUTE_PGM_RSRC2:TIDIG_COMP_CNT: 1
	.section	.text._ZL32rocblas_syrkx_herkx_small_kernelIl19rocblas_complex_numIfELi16ELb0ELb0ELc78ELc76EKPKS1_KPS1_EviT_T0_PT6_S7_lSA_S7_lS8_PT7_S7_li,"axG",@progbits,_ZL32rocblas_syrkx_herkx_small_kernelIl19rocblas_complex_numIfELi16ELb0ELb0ELc78ELc76EKPKS1_KPS1_EviT_T0_PT6_S7_lSA_S7_lS8_PT7_S7_li,comdat
	.globl	_ZL32rocblas_syrkx_herkx_small_kernelIl19rocblas_complex_numIfELi16ELb0ELb0ELc78ELc76EKPKS1_KPS1_EviT_T0_PT6_S7_lSA_S7_lS8_PT7_S7_li ; -- Begin function _ZL32rocblas_syrkx_herkx_small_kernelIl19rocblas_complex_numIfELi16ELb0ELb0ELc78ELc76EKPKS1_KPS1_EviT_T0_PT6_S7_lSA_S7_lS8_PT7_S7_li
	.p2align	8
	.type	_ZL32rocblas_syrkx_herkx_small_kernelIl19rocblas_complex_numIfELi16ELb0ELb0ELc78ELc76EKPKS1_KPS1_EviT_T0_PT6_S7_lSA_S7_lS8_PT7_S7_li,@function
_ZL32rocblas_syrkx_herkx_small_kernelIl19rocblas_complex_numIfELi16ELb0ELb0ELc78ELc76EKPKS1_KPS1_EviT_T0_PT6_S7_lSA_S7_lS8_PT7_S7_li: ; @_ZL32rocblas_syrkx_herkx_small_kernelIl19rocblas_complex_numIfELi16ELb0ELb0ELc78ELc76EKPKS1_KPS1_EviT_T0_PT6_S7_lSA_S7_lS8_PT7_S7_li
; %bb.0:
	s_clause 0x2
	s_load_b128 s[16:19], s[0:1], 0x48
	s_load_b256 s[4:11], s[0:1], 0x8
	s_load_b32 s3, s[0:1], 0x0
	s_mov_b32 s20, s15
	s_mov_b32 s21, 0
	v_dual_mov_b32 v19, 0 :: v_dual_and_b32 v12, 0x3ff, v0
	s_lshl_b64 s[22:23], s[20:21], 3
	v_bfe_u32 v13, v0, 10, 10
	v_mov_b32_e32 v18, 0
	s_delay_alu instid0(VALU_DEP_3) | instskip(NEXT) | instid1(VALU_DEP_3)
	v_lshl_add_u32 v0, s13, 4, v12
	v_lshl_add_u32 v2, s14, 4, v13
	s_delay_alu instid0(VALU_DEP_2) | instskip(NEXT) | instid1(VALU_DEP_2)
	v_ashrrev_i32_e32 v1, 31, v0
	v_ashrrev_i32_e32 v3, 31, v2
	s_waitcnt lgkmcnt(0)
	s_add_u32 s18, s18, s22
	s_addc_u32 s19, s19, s23
	s_load_b64 s[20:21], s[0:1], 0x58
	s_load_b64 s[18:19], s[18:19], 0x0
	v_cmp_lt_i64_e64 s2, s[4:5], 1
	s_delay_alu instid0(VALU_DEP_1)
	s_and_b32 vcc_lo, exec_lo, s2
	v_cmp_gt_i32_e64 s2, s3, v0
	s_cbranch_vccnz .LBB1598_9
; %bb.1:
	s_load_b128 s[12:15], s[0:1], 0x30
	v_mad_u64_u32 v[7:8], null, s10, v13, 0
	v_lshlrev_b64 v[9:10], 3, v[2:3]
	v_dual_mov_b32 v4, 0 :: v_dual_lshlrev_b32 v11, 7, v13
	v_lshlrev_b32_e32 v14, 3, v12
	v_mov_b32_e32 v18, 0
	v_lshlrev_b64 v[19:20], 3, v[0:1]
	v_cmp_gt_i32_e64 s0, s3, v2
	s_waitcnt lgkmcnt(0)
	v_mad_u64_u32 v[5:6], null, s14, v12, 0
	s_add_u32 s12, s12, s22
	s_addc_u32 s13, s13, s23
	s_add_u32 s8, s8, s22
	s_load_b64 s[12:13], s[12:13], 0x0
	s_addc_u32 s9, s9, s23
	s_xor_b32 s1, s2, -1
	s_delay_alu instid0(VALU_DEP_1) | instskip(SKIP_4) | instid1(VALU_DEP_2)
	v_mad_u64_u32 v[15:16], null, s15, v12, v[6:7]
	v_mad_u64_u32 v[16:17], null, s11, v13, v[8:9]
	s_load_b64 s[22:23], s[8:9], 0x0
	s_lshl_b64 s[8:9], s[14:15], 7
	s_lshl_b64 s[10:11], s[10:11], 7
	v_dual_mov_b32 v6, v15 :: v_dual_add_nc_u32 v15, 0x800, v11
	s_delay_alu instid0(VALU_DEP_2) | instskip(NEXT) | instid1(VALU_DEP_2)
	v_mov_b32_e32 v8, v16
	v_lshlrev_b64 v[5:6], 3, v[5:6]
	s_delay_alu instid0(VALU_DEP_2) | instskip(NEXT) | instid1(VALU_DEP_2)
	v_lshlrev_b64 v[7:8], 3, v[7:8]
	v_add_co_u32 v5, vcc_lo, v5, v9
	s_delay_alu instid0(VALU_DEP_3) | instskip(NEXT) | instid1(VALU_DEP_3)
	v_add_co_ci_u32_e32 v6, vcc_lo, v6, v10, vcc_lo
	v_add_co_u32 v7, vcc_lo, v7, v19
	s_delay_alu instid0(VALU_DEP_4)
	v_add_co_ci_u32_e32 v8, vcc_lo, v8, v20, vcc_lo
	s_waitcnt lgkmcnt(0)
	v_add_co_u32 v5, vcc_lo, v5, s12
	v_add_co_ci_u32_e32 v9, vcc_lo, s13, v6, vcc_lo
	v_add_co_u32 v6, vcc_lo, s22, v7
	v_add_co_ci_u32_e32 v7, vcc_lo, s23, v8, vcc_lo
	s_delay_alu instid0(VALU_DEP_4) | instskip(NEXT) | instid1(VALU_DEP_4)
	v_add_co_u32 v8, vcc_lo, v5, 4
	v_add_co_ci_u32_e32 v9, vcc_lo, 0, v9, vcc_lo
	v_mov_b32_e32 v19, 0
	v_add_nc_u32_e32 v17, v15, v14
	v_add_nc_u32_e32 v16, v14, v11
	s_mov_b64 s[12:13], 0
	s_branch .LBB1598_3
.LBB1598_2:                             ;   in Loop: Header=BB1598_3 Depth=1
	s_or_b32 exec_lo, exec_lo, s2
	s_waitcnt vmcnt(0)
	ds_store_b64 v17, v[10:11]
	s_waitcnt lgkmcnt(0)
	s_barrier
	buffer_gl0_inv
	ds_load_2addr_b64 v[20:23], v14 offset1:16
	ds_load_b128 v[24:27], v15
	ds_load_b128 v[28:31], v15 offset:16
	ds_load_2addr_b64 v[32:35], v14 offset0:32 offset1:48
	ds_load_2addr_b64 v[36:39], v14 offset0:64 offset1:80
	ds_load_b128 v[40:43], v15 offset:32
	ds_load_b128 v[44:47], v15 offset:48
	ds_load_2addr_b64 v[48:51], v14 offset0:96 offset1:112
	ds_load_2addr_b64 v[52:55], v14 offset0:128 offset1:144
	;; [unrolled: 1-line block ×3, first 2 shown]
	ds_load_b128 v[60:63], v15 offset:64
	ds_load_b128 v[64:67], v15 offset:80
	s_add_u32 s12, s12, 16
	s_addc_u32 s13, s13, 0
	v_add_co_u32 v8, vcc_lo, v8, s8
	v_cmp_ge_i64_e64 s2, s[12:13], s[4:5]
	v_add_co_ci_u32_e32 v9, vcc_lo, s9, v9, vcc_lo
	v_add_co_u32 v6, vcc_lo, v6, s10
	s_waitcnt lgkmcnt(10)
	v_mul_f32_e32 v5, v25, v21
	v_dual_mul_f32 v10, v24, v21 :: v_dual_mul_f32 v11, v27, v23
	s_waitcnt lgkmcnt(8)
	v_mul_f32_e32 v68, v31, v35
	v_mul_f32_e32 v21, v26, v23
	v_fma_f32 v5, v24, v20, -v5
	s_waitcnt lgkmcnt(6)
	v_dual_mul_f32 v24, v40, v37 :: v_dual_mul_f32 v35, v30, v35
	v_fmac_f32_e32 v10, v25, v20
	v_mul_f32_e32 v23, v29, v33
	v_fma_f32 v11, v26, v22, -v11
	s_delay_alu instid0(VALU_DEP_4) | instskip(NEXT) | instid1(VALU_DEP_4)
	v_dual_add_f32 v5, v19, v5 :: v_dual_fmac_f32 v24, v41, v36
	v_add_f32_e32 v10, v18, v10
	s_delay_alu instid0(VALU_DEP_4) | instskip(SKIP_1) | instid1(VALU_DEP_4)
	v_fma_f32 v18, v28, v32, -v23
	v_mul_f32_e32 v33, v28, v33
	v_add_f32_e32 v5, v5, v11
	v_fma_f32 v20, v30, v34, -v68
	s_waitcnt lgkmcnt(1)
	v_mul_f32_e32 v26, v63, v55
	v_fmac_f32_e32 v35, v31, v34
	v_mul_f32_e32 v19, v42, v39
	v_add_f32_e32 v5, v5, v18
	v_add_co_ci_u32_e32 v7, vcc_lo, s11, v7, vcc_lo
	s_and_b32 vcc_lo, exec_lo, s2
	s_delay_alu instid0(VALU_DEP_2) | instskip(SKIP_2) | instid1(VALU_DEP_3)
	v_dual_mul_f32 v18, v44, v49 :: v_dual_add_f32 v5, v5, v20
	v_dual_mul_f32 v20, v47, v51 :: v_dual_fmac_f32 v33, v29, v32
	v_fmac_f32_e32 v21, v27, v22
	v_dual_mul_f32 v27, v62, v55 :: v_dual_fmac_f32 v18, v45, v48
	s_waitcnt lgkmcnt(0)
	v_mul_f32_e32 v34, v64, v57
	s_delay_alu instid0(VALU_DEP_2) | instskip(NEXT) | instid1(VALU_DEP_2)
	v_dual_add_f32 v10, v10, v21 :: v_dual_fmac_f32 v27, v63, v54
	v_fmac_f32_e32 v34, v65, v56
	s_delay_alu instid0(VALU_DEP_2) | instskip(SKIP_2) | instid1(VALU_DEP_3)
	v_add_f32_e32 v10, v10, v33
	v_mul_f32_e32 v69, v41, v37
	v_mul_f32_e32 v37, v43, v39
	v_add_f32_e32 v10, v10, v35
	s_delay_alu instid0(VALU_DEP_3) | instskip(NEXT) | instid1(VALU_DEP_3)
	v_fma_f32 v21, v40, v36, -v69
	v_fma_f32 v22, v42, v38, -v37
	v_dual_mul_f32 v11, v45, v49 :: v_dual_mul_f32 v36, v66, v59
	s_delay_alu instid0(VALU_DEP_3) | instskip(SKIP_1) | instid1(VALU_DEP_3)
	v_dual_add_f32 v10, v10, v24 :: v_dual_add_f32 v5, v5, v21
	v_mul_f32_e32 v21, v46, v51
	v_fma_f32 v11, v44, v48, -v11
	s_delay_alu instid0(VALU_DEP_4) | instskip(NEXT) | instid1(VALU_DEP_4)
	v_fmac_f32_e32 v36, v67, v58
	v_add_f32_e32 v5, v5, v22
	s_delay_alu instid0(VALU_DEP_4) | instskip(SKIP_1) | instid1(VALU_DEP_3)
	v_dual_mul_f32 v22, v61, v53 :: v_dual_fmac_f32 v21, v47, v50
	v_fmac_f32_e32 v19, v43, v38
	v_add_f32_e32 v5, v5, v11
	s_delay_alu instid0(VALU_DEP_2) | instskip(SKIP_1) | instid1(VALU_DEP_2)
	v_dual_mul_f32 v11, v60, v53 :: v_dual_add_f32 v10, v10, v19
	v_fma_f32 v19, v46, v50, -v20
	v_dual_fmac_f32 v11, v61, v52 :: v_dual_add_f32 v10, v10, v18
	v_fma_f32 v18, v60, v52, -v22
	s_delay_alu instid0(VALU_DEP_2) | instskip(NEXT) | instid1(VALU_DEP_1)
	v_add_f32_e32 v10, v10, v21
	v_add_f32_e32 v10, v10, v11
	v_fma_f32 v11, v62, v54, -v26
	v_mul_f32_e32 v26, v65, v57
	s_delay_alu instid0(VALU_DEP_3) | instskip(NEXT) | instid1(VALU_DEP_1)
	v_add_f32_e32 v10, v10, v27
	v_dual_add_f32 v10, v10, v34 :: v_dual_add_f32 v5, v5, v19
	s_delay_alu instid0(VALU_DEP_1)
	v_dual_add_f32 v10, v10, v36 :: v_dual_add_f32 v5, v5, v18
	ds_load_2addr_b64 v[18:21], v14 offset0:192 offset1:208
	ds_load_b128 v[22:25], v15 offset:96
	s_waitcnt lgkmcnt(0)
	v_mul_f32_e32 v34, v23, v19
	v_mul_f32_e32 v19, v22, v19
	s_delay_alu instid0(VALU_DEP_1) | instskip(NEXT) | instid1(VALU_DEP_1)
	v_fmac_f32_e32 v19, v23, v18
	v_add_f32_e32 v10, v10, v19
	v_add_f32_e32 v5, v5, v11
	v_fma_f32 v11, v64, v56, -v26
	ds_load_2addr_b64 v[26:29], v14 offset0:224 offset1:240
	ds_load_b128 v[30:33], v15 offset:112
	v_mul_f32_e32 v35, v67, v59
	s_waitcnt lgkmcnt(0)
	s_barrier
	v_add_f32_e32 v5, v5, v11
	buffer_gl0_inv
	v_fma_f32 v11, v66, v58, -v35
	s_delay_alu instid0(VALU_DEP_1) | instskip(SKIP_3) | instid1(VALU_DEP_3)
	v_add_f32_e32 v5, v5, v11
	v_fma_f32 v11, v22, v18, -v34
	v_mul_f32_e32 v18, v25, v21
	v_mul_f32_e32 v21, v24, v21
	v_add_f32_e32 v5, v5, v11
	s_delay_alu instid0(VALU_DEP_3) | instskip(NEXT) | instid1(VALU_DEP_3)
	v_fma_f32 v11, v24, v20, -v18
	v_dual_mul_f32 v18, v31, v27 :: v_dual_fmac_f32 v21, v25, v20
	v_mul_f32_e32 v19, v30, v27
	s_delay_alu instid0(VALU_DEP_3) | instskip(NEXT) | instid1(VALU_DEP_3)
	v_dual_add_f32 v5, v5, v11 :: v_dual_mul_f32 v20, v32, v29
	v_fma_f32 v11, v30, v26, -v18
	s_delay_alu instid0(VALU_DEP_3) | instskip(SKIP_1) | instid1(VALU_DEP_4)
	v_dual_add_f32 v10, v10, v21 :: v_dual_fmac_f32 v19, v31, v26
	v_mul_f32_e32 v18, v33, v29
	v_fmac_f32_e32 v20, v33, v28
	s_delay_alu instid0(VALU_DEP_4) | instskip(NEXT) | instid1(VALU_DEP_4)
	v_add_f32_e32 v5, v5, v11
	v_add_f32_e32 v10, v10, v19
	s_delay_alu instid0(VALU_DEP_4) | instskip(NEXT) | instid1(VALU_DEP_1)
	v_fma_f32 v11, v32, v28, -v18
	v_dual_add_f32 v18, v10, v20 :: v_dual_add_f32 v19, v5, v11
	s_cbranch_vccnz .LBB1598_9
.LBB1598_3:                             ; =>This Inner Loop Header: Depth=1
	v_add_co_u32 v10, s2, v13, s12
	s_delay_alu instid0(VALU_DEP_1) | instskip(NEXT) | instid1(VALU_DEP_1)
	v_add_co_ci_u32_e64 v11, null, 0, s13, s2
	v_cmp_le_i64_e32 vcc_lo, s[4:5], v[10:11]
	s_or_b32 s2, s1, vcc_lo
	s_delay_alu instid0(SALU_CYCLE_1) | instskip(NEXT) | instid1(SALU_CYCLE_1)
	s_and_saveexec_b32 s14, s2
	s_xor_b32 s2, exec_lo, s14
	s_cbranch_execz .LBB1598_5
; %bb.4:                                ;   in Loop: Header=BB1598_3 Depth=1
	v_mov_b32_e32 v5, v4
	ds_store_b64 v16, v[4:5]
.LBB1598_5:                             ;   in Loop: Header=BB1598_3 Depth=1
	s_and_not1_saveexec_b32 s2, s2
	s_cbranch_execz .LBB1598_7
; %bb.6:                                ;   in Loop: Header=BB1598_3 Depth=1
	global_load_b64 v[10:11], v[6:7], off
	s_waitcnt vmcnt(0)
	ds_store_b64 v16, v[10:11]
.LBB1598_7:                             ;   in Loop: Header=BB1598_3 Depth=1
	s_or_b32 exec_lo, exec_lo, s2
	v_add_co_u32 v10, s2, v12, s12
	s_delay_alu instid0(VALU_DEP_1) | instskip(NEXT) | instid1(VALU_DEP_1)
	v_add_co_ci_u32_e64 v11, null, 0, s13, s2
	v_cmp_gt_i64_e32 vcc_lo, s[4:5], v[10:11]
	v_dual_mov_b32 v10, 0 :: v_dual_mov_b32 v11, 0
	s_and_b32 s14, s0, vcc_lo
	s_delay_alu instid0(SALU_CYCLE_1)
	s_and_saveexec_b32 s2, s14
	s_cbranch_execz .LBB1598_2
; %bb.8:                                ;   in Loop: Header=BB1598_3 Depth=1
	global_load_b64 v[10:11], v[8:9], off offset:-4
	s_branch .LBB1598_2
.LBB1598_9:
	v_cmp_le_i32_e32 vcc_lo, v2, v0
	v_cmp_gt_i32_e64 s0, s3, v0
	s_delay_alu instid0(VALU_DEP_1) | instskip(NEXT) | instid1(SALU_CYCLE_1)
	s_and_b32 s0, vcc_lo, s0
	s_and_saveexec_b32 s1, s0
	s_cbranch_execz .LBB1598_11
; %bb.10:
	s_waitcnt lgkmcnt(0)
	v_mul_lo_u32 v5, v2, s21
	v_mul_lo_u32 v6, v3, s20
	v_mad_u64_u32 v[3:4], null, v2, s20, 0
	v_lshlrev_b64 v[0:1], 3, v[0:1]
	s_delay_alu instid0(VALU_DEP_2) | instskip(NEXT) | instid1(VALU_DEP_1)
	v_add3_u32 v4, v4, v5, v6
	v_lshlrev_b64 v[2:3], 3, v[3:4]
	s_delay_alu instid0(VALU_DEP_1) | instskip(NEXT) | instid1(VALU_DEP_2)
	v_add_co_u32 v2, vcc_lo, s18, v2
	v_add_co_ci_u32_e32 v3, vcc_lo, s19, v3, vcc_lo
	s_delay_alu instid0(VALU_DEP_2) | instskip(NEXT) | instid1(VALU_DEP_2)
	v_add_co_u32 v0, vcc_lo, v2, v0
	v_add_co_ci_u32_e32 v1, vcc_lo, v3, v1, vcc_lo
	global_load_b64 v[2:3], v[0:1], off
	v_mul_f32_e32 v4, s7, v18
	s_waitcnt vmcnt(0)
	v_dual_mul_f32 v5, s6, v18 :: v_dual_mul_f32 v6, s17, v3
	v_mul_f32_e32 v3, s16, v3
	s_delay_alu instid0(VALU_DEP_3) | instskip(NEXT) | instid1(VALU_DEP_3)
	v_fma_f32 v4, v19, s6, -v4
	v_fma_f32 v6, v2, s16, -v6
	s_delay_alu instid0(VALU_DEP_4) | instskip(NEXT) | instid1(VALU_DEP_4)
	v_fmac_f32_e32 v5, s7, v19
	v_fmac_f32_e32 v3, s17, v2
	s_delay_alu instid0(VALU_DEP_1)
	v_dual_add_f32 v2, v4, v6 :: v_dual_add_f32 v3, v5, v3
	global_store_b64 v[0:1], v[2:3], off
.LBB1598_11:
	s_nop 0
	s_sendmsg sendmsg(MSG_DEALLOC_VGPRS)
	s_endpgm
	.section	.rodata,"a",@progbits
	.p2align	6, 0x0
	.amdhsa_kernel _ZL32rocblas_syrkx_herkx_small_kernelIl19rocblas_complex_numIfELi16ELb0ELb0ELc78ELc76EKPKS1_KPS1_EviT_T0_PT6_S7_lSA_S7_lS8_PT7_S7_li
		.amdhsa_group_segment_fixed_size 4096
		.amdhsa_private_segment_fixed_size 0
		.amdhsa_kernarg_size 108
		.amdhsa_user_sgpr_count 13
		.amdhsa_user_sgpr_dispatch_ptr 0
		.amdhsa_user_sgpr_queue_ptr 0
		.amdhsa_user_sgpr_kernarg_segment_ptr 1
		.amdhsa_user_sgpr_dispatch_id 0
		.amdhsa_user_sgpr_private_segment_size 0
		.amdhsa_wavefront_size32 1
		.amdhsa_uses_dynamic_stack 0
		.amdhsa_enable_private_segment 0
		.amdhsa_system_sgpr_workgroup_id_x 1
		.amdhsa_system_sgpr_workgroup_id_y 1
		.amdhsa_system_sgpr_workgroup_id_z 1
		.amdhsa_system_sgpr_workgroup_info 0
		.amdhsa_system_vgpr_workitem_id 1
		.amdhsa_next_free_vgpr 70
		.amdhsa_next_free_sgpr 24
		.amdhsa_reserve_vcc 1
		.amdhsa_float_round_mode_32 0
		.amdhsa_float_round_mode_16_64 0
		.amdhsa_float_denorm_mode_32 3
		.amdhsa_float_denorm_mode_16_64 3
		.amdhsa_dx10_clamp 1
		.amdhsa_ieee_mode 1
		.amdhsa_fp16_overflow 0
		.amdhsa_workgroup_processor_mode 1
		.amdhsa_memory_ordered 1
		.amdhsa_forward_progress 0
		.amdhsa_shared_vgpr_count 0
		.amdhsa_exception_fp_ieee_invalid_op 0
		.amdhsa_exception_fp_denorm_src 0
		.amdhsa_exception_fp_ieee_div_zero 0
		.amdhsa_exception_fp_ieee_overflow 0
		.amdhsa_exception_fp_ieee_underflow 0
		.amdhsa_exception_fp_ieee_inexact 0
		.amdhsa_exception_int_div_zero 0
	.end_amdhsa_kernel
	.section	.text._ZL32rocblas_syrkx_herkx_small_kernelIl19rocblas_complex_numIfELi16ELb0ELb0ELc78ELc76EKPKS1_KPS1_EviT_T0_PT6_S7_lSA_S7_lS8_PT7_S7_li,"axG",@progbits,_ZL32rocblas_syrkx_herkx_small_kernelIl19rocblas_complex_numIfELi16ELb0ELb0ELc78ELc76EKPKS1_KPS1_EviT_T0_PT6_S7_lSA_S7_lS8_PT7_S7_li,comdat
.Lfunc_end1598:
	.size	_ZL32rocblas_syrkx_herkx_small_kernelIl19rocblas_complex_numIfELi16ELb0ELb0ELc78ELc76EKPKS1_KPS1_EviT_T0_PT6_S7_lSA_S7_lS8_PT7_S7_li, .Lfunc_end1598-_ZL32rocblas_syrkx_herkx_small_kernelIl19rocblas_complex_numIfELi16ELb0ELb0ELc78ELc76EKPKS1_KPS1_EviT_T0_PT6_S7_lSA_S7_lS8_PT7_S7_li
                                        ; -- End function
	.section	.AMDGPU.csdata,"",@progbits
; Kernel info:
; codeLenInByte = 1552
; NumSgprs: 26
; NumVgprs: 70
; ScratchSize: 0
; MemoryBound: 1
; FloatMode: 240
; IeeeMode: 1
; LDSByteSize: 4096 bytes/workgroup (compile time only)
; SGPRBlocks: 3
; VGPRBlocks: 8
; NumSGPRsForWavesPerEU: 26
; NumVGPRsForWavesPerEU: 70
; Occupancy: 16
; WaveLimiterHint : 1
; COMPUTE_PGM_RSRC2:SCRATCH_EN: 0
; COMPUTE_PGM_RSRC2:USER_SGPR: 13
; COMPUTE_PGM_RSRC2:TRAP_HANDLER: 0
; COMPUTE_PGM_RSRC2:TGID_X_EN: 1
; COMPUTE_PGM_RSRC2:TGID_Y_EN: 1
; COMPUTE_PGM_RSRC2:TGID_Z_EN: 1
; COMPUTE_PGM_RSRC2:TIDIG_COMP_CNT: 1
	.section	.text._ZL32rocblas_syrkx_herkx_small_kernelIl19rocblas_complex_numIfELi16ELb0ELb0ELc84ELc85EKPKS1_KPS1_EviT_T0_PT6_S7_lSA_S7_lS8_PT7_S7_li,"axG",@progbits,_ZL32rocblas_syrkx_herkx_small_kernelIl19rocblas_complex_numIfELi16ELb0ELb0ELc84ELc85EKPKS1_KPS1_EviT_T0_PT6_S7_lSA_S7_lS8_PT7_S7_li,comdat
	.globl	_ZL32rocblas_syrkx_herkx_small_kernelIl19rocblas_complex_numIfELi16ELb0ELb0ELc84ELc85EKPKS1_KPS1_EviT_T0_PT6_S7_lSA_S7_lS8_PT7_S7_li ; -- Begin function _ZL32rocblas_syrkx_herkx_small_kernelIl19rocblas_complex_numIfELi16ELb0ELb0ELc84ELc85EKPKS1_KPS1_EviT_T0_PT6_S7_lSA_S7_lS8_PT7_S7_li
	.p2align	8
	.type	_ZL32rocblas_syrkx_herkx_small_kernelIl19rocblas_complex_numIfELi16ELb0ELb0ELc84ELc85EKPKS1_KPS1_EviT_T0_PT6_S7_lSA_S7_lS8_PT7_S7_li,@function
_ZL32rocblas_syrkx_herkx_small_kernelIl19rocblas_complex_numIfELi16ELb0ELb0ELc84ELc85EKPKS1_KPS1_EviT_T0_PT6_S7_lSA_S7_lS8_PT7_S7_li: ; @_ZL32rocblas_syrkx_herkx_small_kernelIl19rocblas_complex_numIfELi16ELb0ELb0ELc84ELc85EKPKS1_KPS1_EviT_T0_PT6_S7_lSA_S7_lS8_PT7_S7_li
; %bb.0:
	s_clause 0x2
	s_load_b128 s[16:19], s[0:1], 0x48
	s_load_b256 s[4:11], s[0:1], 0x8
	s_load_b32 s3, s[0:1], 0x0
	s_mov_b32 s20, s15
	s_mov_b32 s21, 0
	v_dual_mov_b32 v17, 0 :: v_dual_and_b32 v10, 0x3ff, v0
	s_lshl_b64 s[22:23], s[20:21], 3
	v_bfe_u32 v11, v0, 10, 10
	v_mov_b32_e32 v16, 0
	s_delay_alu instid0(VALU_DEP_3) | instskip(NEXT) | instid1(VALU_DEP_3)
	v_lshl_add_u32 v0, s13, 4, v10
	v_lshl_add_u32 v8, s14, 4, v11
	s_delay_alu instid0(VALU_DEP_2) | instskip(NEXT) | instid1(VALU_DEP_2)
	v_ashrrev_i32_e32 v1, 31, v0
	v_ashrrev_i32_e32 v9, 31, v8
	s_waitcnt lgkmcnt(0)
	s_add_u32 s18, s18, s22
	s_addc_u32 s19, s19, s23
	s_load_b64 s[20:21], s[0:1], 0x58
	s_load_b64 s[18:19], s[18:19], 0x0
	v_cmp_lt_i64_e64 s2, s[4:5], 1
	s_delay_alu instid0(VALU_DEP_1)
	s_and_b32 vcc_lo, exec_lo, s2
	v_cmp_gt_i32_e64 s2, s3, v8
	s_cbranch_vccnz .LBB1599_11
; %bb.1:
	s_load_b128 s[12:15], s[0:1], 0x30
	v_mul_lo_u32 v14, s11, v0
	v_mul_lo_u32 v15, s10, v1
	v_mad_u64_u32 v[5:6], null, s10, v0, 0
	v_lshlrev_b32_e32 v12, 3, v10
	v_dual_mov_b32 v2, 0 :: v_dual_lshlrev_b32 v7, 7, v11
	v_lshlrev_b32_e32 v17, 3, v11
	v_cmp_gt_i32_e32 vcc_lo, s3, v0
	v_add3_u32 v6, v6, v15, v14
	s_delay_alu instid0(VALU_DEP_4) | instskip(NEXT) | instid1(VALU_DEP_2)
	v_add_nc_u32_e32 v14, v12, v7
	v_lshlrev_b64 v[5:6], 3, v[5:6]
	s_waitcnt lgkmcnt(0)
	v_mul_lo_u32 v13, s15, v8
	v_mul_lo_u32 v16, s14, v9
	v_mad_u64_u32 v[3:4], null, s14, v8, 0
	s_add_u32 s0, s12, s22
	s_addc_u32 s1, s13, s23
	s_add_u32 s8, s8, s22
	s_load_b64 s[10:11], s[0:1], 0x0
	s_addc_u32 s9, s9, s23
	s_xor_b32 s2, s2, -1
	s_delay_alu instid0(VALU_DEP_1) | instskip(SKIP_3) | instid1(VALU_DEP_3)
	v_add3_u32 v4, v4, v16, v13
	v_mov_b32_e32 v16, 0
	s_load_b64 s[8:9], s[8:9], 0x0
	v_add_nc_u32_e32 v13, 0x800, v7
	v_lshlrev_b64 v[3:4], 3, v[3:4]
	s_delay_alu instid0(VALU_DEP_1) | instskip(NEXT) | instid1(VALU_DEP_1)
	v_add_co_u32 v3, s0, v3, v12
	v_add_co_ci_u32_e64 v7, s0, 0, v4, s0
	v_add_co_u32 v17, s0, v5, v17
	s_delay_alu instid0(VALU_DEP_1) | instskip(SKIP_2) | instid1(VALU_DEP_1)
	v_add_co_ci_u32_e64 v18, s0, 0, v6, s0
	s_waitcnt lgkmcnt(0)
	v_add_co_u32 v4, s0, s10, v3
	v_add_co_ci_u32_e64 v5, s0, s11, v7, s0
	v_add_co_u32 v6, s0, s8, v17
	s_delay_alu instid0(VALU_DEP_1)
	v_add_co_ci_u32_e64 v7, s0, s9, v18, s0
	v_mov_b32_e32 v17, 0
	v_add_nc_u32_e32 v15, v13, v12
	s_mov_b64 s[0:1], 0
	s_xor_b32 s8, vcc_lo, -1
	s_branch .LBB1599_3
.LBB1599_2:                             ;   in Loop: Header=BB1599_3 Depth=1
	s_or_b32 exec_lo, exec_lo, s9
	s_waitcnt lgkmcnt(0)
	s_barrier
	buffer_gl0_inv
	ds_load_2addr_b64 v[18:21], v12 offset1:16
	ds_load_b128 v[22:25], v13
	ds_load_b128 v[26:29], v13 offset:16
	ds_load_2addr_b64 v[30:33], v12 offset0:32 offset1:48
	ds_load_2addr_b64 v[34:37], v12 offset0:64 offset1:80
	ds_load_b128 v[38:41], v13 offset:32
	ds_load_b128 v[42:45], v13 offset:48
	ds_load_2addr_b64 v[46:49], v12 offset0:96 offset1:112
	ds_load_2addr_b64 v[50:53], v12 offset0:128 offset1:144
	;; [unrolled: 1-line block ×3, first 2 shown]
	ds_load_b128 v[58:61], v13 offset:64
	ds_load_b128 v[62:65], v13 offset:80
	s_add_u32 s0, s0, 16
	s_addc_u32 s1, s1, 0
	v_add_co_u32 v4, vcc_lo, 0x80, v4
	v_cmp_ge_i64_e64 s9, s[0:1], s[4:5]
	v_add_co_ci_u32_e32 v5, vcc_lo, 0, v5, vcc_lo
	v_add_co_u32 v6, vcc_lo, 0x80, v6
	s_waitcnt lgkmcnt(10)
	v_dual_mul_f32 v3, v23, v19 :: v_dual_mul_f32 v66, v25, v21
	s_waitcnt lgkmcnt(8)
	v_dual_mul_f32 v19, v22, v19 :: v_dual_mul_f32 v68, v29, v33
	v_mul_f32_e32 v21, v24, v21
	v_mul_f32_e32 v67, v27, v31
	;; [unrolled: 1-line block ×3, first 2 shown]
	s_delay_alu instid0(VALU_DEP_4)
	v_fmac_f32_e32 v19, v23, v18
	v_fma_f32 v3, v22, v18, -v3
	s_waitcnt lgkmcnt(6)
	v_dual_fmac_f32 v21, v25, v20 :: v_dual_mul_f32 v18, v40, v37
	v_mul_f32_e32 v33, v28, v33
	v_add_f32_e32 v16, v16, v19
	v_mul_f32_e32 v69, v39, v35
	v_fmac_f32_e32 v31, v27, v30
	v_fma_f32 v23, v24, v20, -v66
	v_fmac_f32_e32 v18, v41, v36
	v_dual_add_f32 v16, v16, v21 :: v_dual_fmac_f32 v33, v29, v32
	s_waitcnt lgkmcnt(1)
	v_mul_f32_e32 v24, v58, v51
	v_mul_f32_e32 v20, v42, v47
	v_add_f32_e32 v3, v17, v3
	v_add_f32_e32 v16, v16, v31
	v_mul_f32_e32 v35, v38, v35
	v_fma_f32 v21, v28, v32, -v68
	s_waitcnt lgkmcnt(0)
	v_mul_f32_e32 v32, v62, v55
	v_mul_f32_e32 v22, v41, v37
	v_dual_add_f32 v16, v16, v33 :: v_dual_fmac_f32 v35, v39, v34
	v_fma_f32 v19, v26, v30, -v67
	v_dual_fmac_f32 v20, v43, v46 :: v_dual_mul_f32 v27, v60, v53
	s_delay_alu instid0(VALU_DEP_4) | instskip(NEXT) | instid1(VALU_DEP_4)
	v_fma_f32 v22, v40, v36, -v22
	v_add_f32_e32 v16, v16, v35
	v_mul_f32_e32 v17, v43, v47
	v_add_co_ci_u32_e32 v7, vcc_lo, 0, v7, vcc_lo
	v_fmac_f32_e32 v24, v59, v50
	s_delay_alu instid0(VALU_DEP_4) | instskip(SKIP_3) | instid1(VALU_DEP_4)
	v_dual_add_f32 v16, v16, v18 :: v_dual_add_f32 v3, v3, v23
	v_mul_f32_e32 v26, v61, v53
	v_fma_f32 v23, v38, v34, -v69
	v_fmac_f32_e32 v27, v61, v52
	v_dual_add_f32 v20, v16, v20 :: v_dual_add_f32 v3, v3, v19
	v_mul_f32_e32 v19, v45, v49
	v_fma_f32 v17, v42, v46, -v17
	v_fmac_f32_e32 v32, v63, v54
	s_and_b32 vcc_lo, exec_lo, s9
	v_add_f32_e32 v3, v3, v21
	v_mul_f32_e32 v21, v44, v49
	s_delay_alu instid0(VALU_DEP_1) | instskip(NEXT) | instid1(VALU_DEP_1)
	v_dual_mul_f32 v36, v64, v57 :: v_dual_fmac_f32 v21, v45, v48
	v_dual_fmac_f32 v36, v65, v56 :: v_dual_add_f32 v25, v20, v21
	s_delay_alu instid0(VALU_DEP_1) | instskip(SKIP_2) | instid1(VALU_DEP_3)
	v_dual_add_f32 v24, v25, v24 :: v_dual_add_f32 v3, v3, v23
	v_fma_f32 v25, v60, v52, -v26
	v_mul_f32_e32 v26, v63, v55
	v_add_f32_e32 v33, v24, v27
	s_delay_alu instid0(VALU_DEP_4) | instskip(SKIP_3) | instid1(VALU_DEP_4)
	v_add_f32_e32 v3, v3, v22
	v_mul_f32_e32 v23, v59, v51
	v_fma_f32 v22, v44, v48, -v19
	v_fma_f32 v34, v62, v54, -v26
	v_dual_add_f32 v32, v33, v32 :: v_dual_add_f32 v3, v3, v17
	ds_load_2addr_b64 v[16:19], v12 offset0:192 offset1:208
	v_fma_f32 v23, v58, v50, -v23
	v_dual_add_f32 v32, v32, v36 :: v_dual_add_f32 v3, v3, v22
	s_delay_alu instid0(VALU_DEP_1)
	v_add_f32_e32 v3, v3, v23
	ds_load_b128 v[20:23], v13 offset:96
	v_add_f32_e32 v3, v3, v25
	ds_load_2addr_b64 v[24:27], v12 offset0:224 offset1:240
	ds_load_b128 v[28:31], v13 offset:112
	v_mul_f32_e32 v35, v65, v57
	s_waitcnt lgkmcnt(0)
	s_barrier
	v_add_f32_e32 v3, v3, v34
	buffer_gl0_inv
	v_fma_f32 v33, v64, v56, -v35
	s_delay_alu instid0(VALU_DEP_1) | instskip(SKIP_2) | instid1(VALU_DEP_2)
	v_add_f32_e32 v3, v3, v33
	v_mul_f32_e32 v34, v21, v17
	v_mul_f32_e32 v17, v20, v17
	v_fma_f32 v20, v20, v16, -v34
	s_delay_alu instid0(VALU_DEP_2) | instskip(SKIP_1) | instid1(VALU_DEP_3)
	v_dual_fmac_f32 v17, v21, v16 :: v_dual_mul_f32 v16, v23, v19
	v_mul_f32_e32 v19, v22, v19
	v_add_f32_e32 v3, v3, v20
	s_delay_alu instid0(VALU_DEP_3) | instskip(NEXT) | instid1(VALU_DEP_4)
	v_add_f32_e32 v17, v32, v17
	v_fma_f32 v16, v22, v18, -v16
	s_delay_alu instid0(VALU_DEP_4) | instskip(NEXT) | instid1(VALU_DEP_2)
	v_dual_fmac_f32 v19, v23, v18 :: v_dual_mul_f32 v18, v29, v25
	v_dual_mul_f32 v20, v28, v25 :: v_dual_add_f32 v3, v3, v16
	s_delay_alu instid0(VALU_DEP_2) | instskip(NEXT) | instid1(VALU_DEP_3)
	v_add_f32_e32 v16, v17, v19
	v_fma_f32 v17, v28, v24, -v18
	s_delay_alu instid0(VALU_DEP_3) | instskip(SKIP_2) | instid1(VALU_DEP_3)
	v_fmac_f32_e32 v20, v29, v24
	v_mul_f32_e32 v18, v31, v27
	v_mul_f32_e32 v19, v30, v27
	v_dual_add_f32 v3, v3, v17 :: v_dual_add_f32 v16, v16, v20
	s_delay_alu instid0(VALU_DEP_3) | instskip(NEXT) | instid1(VALU_DEP_3)
	v_fma_f32 v17, v30, v26, -v18
	v_fmac_f32_e32 v19, v31, v26
	s_delay_alu instid0(VALU_DEP_1)
	v_dual_add_f32 v17, v3, v17 :: v_dual_add_f32 v16, v16, v19
	s_cbranch_vccnz .LBB1599_11
.LBB1599_3:                             ; =>This Inner Loop Header: Depth=1
	v_add_co_u32 v18, s9, v11, s0
	s_delay_alu instid0(VALU_DEP_1) | instskip(NEXT) | instid1(VALU_DEP_1)
	v_add_co_ci_u32_e64 v19, null, 0, s1, s9
	v_cmp_le_i64_e32 vcc_lo, s[4:5], v[18:19]
	s_or_b32 s9, s8, vcc_lo
	s_delay_alu instid0(SALU_CYCLE_1) | instskip(NEXT) | instid1(SALU_CYCLE_1)
	s_and_saveexec_b32 s10, s9
	s_xor_b32 s9, exec_lo, s10
	s_cbranch_execz .LBB1599_5
; %bb.4:                                ;   in Loop: Header=BB1599_3 Depth=1
	v_mov_b32_e32 v3, v2
	ds_store_b64 v14, v[2:3]
.LBB1599_5:                             ;   in Loop: Header=BB1599_3 Depth=1
	s_and_not1_saveexec_b32 s9, s9
	s_cbranch_execz .LBB1599_7
; %bb.6:                                ;   in Loop: Header=BB1599_3 Depth=1
	global_load_b64 v[18:19], v[6:7], off
	s_waitcnt vmcnt(0)
	ds_store_b64 v14, v[18:19]
.LBB1599_7:                             ;   in Loop: Header=BB1599_3 Depth=1
	s_or_b32 exec_lo, exec_lo, s9
	v_add_co_u32 v18, s9, v10, s0
	s_delay_alu instid0(VALU_DEP_1) | instskip(NEXT) | instid1(VALU_DEP_1)
	v_add_co_ci_u32_e64 v19, null, 0, s1, s9
	v_cmp_le_i64_e32 vcc_lo, s[4:5], v[18:19]
	s_or_b32 s9, s2, vcc_lo
	s_delay_alu instid0(SALU_CYCLE_1) | instskip(NEXT) | instid1(SALU_CYCLE_1)
	s_and_saveexec_b32 s10, s9
	s_xor_b32 s9, exec_lo, s10
	s_cbranch_execz .LBB1599_9
; %bb.8:                                ;   in Loop: Header=BB1599_3 Depth=1
	v_mov_b32_e32 v3, v2
	ds_store_b64 v15, v[2:3]
.LBB1599_9:                             ;   in Loop: Header=BB1599_3 Depth=1
	s_and_not1_saveexec_b32 s9, s9
	s_cbranch_execz .LBB1599_2
; %bb.10:                               ;   in Loop: Header=BB1599_3 Depth=1
	global_load_b64 v[18:19], v[4:5], off
	s_waitcnt vmcnt(0)
	ds_store_b64 v15, v[18:19]
	s_branch .LBB1599_2
.LBB1599_11:
	v_cmp_le_i32_e32 vcc_lo, v0, v8
	v_cmp_gt_i32_e64 s0, s3, v8
	s_delay_alu instid0(VALU_DEP_1) | instskip(NEXT) | instid1(SALU_CYCLE_1)
	s_and_b32 s0, vcc_lo, s0
	s_and_saveexec_b32 s1, s0
	s_cbranch_execz .LBB1599_13
; %bb.12:
	s_waitcnt lgkmcnt(0)
	v_mul_lo_u32 v4, v8, s21
	v_mul_lo_u32 v5, v9, s20
	v_mad_u64_u32 v[2:3], null, v8, s20, 0
	v_lshlrev_b64 v[0:1], 3, v[0:1]
	s_delay_alu instid0(VALU_DEP_2) | instskip(NEXT) | instid1(VALU_DEP_1)
	v_add3_u32 v3, v3, v4, v5
	v_lshlrev_b64 v[2:3], 3, v[2:3]
	s_delay_alu instid0(VALU_DEP_1) | instskip(NEXT) | instid1(VALU_DEP_2)
	v_add_co_u32 v2, vcc_lo, s18, v2
	v_add_co_ci_u32_e32 v3, vcc_lo, s19, v3, vcc_lo
	s_delay_alu instid0(VALU_DEP_2) | instskip(NEXT) | instid1(VALU_DEP_2)
	v_add_co_u32 v0, vcc_lo, v2, v0
	v_add_co_ci_u32_e32 v1, vcc_lo, v3, v1, vcc_lo
	global_load_b64 v[2:3], v[0:1], off
	v_mul_f32_e32 v4, s7, v16
	s_waitcnt vmcnt(0)
	v_dual_mul_f32 v5, s6, v16 :: v_dual_mul_f32 v6, s17, v3
	v_mul_f32_e32 v3, s16, v3
	s_delay_alu instid0(VALU_DEP_3) | instskip(NEXT) | instid1(VALU_DEP_3)
	v_fma_f32 v4, v17, s6, -v4
	v_fma_f32 v6, v2, s16, -v6
	s_delay_alu instid0(VALU_DEP_4) | instskip(NEXT) | instid1(VALU_DEP_4)
	v_fmac_f32_e32 v5, s7, v17
	v_fmac_f32_e32 v3, s17, v2
	s_delay_alu instid0(VALU_DEP_1)
	v_dual_add_f32 v2, v4, v6 :: v_dual_add_f32 v3, v5, v3
	global_store_b64 v[0:1], v[2:3], off
.LBB1599_13:
	s_nop 0
	s_sendmsg sendmsg(MSG_DEALLOC_VGPRS)
	s_endpgm
	.section	.rodata,"a",@progbits
	.p2align	6, 0x0
	.amdhsa_kernel _ZL32rocblas_syrkx_herkx_small_kernelIl19rocblas_complex_numIfELi16ELb0ELb0ELc84ELc85EKPKS1_KPS1_EviT_T0_PT6_S7_lSA_S7_lS8_PT7_S7_li
		.amdhsa_group_segment_fixed_size 4096
		.amdhsa_private_segment_fixed_size 0
		.amdhsa_kernarg_size 108
		.amdhsa_user_sgpr_count 13
		.amdhsa_user_sgpr_dispatch_ptr 0
		.amdhsa_user_sgpr_queue_ptr 0
		.amdhsa_user_sgpr_kernarg_segment_ptr 1
		.amdhsa_user_sgpr_dispatch_id 0
		.amdhsa_user_sgpr_private_segment_size 0
		.amdhsa_wavefront_size32 1
		.amdhsa_uses_dynamic_stack 0
		.amdhsa_enable_private_segment 0
		.amdhsa_system_sgpr_workgroup_id_x 1
		.amdhsa_system_sgpr_workgroup_id_y 1
		.amdhsa_system_sgpr_workgroup_id_z 1
		.amdhsa_system_sgpr_workgroup_info 0
		.amdhsa_system_vgpr_workitem_id 1
		.amdhsa_next_free_vgpr 70
		.amdhsa_next_free_sgpr 24
		.amdhsa_reserve_vcc 1
		.amdhsa_float_round_mode_32 0
		.amdhsa_float_round_mode_16_64 0
		.amdhsa_float_denorm_mode_32 3
		.amdhsa_float_denorm_mode_16_64 3
		.amdhsa_dx10_clamp 1
		.amdhsa_ieee_mode 1
		.amdhsa_fp16_overflow 0
		.amdhsa_workgroup_processor_mode 1
		.amdhsa_memory_ordered 1
		.amdhsa_forward_progress 0
		.amdhsa_shared_vgpr_count 0
		.amdhsa_exception_fp_ieee_invalid_op 0
		.amdhsa_exception_fp_denorm_src 0
		.amdhsa_exception_fp_ieee_div_zero 0
		.amdhsa_exception_fp_ieee_overflow 0
		.amdhsa_exception_fp_ieee_underflow 0
		.amdhsa_exception_fp_ieee_inexact 0
		.amdhsa_exception_int_div_zero 0
	.end_amdhsa_kernel
	.section	.text._ZL32rocblas_syrkx_herkx_small_kernelIl19rocblas_complex_numIfELi16ELb0ELb0ELc84ELc85EKPKS1_KPS1_EviT_T0_PT6_S7_lSA_S7_lS8_PT7_S7_li,"axG",@progbits,_ZL32rocblas_syrkx_herkx_small_kernelIl19rocblas_complex_numIfELi16ELb0ELb0ELc84ELc85EKPKS1_KPS1_EviT_T0_PT6_S7_lSA_S7_lS8_PT7_S7_li,comdat
.Lfunc_end1599:
	.size	_ZL32rocblas_syrkx_herkx_small_kernelIl19rocblas_complex_numIfELi16ELb0ELb0ELc84ELc85EKPKS1_KPS1_EviT_T0_PT6_S7_lSA_S7_lS8_PT7_S7_li, .Lfunc_end1599-_ZL32rocblas_syrkx_herkx_small_kernelIl19rocblas_complex_numIfELi16ELb0ELb0ELc84ELc85EKPKS1_KPS1_EviT_T0_PT6_S7_lSA_S7_lS8_PT7_S7_li
                                        ; -- End function
	.section	.AMDGPU.csdata,"",@progbits
; Kernel info:
; codeLenInByte = 1556
; NumSgprs: 26
; NumVgprs: 70
; ScratchSize: 0
; MemoryBound: 1
; FloatMode: 240
; IeeeMode: 1
; LDSByteSize: 4096 bytes/workgroup (compile time only)
; SGPRBlocks: 3
; VGPRBlocks: 8
; NumSGPRsForWavesPerEU: 26
; NumVGPRsForWavesPerEU: 70
; Occupancy: 16
; WaveLimiterHint : 1
; COMPUTE_PGM_RSRC2:SCRATCH_EN: 0
; COMPUTE_PGM_RSRC2:USER_SGPR: 13
; COMPUTE_PGM_RSRC2:TRAP_HANDLER: 0
; COMPUTE_PGM_RSRC2:TGID_X_EN: 1
; COMPUTE_PGM_RSRC2:TGID_Y_EN: 1
; COMPUTE_PGM_RSRC2:TGID_Z_EN: 1
; COMPUTE_PGM_RSRC2:TIDIG_COMP_CNT: 1
	.section	.text._ZL32rocblas_syrkx_herkx_small_kernelIl19rocblas_complex_numIfELi16ELb0ELb0ELc67ELc85EKPKS1_KPS1_EviT_T0_PT6_S7_lSA_S7_lS8_PT7_S7_li,"axG",@progbits,_ZL32rocblas_syrkx_herkx_small_kernelIl19rocblas_complex_numIfELi16ELb0ELb0ELc67ELc85EKPKS1_KPS1_EviT_T0_PT6_S7_lSA_S7_lS8_PT7_S7_li,comdat
	.globl	_ZL32rocblas_syrkx_herkx_small_kernelIl19rocblas_complex_numIfELi16ELb0ELb0ELc67ELc85EKPKS1_KPS1_EviT_T0_PT6_S7_lSA_S7_lS8_PT7_S7_li ; -- Begin function _ZL32rocblas_syrkx_herkx_small_kernelIl19rocblas_complex_numIfELi16ELb0ELb0ELc67ELc85EKPKS1_KPS1_EviT_T0_PT6_S7_lSA_S7_lS8_PT7_S7_li
	.p2align	8
	.type	_ZL32rocblas_syrkx_herkx_small_kernelIl19rocblas_complex_numIfELi16ELb0ELb0ELc67ELc85EKPKS1_KPS1_EviT_T0_PT6_S7_lSA_S7_lS8_PT7_S7_li,@function
_ZL32rocblas_syrkx_herkx_small_kernelIl19rocblas_complex_numIfELi16ELb0ELb0ELc67ELc85EKPKS1_KPS1_EviT_T0_PT6_S7_lSA_S7_lS8_PT7_S7_li: ; @_ZL32rocblas_syrkx_herkx_small_kernelIl19rocblas_complex_numIfELi16ELb0ELb0ELc67ELc85EKPKS1_KPS1_EviT_T0_PT6_S7_lSA_S7_lS8_PT7_S7_li
; %bb.0:
	s_clause 0x2
	s_load_b128 s[16:19], s[0:1], 0x48
	s_load_b256 s[4:11], s[0:1], 0x8
	s_load_b32 s3, s[0:1], 0x0
	s_mov_b32 s20, s15
	s_mov_b32 s21, 0
	v_dual_mov_b32 v19, 0 :: v_dual_and_b32 v12, 0x3ff, v0
	s_lshl_b64 s[22:23], s[20:21], 3
	v_bfe_u32 v13, v0, 10, 10
	v_mov_b32_e32 v18, 0
	s_delay_alu instid0(VALU_DEP_3) | instskip(NEXT) | instid1(VALU_DEP_3)
	v_lshl_add_u32 v0, s13, 4, v12
	v_lshl_add_u32 v10, s14, 4, v13
	s_delay_alu instid0(VALU_DEP_2) | instskip(NEXT) | instid1(VALU_DEP_2)
	v_ashrrev_i32_e32 v1, 31, v0
	v_ashrrev_i32_e32 v11, 31, v10
	s_waitcnt lgkmcnt(0)
	s_add_u32 s18, s18, s22
	s_addc_u32 s19, s19, s23
	s_load_b64 s[20:21], s[0:1], 0x58
	s_load_b64 s[18:19], s[18:19], 0x0
	v_cmp_lt_i64_e64 s2, s[4:5], 1
	s_delay_alu instid0(VALU_DEP_1)
	s_and_b32 vcc_lo, exec_lo, s2
	v_cmp_gt_i32_e64 s2, s3, v10
	s_cbranch_vccnz .LBB1600_9
; %bb.1:
	s_load_b128 s[12:15], s[0:1], 0x30
	v_mul_lo_u32 v8, s11, v0
	v_mul_lo_u32 v9, s10, v1
	v_mad_u64_u32 v[3:4], null, s10, v0, 0
	v_dual_mov_b32 v19, 0 :: v_dual_lshlrev_b32 v14, 3, v12
	v_dual_mov_b32 v2, 0 :: v_dual_lshlrev_b32 v7, 7, v13
	v_cmp_gt_i32_e64 s0, s3, v0
	v_mov_b32_e32 v18, 0
	v_add3_u32 v4, v4, v9, v8
	v_lshlrev_b32_e32 v8, 3, v13
	v_add_nc_u32_e32 v15, 0x800, v7
	s_delay_alu instid0(VALU_DEP_3)
	v_lshlrev_b64 v[3:4], 3, v[3:4]
	s_waitcnt lgkmcnt(0)
	s_add_u32 s10, s12, s22
	s_addc_u32 s11, s13, s23
	s_add_u32 s8, s8, s22
	v_mul_lo_u32 v16, s15, v10
	v_mul_lo_u32 v17, s14, v11
	v_mad_u64_u32 v[5:6], null, s14, v10, 0
	s_addc_u32 s9, s9, s23
	s_load_b64 s[10:11], s[10:11], 0x0
	s_load_b64 s[8:9], s[8:9], 0x0
	v_add_co_u32 v3, vcc_lo, v3, v8
	v_add_co_ci_u32_e32 v4, vcc_lo, 0, v4, vcc_lo
	s_delay_alu instid0(VALU_DEP_3) | instskip(SKIP_3) | instid1(VALU_DEP_3)
	v_add3_u32 v6, v6, v17, v16
	v_add_nc_u32_e32 v16, v14, v7
	v_add_nc_u32_e32 v17, v15, v14
	s_xor_b32 s1, s2, -1
	v_lshlrev_b64 v[5:6], 3, v[5:6]
	s_delay_alu instid0(VALU_DEP_1) | instskip(NEXT) | instid1(VALU_DEP_2)
	v_add_co_u32 v5, vcc_lo, v5, v14
	v_add_co_ci_u32_e32 v6, vcc_lo, 0, v6, vcc_lo
	s_waitcnt lgkmcnt(0)
	v_add_co_u32 v3, vcc_lo, v3, s8
	v_add_co_ci_u32_e32 v7, vcc_lo, s9, v4, vcc_lo
	v_add_co_u32 v4, vcc_lo, s10, v5
	v_add_co_ci_u32_e32 v5, vcc_lo, s11, v6, vcc_lo
	s_delay_alu instid0(VALU_DEP_4) | instskip(NEXT) | instid1(VALU_DEP_4)
	v_add_co_u32 v6, vcc_lo, v3, 4
	v_add_co_ci_u32_e32 v7, vcc_lo, 0, v7, vcc_lo
	s_mov_b64 s[8:9], 0
	s_branch .LBB1600_3
.LBB1600_2:                             ;   in Loop: Header=BB1600_3 Depth=1
	s_or_b32 exec_lo, exec_lo, s2
	s_waitcnt lgkmcnt(0)
	s_barrier
	buffer_gl0_inv
	ds_load_2addr_b64 v[20:23], v14 offset1:16
	ds_load_b128 v[24:27], v15
	ds_load_b128 v[28:31], v15 offset:16
	ds_load_2addr_b64 v[32:35], v14 offset0:32 offset1:48
	ds_load_2addr_b64 v[36:39], v14 offset0:64 offset1:80
	ds_load_b128 v[40:43], v15 offset:32
	ds_load_b128 v[44:47], v15 offset:48
	ds_load_2addr_b64 v[48:51], v14 offset0:96 offset1:112
	ds_load_2addr_b64 v[52:55], v14 offset0:128 offset1:144
	;; [unrolled: 1-line block ×3, first 2 shown]
	ds_load_b128 v[60:63], v15 offset:64
	ds_load_b128 v[64:67], v15 offset:80
	s_add_u32 s8, s8, 16
	s_addc_u32 s9, s9, 0
	v_add_co_u32 v4, vcc_lo, 0x80, v4
	v_cmp_ge_i64_e64 s2, s[8:9], s[4:5]
	v_add_co_ci_u32_e32 v5, vcc_lo, 0, v5, vcc_lo
	v_add_co_u32 v6, vcc_lo, 0x80, v6
	s_waitcnt lgkmcnt(10)
	v_mul_f32_e32 v3, v25, v21
	v_dual_mul_f32 v8, v24, v21 :: v_dual_mul_f32 v9, v27, v23
	v_mul_f32_e32 v21, v26, v23
	s_waitcnt lgkmcnt(8)
	v_mul_f32_e32 v23, v29, v33
	v_dual_mul_f32 v33, v28, v33 :: v_dual_mul_f32 v68, v31, v35
	v_fma_f32 v3, v24, v20, -v3
	v_fmac_f32_e32 v8, v25, v20
	s_waitcnt lgkmcnt(6)
	v_dual_mul_f32 v20, v42, v39 :: v_dual_mul_f32 v69, v41, v37
	v_mul_f32_e32 v37, v40, v37
	v_mul_f32_e32 v35, v30, v35
	v_add_f32_e32 v8, v18, v8
	s_waitcnt lgkmcnt(4)
	v_mul_f32_e32 v18, v45, v49
	v_dual_fmac_f32 v20, v43, v38 :: v_dual_fmac_f32 v37, v41, v36
	v_fmac_f32_e32 v33, v29, v32
	v_fmac_f32_e32 v21, v27, v22
	v_add_f32_e32 v3, v19, v3
	v_fma_f32 v9, v26, v22, -v9
	v_fmac_f32_e32 v35, v31, v34
	v_mul_f32_e32 v24, v43, v39
	v_add_f32_e32 v8, v8, v21
	v_fma_f32 v19, v28, v32, -v23
	s_waitcnt lgkmcnt(1)
	v_mul_f32_e32 v26, v60, v53
	v_fma_f32 v21, v30, v34, -v68
	v_fma_f32 v22, v40, v36, -v69
	v_add_f32_e32 v8, v8, v33
	v_add_f32_e32 v3, v3, v9
	v_dual_mul_f32 v9, v44, v49 :: v_dual_fmac_f32 v26, v61, v52
	v_mul_f32_e32 v23, v46, v51
	s_delay_alu instid0(VALU_DEP_4) | instskip(NEXT) | instid1(VALU_DEP_4)
	v_add_f32_e32 v8, v8, v35
	v_add_f32_e32 v3, v3, v19
	v_mul_f32_e32 v19, v47, v51
	v_fmac_f32_e32 v9, v45, v48
	s_waitcnt lgkmcnt(0)
	v_dual_fmac_f32 v23, v47, v50 :: v_dual_mul_f32 v34, v64, v57
	v_add_f32_e32 v8, v8, v37
	v_fma_f32 v18, v44, v48, -v18
	v_mul_f32_e32 v27, v63, v55
	v_mul_f32_e32 v28, v62, v55
	v_fmac_f32_e32 v34, v65, v56
	v_add_f32_e32 v8, v8, v20
	v_add_co_ci_u32_e32 v7, vcc_lo, 0, v7, vcc_lo
	s_delay_alu instid0(VALU_DEP_4) | instskip(SKIP_1) | instid1(VALU_DEP_3)
	v_fmac_f32_e32 v28, v63, v54
	s_and_b32 vcc_lo, exec_lo, s2
	v_add_f32_e32 v8, v8, v9
	v_add_f32_e32 v3, v3, v21
	v_fma_f32 v21, v42, v38, -v24
	v_fma_f32 v24, v46, v50, -v19
	v_mul_f32_e32 v36, v66, v59
	s_delay_alu instid0(VALU_DEP_4) | instskip(SKIP_1) | instid1(VALU_DEP_2)
	v_dual_add_f32 v8, v8, v23 :: v_dual_add_f32 v3, v3, v22
	v_mul_f32_e32 v22, v61, v53
	v_dual_add_f32 v8, v8, v26 :: v_dual_add_f32 v3, v3, v21
	s_delay_alu instid0(VALU_DEP_2) | instskip(SKIP_1) | instid1(VALU_DEP_3)
	v_fma_f32 v9, v60, v52, -v22
	v_mul_f32_e32 v26, v65, v57
	v_dual_add_f32 v8, v8, v28 :: v_dual_add_f32 v3, v3, v18
	ds_load_2addr_b64 v[18:21], v14 offset0:192 offset1:208
	v_dual_add_f32 v8, v8, v34 :: v_dual_add_f32 v3, v3, v24
	ds_load_b128 v[22:25], v15 offset:96
	v_fmac_f32_e32 v36, v67, v58
	v_mul_f32_e32 v35, v67, v59
	v_add_f32_e32 v3, v3, v9
	v_fma_f32 v9, v62, v54, -v27
	s_waitcnt lgkmcnt(0)
	v_mul_f32_e32 v34, v23, v19
	v_mul_f32_e32 v19, v22, v19
	s_delay_alu instid0(VALU_DEP_3)
	v_dual_add_f32 v3, v3, v9 :: v_dual_add_f32 v8, v8, v36
	v_fma_f32 v9, v64, v56, -v26
	ds_load_2addr_b64 v[26:29], v14 offset0:224 offset1:240
	ds_load_b128 v[30:33], v15 offset:112
	v_fmac_f32_e32 v19, v23, v18
	s_waitcnt lgkmcnt(0)
	s_barrier
	v_add_f32_e32 v3, v3, v9
	v_fma_f32 v9, v66, v58, -v35
	v_add_f32_e32 v8, v8, v19
	buffer_gl0_inv
	v_mul_f32_e32 v19, v30, v27
	s_delay_alu instid0(VALU_DEP_1) | instskip(SKIP_4) | instid1(VALU_DEP_1)
	v_fmac_f32_e32 v19, v31, v26
	v_add_f32_e32 v3, v3, v9
	v_fma_f32 v9, v22, v18, -v34
	v_mul_f32_e32 v18, v25, v21
	v_mul_f32_e32 v21, v24, v21
	v_fmac_f32_e32 v21, v25, v20
	s_delay_alu instid0(VALU_DEP_1) | instskip(NEXT) | instid1(VALU_DEP_1)
	v_add_f32_e32 v8, v8, v21
	v_dual_add_f32 v8, v8, v19 :: v_dual_add_f32 v3, v3, v9
	v_fma_f32 v9, v24, v20, -v18
	v_mul_f32_e32 v18, v31, v27
	v_mul_f32_e32 v20, v32, v29
	s_delay_alu instid0(VALU_DEP_1) | instskip(NEXT) | instid1(VALU_DEP_3)
	v_dual_fmac_f32 v20, v33, v28 :: v_dual_add_f32 v3, v3, v9
	v_fma_f32 v9, v30, v26, -v18
	v_mul_f32_e32 v18, v33, v29
	s_delay_alu instid0(VALU_DEP_2) | instskip(NEXT) | instid1(VALU_DEP_2)
	v_add_f32_e32 v3, v3, v9
	v_fma_f32 v9, v32, v28, -v18
	s_delay_alu instid0(VALU_DEP_1)
	v_dual_add_f32 v18, v8, v20 :: v_dual_add_f32 v19, v3, v9
	s_cbranch_vccnz .LBB1600_9
.LBB1600_3:                             ; =>This Inner Loop Header: Depth=1
	v_add_co_u32 v8, s2, v13, s8
	s_delay_alu instid0(VALU_DEP_1) | instskip(NEXT) | instid1(VALU_DEP_1)
	v_add_co_ci_u32_e64 v9, null, 0, s9, s2
	v_cmp_gt_i64_e32 vcc_lo, s[4:5], v[8:9]
	v_dual_mov_b32 v8, 0 :: v_dual_mov_b32 v9, 0
	s_and_b32 s10, s0, vcc_lo
	s_delay_alu instid0(SALU_CYCLE_1)
	s_and_saveexec_b32 s2, s10
	s_cbranch_execz .LBB1600_5
; %bb.4:                                ;   in Loop: Header=BB1600_3 Depth=1
	global_load_b64 v[8:9], v[6:7], off offset:-4
.LBB1600_5:                             ;   in Loop: Header=BB1600_3 Depth=1
	s_or_b32 exec_lo, exec_lo, s2
	v_add_co_u32 v20, s2, v12, s8
	s_delay_alu instid0(VALU_DEP_1) | instskip(SKIP_4) | instid1(SALU_CYCLE_1)
	v_add_co_ci_u32_e64 v21, null, 0, s9, s2
	s_waitcnt vmcnt(0)
	ds_store_b64 v16, v[8:9]
	v_cmp_le_i64_e32 vcc_lo, s[4:5], v[20:21]
	s_or_b32 s2, s1, vcc_lo
	s_and_saveexec_b32 s10, s2
	s_delay_alu instid0(SALU_CYCLE_1)
	s_xor_b32 s2, exec_lo, s10
	s_cbranch_execz .LBB1600_7
; %bb.6:                                ;   in Loop: Header=BB1600_3 Depth=1
	v_mov_b32_e32 v3, v2
	ds_store_b64 v17, v[2:3]
.LBB1600_7:                             ;   in Loop: Header=BB1600_3 Depth=1
	s_and_not1_saveexec_b32 s2, s2
	s_cbranch_execz .LBB1600_2
; %bb.8:                                ;   in Loop: Header=BB1600_3 Depth=1
	global_load_b64 v[8:9], v[4:5], off
	s_waitcnt vmcnt(0)
	ds_store_b64 v17, v[8:9]
	s_branch .LBB1600_2
.LBB1600_9:
	v_cmp_le_i32_e32 vcc_lo, v0, v10
	v_cmp_gt_i32_e64 s0, s3, v10
	s_delay_alu instid0(VALU_DEP_1) | instskip(NEXT) | instid1(SALU_CYCLE_1)
	s_and_b32 s0, vcc_lo, s0
	s_and_saveexec_b32 s1, s0
	s_cbranch_execz .LBB1600_11
; %bb.10:
	s_waitcnt lgkmcnt(0)
	v_mul_lo_u32 v4, v10, s21
	v_mul_lo_u32 v5, v11, s20
	v_mad_u64_u32 v[2:3], null, v10, s20, 0
	v_lshlrev_b64 v[0:1], 3, v[0:1]
	s_delay_alu instid0(VALU_DEP_2) | instskip(NEXT) | instid1(VALU_DEP_1)
	v_add3_u32 v3, v3, v4, v5
	v_lshlrev_b64 v[2:3], 3, v[2:3]
	s_delay_alu instid0(VALU_DEP_1) | instskip(NEXT) | instid1(VALU_DEP_2)
	v_add_co_u32 v2, vcc_lo, s18, v2
	v_add_co_ci_u32_e32 v3, vcc_lo, s19, v3, vcc_lo
	s_delay_alu instid0(VALU_DEP_2) | instskip(NEXT) | instid1(VALU_DEP_2)
	v_add_co_u32 v0, vcc_lo, v2, v0
	v_add_co_ci_u32_e32 v1, vcc_lo, v3, v1, vcc_lo
	global_load_b64 v[2:3], v[0:1], off
	v_mul_f32_e32 v4, s7, v18
	s_waitcnt vmcnt(0)
	v_dual_mul_f32 v5, s6, v18 :: v_dual_mul_f32 v6, s17, v3
	v_mul_f32_e32 v3, s16, v3
	s_delay_alu instid0(VALU_DEP_3) | instskip(NEXT) | instid1(VALU_DEP_3)
	v_fma_f32 v4, v19, s6, -v4
	v_fma_f32 v6, v2, s16, -v6
	s_delay_alu instid0(VALU_DEP_4) | instskip(NEXT) | instid1(VALU_DEP_4)
	v_fmac_f32_e32 v5, s7, v19
	v_fmac_f32_e32 v3, s17, v2
	s_delay_alu instid0(VALU_DEP_1)
	v_dual_add_f32 v2, v4, v6 :: v_dual_add_f32 v3, v5, v3
	global_store_b64 v[0:1], v[2:3], off
.LBB1600_11:
	s_nop 0
	s_sendmsg sendmsg(MSG_DEALLOC_VGPRS)
	s_endpgm
	.section	.rodata,"a",@progbits
	.p2align	6, 0x0
	.amdhsa_kernel _ZL32rocblas_syrkx_herkx_small_kernelIl19rocblas_complex_numIfELi16ELb0ELb0ELc67ELc85EKPKS1_KPS1_EviT_T0_PT6_S7_lSA_S7_lS8_PT7_S7_li
		.amdhsa_group_segment_fixed_size 4096
		.amdhsa_private_segment_fixed_size 0
		.amdhsa_kernarg_size 108
		.amdhsa_user_sgpr_count 13
		.amdhsa_user_sgpr_dispatch_ptr 0
		.amdhsa_user_sgpr_queue_ptr 0
		.amdhsa_user_sgpr_kernarg_segment_ptr 1
		.amdhsa_user_sgpr_dispatch_id 0
		.amdhsa_user_sgpr_private_segment_size 0
		.amdhsa_wavefront_size32 1
		.amdhsa_uses_dynamic_stack 0
		.amdhsa_enable_private_segment 0
		.amdhsa_system_sgpr_workgroup_id_x 1
		.amdhsa_system_sgpr_workgroup_id_y 1
		.amdhsa_system_sgpr_workgroup_id_z 1
		.amdhsa_system_sgpr_workgroup_info 0
		.amdhsa_system_vgpr_workitem_id 1
		.amdhsa_next_free_vgpr 70
		.amdhsa_next_free_sgpr 24
		.amdhsa_reserve_vcc 1
		.amdhsa_float_round_mode_32 0
		.amdhsa_float_round_mode_16_64 0
		.amdhsa_float_denorm_mode_32 3
		.amdhsa_float_denorm_mode_16_64 3
		.amdhsa_dx10_clamp 1
		.amdhsa_ieee_mode 1
		.amdhsa_fp16_overflow 0
		.amdhsa_workgroup_processor_mode 1
		.amdhsa_memory_ordered 1
		.amdhsa_forward_progress 0
		.amdhsa_shared_vgpr_count 0
		.amdhsa_exception_fp_ieee_invalid_op 0
		.amdhsa_exception_fp_denorm_src 0
		.amdhsa_exception_fp_ieee_div_zero 0
		.amdhsa_exception_fp_ieee_overflow 0
		.amdhsa_exception_fp_ieee_underflow 0
		.amdhsa_exception_fp_ieee_inexact 0
		.amdhsa_exception_int_div_zero 0
	.end_amdhsa_kernel
	.section	.text._ZL32rocblas_syrkx_herkx_small_kernelIl19rocblas_complex_numIfELi16ELb0ELb0ELc67ELc85EKPKS1_KPS1_EviT_T0_PT6_S7_lSA_S7_lS8_PT7_S7_li,"axG",@progbits,_ZL32rocblas_syrkx_herkx_small_kernelIl19rocblas_complex_numIfELi16ELb0ELb0ELc67ELc85EKPKS1_KPS1_EviT_T0_PT6_S7_lSA_S7_lS8_PT7_S7_li,comdat
.Lfunc_end1600:
	.size	_ZL32rocblas_syrkx_herkx_small_kernelIl19rocblas_complex_numIfELi16ELb0ELb0ELc67ELc85EKPKS1_KPS1_EviT_T0_PT6_S7_lSA_S7_lS8_PT7_S7_li, .Lfunc_end1600-_ZL32rocblas_syrkx_herkx_small_kernelIl19rocblas_complex_numIfELi16ELb0ELb0ELc67ELc85EKPKS1_KPS1_EviT_T0_PT6_S7_lSA_S7_lS8_PT7_S7_li
                                        ; -- End function
	.section	.AMDGPU.csdata,"",@progbits
; Kernel info:
; codeLenInByte = 1520
; NumSgprs: 26
; NumVgprs: 70
; ScratchSize: 0
; MemoryBound: 1
; FloatMode: 240
; IeeeMode: 1
; LDSByteSize: 4096 bytes/workgroup (compile time only)
; SGPRBlocks: 3
; VGPRBlocks: 8
; NumSGPRsForWavesPerEU: 26
; NumVGPRsForWavesPerEU: 70
; Occupancy: 16
; WaveLimiterHint : 1
; COMPUTE_PGM_RSRC2:SCRATCH_EN: 0
; COMPUTE_PGM_RSRC2:USER_SGPR: 13
; COMPUTE_PGM_RSRC2:TRAP_HANDLER: 0
; COMPUTE_PGM_RSRC2:TGID_X_EN: 1
; COMPUTE_PGM_RSRC2:TGID_Y_EN: 1
; COMPUTE_PGM_RSRC2:TGID_Z_EN: 1
; COMPUTE_PGM_RSRC2:TIDIG_COMP_CNT: 1
	.section	.text._ZL32rocblas_syrkx_herkx_small_kernelIl19rocblas_complex_numIfELi16ELb0ELb0ELc78ELc85EKPKS1_KPS1_EviT_T0_PT6_S7_lSA_S7_lS8_PT7_S7_li,"axG",@progbits,_ZL32rocblas_syrkx_herkx_small_kernelIl19rocblas_complex_numIfELi16ELb0ELb0ELc78ELc85EKPKS1_KPS1_EviT_T0_PT6_S7_lSA_S7_lS8_PT7_S7_li,comdat
	.globl	_ZL32rocblas_syrkx_herkx_small_kernelIl19rocblas_complex_numIfELi16ELb0ELb0ELc78ELc85EKPKS1_KPS1_EviT_T0_PT6_S7_lSA_S7_lS8_PT7_S7_li ; -- Begin function _ZL32rocblas_syrkx_herkx_small_kernelIl19rocblas_complex_numIfELi16ELb0ELb0ELc78ELc85EKPKS1_KPS1_EviT_T0_PT6_S7_lSA_S7_lS8_PT7_S7_li
	.p2align	8
	.type	_ZL32rocblas_syrkx_herkx_small_kernelIl19rocblas_complex_numIfELi16ELb0ELb0ELc78ELc85EKPKS1_KPS1_EviT_T0_PT6_S7_lSA_S7_lS8_PT7_S7_li,@function
_ZL32rocblas_syrkx_herkx_small_kernelIl19rocblas_complex_numIfELi16ELb0ELb0ELc78ELc85EKPKS1_KPS1_EviT_T0_PT6_S7_lSA_S7_lS8_PT7_S7_li: ; @_ZL32rocblas_syrkx_herkx_small_kernelIl19rocblas_complex_numIfELi16ELb0ELb0ELc78ELc85EKPKS1_KPS1_EviT_T0_PT6_S7_lSA_S7_lS8_PT7_S7_li
; %bb.0:
	s_clause 0x2
	s_load_b128 s[16:19], s[0:1], 0x48
	s_load_b256 s[4:11], s[0:1], 0x8
	s_load_b32 s3, s[0:1], 0x0
	s_mov_b32 s20, s15
	s_mov_b32 s21, 0
	v_dual_mov_b32 v19, 0 :: v_dual_and_b32 v12, 0x3ff, v0
	s_lshl_b64 s[22:23], s[20:21], 3
	v_bfe_u32 v13, v0, 10, 10
	v_mov_b32_e32 v18, 0
	s_delay_alu instid0(VALU_DEP_3) | instskip(NEXT) | instid1(VALU_DEP_3)
	v_lshl_add_u32 v0, s13, 4, v12
	v_lshl_add_u32 v2, s14, 4, v13
	s_delay_alu instid0(VALU_DEP_2) | instskip(NEXT) | instid1(VALU_DEP_2)
	v_ashrrev_i32_e32 v1, 31, v0
	v_ashrrev_i32_e32 v3, 31, v2
	s_waitcnt lgkmcnt(0)
	s_add_u32 s18, s18, s22
	s_addc_u32 s19, s19, s23
	s_load_b64 s[20:21], s[0:1], 0x58
	s_load_b64 s[18:19], s[18:19], 0x0
	v_cmp_lt_i64_e64 s2, s[4:5], 1
	s_delay_alu instid0(VALU_DEP_1)
	s_and_b32 vcc_lo, exec_lo, s2
	v_cmp_gt_i32_e64 s2, s3, v2
	s_cbranch_vccnz .LBB1601_9
; %bb.1:
	s_load_b128 s[12:15], s[0:1], 0x30
	v_mad_u64_u32 v[7:8], null, s10, v13, 0
	v_lshlrev_b64 v[9:10], 3, v[2:3]
	v_dual_mov_b32 v4, 0 :: v_dual_lshlrev_b32 v11, 7, v13
	v_lshlrev_b32_e32 v14, 3, v12
	v_mov_b32_e32 v18, 0
	v_lshlrev_b64 v[19:20], 3, v[0:1]
	v_cmp_gt_i32_e32 vcc_lo, s3, v0
	s_waitcnt lgkmcnt(0)
	v_mad_u64_u32 v[5:6], null, s14, v12, 0
	s_add_u32 s0, s12, s22
	s_addc_u32 s1, s13, s23
	s_add_u32 s8, s8, s22
	s_load_b64 s[12:13], s[0:1], 0x0
	s_addc_u32 s9, s9, s23
	s_load_b64 s[22:23], s[8:9], 0x0
	s_delay_alu instid0(VALU_DEP_1) | instskip(SKIP_2) | instid1(VALU_DEP_2)
	v_mad_u64_u32 v[15:16], null, s15, v12, v[6:7]
	v_mad_u64_u32 v[16:17], null, s11, v13, v[8:9]
	s_lshl_b64 s[8:9], s[14:15], 7
	v_dual_mov_b32 v6, v15 :: v_dual_add_nc_u32 v15, 0x800, v11
	s_delay_alu instid0(VALU_DEP_2) | instskip(NEXT) | instid1(VALU_DEP_2)
	v_mov_b32_e32 v8, v16
	v_lshlrev_b64 v[5:6], 3, v[5:6]
	s_delay_alu instid0(VALU_DEP_2) | instskip(NEXT) | instid1(VALU_DEP_2)
	v_lshlrev_b64 v[7:8], 3, v[7:8]
	v_add_co_u32 v5, s0, v5, v9
	s_delay_alu instid0(VALU_DEP_1) | instskip(NEXT) | instid1(VALU_DEP_3)
	v_add_co_ci_u32_e64 v6, s0, v6, v10, s0
	v_add_co_u32 v7, s0, v7, v19
	s_delay_alu instid0(VALU_DEP_1) | instskip(SKIP_2) | instid1(VALU_DEP_1)
	v_add_co_ci_u32_e64 v8, s0, v8, v20, s0
	s_waitcnt lgkmcnt(0)
	v_add_co_u32 v5, s0, v5, s12
	v_add_co_ci_u32_e64 v9, s0, s13, v6, s0
	v_add_co_u32 v6, s0, s22, v7
	s_delay_alu instid0(VALU_DEP_1) | instskip(NEXT) | instid1(VALU_DEP_4)
	v_add_co_ci_u32_e64 v7, s0, s23, v8, s0
	v_add_co_u32 v8, s0, v5, 4
	s_delay_alu instid0(VALU_DEP_1)
	v_add_co_ci_u32_e64 v9, s0, 0, v9, s0
	v_mov_b32_e32 v19, 0
	v_add_nc_u32_e32 v17, v15, v14
	v_add_nc_u32_e32 v16, v14, v11
	s_lshl_b64 s[0:1], s[10:11], 7
	s_mov_b64 s[10:11], 0
	s_xor_b32 s12, vcc_lo, -1
	s_branch .LBB1601_3
.LBB1601_2:                             ;   in Loop: Header=BB1601_3 Depth=1
	s_or_b32 exec_lo, exec_lo, s13
	s_waitcnt vmcnt(0)
	ds_store_b64 v17, v[10:11]
	s_waitcnt lgkmcnt(0)
	s_barrier
	buffer_gl0_inv
	ds_load_2addr_b64 v[20:23], v14 offset1:16
	ds_load_b128 v[24:27], v15
	ds_load_b128 v[28:31], v15 offset:16
	ds_load_2addr_b64 v[32:35], v14 offset0:32 offset1:48
	ds_load_2addr_b64 v[36:39], v14 offset0:64 offset1:80
	ds_load_b128 v[40:43], v15 offset:32
	ds_load_b128 v[44:47], v15 offset:48
	ds_load_2addr_b64 v[48:51], v14 offset0:96 offset1:112
	ds_load_2addr_b64 v[52:55], v14 offset0:128 offset1:144
	;; [unrolled: 1-line block ×3, first 2 shown]
	ds_load_b128 v[60:63], v15 offset:64
	ds_load_b128 v[64:67], v15 offset:80
	s_add_u32 s10, s10, 16
	s_addc_u32 s11, s11, 0
	v_add_co_u32 v8, vcc_lo, v8, s8
	v_cmp_ge_i64_e64 s13, s[10:11], s[4:5]
	v_add_co_ci_u32_e32 v9, vcc_lo, s9, v9, vcc_lo
	v_add_co_u32 v6, vcc_lo, v6, s0
	s_waitcnt lgkmcnt(10)
	v_mul_f32_e32 v5, v25, v21
	v_dual_mul_f32 v10, v24, v21 :: v_dual_mul_f32 v11, v27, v23
	s_waitcnt lgkmcnt(8)
	v_mul_f32_e32 v68, v31, v35
	v_mul_f32_e32 v21, v26, v23
	v_fma_f32 v5, v24, v20, -v5
	s_waitcnt lgkmcnt(6)
	v_dual_mul_f32 v24, v40, v37 :: v_dual_mul_f32 v35, v30, v35
	v_fmac_f32_e32 v10, v25, v20
	v_mul_f32_e32 v23, v29, v33
	v_fma_f32 v11, v26, v22, -v11
	s_delay_alu instid0(VALU_DEP_4) | instskip(NEXT) | instid1(VALU_DEP_4)
	v_dual_add_f32 v5, v19, v5 :: v_dual_fmac_f32 v24, v41, v36
	v_add_f32_e32 v10, v18, v10
	s_delay_alu instid0(VALU_DEP_4) | instskip(SKIP_1) | instid1(VALU_DEP_4)
	v_fma_f32 v18, v28, v32, -v23
	v_mul_f32_e32 v33, v28, v33
	v_add_f32_e32 v5, v5, v11
	v_fma_f32 v20, v30, v34, -v68
	s_waitcnt lgkmcnt(1)
	v_mul_f32_e32 v26, v63, v55
	v_fmac_f32_e32 v35, v31, v34
	v_mul_f32_e32 v19, v42, v39
	v_add_f32_e32 v5, v5, v18
	v_add_co_ci_u32_e32 v7, vcc_lo, s1, v7, vcc_lo
	s_and_b32 vcc_lo, exec_lo, s13
	s_delay_alu instid0(VALU_DEP_2) | instskip(SKIP_2) | instid1(VALU_DEP_3)
	v_dual_mul_f32 v18, v44, v49 :: v_dual_add_f32 v5, v5, v20
	v_dual_mul_f32 v20, v47, v51 :: v_dual_fmac_f32 v33, v29, v32
	v_fmac_f32_e32 v21, v27, v22
	v_dual_mul_f32 v27, v62, v55 :: v_dual_fmac_f32 v18, v45, v48
	s_waitcnt lgkmcnt(0)
	v_mul_f32_e32 v34, v64, v57
	s_delay_alu instid0(VALU_DEP_2) | instskip(NEXT) | instid1(VALU_DEP_2)
	v_dual_add_f32 v10, v10, v21 :: v_dual_fmac_f32 v27, v63, v54
	v_fmac_f32_e32 v34, v65, v56
	s_delay_alu instid0(VALU_DEP_2) | instskip(SKIP_2) | instid1(VALU_DEP_3)
	v_add_f32_e32 v10, v10, v33
	v_mul_f32_e32 v69, v41, v37
	v_mul_f32_e32 v37, v43, v39
	v_add_f32_e32 v10, v10, v35
	s_delay_alu instid0(VALU_DEP_3) | instskip(NEXT) | instid1(VALU_DEP_3)
	v_fma_f32 v21, v40, v36, -v69
	v_fma_f32 v22, v42, v38, -v37
	v_dual_mul_f32 v11, v45, v49 :: v_dual_mul_f32 v36, v66, v59
	s_delay_alu instid0(VALU_DEP_3) | instskip(SKIP_1) | instid1(VALU_DEP_3)
	v_dual_add_f32 v10, v10, v24 :: v_dual_add_f32 v5, v5, v21
	v_mul_f32_e32 v21, v46, v51
	v_fma_f32 v11, v44, v48, -v11
	s_delay_alu instid0(VALU_DEP_4) | instskip(NEXT) | instid1(VALU_DEP_4)
	v_fmac_f32_e32 v36, v67, v58
	v_add_f32_e32 v5, v5, v22
	s_delay_alu instid0(VALU_DEP_4) | instskip(SKIP_1) | instid1(VALU_DEP_3)
	v_dual_mul_f32 v22, v61, v53 :: v_dual_fmac_f32 v21, v47, v50
	v_fmac_f32_e32 v19, v43, v38
	v_add_f32_e32 v5, v5, v11
	s_delay_alu instid0(VALU_DEP_2) | instskip(SKIP_1) | instid1(VALU_DEP_2)
	v_dual_mul_f32 v11, v60, v53 :: v_dual_add_f32 v10, v10, v19
	v_fma_f32 v19, v46, v50, -v20
	v_dual_fmac_f32 v11, v61, v52 :: v_dual_add_f32 v10, v10, v18
	v_fma_f32 v18, v60, v52, -v22
	s_delay_alu instid0(VALU_DEP_2) | instskip(NEXT) | instid1(VALU_DEP_1)
	v_add_f32_e32 v10, v10, v21
	v_add_f32_e32 v10, v10, v11
	v_fma_f32 v11, v62, v54, -v26
	v_mul_f32_e32 v26, v65, v57
	s_delay_alu instid0(VALU_DEP_3) | instskip(NEXT) | instid1(VALU_DEP_1)
	v_add_f32_e32 v10, v10, v27
	v_dual_add_f32 v10, v10, v34 :: v_dual_add_f32 v5, v5, v19
	s_delay_alu instid0(VALU_DEP_1)
	v_dual_add_f32 v10, v10, v36 :: v_dual_add_f32 v5, v5, v18
	ds_load_2addr_b64 v[18:21], v14 offset0:192 offset1:208
	ds_load_b128 v[22:25], v15 offset:96
	s_waitcnt lgkmcnt(0)
	v_mul_f32_e32 v34, v23, v19
	v_mul_f32_e32 v19, v22, v19
	s_delay_alu instid0(VALU_DEP_1) | instskip(NEXT) | instid1(VALU_DEP_1)
	v_fmac_f32_e32 v19, v23, v18
	v_add_f32_e32 v10, v10, v19
	v_add_f32_e32 v5, v5, v11
	v_fma_f32 v11, v64, v56, -v26
	ds_load_2addr_b64 v[26:29], v14 offset0:224 offset1:240
	ds_load_b128 v[30:33], v15 offset:112
	v_mul_f32_e32 v35, v67, v59
	s_waitcnt lgkmcnt(0)
	s_barrier
	v_add_f32_e32 v5, v5, v11
	buffer_gl0_inv
	v_fma_f32 v11, v66, v58, -v35
	s_delay_alu instid0(VALU_DEP_1) | instskip(SKIP_3) | instid1(VALU_DEP_3)
	v_add_f32_e32 v5, v5, v11
	v_fma_f32 v11, v22, v18, -v34
	v_mul_f32_e32 v18, v25, v21
	v_mul_f32_e32 v21, v24, v21
	v_add_f32_e32 v5, v5, v11
	s_delay_alu instid0(VALU_DEP_3) | instskip(NEXT) | instid1(VALU_DEP_3)
	v_fma_f32 v11, v24, v20, -v18
	v_dual_mul_f32 v18, v31, v27 :: v_dual_fmac_f32 v21, v25, v20
	v_mul_f32_e32 v19, v30, v27
	s_delay_alu instid0(VALU_DEP_3) | instskip(NEXT) | instid1(VALU_DEP_3)
	v_dual_add_f32 v5, v5, v11 :: v_dual_mul_f32 v20, v32, v29
	v_fma_f32 v11, v30, v26, -v18
	s_delay_alu instid0(VALU_DEP_3) | instskip(SKIP_1) | instid1(VALU_DEP_4)
	v_dual_add_f32 v10, v10, v21 :: v_dual_fmac_f32 v19, v31, v26
	v_mul_f32_e32 v18, v33, v29
	v_fmac_f32_e32 v20, v33, v28
	s_delay_alu instid0(VALU_DEP_4) | instskip(NEXT) | instid1(VALU_DEP_4)
	v_add_f32_e32 v5, v5, v11
	v_add_f32_e32 v10, v10, v19
	s_delay_alu instid0(VALU_DEP_4) | instskip(NEXT) | instid1(VALU_DEP_1)
	v_fma_f32 v11, v32, v28, -v18
	v_dual_add_f32 v18, v10, v20 :: v_dual_add_f32 v19, v5, v11
	s_cbranch_vccnz .LBB1601_9
.LBB1601_3:                             ; =>This Inner Loop Header: Depth=1
	v_add_co_u32 v10, s13, v13, s10
	s_delay_alu instid0(VALU_DEP_1) | instskip(NEXT) | instid1(VALU_DEP_1)
	v_add_co_ci_u32_e64 v11, null, 0, s11, s13
	v_cmp_le_i64_e32 vcc_lo, s[4:5], v[10:11]
	s_or_b32 s13, s12, vcc_lo
	s_delay_alu instid0(SALU_CYCLE_1) | instskip(NEXT) | instid1(SALU_CYCLE_1)
	s_and_saveexec_b32 s14, s13
	s_xor_b32 s13, exec_lo, s14
	s_cbranch_execz .LBB1601_5
; %bb.4:                                ;   in Loop: Header=BB1601_3 Depth=1
	v_mov_b32_e32 v5, v4
	ds_store_b64 v16, v[4:5]
.LBB1601_5:                             ;   in Loop: Header=BB1601_3 Depth=1
	s_and_not1_saveexec_b32 s13, s13
	s_cbranch_execz .LBB1601_7
; %bb.6:                                ;   in Loop: Header=BB1601_3 Depth=1
	global_load_b64 v[10:11], v[6:7], off
	s_waitcnt vmcnt(0)
	ds_store_b64 v16, v[10:11]
.LBB1601_7:                             ;   in Loop: Header=BB1601_3 Depth=1
	s_or_b32 exec_lo, exec_lo, s13
	v_add_co_u32 v10, s13, v12, s10
	s_delay_alu instid0(VALU_DEP_1) | instskip(NEXT) | instid1(VALU_DEP_1)
	v_add_co_ci_u32_e64 v11, null, 0, s11, s13
	v_cmp_gt_i64_e32 vcc_lo, s[4:5], v[10:11]
	v_dual_mov_b32 v10, 0 :: v_dual_mov_b32 v11, 0
	s_and_b32 s14, s2, vcc_lo
	s_delay_alu instid0(SALU_CYCLE_1)
	s_and_saveexec_b32 s13, s14
	s_cbranch_execz .LBB1601_2
; %bb.8:                                ;   in Loop: Header=BB1601_3 Depth=1
	global_load_b64 v[10:11], v[8:9], off offset:-4
	s_branch .LBB1601_2
.LBB1601_9:
	v_cmp_le_i32_e32 vcc_lo, v0, v2
	v_cmp_gt_i32_e64 s0, s3, v2
	s_delay_alu instid0(VALU_DEP_1) | instskip(NEXT) | instid1(SALU_CYCLE_1)
	s_and_b32 s0, vcc_lo, s0
	s_and_saveexec_b32 s1, s0
	s_cbranch_execz .LBB1601_11
; %bb.10:
	s_waitcnt lgkmcnt(0)
	v_mul_lo_u32 v5, v2, s21
	v_mul_lo_u32 v6, v3, s20
	v_mad_u64_u32 v[3:4], null, v2, s20, 0
	v_lshlrev_b64 v[0:1], 3, v[0:1]
	s_delay_alu instid0(VALU_DEP_2) | instskip(NEXT) | instid1(VALU_DEP_1)
	v_add3_u32 v4, v4, v5, v6
	v_lshlrev_b64 v[2:3], 3, v[3:4]
	s_delay_alu instid0(VALU_DEP_1) | instskip(NEXT) | instid1(VALU_DEP_2)
	v_add_co_u32 v2, vcc_lo, s18, v2
	v_add_co_ci_u32_e32 v3, vcc_lo, s19, v3, vcc_lo
	s_delay_alu instid0(VALU_DEP_2) | instskip(NEXT) | instid1(VALU_DEP_2)
	v_add_co_u32 v0, vcc_lo, v2, v0
	v_add_co_ci_u32_e32 v1, vcc_lo, v3, v1, vcc_lo
	global_load_b64 v[2:3], v[0:1], off
	v_mul_f32_e32 v4, s7, v18
	s_waitcnt vmcnt(0)
	v_dual_mul_f32 v5, s6, v18 :: v_dual_mul_f32 v6, s17, v3
	v_mul_f32_e32 v3, s16, v3
	s_delay_alu instid0(VALU_DEP_3) | instskip(NEXT) | instid1(VALU_DEP_3)
	v_fma_f32 v4, v19, s6, -v4
	v_fma_f32 v6, v2, s16, -v6
	s_delay_alu instid0(VALU_DEP_4) | instskip(NEXT) | instid1(VALU_DEP_4)
	v_fmac_f32_e32 v5, s7, v19
	v_fmac_f32_e32 v3, s17, v2
	s_delay_alu instid0(VALU_DEP_1)
	v_dual_add_f32 v2, v4, v6 :: v_dual_add_f32 v3, v5, v3
	global_store_b64 v[0:1], v[2:3], off
.LBB1601_11:
	s_nop 0
	s_sendmsg sendmsg(MSG_DEALLOC_VGPRS)
	s_endpgm
	.section	.rodata,"a",@progbits
	.p2align	6, 0x0
	.amdhsa_kernel _ZL32rocblas_syrkx_herkx_small_kernelIl19rocblas_complex_numIfELi16ELb0ELb0ELc78ELc85EKPKS1_KPS1_EviT_T0_PT6_S7_lSA_S7_lS8_PT7_S7_li
		.amdhsa_group_segment_fixed_size 4096
		.amdhsa_private_segment_fixed_size 0
		.amdhsa_kernarg_size 108
		.amdhsa_user_sgpr_count 13
		.amdhsa_user_sgpr_dispatch_ptr 0
		.amdhsa_user_sgpr_queue_ptr 0
		.amdhsa_user_sgpr_kernarg_segment_ptr 1
		.amdhsa_user_sgpr_dispatch_id 0
		.amdhsa_user_sgpr_private_segment_size 0
		.amdhsa_wavefront_size32 1
		.amdhsa_uses_dynamic_stack 0
		.amdhsa_enable_private_segment 0
		.amdhsa_system_sgpr_workgroup_id_x 1
		.amdhsa_system_sgpr_workgroup_id_y 1
		.amdhsa_system_sgpr_workgroup_id_z 1
		.amdhsa_system_sgpr_workgroup_info 0
		.amdhsa_system_vgpr_workitem_id 1
		.amdhsa_next_free_vgpr 70
		.amdhsa_next_free_sgpr 24
		.amdhsa_reserve_vcc 1
		.amdhsa_float_round_mode_32 0
		.amdhsa_float_round_mode_16_64 0
		.amdhsa_float_denorm_mode_32 3
		.amdhsa_float_denorm_mode_16_64 3
		.amdhsa_dx10_clamp 1
		.amdhsa_ieee_mode 1
		.amdhsa_fp16_overflow 0
		.amdhsa_workgroup_processor_mode 1
		.amdhsa_memory_ordered 1
		.amdhsa_forward_progress 0
		.amdhsa_shared_vgpr_count 0
		.amdhsa_exception_fp_ieee_invalid_op 0
		.amdhsa_exception_fp_denorm_src 0
		.amdhsa_exception_fp_ieee_div_zero 0
		.amdhsa_exception_fp_ieee_overflow 0
		.amdhsa_exception_fp_ieee_underflow 0
		.amdhsa_exception_fp_ieee_inexact 0
		.amdhsa_exception_int_div_zero 0
	.end_amdhsa_kernel
	.section	.text._ZL32rocblas_syrkx_herkx_small_kernelIl19rocblas_complex_numIfELi16ELb0ELb0ELc78ELc85EKPKS1_KPS1_EviT_T0_PT6_S7_lSA_S7_lS8_PT7_S7_li,"axG",@progbits,_ZL32rocblas_syrkx_herkx_small_kernelIl19rocblas_complex_numIfELi16ELb0ELb0ELc78ELc85EKPKS1_KPS1_EviT_T0_PT6_S7_lSA_S7_lS8_PT7_S7_li,comdat
.Lfunc_end1601:
	.size	_ZL32rocblas_syrkx_herkx_small_kernelIl19rocblas_complex_numIfELi16ELb0ELb0ELc78ELc85EKPKS1_KPS1_EviT_T0_PT6_S7_lSA_S7_lS8_PT7_S7_li, .Lfunc_end1601-_ZL32rocblas_syrkx_herkx_small_kernelIl19rocblas_complex_numIfELi16ELb0ELb0ELc78ELc85EKPKS1_KPS1_EviT_T0_PT6_S7_lSA_S7_lS8_PT7_S7_li
                                        ; -- End function
	.section	.AMDGPU.csdata,"",@progbits
; Kernel info:
; codeLenInByte = 1572
; NumSgprs: 26
; NumVgprs: 70
; ScratchSize: 0
; MemoryBound: 1
; FloatMode: 240
; IeeeMode: 1
; LDSByteSize: 4096 bytes/workgroup (compile time only)
; SGPRBlocks: 3
; VGPRBlocks: 8
; NumSGPRsForWavesPerEU: 26
; NumVGPRsForWavesPerEU: 70
; Occupancy: 16
; WaveLimiterHint : 1
; COMPUTE_PGM_RSRC2:SCRATCH_EN: 0
; COMPUTE_PGM_RSRC2:USER_SGPR: 13
; COMPUTE_PGM_RSRC2:TRAP_HANDLER: 0
; COMPUTE_PGM_RSRC2:TGID_X_EN: 1
; COMPUTE_PGM_RSRC2:TGID_Y_EN: 1
; COMPUTE_PGM_RSRC2:TGID_Z_EN: 1
; COMPUTE_PGM_RSRC2:TIDIG_COMP_CNT: 1
	.section	.text._ZL34rocblas_syrkx_herkx_general_kernelIl19rocblas_complex_numIfELi16ELi32ELi8ELb1ELb0ELc84ELc76EKPKS1_KPS1_EviT_T0_PT8_S7_lSA_S7_lS8_PT9_S7_li,"axG",@progbits,_ZL34rocblas_syrkx_herkx_general_kernelIl19rocblas_complex_numIfELi16ELi32ELi8ELb1ELb0ELc84ELc76EKPKS1_KPS1_EviT_T0_PT8_S7_lSA_S7_lS8_PT9_S7_li,comdat
	.globl	_ZL34rocblas_syrkx_herkx_general_kernelIl19rocblas_complex_numIfELi16ELi32ELi8ELb1ELb0ELc84ELc76EKPKS1_KPS1_EviT_T0_PT8_S7_lSA_S7_lS8_PT9_S7_li ; -- Begin function _ZL34rocblas_syrkx_herkx_general_kernelIl19rocblas_complex_numIfELi16ELi32ELi8ELb1ELb0ELc84ELc76EKPKS1_KPS1_EviT_T0_PT8_S7_lSA_S7_lS8_PT9_S7_li
	.p2align	8
	.type	_ZL34rocblas_syrkx_herkx_general_kernelIl19rocblas_complex_numIfELi16ELi32ELi8ELb1ELb0ELc84ELc76EKPKS1_KPS1_EviT_T0_PT8_S7_lSA_S7_lS8_PT9_S7_li,@function
_ZL34rocblas_syrkx_herkx_general_kernelIl19rocblas_complex_numIfELi16ELi32ELi8ELb1ELb0ELc84ELc76EKPKS1_KPS1_EviT_T0_PT8_S7_lSA_S7_lS8_PT9_S7_li: ; @_ZL34rocblas_syrkx_herkx_general_kernelIl19rocblas_complex_numIfELi16ELi32ELi8ELb1ELb0ELc84ELc76EKPKS1_KPS1_EviT_T0_PT8_S7_lSA_S7_lS8_PT9_S7_li
; %bb.0:
	s_clause 0x1
	s_load_b128 s[16:19], s[0:1], 0x50
	s_load_b256 s[4:11], s[0:1], 0x8
	s_mov_b32 s2, s15
	s_mov_b32 s3, 0
	v_dual_mov_b32 v21, 0 :: v_dual_and_b32 v6, 0x3ff, v0
	s_lshl_b64 s[20:21], s[2:3], 3
	v_bfe_u32 v7, v0, 10, 10
	v_dual_mov_b32 v20, 0 :: v_dual_mov_b32 v19, 0
	v_dual_mov_b32 v18, 0 :: v_dual_mov_b32 v17, 0
	;; [unrolled: 1-line block ×3, first 2 shown]
	v_mov_b32_e32 v14, 0
	s_waitcnt lgkmcnt(0)
	s_add_u32 s2, s16, s20
	s_addc_u32 s3, s17, s21
	s_load_b32 s12, s[0:1], 0x0
	s_load_b64 s[16:17], s[2:3], 0x0
	v_cmp_lt_i64_e64 s2, s[4:5], 1
	s_lshl_b32 s13, s13, 5
	s_lshl_b32 s14, s14, 5
	s_delay_alu instid0(VALU_DEP_1)
	s_and_b32 vcc_lo, exec_lo, s2
	s_cbranch_vccnz .LBB1602_11
; %bb.1:
	s_load_b128 s[0:3], s[0:1], 0x30
	v_lshl_add_u32 v0, v7, 4, v6
	v_and_b32_e32 v8, 7, v6
	v_dual_mov_b32 v20, 0 :: v_dual_mov_b32 v19, 0
	v_mov_b32_e32 v21, 0
	s_delay_alu instid0(VALU_DEP_4) | instskip(SKIP_3) | instid1(VALU_DEP_4)
	v_lshrrev_b32_e32 v5, 3, v0
	v_and_b32_e32 v1, 31, v0
	v_lshrrev_b32_e32 v9, 5, v0
	v_lshlrev_b32_e32 v14, 3, v8
	v_dual_mov_b32 v18, 0 :: v_dual_add_nc_u32 v11, s14, v5
	s_delay_alu instid0(VALU_DEP_4)
	v_add_nc_u32_e32 v0, s13, v1
	v_or_b32_e32 v10, s13, v1
	v_lshlrev_b32_e32 v12, 3, v1
	v_lshl_or_b32 v5, v5, 6, v14
	v_ashrrev_i32_e32 v3, 31, v11
	v_ashrrev_i32_e32 v4, 31, v0
	s_waitcnt lgkmcnt(0)
	v_cmp_gt_i32_e32 vcc_lo, s12, v10
	v_lshl_or_b32 v10, v9, 8, v12
	v_mul_lo_u32 v17, s3, v11
	v_mul_lo_u32 v16, s2, v3
	;; [unrolled: 1-line block ×3, first 2 shown]
	v_mad_u64_u32 v[3:4], null, s2, v11, 0
	s_add_u32 s0, s0, s20
	s_addc_u32 s1, s1, s21
	s_add_u32 s8, s8, s20
	s_addc_u32 s9, s9, s21
	v_lshlrev_b32_e32 v12, 3, v6
	s_mov_b64 s[2:3], 0
	s_delay_alu instid0(VALU_DEP_2)
	v_add3_u32 v4, v4, v16, v17
	v_mov_b32_e32 v17, 0
	v_mul_lo_u32 v13, s11, v0
	v_mad_u64_u32 v[1:2], null, s10, v0, 0
	s_load_b64 s[10:11], s[0:1], 0x0
	s_load_b64 s[8:9], s[8:9], 0x0
	v_cmp_gt_i32_e64 s0, s12, v11
	v_dual_mov_b32 v16, 0 :: v_dual_add_nc_u32 v11, 0x800, v5
	v_lshlrev_b32_e32 v5, 3, v9
	v_lshlrev_b64 v[3:4], 3, v[3:4]
	v_add3_u32 v2, v2, v15, v13
	v_mov_b32_e32 v0, 0
	v_lshl_add_u32 v13, v7, 6, 0x800
	s_xor_b32 s0, s0, -1
	s_delay_alu instid0(VALU_DEP_3) | instskip(NEXT) | instid1(VALU_DEP_1)
	v_lshlrev_b64 v[1:2], 3, v[1:2]
	v_add_co_u32 v1, s1, v1, v5
	s_delay_alu instid0(VALU_DEP_1) | instskip(SKIP_1) | instid1(VALU_DEP_1)
	v_add_co_ci_u32_e64 v5, s1, 0, v2, s1
	v_add_co_u32 v14, s1, v3, v14
	v_add_co_ci_u32_e64 v15, s1, 0, v4, s1
	s_waitcnt lgkmcnt(0)
	v_add_co_u32 v2, s1, s8, v1
	s_delay_alu instid0(VALU_DEP_1) | instskip(SKIP_1) | instid1(VALU_DEP_1)
	v_add_co_ci_u32_e64 v3, s1, s9, v5, s1
	v_add_co_u32 v4, s1, s10, v14
	v_add_co_ci_u32_e64 v5, s1, s11, v15, s1
	v_dual_mov_b32 v15, 0 :: v_dual_mov_b32 v14, 0
	s_xor_b32 s1, vcc_lo, -1
	s_branch .LBB1602_3
.LBB1602_2:                             ;   in Loop: Header=BB1602_3 Depth=1
	s_or_b32 exec_lo, exec_lo, s8
	s_waitcnt lgkmcnt(0)
	s_barrier
	buffer_gl0_inv
	ds_load_2addr_b64 v[22:25], v12 offset1:16
	ds_load_b128 v[26:29], v13
	ds_load_b128 v[30:33], v13 offset:1024
	ds_load_b128 v[34:37], v13 offset:16
	;; [unrolled: 1-line block ×4, first 2 shown]
	ds_load_2addr_b64 v[46:49], v12 offset0:32 offset1:48
	ds_load_b128 v[50:53], v13 offset:1040
	s_add_u32 s2, s2, 8
	s_addc_u32 s3, s3, 0
	v_add_co_u32 v2, vcc_lo, v2, 64
	v_cmp_ge_i64_e64 s8, s[2:3], s[4:5]
	v_add_co_ci_u32_e32 v3, vcc_lo, 0, v3, vcc_lo
	v_add_co_u32 v4, vcc_lo, v4, 64
	v_add_co_ci_u32_e32 v5, vcc_lo, 0, v5, vcc_lo
	s_delay_alu instid0(VALU_DEP_4)
	s_and_b32 vcc_lo, exec_lo, s8
	s_waitcnt lgkmcnt(6)
	v_dual_mul_f32 v1, v27, v23 :: v_dual_mul_f32 v56, v26, v25
	v_dual_mul_f32 v54, v26, v23 :: v_dual_mul_f32 v55, v27, v25
	s_waitcnt lgkmcnt(5)
	v_mul_f32_e32 v58, v31, v25
	s_delay_alu instid0(VALU_DEP_3) | instskip(SKIP_3) | instid1(VALU_DEP_4)
	v_fma_f32 v1, v26, v22, -v1
	v_dual_mul_f32 v25, v30, v25 :: v_dual_fmac_f32 v56, v27, v24
	v_fmac_f32_e32 v54, v27, v22
	v_fma_f32 v26, v26, v24, -v55
	v_add_f32_e32 v1, v20, v1
	v_mul_f32_e32 v57, v31, v23
	s_delay_alu instid0(VALU_DEP_4) | instskip(SKIP_2) | instid1(VALU_DEP_4)
	v_dual_mul_f32 v23, v30, v23 :: v_dual_add_f32 v20, v21, v54
	v_fmac_f32_e32 v25, v31, v24
	v_dual_add_f32 v21, v18, v26 :: v_dual_add_f32 v26, v19, v56
	v_fma_f32 v27, v30, v22, -v57
	s_delay_alu instid0(VALU_DEP_4) | instskip(SKIP_3) | instid1(VALU_DEP_2)
	v_fmac_f32_e32 v23, v31, v22
	v_fma_f32 v22, v30, v24, -v58
	s_waitcnt lgkmcnt(1)
	v_mul_f32_e32 v30, v29, v47
	v_dual_add_f32 v27, v16, v27 :: v_dual_add_f32 v14, v14, v22
	v_dual_mul_f32 v22, v28, v47 :: v_dual_add_f32 v15, v15, v25
	v_mul_f32_e32 v25, v28, v49
	s_delay_alu instid0(VALU_DEP_4) | instskip(NEXT) | instid1(VALU_DEP_3)
	v_fma_f32 v24, v28, v46, -v30
	v_fmac_f32_e32 v22, v29, v46
	v_add_f32_e32 v23, v17, v23
	ds_load_2addr_b64 v[16:19], v12 offset0:64 offset1:80
	v_mul_f32_e32 v30, v29, v49
	v_fmac_f32_e32 v25, v29, v48
	v_add_f32_e32 v1, v1, v24
	s_delay_alu instid0(VALU_DEP_2) | instskip(SKIP_1) | instid1(VALU_DEP_1)
	v_add_f32_e32 v25, v26, v25
	v_mul_f32_e32 v26, v32, v49
	v_fmac_f32_e32 v26, v33, v48
	s_waitcnt lgkmcnt(0)
	s_delay_alu instid0(VALU_DEP_1) | instskip(SKIP_1) | instid1(VALU_DEP_2)
	v_dual_add_f32 v26, v15, v26 :: v_dual_mul_f32 v29, v34, v17
	v_mul_f32_e32 v15, v34, v19
	v_fmac_f32_e32 v29, v35, v16
	v_fma_f32 v24, v28, v48, -v30
	v_mul_f32_e32 v28, v33, v47
	v_add_f32_e32 v30, v20, v22
	v_mul_f32_e32 v20, v32, v47
	v_mul_f32_e32 v22, v33, v49
	v_add_f32_e32 v24, v21, v24
	v_fma_f32 v21, v32, v46, -v28
	s_delay_alu instid0(VALU_DEP_4) | instskip(SKIP_1) | instid1(VALU_DEP_3)
	v_dual_add_f32 v29, v30, v29 :: v_dual_fmac_f32 v20, v33, v46
	v_fmac_f32_e32 v15, v35, v18
	v_add_f32_e32 v27, v27, v21
	v_fma_f32 v21, v32, v48, -v22
	v_mul_f32_e32 v22, v35, v17
	v_mul_f32_e32 v32, v35, v19
	v_add_f32_e32 v28, v23, v20
	s_delay_alu instid0(VALU_DEP_4) | instskip(NEXT) | instid1(VALU_DEP_4)
	v_add_f32_e32 v14, v14, v21
	v_fma_f32 v31, v34, v16, -v22
	ds_load_2addr_b64 v[20:23], v12 offset0:96 offset1:112
	v_add_f32_e32 v1, v1, v31
	v_fma_f32 v31, v34, v18, -v32
	s_delay_alu instid0(VALU_DEP_1) | instskip(SKIP_3) | instid1(VALU_DEP_3)
	v_add_f32_e32 v24, v24, v31
	v_mul_f32_e32 v31, v51, v19
	v_mul_f32_e32 v19, v50, v19
	v_add_f32_e32 v32, v25, v15
	v_fma_f32 v15, v50, v18, -v31
	s_delay_alu instid0(VALU_DEP_3)
	v_fmac_f32_e32 v19, v51, v18
	v_mul_f32_e32 v30, v51, v17
	v_mul_f32_e32 v17, v50, v17
	s_waitcnt lgkmcnt(0)
	v_dual_mul_f32 v18, v37, v21 :: v_dual_add_f32 v31, v14, v15
	v_add_f32_e32 v33, v26, v19
	v_fma_f32 v30, v50, v16, -v30
	v_fmac_f32_e32 v17, v51, v16
	s_delay_alu instid0(VALU_DEP_4) | instskip(SKIP_1) | instid1(VALU_DEP_4)
	v_fma_f32 v18, v36, v20, -v18
	v_mul_f32_e32 v25, v36, v21
	v_dual_mul_f32 v19, v36, v23 :: v_dual_add_f32 v30, v27, v30
	s_delay_alu instid0(VALU_DEP_4) | instskip(SKIP_4) | instid1(VALU_DEP_2)
	v_add_f32_e32 v28, v28, v17
	ds_load_2addr_b64 v[14:17], v12 offset0:128 offset1:144
	v_add_f32_e32 v1, v1, v18
	v_mul_f32_e32 v18, v53, v21
	v_fmac_f32_e32 v19, v37, v22
	v_fma_f32 v18, v52, v20, -v18
	v_mul_f32_e32 v27, v37, v23
	s_delay_alu instid0(VALU_DEP_1) | instskip(NEXT) | instid1(VALU_DEP_3)
	v_fma_f32 v26, v36, v22, -v27
	v_add_f32_e32 v36, v30, v18
	s_waitcnt lgkmcnt(0)
	s_delay_alu instid0(VALU_DEP_2) | instskip(SKIP_2) | instid1(VALU_DEP_3)
	v_dual_add_f32 v35, v24, v26 :: v_dual_mul_f32 v46, v38, v15
	v_dual_fmac_f32 v25, v37, v20 :: v_dual_add_f32 v32, v32, v19
	v_mul_f32_e32 v18, v39, v15
	v_fmac_f32_e32 v46, v39, v14
	s_delay_alu instid0(VALU_DEP_3)
	v_add_f32_e32 v34, v29, v25
	v_mul_f32_e32 v29, v53, v23
	v_mul_f32_e32 v23, v52, v23
	ds_load_b128 v[24:27], v13 offset:1056
	v_add_f32_e32 v34, v34, v46
	v_fma_f32 v19, v52, v22, -v29
	v_mul_f32_e32 v21, v52, v21
	v_fmac_f32_e32 v23, v53, v22
	v_mul_f32_e32 v29, v39, v17
	s_delay_alu instid0(VALU_DEP_3) | instskip(NEXT) | instid1(VALU_DEP_3)
	v_dual_add_f32 v22, v31, v19 :: v_dual_fmac_f32 v21, v53, v20
	v_add_f32_e32 v23, v33, v23
	s_delay_alu instid0(VALU_DEP_2) | instskip(SKIP_4) | instid1(VALU_DEP_2)
	v_add_f32_e32 v37, v28, v21
	v_fma_f32 v28, v38, v14, -v18
	ds_load_2addr_b64 v[18:21], v12 offset0:160 offset1:176
	v_mul_f32_e32 v33, v38, v17
	v_fma_f32 v38, v38, v16, -v29
	v_fmac_f32_e32 v33, v39, v16
	s_delay_alu instid0(VALU_DEP_1)
	v_dual_add_f32 v35, v35, v38 :: v_dual_add_f32 v32, v32, v33
	v_add_f32_e32 v1, v1, v28
	ds_load_b128 v[28:31], v13 offset:1072
	s_waitcnt lgkmcnt(2)
	v_mul_f32_e32 v47, v25, v15
	v_mul_f32_e32 v15, v24, v15
	;; [unrolled: 1-line block ×4, first 2 shown]
	s_delay_alu instid0(VALU_DEP_4) | instskip(NEXT) | instid1(VALU_DEP_4)
	v_fma_f32 v38, v24, v14, -v47
	v_fmac_f32_e32 v15, v25, v14
	s_delay_alu instid0(VALU_DEP_4)
	v_fma_f32 v14, v24, v16, -v39
	s_waitcnt lgkmcnt(1)
	v_mul_f32_e32 v17, v41, v19
	v_dual_fmac_f32 v33, v25, v16 :: v_dual_add_f32 v36, v36, v38
	v_add_f32_e32 v24, v37, v15
	v_add_f32_e32 v22, v22, v14
	s_delay_alu instid0(VALU_DEP_4) | instskip(SKIP_2) | instid1(VALU_DEP_1)
	v_fma_f32 v37, v40, v18, -v17
	ds_load_2addr_b64 v[14:17], v12 offset0:192 offset1:208
	v_dual_mul_f32 v25, v40, v19 :: v_dual_mul_f32 v38, v41, v21
	v_fmac_f32_e32 v25, v41, v18
	s_delay_alu instid0(VALU_DEP_1) | instskip(SKIP_4) | instid1(VALU_DEP_3)
	v_add_f32_e32 v34, v34, v25
	v_add_f32_e32 v33, v23, v33
	v_mul_f32_e32 v23, v40, v21
	v_mul_f32_e32 v25, v27, v19
	;; [unrolled: 1-line block ×3, first 2 shown]
	v_fmac_f32_e32 v23, v41, v20
	s_delay_alu instid0(VALU_DEP_3) | instskip(NEXT) | instid1(VALU_DEP_2)
	v_fma_f32 v25, v26, v18, -v25
	v_dual_fmac_f32 v19, v27, v18 :: v_dual_add_f32 v18, v32, v23
	s_waitcnt lgkmcnt(0)
	v_dual_mul_f32 v32, v43, v15 :: v_dual_add_f32 v1, v1, v37
	v_fma_f32 v37, v40, v20, -v38
	s_delay_alu instid0(VALU_DEP_3) | instskip(NEXT) | instid1(VALU_DEP_3)
	v_add_f32_e32 v19, v24, v19
	v_fma_f32 v32, v42, v14, -v32
	s_delay_alu instid0(VALU_DEP_1) | instskip(NEXT) | instid1(VALU_DEP_4)
	v_add_f32_e32 v1, v1, v32
	v_add_f32_e32 v35, v35, v37
	v_mul_f32_e32 v37, v27, v21
	v_dual_mul_f32 v21, v26, v21 :: v_dual_mul_f32 v32, v29, v15
	s_delay_alu instid0(VALU_DEP_2) | instskip(NEXT) | instid1(VALU_DEP_2)
	v_fma_f32 v23, v26, v20, -v37
	v_dual_add_f32 v26, v36, v25 :: v_dual_fmac_f32 v21, v27, v20
	v_mul_f32_e32 v27, v42, v15
	v_mul_f32_e32 v15, v28, v15
	s_delay_alu instid0(VALU_DEP_4)
	v_add_f32_e32 v20, v22, v23
	ds_load_2addr_b64 v[22:25], v12 offset0:224 offset1:240
	v_fma_f32 v32, v28, v14, -v32
	v_dual_fmac_f32 v27, v43, v14 :: v_dual_mul_f32 v36, v42, v17
	v_fmac_f32_e32 v15, v29, v14
	s_waitcnt lgkmcnt(0)
	s_delay_alu instid0(VALU_DEP_3) | instskip(NEXT) | instid1(VALU_DEP_3)
	v_add_f32_e32 v14, v26, v32
	v_dual_add_f32 v27, v34, v27 :: v_dual_fmac_f32 v36, v43, v16
	s_delay_alu instid0(VALU_DEP_3)
	v_dual_mul_f32 v34, v29, v17 :: v_dual_add_f32 v15, v19, v15
	s_barrier
	buffer_gl0_inv
	v_mul_f32_e32 v26, v45, v23
	v_add_f32_e32 v21, v33, v21
	v_mul_f32_e32 v33, v43, v17
	v_mul_f32_e32 v17, v28, v17
	;; [unrolled: 1-line block ×3, first 2 shown]
	s_delay_alu instid0(VALU_DEP_3) | instskip(NEXT) | instid1(VALU_DEP_3)
	v_fma_f32 v33, v42, v16, -v33
	v_fmac_f32_e32 v17, v29, v16
	s_delay_alu instid0(VALU_DEP_3) | instskip(NEXT) | instid1(VALU_DEP_3)
	v_fmac_f32_e32 v19, v45, v24
	v_add_f32_e32 v33, v35, v33
	v_add_f32_e32 v35, v18, v36
	v_fma_f32 v18, v28, v16, -v34
	v_fma_f32 v16, v44, v22, -v26
	v_mul_f32_e32 v28, v44, v23
	v_dual_add_f32 v26, v21, v17 :: v_dual_mul_f32 v17, v30, v23
	s_delay_alu instid0(VALU_DEP_4) | instskip(NEXT) | instid1(VALU_DEP_4)
	v_dual_add_f32 v29, v20, v18 :: v_dual_mul_f32 v18, v45, v25
	v_add_f32_e32 v20, v1, v16
	v_mul_f32_e32 v16, v31, v23
	v_mul_f32_e32 v23, v31, v25
	v_mul_f32_e32 v25, v30, v25
	v_fma_f32 v1, v44, v24, -v18
	v_fmac_f32_e32 v28, v45, v22
	v_fmac_f32_e32 v17, v31, v22
	v_add_f32_e32 v19, v35, v19
	s_delay_alu instid0(VALU_DEP_4)
	v_dual_fmac_f32 v25, v31, v24 :: v_dual_add_f32 v18, v33, v1
	v_fma_f32 v1, v30, v22, -v16
	v_fma_f32 v22, v30, v24, -v23
	v_add_f32_e32 v21, v27, v28
	v_add_f32_e32 v17, v15, v17
	;; [unrolled: 1-line block ×5, first 2 shown]
	s_cbranch_vccnz .LBB1602_11
.LBB1602_3:                             ; =>This Inner Loop Header: Depth=1
	v_add_co_u32 v22, s8, v9, s2
	s_delay_alu instid0(VALU_DEP_1) | instskip(NEXT) | instid1(VALU_DEP_1)
	v_add_co_ci_u32_e64 v23, null, 0, s3, s8
	v_cmp_le_i64_e32 vcc_lo, s[4:5], v[22:23]
	s_or_b32 s8, s1, vcc_lo
	s_delay_alu instid0(SALU_CYCLE_1) | instskip(NEXT) | instid1(SALU_CYCLE_1)
	s_and_saveexec_b32 s9, s8
	s_xor_b32 s8, exec_lo, s9
	s_cbranch_execz .LBB1602_5
; %bb.4:                                ;   in Loop: Header=BB1602_3 Depth=1
	v_mov_b32_e32 v1, v0
	ds_store_b64 v10, v[0:1]
.LBB1602_5:                             ;   in Loop: Header=BB1602_3 Depth=1
	s_and_not1_saveexec_b32 s8, s8
	s_cbranch_execz .LBB1602_7
; %bb.6:                                ;   in Loop: Header=BB1602_3 Depth=1
	global_load_b64 v[22:23], v[2:3], off
	s_waitcnt vmcnt(0)
	ds_store_b64 v10, v[22:23]
.LBB1602_7:                             ;   in Loop: Header=BB1602_3 Depth=1
	s_or_b32 exec_lo, exec_lo, s8
	v_add_co_u32 v22, s8, v8, s2
	s_delay_alu instid0(VALU_DEP_1) | instskip(NEXT) | instid1(VALU_DEP_1)
	v_add_co_ci_u32_e64 v23, null, 0, s3, s8
	v_cmp_le_i64_e32 vcc_lo, s[4:5], v[22:23]
	s_or_b32 s8, vcc_lo, s0
	s_delay_alu instid0(SALU_CYCLE_1) | instskip(NEXT) | instid1(SALU_CYCLE_1)
	s_and_saveexec_b32 s9, s8
	s_xor_b32 s8, exec_lo, s9
	s_cbranch_execz .LBB1602_9
; %bb.8:                                ;   in Loop: Header=BB1602_3 Depth=1
	v_mov_b32_e32 v1, v0
	ds_store_b64 v11, v[0:1]
.LBB1602_9:                             ;   in Loop: Header=BB1602_3 Depth=1
	s_and_not1_saveexec_b32 s8, s8
	s_cbranch_execz .LBB1602_2
; %bb.10:                               ;   in Loop: Header=BB1602_3 Depth=1
	global_load_b64 v[22:23], v[4:5], off
	s_waitcnt vmcnt(0)
	ds_store_b64 v11, v[22:23]
	s_branch .LBB1602_2
.LBB1602_11:
	v_add_nc_u32_e32 v4, s14, v7
	s_delay_alu instid0(VALU_DEP_1) | instskip(SKIP_2) | instid1(VALU_DEP_3)
	v_ashrrev_i32_e32 v0, 31, v4
	v_mul_lo_u32 v3, v4, s19
	v_mad_u64_u32 v[1:2], null, v4, s18, 0
	v_mul_lo_u32 v0, v0, s18
	s_delay_alu instid0(VALU_DEP_1) | instskip(SKIP_1) | instid1(VALU_DEP_2)
	v_add3_u32 v2, v2, v3, v0
	v_add_nc_u32_e32 v0, s13, v6
	v_lshlrev_b64 v[1:2], 3, v[1:2]
	s_delay_alu instid0(VALU_DEP_2) | instskip(SKIP_2) | instid1(VALU_DEP_3)
	v_cmp_le_i32_e64 s0, v4, v0
	s_waitcnt lgkmcnt(0)
	v_cmp_gt_i32_e32 vcc_lo, s12, v0
	v_add_co_u32 v5, s1, s16, v1
	s_delay_alu instid0(VALU_DEP_1) | instskip(SKIP_1) | instid1(SALU_CYCLE_1)
	v_add_co_ci_u32_e64 v6, s1, s17, v2, s1
	s_and_b32 s0, s0, vcc_lo
	s_and_saveexec_b32 s1, s0
	s_cbranch_execz .LBB1602_13
; %bb.12:
	v_ashrrev_i32_e32 v1, 31, v0
	v_mul_f32_e32 v2, s6, v21
	v_mul_f32_e32 v3, s7, v21
	s_delay_alu instid0(VALU_DEP_3) | instskip(NEXT) | instid1(VALU_DEP_3)
	v_lshlrev_b64 v[7:8], 3, v[0:1]
	v_fmac_f32_e32 v2, s7, v20
	s_delay_alu instid0(VALU_DEP_3) | instskip(NEXT) | instid1(VALU_DEP_3)
	v_fma_f32 v1, v20, s6, -v3
	v_add_co_u32 v7, s0, v5, v7
	s_delay_alu instid0(VALU_DEP_1)
	v_add_co_ci_u32_e64 v8, s0, v6, v8, s0
	global_store_b64 v[7:8], v[1:2], off
.LBB1602_13:
	s_or_b32 exec_lo, exec_lo, s1
	v_add_nc_u32_e32 v2, 16, v0
	s_delay_alu instid0(VALU_DEP_1) | instskip(SKIP_1) | instid1(VALU_DEP_1)
	v_cmp_le_i32_e64 s1, v4, v2
	v_cmp_gt_i32_e64 s0, s12, v2
	s_and_b32 s1, s1, s0
	s_delay_alu instid0(SALU_CYCLE_1)
	s_and_saveexec_b32 s2, s1
	s_cbranch_execz .LBB1602_15
; %bb.14:
	v_ashrrev_i32_e32 v3, 31, v2
	v_mul_f32_e32 v8, s6, v19
	v_mul_f32_e32 v1, s7, v19
	s_delay_alu instid0(VALU_DEP_3) | instskip(NEXT) | instid1(VALU_DEP_3)
	v_lshlrev_b64 v[9:10], 3, v[2:3]
	v_fmac_f32_e32 v8, s7, v18
	s_delay_alu instid0(VALU_DEP_3) | instskip(NEXT) | instid1(VALU_DEP_3)
	v_fma_f32 v7, v18, s6, -v1
	v_add_co_u32 v5, s1, v5, v9
	s_delay_alu instid0(VALU_DEP_1)
	v_add_co_ci_u32_e64 v6, s1, v6, v10, s1
	global_store_b64 v[5:6], v[7:8], off
.LBB1602_15:
	s_or_b32 exec_lo, exec_lo, s2
	v_add_nc_u32_e32 v3, 16, v4
	s_delay_alu instid0(VALU_DEP_1) | instskip(SKIP_3) | instid1(VALU_DEP_4)
	v_ashrrev_i32_e32 v1, 31, v3
	v_mul_lo_u32 v6, v3, s19
	v_mad_u64_u32 v[4:5], null, v3, s18, 0
	v_cmp_le_i32_e64 s1, v3, v0
	v_mul_lo_u32 v1, v1, s18
	s_delay_alu instid0(VALU_DEP_1) | instskip(NEXT) | instid1(VALU_DEP_1)
	v_add3_u32 v5, v5, v6, v1
	v_lshlrev_b64 v[4:5], 3, v[4:5]
	s_delay_alu instid0(VALU_DEP_1) | instskip(NEXT) | instid1(VALU_DEP_1)
	v_add_co_u32 v4, s2, s16, v4
	v_add_co_ci_u32_e64 v5, s2, s17, v5, s2
	s_and_b32 s2, s1, vcc_lo
	s_delay_alu instid0(SALU_CYCLE_1)
	s_and_saveexec_b32 s1, s2
	s_cbranch_execz .LBB1602_17
; %bb.16:
	v_ashrrev_i32_e32 v1, 31, v0
	v_mul_f32_e32 v7, s6, v17
	v_mul_f32_e32 v6, s7, v17
	s_delay_alu instid0(VALU_DEP_3) | instskip(NEXT) | instid1(VALU_DEP_3)
	v_lshlrev_b64 v[0:1], 3, v[0:1]
	v_fmac_f32_e32 v7, s7, v16
	s_delay_alu instid0(VALU_DEP_3) | instskip(NEXT) | instid1(VALU_DEP_3)
	v_fma_f32 v6, v16, s6, -v6
	v_add_co_u32 v0, vcc_lo, v4, v0
	s_delay_alu instid0(VALU_DEP_4)
	v_add_co_ci_u32_e32 v1, vcc_lo, v5, v1, vcc_lo
	global_store_b64 v[0:1], v[6:7], off
.LBB1602_17:
	s_or_b32 exec_lo, exec_lo, s1
	v_cmp_le_i32_e32 vcc_lo, v3, v2
	s_and_b32 s0, vcc_lo, s0
	s_delay_alu instid0(SALU_CYCLE_1)
	s_and_saveexec_b32 s1, s0
	s_cbranch_execz .LBB1602_19
; %bb.18:
	v_ashrrev_i32_e32 v3, 31, v2
	v_mul_f32_e32 v1, s6, v15
	v_mul_f32_e32 v0, s7, v15
	s_delay_alu instid0(VALU_DEP_3) | instskip(NEXT) | instid1(VALU_DEP_3)
	v_lshlrev_b64 v[2:3], 3, v[2:3]
	v_fmac_f32_e32 v1, s7, v14
	s_delay_alu instid0(VALU_DEP_3) | instskip(NEXT) | instid1(VALU_DEP_3)
	v_fma_f32 v0, v14, s6, -v0
	v_add_co_u32 v2, vcc_lo, v4, v2
	s_delay_alu instid0(VALU_DEP_4)
	v_add_co_ci_u32_e32 v3, vcc_lo, v5, v3, vcc_lo
	global_store_b64 v[2:3], v[0:1], off
.LBB1602_19:
	s_nop 0
	s_sendmsg sendmsg(MSG_DEALLOC_VGPRS)
	s_endpgm
	.section	.rodata,"a",@progbits
	.p2align	6, 0x0
	.amdhsa_kernel _ZL34rocblas_syrkx_herkx_general_kernelIl19rocblas_complex_numIfELi16ELi32ELi8ELb1ELb0ELc84ELc76EKPKS1_KPS1_EviT_T0_PT8_S7_lSA_S7_lS8_PT9_S7_li
		.amdhsa_group_segment_fixed_size 4096
		.amdhsa_private_segment_fixed_size 0
		.amdhsa_kernarg_size 108
		.amdhsa_user_sgpr_count 13
		.amdhsa_user_sgpr_dispatch_ptr 0
		.amdhsa_user_sgpr_queue_ptr 0
		.amdhsa_user_sgpr_kernarg_segment_ptr 1
		.amdhsa_user_sgpr_dispatch_id 0
		.amdhsa_user_sgpr_private_segment_size 0
		.amdhsa_wavefront_size32 1
		.amdhsa_uses_dynamic_stack 0
		.amdhsa_enable_private_segment 0
		.amdhsa_system_sgpr_workgroup_id_x 1
		.amdhsa_system_sgpr_workgroup_id_y 1
		.amdhsa_system_sgpr_workgroup_id_z 1
		.amdhsa_system_sgpr_workgroup_info 0
		.amdhsa_system_vgpr_workitem_id 1
		.amdhsa_next_free_vgpr 59
		.amdhsa_next_free_sgpr 22
		.amdhsa_reserve_vcc 1
		.amdhsa_float_round_mode_32 0
		.amdhsa_float_round_mode_16_64 0
		.amdhsa_float_denorm_mode_32 3
		.amdhsa_float_denorm_mode_16_64 3
		.amdhsa_dx10_clamp 1
		.amdhsa_ieee_mode 1
		.amdhsa_fp16_overflow 0
		.amdhsa_workgroup_processor_mode 1
		.amdhsa_memory_ordered 1
		.amdhsa_forward_progress 0
		.amdhsa_shared_vgpr_count 0
		.amdhsa_exception_fp_ieee_invalid_op 0
		.amdhsa_exception_fp_denorm_src 0
		.amdhsa_exception_fp_ieee_div_zero 0
		.amdhsa_exception_fp_ieee_overflow 0
		.amdhsa_exception_fp_ieee_underflow 0
		.amdhsa_exception_fp_ieee_inexact 0
		.amdhsa_exception_int_div_zero 0
	.end_amdhsa_kernel
	.section	.text._ZL34rocblas_syrkx_herkx_general_kernelIl19rocblas_complex_numIfELi16ELi32ELi8ELb1ELb0ELc84ELc76EKPKS1_KPS1_EviT_T0_PT8_S7_lSA_S7_lS8_PT9_S7_li,"axG",@progbits,_ZL34rocblas_syrkx_herkx_general_kernelIl19rocblas_complex_numIfELi16ELi32ELi8ELb1ELb0ELc84ELc76EKPKS1_KPS1_EviT_T0_PT8_S7_lSA_S7_lS8_PT9_S7_li,comdat
.Lfunc_end1602:
	.size	_ZL34rocblas_syrkx_herkx_general_kernelIl19rocblas_complex_numIfELi16ELi32ELi8ELb1ELb0ELc84ELc76EKPKS1_KPS1_EviT_T0_PT8_S7_lSA_S7_lS8_PT9_S7_li, .Lfunc_end1602-_ZL34rocblas_syrkx_herkx_general_kernelIl19rocblas_complex_numIfELi16ELi32ELi8ELb1ELb0ELc84ELc76EKPKS1_KPS1_EviT_T0_PT8_S7_lSA_S7_lS8_PT9_S7_li
                                        ; -- End function
	.section	.AMDGPU.csdata,"",@progbits
; Kernel info:
; codeLenInByte = 2528
; NumSgprs: 24
; NumVgprs: 59
; ScratchSize: 0
; MemoryBound: 1
; FloatMode: 240
; IeeeMode: 1
; LDSByteSize: 4096 bytes/workgroup (compile time only)
; SGPRBlocks: 2
; VGPRBlocks: 7
; NumSGPRsForWavesPerEU: 24
; NumVGPRsForWavesPerEU: 59
; Occupancy: 16
; WaveLimiterHint : 1
; COMPUTE_PGM_RSRC2:SCRATCH_EN: 0
; COMPUTE_PGM_RSRC2:USER_SGPR: 13
; COMPUTE_PGM_RSRC2:TRAP_HANDLER: 0
; COMPUTE_PGM_RSRC2:TGID_X_EN: 1
; COMPUTE_PGM_RSRC2:TGID_Y_EN: 1
; COMPUTE_PGM_RSRC2:TGID_Z_EN: 1
; COMPUTE_PGM_RSRC2:TIDIG_COMP_CNT: 1
	.section	.text._ZL34rocblas_syrkx_herkx_general_kernelIl19rocblas_complex_numIfELi16ELi32ELi8ELb1ELb0ELc67ELc76EKPKS1_KPS1_EviT_T0_PT8_S7_lSA_S7_lS8_PT9_S7_li,"axG",@progbits,_ZL34rocblas_syrkx_herkx_general_kernelIl19rocblas_complex_numIfELi16ELi32ELi8ELb1ELb0ELc67ELc76EKPKS1_KPS1_EviT_T0_PT8_S7_lSA_S7_lS8_PT9_S7_li,comdat
	.globl	_ZL34rocblas_syrkx_herkx_general_kernelIl19rocblas_complex_numIfELi16ELi32ELi8ELb1ELb0ELc67ELc76EKPKS1_KPS1_EviT_T0_PT8_S7_lSA_S7_lS8_PT9_S7_li ; -- Begin function _ZL34rocblas_syrkx_herkx_general_kernelIl19rocblas_complex_numIfELi16ELi32ELi8ELb1ELb0ELc67ELc76EKPKS1_KPS1_EviT_T0_PT8_S7_lSA_S7_lS8_PT9_S7_li
	.p2align	8
	.type	_ZL34rocblas_syrkx_herkx_general_kernelIl19rocblas_complex_numIfELi16ELi32ELi8ELb1ELb0ELc67ELc76EKPKS1_KPS1_EviT_T0_PT8_S7_lSA_S7_lS8_PT9_S7_li,@function
_ZL34rocblas_syrkx_herkx_general_kernelIl19rocblas_complex_numIfELi16ELi32ELi8ELb1ELb0ELc67ELc76EKPKS1_KPS1_EviT_T0_PT8_S7_lSA_S7_lS8_PT9_S7_li: ; @_ZL34rocblas_syrkx_herkx_general_kernelIl19rocblas_complex_numIfELi16ELi32ELi8ELb1ELb0ELc67ELc76EKPKS1_KPS1_EviT_T0_PT8_S7_lSA_S7_lS8_PT9_S7_li
; %bb.0:
	s_clause 0x1
	s_load_b128 s[16:19], s[0:1], 0x50
	s_load_b256 s[4:11], s[0:1], 0x8
	s_mov_b32 s2, s15
	s_mov_b32 s3, 0
	v_dual_mov_b32 v23, 0 :: v_dual_and_b32 v8, 0x3ff, v0
	s_lshl_b64 s[20:21], s[2:3], 3
	v_bfe_u32 v9, v0, 10, 10
	v_dual_mov_b32 v22, 0 :: v_dual_mov_b32 v21, 0
	v_dual_mov_b32 v20, 0 :: v_dual_mov_b32 v19, 0
	;; [unrolled: 1-line block ×3, first 2 shown]
	v_mov_b32_e32 v16, 0
	s_waitcnt lgkmcnt(0)
	s_add_u32 s2, s16, s20
	s_addc_u32 s3, s17, s21
	s_load_b32 s12, s[0:1], 0x0
	s_load_b64 s[16:17], s[2:3], 0x0
	v_cmp_lt_i64_e64 s2, s[4:5], 1
	s_lshl_b32 s13, s13, 5
	s_lshl_b32 s14, s14, 5
	s_delay_alu instid0(VALU_DEP_1)
	s_and_b32 vcc_lo, exec_lo, s2
	s_cbranch_vccnz .LBB1603_9
; %bb.1:
	s_load_b128 s[0:3], s[0:1], 0x30
	v_lshl_add_u32 v1, v9, 4, v8
	v_and_b32_e32 v10, 7, v8
	v_dual_mov_b32 v0, 0 :: v_dual_lshlrev_b32 v11, 3, v8
	s_delay_alu instid0(VALU_DEP_3) | instskip(SKIP_1) | instid1(VALU_DEP_4)
	v_dual_mov_b32 v23, 0 :: v_dual_and_b32 v2, 31, v1
	v_lshrrev_b32_e32 v3, 3, v1
	v_lshlrev_b32_e32 v6, 3, v10
	v_lshrrev_b32_e32 v13, 5, v1
	s_delay_alu instid0(VALU_DEP_4) | instskip(NEXT) | instid1(VALU_DEP_4)
	v_dual_mov_b32 v21, 0 :: v_dual_add_nc_u32 v4, s13, v2
	v_add_nc_u32_e32 v5, s14, v3
	v_or_b32_e32 v7, s13, v2
	v_lshlrev_b32_e32 v14, 3, v2
	v_lshl_add_u32 v12, v9, 6, 0x800
	v_ashrrev_i32_e32 v16, 31, v4
	v_mul_lo_u32 v17, s11, v4
	v_mad_u64_u32 v[1:2], null, s10, v4, 0
	s_waitcnt lgkmcnt(0)
	s_add_u32 s22, s0, s20
	v_mul_lo_u32 v4, s10, v16
	s_addc_u32 s23, s1, s21
	s_add_u32 s0, s8, s20
	s_addc_u32 s1, s9, s21
	v_ashrrev_i32_e32 v15, 31, v5
	v_lshl_or_b32 v16, v3, 6, v6
	s_load_b64 s[8:9], s[0:1], 0x0
	v_cmp_gt_i32_e64 s0, s12, v7
	v_add3_u32 v2, v2, v4, v17
	v_mul_lo_u32 v18, s2, v15
	v_dual_mov_b32 v20, 0 :: v_dual_add_nc_u32 v15, 0x800, v16
	v_mov_b32_e32 v16, 0
	v_mul_lo_u32 v19, s3, v5
	v_mad_u64_u32 v[3:4], null, s2, v5, 0
	v_lshlrev_b64 v[1:2], 3, v[1:2]
	s_load_b64 s[2:3], s[22:23], 0x0
	v_lshlrev_b32_e32 v17, 3, v13
	v_cmp_gt_i32_e32 vcc_lo, s12, v5
	v_lshl_or_b32 v14, v13, 8, v14
	v_mov_b32_e32 v22, 0
	v_add3_u32 v4, v4, v18, v19
	v_mov_b32_e32 v18, 0
	v_add_co_u32 v5, s1, v1, v17
	s_delay_alu instid0(VALU_DEP_1) | instskip(NEXT) | instid1(VALU_DEP_4)
	v_add_co_ci_u32_e64 v7, s1, 0, v2, s1
	v_lshlrev_b64 v[1:2], 3, v[3:4]
	s_waitcnt lgkmcnt(0)
	s_delay_alu instid0(VALU_DEP_3) | instskip(NEXT) | instid1(VALU_DEP_1)
	v_add_co_u32 v3, s1, v5, s8
	v_add_co_ci_u32_e64 v4, s1, s9, v7, s1
	v_mov_b32_e32 v17, 0
	s_delay_alu instid0(VALU_DEP_4) | instskip(NEXT) | instid1(VALU_DEP_1)
	v_add_co_u32 v1, s1, v1, v6
	v_add_co_ci_u32_e64 v5, s1, 0, v2, s1
	v_add_co_u32 v2, s1, v3, 4
	s_delay_alu instid0(VALU_DEP_1) | instskip(NEXT) | instid1(VALU_DEP_4)
	v_add_co_ci_u32_e64 v3, s1, 0, v4, s1
	v_add_co_u32 v4, s1, s2, v1
	s_delay_alu instid0(VALU_DEP_1)
	v_add_co_ci_u32_e64 v5, s1, s3, v5, s1
	v_mov_b32_e32 v19, 0
	s_mov_b64 s[2:3], 0
	s_xor_b32 s1, vcc_lo, -1
	s_branch .LBB1603_3
.LBB1603_2:                             ;   in Loop: Header=BB1603_3 Depth=1
	s_or_b32 exec_lo, exec_lo, s8
	s_waitcnt lgkmcnt(0)
	s_barrier
	buffer_gl0_inv
	ds_load_2addr_b64 v[24:27], v11 offset1:16
	ds_load_b128 v[28:31], v12
	ds_load_b128 v[32:35], v12 offset:1024
	ds_load_b128 v[36:39], v12 offset:16
	ds_load_b128 v[40:43], v12 offset:32
	ds_load_b128 v[44:47], v12 offset:48
	ds_load_2addr_b64 v[48:51], v11 offset0:32 offset1:48
	ds_load_b128 v[52:55], v12 offset:1040
	s_add_u32 s2, s2, 8
	s_addc_u32 s3, s3, 0
	v_add_co_u32 v2, vcc_lo, v2, 64
	v_cmp_ge_i64_e64 s8, s[2:3], s[4:5]
	v_add_co_ci_u32_e32 v3, vcc_lo, 0, v3, vcc_lo
	v_add_co_u32 v4, vcc_lo, v4, 64
	v_add_co_ci_u32_e32 v5, vcc_lo, 0, v5, vcc_lo
	s_delay_alu instid0(VALU_DEP_4)
	s_and_b32 vcc_lo, exec_lo, s8
	s_waitcnt lgkmcnt(6)
	v_dual_mul_f32 v1, v29, v25 :: v_dual_mul_f32 v56, v28, v27
	v_dual_mul_f32 v6, v28, v25 :: v_dual_mul_f32 v7, v29, v27
	s_waitcnt lgkmcnt(5)
	v_mul_f32_e32 v58, v33, v27
	s_delay_alu instid0(VALU_DEP_3) | instskip(SKIP_3) | instid1(VALU_DEP_4)
	v_fma_f32 v1, v28, v24, -v1
	v_dual_mul_f32 v27, v32, v27 :: v_dual_fmac_f32 v56, v29, v26
	v_fmac_f32_e32 v6, v29, v24
	v_fma_f32 v7, v28, v26, -v7
	v_add_f32_e32 v1, v22, v1
	v_mul_f32_e32 v57, v33, v25
	s_delay_alu instid0(VALU_DEP_4) | instskip(NEXT) | instid1(VALU_DEP_4)
	v_dual_mul_f32 v25, v32, v25 :: v_dual_add_f32 v6, v23, v6
	v_dual_add_f32 v7, v20, v7 :: v_dual_add_f32 v22, v21, v56
	s_delay_alu instid0(VALU_DEP_3) | instskip(NEXT) | instid1(VALU_DEP_3)
	v_fma_f32 v28, v32, v24, -v57
	v_fmac_f32_e32 v25, v33, v24
	v_fma_f32 v24, v32, v26, -v58
	v_fmac_f32_e32 v27, v33, v26
	s_waitcnt lgkmcnt(1)
	v_dual_add_f32 v23, v18, v28 :: v_dual_mul_f32 v28, v31, v49
	s_delay_alu instid0(VALU_DEP_3)
	v_dual_add_f32 v25, v19, v25 :: v_dual_add_f32 v16, v16, v24
	v_mul_f32_e32 v24, v30, v49
	ds_load_2addr_b64 v[18:21], v11 offset0:64 offset1:80
	v_fma_f32 v26, v30, v48, -v28
	v_mul_f32_e32 v28, v31, v51
	v_dual_add_f32 v17, v17, v27 :: v_dual_fmac_f32 v24, v31, v48
	v_mul_f32_e32 v27, v30, v51
	s_delay_alu instid0(VALU_DEP_4) | instskip(NEXT) | instid1(VALU_DEP_4)
	v_add_f32_e32 v1, v1, v26
	v_fma_f32 v26, v30, v50, -v28
	v_mul_f32_e32 v28, v35, v49
	s_delay_alu instid0(VALU_DEP_4) | instskip(SKIP_1) | instid1(VALU_DEP_1)
	v_dual_add_f32 v6, v6, v24 :: v_dual_fmac_f32 v27, v31, v50
	v_mul_f32_e32 v24, v34, v49
	v_dual_add_f32 v27, v22, v27 :: v_dual_fmac_f32 v24, v35, v48
	v_add_f32_e32 v7, v7, v26
	v_fma_f32 v26, v34, v48, -v28
	v_mul_f32_e32 v29, v34, v51
	s_waitcnt lgkmcnt(0)
	v_mul_f32_e32 v30, v36, v19
	v_mul_f32_e32 v32, v37, v21
	v_add_f32_e32 v26, v23, v26
	v_fmac_f32_e32 v29, v35, v50
	v_mul_f32_e32 v28, v35, v51
	v_fmac_f32_e32 v30, v37, v18
	s_delay_alu instid0(VALU_DEP_3) | instskip(SKIP_1) | instid1(VALU_DEP_4)
	v_add_f32_e32 v29, v17, v29
	v_mul_f32_e32 v17, v36, v21
	v_fma_f32 v22, v34, v50, -v28
	v_mul_f32_e32 v23, v37, v19
	v_add_f32_e32 v28, v25, v24
	v_add_f32_e32 v6, v6, v30
	v_mul_f32_e32 v30, v53, v19
	v_add_f32_e32 v16, v16, v22
	v_fma_f32 v31, v36, v18, -v23
	ds_load_2addr_b64 v[22:25], v11 offset0:96 offset1:112
	v_mul_f32_e32 v19, v52, v19
	v_add_f32_e32 v1, v1, v31
	v_fma_f32 v31, v36, v20, -v32
	s_delay_alu instid0(VALU_DEP_1) | instskip(SKIP_4) | instid1(VALU_DEP_2)
	v_add_f32_e32 v7, v7, v31
	v_mul_f32_e32 v31, v53, v21
	v_mul_f32_e32 v21, v52, v21
	v_fma_f32 v30, v52, v18, -v30
	v_fmac_f32_e32 v17, v37, v20
	v_dual_fmac_f32 v21, v53, v20 :: v_dual_add_f32 v30, v26, v30
	s_delay_alu instid0(VALU_DEP_2)
	v_dual_fmac_f32 v19, v53, v18 :: v_dual_add_f32 v32, v27, v17
	v_fma_f32 v17, v52, v20, -v31
	s_waitcnt lgkmcnt(0)
	v_mul_f32_e32 v26, v38, v23
	v_mul_f32_e32 v20, v39, v23
	v_dual_add_f32 v31, v28, v19 :: v_dual_add_f32 v34, v29, v21
	v_add_f32_e32 v33, v16, v17
	ds_load_2addr_b64 v[16:19], v11 offset0:128 offset1:144
	v_fmac_f32_e32 v26, v39, v22
	v_mul_f32_e32 v27, v39, v25
	v_mul_f32_e32 v21, v38, v25
	;; [unrolled: 1-line block ×4, first 2 shown]
	v_fma_f32 v20, v38, v22, -v20
	v_add_f32_e32 v6, v6, v26
	v_fma_f32 v27, v38, v24, -v27
	s_waitcnt lgkmcnt(0)
	v_dual_fmac_f32 v25, v55, v24 :: v_dual_mul_f32 v38, v40, v17
	s_delay_alu instid0(VALU_DEP_1) | instskip(NEXT) | instid1(VALU_DEP_2)
	v_dual_add_f32 v25, v34, v25 :: v_dual_mul_f32 v34, v40, v19
	v_fmac_f32_e32 v38, v41, v16
	v_fmac_f32_e32 v21, v39, v24
	v_dual_add_f32 v1, v1, v20 :: v_dual_mul_f32 v20, v55, v23
	s_delay_alu instid0(VALU_DEP_4) | instskip(NEXT) | instid1(VALU_DEP_4)
	v_fmac_f32_e32 v34, v41, v18
	v_add_f32_e32 v6, v6, v38
	s_delay_alu instid0(VALU_DEP_4)
	v_add_f32_e32 v36, v32, v21
	v_fma_f32 v21, v54, v24, -v35
	v_add_f32_e32 v7, v7, v27
	ds_load_b128 v[26:29], v12 offset:1056
	v_mul_f32_e32 v23, v54, v23
	v_fma_f32 v20, v54, v22, -v20
	v_add_f32_e32 v24, v33, v21
	v_add_f32_e32 v34, v36, v34
	s_delay_alu instid0(VALU_DEP_4) | instskip(NEXT) | instid1(VALU_DEP_4)
	v_fmac_f32_e32 v23, v55, v22
	v_dual_add_f32 v35, v30, v20 :: v_dual_mul_f32 v20, v41, v17
	s_delay_alu instid0(VALU_DEP_2) | instskip(SKIP_1) | instid1(VALU_DEP_3)
	v_add_f32_e32 v37, v31, v23
	v_mul_f32_e32 v31, v41, v19
	v_fma_f32 v30, v40, v16, -v20
	ds_load_2addr_b64 v[20:23], v11 offset0:160 offset1:176
	v_fma_f32 v39, v40, v18, -v31
	v_add_f32_e32 v1, v1, v30
	ds_load_b128 v[30:33], v12 offset:1072
	s_waitcnt lgkmcnt(2)
	v_mul_f32_e32 v36, v26, v19
	v_mul_f32_e32 v40, v27, v17
	s_delay_alu instid0(VALU_DEP_2) | instskip(NEXT) | instid1(VALU_DEP_2)
	v_dual_fmac_f32 v36, v27, v18 :: v_dual_mul_f32 v17, v26, v17
	v_fma_f32 v38, v26, v16, -v40
	s_delay_alu instid0(VALU_DEP_2)
	v_fmac_f32_e32 v17, v27, v16
	v_add_f32_e32 v7, v7, v39
	v_mul_f32_e32 v39, v27, v19
	s_waitcnt lgkmcnt(1)
	v_mul_f32_e32 v27, v42, v21
	v_mul_f32_e32 v19, v43, v21
	s_delay_alu instid0(VALU_DEP_3) | instskip(NEXT) | instid1(VALU_DEP_1)
	v_fma_f32 v16, v26, v18, -v39
	v_add_f32_e32 v24, v24, v16
	s_delay_alu instid0(VALU_DEP_4) | instskip(SKIP_1) | instid1(VALU_DEP_2)
	v_fmac_f32_e32 v27, v43, v20
	v_add_f32_e32 v36, v25, v36
	v_add_f32_e32 v6, v6, v27
	;; [unrolled: 1-line block ×3, first 2 shown]
	v_fma_f32 v37, v42, v20, -v19
	ds_load_2addr_b64 v[16:19], v11 offset0:192 offset1:208
	v_mul_f32_e32 v25, v42, v23
	v_add_f32_e32 v35, v35, v38
	v_dual_mul_f32 v38, v43, v23 :: v_dual_mul_f32 v27, v29, v21
	v_mul_f32_e32 v21, v28, v21
	s_delay_alu instid0(VALU_DEP_4) | instskip(NEXT) | instid1(VALU_DEP_3)
	v_fmac_f32_e32 v25, v43, v22
	v_fma_f32 v27, v28, v20, -v27
	s_delay_alu instid0(VALU_DEP_2) | instskip(NEXT) | instid1(VALU_DEP_1)
	v_dual_fmac_f32 v21, v29, v20 :: v_dual_add_f32 v20, v34, v25
	v_add_f32_e32 v21, v26, v21
	s_waitcnt lgkmcnt(0)
	v_mul_f32_e32 v34, v45, v17
	v_add_f32_e32 v1, v1, v37
	v_fma_f32 v37, v42, v22, -v38
	s_delay_alu instid0(VALU_DEP_3) | instskip(NEXT) | instid1(VALU_DEP_2)
	v_fma_f32 v34, v44, v16, -v34
	v_add_f32_e32 v7, v7, v37
	v_mul_f32_e32 v37, v29, v23
	v_mul_f32_e32 v23, v28, v23
	s_delay_alu instid0(VALU_DEP_2) | instskip(SKIP_3) | instid1(VALU_DEP_2)
	v_fma_f32 v25, v28, v22, -v37
	v_add_f32_e32 v28, v35, v27
	v_mul_f32_e32 v35, v45, v19
	v_dual_add_f32 v1, v1, v34 :: v_dual_mul_f32 v34, v31, v17
	v_fma_f32 v35, v44, v18, -v35
	s_delay_alu instid0(VALU_DEP_1)
	v_add_f32_e32 v7, v7, v35
	v_dual_fmac_f32 v23, v29, v22 :: v_dual_add_f32 v22, v24, v25
	ds_load_2addr_b64 v[24:27], v11 offset0:224 offset1:240
	s_waitcnt lgkmcnt(0)
	s_barrier
	v_add_f32_e32 v23, v36, v23
	v_mul_f32_e32 v29, v44, v17
	v_dual_mul_f32 v36, v44, v19 :: v_dual_mul_f32 v17, v30, v17
	buffer_gl0_inv
	v_fmac_f32_e32 v29, v45, v16
	v_dual_fmac_f32 v36, v45, v18 :: v_dual_fmac_f32 v17, v31, v16
	s_delay_alu instid0(VALU_DEP_2) | instskip(SKIP_1) | instid1(VALU_DEP_3)
	v_add_f32_e32 v6, v6, v29
	v_fma_f32 v29, v30, v16, -v34
	v_dual_mul_f32 v34, v31, v19 :: v_dual_add_f32 v35, v20, v36
	s_delay_alu instid0(VALU_DEP_2) | instskip(NEXT) | instid1(VALU_DEP_2)
	v_dual_mul_f32 v19, v30, v19 :: v_dual_add_f32 v16, v28, v29
	v_fma_f32 v20, v30, v18, -v34
	v_mul_f32_e32 v28, v47, v25
	v_mul_f32_e32 v29, v46, v25
	s_delay_alu instid0(VALU_DEP_3) | instskip(NEXT) | instid1(VALU_DEP_3)
	v_dual_fmac_f32 v19, v31, v18 :: v_dual_add_f32 v30, v22, v20
	v_fma_f32 v18, v46, v24, -v28
	s_delay_alu instid0(VALU_DEP_3)
	v_fmac_f32_e32 v29, v47, v24
	v_dual_mul_f32 v20, v47, v27 :: v_dual_add_f32 v17, v21, v17
	v_mul_f32_e32 v21, v46, v27
	v_add_f32_e32 v28, v23, v19
	v_add_f32_e32 v22, v1, v18
	v_dual_mul_f32 v18, v33, v27 :: v_dual_add_f32 v23, v6, v29
	v_fma_f32 v1, v46, v26, -v20
	v_mul_f32_e32 v6, v33, v25
	v_mul_f32_e32 v19, v32, v25
	;; [unrolled: 1-line block ×3, first 2 shown]
	v_fmac_f32_e32 v21, v47, v26
	v_add_f32_e32 v20, v7, v1
	v_fma_f32 v1, v32, v24, -v6
	v_fmac_f32_e32 v19, v33, v24
	v_fma_f32 v6, v32, v26, -v18
	v_fmac_f32_e32 v25, v33, v26
	v_add_f32_e32 v21, v35, v21
	s_delay_alu instid0(VALU_DEP_4) | instskip(NEXT) | instid1(VALU_DEP_3)
	v_dual_add_f32 v18, v16, v1 :: v_dual_add_f32 v19, v17, v19
	v_dual_add_f32 v16, v30, v6 :: v_dual_add_f32 v17, v28, v25
	s_cbranch_vccnz .LBB1603_9
.LBB1603_3:                             ; =>This Inner Loop Header: Depth=1
	v_add_co_u32 v6, s8, v13, s2
	s_delay_alu instid0(VALU_DEP_1) | instskip(NEXT) | instid1(VALU_DEP_1)
	v_add_co_ci_u32_e64 v7, null, 0, s3, s8
	v_cmp_gt_i64_e32 vcc_lo, s[4:5], v[6:7]
	v_dual_mov_b32 v6, 0 :: v_dual_mov_b32 v7, 0
	s_and_b32 s9, s0, vcc_lo
	s_delay_alu instid0(SALU_CYCLE_1)
	s_and_saveexec_b32 s8, s9
	s_cbranch_execz .LBB1603_5
; %bb.4:                                ;   in Loop: Header=BB1603_3 Depth=1
	global_load_b64 v[6:7], v[2:3], off offset:-4
.LBB1603_5:                             ;   in Loop: Header=BB1603_3 Depth=1
	s_or_b32 exec_lo, exec_lo, s8
	v_add_co_u32 v24, s8, v10, s2
	s_delay_alu instid0(VALU_DEP_1) | instskip(SKIP_4) | instid1(SALU_CYCLE_1)
	v_add_co_ci_u32_e64 v25, null, 0, s3, s8
	s_waitcnt vmcnt(0)
	ds_store_b64 v14, v[6:7]
	v_cmp_le_i64_e32 vcc_lo, s[4:5], v[24:25]
	s_or_b32 s8, vcc_lo, s1
	s_and_saveexec_b32 s9, s8
	s_delay_alu instid0(SALU_CYCLE_1)
	s_xor_b32 s8, exec_lo, s9
	s_cbranch_execz .LBB1603_7
; %bb.6:                                ;   in Loop: Header=BB1603_3 Depth=1
	v_mov_b32_e32 v1, v0
	ds_store_b64 v15, v[0:1]
.LBB1603_7:                             ;   in Loop: Header=BB1603_3 Depth=1
	s_and_not1_saveexec_b32 s8, s8
	s_cbranch_execz .LBB1603_2
; %bb.8:                                ;   in Loop: Header=BB1603_3 Depth=1
	global_load_b64 v[6:7], v[4:5], off
	s_waitcnt vmcnt(0)
	ds_store_b64 v15, v[6:7]
	s_branch .LBB1603_2
.LBB1603_9:
	v_add_nc_u32_e32 v4, s14, v9
	s_delay_alu instid0(VALU_DEP_1) | instskip(SKIP_2) | instid1(VALU_DEP_3)
	v_ashrrev_i32_e32 v0, 31, v4
	v_mul_lo_u32 v3, v4, s19
	v_mad_u64_u32 v[1:2], null, v4, s18, 0
	v_mul_lo_u32 v0, v0, s18
	s_delay_alu instid0(VALU_DEP_1) | instskip(SKIP_1) | instid1(VALU_DEP_2)
	v_add3_u32 v2, v2, v3, v0
	v_add_nc_u32_e32 v0, s13, v8
	v_lshlrev_b64 v[1:2], 3, v[1:2]
	s_delay_alu instid0(VALU_DEP_2) | instskip(SKIP_2) | instid1(VALU_DEP_3)
	v_cmp_le_i32_e64 s0, v4, v0
	s_waitcnt lgkmcnt(0)
	v_cmp_gt_i32_e32 vcc_lo, s12, v0
	v_add_co_u32 v5, s1, s16, v1
	s_delay_alu instid0(VALU_DEP_1) | instskip(SKIP_1) | instid1(SALU_CYCLE_1)
	v_add_co_ci_u32_e64 v6, s1, s17, v2, s1
	s_and_b32 s0, s0, vcc_lo
	s_and_saveexec_b32 s1, s0
	s_cbranch_execz .LBB1603_11
; %bb.10:
	v_ashrrev_i32_e32 v1, 31, v0
	v_mul_f32_e32 v2, s6, v23
	v_mul_f32_e32 v3, s7, v23
	s_delay_alu instid0(VALU_DEP_3) | instskip(NEXT) | instid1(VALU_DEP_3)
	v_lshlrev_b64 v[7:8], 3, v[0:1]
	v_fmac_f32_e32 v2, s7, v22
	s_delay_alu instid0(VALU_DEP_3) | instskip(NEXT) | instid1(VALU_DEP_3)
	v_fma_f32 v1, v22, s6, -v3
	v_add_co_u32 v7, s0, v5, v7
	s_delay_alu instid0(VALU_DEP_1)
	v_add_co_ci_u32_e64 v8, s0, v6, v8, s0
	global_store_b64 v[7:8], v[1:2], off
.LBB1603_11:
	s_or_b32 exec_lo, exec_lo, s1
	v_add_nc_u32_e32 v2, 16, v0
	s_delay_alu instid0(VALU_DEP_1) | instskip(SKIP_1) | instid1(VALU_DEP_1)
	v_cmp_le_i32_e64 s1, v4, v2
	v_cmp_gt_i32_e64 s0, s12, v2
	s_and_b32 s1, s1, s0
	s_delay_alu instid0(SALU_CYCLE_1)
	s_and_saveexec_b32 s2, s1
	s_cbranch_execz .LBB1603_13
; %bb.12:
	v_ashrrev_i32_e32 v3, 31, v2
	v_mul_f32_e32 v8, s6, v21
	v_mul_f32_e32 v1, s7, v21
	s_delay_alu instid0(VALU_DEP_3) | instskip(NEXT) | instid1(VALU_DEP_3)
	v_lshlrev_b64 v[9:10], 3, v[2:3]
	v_fmac_f32_e32 v8, s7, v20
	s_delay_alu instid0(VALU_DEP_3) | instskip(NEXT) | instid1(VALU_DEP_3)
	v_fma_f32 v7, v20, s6, -v1
	v_add_co_u32 v5, s1, v5, v9
	s_delay_alu instid0(VALU_DEP_1)
	v_add_co_ci_u32_e64 v6, s1, v6, v10, s1
	global_store_b64 v[5:6], v[7:8], off
.LBB1603_13:
	s_or_b32 exec_lo, exec_lo, s2
	v_add_nc_u32_e32 v3, 16, v4
	s_delay_alu instid0(VALU_DEP_1) | instskip(SKIP_3) | instid1(VALU_DEP_4)
	v_ashrrev_i32_e32 v1, 31, v3
	v_mul_lo_u32 v6, v3, s19
	v_mad_u64_u32 v[4:5], null, v3, s18, 0
	v_cmp_le_i32_e64 s1, v3, v0
	v_mul_lo_u32 v1, v1, s18
	s_delay_alu instid0(VALU_DEP_1) | instskip(NEXT) | instid1(VALU_DEP_1)
	v_add3_u32 v5, v5, v6, v1
	v_lshlrev_b64 v[4:5], 3, v[4:5]
	s_delay_alu instid0(VALU_DEP_1) | instskip(NEXT) | instid1(VALU_DEP_1)
	v_add_co_u32 v4, s2, s16, v4
	v_add_co_ci_u32_e64 v5, s2, s17, v5, s2
	s_and_b32 s2, s1, vcc_lo
	s_delay_alu instid0(SALU_CYCLE_1)
	s_and_saveexec_b32 s1, s2
	s_cbranch_execz .LBB1603_15
; %bb.14:
	v_ashrrev_i32_e32 v1, 31, v0
	v_mul_f32_e32 v7, s6, v19
	v_mul_f32_e32 v6, s7, v19
	s_delay_alu instid0(VALU_DEP_3) | instskip(NEXT) | instid1(VALU_DEP_3)
	v_lshlrev_b64 v[0:1], 3, v[0:1]
	v_fmac_f32_e32 v7, s7, v18
	s_delay_alu instid0(VALU_DEP_3) | instskip(NEXT) | instid1(VALU_DEP_3)
	v_fma_f32 v6, v18, s6, -v6
	v_add_co_u32 v0, vcc_lo, v4, v0
	s_delay_alu instid0(VALU_DEP_4)
	v_add_co_ci_u32_e32 v1, vcc_lo, v5, v1, vcc_lo
	global_store_b64 v[0:1], v[6:7], off
.LBB1603_15:
	s_or_b32 exec_lo, exec_lo, s1
	v_cmp_le_i32_e32 vcc_lo, v3, v2
	s_and_b32 s0, vcc_lo, s0
	s_delay_alu instid0(SALU_CYCLE_1)
	s_and_saveexec_b32 s1, s0
	s_cbranch_execz .LBB1603_17
; %bb.16:
	v_ashrrev_i32_e32 v3, 31, v2
	v_mul_f32_e32 v1, s6, v17
	v_mul_f32_e32 v0, s7, v17
	s_delay_alu instid0(VALU_DEP_3) | instskip(NEXT) | instid1(VALU_DEP_3)
	v_lshlrev_b64 v[2:3], 3, v[2:3]
	v_fmac_f32_e32 v1, s7, v16
	s_delay_alu instid0(VALU_DEP_3) | instskip(NEXT) | instid1(VALU_DEP_3)
	v_fma_f32 v0, v16, s6, -v0
	v_add_co_u32 v2, vcc_lo, v4, v2
	s_delay_alu instid0(VALU_DEP_4)
	v_add_co_ci_u32_e32 v3, vcc_lo, v5, v3, vcc_lo
	global_store_b64 v[2:3], v[0:1], off
.LBB1603_17:
	s_nop 0
	s_sendmsg sendmsg(MSG_DEALLOC_VGPRS)
	s_endpgm
	.section	.rodata,"a",@progbits
	.p2align	6, 0x0
	.amdhsa_kernel _ZL34rocblas_syrkx_herkx_general_kernelIl19rocblas_complex_numIfELi16ELi32ELi8ELb1ELb0ELc67ELc76EKPKS1_KPS1_EviT_T0_PT8_S7_lSA_S7_lS8_PT9_S7_li
		.amdhsa_group_segment_fixed_size 4096
		.amdhsa_private_segment_fixed_size 0
		.amdhsa_kernarg_size 108
		.amdhsa_user_sgpr_count 13
		.amdhsa_user_sgpr_dispatch_ptr 0
		.amdhsa_user_sgpr_queue_ptr 0
		.amdhsa_user_sgpr_kernarg_segment_ptr 1
		.amdhsa_user_sgpr_dispatch_id 0
		.amdhsa_user_sgpr_private_segment_size 0
		.amdhsa_wavefront_size32 1
		.amdhsa_uses_dynamic_stack 0
		.amdhsa_enable_private_segment 0
		.amdhsa_system_sgpr_workgroup_id_x 1
		.amdhsa_system_sgpr_workgroup_id_y 1
		.amdhsa_system_sgpr_workgroup_id_z 1
		.amdhsa_system_sgpr_workgroup_info 0
		.amdhsa_system_vgpr_workitem_id 1
		.amdhsa_next_free_vgpr 59
		.amdhsa_next_free_sgpr 24
		.amdhsa_reserve_vcc 1
		.amdhsa_float_round_mode_32 0
		.amdhsa_float_round_mode_16_64 0
		.amdhsa_float_denorm_mode_32 3
		.amdhsa_float_denorm_mode_16_64 3
		.amdhsa_dx10_clamp 1
		.amdhsa_ieee_mode 1
		.amdhsa_fp16_overflow 0
		.amdhsa_workgroup_processor_mode 1
		.amdhsa_memory_ordered 1
		.amdhsa_forward_progress 0
		.amdhsa_shared_vgpr_count 0
		.amdhsa_exception_fp_ieee_invalid_op 0
		.amdhsa_exception_fp_denorm_src 0
		.amdhsa_exception_fp_ieee_div_zero 0
		.amdhsa_exception_fp_ieee_overflow 0
		.amdhsa_exception_fp_ieee_underflow 0
		.amdhsa_exception_fp_ieee_inexact 0
		.amdhsa_exception_int_div_zero 0
	.end_amdhsa_kernel
	.section	.text._ZL34rocblas_syrkx_herkx_general_kernelIl19rocblas_complex_numIfELi16ELi32ELi8ELb1ELb0ELc67ELc76EKPKS1_KPS1_EviT_T0_PT8_S7_lSA_S7_lS8_PT9_S7_li,"axG",@progbits,_ZL34rocblas_syrkx_herkx_general_kernelIl19rocblas_complex_numIfELi16ELi32ELi8ELb1ELb0ELc67ELc76EKPKS1_KPS1_EviT_T0_PT8_S7_lSA_S7_lS8_PT9_S7_li,comdat
.Lfunc_end1603:
	.size	_ZL34rocblas_syrkx_herkx_general_kernelIl19rocblas_complex_numIfELi16ELi32ELi8ELb1ELb0ELc67ELc76EKPKS1_KPS1_EviT_T0_PT8_S7_lSA_S7_lS8_PT9_S7_li, .Lfunc_end1603-_ZL34rocblas_syrkx_herkx_general_kernelIl19rocblas_complex_numIfELi16ELi32ELi8ELb1ELb0ELc67ELc76EKPKS1_KPS1_EviT_T0_PT8_S7_lSA_S7_lS8_PT9_S7_li
                                        ; -- End function
	.section	.AMDGPU.csdata,"",@progbits
; Kernel info:
; codeLenInByte = 2508
; NumSgprs: 26
; NumVgprs: 59
; ScratchSize: 0
; MemoryBound: 1
; FloatMode: 240
; IeeeMode: 1
; LDSByteSize: 4096 bytes/workgroup (compile time only)
; SGPRBlocks: 3
; VGPRBlocks: 7
; NumSGPRsForWavesPerEU: 26
; NumVGPRsForWavesPerEU: 59
; Occupancy: 16
; WaveLimiterHint : 1
; COMPUTE_PGM_RSRC2:SCRATCH_EN: 0
; COMPUTE_PGM_RSRC2:USER_SGPR: 13
; COMPUTE_PGM_RSRC2:TRAP_HANDLER: 0
; COMPUTE_PGM_RSRC2:TGID_X_EN: 1
; COMPUTE_PGM_RSRC2:TGID_Y_EN: 1
; COMPUTE_PGM_RSRC2:TGID_Z_EN: 1
; COMPUTE_PGM_RSRC2:TIDIG_COMP_CNT: 1
	.section	.text._ZL34rocblas_syrkx_herkx_general_kernelIl19rocblas_complex_numIfELi16ELi32ELi8ELb1ELb0ELc78ELc76EKPKS1_KPS1_EviT_T0_PT8_S7_lSA_S7_lS8_PT9_S7_li,"axG",@progbits,_ZL34rocblas_syrkx_herkx_general_kernelIl19rocblas_complex_numIfELi16ELi32ELi8ELb1ELb0ELc78ELc76EKPKS1_KPS1_EviT_T0_PT8_S7_lSA_S7_lS8_PT9_S7_li,comdat
	.globl	_ZL34rocblas_syrkx_herkx_general_kernelIl19rocblas_complex_numIfELi16ELi32ELi8ELb1ELb0ELc78ELc76EKPKS1_KPS1_EviT_T0_PT8_S7_lSA_S7_lS8_PT9_S7_li ; -- Begin function _ZL34rocblas_syrkx_herkx_general_kernelIl19rocblas_complex_numIfELi16ELi32ELi8ELb1ELb0ELc78ELc76EKPKS1_KPS1_EviT_T0_PT8_S7_lSA_S7_lS8_PT9_S7_li
	.p2align	8
	.type	_ZL34rocblas_syrkx_herkx_general_kernelIl19rocblas_complex_numIfELi16ELi32ELi8ELb1ELb0ELc78ELc76EKPKS1_KPS1_EviT_T0_PT8_S7_lSA_S7_lS8_PT9_S7_li,@function
_ZL34rocblas_syrkx_herkx_general_kernelIl19rocblas_complex_numIfELi16ELi32ELi8ELb1ELb0ELc78ELc76EKPKS1_KPS1_EviT_T0_PT8_S7_lSA_S7_lS8_PT9_S7_li: ; @_ZL34rocblas_syrkx_herkx_general_kernelIl19rocblas_complex_numIfELi16ELi32ELi8ELb1ELb0ELc78ELc76EKPKS1_KPS1_EviT_T0_PT8_S7_lSA_S7_lS8_PT9_S7_li
; %bb.0:
	s_clause 0x1
	s_load_b128 s[16:19], s[0:1], 0x50
	s_load_b256 s[4:11], s[0:1], 0x8
	s_mov_b32 s2, s15
	s_mov_b32 s3, 0
	v_dual_mov_b32 v23, 0 :: v_dual_and_b32 v8, 0x3ff, v0
	s_lshl_b64 s[20:21], s[2:3], 3
	v_bfe_u32 v9, v0, 10, 10
	v_dual_mov_b32 v22, 0 :: v_dual_mov_b32 v21, 0
	v_dual_mov_b32 v20, 0 :: v_dual_mov_b32 v19, 0
	;; [unrolled: 1-line block ×3, first 2 shown]
	v_mov_b32_e32 v16, 0
	s_waitcnt lgkmcnt(0)
	s_add_u32 s2, s16, s20
	s_addc_u32 s3, s17, s21
	s_load_b32 s16, s[0:1], 0x0
	s_load_b64 s[2:3], s[2:3], 0x0
	v_cmp_lt_i64_e64 s12, s[4:5], 1
	s_lshl_b32 s17, s13, 5
	s_lshl_b32 s22, s14, 5
	s_delay_alu instid0(VALU_DEP_1)
	s_and_b32 vcc_lo, exec_lo, s12
	s_cbranch_vccnz .LBB1604_9
; %bb.1:
	s_load_b128 s[12:15], s[0:1], 0x30
	v_lshl_add_u32 v1, v9, 4, v8
	v_and_b32_e32 v10, 7, v8
	v_dual_mov_b32 v0, 0 :: v_dual_lshlrev_b32 v11, 3, v8
	v_lshl_add_u32 v12, v9, 6, 0x800
	s_delay_alu instid0(VALU_DEP_4) | instskip(SKIP_3) | instid1(VALU_DEP_4)
	v_lshrrev_b32_e32 v13, 5, v1
	v_lshrrev_b32_e32 v2, 3, v1
	v_lshlrev_b32_e32 v14, 3, v10
	v_dual_mov_b32 v22, 0 :: v_dual_mov_b32 v23, 0
	v_mad_u64_u32 v[5:6], null, s10, v13, 0
	s_waitcnt lgkmcnt(0)
	v_mad_u64_u32 v[3:4], null, s14, v10, 0
	s_add_u32 s12, s12, s20
	s_addc_u32 s13, s13, s21
	s_add_u32 s8, s8, s20
	s_load_b64 s[12:13], s[12:13], 0x0
	s_addc_u32 s9, s9, s21
	s_delay_alu instid0(VALU_DEP_1) | instskip(SKIP_3) | instid1(VALU_DEP_2)
	v_mad_u64_u32 v[18:19], null, s15, v10, v[4:5]
	v_and_b32_e32 v7, 31, v1
	s_load_b64 s[20:21], s[8:9], 0x0
	s_lshl_b64 s[8:9], s[10:11], 6
	v_mov_b32_e32 v4, v18
	s_delay_alu instid0(VALU_DEP_2)
	v_mad_u64_u32 v[19:20], null, s11, v13, v[6:7]
	v_add_nc_u32_e32 v1, s22, v2
	v_or_b32_e32 v15, s17, v7
	v_lshlrev_b32_e32 v17, 3, v7
	v_add_nc_u32_e32 v16, s17, v7
	v_lshlrev_b64 v[3:4], 3, v[3:4]
	v_mov_b32_e32 v20, 0
	v_dual_mov_b32 v6, v19 :: v_dual_mov_b32 v19, 0
	v_lshl_or_b32 v21, v2, 6, v14
	v_ashrrev_i32_e32 v2, 31, v1
	v_cmp_gt_i32_e32 vcc_lo, s16, v15
	v_lshl_or_b32 v14, v13, 8, v17
	v_cmp_gt_i32_e64 s0, s16, v1
	v_dual_mov_b32 v18, 0 :: v_dual_add_nc_u32 v15, 0x800, v21
	v_mov_b32_e32 v21, 0
	v_ashrrev_i32_e32 v17, 31, v16
	v_lshlrev_b64 v[1:2], 3, v[1:2]
	v_lshlrev_b64 v[5:6], 3, v[5:6]
	s_lshl_b64 s[10:11], s[14:15], 6
	s_delay_alu instid0(VALU_DEP_3) | instskip(NEXT) | instid1(VALU_DEP_3)
	v_lshlrev_b64 v[16:17], 3, v[16:17]
	v_add_co_u32 v1, s1, v3, v1
	s_delay_alu instid0(VALU_DEP_1) | instskip(NEXT) | instid1(VALU_DEP_3)
	v_add_co_ci_u32_e64 v2, s1, v4, v2, s1
	v_add_co_u32 v3, s1, v5, v16
	s_delay_alu instid0(VALU_DEP_1) | instskip(SKIP_2) | instid1(VALU_DEP_1)
	v_add_co_ci_u32_e64 v4, s1, v6, v17, s1
	s_waitcnt lgkmcnt(0)
	v_add_co_u32 v1, s1, v1, s12
	v_add_co_ci_u32_e64 v5, s1, s13, v2, s1
	v_add_co_u32 v2, s1, s20, v3
	s_delay_alu instid0(VALU_DEP_1) | instskip(NEXT) | instid1(VALU_DEP_4)
	v_add_co_ci_u32_e64 v3, s1, s21, v4, s1
	v_add_co_u32 v4, s1, v1, 4
	s_delay_alu instid0(VALU_DEP_1)
	v_add_co_ci_u32_e64 v5, s1, 0, v5, s1
	v_dual_mov_b32 v17, 0 :: v_dual_mov_b32 v16, 0
	s_mov_b64 s[12:13], 0
	s_xor_b32 s1, vcc_lo, -1
	s_branch .LBB1604_3
.LBB1604_2:                             ;   in Loop: Header=BB1604_3 Depth=1
	s_or_b32 exec_lo, exec_lo, s14
	s_waitcnt vmcnt(0)
	ds_store_b64 v15, v[6:7]
	s_waitcnt lgkmcnt(0)
	s_barrier
	buffer_gl0_inv
	ds_load_2addr_b64 v[24:27], v11 offset1:16
	ds_load_b128 v[28:31], v12
	ds_load_b128 v[32:35], v12 offset:1024
	ds_load_b128 v[36:39], v12 offset:16
	;; [unrolled: 1-line block ×4, first 2 shown]
	ds_load_2addr_b64 v[48:51], v11 offset0:32 offset1:48
	ds_load_b128 v[52:55], v12 offset:1040
	s_add_u32 s12, s12, 8
	s_addc_u32 s13, s13, 0
	v_add_co_u32 v2, vcc_lo, v2, s8
	v_cmp_ge_i64_e64 s14, s[12:13], s[4:5]
	v_add_co_ci_u32_e32 v3, vcc_lo, s9, v3, vcc_lo
	v_add_co_u32 v4, vcc_lo, v4, s10
	v_add_co_ci_u32_e32 v5, vcc_lo, s11, v5, vcc_lo
	s_delay_alu instid0(VALU_DEP_4)
	s_and_b32 vcc_lo, exec_lo, s14
	s_waitcnt lgkmcnt(6)
	v_dual_mul_f32 v1, v29, v25 :: v_dual_mul_f32 v56, v28, v27
	v_dual_mul_f32 v6, v28, v25 :: v_dual_mul_f32 v7, v29, v27
	s_waitcnt lgkmcnt(5)
	v_mul_f32_e32 v58, v33, v27
	s_delay_alu instid0(VALU_DEP_3) | instskip(SKIP_3) | instid1(VALU_DEP_4)
	v_fma_f32 v1, v28, v24, -v1
	v_dual_mul_f32 v27, v32, v27 :: v_dual_fmac_f32 v56, v29, v26
	v_fmac_f32_e32 v6, v29, v24
	v_fma_f32 v7, v28, v26, -v7
	v_add_f32_e32 v1, v22, v1
	v_mul_f32_e32 v57, v33, v25
	s_delay_alu instid0(VALU_DEP_4) | instskip(NEXT) | instid1(VALU_DEP_4)
	v_dual_mul_f32 v25, v32, v25 :: v_dual_add_f32 v6, v23, v6
	v_dual_add_f32 v7, v20, v7 :: v_dual_add_f32 v22, v21, v56
	s_delay_alu instid0(VALU_DEP_3) | instskip(NEXT) | instid1(VALU_DEP_3)
	v_fma_f32 v28, v32, v24, -v57
	v_fmac_f32_e32 v25, v33, v24
	v_fma_f32 v24, v32, v26, -v58
	v_fmac_f32_e32 v27, v33, v26
	s_waitcnt lgkmcnt(1)
	v_dual_add_f32 v23, v18, v28 :: v_dual_mul_f32 v28, v31, v49
	s_delay_alu instid0(VALU_DEP_3)
	v_dual_add_f32 v25, v19, v25 :: v_dual_add_f32 v16, v16, v24
	v_mul_f32_e32 v24, v30, v49
	ds_load_2addr_b64 v[18:21], v11 offset0:64 offset1:80
	v_fma_f32 v26, v30, v48, -v28
	v_mul_f32_e32 v28, v31, v51
	v_dual_add_f32 v17, v17, v27 :: v_dual_fmac_f32 v24, v31, v48
	v_mul_f32_e32 v27, v30, v51
	s_delay_alu instid0(VALU_DEP_4) | instskip(NEXT) | instid1(VALU_DEP_4)
	v_add_f32_e32 v1, v1, v26
	v_fma_f32 v26, v30, v50, -v28
	v_mul_f32_e32 v28, v35, v49
	s_delay_alu instid0(VALU_DEP_4) | instskip(SKIP_1) | instid1(VALU_DEP_1)
	v_dual_add_f32 v6, v6, v24 :: v_dual_fmac_f32 v27, v31, v50
	v_mul_f32_e32 v24, v34, v49
	v_dual_add_f32 v27, v22, v27 :: v_dual_fmac_f32 v24, v35, v48
	v_add_f32_e32 v7, v7, v26
	v_fma_f32 v26, v34, v48, -v28
	v_mul_f32_e32 v29, v34, v51
	s_waitcnt lgkmcnt(0)
	v_mul_f32_e32 v30, v36, v19
	v_mul_f32_e32 v32, v37, v21
	v_add_f32_e32 v26, v23, v26
	v_fmac_f32_e32 v29, v35, v50
	v_mul_f32_e32 v28, v35, v51
	v_fmac_f32_e32 v30, v37, v18
	s_delay_alu instid0(VALU_DEP_3) | instskip(SKIP_1) | instid1(VALU_DEP_4)
	v_add_f32_e32 v29, v17, v29
	v_mul_f32_e32 v17, v36, v21
	v_fma_f32 v22, v34, v50, -v28
	v_mul_f32_e32 v23, v37, v19
	v_add_f32_e32 v28, v25, v24
	v_add_f32_e32 v6, v6, v30
	v_mul_f32_e32 v30, v53, v19
	v_add_f32_e32 v16, v16, v22
	v_fma_f32 v31, v36, v18, -v23
	ds_load_2addr_b64 v[22:25], v11 offset0:96 offset1:112
	v_mul_f32_e32 v19, v52, v19
	v_add_f32_e32 v1, v1, v31
	v_fma_f32 v31, v36, v20, -v32
	s_delay_alu instid0(VALU_DEP_1) | instskip(SKIP_4) | instid1(VALU_DEP_2)
	v_add_f32_e32 v7, v7, v31
	v_mul_f32_e32 v31, v53, v21
	v_mul_f32_e32 v21, v52, v21
	v_fma_f32 v30, v52, v18, -v30
	v_fmac_f32_e32 v17, v37, v20
	v_dual_fmac_f32 v21, v53, v20 :: v_dual_add_f32 v30, v26, v30
	s_delay_alu instid0(VALU_DEP_2)
	v_dual_fmac_f32 v19, v53, v18 :: v_dual_add_f32 v32, v27, v17
	v_fma_f32 v17, v52, v20, -v31
	s_waitcnt lgkmcnt(0)
	v_mul_f32_e32 v26, v38, v23
	v_mul_f32_e32 v20, v39, v23
	v_dual_add_f32 v31, v28, v19 :: v_dual_add_f32 v34, v29, v21
	v_add_f32_e32 v33, v16, v17
	ds_load_2addr_b64 v[16:19], v11 offset0:128 offset1:144
	v_fmac_f32_e32 v26, v39, v22
	v_mul_f32_e32 v27, v39, v25
	v_mul_f32_e32 v21, v38, v25
	;; [unrolled: 1-line block ×4, first 2 shown]
	v_fma_f32 v20, v38, v22, -v20
	v_add_f32_e32 v6, v6, v26
	v_fma_f32 v27, v38, v24, -v27
	s_waitcnt lgkmcnt(0)
	v_dual_fmac_f32 v25, v55, v24 :: v_dual_mul_f32 v38, v40, v17
	s_delay_alu instid0(VALU_DEP_1) | instskip(NEXT) | instid1(VALU_DEP_2)
	v_dual_add_f32 v25, v34, v25 :: v_dual_mul_f32 v34, v40, v19
	v_fmac_f32_e32 v38, v41, v16
	v_fmac_f32_e32 v21, v39, v24
	v_dual_add_f32 v1, v1, v20 :: v_dual_mul_f32 v20, v55, v23
	s_delay_alu instid0(VALU_DEP_4) | instskip(NEXT) | instid1(VALU_DEP_4)
	v_fmac_f32_e32 v34, v41, v18
	v_add_f32_e32 v6, v6, v38
	s_delay_alu instid0(VALU_DEP_4)
	v_add_f32_e32 v36, v32, v21
	v_fma_f32 v21, v54, v24, -v35
	v_add_f32_e32 v7, v7, v27
	ds_load_b128 v[26:29], v12 offset:1056
	v_mul_f32_e32 v23, v54, v23
	v_fma_f32 v20, v54, v22, -v20
	v_add_f32_e32 v24, v33, v21
	v_add_f32_e32 v34, v36, v34
	s_delay_alu instid0(VALU_DEP_4) | instskip(NEXT) | instid1(VALU_DEP_4)
	v_fmac_f32_e32 v23, v55, v22
	v_dual_add_f32 v35, v30, v20 :: v_dual_mul_f32 v20, v41, v17
	s_delay_alu instid0(VALU_DEP_2) | instskip(SKIP_1) | instid1(VALU_DEP_3)
	v_add_f32_e32 v37, v31, v23
	v_mul_f32_e32 v31, v41, v19
	v_fma_f32 v30, v40, v16, -v20
	ds_load_2addr_b64 v[20:23], v11 offset0:160 offset1:176
	v_fma_f32 v39, v40, v18, -v31
	v_add_f32_e32 v1, v1, v30
	ds_load_b128 v[30:33], v12 offset:1072
	s_waitcnt lgkmcnt(2)
	v_mul_f32_e32 v36, v26, v19
	v_mul_f32_e32 v40, v27, v17
	s_delay_alu instid0(VALU_DEP_2) | instskip(NEXT) | instid1(VALU_DEP_2)
	v_dual_fmac_f32 v36, v27, v18 :: v_dual_mul_f32 v17, v26, v17
	v_fma_f32 v38, v26, v16, -v40
	s_delay_alu instid0(VALU_DEP_2)
	v_fmac_f32_e32 v17, v27, v16
	v_add_f32_e32 v7, v7, v39
	v_mul_f32_e32 v39, v27, v19
	s_waitcnt lgkmcnt(1)
	v_mul_f32_e32 v27, v42, v21
	v_mul_f32_e32 v19, v43, v21
	s_delay_alu instid0(VALU_DEP_3) | instskip(NEXT) | instid1(VALU_DEP_1)
	v_fma_f32 v16, v26, v18, -v39
	v_add_f32_e32 v24, v24, v16
	s_delay_alu instid0(VALU_DEP_4) | instskip(SKIP_1) | instid1(VALU_DEP_2)
	v_fmac_f32_e32 v27, v43, v20
	v_add_f32_e32 v36, v25, v36
	v_add_f32_e32 v6, v6, v27
	;; [unrolled: 1-line block ×3, first 2 shown]
	v_fma_f32 v37, v42, v20, -v19
	ds_load_2addr_b64 v[16:19], v11 offset0:192 offset1:208
	v_mul_f32_e32 v25, v42, v23
	v_add_f32_e32 v35, v35, v38
	v_dual_mul_f32 v38, v43, v23 :: v_dual_mul_f32 v27, v29, v21
	v_mul_f32_e32 v21, v28, v21
	s_delay_alu instid0(VALU_DEP_4) | instskip(NEXT) | instid1(VALU_DEP_3)
	v_fmac_f32_e32 v25, v43, v22
	v_fma_f32 v27, v28, v20, -v27
	s_delay_alu instid0(VALU_DEP_2) | instskip(NEXT) | instid1(VALU_DEP_1)
	v_dual_fmac_f32 v21, v29, v20 :: v_dual_add_f32 v20, v34, v25
	v_add_f32_e32 v21, v26, v21
	s_waitcnt lgkmcnt(0)
	v_mul_f32_e32 v34, v45, v17
	v_add_f32_e32 v1, v1, v37
	v_fma_f32 v37, v42, v22, -v38
	s_delay_alu instid0(VALU_DEP_3) | instskip(NEXT) | instid1(VALU_DEP_2)
	v_fma_f32 v34, v44, v16, -v34
	v_add_f32_e32 v7, v7, v37
	v_mul_f32_e32 v37, v29, v23
	v_mul_f32_e32 v23, v28, v23
	s_delay_alu instid0(VALU_DEP_2) | instskip(SKIP_3) | instid1(VALU_DEP_2)
	v_fma_f32 v25, v28, v22, -v37
	v_add_f32_e32 v28, v35, v27
	v_mul_f32_e32 v35, v45, v19
	v_dual_add_f32 v1, v1, v34 :: v_dual_mul_f32 v34, v31, v17
	v_fma_f32 v35, v44, v18, -v35
	s_delay_alu instid0(VALU_DEP_1)
	v_add_f32_e32 v7, v7, v35
	v_dual_fmac_f32 v23, v29, v22 :: v_dual_add_f32 v22, v24, v25
	ds_load_2addr_b64 v[24:27], v11 offset0:224 offset1:240
	s_waitcnt lgkmcnt(0)
	s_barrier
	v_add_f32_e32 v23, v36, v23
	v_mul_f32_e32 v29, v44, v17
	v_dual_mul_f32 v36, v44, v19 :: v_dual_mul_f32 v17, v30, v17
	buffer_gl0_inv
	v_fmac_f32_e32 v29, v45, v16
	v_dual_fmac_f32 v36, v45, v18 :: v_dual_fmac_f32 v17, v31, v16
	s_delay_alu instid0(VALU_DEP_2) | instskip(SKIP_1) | instid1(VALU_DEP_3)
	v_add_f32_e32 v6, v6, v29
	v_fma_f32 v29, v30, v16, -v34
	v_dual_mul_f32 v34, v31, v19 :: v_dual_add_f32 v35, v20, v36
	s_delay_alu instid0(VALU_DEP_2) | instskip(NEXT) | instid1(VALU_DEP_2)
	v_dual_mul_f32 v19, v30, v19 :: v_dual_add_f32 v16, v28, v29
	v_fma_f32 v20, v30, v18, -v34
	v_mul_f32_e32 v28, v47, v25
	v_mul_f32_e32 v29, v46, v25
	s_delay_alu instid0(VALU_DEP_3) | instskip(NEXT) | instid1(VALU_DEP_3)
	v_dual_fmac_f32 v19, v31, v18 :: v_dual_add_f32 v30, v22, v20
	v_fma_f32 v18, v46, v24, -v28
	s_delay_alu instid0(VALU_DEP_3)
	v_fmac_f32_e32 v29, v47, v24
	v_dual_mul_f32 v20, v47, v27 :: v_dual_add_f32 v17, v21, v17
	v_mul_f32_e32 v21, v46, v27
	v_add_f32_e32 v28, v23, v19
	v_add_f32_e32 v22, v1, v18
	v_dual_mul_f32 v18, v33, v27 :: v_dual_add_f32 v23, v6, v29
	v_fma_f32 v1, v46, v26, -v20
	v_mul_f32_e32 v6, v33, v25
	v_mul_f32_e32 v19, v32, v25
	;; [unrolled: 1-line block ×3, first 2 shown]
	v_fmac_f32_e32 v21, v47, v26
	v_add_f32_e32 v20, v7, v1
	v_fma_f32 v1, v32, v24, -v6
	v_fmac_f32_e32 v19, v33, v24
	v_fma_f32 v6, v32, v26, -v18
	v_fmac_f32_e32 v25, v33, v26
	v_add_f32_e32 v21, v35, v21
	s_delay_alu instid0(VALU_DEP_4) | instskip(NEXT) | instid1(VALU_DEP_3)
	v_dual_add_f32 v18, v16, v1 :: v_dual_add_f32 v19, v17, v19
	v_dual_add_f32 v16, v30, v6 :: v_dual_add_f32 v17, v28, v25
	s_cbranch_vccnz .LBB1604_9
.LBB1604_3:                             ; =>This Inner Loop Header: Depth=1
	v_add_co_u32 v6, s14, v13, s12
	s_delay_alu instid0(VALU_DEP_1) | instskip(NEXT) | instid1(VALU_DEP_1)
	v_add_co_ci_u32_e64 v7, null, 0, s13, s14
	v_cmp_le_i64_e32 vcc_lo, s[4:5], v[6:7]
	s_or_b32 s14, s1, vcc_lo
	s_delay_alu instid0(SALU_CYCLE_1) | instskip(NEXT) | instid1(SALU_CYCLE_1)
	s_and_saveexec_b32 s15, s14
	s_xor_b32 s14, exec_lo, s15
	s_cbranch_execz .LBB1604_5
; %bb.4:                                ;   in Loop: Header=BB1604_3 Depth=1
	v_mov_b32_e32 v1, v0
	ds_store_b64 v14, v[0:1]
.LBB1604_5:                             ;   in Loop: Header=BB1604_3 Depth=1
	s_and_not1_saveexec_b32 s14, s14
	s_cbranch_execz .LBB1604_7
; %bb.6:                                ;   in Loop: Header=BB1604_3 Depth=1
	global_load_b64 v[6:7], v[2:3], off
	s_waitcnt vmcnt(0)
	ds_store_b64 v14, v[6:7]
.LBB1604_7:                             ;   in Loop: Header=BB1604_3 Depth=1
	s_or_b32 exec_lo, exec_lo, s14
	v_add_co_u32 v6, s14, v10, s12
	s_delay_alu instid0(VALU_DEP_1) | instskip(NEXT) | instid1(VALU_DEP_1)
	v_add_co_ci_u32_e64 v7, null, 0, s13, s14
	v_cmp_gt_i64_e32 vcc_lo, s[4:5], v[6:7]
	v_dual_mov_b32 v6, 0 :: v_dual_mov_b32 v7, 0
	s_and_b32 s15, vcc_lo, s0
	s_delay_alu instid0(SALU_CYCLE_1)
	s_and_saveexec_b32 s14, s15
	s_cbranch_execz .LBB1604_2
; %bb.8:                                ;   in Loop: Header=BB1604_3 Depth=1
	global_load_b64 v[6:7], v[4:5], off offset:-4
	s_branch .LBB1604_2
.LBB1604_9:
	v_add_nc_u32_e32 v4, s22, v9
	s_delay_alu instid0(VALU_DEP_1) | instskip(SKIP_2) | instid1(VALU_DEP_3)
	v_ashrrev_i32_e32 v0, 31, v4
	v_mul_lo_u32 v3, v4, s19
	v_mad_u64_u32 v[1:2], null, v4, s18, 0
	v_mul_lo_u32 v0, v0, s18
	s_delay_alu instid0(VALU_DEP_1) | instskip(SKIP_1) | instid1(VALU_DEP_2)
	v_add3_u32 v2, v2, v3, v0
	v_add_nc_u32_e32 v0, s17, v8
	v_lshlrev_b64 v[1:2], 3, v[1:2]
	s_delay_alu instid0(VALU_DEP_2) | instskip(SKIP_2) | instid1(VALU_DEP_3)
	v_cmp_le_i32_e64 s0, v4, v0
	s_waitcnt lgkmcnt(0)
	v_cmp_gt_i32_e32 vcc_lo, s16, v0
	v_add_co_u32 v5, s1, s2, v1
	s_delay_alu instid0(VALU_DEP_1) | instskip(SKIP_1) | instid1(SALU_CYCLE_1)
	v_add_co_ci_u32_e64 v6, s1, s3, v2, s1
	s_and_b32 s0, s0, vcc_lo
	s_and_saveexec_b32 s1, s0
	s_cbranch_execz .LBB1604_11
; %bb.10:
	v_ashrrev_i32_e32 v1, 31, v0
	v_mul_f32_e32 v2, s6, v23
	v_mul_f32_e32 v3, s7, v23
	s_delay_alu instid0(VALU_DEP_3) | instskip(NEXT) | instid1(VALU_DEP_3)
	v_lshlrev_b64 v[7:8], 3, v[0:1]
	v_fmac_f32_e32 v2, s7, v22
	s_delay_alu instid0(VALU_DEP_3) | instskip(NEXT) | instid1(VALU_DEP_3)
	v_fma_f32 v1, v22, s6, -v3
	v_add_co_u32 v7, s0, v5, v7
	s_delay_alu instid0(VALU_DEP_1)
	v_add_co_ci_u32_e64 v8, s0, v6, v8, s0
	global_store_b64 v[7:8], v[1:2], off
.LBB1604_11:
	s_or_b32 exec_lo, exec_lo, s1
	v_add_nc_u32_e32 v2, 16, v0
	s_delay_alu instid0(VALU_DEP_1) | instskip(SKIP_1) | instid1(VALU_DEP_1)
	v_cmp_le_i32_e64 s1, v4, v2
	v_cmp_gt_i32_e64 s0, s16, v2
	s_and_b32 s1, s1, s0
	s_delay_alu instid0(SALU_CYCLE_1)
	s_and_saveexec_b32 s4, s1
	s_cbranch_execz .LBB1604_13
; %bb.12:
	v_ashrrev_i32_e32 v3, 31, v2
	v_mul_f32_e32 v8, s6, v21
	v_mul_f32_e32 v1, s7, v21
	s_delay_alu instid0(VALU_DEP_3) | instskip(NEXT) | instid1(VALU_DEP_3)
	v_lshlrev_b64 v[9:10], 3, v[2:3]
	v_fmac_f32_e32 v8, s7, v20
	s_delay_alu instid0(VALU_DEP_3) | instskip(NEXT) | instid1(VALU_DEP_3)
	v_fma_f32 v7, v20, s6, -v1
	v_add_co_u32 v5, s1, v5, v9
	s_delay_alu instid0(VALU_DEP_1)
	v_add_co_ci_u32_e64 v6, s1, v6, v10, s1
	global_store_b64 v[5:6], v[7:8], off
.LBB1604_13:
	s_or_b32 exec_lo, exec_lo, s4
	v_add_nc_u32_e32 v3, 16, v4
	s_delay_alu instid0(VALU_DEP_1) | instskip(SKIP_3) | instid1(VALU_DEP_4)
	v_ashrrev_i32_e32 v1, 31, v3
	v_mul_lo_u32 v6, v3, s19
	v_mad_u64_u32 v[4:5], null, v3, s18, 0
	v_cmp_le_i32_e64 s1, v3, v0
	v_mul_lo_u32 v1, v1, s18
	s_delay_alu instid0(VALU_DEP_1) | instskip(NEXT) | instid1(VALU_DEP_1)
	v_add3_u32 v5, v5, v6, v1
	v_lshlrev_b64 v[4:5], 3, v[4:5]
	s_delay_alu instid0(VALU_DEP_1) | instskip(NEXT) | instid1(VALU_DEP_1)
	v_add_co_u32 v4, s2, s2, v4
	v_add_co_ci_u32_e64 v5, s2, s3, v5, s2
	s_and_b32 s2, s1, vcc_lo
	s_delay_alu instid0(SALU_CYCLE_1)
	s_and_saveexec_b32 s1, s2
	s_cbranch_execz .LBB1604_15
; %bb.14:
	v_ashrrev_i32_e32 v1, 31, v0
	v_mul_f32_e32 v7, s6, v19
	v_mul_f32_e32 v6, s7, v19
	s_delay_alu instid0(VALU_DEP_3) | instskip(NEXT) | instid1(VALU_DEP_3)
	v_lshlrev_b64 v[0:1], 3, v[0:1]
	v_fmac_f32_e32 v7, s7, v18
	s_delay_alu instid0(VALU_DEP_3) | instskip(NEXT) | instid1(VALU_DEP_3)
	v_fma_f32 v6, v18, s6, -v6
	v_add_co_u32 v0, vcc_lo, v4, v0
	s_delay_alu instid0(VALU_DEP_4)
	v_add_co_ci_u32_e32 v1, vcc_lo, v5, v1, vcc_lo
	global_store_b64 v[0:1], v[6:7], off
.LBB1604_15:
	s_or_b32 exec_lo, exec_lo, s1
	v_cmp_le_i32_e32 vcc_lo, v3, v2
	s_and_b32 s0, vcc_lo, s0
	s_delay_alu instid0(SALU_CYCLE_1)
	s_and_saveexec_b32 s1, s0
	s_cbranch_execz .LBB1604_17
; %bb.16:
	v_ashrrev_i32_e32 v3, 31, v2
	v_mul_f32_e32 v1, s6, v17
	v_mul_f32_e32 v0, s7, v17
	s_delay_alu instid0(VALU_DEP_3) | instskip(NEXT) | instid1(VALU_DEP_3)
	v_lshlrev_b64 v[2:3], 3, v[2:3]
	v_fmac_f32_e32 v1, s7, v16
	s_delay_alu instid0(VALU_DEP_3) | instskip(NEXT) | instid1(VALU_DEP_3)
	v_fma_f32 v0, v16, s6, -v0
	v_add_co_u32 v2, vcc_lo, v4, v2
	s_delay_alu instid0(VALU_DEP_4)
	v_add_co_ci_u32_e32 v3, vcc_lo, v5, v3, vcc_lo
	global_store_b64 v[2:3], v[0:1], off
.LBB1604_17:
	s_nop 0
	s_sendmsg sendmsg(MSG_DEALLOC_VGPRS)
	s_endpgm
	.section	.rodata,"a",@progbits
	.p2align	6, 0x0
	.amdhsa_kernel _ZL34rocblas_syrkx_herkx_general_kernelIl19rocblas_complex_numIfELi16ELi32ELi8ELb1ELb0ELc78ELc76EKPKS1_KPS1_EviT_T0_PT8_S7_lSA_S7_lS8_PT9_S7_li
		.amdhsa_group_segment_fixed_size 4096
		.amdhsa_private_segment_fixed_size 0
		.amdhsa_kernarg_size 108
		.amdhsa_user_sgpr_count 13
		.amdhsa_user_sgpr_dispatch_ptr 0
		.amdhsa_user_sgpr_queue_ptr 0
		.amdhsa_user_sgpr_kernarg_segment_ptr 1
		.amdhsa_user_sgpr_dispatch_id 0
		.amdhsa_user_sgpr_private_segment_size 0
		.amdhsa_wavefront_size32 1
		.amdhsa_uses_dynamic_stack 0
		.amdhsa_enable_private_segment 0
		.amdhsa_system_sgpr_workgroup_id_x 1
		.amdhsa_system_sgpr_workgroup_id_y 1
		.amdhsa_system_sgpr_workgroup_id_z 1
		.amdhsa_system_sgpr_workgroup_info 0
		.amdhsa_system_vgpr_workitem_id 1
		.amdhsa_next_free_vgpr 59
		.amdhsa_next_free_sgpr 23
		.amdhsa_reserve_vcc 1
		.amdhsa_float_round_mode_32 0
		.amdhsa_float_round_mode_16_64 0
		.amdhsa_float_denorm_mode_32 3
		.amdhsa_float_denorm_mode_16_64 3
		.amdhsa_dx10_clamp 1
		.amdhsa_ieee_mode 1
		.amdhsa_fp16_overflow 0
		.amdhsa_workgroup_processor_mode 1
		.amdhsa_memory_ordered 1
		.amdhsa_forward_progress 0
		.amdhsa_shared_vgpr_count 0
		.amdhsa_exception_fp_ieee_invalid_op 0
		.amdhsa_exception_fp_denorm_src 0
		.amdhsa_exception_fp_ieee_div_zero 0
		.amdhsa_exception_fp_ieee_overflow 0
		.amdhsa_exception_fp_ieee_underflow 0
		.amdhsa_exception_fp_ieee_inexact 0
		.amdhsa_exception_int_div_zero 0
	.end_amdhsa_kernel
	.section	.text._ZL34rocblas_syrkx_herkx_general_kernelIl19rocblas_complex_numIfELi16ELi32ELi8ELb1ELb0ELc78ELc76EKPKS1_KPS1_EviT_T0_PT8_S7_lSA_S7_lS8_PT9_S7_li,"axG",@progbits,_ZL34rocblas_syrkx_herkx_general_kernelIl19rocblas_complex_numIfELi16ELi32ELi8ELb1ELb0ELc78ELc76EKPKS1_KPS1_EviT_T0_PT8_S7_lSA_S7_lS8_PT9_S7_li,comdat
.Lfunc_end1604:
	.size	_ZL34rocblas_syrkx_herkx_general_kernelIl19rocblas_complex_numIfELi16ELi32ELi8ELb1ELb0ELc78ELc76EKPKS1_KPS1_EviT_T0_PT8_S7_lSA_S7_lS8_PT9_S7_li, .Lfunc_end1604-_ZL34rocblas_syrkx_herkx_general_kernelIl19rocblas_complex_numIfELi16ELi32ELi8ELb1ELb0ELc78ELc76EKPKS1_KPS1_EviT_T0_PT8_S7_lSA_S7_lS8_PT9_S7_li
                                        ; -- End function
	.section	.AMDGPU.csdata,"",@progbits
; Kernel info:
; codeLenInByte = 2508
; NumSgprs: 25
; NumVgprs: 59
; ScratchSize: 0
; MemoryBound: 1
; FloatMode: 240
; IeeeMode: 1
; LDSByteSize: 4096 bytes/workgroup (compile time only)
; SGPRBlocks: 3
; VGPRBlocks: 7
; NumSGPRsForWavesPerEU: 25
; NumVGPRsForWavesPerEU: 59
; Occupancy: 16
; WaveLimiterHint : 1
; COMPUTE_PGM_RSRC2:SCRATCH_EN: 0
; COMPUTE_PGM_RSRC2:USER_SGPR: 13
; COMPUTE_PGM_RSRC2:TRAP_HANDLER: 0
; COMPUTE_PGM_RSRC2:TGID_X_EN: 1
; COMPUTE_PGM_RSRC2:TGID_Y_EN: 1
; COMPUTE_PGM_RSRC2:TGID_Z_EN: 1
; COMPUTE_PGM_RSRC2:TIDIG_COMP_CNT: 1
	.section	.text._ZL34rocblas_syrkx_herkx_general_kernelIl19rocblas_complex_numIfELi16ELi32ELi8ELb1ELb0ELc84ELc85EKPKS1_KPS1_EviT_T0_PT8_S7_lSA_S7_lS8_PT9_S7_li,"axG",@progbits,_ZL34rocblas_syrkx_herkx_general_kernelIl19rocblas_complex_numIfELi16ELi32ELi8ELb1ELb0ELc84ELc85EKPKS1_KPS1_EviT_T0_PT8_S7_lSA_S7_lS8_PT9_S7_li,comdat
	.globl	_ZL34rocblas_syrkx_herkx_general_kernelIl19rocblas_complex_numIfELi16ELi32ELi8ELb1ELb0ELc84ELc85EKPKS1_KPS1_EviT_T0_PT8_S7_lSA_S7_lS8_PT9_S7_li ; -- Begin function _ZL34rocblas_syrkx_herkx_general_kernelIl19rocblas_complex_numIfELi16ELi32ELi8ELb1ELb0ELc84ELc85EKPKS1_KPS1_EviT_T0_PT8_S7_lSA_S7_lS8_PT9_S7_li
	.p2align	8
	.type	_ZL34rocblas_syrkx_herkx_general_kernelIl19rocblas_complex_numIfELi16ELi32ELi8ELb1ELb0ELc84ELc85EKPKS1_KPS1_EviT_T0_PT8_S7_lSA_S7_lS8_PT9_S7_li,@function
_ZL34rocblas_syrkx_herkx_general_kernelIl19rocblas_complex_numIfELi16ELi32ELi8ELb1ELb0ELc84ELc85EKPKS1_KPS1_EviT_T0_PT8_S7_lSA_S7_lS8_PT9_S7_li: ; @_ZL34rocblas_syrkx_herkx_general_kernelIl19rocblas_complex_numIfELi16ELi32ELi8ELb1ELb0ELc84ELc85EKPKS1_KPS1_EviT_T0_PT8_S7_lSA_S7_lS8_PT9_S7_li
; %bb.0:
	s_clause 0x1
	s_load_b128 s[16:19], s[0:1], 0x50
	s_load_b256 s[4:11], s[0:1], 0x8
	s_mov_b32 s2, s15
	s_mov_b32 s3, 0
	v_dual_mov_b32 v21, 0 :: v_dual_and_b32 v6, 0x3ff, v0
	s_lshl_b64 s[20:21], s[2:3], 3
	v_bfe_u32 v7, v0, 10, 10
	v_dual_mov_b32 v20, 0 :: v_dual_mov_b32 v19, 0
	v_dual_mov_b32 v18, 0 :: v_dual_mov_b32 v17, 0
	v_dual_mov_b32 v16, 0 :: v_dual_mov_b32 v15, 0
	v_mov_b32_e32 v14, 0
	s_waitcnt lgkmcnt(0)
	s_add_u32 s2, s16, s20
	s_addc_u32 s3, s17, s21
	s_load_b32 s12, s[0:1], 0x0
	s_load_b64 s[16:17], s[2:3], 0x0
	v_cmp_lt_i64_e64 s2, s[4:5], 1
	s_lshl_b32 s13, s13, 5
	s_lshl_b32 s14, s14, 5
	s_delay_alu instid0(VALU_DEP_1)
	s_and_b32 vcc_lo, exec_lo, s2
	s_cbranch_vccnz .LBB1605_11
; %bb.1:
	s_load_b128 s[0:3], s[0:1], 0x30
	v_lshl_add_u32 v0, v7, 4, v6
	v_and_b32_e32 v8, 7, v6
	v_dual_mov_b32 v20, 0 :: v_dual_mov_b32 v19, 0
	v_mov_b32_e32 v21, 0
	s_delay_alu instid0(VALU_DEP_4) | instskip(SKIP_3) | instid1(VALU_DEP_4)
	v_lshrrev_b32_e32 v5, 3, v0
	v_and_b32_e32 v1, 31, v0
	v_lshrrev_b32_e32 v9, 5, v0
	v_lshlrev_b32_e32 v14, 3, v8
	v_dual_mov_b32 v18, 0 :: v_dual_add_nc_u32 v11, s14, v5
	s_delay_alu instid0(VALU_DEP_4)
	v_add_nc_u32_e32 v0, s13, v1
	v_or_b32_e32 v10, s13, v1
	v_lshlrev_b32_e32 v12, 3, v1
	v_lshl_or_b32 v5, v5, 6, v14
	v_ashrrev_i32_e32 v3, 31, v11
	v_ashrrev_i32_e32 v4, 31, v0
	s_waitcnt lgkmcnt(0)
	v_cmp_gt_i32_e32 vcc_lo, s12, v10
	v_lshl_or_b32 v10, v9, 8, v12
	v_mul_lo_u32 v17, s3, v11
	v_mul_lo_u32 v16, s2, v3
	;; [unrolled: 1-line block ×3, first 2 shown]
	v_mad_u64_u32 v[3:4], null, s2, v11, 0
	s_add_u32 s0, s0, s20
	s_addc_u32 s1, s1, s21
	s_add_u32 s8, s8, s20
	s_addc_u32 s9, s9, s21
	v_lshlrev_b32_e32 v12, 3, v6
	s_mov_b64 s[2:3], 0
	s_delay_alu instid0(VALU_DEP_2)
	v_add3_u32 v4, v4, v16, v17
	v_mov_b32_e32 v17, 0
	v_mul_lo_u32 v13, s11, v0
	v_mad_u64_u32 v[1:2], null, s10, v0, 0
	s_load_b64 s[10:11], s[0:1], 0x0
	s_load_b64 s[8:9], s[8:9], 0x0
	v_cmp_gt_i32_e64 s0, s12, v11
	v_dual_mov_b32 v16, 0 :: v_dual_add_nc_u32 v11, 0x800, v5
	v_lshlrev_b32_e32 v5, 3, v9
	v_lshlrev_b64 v[3:4], 3, v[3:4]
	v_add3_u32 v2, v2, v15, v13
	v_mov_b32_e32 v0, 0
	v_lshl_add_u32 v13, v7, 6, 0x800
	s_xor_b32 s0, s0, -1
	s_delay_alu instid0(VALU_DEP_3) | instskip(NEXT) | instid1(VALU_DEP_1)
	v_lshlrev_b64 v[1:2], 3, v[1:2]
	v_add_co_u32 v1, s1, v1, v5
	s_delay_alu instid0(VALU_DEP_1) | instskip(SKIP_1) | instid1(VALU_DEP_1)
	v_add_co_ci_u32_e64 v5, s1, 0, v2, s1
	v_add_co_u32 v14, s1, v3, v14
	v_add_co_ci_u32_e64 v15, s1, 0, v4, s1
	s_waitcnt lgkmcnt(0)
	v_add_co_u32 v2, s1, s8, v1
	s_delay_alu instid0(VALU_DEP_1) | instskip(SKIP_1) | instid1(VALU_DEP_1)
	v_add_co_ci_u32_e64 v3, s1, s9, v5, s1
	v_add_co_u32 v4, s1, s10, v14
	v_add_co_ci_u32_e64 v5, s1, s11, v15, s1
	v_dual_mov_b32 v15, 0 :: v_dual_mov_b32 v14, 0
	s_xor_b32 s1, vcc_lo, -1
	s_branch .LBB1605_3
.LBB1605_2:                             ;   in Loop: Header=BB1605_3 Depth=1
	s_or_b32 exec_lo, exec_lo, s8
	s_waitcnt lgkmcnt(0)
	s_barrier
	buffer_gl0_inv
	ds_load_2addr_b64 v[22:25], v12 offset1:16
	ds_load_b128 v[26:29], v13
	ds_load_b128 v[30:33], v13 offset:1024
	ds_load_b128 v[34:37], v13 offset:16
	ds_load_b128 v[38:41], v13 offset:32
	ds_load_b128 v[42:45], v13 offset:48
	ds_load_2addr_b64 v[46:49], v12 offset0:32 offset1:48
	ds_load_b128 v[50:53], v13 offset:1040
	s_add_u32 s2, s2, 8
	s_addc_u32 s3, s3, 0
	v_add_co_u32 v2, vcc_lo, v2, 64
	v_cmp_ge_i64_e64 s8, s[2:3], s[4:5]
	v_add_co_ci_u32_e32 v3, vcc_lo, 0, v3, vcc_lo
	v_add_co_u32 v4, vcc_lo, v4, 64
	v_add_co_ci_u32_e32 v5, vcc_lo, 0, v5, vcc_lo
	s_delay_alu instid0(VALU_DEP_4)
	s_and_b32 vcc_lo, exec_lo, s8
	s_waitcnt lgkmcnt(6)
	v_dual_mul_f32 v1, v27, v23 :: v_dual_mul_f32 v56, v26, v25
	v_dual_mul_f32 v54, v26, v23 :: v_dual_mul_f32 v55, v27, v25
	s_waitcnt lgkmcnt(5)
	v_mul_f32_e32 v58, v31, v25
	s_delay_alu instid0(VALU_DEP_3) | instskip(SKIP_3) | instid1(VALU_DEP_4)
	v_fma_f32 v1, v26, v22, -v1
	v_dual_mul_f32 v25, v30, v25 :: v_dual_fmac_f32 v56, v27, v24
	v_fmac_f32_e32 v54, v27, v22
	v_fma_f32 v26, v26, v24, -v55
	v_add_f32_e32 v1, v20, v1
	v_mul_f32_e32 v57, v31, v23
	s_delay_alu instid0(VALU_DEP_4) | instskip(SKIP_2) | instid1(VALU_DEP_4)
	v_dual_mul_f32 v23, v30, v23 :: v_dual_add_f32 v20, v21, v54
	v_fmac_f32_e32 v25, v31, v24
	v_dual_add_f32 v21, v18, v26 :: v_dual_add_f32 v26, v19, v56
	v_fma_f32 v27, v30, v22, -v57
	s_delay_alu instid0(VALU_DEP_4) | instskip(SKIP_3) | instid1(VALU_DEP_2)
	v_fmac_f32_e32 v23, v31, v22
	v_fma_f32 v22, v30, v24, -v58
	s_waitcnt lgkmcnt(1)
	v_mul_f32_e32 v30, v29, v47
	v_dual_add_f32 v27, v16, v27 :: v_dual_add_f32 v14, v14, v22
	v_dual_mul_f32 v22, v28, v47 :: v_dual_add_f32 v15, v15, v25
	v_mul_f32_e32 v25, v28, v49
	s_delay_alu instid0(VALU_DEP_4) | instskip(NEXT) | instid1(VALU_DEP_3)
	v_fma_f32 v24, v28, v46, -v30
	v_fmac_f32_e32 v22, v29, v46
	v_add_f32_e32 v23, v17, v23
	ds_load_2addr_b64 v[16:19], v12 offset0:64 offset1:80
	v_mul_f32_e32 v30, v29, v49
	v_fmac_f32_e32 v25, v29, v48
	v_add_f32_e32 v1, v1, v24
	s_delay_alu instid0(VALU_DEP_2) | instskip(SKIP_1) | instid1(VALU_DEP_1)
	v_add_f32_e32 v25, v26, v25
	v_mul_f32_e32 v26, v32, v49
	v_fmac_f32_e32 v26, v33, v48
	s_waitcnt lgkmcnt(0)
	s_delay_alu instid0(VALU_DEP_1) | instskip(SKIP_1) | instid1(VALU_DEP_2)
	v_dual_add_f32 v26, v15, v26 :: v_dual_mul_f32 v29, v34, v17
	v_mul_f32_e32 v15, v34, v19
	v_fmac_f32_e32 v29, v35, v16
	v_fma_f32 v24, v28, v48, -v30
	v_mul_f32_e32 v28, v33, v47
	v_add_f32_e32 v30, v20, v22
	v_mul_f32_e32 v20, v32, v47
	v_mul_f32_e32 v22, v33, v49
	v_add_f32_e32 v24, v21, v24
	v_fma_f32 v21, v32, v46, -v28
	s_delay_alu instid0(VALU_DEP_4) | instskip(SKIP_1) | instid1(VALU_DEP_3)
	v_dual_add_f32 v29, v30, v29 :: v_dual_fmac_f32 v20, v33, v46
	v_fmac_f32_e32 v15, v35, v18
	v_add_f32_e32 v27, v27, v21
	v_fma_f32 v21, v32, v48, -v22
	v_mul_f32_e32 v22, v35, v17
	v_mul_f32_e32 v32, v35, v19
	v_add_f32_e32 v28, v23, v20
	s_delay_alu instid0(VALU_DEP_4) | instskip(NEXT) | instid1(VALU_DEP_4)
	v_add_f32_e32 v14, v14, v21
	v_fma_f32 v31, v34, v16, -v22
	ds_load_2addr_b64 v[20:23], v12 offset0:96 offset1:112
	v_add_f32_e32 v1, v1, v31
	v_fma_f32 v31, v34, v18, -v32
	s_delay_alu instid0(VALU_DEP_1) | instskip(SKIP_3) | instid1(VALU_DEP_3)
	v_add_f32_e32 v24, v24, v31
	v_mul_f32_e32 v31, v51, v19
	v_mul_f32_e32 v19, v50, v19
	v_add_f32_e32 v32, v25, v15
	v_fma_f32 v15, v50, v18, -v31
	s_delay_alu instid0(VALU_DEP_3)
	v_fmac_f32_e32 v19, v51, v18
	v_mul_f32_e32 v30, v51, v17
	v_mul_f32_e32 v17, v50, v17
	s_waitcnt lgkmcnt(0)
	v_dual_mul_f32 v18, v37, v21 :: v_dual_add_f32 v31, v14, v15
	v_add_f32_e32 v33, v26, v19
	v_fma_f32 v30, v50, v16, -v30
	v_fmac_f32_e32 v17, v51, v16
	s_delay_alu instid0(VALU_DEP_4) | instskip(SKIP_1) | instid1(VALU_DEP_4)
	v_fma_f32 v18, v36, v20, -v18
	v_mul_f32_e32 v25, v36, v21
	v_dual_mul_f32 v19, v36, v23 :: v_dual_add_f32 v30, v27, v30
	s_delay_alu instid0(VALU_DEP_4) | instskip(SKIP_4) | instid1(VALU_DEP_2)
	v_add_f32_e32 v28, v28, v17
	ds_load_2addr_b64 v[14:17], v12 offset0:128 offset1:144
	v_add_f32_e32 v1, v1, v18
	v_mul_f32_e32 v18, v53, v21
	v_fmac_f32_e32 v19, v37, v22
	v_fma_f32 v18, v52, v20, -v18
	v_mul_f32_e32 v27, v37, v23
	s_delay_alu instid0(VALU_DEP_1) | instskip(NEXT) | instid1(VALU_DEP_3)
	v_fma_f32 v26, v36, v22, -v27
	v_add_f32_e32 v36, v30, v18
	s_waitcnt lgkmcnt(0)
	s_delay_alu instid0(VALU_DEP_2) | instskip(SKIP_2) | instid1(VALU_DEP_3)
	v_dual_add_f32 v35, v24, v26 :: v_dual_mul_f32 v46, v38, v15
	v_dual_fmac_f32 v25, v37, v20 :: v_dual_add_f32 v32, v32, v19
	v_mul_f32_e32 v18, v39, v15
	v_fmac_f32_e32 v46, v39, v14
	s_delay_alu instid0(VALU_DEP_3)
	v_add_f32_e32 v34, v29, v25
	v_mul_f32_e32 v29, v53, v23
	v_mul_f32_e32 v23, v52, v23
	ds_load_b128 v[24:27], v13 offset:1056
	v_add_f32_e32 v34, v34, v46
	v_fma_f32 v19, v52, v22, -v29
	v_mul_f32_e32 v21, v52, v21
	v_fmac_f32_e32 v23, v53, v22
	v_mul_f32_e32 v29, v39, v17
	s_delay_alu instid0(VALU_DEP_3) | instskip(NEXT) | instid1(VALU_DEP_3)
	v_dual_add_f32 v22, v31, v19 :: v_dual_fmac_f32 v21, v53, v20
	v_add_f32_e32 v23, v33, v23
	s_delay_alu instid0(VALU_DEP_2) | instskip(SKIP_4) | instid1(VALU_DEP_2)
	v_add_f32_e32 v37, v28, v21
	v_fma_f32 v28, v38, v14, -v18
	ds_load_2addr_b64 v[18:21], v12 offset0:160 offset1:176
	v_mul_f32_e32 v33, v38, v17
	v_fma_f32 v38, v38, v16, -v29
	v_fmac_f32_e32 v33, v39, v16
	s_delay_alu instid0(VALU_DEP_1)
	v_dual_add_f32 v35, v35, v38 :: v_dual_add_f32 v32, v32, v33
	v_add_f32_e32 v1, v1, v28
	ds_load_b128 v[28:31], v13 offset:1072
	s_waitcnt lgkmcnt(2)
	v_mul_f32_e32 v47, v25, v15
	v_mul_f32_e32 v15, v24, v15
	;; [unrolled: 1-line block ×4, first 2 shown]
	s_delay_alu instid0(VALU_DEP_4) | instskip(NEXT) | instid1(VALU_DEP_4)
	v_fma_f32 v38, v24, v14, -v47
	v_fmac_f32_e32 v15, v25, v14
	s_delay_alu instid0(VALU_DEP_4)
	v_fma_f32 v14, v24, v16, -v39
	s_waitcnt lgkmcnt(1)
	v_mul_f32_e32 v17, v41, v19
	v_dual_fmac_f32 v33, v25, v16 :: v_dual_add_f32 v36, v36, v38
	v_add_f32_e32 v24, v37, v15
	v_add_f32_e32 v22, v22, v14
	s_delay_alu instid0(VALU_DEP_4) | instskip(SKIP_2) | instid1(VALU_DEP_1)
	v_fma_f32 v37, v40, v18, -v17
	ds_load_2addr_b64 v[14:17], v12 offset0:192 offset1:208
	v_dual_mul_f32 v25, v40, v19 :: v_dual_mul_f32 v38, v41, v21
	v_fmac_f32_e32 v25, v41, v18
	s_delay_alu instid0(VALU_DEP_1) | instskip(SKIP_4) | instid1(VALU_DEP_3)
	v_add_f32_e32 v34, v34, v25
	v_add_f32_e32 v33, v23, v33
	v_mul_f32_e32 v23, v40, v21
	v_mul_f32_e32 v25, v27, v19
	;; [unrolled: 1-line block ×3, first 2 shown]
	v_fmac_f32_e32 v23, v41, v20
	s_delay_alu instid0(VALU_DEP_3) | instskip(NEXT) | instid1(VALU_DEP_2)
	v_fma_f32 v25, v26, v18, -v25
	v_dual_fmac_f32 v19, v27, v18 :: v_dual_add_f32 v18, v32, v23
	s_waitcnt lgkmcnt(0)
	v_dual_mul_f32 v32, v43, v15 :: v_dual_add_f32 v1, v1, v37
	v_fma_f32 v37, v40, v20, -v38
	s_delay_alu instid0(VALU_DEP_3) | instskip(NEXT) | instid1(VALU_DEP_3)
	v_add_f32_e32 v19, v24, v19
	v_fma_f32 v32, v42, v14, -v32
	s_delay_alu instid0(VALU_DEP_1) | instskip(NEXT) | instid1(VALU_DEP_4)
	v_add_f32_e32 v1, v1, v32
	v_add_f32_e32 v35, v35, v37
	v_mul_f32_e32 v37, v27, v21
	v_dual_mul_f32 v21, v26, v21 :: v_dual_mul_f32 v32, v29, v15
	s_delay_alu instid0(VALU_DEP_2) | instskip(NEXT) | instid1(VALU_DEP_2)
	v_fma_f32 v23, v26, v20, -v37
	v_dual_add_f32 v26, v36, v25 :: v_dual_fmac_f32 v21, v27, v20
	v_mul_f32_e32 v27, v42, v15
	v_mul_f32_e32 v15, v28, v15
	s_delay_alu instid0(VALU_DEP_4)
	v_add_f32_e32 v20, v22, v23
	ds_load_2addr_b64 v[22:25], v12 offset0:224 offset1:240
	v_fma_f32 v32, v28, v14, -v32
	v_dual_fmac_f32 v27, v43, v14 :: v_dual_mul_f32 v36, v42, v17
	v_fmac_f32_e32 v15, v29, v14
	s_waitcnt lgkmcnt(0)
	s_delay_alu instid0(VALU_DEP_3) | instskip(NEXT) | instid1(VALU_DEP_3)
	v_add_f32_e32 v14, v26, v32
	v_dual_add_f32 v27, v34, v27 :: v_dual_fmac_f32 v36, v43, v16
	s_delay_alu instid0(VALU_DEP_3)
	v_dual_mul_f32 v34, v29, v17 :: v_dual_add_f32 v15, v19, v15
	s_barrier
	buffer_gl0_inv
	v_mul_f32_e32 v26, v45, v23
	v_add_f32_e32 v21, v33, v21
	v_mul_f32_e32 v33, v43, v17
	v_mul_f32_e32 v17, v28, v17
	;; [unrolled: 1-line block ×3, first 2 shown]
	s_delay_alu instid0(VALU_DEP_3) | instskip(NEXT) | instid1(VALU_DEP_3)
	v_fma_f32 v33, v42, v16, -v33
	v_fmac_f32_e32 v17, v29, v16
	s_delay_alu instid0(VALU_DEP_3) | instskip(NEXT) | instid1(VALU_DEP_3)
	v_fmac_f32_e32 v19, v45, v24
	v_add_f32_e32 v33, v35, v33
	v_add_f32_e32 v35, v18, v36
	v_fma_f32 v18, v28, v16, -v34
	v_fma_f32 v16, v44, v22, -v26
	v_mul_f32_e32 v28, v44, v23
	v_dual_add_f32 v26, v21, v17 :: v_dual_mul_f32 v17, v30, v23
	s_delay_alu instid0(VALU_DEP_4) | instskip(NEXT) | instid1(VALU_DEP_4)
	v_dual_add_f32 v29, v20, v18 :: v_dual_mul_f32 v18, v45, v25
	v_add_f32_e32 v20, v1, v16
	v_mul_f32_e32 v16, v31, v23
	v_mul_f32_e32 v23, v31, v25
	;; [unrolled: 1-line block ×3, first 2 shown]
	v_fma_f32 v1, v44, v24, -v18
	v_fmac_f32_e32 v28, v45, v22
	v_fmac_f32_e32 v17, v31, v22
	v_add_f32_e32 v19, v35, v19
	s_delay_alu instid0(VALU_DEP_4)
	v_dual_fmac_f32 v25, v31, v24 :: v_dual_add_f32 v18, v33, v1
	v_fma_f32 v1, v30, v22, -v16
	v_fma_f32 v22, v30, v24, -v23
	v_add_f32_e32 v21, v27, v28
	v_add_f32_e32 v17, v15, v17
	;; [unrolled: 1-line block ×5, first 2 shown]
	s_cbranch_vccnz .LBB1605_11
.LBB1605_3:                             ; =>This Inner Loop Header: Depth=1
	v_add_co_u32 v22, s8, v9, s2
	s_delay_alu instid0(VALU_DEP_1) | instskip(NEXT) | instid1(VALU_DEP_1)
	v_add_co_ci_u32_e64 v23, null, 0, s3, s8
	v_cmp_le_i64_e32 vcc_lo, s[4:5], v[22:23]
	s_or_b32 s8, s1, vcc_lo
	s_delay_alu instid0(SALU_CYCLE_1) | instskip(NEXT) | instid1(SALU_CYCLE_1)
	s_and_saveexec_b32 s9, s8
	s_xor_b32 s8, exec_lo, s9
	s_cbranch_execz .LBB1605_5
; %bb.4:                                ;   in Loop: Header=BB1605_3 Depth=1
	v_mov_b32_e32 v1, v0
	ds_store_b64 v10, v[0:1]
.LBB1605_5:                             ;   in Loop: Header=BB1605_3 Depth=1
	s_and_not1_saveexec_b32 s8, s8
	s_cbranch_execz .LBB1605_7
; %bb.6:                                ;   in Loop: Header=BB1605_3 Depth=1
	global_load_b64 v[22:23], v[2:3], off
	s_waitcnt vmcnt(0)
	ds_store_b64 v10, v[22:23]
.LBB1605_7:                             ;   in Loop: Header=BB1605_3 Depth=1
	s_or_b32 exec_lo, exec_lo, s8
	v_add_co_u32 v22, s8, v8, s2
	s_delay_alu instid0(VALU_DEP_1) | instskip(NEXT) | instid1(VALU_DEP_1)
	v_add_co_ci_u32_e64 v23, null, 0, s3, s8
	v_cmp_le_i64_e32 vcc_lo, s[4:5], v[22:23]
	s_or_b32 s8, vcc_lo, s0
	s_delay_alu instid0(SALU_CYCLE_1) | instskip(NEXT) | instid1(SALU_CYCLE_1)
	s_and_saveexec_b32 s9, s8
	s_xor_b32 s8, exec_lo, s9
	s_cbranch_execz .LBB1605_9
; %bb.8:                                ;   in Loop: Header=BB1605_3 Depth=1
	v_mov_b32_e32 v1, v0
	ds_store_b64 v11, v[0:1]
.LBB1605_9:                             ;   in Loop: Header=BB1605_3 Depth=1
	s_and_not1_saveexec_b32 s8, s8
	s_cbranch_execz .LBB1605_2
; %bb.10:                               ;   in Loop: Header=BB1605_3 Depth=1
	global_load_b64 v[22:23], v[4:5], off
	s_waitcnt vmcnt(0)
	ds_store_b64 v11, v[22:23]
	s_branch .LBB1605_2
.LBB1605_11:
	v_add_nc_u32_e32 v4, s14, v7
	s_delay_alu instid0(VALU_DEP_1)
	v_ashrrev_i32_e32 v0, 31, v4
	v_mul_lo_u32 v3, v4, s19
	v_mad_u64_u32 v[1:2], null, v4, s18, 0
	s_waitcnt lgkmcnt(0)
	v_cmp_gt_i32_e32 vcc_lo, s12, v4
	v_mul_lo_u32 v0, v0, s18
	s_delay_alu instid0(VALU_DEP_1) | instskip(SKIP_1) | instid1(VALU_DEP_2)
	v_add3_u32 v2, v2, v3, v0
	v_add_nc_u32_e32 v0, s13, v6
	v_lshlrev_b64 v[1:2], 3, v[1:2]
	s_delay_alu instid0(VALU_DEP_2) | instskip(NEXT) | instid1(VALU_DEP_1)
	v_cmp_le_i32_e64 s0, v0, v4
	s_and_b32 s0, vcc_lo, s0
	s_delay_alu instid0(VALU_DEP_2) | instskip(NEXT) | instid1(VALU_DEP_1)
	v_add_co_u32 v5, s1, s16, v1
	v_add_co_ci_u32_e64 v6, s1, s17, v2, s1
	s_and_saveexec_b32 s1, s0
	s_cbranch_execz .LBB1605_13
; %bb.12:
	v_ashrrev_i32_e32 v1, 31, v0
	v_mul_f32_e32 v2, s6, v21
	v_mul_f32_e32 v3, s7, v21
	s_delay_alu instid0(VALU_DEP_3) | instskip(NEXT) | instid1(VALU_DEP_3)
	v_lshlrev_b64 v[7:8], 3, v[0:1]
	v_fmac_f32_e32 v2, s7, v20
	s_delay_alu instid0(VALU_DEP_3) | instskip(NEXT) | instid1(VALU_DEP_3)
	v_fma_f32 v1, v20, s6, -v3
	v_add_co_u32 v7, s0, v5, v7
	s_delay_alu instid0(VALU_DEP_1)
	v_add_co_ci_u32_e64 v8, s0, v6, v8, s0
	global_store_b64 v[7:8], v[1:2], off
.LBB1605_13:
	s_or_b32 exec_lo, exec_lo, s1
	v_add_nc_u32_e32 v2, 16, v0
	s_delay_alu instid0(VALU_DEP_1) | instskip(NEXT) | instid1(VALU_DEP_1)
	v_cmp_le_i32_e64 s0, v2, v4
	s_and_b32 s1, vcc_lo, s0
	s_delay_alu instid0(SALU_CYCLE_1)
	s_and_saveexec_b32 s0, s1
	s_cbranch_execz .LBB1605_15
; %bb.14:
	v_ashrrev_i32_e32 v3, 31, v2
	v_mul_f32_e32 v8, s6, v19
	v_mul_f32_e32 v1, s7, v19
	s_delay_alu instid0(VALU_DEP_3) | instskip(NEXT) | instid1(VALU_DEP_3)
	v_lshlrev_b64 v[9:10], 3, v[2:3]
	v_fmac_f32_e32 v8, s7, v18
	s_delay_alu instid0(VALU_DEP_3) | instskip(NEXT) | instid1(VALU_DEP_3)
	v_fma_f32 v7, v18, s6, -v1
	v_add_co_u32 v5, vcc_lo, v5, v9
	s_delay_alu instid0(VALU_DEP_4)
	v_add_co_ci_u32_e32 v6, vcc_lo, v6, v10, vcc_lo
	global_store_b64 v[5:6], v[7:8], off
.LBB1605_15:
	s_or_b32 exec_lo, exec_lo, s0
	v_add_nc_u32_e32 v3, 16, v4
	s_delay_alu instid0(VALU_DEP_1) | instskip(SKIP_3) | instid1(VALU_DEP_4)
	v_ashrrev_i32_e32 v1, 31, v3
	v_mul_lo_u32 v6, v3, s19
	v_mad_u64_u32 v[4:5], null, v3, s18, 0
	v_cmp_gt_i32_e32 vcc_lo, s12, v3
	v_mul_lo_u32 v1, v1, s18
	v_cmp_le_i32_e64 s0, v0, v3
	s_delay_alu instid0(VALU_DEP_1) | instskip(NEXT) | instid1(VALU_DEP_2)
	s_and_b32 s0, vcc_lo, s0
	v_add3_u32 v5, v5, v6, v1
	s_delay_alu instid0(VALU_DEP_1) | instskip(NEXT) | instid1(VALU_DEP_1)
	v_lshlrev_b64 v[4:5], 3, v[4:5]
	v_add_co_u32 v4, s1, s16, v4
	s_delay_alu instid0(VALU_DEP_1)
	v_add_co_ci_u32_e64 v5, s1, s17, v5, s1
	s_and_saveexec_b32 s1, s0
	s_cbranch_execz .LBB1605_17
; %bb.16:
	v_ashrrev_i32_e32 v1, 31, v0
	v_mul_f32_e32 v7, s6, v17
	v_mul_f32_e32 v6, s7, v17
	s_delay_alu instid0(VALU_DEP_3) | instskip(NEXT) | instid1(VALU_DEP_3)
	v_lshlrev_b64 v[0:1], 3, v[0:1]
	v_fmac_f32_e32 v7, s7, v16
	s_delay_alu instid0(VALU_DEP_3) | instskip(NEXT) | instid1(VALU_DEP_3)
	v_fma_f32 v6, v16, s6, -v6
	v_add_co_u32 v0, s0, v4, v0
	s_delay_alu instid0(VALU_DEP_1)
	v_add_co_ci_u32_e64 v1, s0, v5, v1, s0
	global_store_b64 v[0:1], v[6:7], off
.LBB1605_17:
	s_or_b32 exec_lo, exec_lo, s1
	v_cmp_le_i32_e64 s0, v2, v3
	s_delay_alu instid0(VALU_DEP_1) | instskip(NEXT) | instid1(SALU_CYCLE_1)
	s_and_b32 s0, vcc_lo, s0
	s_and_saveexec_b32 s1, s0
	s_cbranch_execz .LBB1605_19
; %bb.18:
	v_ashrrev_i32_e32 v3, 31, v2
	v_mul_f32_e32 v1, s6, v15
	v_mul_f32_e32 v0, s7, v15
	s_delay_alu instid0(VALU_DEP_3) | instskip(NEXT) | instid1(VALU_DEP_3)
	v_lshlrev_b64 v[2:3], 3, v[2:3]
	v_fmac_f32_e32 v1, s7, v14
	s_delay_alu instid0(VALU_DEP_3) | instskip(NEXT) | instid1(VALU_DEP_3)
	v_fma_f32 v0, v14, s6, -v0
	v_add_co_u32 v2, vcc_lo, v4, v2
	s_delay_alu instid0(VALU_DEP_4)
	v_add_co_ci_u32_e32 v3, vcc_lo, v5, v3, vcc_lo
	global_store_b64 v[2:3], v[0:1], off
.LBB1605_19:
	s_nop 0
	s_sendmsg sendmsg(MSG_DEALLOC_VGPRS)
	s_endpgm
	.section	.rodata,"a",@progbits
	.p2align	6, 0x0
	.amdhsa_kernel _ZL34rocblas_syrkx_herkx_general_kernelIl19rocblas_complex_numIfELi16ELi32ELi8ELb1ELb0ELc84ELc85EKPKS1_KPS1_EviT_T0_PT8_S7_lSA_S7_lS8_PT9_S7_li
		.amdhsa_group_segment_fixed_size 4096
		.amdhsa_private_segment_fixed_size 0
		.amdhsa_kernarg_size 108
		.amdhsa_user_sgpr_count 13
		.amdhsa_user_sgpr_dispatch_ptr 0
		.amdhsa_user_sgpr_queue_ptr 0
		.amdhsa_user_sgpr_kernarg_segment_ptr 1
		.amdhsa_user_sgpr_dispatch_id 0
		.amdhsa_user_sgpr_private_segment_size 0
		.amdhsa_wavefront_size32 1
		.amdhsa_uses_dynamic_stack 0
		.amdhsa_enable_private_segment 0
		.amdhsa_system_sgpr_workgroup_id_x 1
		.amdhsa_system_sgpr_workgroup_id_y 1
		.amdhsa_system_sgpr_workgroup_id_z 1
		.amdhsa_system_sgpr_workgroup_info 0
		.amdhsa_system_vgpr_workitem_id 1
		.amdhsa_next_free_vgpr 59
		.amdhsa_next_free_sgpr 22
		.amdhsa_reserve_vcc 1
		.amdhsa_float_round_mode_32 0
		.amdhsa_float_round_mode_16_64 0
		.amdhsa_float_denorm_mode_32 3
		.amdhsa_float_denorm_mode_16_64 3
		.amdhsa_dx10_clamp 1
		.amdhsa_ieee_mode 1
		.amdhsa_fp16_overflow 0
		.amdhsa_workgroup_processor_mode 1
		.amdhsa_memory_ordered 1
		.amdhsa_forward_progress 0
		.amdhsa_shared_vgpr_count 0
		.amdhsa_exception_fp_ieee_invalid_op 0
		.amdhsa_exception_fp_denorm_src 0
		.amdhsa_exception_fp_ieee_div_zero 0
		.amdhsa_exception_fp_ieee_overflow 0
		.amdhsa_exception_fp_ieee_underflow 0
		.amdhsa_exception_fp_ieee_inexact 0
		.amdhsa_exception_int_div_zero 0
	.end_amdhsa_kernel
	.section	.text._ZL34rocblas_syrkx_herkx_general_kernelIl19rocblas_complex_numIfELi16ELi32ELi8ELb1ELb0ELc84ELc85EKPKS1_KPS1_EviT_T0_PT8_S7_lSA_S7_lS8_PT9_S7_li,"axG",@progbits,_ZL34rocblas_syrkx_herkx_general_kernelIl19rocblas_complex_numIfELi16ELi32ELi8ELb1ELb0ELc84ELc85EKPKS1_KPS1_EviT_T0_PT8_S7_lSA_S7_lS8_PT9_S7_li,comdat
.Lfunc_end1605:
	.size	_ZL34rocblas_syrkx_herkx_general_kernelIl19rocblas_complex_numIfELi16ELi32ELi8ELb1ELb0ELc84ELc85EKPKS1_KPS1_EviT_T0_PT8_S7_lSA_S7_lS8_PT9_S7_li, .Lfunc_end1605-_ZL34rocblas_syrkx_herkx_general_kernelIl19rocblas_complex_numIfELi16ELi32ELi8ELb1ELb0ELc84ELc85EKPKS1_KPS1_EviT_T0_PT8_S7_lSA_S7_lS8_PT9_S7_li
                                        ; -- End function
	.section	.AMDGPU.csdata,"",@progbits
; Kernel info:
; codeLenInByte = 2528
; NumSgprs: 24
; NumVgprs: 59
; ScratchSize: 0
; MemoryBound: 1
; FloatMode: 240
; IeeeMode: 1
; LDSByteSize: 4096 bytes/workgroup (compile time only)
; SGPRBlocks: 2
; VGPRBlocks: 7
; NumSGPRsForWavesPerEU: 24
; NumVGPRsForWavesPerEU: 59
; Occupancy: 16
; WaveLimiterHint : 1
; COMPUTE_PGM_RSRC2:SCRATCH_EN: 0
; COMPUTE_PGM_RSRC2:USER_SGPR: 13
; COMPUTE_PGM_RSRC2:TRAP_HANDLER: 0
; COMPUTE_PGM_RSRC2:TGID_X_EN: 1
; COMPUTE_PGM_RSRC2:TGID_Y_EN: 1
; COMPUTE_PGM_RSRC2:TGID_Z_EN: 1
; COMPUTE_PGM_RSRC2:TIDIG_COMP_CNT: 1
	.section	.text._ZL34rocblas_syrkx_herkx_general_kernelIl19rocblas_complex_numIfELi16ELi32ELi8ELb1ELb0ELc67ELc85EKPKS1_KPS1_EviT_T0_PT8_S7_lSA_S7_lS8_PT9_S7_li,"axG",@progbits,_ZL34rocblas_syrkx_herkx_general_kernelIl19rocblas_complex_numIfELi16ELi32ELi8ELb1ELb0ELc67ELc85EKPKS1_KPS1_EviT_T0_PT8_S7_lSA_S7_lS8_PT9_S7_li,comdat
	.globl	_ZL34rocblas_syrkx_herkx_general_kernelIl19rocblas_complex_numIfELi16ELi32ELi8ELb1ELb0ELc67ELc85EKPKS1_KPS1_EviT_T0_PT8_S7_lSA_S7_lS8_PT9_S7_li ; -- Begin function _ZL34rocblas_syrkx_herkx_general_kernelIl19rocblas_complex_numIfELi16ELi32ELi8ELb1ELb0ELc67ELc85EKPKS1_KPS1_EviT_T0_PT8_S7_lSA_S7_lS8_PT9_S7_li
	.p2align	8
	.type	_ZL34rocblas_syrkx_herkx_general_kernelIl19rocblas_complex_numIfELi16ELi32ELi8ELb1ELb0ELc67ELc85EKPKS1_KPS1_EviT_T0_PT8_S7_lSA_S7_lS8_PT9_S7_li,@function
_ZL34rocblas_syrkx_herkx_general_kernelIl19rocblas_complex_numIfELi16ELi32ELi8ELb1ELb0ELc67ELc85EKPKS1_KPS1_EviT_T0_PT8_S7_lSA_S7_lS8_PT9_S7_li: ; @_ZL34rocblas_syrkx_herkx_general_kernelIl19rocblas_complex_numIfELi16ELi32ELi8ELb1ELb0ELc67ELc85EKPKS1_KPS1_EviT_T0_PT8_S7_lSA_S7_lS8_PT9_S7_li
; %bb.0:
	s_clause 0x1
	s_load_b128 s[16:19], s[0:1], 0x50
	s_load_b256 s[4:11], s[0:1], 0x8
	s_mov_b32 s2, s15
	s_mov_b32 s3, 0
	v_dual_mov_b32 v23, 0 :: v_dual_and_b32 v8, 0x3ff, v0
	s_lshl_b64 s[20:21], s[2:3], 3
	v_bfe_u32 v9, v0, 10, 10
	v_dual_mov_b32 v22, 0 :: v_dual_mov_b32 v21, 0
	v_dual_mov_b32 v20, 0 :: v_dual_mov_b32 v19, 0
	;; [unrolled: 1-line block ×3, first 2 shown]
	v_mov_b32_e32 v16, 0
	s_waitcnt lgkmcnt(0)
	s_add_u32 s2, s16, s20
	s_addc_u32 s3, s17, s21
	s_load_b32 s12, s[0:1], 0x0
	s_load_b64 s[16:17], s[2:3], 0x0
	v_cmp_lt_i64_e64 s2, s[4:5], 1
	s_lshl_b32 s13, s13, 5
	s_lshl_b32 s14, s14, 5
	s_delay_alu instid0(VALU_DEP_1)
	s_and_b32 vcc_lo, exec_lo, s2
	s_cbranch_vccnz .LBB1606_9
; %bb.1:
	s_load_b128 s[0:3], s[0:1], 0x30
	v_lshl_add_u32 v1, v9, 4, v8
	v_and_b32_e32 v10, 7, v8
	v_dual_mov_b32 v0, 0 :: v_dual_lshlrev_b32 v11, 3, v8
	s_delay_alu instid0(VALU_DEP_3) | instskip(SKIP_1) | instid1(VALU_DEP_4)
	v_dual_mov_b32 v23, 0 :: v_dual_and_b32 v2, 31, v1
	v_lshrrev_b32_e32 v3, 3, v1
	v_lshlrev_b32_e32 v6, 3, v10
	v_lshrrev_b32_e32 v13, 5, v1
	s_delay_alu instid0(VALU_DEP_4) | instskip(NEXT) | instid1(VALU_DEP_4)
	v_dual_mov_b32 v21, 0 :: v_dual_add_nc_u32 v4, s13, v2
	v_add_nc_u32_e32 v5, s14, v3
	v_or_b32_e32 v7, s13, v2
	v_lshlrev_b32_e32 v14, 3, v2
	v_lshl_add_u32 v12, v9, 6, 0x800
	v_ashrrev_i32_e32 v16, 31, v4
	v_mul_lo_u32 v17, s11, v4
	v_mad_u64_u32 v[1:2], null, s10, v4, 0
	s_waitcnt lgkmcnt(0)
	s_add_u32 s22, s0, s20
	v_mul_lo_u32 v4, s10, v16
	s_addc_u32 s23, s1, s21
	s_add_u32 s0, s8, s20
	s_addc_u32 s1, s9, s21
	v_ashrrev_i32_e32 v15, 31, v5
	v_lshl_or_b32 v16, v3, 6, v6
	s_load_b64 s[8:9], s[0:1], 0x0
	v_cmp_gt_i32_e64 s0, s12, v7
	v_add3_u32 v2, v2, v4, v17
	v_mul_lo_u32 v18, s2, v15
	v_dual_mov_b32 v20, 0 :: v_dual_add_nc_u32 v15, 0x800, v16
	v_mov_b32_e32 v16, 0
	v_mul_lo_u32 v19, s3, v5
	v_mad_u64_u32 v[3:4], null, s2, v5, 0
	v_lshlrev_b64 v[1:2], 3, v[1:2]
	s_load_b64 s[2:3], s[22:23], 0x0
	v_lshlrev_b32_e32 v17, 3, v13
	v_cmp_gt_i32_e32 vcc_lo, s12, v5
	v_lshl_or_b32 v14, v13, 8, v14
	v_mov_b32_e32 v22, 0
	v_add3_u32 v4, v4, v18, v19
	v_mov_b32_e32 v18, 0
	v_add_co_u32 v5, s1, v1, v17
	s_delay_alu instid0(VALU_DEP_1) | instskip(NEXT) | instid1(VALU_DEP_4)
	v_add_co_ci_u32_e64 v7, s1, 0, v2, s1
	v_lshlrev_b64 v[1:2], 3, v[3:4]
	s_waitcnt lgkmcnt(0)
	s_delay_alu instid0(VALU_DEP_3) | instskip(NEXT) | instid1(VALU_DEP_1)
	v_add_co_u32 v3, s1, v5, s8
	v_add_co_ci_u32_e64 v4, s1, s9, v7, s1
	v_mov_b32_e32 v17, 0
	s_delay_alu instid0(VALU_DEP_4) | instskip(NEXT) | instid1(VALU_DEP_1)
	v_add_co_u32 v1, s1, v1, v6
	v_add_co_ci_u32_e64 v5, s1, 0, v2, s1
	v_add_co_u32 v2, s1, v3, 4
	s_delay_alu instid0(VALU_DEP_1) | instskip(NEXT) | instid1(VALU_DEP_4)
	v_add_co_ci_u32_e64 v3, s1, 0, v4, s1
	v_add_co_u32 v4, s1, s2, v1
	s_delay_alu instid0(VALU_DEP_1)
	v_add_co_ci_u32_e64 v5, s1, s3, v5, s1
	v_mov_b32_e32 v19, 0
	s_mov_b64 s[2:3], 0
	s_xor_b32 s1, vcc_lo, -1
	s_branch .LBB1606_3
.LBB1606_2:                             ;   in Loop: Header=BB1606_3 Depth=1
	s_or_b32 exec_lo, exec_lo, s8
	s_waitcnt lgkmcnt(0)
	s_barrier
	buffer_gl0_inv
	ds_load_2addr_b64 v[24:27], v11 offset1:16
	ds_load_b128 v[28:31], v12
	ds_load_b128 v[32:35], v12 offset:1024
	ds_load_b128 v[36:39], v12 offset:16
	;; [unrolled: 1-line block ×4, first 2 shown]
	ds_load_2addr_b64 v[48:51], v11 offset0:32 offset1:48
	ds_load_b128 v[52:55], v12 offset:1040
	s_add_u32 s2, s2, 8
	s_addc_u32 s3, s3, 0
	v_add_co_u32 v2, vcc_lo, v2, 64
	v_cmp_ge_i64_e64 s8, s[2:3], s[4:5]
	v_add_co_ci_u32_e32 v3, vcc_lo, 0, v3, vcc_lo
	v_add_co_u32 v4, vcc_lo, v4, 64
	v_add_co_ci_u32_e32 v5, vcc_lo, 0, v5, vcc_lo
	s_delay_alu instid0(VALU_DEP_4)
	s_and_b32 vcc_lo, exec_lo, s8
	s_waitcnt lgkmcnt(6)
	v_dual_mul_f32 v1, v29, v25 :: v_dual_mul_f32 v56, v28, v27
	v_dual_mul_f32 v6, v28, v25 :: v_dual_mul_f32 v7, v29, v27
	s_waitcnt lgkmcnt(5)
	v_mul_f32_e32 v58, v33, v27
	s_delay_alu instid0(VALU_DEP_3) | instskip(SKIP_3) | instid1(VALU_DEP_4)
	v_fma_f32 v1, v28, v24, -v1
	v_dual_mul_f32 v27, v32, v27 :: v_dual_fmac_f32 v56, v29, v26
	v_fmac_f32_e32 v6, v29, v24
	v_fma_f32 v7, v28, v26, -v7
	v_add_f32_e32 v1, v22, v1
	v_mul_f32_e32 v57, v33, v25
	s_delay_alu instid0(VALU_DEP_4) | instskip(NEXT) | instid1(VALU_DEP_4)
	v_dual_mul_f32 v25, v32, v25 :: v_dual_add_f32 v6, v23, v6
	v_dual_add_f32 v7, v20, v7 :: v_dual_add_f32 v22, v21, v56
	s_delay_alu instid0(VALU_DEP_3) | instskip(NEXT) | instid1(VALU_DEP_3)
	v_fma_f32 v28, v32, v24, -v57
	v_fmac_f32_e32 v25, v33, v24
	v_fma_f32 v24, v32, v26, -v58
	v_fmac_f32_e32 v27, v33, v26
	s_waitcnt lgkmcnt(1)
	v_dual_add_f32 v23, v18, v28 :: v_dual_mul_f32 v28, v31, v49
	s_delay_alu instid0(VALU_DEP_3)
	v_dual_add_f32 v25, v19, v25 :: v_dual_add_f32 v16, v16, v24
	v_mul_f32_e32 v24, v30, v49
	ds_load_2addr_b64 v[18:21], v11 offset0:64 offset1:80
	v_fma_f32 v26, v30, v48, -v28
	v_mul_f32_e32 v28, v31, v51
	v_dual_add_f32 v17, v17, v27 :: v_dual_fmac_f32 v24, v31, v48
	v_mul_f32_e32 v27, v30, v51
	s_delay_alu instid0(VALU_DEP_4) | instskip(NEXT) | instid1(VALU_DEP_4)
	v_add_f32_e32 v1, v1, v26
	v_fma_f32 v26, v30, v50, -v28
	v_mul_f32_e32 v28, v35, v49
	s_delay_alu instid0(VALU_DEP_4) | instskip(SKIP_1) | instid1(VALU_DEP_1)
	v_dual_add_f32 v6, v6, v24 :: v_dual_fmac_f32 v27, v31, v50
	v_mul_f32_e32 v24, v34, v49
	v_dual_add_f32 v27, v22, v27 :: v_dual_fmac_f32 v24, v35, v48
	v_add_f32_e32 v7, v7, v26
	v_fma_f32 v26, v34, v48, -v28
	v_mul_f32_e32 v29, v34, v51
	s_waitcnt lgkmcnt(0)
	v_mul_f32_e32 v30, v36, v19
	v_mul_f32_e32 v32, v37, v21
	v_add_f32_e32 v26, v23, v26
	v_fmac_f32_e32 v29, v35, v50
	v_mul_f32_e32 v28, v35, v51
	v_fmac_f32_e32 v30, v37, v18
	s_delay_alu instid0(VALU_DEP_3) | instskip(SKIP_1) | instid1(VALU_DEP_4)
	v_add_f32_e32 v29, v17, v29
	v_mul_f32_e32 v17, v36, v21
	v_fma_f32 v22, v34, v50, -v28
	v_mul_f32_e32 v23, v37, v19
	v_add_f32_e32 v28, v25, v24
	v_add_f32_e32 v6, v6, v30
	v_mul_f32_e32 v30, v53, v19
	v_add_f32_e32 v16, v16, v22
	v_fma_f32 v31, v36, v18, -v23
	ds_load_2addr_b64 v[22:25], v11 offset0:96 offset1:112
	v_mul_f32_e32 v19, v52, v19
	v_add_f32_e32 v1, v1, v31
	v_fma_f32 v31, v36, v20, -v32
	s_delay_alu instid0(VALU_DEP_1) | instskip(SKIP_4) | instid1(VALU_DEP_2)
	v_add_f32_e32 v7, v7, v31
	v_mul_f32_e32 v31, v53, v21
	v_mul_f32_e32 v21, v52, v21
	v_fma_f32 v30, v52, v18, -v30
	v_fmac_f32_e32 v17, v37, v20
	v_dual_fmac_f32 v21, v53, v20 :: v_dual_add_f32 v30, v26, v30
	s_delay_alu instid0(VALU_DEP_2)
	v_dual_fmac_f32 v19, v53, v18 :: v_dual_add_f32 v32, v27, v17
	v_fma_f32 v17, v52, v20, -v31
	s_waitcnt lgkmcnt(0)
	v_mul_f32_e32 v26, v38, v23
	v_mul_f32_e32 v20, v39, v23
	v_dual_add_f32 v31, v28, v19 :: v_dual_add_f32 v34, v29, v21
	v_add_f32_e32 v33, v16, v17
	ds_load_2addr_b64 v[16:19], v11 offset0:128 offset1:144
	v_fmac_f32_e32 v26, v39, v22
	v_mul_f32_e32 v27, v39, v25
	v_mul_f32_e32 v21, v38, v25
	;; [unrolled: 1-line block ×4, first 2 shown]
	v_fma_f32 v20, v38, v22, -v20
	v_add_f32_e32 v6, v6, v26
	v_fma_f32 v27, v38, v24, -v27
	s_waitcnt lgkmcnt(0)
	v_dual_fmac_f32 v25, v55, v24 :: v_dual_mul_f32 v38, v40, v17
	s_delay_alu instid0(VALU_DEP_1) | instskip(NEXT) | instid1(VALU_DEP_2)
	v_dual_add_f32 v25, v34, v25 :: v_dual_mul_f32 v34, v40, v19
	v_fmac_f32_e32 v38, v41, v16
	v_fmac_f32_e32 v21, v39, v24
	v_dual_add_f32 v1, v1, v20 :: v_dual_mul_f32 v20, v55, v23
	s_delay_alu instid0(VALU_DEP_4) | instskip(NEXT) | instid1(VALU_DEP_4)
	v_fmac_f32_e32 v34, v41, v18
	v_add_f32_e32 v6, v6, v38
	s_delay_alu instid0(VALU_DEP_4)
	v_add_f32_e32 v36, v32, v21
	v_fma_f32 v21, v54, v24, -v35
	v_add_f32_e32 v7, v7, v27
	ds_load_b128 v[26:29], v12 offset:1056
	v_mul_f32_e32 v23, v54, v23
	v_fma_f32 v20, v54, v22, -v20
	v_add_f32_e32 v24, v33, v21
	v_add_f32_e32 v34, v36, v34
	s_delay_alu instid0(VALU_DEP_4) | instskip(NEXT) | instid1(VALU_DEP_4)
	v_fmac_f32_e32 v23, v55, v22
	v_dual_add_f32 v35, v30, v20 :: v_dual_mul_f32 v20, v41, v17
	s_delay_alu instid0(VALU_DEP_2) | instskip(SKIP_1) | instid1(VALU_DEP_3)
	v_add_f32_e32 v37, v31, v23
	v_mul_f32_e32 v31, v41, v19
	v_fma_f32 v30, v40, v16, -v20
	ds_load_2addr_b64 v[20:23], v11 offset0:160 offset1:176
	v_fma_f32 v39, v40, v18, -v31
	v_add_f32_e32 v1, v1, v30
	ds_load_b128 v[30:33], v12 offset:1072
	s_waitcnt lgkmcnt(2)
	v_mul_f32_e32 v36, v26, v19
	v_mul_f32_e32 v40, v27, v17
	s_delay_alu instid0(VALU_DEP_2) | instskip(NEXT) | instid1(VALU_DEP_2)
	v_dual_fmac_f32 v36, v27, v18 :: v_dual_mul_f32 v17, v26, v17
	v_fma_f32 v38, v26, v16, -v40
	s_delay_alu instid0(VALU_DEP_2)
	v_fmac_f32_e32 v17, v27, v16
	v_add_f32_e32 v7, v7, v39
	v_mul_f32_e32 v39, v27, v19
	s_waitcnt lgkmcnt(1)
	v_mul_f32_e32 v27, v42, v21
	v_mul_f32_e32 v19, v43, v21
	s_delay_alu instid0(VALU_DEP_3) | instskip(NEXT) | instid1(VALU_DEP_1)
	v_fma_f32 v16, v26, v18, -v39
	v_add_f32_e32 v24, v24, v16
	s_delay_alu instid0(VALU_DEP_4) | instskip(SKIP_1) | instid1(VALU_DEP_2)
	v_fmac_f32_e32 v27, v43, v20
	v_add_f32_e32 v36, v25, v36
	v_add_f32_e32 v6, v6, v27
	v_add_f32_e32 v26, v37, v17
	v_fma_f32 v37, v42, v20, -v19
	ds_load_2addr_b64 v[16:19], v11 offset0:192 offset1:208
	v_mul_f32_e32 v25, v42, v23
	v_add_f32_e32 v35, v35, v38
	v_dual_mul_f32 v38, v43, v23 :: v_dual_mul_f32 v27, v29, v21
	v_mul_f32_e32 v21, v28, v21
	s_delay_alu instid0(VALU_DEP_4) | instskip(NEXT) | instid1(VALU_DEP_3)
	v_fmac_f32_e32 v25, v43, v22
	v_fma_f32 v27, v28, v20, -v27
	s_delay_alu instid0(VALU_DEP_2) | instskip(NEXT) | instid1(VALU_DEP_1)
	v_dual_fmac_f32 v21, v29, v20 :: v_dual_add_f32 v20, v34, v25
	v_add_f32_e32 v21, v26, v21
	s_waitcnt lgkmcnt(0)
	v_mul_f32_e32 v34, v45, v17
	v_add_f32_e32 v1, v1, v37
	v_fma_f32 v37, v42, v22, -v38
	s_delay_alu instid0(VALU_DEP_3) | instskip(NEXT) | instid1(VALU_DEP_2)
	v_fma_f32 v34, v44, v16, -v34
	v_add_f32_e32 v7, v7, v37
	v_mul_f32_e32 v37, v29, v23
	v_mul_f32_e32 v23, v28, v23
	s_delay_alu instid0(VALU_DEP_2) | instskip(SKIP_3) | instid1(VALU_DEP_2)
	v_fma_f32 v25, v28, v22, -v37
	v_add_f32_e32 v28, v35, v27
	v_mul_f32_e32 v35, v45, v19
	v_dual_add_f32 v1, v1, v34 :: v_dual_mul_f32 v34, v31, v17
	v_fma_f32 v35, v44, v18, -v35
	s_delay_alu instid0(VALU_DEP_1)
	v_add_f32_e32 v7, v7, v35
	v_dual_fmac_f32 v23, v29, v22 :: v_dual_add_f32 v22, v24, v25
	ds_load_2addr_b64 v[24:27], v11 offset0:224 offset1:240
	s_waitcnt lgkmcnt(0)
	s_barrier
	v_add_f32_e32 v23, v36, v23
	v_mul_f32_e32 v29, v44, v17
	v_dual_mul_f32 v36, v44, v19 :: v_dual_mul_f32 v17, v30, v17
	buffer_gl0_inv
	v_fmac_f32_e32 v29, v45, v16
	v_dual_fmac_f32 v36, v45, v18 :: v_dual_fmac_f32 v17, v31, v16
	s_delay_alu instid0(VALU_DEP_2) | instskip(SKIP_1) | instid1(VALU_DEP_3)
	v_add_f32_e32 v6, v6, v29
	v_fma_f32 v29, v30, v16, -v34
	v_dual_mul_f32 v34, v31, v19 :: v_dual_add_f32 v35, v20, v36
	s_delay_alu instid0(VALU_DEP_2) | instskip(NEXT) | instid1(VALU_DEP_2)
	v_dual_mul_f32 v19, v30, v19 :: v_dual_add_f32 v16, v28, v29
	v_fma_f32 v20, v30, v18, -v34
	v_mul_f32_e32 v28, v47, v25
	v_mul_f32_e32 v29, v46, v25
	s_delay_alu instid0(VALU_DEP_3) | instskip(NEXT) | instid1(VALU_DEP_3)
	v_dual_fmac_f32 v19, v31, v18 :: v_dual_add_f32 v30, v22, v20
	v_fma_f32 v18, v46, v24, -v28
	s_delay_alu instid0(VALU_DEP_3)
	v_fmac_f32_e32 v29, v47, v24
	v_dual_mul_f32 v20, v47, v27 :: v_dual_add_f32 v17, v21, v17
	v_mul_f32_e32 v21, v46, v27
	v_add_f32_e32 v28, v23, v19
	v_add_f32_e32 v22, v1, v18
	v_dual_mul_f32 v18, v33, v27 :: v_dual_add_f32 v23, v6, v29
	v_fma_f32 v1, v46, v26, -v20
	v_mul_f32_e32 v6, v33, v25
	v_mul_f32_e32 v19, v32, v25
	v_mul_f32_e32 v25, v32, v27
	v_fmac_f32_e32 v21, v47, v26
	v_add_f32_e32 v20, v7, v1
	v_fma_f32 v1, v32, v24, -v6
	v_fmac_f32_e32 v19, v33, v24
	v_fma_f32 v6, v32, v26, -v18
	v_fmac_f32_e32 v25, v33, v26
	v_add_f32_e32 v21, v35, v21
	s_delay_alu instid0(VALU_DEP_4) | instskip(NEXT) | instid1(VALU_DEP_3)
	v_dual_add_f32 v18, v16, v1 :: v_dual_add_f32 v19, v17, v19
	v_dual_add_f32 v16, v30, v6 :: v_dual_add_f32 v17, v28, v25
	s_cbranch_vccnz .LBB1606_9
.LBB1606_3:                             ; =>This Inner Loop Header: Depth=1
	v_add_co_u32 v6, s8, v13, s2
	s_delay_alu instid0(VALU_DEP_1) | instskip(NEXT) | instid1(VALU_DEP_1)
	v_add_co_ci_u32_e64 v7, null, 0, s3, s8
	v_cmp_gt_i64_e32 vcc_lo, s[4:5], v[6:7]
	v_dual_mov_b32 v6, 0 :: v_dual_mov_b32 v7, 0
	s_and_b32 s9, s0, vcc_lo
	s_delay_alu instid0(SALU_CYCLE_1)
	s_and_saveexec_b32 s8, s9
	s_cbranch_execz .LBB1606_5
; %bb.4:                                ;   in Loop: Header=BB1606_3 Depth=1
	global_load_b64 v[6:7], v[2:3], off offset:-4
.LBB1606_5:                             ;   in Loop: Header=BB1606_3 Depth=1
	s_or_b32 exec_lo, exec_lo, s8
	v_add_co_u32 v24, s8, v10, s2
	s_delay_alu instid0(VALU_DEP_1) | instskip(SKIP_4) | instid1(SALU_CYCLE_1)
	v_add_co_ci_u32_e64 v25, null, 0, s3, s8
	s_waitcnt vmcnt(0)
	ds_store_b64 v14, v[6:7]
	v_cmp_le_i64_e32 vcc_lo, s[4:5], v[24:25]
	s_or_b32 s8, vcc_lo, s1
	s_and_saveexec_b32 s9, s8
	s_delay_alu instid0(SALU_CYCLE_1)
	s_xor_b32 s8, exec_lo, s9
	s_cbranch_execz .LBB1606_7
; %bb.6:                                ;   in Loop: Header=BB1606_3 Depth=1
	v_mov_b32_e32 v1, v0
	ds_store_b64 v15, v[0:1]
.LBB1606_7:                             ;   in Loop: Header=BB1606_3 Depth=1
	s_and_not1_saveexec_b32 s8, s8
	s_cbranch_execz .LBB1606_2
; %bb.8:                                ;   in Loop: Header=BB1606_3 Depth=1
	global_load_b64 v[6:7], v[4:5], off
	s_waitcnt vmcnt(0)
	ds_store_b64 v15, v[6:7]
	s_branch .LBB1606_2
.LBB1606_9:
	v_add_nc_u32_e32 v4, s14, v9
	s_delay_alu instid0(VALU_DEP_1)
	v_ashrrev_i32_e32 v0, 31, v4
	v_mul_lo_u32 v3, v4, s19
	v_mad_u64_u32 v[1:2], null, v4, s18, 0
	s_waitcnt lgkmcnt(0)
	v_cmp_gt_i32_e32 vcc_lo, s12, v4
	v_mul_lo_u32 v0, v0, s18
	s_delay_alu instid0(VALU_DEP_1) | instskip(SKIP_1) | instid1(VALU_DEP_2)
	v_add3_u32 v2, v2, v3, v0
	v_add_nc_u32_e32 v0, s13, v8
	v_lshlrev_b64 v[1:2], 3, v[1:2]
	s_delay_alu instid0(VALU_DEP_2) | instskip(NEXT) | instid1(VALU_DEP_1)
	v_cmp_le_i32_e64 s0, v0, v4
	s_and_b32 s0, vcc_lo, s0
	s_delay_alu instid0(VALU_DEP_2) | instskip(NEXT) | instid1(VALU_DEP_1)
	v_add_co_u32 v5, s1, s16, v1
	v_add_co_ci_u32_e64 v6, s1, s17, v2, s1
	s_and_saveexec_b32 s1, s0
	s_cbranch_execz .LBB1606_11
; %bb.10:
	v_ashrrev_i32_e32 v1, 31, v0
	v_mul_f32_e32 v2, s6, v23
	v_mul_f32_e32 v3, s7, v23
	s_delay_alu instid0(VALU_DEP_3) | instskip(NEXT) | instid1(VALU_DEP_3)
	v_lshlrev_b64 v[7:8], 3, v[0:1]
	v_fmac_f32_e32 v2, s7, v22
	s_delay_alu instid0(VALU_DEP_3) | instskip(NEXT) | instid1(VALU_DEP_3)
	v_fma_f32 v1, v22, s6, -v3
	v_add_co_u32 v7, s0, v5, v7
	s_delay_alu instid0(VALU_DEP_1)
	v_add_co_ci_u32_e64 v8, s0, v6, v8, s0
	global_store_b64 v[7:8], v[1:2], off
.LBB1606_11:
	s_or_b32 exec_lo, exec_lo, s1
	v_add_nc_u32_e32 v2, 16, v0
	s_delay_alu instid0(VALU_DEP_1) | instskip(NEXT) | instid1(VALU_DEP_1)
	v_cmp_le_i32_e64 s0, v2, v4
	s_and_b32 s1, vcc_lo, s0
	s_delay_alu instid0(SALU_CYCLE_1)
	s_and_saveexec_b32 s0, s1
	s_cbranch_execz .LBB1606_13
; %bb.12:
	v_ashrrev_i32_e32 v3, 31, v2
	v_mul_f32_e32 v8, s6, v21
	v_mul_f32_e32 v1, s7, v21
	s_delay_alu instid0(VALU_DEP_3) | instskip(NEXT) | instid1(VALU_DEP_3)
	v_lshlrev_b64 v[9:10], 3, v[2:3]
	v_fmac_f32_e32 v8, s7, v20
	s_delay_alu instid0(VALU_DEP_3) | instskip(NEXT) | instid1(VALU_DEP_3)
	v_fma_f32 v7, v20, s6, -v1
	v_add_co_u32 v5, vcc_lo, v5, v9
	s_delay_alu instid0(VALU_DEP_4)
	v_add_co_ci_u32_e32 v6, vcc_lo, v6, v10, vcc_lo
	global_store_b64 v[5:6], v[7:8], off
.LBB1606_13:
	s_or_b32 exec_lo, exec_lo, s0
	v_add_nc_u32_e32 v3, 16, v4
	s_delay_alu instid0(VALU_DEP_1) | instskip(SKIP_3) | instid1(VALU_DEP_4)
	v_ashrrev_i32_e32 v1, 31, v3
	v_mul_lo_u32 v6, v3, s19
	v_mad_u64_u32 v[4:5], null, v3, s18, 0
	v_cmp_gt_i32_e32 vcc_lo, s12, v3
	v_mul_lo_u32 v1, v1, s18
	v_cmp_le_i32_e64 s0, v0, v3
	s_delay_alu instid0(VALU_DEP_1) | instskip(NEXT) | instid1(VALU_DEP_2)
	s_and_b32 s0, vcc_lo, s0
	v_add3_u32 v5, v5, v6, v1
	s_delay_alu instid0(VALU_DEP_1) | instskip(NEXT) | instid1(VALU_DEP_1)
	v_lshlrev_b64 v[4:5], 3, v[4:5]
	v_add_co_u32 v4, s1, s16, v4
	s_delay_alu instid0(VALU_DEP_1)
	v_add_co_ci_u32_e64 v5, s1, s17, v5, s1
	s_and_saveexec_b32 s1, s0
	s_cbranch_execz .LBB1606_15
; %bb.14:
	v_ashrrev_i32_e32 v1, 31, v0
	v_mul_f32_e32 v7, s6, v19
	v_mul_f32_e32 v6, s7, v19
	s_delay_alu instid0(VALU_DEP_3) | instskip(NEXT) | instid1(VALU_DEP_3)
	v_lshlrev_b64 v[0:1], 3, v[0:1]
	v_fmac_f32_e32 v7, s7, v18
	s_delay_alu instid0(VALU_DEP_3) | instskip(NEXT) | instid1(VALU_DEP_3)
	v_fma_f32 v6, v18, s6, -v6
	v_add_co_u32 v0, s0, v4, v0
	s_delay_alu instid0(VALU_DEP_1)
	v_add_co_ci_u32_e64 v1, s0, v5, v1, s0
	global_store_b64 v[0:1], v[6:7], off
.LBB1606_15:
	s_or_b32 exec_lo, exec_lo, s1
	v_cmp_le_i32_e64 s0, v2, v3
	s_delay_alu instid0(VALU_DEP_1) | instskip(NEXT) | instid1(SALU_CYCLE_1)
	s_and_b32 s0, vcc_lo, s0
	s_and_saveexec_b32 s1, s0
	s_cbranch_execz .LBB1606_17
; %bb.16:
	v_ashrrev_i32_e32 v3, 31, v2
	v_mul_f32_e32 v1, s6, v17
	v_mul_f32_e32 v0, s7, v17
	s_delay_alu instid0(VALU_DEP_3) | instskip(NEXT) | instid1(VALU_DEP_3)
	v_lshlrev_b64 v[2:3], 3, v[2:3]
	v_fmac_f32_e32 v1, s7, v16
	s_delay_alu instid0(VALU_DEP_3) | instskip(NEXT) | instid1(VALU_DEP_3)
	v_fma_f32 v0, v16, s6, -v0
	v_add_co_u32 v2, vcc_lo, v4, v2
	s_delay_alu instid0(VALU_DEP_4)
	v_add_co_ci_u32_e32 v3, vcc_lo, v5, v3, vcc_lo
	global_store_b64 v[2:3], v[0:1], off
.LBB1606_17:
	s_nop 0
	s_sendmsg sendmsg(MSG_DEALLOC_VGPRS)
	s_endpgm
	.section	.rodata,"a",@progbits
	.p2align	6, 0x0
	.amdhsa_kernel _ZL34rocblas_syrkx_herkx_general_kernelIl19rocblas_complex_numIfELi16ELi32ELi8ELb1ELb0ELc67ELc85EKPKS1_KPS1_EviT_T0_PT8_S7_lSA_S7_lS8_PT9_S7_li
		.amdhsa_group_segment_fixed_size 4096
		.amdhsa_private_segment_fixed_size 0
		.amdhsa_kernarg_size 108
		.amdhsa_user_sgpr_count 13
		.amdhsa_user_sgpr_dispatch_ptr 0
		.amdhsa_user_sgpr_queue_ptr 0
		.amdhsa_user_sgpr_kernarg_segment_ptr 1
		.amdhsa_user_sgpr_dispatch_id 0
		.amdhsa_user_sgpr_private_segment_size 0
		.amdhsa_wavefront_size32 1
		.amdhsa_uses_dynamic_stack 0
		.amdhsa_enable_private_segment 0
		.amdhsa_system_sgpr_workgroup_id_x 1
		.amdhsa_system_sgpr_workgroup_id_y 1
		.amdhsa_system_sgpr_workgroup_id_z 1
		.amdhsa_system_sgpr_workgroup_info 0
		.amdhsa_system_vgpr_workitem_id 1
		.amdhsa_next_free_vgpr 59
		.amdhsa_next_free_sgpr 24
		.amdhsa_reserve_vcc 1
		.amdhsa_float_round_mode_32 0
		.amdhsa_float_round_mode_16_64 0
		.amdhsa_float_denorm_mode_32 3
		.amdhsa_float_denorm_mode_16_64 3
		.amdhsa_dx10_clamp 1
		.amdhsa_ieee_mode 1
		.amdhsa_fp16_overflow 0
		.amdhsa_workgroup_processor_mode 1
		.amdhsa_memory_ordered 1
		.amdhsa_forward_progress 0
		.amdhsa_shared_vgpr_count 0
		.amdhsa_exception_fp_ieee_invalid_op 0
		.amdhsa_exception_fp_denorm_src 0
		.amdhsa_exception_fp_ieee_div_zero 0
		.amdhsa_exception_fp_ieee_overflow 0
		.amdhsa_exception_fp_ieee_underflow 0
		.amdhsa_exception_fp_ieee_inexact 0
		.amdhsa_exception_int_div_zero 0
	.end_amdhsa_kernel
	.section	.text._ZL34rocblas_syrkx_herkx_general_kernelIl19rocblas_complex_numIfELi16ELi32ELi8ELb1ELb0ELc67ELc85EKPKS1_KPS1_EviT_T0_PT8_S7_lSA_S7_lS8_PT9_S7_li,"axG",@progbits,_ZL34rocblas_syrkx_herkx_general_kernelIl19rocblas_complex_numIfELi16ELi32ELi8ELb1ELb0ELc67ELc85EKPKS1_KPS1_EviT_T0_PT8_S7_lSA_S7_lS8_PT9_S7_li,comdat
.Lfunc_end1606:
	.size	_ZL34rocblas_syrkx_herkx_general_kernelIl19rocblas_complex_numIfELi16ELi32ELi8ELb1ELb0ELc67ELc85EKPKS1_KPS1_EviT_T0_PT8_S7_lSA_S7_lS8_PT9_S7_li, .Lfunc_end1606-_ZL34rocblas_syrkx_herkx_general_kernelIl19rocblas_complex_numIfELi16ELi32ELi8ELb1ELb0ELc67ELc85EKPKS1_KPS1_EviT_T0_PT8_S7_lSA_S7_lS8_PT9_S7_li
                                        ; -- End function
	.section	.AMDGPU.csdata,"",@progbits
; Kernel info:
; codeLenInByte = 2508
; NumSgprs: 26
; NumVgprs: 59
; ScratchSize: 0
; MemoryBound: 1
; FloatMode: 240
; IeeeMode: 1
; LDSByteSize: 4096 bytes/workgroup (compile time only)
; SGPRBlocks: 3
; VGPRBlocks: 7
; NumSGPRsForWavesPerEU: 26
; NumVGPRsForWavesPerEU: 59
; Occupancy: 16
; WaveLimiterHint : 1
; COMPUTE_PGM_RSRC2:SCRATCH_EN: 0
; COMPUTE_PGM_RSRC2:USER_SGPR: 13
; COMPUTE_PGM_RSRC2:TRAP_HANDLER: 0
; COMPUTE_PGM_RSRC2:TGID_X_EN: 1
; COMPUTE_PGM_RSRC2:TGID_Y_EN: 1
; COMPUTE_PGM_RSRC2:TGID_Z_EN: 1
; COMPUTE_PGM_RSRC2:TIDIG_COMP_CNT: 1
	.section	.text._ZL34rocblas_syrkx_herkx_general_kernelIl19rocblas_complex_numIfELi16ELi32ELi8ELb1ELb0ELc78ELc85EKPKS1_KPS1_EviT_T0_PT8_S7_lSA_S7_lS8_PT9_S7_li,"axG",@progbits,_ZL34rocblas_syrkx_herkx_general_kernelIl19rocblas_complex_numIfELi16ELi32ELi8ELb1ELb0ELc78ELc85EKPKS1_KPS1_EviT_T0_PT8_S7_lSA_S7_lS8_PT9_S7_li,comdat
	.globl	_ZL34rocblas_syrkx_herkx_general_kernelIl19rocblas_complex_numIfELi16ELi32ELi8ELb1ELb0ELc78ELc85EKPKS1_KPS1_EviT_T0_PT8_S7_lSA_S7_lS8_PT9_S7_li ; -- Begin function _ZL34rocblas_syrkx_herkx_general_kernelIl19rocblas_complex_numIfELi16ELi32ELi8ELb1ELb0ELc78ELc85EKPKS1_KPS1_EviT_T0_PT8_S7_lSA_S7_lS8_PT9_S7_li
	.p2align	8
	.type	_ZL34rocblas_syrkx_herkx_general_kernelIl19rocblas_complex_numIfELi16ELi32ELi8ELb1ELb0ELc78ELc85EKPKS1_KPS1_EviT_T0_PT8_S7_lSA_S7_lS8_PT9_S7_li,@function
_ZL34rocblas_syrkx_herkx_general_kernelIl19rocblas_complex_numIfELi16ELi32ELi8ELb1ELb0ELc78ELc85EKPKS1_KPS1_EviT_T0_PT8_S7_lSA_S7_lS8_PT9_S7_li: ; @_ZL34rocblas_syrkx_herkx_general_kernelIl19rocblas_complex_numIfELi16ELi32ELi8ELb1ELb0ELc78ELc85EKPKS1_KPS1_EviT_T0_PT8_S7_lSA_S7_lS8_PT9_S7_li
; %bb.0:
	s_clause 0x1
	s_load_b128 s[16:19], s[0:1], 0x50
	s_load_b256 s[4:11], s[0:1], 0x8
	s_mov_b32 s2, s15
	s_mov_b32 s3, 0
	v_dual_mov_b32 v23, 0 :: v_dual_and_b32 v8, 0x3ff, v0
	s_lshl_b64 s[20:21], s[2:3], 3
	v_bfe_u32 v9, v0, 10, 10
	v_dual_mov_b32 v22, 0 :: v_dual_mov_b32 v21, 0
	v_dual_mov_b32 v20, 0 :: v_dual_mov_b32 v19, 0
	;; [unrolled: 1-line block ×3, first 2 shown]
	v_mov_b32_e32 v16, 0
	s_waitcnt lgkmcnt(0)
	s_add_u32 s2, s16, s20
	s_addc_u32 s3, s17, s21
	s_load_b32 s16, s[0:1], 0x0
	s_load_b64 s[2:3], s[2:3], 0x0
	v_cmp_lt_i64_e64 s12, s[4:5], 1
	s_lshl_b32 s17, s13, 5
	s_lshl_b32 s22, s14, 5
	s_delay_alu instid0(VALU_DEP_1)
	s_and_b32 vcc_lo, exec_lo, s12
	s_cbranch_vccnz .LBB1607_9
; %bb.1:
	s_load_b128 s[12:15], s[0:1], 0x30
	v_lshl_add_u32 v1, v9, 4, v8
	v_and_b32_e32 v10, 7, v8
	v_dual_mov_b32 v0, 0 :: v_dual_lshlrev_b32 v11, 3, v8
	v_lshl_add_u32 v12, v9, 6, 0x800
	s_delay_alu instid0(VALU_DEP_4) | instskip(SKIP_3) | instid1(VALU_DEP_4)
	v_lshrrev_b32_e32 v13, 5, v1
	v_lshrrev_b32_e32 v2, 3, v1
	v_lshlrev_b32_e32 v14, 3, v10
	v_dual_mov_b32 v22, 0 :: v_dual_mov_b32 v23, 0
	v_mad_u64_u32 v[5:6], null, s10, v13, 0
	s_waitcnt lgkmcnt(0)
	v_mad_u64_u32 v[3:4], null, s14, v10, 0
	s_add_u32 s12, s12, s20
	s_addc_u32 s13, s13, s21
	s_add_u32 s8, s8, s20
	s_load_b64 s[12:13], s[12:13], 0x0
	s_addc_u32 s9, s9, s21
	s_delay_alu instid0(VALU_DEP_1) | instskip(SKIP_3) | instid1(VALU_DEP_2)
	v_mad_u64_u32 v[18:19], null, s15, v10, v[4:5]
	v_and_b32_e32 v7, 31, v1
	s_load_b64 s[20:21], s[8:9], 0x0
	s_lshl_b64 s[8:9], s[10:11], 6
	v_mov_b32_e32 v4, v18
	s_delay_alu instid0(VALU_DEP_2)
	v_mad_u64_u32 v[19:20], null, s11, v13, v[6:7]
	v_add_nc_u32_e32 v1, s22, v2
	v_or_b32_e32 v15, s17, v7
	v_lshlrev_b32_e32 v17, 3, v7
	v_add_nc_u32_e32 v16, s17, v7
	v_lshlrev_b64 v[3:4], 3, v[3:4]
	v_mov_b32_e32 v20, 0
	v_dual_mov_b32 v6, v19 :: v_dual_mov_b32 v19, 0
	v_lshl_or_b32 v21, v2, 6, v14
	v_ashrrev_i32_e32 v2, 31, v1
	v_cmp_gt_i32_e32 vcc_lo, s16, v15
	v_lshl_or_b32 v14, v13, 8, v17
	v_cmp_gt_i32_e64 s0, s16, v1
	v_dual_mov_b32 v18, 0 :: v_dual_add_nc_u32 v15, 0x800, v21
	v_mov_b32_e32 v21, 0
	v_ashrrev_i32_e32 v17, 31, v16
	v_lshlrev_b64 v[1:2], 3, v[1:2]
	v_lshlrev_b64 v[5:6], 3, v[5:6]
	s_lshl_b64 s[10:11], s[14:15], 6
	s_delay_alu instid0(VALU_DEP_3) | instskip(NEXT) | instid1(VALU_DEP_3)
	v_lshlrev_b64 v[16:17], 3, v[16:17]
	v_add_co_u32 v1, s1, v3, v1
	s_delay_alu instid0(VALU_DEP_1) | instskip(NEXT) | instid1(VALU_DEP_3)
	v_add_co_ci_u32_e64 v2, s1, v4, v2, s1
	v_add_co_u32 v3, s1, v5, v16
	s_delay_alu instid0(VALU_DEP_1) | instskip(SKIP_2) | instid1(VALU_DEP_1)
	v_add_co_ci_u32_e64 v4, s1, v6, v17, s1
	s_waitcnt lgkmcnt(0)
	v_add_co_u32 v1, s1, v1, s12
	v_add_co_ci_u32_e64 v5, s1, s13, v2, s1
	v_add_co_u32 v2, s1, s20, v3
	s_delay_alu instid0(VALU_DEP_1) | instskip(NEXT) | instid1(VALU_DEP_4)
	v_add_co_ci_u32_e64 v3, s1, s21, v4, s1
	v_add_co_u32 v4, s1, v1, 4
	s_delay_alu instid0(VALU_DEP_1)
	v_add_co_ci_u32_e64 v5, s1, 0, v5, s1
	v_dual_mov_b32 v17, 0 :: v_dual_mov_b32 v16, 0
	s_mov_b64 s[12:13], 0
	s_xor_b32 s1, vcc_lo, -1
	s_branch .LBB1607_3
.LBB1607_2:                             ;   in Loop: Header=BB1607_3 Depth=1
	s_or_b32 exec_lo, exec_lo, s14
	s_waitcnt vmcnt(0)
	ds_store_b64 v15, v[6:7]
	s_waitcnt lgkmcnt(0)
	s_barrier
	buffer_gl0_inv
	ds_load_2addr_b64 v[24:27], v11 offset1:16
	ds_load_b128 v[28:31], v12
	ds_load_b128 v[32:35], v12 offset:1024
	ds_load_b128 v[36:39], v12 offset:16
	;; [unrolled: 1-line block ×4, first 2 shown]
	ds_load_2addr_b64 v[48:51], v11 offset0:32 offset1:48
	ds_load_b128 v[52:55], v12 offset:1040
	s_add_u32 s12, s12, 8
	s_addc_u32 s13, s13, 0
	v_add_co_u32 v2, vcc_lo, v2, s8
	v_cmp_ge_i64_e64 s14, s[12:13], s[4:5]
	v_add_co_ci_u32_e32 v3, vcc_lo, s9, v3, vcc_lo
	v_add_co_u32 v4, vcc_lo, v4, s10
	v_add_co_ci_u32_e32 v5, vcc_lo, s11, v5, vcc_lo
	s_delay_alu instid0(VALU_DEP_4)
	s_and_b32 vcc_lo, exec_lo, s14
	s_waitcnt lgkmcnt(6)
	v_dual_mul_f32 v1, v29, v25 :: v_dual_mul_f32 v56, v28, v27
	v_dual_mul_f32 v6, v28, v25 :: v_dual_mul_f32 v7, v29, v27
	s_waitcnt lgkmcnt(5)
	v_mul_f32_e32 v58, v33, v27
	s_delay_alu instid0(VALU_DEP_3) | instskip(SKIP_3) | instid1(VALU_DEP_4)
	v_fma_f32 v1, v28, v24, -v1
	v_dual_mul_f32 v27, v32, v27 :: v_dual_fmac_f32 v56, v29, v26
	v_fmac_f32_e32 v6, v29, v24
	v_fma_f32 v7, v28, v26, -v7
	v_add_f32_e32 v1, v22, v1
	v_mul_f32_e32 v57, v33, v25
	s_delay_alu instid0(VALU_DEP_4) | instskip(NEXT) | instid1(VALU_DEP_4)
	v_dual_mul_f32 v25, v32, v25 :: v_dual_add_f32 v6, v23, v6
	v_dual_add_f32 v7, v20, v7 :: v_dual_add_f32 v22, v21, v56
	s_delay_alu instid0(VALU_DEP_3) | instskip(NEXT) | instid1(VALU_DEP_3)
	v_fma_f32 v28, v32, v24, -v57
	v_fmac_f32_e32 v25, v33, v24
	v_fma_f32 v24, v32, v26, -v58
	v_fmac_f32_e32 v27, v33, v26
	s_waitcnt lgkmcnt(1)
	v_dual_add_f32 v23, v18, v28 :: v_dual_mul_f32 v28, v31, v49
	s_delay_alu instid0(VALU_DEP_3)
	v_dual_add_f32 v25, v19, v25 :: v_dual_add_f32 v16, v16, v24
	v_mul_f32_e32 v24, v30, v49
	ds_load_2addr_b64 v[18:21], v11 offset0:64 offset1:80
	v_fma_f32 v26, v30, v48, -v28
	v_mul_f32_e32 v28, v31, v51
	v_dual_add_f32 v17, v17, v27 :: v_dual_fmac_f32 v24, v31, v48
	v_mul_f32_e32 v27, v30, v51
	s_delay_alu instid0(VALU_DEP_4) | instskip(NEXT) | instid1(VALU_DEP_4)
	v_add_f32_e32 v1, v1, v26
	v_fma_f32 v26, v30, v50, -v28
	v_mul_f32_e32 v28, v35, v49
	s_delay_alu instid0(VALU_DEP_4) | instskip(SKIP_1) | instid1(VALU_DEP_1)
	v_dual_add_f32 v6, v6, v24 :: v_dual_fmac_f32 v27, v31, v50
	v_mul_f32_e32 v24, v34, v49
	v_dual_add_f32 v27, v22, v27 :: v_dual_fmac_f32 v24, v35, v48
	v_add_f32_e32 v7, v7, v26
	v_fma_f32 v26, v34, v48, -v28
	v_mul_f32_e32 v29, v34, v51
	s_waitcnt lgkmcnt(0)
	v_mul_f32_e32 v30, v36, v19
	v_mul_f32_e32 v32, v37, v21
	v_add_f32_e32 v26, v23, v26
	v_fmac_f32_e32 v29, v35, v50
	v_mul_f32_e32 v28, v35, v51
	v_fmac_f32_e32 v30, v37, v18
	s_delay_alu instid0(VALU_DEP_3) | instskip(SKIP_1) | instid1(VALU_DEP_4)
	v_add_f32_e32 v29, v17, v29
	v_mul_f32_e32 v17, v36, v21
	v_fma_f32 v22, v34, v50, -v28
	v_mul_f32_e32 v23, v37, v19
	v_add_f32_e32 v28, v25, v24
	v_add_f32_e32 v6, v6, v30
	v_mul_f32_e32 v30, v53, v19
	v_add_f32_e32 v16, v16, v22
	v_fma_f32 v31, v36, v18, -v23
	ds_load_2addr_b64 v[22:25], v11 offset0:96 offset1:112
	v_mul_f32_e32 v19, v52, v19
	v_add_f32_e32 v1, v1, v31
	v_fma_f32 v31, v36, v20, -v32
	s_delay_alu instid0(VALU_DEP_1) | instskip(SKIP_4) | instid1(VALU_DEP_2)
	v_add_f32_e32 v7, v7, v31
	v_mul_f32_e32 v31, v53, v21
	v_mul_f32_e32 v21, v52, v21
	v_fma_f32 v30, v52, v18, -v30
	v_fmac_f32_e32 v17, v37, v20
	v_dual_fmac_f32 v21, v53, v20 :: v_dual_add_f32 v30, v26, v30
	s_delay_alu instid0(VALU_DEP_2)
	v_dual_fmac_f32 v19, v53, v18 :: v_dual_add_f32 v32, v27, v17
	v_fma_f32 v17, v52, v20, -v31
	s_waitcnt lgkmcnt(0)
	v_mul_f32_e32 v26, v38, v23
	v_mul_f32_e32 v20, v39, v23
	v_dual_add_f32 v31, v28, v19 :: v_dual_add_f32 v34, v29, v21
	v_add_f32_e32 v33, v16, v17
	ds_load_2addr_b64 v[16:19], v11 offset0:128 offset1:144
	v_fmac_f32_e32 v26, v39, v22
	v_mul_f32_e32 v27, v39, v25
	v_mul_f32_e32 v21, v38, v25
	;; [unrolled: 1-line block ×4, first 2 shown]
	v_fma_f32 v20, v38, v22, -v20
	v_add_f32_e32 v6, v6, v26
	v_fma_f32 v27, v38, v24, -v27
	s_waitcnt lgkmcnt(0)
	v_dual_fmac_f32 v25, v55, v24 :: v_dual_mul_f32 v38, v40, v17
	s_delay_alu instid0(VALU_DEP_1) | instskip(NEXT) | instid1(VALU_DEP_2)
	v_dual_add_f32 v25, v34, v25 :: v_dual_mul_f32 v34, v40, v19
	v_fmac_f32_e32 v38, v41, v16
	v_fmac_f32_e32 v21, v39, v24
	v_dual_add_f32 v1, v1, v20 :: v_dual_mul_f32 v20, v55, v23
	s_delay_alu instid0(VALU_DEP_4) | instskip(NEXT) | instid1(VALU_DEP_4)
	v_fmac_f32_e32 v34, v41, v18
	v_add_f32_e32 v6, v6, v38
	s_delay_alu instid0(VALU_DEP_4)
	v_add_f32_e32 v36, v32, v21
	v_fma_f32 v21, v54, v24, -v35
	v_add_f32_e32 v7, v7, v27
	ds_load_b128 v[26:29], v12 offset:1056
	v_mul_f32_e32 v23, v54, v23
	v_fma_f32 v20, v54, v22, -v20
	v_add_f32_e32 v24, v33, v21
	v_add_f32_e32 v34, v36, v34
	s_delay_alu instid0(VALU_DEP_4) | instskip(NEXT) | instid1(VALU_DEP_4)
	v_fmac_f32_e32 v23, v55, v22
	v_dual_add_f32 v35, v30, v20 :: v_dual_mul_f32 v20, v41, v17
	s_delay_alu instid0(VALU_DEP_2) | instskip(SKIP_1) | instid1(VALU_DEP_3)
	v_add_f32_e32 v37, v31, v23
	v_mul_f32_e32 v31, v41, v19
	v_fma_f32 v30, v40, v16, -v20
	ds_load_2addr_b64 v[20:23], v11 offset0:160 offset1:176
	v_fma_f32 v39, v40, v18, -v31
	v_add_f32_e32 v1, v1, v30
	ds_load_b128 v[30:33], v12 offset:1072
	s_waitcnt lgkmcnt(2)
	v_mul_f32_e32 v36, v26, v19
	v_mul_f32_e32 v40, v27, v17
	s_delay_alu instid0(VALU_DEP_2) | instskip(NEXT) | instid1(VALU_DEP_2)
	v_dual_fmac_f32 v36, v27, v18 :: v_dual_mul_f32 v17, v26, v17
	v_fma_f32 v38, v26, v16, -v40
	s_delay_alu instid0(VALU_DEP_2)
	v_fmac_f32_e32 v17, v27, v16
	v_add_f32_e32 v7, v7, v39
	v_mul_f32_e32 v39, v27, v19
	s_waitcnt lgkmcnt(1)
	v_mul_f32_e32 v27, v42, v21
	v_mul_f32_e32 v19, v43, v21
	s_delay_alu instid0(VALU_DEP_3) | instskip(NEXT) | instid1(VALU_DEP_1)
	v_fma_f32 v16, v26, v18, -v39
	v_add_f32_e32 v24, v24, v16
	s_delay_alu instid0(VALU_DEP_4) | instskip(SKIP_1) | instid1(VALU_DEP_2)
	v_fmac_f32_e32 v27, v43, v20
	v_add_f32_e32 v36, v25, v36
	v_add_f32_e32 v6, v6, v27
	;; [unrolled: 1-line block ×3, first 2 shown]
	v_fma_f32 v37, v42, v20, -v19
	ds_load_2addr_b64 v[16:19], v11 offset0:192 offset1:208
	v_mul_f32_e32 v25, v42, v23
	v_add_f32_e32 v35, v35, v38
	v_dual_mul_f32 v38, v43, v23 :: v_dual_mul_f32 v27, v29, v21
	v_mul_f32_e32 v21, v28, v21
	s_delay_alu instid0(VALU_DEP_4) | instskip(NEXT) | instid1(VALU_DEP_3)
	v_fmac_f32_e32 v25, v43, v22
	v_fma_f32 v27, v28, v20, -v27
	s_delay_alu instid0(VALU_DEP_2) | instskip(NEXT) | instid1(VALU_DEP_1)
	v_dual_fmac_f32 v21, v29, v20 :: v_dual_add_f32 v20, v34, v25
	v_add_f32_e32 v21, v26, v21
	s_waitcnt lgkmcnt(0)
	v_mul_f32_e32 v34, v45, v17
	v_add_f32_e32 v1, v1, v37
	v_fma_f32 v37, v42, v22, -v38
	s_delay_alu instid0(VALU_DEP_3) | instskip(NEXT) | instid1(VALU_DEP_2)
	v_fma_f32 v34, v44, v16, -v34
	v_add_f32_e32 v7, v7, v37
	v_mul_f32_e32 v37, v29, v23
	v_mul_f32_e32 v23, v28, v23
	s_delay_alu instid0(VALU_DEP_2) | instskip(SKIP_3) | instid1(VALU_DEP_2)
	v_fma_f32 v25, v28, v22, -v37
	v_add_f32_e32 v28, v35, v27
	v_mul_f32_e32 v35, v45, v19
	v_dual_add_f32 v1, v1, v34 :: v_dual_mul_f32 v34, v31, v17
	v_fma_f32 v35, v44, v18, -v35
	s_delay_alu instid0(VALU_DEP_1)
	v_add_f32_e32 v7, v7, v35
	v_dual_fmac_f32 v23, v29, v22 :: v_dual_add_f32 v22, v24, v25
	ds_load_2addr_b64 v[24:27], v11 offset0:224 offset1:240
	s_waitcnt lgkmcnt(0)
	s_barrier
	v_add_f32_e32 v23, v36, v23
	v_mul_f32_e32 v29, v44, v17
	v_dual_mul_f32 v36, v44, v19 :: v_dual_mul_f32 v17, v30, v17
	buffer_gl0_inv
	v_fmac_f32_e32 v29, v45, v16
	v_dual_fmac_f32 v36, v45, v18 :: v_dual_fmac_f32 v17, v31, v16
	s_delay_alu instid0(VALU_DEP_2) | instskip(SKIP_1) | instid1(VALU_DEP_3)
	v_add_f32_e32 v6, v6, v29
	v_fma_f32 v29, v30, v16, -v34
	v_dual_mul_f32 v34, v31, v19 :: v_dual_add_f32 v35, v20, v36
	s_delay_alu instid0(VALU_DEP_2) | instskip(NEXT) | instid1(VALU_DEP_2)
	v_dual_mul_f32 v19, v30, v19 :: v_dual_add_f32 v16, v28, v29
	v_fma_f32 v20, v30, v18, -v34
	v_mul_f32_e32 v28, v47, v25
	v_mul_f32_e32 v29, v46, v25
	s_delay_alu instid0(VALU_DEP_3) | instskip(NEXT) | instid1(VALU_DEP_3)
	v_dual_fmac_f32 v19, v31, v18 :: v_dual_add_f32 v30, v22, v20
	v_fma_f32 v18, v46, v24, -v28
	s_delay_alu instid0(VALU_DEP_3)
	v_fmac_f32_e32 v29, v47, v24
	v_dual_mul_f32 v20, v47, v27 :: v_dual_add_f32 v17, v21, v17
	v_mul_f32_e32 v21, v46, v27
	v_add_f32_e32 v28, v23, v19
	v_add_f32_e32 v22, v1, v18
	v_dual_mul_f32 v18, v33, v27 :: v_dual_add_f32 v23, v6, v29
	v_fma_f32 v1, v46, v26, -v20
	v_mul_f32_e32 v6, v33, v25
	v_mul_f32_e32 v19, v32, v25
	v_mul_f32_e32 v25, v32, v27
	v_fmac_f32_e32 v21, v47, v26
	v_add_f32_e32 v20, v7, v1
	v_fma_f32 v1, v32, v24, -v6
	v_fmac_f32_e32 v19, v33, v24
	v_fma_f32 v6, v32, v26, -v18
	v_fmac_f32_e32 v25, v33, v26
	v_add_f32_e32 v21, v35, v21
	s_delay_alu instid0(VALU_DEP_4) | instskip(NEXT) | instid1(VALU_DEP_3)
	v_dual_add_f32 v18, v16, v1 :: v_dual_add_f32 v19, v17, v19
	v_dual_add_f32 v16, v30, v6 :: v_dual_add_f32 v17, v28, v25
	s_cbranch_vccnz .LBB1607_9
.LBB1607_3:                             ; =>This Inner Loop Header: Depth=1
	v_add_co_u32 v6, s14, v13, s12
	s_delay_alu instid0(VALU_DEP_1) | instskip(NEXT) | instid1(VALU_DEP_1)
	v_add_co_ci_u32_e64 v7, null, 0, s13, s14
	v_cmp_le_i64_e32 vcc_lo, s[4:5], v[6:7]
	s_or_b32 s14, s1, vcc_lo
	s_delay_alu instid0(SALU_CYCLE_1) | instskip(NEXT) | instid1(SALU_CYCLE_1)
	s_and_saveexec_b32 s15, s14
	s_xor_b32 s14, exec_lo, s15
	s_cbranch_execz .LBB1607_5
; %bb.4:                                ;   in Loop: Header=BB1607_3 Depth=1
	v_mov_b32_e32 v1, v0
	ds_store_b64 v14, v[0:1]
.LBB1607_5:                             ;   in Loop: Header=BB1607_3 Depth=1
	s_and_not1_saveexec_b32 s14, s14
	s_cbranch_execz .LBB1607_7
; %bb.6:                                ;   in Loop: Header=BB1607_3 Depth=1
	global_load_b64 v[6:7], v[2:3], off
	s_waitcnt vmcnt(0)
	ds_store_b64 v14, v[6:7]
.LBB1607_7:                             ;   in Loop: Header=BB1607_3 Depth=1
	s_or_b32 exec_lo, exec_lo, s14
	v_add_co_u32 v6, s14, v10, s12
	s_delay_alu instid0(VALU_DEP_1) | instskip(NEXT) | instid1(VALU_DEP_1)
	v_add_co_ci_u32_e64 v7, null, 0, s13, s14
	v_cmp_gt_i64_e32 vcc_lo, s[4:5], v[6:7]
	v_dual_mov_b32 v6, 0 :: v_dual_mov_b32 v7, 0
	s_and_b32 s15, vcc_lo, s0
	s_delay_alu instid0(SALU_CYCLE_1)
	s_and_saveexec_b32 s14, s15
	s_cbranch_execz .LBB1607_2
; %bb.8:                                ;   in Loop: Header=BB1607_3 Depth=1
	global_load_b64 v[6:7], v[4:5], off offset:-4
	s_branch .LBB1607_2
.LBB1607_9:
	v_add_nc_u32_e32 v4, s22, v9
	s_delay_alu instid0(VALU_DEP_1)
	v_ashrrev_i32_e32 v0, 31, v4
	v_mul_lo_u32 v3, v4, s19
	v_mad_u64_u32 v[1:2], null, v4, s18, 0
	s_waitcnt lgkmcnt(0)
	v_cmp_gt_i32_e32 vcc_lo, s16, v4
	v_mul_lo_u32 v0, v0, s18
	s_delay_alu instid0(VALU_DEP_1) | instskip(SKIP_1) | instid1(VALU_DEP_2)
	v_add3_u32 v2, v2, v3, v0
	v_add_nc_u32_e32 v0, s17, v8
	v_lshlrev_b64 v[1:2], 3, v[1:2]
	s_delay_alu instid0(VALU_DEP_2) | instskip(NEXT) | instid1(VALU_DEP_1)
	v_cmp_le_i32_e64 s0, v0, v4
	s_and_b32 s0, vcc_lo, s0
	s_delay_alu instid0(VALU_DEP_2) | instskip(NEXT) | instid1(VALU_DEP_1)
	v_add_co_u32 v5, s1, s2, v1
	v_add_co_ci_u32_e64 v6, s1, s3, v2, s1
	s_and_saveexec_b32 s1, s0
	s_cbranch_execz .LBB1607_11
; %bb.10:
	v_ashrrev_i32_e32 v1, 31, v0
	v_mul_f32_e32 v2, s6, v23
	v_mul_f32_e32 v3, s7, v23
	s_delay_alu instid0(VALU_DEP_3) | instskip(NEXT) | instid1(VALU_DEP_3)
	v_lshlrev_b64 v[7:8], 3, v[0:1]
	v_fmac_f32_e32 v2, s7, v22
	s_delay_alu instid0(VALU_DEP_3) | instskip(NEXT) | instid1(VALU_DEP_3)
	v_fma_f32 v1, v22, s6, -v3
	v_add_co_u32 v7, s0, v5, v7
	s_delay_alu instid0(VALU_DEP_1)
	v_add_co_ci_u32_e64 v8, s0, v6, v8, s0
	global_store_b64 v[7:8], v[1:2], off
.LBB1607_11:
	s_or_b32 exec_lo, exec_lo, s1
	v_add_nc_u32_e32 v2, 16, v0
	s_delay_alu instid0(VALU_DEP_1) | instskip(NEXT) | instid1(VALU_DEP_1)
	v_cmp_le_i32_e64 s0, v2, v4
	s_and_b32 s1, vcc_lo, s0
	s_delay_alu instid0(SALU_CYCLE_1)
	s_and_saveexec_b32 s0, s1
	s_cbranch_execz .LBB1607_13
; %bb.12:
	v_ashrrev_i32_e32 v3, 31, v2
	v_mul_f32_e32 v8, s6, v21
	v_mul_f32_e32 v1, s7, v21
	s_delay_alu instid0(VALU_DEP_3) | instskip(NEXT) | instid1(VALU_DEP_3)
	v_lshlrev_b64 v[9:10], 3, v[2:3]
	v_fmac_f32_e32 v8, s7, v20
	s_delay_alu instid0(VALU_DEP_3) | instskip(NEXT) | instid1(VALU_DEP_3)
	v_fma_f32 v7, v20, s6, -v1
	v_add_co_u32 v5, vcc_lo, v5, v9
	s_delay_alu instid0(VALU_DEP_4)
	v_add_co_ci_u32_e32 v6, vcc_lo, v6, v10, vcc_lo
	global_store_b64 v[5:6], v[7:8], off
.LBB1607_13:
	s_or_b32 exec_lo, exec_lo, s0
	v_add_nc_u32_e32 v3, 16, v4
	s_delay_alu instid0(VALU_DEP_1) | instskip(SKIP_3) | instid1(VALU_DEP_4)
	v_ashrrev_i32_e32 v1, 31, v3
	v_mul_lo_u32 v6, v3, s19
	v_mad_u64_u32 v[4:5], null, v3, s18, 0
	v_cmp_gt_i32_e32 vcc_lo, s16, v3
	v_mul_lo_u32 v1, v1, s18
	v_cmp_le_i32_e64 s0, v0, v3
	s_delay_alu instid0(VALU_DEP_1) | instskip(NEXT) | instid1(VALU_DEP_2)
	s_and_b32 s0, vcc_lo, s0
	v_add3_u32 v5, v5, v6, v1
	s_delay_alu instid0(VALU_DEP_1) | instskip(NEXT) | instid1(VALU_DEP_1)
	v_lshlrev_b64 v[4:5], 3, v[4:5]
	v_add_co_u32 v4, s1, s2, v4
	s_delay_alu instid0(VALU_DEP_1)
	v_add_co_ci_u32_e64 v5, s1, s3, v5, s1
	s_and_saveexec_b32 s1, s0
	s_cbranch_execz .LBB1607_15
; %bb.14:
	v_ashrrev_i32_e32 v1, 31, v0
	v_mul_f32_e32 v7, s6, v19
	v_mul_f32_e32 v6, s7, v19
	s_delay_alu instid0(VALU_DEP_3) | instskip(NEXT) | instid1(VALU_DEP_3)
	v_lshlrev_b64 v[0:1], 3, v[0:1]
	v_fmac_f32_e32 v7, s7, v18
	s_delay_alu instid0(VALU_DEP_3) | instskip(NEXT) | instid1(VALU_DEP_3)
	v_fma_f32 v6, v18, s6, -v6
	v_add_co_u32 v0, s0, v4, v0
	s_delay_alu instid0(VALU_DEP_1)
	v_add_co_ci_u32_e64 v1, s0, v5, v1, s0
	global_store_b64 v[0:1], v[6:7], off
.LBB1607_15:
	s_or_b32 exec_lo, exec_lo, s1
	v_cmp_le_i32_e64 s0, v2, v3
	s_delay_alu instid0(VALU_DEP_1) | instskip(NEXT) | instid1(SALU_CYCLE_1)
	s_and_b32 s0, vcc_lo, s0
	s_and_saveexec_b32 s1, s0
	s_cbranch_execz .LBB1607_17
; %bb.16:
	v_ashrrev_i32_e32 v3, 31, v2
	v_mul_f32_e32 v1, s6, v17
	v_mul_f32_e32 v0, s7, v17
	s_delay_alu instid0(VALU_DEP_3) | instskip(NEXT) | instid1(VALU_DEP_3)
	v_lshlrev_b64 v[2:3], 3, v[2:3]
	v_fmac_f32_e32 v1, s7, v16
	s_delay_alu instid0(VALU_DEP_3) | instskip(NEXT) | instid1(VALU_DEP_3)
	v_fma_f32 v0, v16, s6, -v0
	v_add_co_u32 v2, vcc_lo, v4, v2
	s_delay_alu instid0(VALU_DEP_4)
	v_add_co_ci_u32_e32 v3, vcc_lo, v5, v3, vcc_lo
	global_store_b64 v[2:3], v[0:1], off
.LBB1607_17:
	s_nop 0
	s_sendmsg sendmsg(MSG_DEALLOC_VGPRS)
	s_endpgm
	.section	.rodata,"a",@progbits
	.p2align	6, 0x0
	.amdhsa_kernel _ZL34rocblas_syrkx_herkx_general_kernelIl19rocblas_complex_numIfELi16ELi32ELi8ELb1ELb0ELc78ELc85EKPKS1_KPS1_EviT_T0_PT8_S7_lSA_S7_lS8_PT9_S7_li
		.amdhsa_group_segment_fixed_size 4096
		.amdhsa_private_segment_fixed_size 0
		.amdhsa_kernarg_size 108
		.amdhsa_user_sgpr_count 13
		.amdhsa_user_sgpr_dispatch_ptr 0
		.amdhsa_user_sgpr_queue_ptr 0
		.amdhsa_user_sgpr_kernarg_segment_ptr 1
		.amdhsa_user_sgpr_dispatch_id 0
		.amdhsa_user_sgpr_private_segment_size 0
		.amdhsa_wavefront_size32 1
		.amdhsa_uses_dynamic_stack 0
		.amdhsa_enable_private_segment 0
		.amdhsa_system_sgpr_workgroup_id_x 1
		.amdhsa_system_sgpr_workgroup_id_y 1
		.amdhsa_system_sgpr_workgroup_id_z 1
		.amdhsa_system_sgpr_workgroup_info 0
		.amdhsa_system_vgpr_workitem_id 1
		.amdhsa_next_free_vgpr 59
		.amdhsa_next_free_sgpr 23
		.amdhsa_reserve_vcc 1
		.amdhsa_float_round_mode_32 0
		.amdhsa_float_round_mode_16_64 0
		.amdhsa_float_denorm_mode_32 3
		.amdhsa_float_denorm_mode_16_64 3
		.amdhsa_dx10_clamp 1
		.amdhsa_ieee_mode 1
		.amdhsa_fp16_overflow 0
		.amdhsa_workgroup_processor_mode 1
		.amdhsa_memory_ordered 1
		.amdhsa_forward_progress 0
		.amdhsa_shared_vgpr_count 0
		.amdhsa_exception_fp_ieee_invalid_op 0
		.amdhsa_exception_fp_denorm_src 0
		.amdhsa_exception_fp_ieee_div_zero 0
		.amdhsa_exception_fp_ieee_overflow 0
		.amdhsa_exception_fp_ieee_underflow 0
		.amdhsa_exception_fp_ieee_inexact 0
		.amdhsa_exception_int_div_zero 0
	.end_amdhsa_kernel
	.section	.text._ZL34rocblas_syrkx_herkx_general_kernelIl19rocblas_complex_numIfELi16ELi32ELi8ELb1ELb0ELc78ELc85EKPKS1_KPS1_EviT_T0_PT8_S7_lSA_S7_lS8_PT9_S7_li,"axG",@progbits,_ZL34rocblas_syrkx_herkx_general_kernelIl19rocblas_complex_numIfELi16ELi32ELi8ELb1ELb0ELc78ELc85EKPKS1_KPS1_EviT_T0_PT8_S7_lSA_S7_lS8_PT9_S7_li,comdat
.Lfunc_end1607:
	.size	_ZL34rocblas_syrkx_herkx_general_kernelIl19rocblas_complex_numIfELi16ELi32ELi8ELb1ELb0ELc78ELc85EKPKS1_KPS1_EviT_T0_PT8_S7_lSA_S7_lS8_PT9_S7_li, .Lfunc_end1607-_ZL34rocblas_syrkx_herkx_general_kernelIl19rocblas_complex_numIfELi16ELi32ELi8ELb1ELb0ELc78ELc85EKPKS1_KPS1_EviT_T0_PT8_S7_lSA_S7_lS8_PT9_S7_li
                                        ; -- End function
	.section	.AMDGPU.csdata,"",@progbits
; Kernel info:
; codeLenInByte = 2508
; NumSgprs: 25
; NumVgprs: 59
; ScratchSize: 0
; MemoryBound: 1
; FloatMode: 240
; IeeeMode: 1
; LDSByteSize: 4096 bytes/workgroup (compile time only)
; SGPRBlocks: 3
; VGPRBlocks: 7
; NumSGPRsForWavesPerEU: 25
; NumVGPRsForWavesPerEU: 59
; Occupancy: 16
; WaveLimiterHint : 1
; COMPUTE_PGM_RSRC2:SCRATCH_EN: 0
; COMPUTE_PGM_RSRC2:USER_SGPR: 13
; COMPUTE_PGM_RSRC2:TRAP_HANDLER: 0
; COMPUTE_PGM_RSRC2:TGID_X_EN: 1
; COMPUTE_PGM_RSRC2:TGID_Y_EN: 1
; COMPUTE_PGM_RSRC2:TGID_Z_EN: 1
; COMPUTE_PGM_RSRC2:TIDIG_COMP_CNT: 1
	.section	.text._ZL34rocblas_syrkx_herkx_general_kernelIl19rocblas_complex_numIfELi16ELi32ELi8ELb0ELb0ELc84ELc76EKPKS1_KPS1_EviT_T0_PT8_S7_lSA_S7_lS8_PT9_S7_li,"axG",@progbits,_ZL34rocblas_syrkx_herkx_general_kernelIl19rocblas_complex_numIfELi16ELi32ELi8ELb0ELb0ELc84ELc76EKPKS1_KPS1_EviT_T0_PT8_S7_lSA_S7_lS8_PT9_S7_li,comdat
	.globl	_ZL34rocblas_syrkx_herkx_general_kernelIl19rocblas_complex_numIfELi16ELi32ELi8ELb0ELb0ELc84ELc76EKPKS1_KPS1_EviT_T0_PT8_S7_lSA_S7_lS8_PT9_S7_li ; -- Begin function _ZL34rocblas_syrkx_herkx_general_kernelIl19rocblas_complex_numIfELi16ELi32ELi8ELb0ELb0ELc84ELc76EKPKS1_KPS1_EviT_T0_PT8_S7_lSA_S7_lS8_PT9_S7_li
	.p2align	8
	.type	_ZL34rocblas_syrkx_herkx_general_kernelIl19rocblas_complex_numIfELi16ELi32ELi8ELb0ELb0ELc84ELc76EKPKS1_KPS1_EviT_T0_PT8_S7_lSA_S7_lS8_PT9_S7_li,@function
_ZL34rocblas_syrkx_herkx_general_kernelIl19rocblas_complex_numIfELi16ELi32ELi8ELb0ELb0ELc84ELc76EKPKS1_KPS1_EviT_T0_PT8_S7_lSA_S7_lS8_PT9_S7_li: ; @_ZL34rocblas_syrkx_herkx_general_kernelIl19rocblas_complex_numIfELi16ELi32ELi8ELb0ELb0ELc84ELc76EKPKS1_KPS1_EviT_T0_PT8_S7_lSA_S7_lS8_PT9_S7_li
; %bb.0:
	s_clause 0x1
	s_load_b128 s[16:19], s[0:1], 0x48
	s_load_b256 s[4:11], s[0:1], 0x8
	s_mov_b32 s2, s15
	s_mov_b32 s3, 0
	s_load_b64 s[20:21], s[0:1], 0x58
	s_lshl_b64 s[22:23], s[2:3], 3
	v_dual_mov_b32 v21, 0 :: v_dual_and_b32 v6, 0x3ff, v0
	v_bfe_u32 v7, v0, 10, 10
	v_dual_mov_b32 v20, 0 :: v_dual_mov_b32 v19, 0
	v_dual_mov_b32 v18, 0 :: v_dual_mov_b32 v17, 0
	;; [unrolled: 1-line block ×3, first 2 shown]
	v_mov_b32_e32 v14, 0
	s_waitcnt lgkmcnt(0)
	s_add_u32 s2, s18, s22
	s_addc_u32 s3, s19, s23
	s_load_b32 s12, s[0:1], 0x0
	s_load_b64 s[18:19], s[2:3], 0x0
	v_cmp_lt_i64_e64 s2, s[4:5], 1
	s_lshl_b32 s13, s13, 5
	s_lshl_b32 s14, s14, 5
	s_delay_alu instid0(VALU_DEP_1)
	s_and_b32 vcc_lo, exec_lo, s2
	s_cbranch_vccnz .LBB1608_11
; %bb.1:
	s_load_b128 s[0:3], s[0:1], 0x30
	v_lshl_add_u32 v0, v7, 4, v6
	v_and_b32_e32 v8, 7, v6
	v_dual_mov_b32 v20, 0 :: v_dual_mov_b32 v19, 0
	v_mov_b32_e32 v21, 0
	s_delay_alu instid0(VALU_DEP_4) | instskip(SKIP_3) | instid1(VALU_DEP_4)
	v_lshrrev_b32_e32 v5, 3, v0
	v_and_b32_e32 v1, 31, v0
	v_lshrrev_b32_e32 v9, 5, v0
	v_lshlrev_b32_e32 v14, 3, v8
	v_dual_mov_b32 v18, 0 :: v_dual_add_nc_u32 v11, s14, v5
	s_delay_alu instid0(VALU_DEP_4)
	v_add_nc_u32_e32 v0, s13, v1
	v_or_b32_e32 v10, s13, v1
	v_lshlrev_b32_e32 v12, 3, v1
	v_lshl_or_b32 v5, v5, 6, v14
	v_ashrrev_i32_e32 v3, 31, v11
	v_ashrrev_i32_e32 v4, 31, v0
	s_waitcnt lgkmcnt(0)
	v_cmp_gt_i32_e32 vcc_lo, s12, v10
	v_lshl_or_b32 v10, v9, 8, v12
	v_mul_lo_u32 v17, s3, v11
	v_mul_lo_u32 v16, s2, v3
	;; [unrolled: 1-line block ×3, first 2 shown]
	v_mad_u64_u32 v[3:4], null, s2, v11, 0
	s_add_u32 s0, s0, s22
	s_addc_u32 s1, s1, s23
	s_add_u32 s8, s8, s22
	s_addc_u32 s9, s9, s23
	v_lshlrev_b32_e32 v12, 3, v6
	s_mov_b64 s[2:3], 0
	s_delay_alu instid0(VALU_DEP_2)
	v_add3_u32 v4, v4, v16, v17
	v_mov_b32_e32 v17, 0
	v_mul_lo_u32 v13, s11, v0
	v_mad_u64_u32 v[1:2], null, s10, v0, 0
	s_load_b64 s[10:11], s[0:1], 0x0
	s_load_b64 s[8:9], s[8:9], 0x0
	v_cmp_gt_i32_e64 s0, s12, v11
	v_dual_mov_b32 v16, 0 :: v_dual_add_nc_u32 v11, 0x800, v5
	v_lshlrev_b32_e32 v5, 3, v9
	v_lshlrev_b64 v[3:4], 3, v[3:4]
	v_add3_u32 v2, v2, v15, v13
	v_mov_b32_e32 v0, 0
	v_lshl_add_u32 v13, v7, 6, 0x800
	s_xor_b32 s0, s0, -1
	s_delay_alu instid0(VALU_DEP_3) | instskip(NEXT) | instid1(VALU_DEP_1)
	v_lshlrev_b64 v[1:2], 3, v[1:2]
	v_add_co_u32 v1, s1, v1, v5
	s_delay_alu instid0(VALU_DEP_1) | instskip(SKIP_1) | instid1(VALU_DEP_1)
	v_add_co_ci_u32_e64 v5, s1, 0, v2, s1
	v_add_co_u32 v14, s1, v3, v14
	v_add_co_ci_u32_e64 v15, s1, 0, v4, s1
	s_waitcnt lgkmcnt(0)
	v_add_co_u32 v2, s1, s8, v1
	s_delay_alu instid0(VALU_DEP_1) | instskip(SKIP_1) | instid1(VALU_DEP_1)
	v_add_co_ci_u32_e64 v3, s1, s9, v5, s1
	v_add_co_u32 v4, s1, s10, v14
	v_add_co_ci_u32_e64 v5, s1, s11, v15, s1
	v_dual_mov_b32 v15, 0 :: v_dual_mov_b32 v14, 0
	s_xor_b32 s1, vcc_lo, -1
	s_branch .LBB1608_3
.LBB1608_2:                             ;   in Loop: Header=BB1608_3 Depth=1
	s_or_b32 exec_lo, exec_lo, s8
	s_waitcnt lgkmcnt(0)
	s_barrier
	buffer_gl0_inv
	ds_load_2addr_b64 v[22:25], v12 offset1:16
	ds_load_b128 v[26:29], v13
	ds_load_b128 v[30:33], v13 offset:1024
	ds_load_b128 v[34:37], v13 offset:16
	;; [unrolled: 1-line block ×4, first 2 shown]
	ds_load_2addr_b64 v[46:49], v12 offset0:32 offset1:48
	ds_load_b128 v[50:53], v13 offset:1040
	s_add_u32 s2, s2, 8
	s_addc_u32 s3, s3, 0
	v_add_co_u32 v2, vcc_lo, v2, 64
	v_cmp_ge_i64_e64 s8, s[2:3], s[4:5]
	v_add_co_ci_u32_e32 v3, vcc_lo, 0, v3, vcc_lo
	v_add_co_u32 v4, vcc_lo, v4, 64
	v_add_co_ci_u32_e32 v5, vcc_lo, 0, v5, vcc_lo
	s_delay_alu instid0(VALU_DEP_4)
	s_and_b32 vcc_lo, exec_lo, s8
	s_waitcnt lgkmcnt(6)
	v_dual_mul_f32 v1, v27, v23 :: v_dual_mul_f32 v56, v26, v25
	v_dual_mul_f32 v54, v26, v23 :: v_dual_mul_f32 v55, v27, v25
	s_waitcnt lgkmcnt(5)
	v_mul_f32_e32 v58, v31, v25
	s_delay_alu instid0(VALU_DEP_3) | instskip(SKIP_3) | instid1(VALU_DEP_4)
	v_fma_f32 v1, v26, v22, -v1
	v_dual_mul_f32 v25, v30, v25 :: v_dual_fmac_f32 v56, v27, v24
	v_fmac_f32_e32 v54, v27, v22
	v_fma_f32 v26, v26, v24, -v55
	v_add_f32_e32 v1, v20, v1
	v_mul_f32_e32 v57, v31, v23
	s_delay_alu instid0(VALU_DEP_4) | instskip(SKIP_2) | instid1(VALU_DEP_4)
	v_dual_mul_f32 v23, v30, v23 :: v_dual_add_f32 v20, v21, v54
	v_fmac_f32_e32 v25, v31, v24
	v_dual_add_f32 v21, v18, v26 :: v_dual_add_f32 v26, v19, v56
	v_fma_f32 v27, v30, v22, -v57
	s_delay_alu instid0(VALU_DEP_4) | instskip(SKIP_3) | instid1(VALU_DEP_2)
	v_fmac_f32_e32 v23, v31, v22
	v_fma_f32 v22, v30, v24, -v58
	s_waitcnt lgkmcnt(1)
	v_mul_f32_e32 v30, v29, v47
	v_dual_add_f32 v27, v16, v27 :: v_dual_add_f32 v14, v14, v22
	v_dual_mul_f32 v22, v28, v47 :: v_dual_add_f32 v15, v15, v25
	v_mul_f32_e32 v25, v28, v49
	s_delay_alu instid0(VALU_DEP_4) | instskip(NEXT) | instid1(VALU_DEP_3)
	v_fma_f32 v24, v28, v46, -v30
	v_fmac_f32_e32 v22, v29, v46
	v_add_f32_e32 v23, v17, v23
	ds_load_2addr_b64 v[16:19], v12 offset0:64 offset1:80
	v_mul_f32_e32 v30, v29, v49
	v_fmac_f32_e32 v25, v29, v48
	v_add_f32_e32 v1, v1, v24
	s_delay_alu instid0(VALU_DEP_2) | instskip(SKIP_1) | instid1(VALU_DEP_1)
	v_add_f32_e32 v25, v26, v25
	v_mul_f32_e32 v26, v32, v49
	v_fmac_f32_e32 v26, v33, v48
	s_waitcnt lgkmcnt(0)
	s_delay_alu instid0(VALU_DEP_1) | instskip(SKIP_1) | instid1(VALU_DEP_2)
	v_dual_add_f32 v26, v15, v26 :: v_dual_mul_f32 v29, v34, v17
	v_mul_f32_e32 v15, v34, v19
	v_fmac_f32_e32 v29, v35, v16
	v_fma_f32 v24, v28, v48, -v30
	v_mul_f32_e32 v28, v33, v47
	v_add_f32_e32 v30, v20, v22
	v_mul_f32_e32 v20, v32, v47
	v_mul_f32_e32 v22, v33, v49
	v_add_f32_e32 v24, v21, v24
	v_fma_f32 v21, v32, v46, -v28
	s_delay_alu instid0(VALU_DEP_4) | instskip(SKIP_1) | instid1(VALU_DEP_3)
	v_dual_add_f32 v29, v30, v29 :: v_dual_fmac_f32 v20, v33, v46
	v_fmac_f32_e32 v15, v35, v18
	v_add_f32_e32 v27, v27, v21
	v_fma_f32 v21, v32, v48, -v22
	v_mul_f32_e32 v22, v35, v17
	v_mul_f32_e32 v32, v35, v19
	v_add_f32_e32 v28, v23, v20
	s_delay_alu instid0(VALU_DEP_4) | instskip(NEXT) | instid1(VALU_DEP_4)
	v_add_f32_e32 v14, v14, v21
	v_fma_f32 v31, v34, v16, -v22
	ds_load_2addr_b64 v[20:23], v12 offset0:96 offset1:112
	v_add_f32_e32 v1, v1, v31
	v_fma_f32 v31, v34, v18, -v32
	s_delay_alu instid0(VALU_DEP_1) | instskip(SKIP_3) | instid1(VALU_DEP_3)
	v_add_f32_e32 v24, v24, v31
	v_mul_f32_e32 v31, v51, v19
	v_mul_f32_e32 v19, v50, v19
	v_add_f32_e32 v32, v25, v15
	v_fma_f32 v15, v50, v18, -v31
	s_delay_alu instid0(VALU_DEP_3)
	v_fmac_f32_e32 v19, v51, v18
	v_mul_f32_e32 v30, v51, v17
	v_mul_f32_e32 v17, v50, v17
	s_waitcnt lgkmcnt(0)
	v_dual_mul_f32 v18, v37, v21 :: v_dual_add_f32 v31, v14, v15
	v_add_f32_e32 v33, v26, v19
	v_fma_f32 v30, v50, v16, -v30
	v_fmac_f32_e32 v17, v51, v16
	s_delay_alu instid0(VALU_DEP_4) | instskip(SKIP_1) | instid1(VALU_DEP_4)
	v_fma_f32 v18, v36, v20, -v18
	v_mul_f32_e32 v25, v36, v21
	v_dual_mul_f32 v19, v36, v23 :: v_dual_add_f32 v30, v27, v30
	s_delay_alu instid0(VALU_DEP_4) | instskip(SKIP_4) | instid1(VALU_DEP_2)
	v_add_f32_e32 v28, v28, v17
	ds_load_2addr_b64 v[14:17], v12 offset0:128 offset1:144
	v_add_f32_e32 v1, v1, v18
	v_mul_f32_e32 v18, v53, v21
	v_fmac_f32_e32 v19, v37, v22
	v_fma_f32 v18, v52, v20, -v18
	v_mul_f32_e32 v27, v37, v23
	s_delay_alu instid0(VALU_DEP_1) | instskip(NEXT) | instid1(VALU_DEP_3)
	v_fma_f32 v26, v36, v22, -v27
	v_add_f32_e32 v36, v30, v18
	s_waitcnt lgkmcnt(0)
	s_delay_alu instid0(VALU_DEP_2) | instskip(SKIP_2) | instid1(VALU_DEP_3)
	v_dual_add_f32 v35, v24, v26 :: v_dual_mul_f32 v46, v38, v15
	v_dual_fmac_f32 v25, v37, v20 :: v_dual_add_f32 v32, v32, v19
	v_mul_f32_e32 v18, v39, v15
	v_fmac_f32_e32 v46, v39, v14
	s_delay_alu instid0(VALU_DEP_3)
	v_add_f32_e32 v34, v29, v25
	v_mul_f32_e32 v29, v53, v23
	v_mul_f32_e32 v23, v52, v23
	ds_load_b128 v[24:27], v13 offset:1056
	v_add_f32_e32 v34, v34, v46
	v_fma_f32 v19, v52, v22, -v29
	v_mul_f32_e32 v21, v52, v21
	v_fmac_f32_e32 v23, v53, v22
	v_mul_f32_e32 v29, v39, v17
	s_delay_alu instid0(VALU_DEP_3) | instskip(NEXT) | instid1(VALU_DEP_3)
	v_dual_add_f32 v22, v31, v19 :: v_dual_fmac_f32 v21, v53, v20
	v_add_f32_e32 v23, v33, v23
	s_delay_alu instid0(VALU_DEP_2) | instskip(SKIP_4) | instid1(VALU_DEP_2)
	v_add_f32_e32 v37, v28, v21
	v_fma_f32 v28, v38, v14, -v18
	ds_load_2addr_b64 v[18:21], v12 offset0:160 offset1:176
	v_mul_f32_e32 v33, v38, v17
	v_fma_f32 v38, v38, v16, -v29
	v_fmac_f32_e32 v33, v39, v16
	s_delay_alu instid0(VALU_DEP_1)
	v_dual_add_f32 v35, v35, v38 :: v_dual_add_f32 v32, v32, v33
	v_add_f32_e32 v1, v1, v28
	ds_load_b128 v[28:31], v13 offset:1072
	s_waitcnt lgkmcnt(2)
	v_mul_f32_e32 v47, v25, v15
	v_mul_f32_e32 v15, v24, v15
	;; [unrolled: 1-line block ×4, first 2 shown]
	s_delay_alu instid0(VALU_DEP_4) | instskip(NEXT) | instid1(VALU_DEP_4)
	v_fma_f32 v38, v24, v14, -v47
	v_fmac_f32_e32 v15, v25, v14
	s_delay_alu instid0(VALU_DEP_4)
	v_fma_f32 v14, v24, v16, -v39
	s_waitcnt lgkmcnt(1)
	v_mul_f32_e32 v17, v41, v19
	v_dual_fmac_f32 v33, v25, v16 :: v_dual_add_f32 v36, v36, v38
	v_add_f32_e32 v24, v37, v15
	v_add_f32_e32 v22, v22, v14
	s_delay_alu instid0(VALU_DEP_4) | instskip(SKIP_2) | instid1(VALU_DEP_1)
	v_fma_f32 v37, v40, v18, -v17
	ds_load_2addr_b64 v[14:17], v12 offset0:192 offset1:208
	v_dual_mul_f32 v25, v40, v19 :: v_dual_mul_f32 v38, v41, v21
	v_fmac_f32_e32 v25, v41, v18
	s_delay_alu instid0(VALU_DEP_1) | instskip(SKIP_4) | instid1(VALU_DEP_3)
	v_add_f32_e32 v34, v34, v25
	v_add_f32_e32 v33, v23, v33
	v_mul_f32_e32 v23, v40, v21
	v_mul_f32_e32 v25, v27, v19
	v_mul_f32_e32 v19, v26, v19
	v_fmac_f32_e32 v23, v41, v20
	s_delay_alu instid0(VALU_DEP_3) | instskip(NEXT) | instid1(VALU_DEP_2)
	v_fma_f32 v25, v26, v18, -v25
	v_dual_fmac_f32 v19, v27, v18 :: v_dual_add_f32 v18, v32, v23
	s_waitcnt lgkmcnt(0)
	v_dual_mul_f32 v32, v43, v15 :: v_dual_add_f32 v1, v1, v37
	v_fma_f32 v37, v40, v20, -v38
	s_delay_alu instid0(VALU_DEP_3) | instskip(NEXT) | instid1(VALU_DEP_3)
	v_add_f32_e32 v19, v24, v19
	v_fma_f32 v32, v42, v14, -v32
	s_delay_alu instid0(VALU_DEP_1) | instskip(NEXT) | instid1(VALU_DEP_4)
	v_add_f32_e32 v1, v1, v32
	v_add_f32_e32 v35, v35, v37
	v_mul_f32_e32 v37, v27, v21
	v_dual_mul_f32 v21, v26, v21 :: v_dual_mul_f32 v32, v29, v15
	s_delay_alu instid0(VALU_DEP_2) | instskip(NEXT) | instid1(VALU_DEP_2)
	v_fma_f32 v23, v26, v20, -v37
	v_dual_add_f32 v26, v36, v25 :: v_dual_fmac_f32 v21, v27, v20
	v_mul_f32_e32 v27, v42, v15
	v_mul_f32_e32 v15, v28, v15
	s_delay_alu instid0(VALU_DEP_4)
	v_add_f32_e32 v20, v22, v23
	ds_load_2addr_b64 v[22:25], v12 offset0:224 offset1:240
	v_fma_f32 v32, v28, v14, -v32
	v_dual_fmac_f32 v27, v43, v14 :: v_dual_mul_f32 v36, v42, v17
	v_fmac_f32_e32 v15, v29, v14
	s_waitcnt lgkmcnt(0)
	s_delay_alu instid0(VALU_DEP_3) | instskip(NEXT) | instid1(VALU_DEP_3)
	v_add_f32_e32 v14, v26, v32
	v_dual_add_f32 v27, v34, v27 :: v_dual_fmac_f32 v36, v43, v16
	s_delay_alu instid0(VALU_DEP_3)
	v_dual_mul_f32 v34, v29, v17 :: v_dual_add_f32 v15, v19, v15
	s_barrier
	buffer_gl0_inv
	v_mul_f32_e32 v26, v45, v23
	v_add_f32_e32 v21, v33, v21
	v_mul_f32_e32 v33, v43, v17
	v_mul_f32_e32 v17, v28, v17
	;; [unrolled: 1-line block ×3, first 2 shown]
	s_delay_alu instid0(VALU_DEP_3) | instskip(NEXT) | instid1(VALU_DEP_3)
	v_fma_f32 v33, v42, v16, -v33
	v_fmac_f32_e32 v17, v29, v16
	s_delay_alu instid0(VALU_DEP_3) | instskip(NEXT) | instid1(VALU_DEP_3)
	v_fmac_f32_e32 v19, v45, v24
	v_add_f32_e32 v33, v35, v33
	v_add_f32_e32 v35, v18, v36
	v_fma_f32 v18, v28, v16, -v34
	v_fma_f32 v16, v44, v22, -v26
	v_mul_f32_e32 v28, v44, v23
	v_dual_add_f32 v26, v21, v17 :: v_dual_mul_f32 v17, v30, v23
	s_delay_alu instid0(VALU_DEP_4) | instskip(NEXT) | instid1(VALU_DEP_4)
	v_dual_add_f32 v29, v20, v18 :: v_dual_mul_f32 v18, v45, v25
	v_add_f32_e32 v20, v1, v16
	v_mul_f32_e32 v16, v31, v23
	v_mul_f32_e32 v23, v31, v25
	;; [unrolled: 1-line block ×3, first 2 shown]
	v_fma_f32 v1, v44, v24, -v18
	v_fmac_f32_e32 v28, v45, v22
	v_fmac_f32_e32 v17, v31, v22
	v_add_f32_e32 v19, v35, v19
	s_delay_alu instid0(VALU_DEP_4)
	v_dual_fmac_f32 v25, v31, v24 :: v_dual_add_f32 v18, v33, v1
	v_fma_f32 v1, v30, v22, -v16
	v_fma_f32 v22, v30, v24, -v23
	v_add_f32_e32 v21, v27, v28
	v_add_f32_e32 v17, v15, v17
	;; [unrolled: 1-line block ×5, first 2 shown]
	s_cbranch_vccnz .LBB1608_11
.LBB1608_3:                             ; =>This Inner Loop Header: Depth=1
	v_add_co_u32 v22, s8, v9, s2
	s_delay_alu instid0(VALU_DEP_1) | instskip(NEXT) | instid1(VALU_DEP_1)
	v_add_co_ci_u32_e64 v23, null, 0, s3, s8
	v_cmp_le_i64_e32 vcc_lo, s[4:5], v[22:23]
	s_or_b32 s8, s1, vcc_lo
	s_delay_alu instid0(SALU_CYCLE_1) | instskip(NEXT) | instid1(SALU_CYCLE_1)
	s_and_saveexec_b32 s9, s8
	s_xor_b32 s8, exec_lo, s9
	s_cbranch_execz .LBB1608_5
; %bb.4:                                ;   in Loop: Header=BB1608_3 Depth=1
	v_mov_b32_e32 v1, v0
	ds_store_b64 v10, v[0:1]
.LBB1608_5:                             ;   in Loop: Header=BB1608_3 Depth=1
	s_and_not1_saveexec_b32 s8, s8
	s_cbranch_execz .LBB1608_7
; %bb.6:                                ;   in Loop: Header=BB1608_3 Depth=1
	global_load_b64 v[22:23], v[2:3], off
	s_waitcnt vmcnt(0)
	ds_store_b64 v10, v[22:23]
.LBB1608_7:                             ;   in Loop: Header=BB1608_3 Depth=1
	s_or_b32 exec_lo, exec_lo, s8
	v_add_co_u32 v22, s8, v8, s2
	s_delay_alu instid0(VALU_DEP_1) | instskip(NEXT) | instid1(VALU_DEP_1)
	v_add_co_ci_u32_e64 v23, null, 0, s3, s8
	v_cmp_le_i64_e32 vcc_lo, s[4:5], v[22:23]
	s_or_b32 s8, vcc_lo, s0
	s_delay_alu instid0(SALU_CYCLE_1) | instskip(NEXT) | instid1(SALU_CYCLE_1)
	s_and_saveexec_b32 s9, s8
	s_xor_b32 s8, exec_lo, s9
	s_cbranch_execz .LBB1608_9
; %bb.8:                                ;   in Loop: Header=BB1608_3 Depth=1
	v_mov_b32_e32 v1, v0
	ds_store_b64 v11, v[0:1]
.LBB1608_9:                             ;   in Loop: Header=BB1608_3 Depth=1
	s_and_not1_saveexec_b32 s8, s8
	s_cbranch_execz .LBB1608_2
; %bb.10:                               ;   in Loop: Header=BB1608_3 Depth=1
	global_load_b64 v[22:23], v[4:5], off
	s_waitcnt vmcnt(0)
	ds_store_b64 v11, v[22:23]
	s_branch .LBB1608_2
.LBB1608_11:
	v_add_nc_u32_e32 v4, s14, v7
	s_delay_alu instid0(VALU_DEP_1) | instskip(SKIP_2) | instid1(VALU_DEP_3)
	v_ashrrev_i32_e32 v0, 31, v4
	v_mul_lo_u32 v3, v4, s21
	v_mad_u64_u32 v[1:2], null, v4, s20, 0
	v_mul_lo_u32 v0, v0, s20
	s_delay_alu instid0(VALU_DEP_1) | instskip(SKIP_1) | instid1(VALU_DEP_2)
	v_add3_u32 v2, v2, v3, v0
	v_add_nc_u32_e32 v0, s13, v6
	v_lshlrev_b64 v[1:2], 3, v[1:2]
	s_delay_alu instid0(VALU_DEP_2) | instskip(SKIP_2) | instid1(VALU_DEP_3)
	v_cmp_le_i32_e64 s0, v4, v0
	s_waitcnt lgkmcnt(0)
	v_cmp_gt_i32_e32 vcc_lo, s12, v0
	v_add_co_u32 v5, s1, s18, v1
	s_delay_alu instid0(VALU_DEP_1) | instskip(SKIP_1) | instid1(SALU_CYCLE_1)
	v_add_co_ci_u32_e64 v6, s1, s19, v2, s1
	s_and_b32 s0, s0, vcc_lo
	s_and_saveexec_b32 s1, s0
	s_cbranch_execz .LBB1608_13
; %bb.12:
	v_ashrrev_i32_e32 v1, 31, v0
	s_delay_alu instid0(VALU_DEP_1) | instskip(NEXT) | instid1(VALU_DEP_1)
	v_lshlrev_b64 v[1:2], 3, v[0:1]
	v_add_co_u32 v1, s0, v5, v1
	s_delay_alu instid0(VALU_DEP_1)
	v_add_co_ci_u32_e64 v2, s0, v6, v2, s0
	global_load_b64 v[7:8], v[1:2], off
	v_mul_f32_e32 v3, s7, v21
	s_waitcnt vmcnt(0)
	v_dual_mul_f32 v9, s6, v21 :: v_dual_mul_f32 v10, s17, v8
	v_mul_f32_e32 v8, s16, v8
	s_delay_alu instid0(VALU_DEP_3) | instskip(NEXT) | instid1(VALU_DEP_3)
	v_fma_f32 v3, v20, s6, -v3
	v_fmac_f32_e32 v9, s7, v20
	s_delay_alu instid0(VALU_DEP_4) | instskip(NEXT) | instid1(VALU_DEP_1)
	v_fma_f32 v10, v7, s16, -v10
	v_dual_fmac_f32 v8, s17, v7 :: v_dual_add_f32 v7, v3, v10
	s_delay_alu instid0(VALU_DEP_1)
	v_add_f32_e32 v8, v9, v8
	global_store_b64 v[1:2], v[7:8], off
.LBB1608_13:
	s_or_b32 exec_lo, exec_lo, s1
	v_add_nc_u32_e32 v2, 16, v0
	s_delay_alu instid0(VALU_DEP_1) | instskip(SKIP_1) | instid1(VALU_DEP_1)
	v_cmp_le_i32_e64 s1, v4, v2
	v_cmp_gt_i32_e64 s0, s12, v2
	s_and_b32 s1, s1, s0
	s_delay_alu instid0(SALU_CYCLE_1)
	s_and_saveexec_b32 s2, s1
	s_cbranch_execz .LBB1608_15
; %bb.14:
	v_ashrrev_i32_e32 v3, 31, v2
	s_delay_alu instid0(VALU_DEP_1) | instskip(SKIP_1) | instid1(VALU_DEP_1)
	v_lshlrev_b64 v[7:8], 3, v[2:3]
	v_mul_f32_e32 v3, s6, v19
	v_fmac_f32_e32 v3, s7, v18
	s_delay_alu instid0(VALU_DEP_3) | instskip(NEXT) | instid1(VALU_DEP_1)
	v_add_co_u32 v5, s1, v5, v7
	v_add_co_ci_u32_e64 v6, s1, v6, v8, s1
	global_load_b64 v[7:8], v[5:6], off
	v_mul_f32_e32 v1, s7, v19
	s_waitcnt vmcnt(0)
	v_mul_f32_e32 v9, s17, v8
	v_mul_f32_e32 v8, s16, v8
	s_delay_alu instid0(VALU_DEP_3) | instskip(NEXT) | instid1(VALU_DEP_2)
	v_fma_f32 v1, v18, s6, -v1
	v_fmac_f32_e32 v8, s17, v7
	s_delay_alu instid0(VALU_DEP_4) | instskip(NEXT) | instid1(VALU_DEP_1)
	v_fma_f32 v9, v7, s16, -v9
	v_dual_add_f32 v8, v3, v8 :: v_dual_add_f32 v7, v1, v9
	global_store_b64 v[5:6], v[7:8], off
.LBB1608_15:
	s_or_b32 exec_lo, exec_lo, s2
	v_add_nc_u32_e32 v3, 16, v4
	s_delay_alu instid0(VALU_DEP_1) | instskip(SKIP_3) | instid1(VALU_DEP_4)
	v_ashrrev_i32_e32 v1, 31, v3
	v_mul_lo_u32 v6, v3, s21
	v_mad_u64_u32 v[4:5], null, v3, s20, 0
	v_cmp_le_i32_e64 s1, v3, v0
	v_mul_lo_u32 v1, v1, s20
	s_delay_alu instid0(VALU_DEP_1) | instskip(NEXT) | instid1(VALU_DEP_1)
	v_add3_u32 v5, v5, v6, v1
	v_lshlrev_b64 v[4:5], 3, v[4:5]
	s_delay_alu instid0(VALU_DEP_1) | instskip(NEXT) | instid1(VALU_DEP_1)
	v_add_co_u32 v4, s2, s18, v4
	v_add_co_ci_u32_e64 v5, s2, s19, v5, s2
	s_and_b32 s2, s1, vcc_lo
	s_delay_alu instid0(SALU_CYCLE_1)
	s_and_saveexec_b32 s1, s2
	s_cbranch_execz .LBB1608_17
; %bb.16:
	v_ashrrev_i32_e32 v1, 31, v0
	s_delay_alu instid0(VALU_DEP_1) | instskip(NEXT) | instid1(VALU_DEP_1)
	v_lshlrev_b64 v[0:1], 3, v[0:1]
	v_add_co_u32 v0, vcc_lo, v4, v0
	s_delay_alu instid0(VALU_DEP_2)
	v_add_co_ci_u32_e32 v1, vcc_lo, v5, v1, vcc_lo
	global_load_b64 v[6:7], v[0:1], off
	v_mul_f32_e32 v8, s7, v17
	s_waitcnt vmcnt(0)
	v_dual_mul_f32 v9, s6, v17 :: v_dual_mul_f32 v10, s17, v7
	v_mul_f32_e32 v7, s16, v7
	s_delay_alu instid0(VALU_DEP_3) | instskip(NEXT) | instid1(VALU_DEP_3)
	v_fma_f32 v8, v16, s6, -v8
	v_fma_f32 v10, v6, s16, -v10
	s_delay_alu instid0(VALU_DEP_4) | instskip(NEXT) | instid1(VALU_DEP_4)
	v_fmac_f32_e32 v9, s7, v16
	v_fmac_f32_e32 v7, s17, v6
	s_delay_alu instid0(VALU_DEP_1)
	v_dual_add_f32 v6, v8, v10 :: v_dual_add_f32 v7, v9, v7
	global_store_b64 v[0:1], v[6:7], off
.LBB1608_17:
	s_or_b32 exec_lo, exec_lo, s1
	v_cmp_le_i32_e32 vcc_lo, v3, v2
	s_and_b32 s0, vcc_lo, s0
	s_delay_alu instid0(SALU_CYCLE_1)
	s_and_saveexec_b32 s1, s0
	s_cbranch_execz .LBB1608_19
; %bb.18:
	v_ashrrev_i32_e32 v3, 31, v2
	s_delay_alu instid0(VALU_DEP_1) | instskip(NEXT) | instid1(VALU_DEP_1)
	v_lshlrev_b64 v[0:1], 3, v[2:3]
	v_add_co_u32 v0, vcc_lo, v4, v0
	s_delay_alu instid0(VALU_DEP_2) | instskip(SKIP_4) | instid1(VALU_DEP_1)
	v_add_co_ci_u32_e32 v1, vcc_lo, v5, v1, vcc_lo
	global_load_b64 v[2:3], v[0:1], off
	s_waitcnt vmcnt(0)
	v_mul_f32_e32 v6, s17, v3
	v_mul_f32_e32 v3, s16, v3
	v_fmac_f32_e32 v3, s17, v2
	s_delay_alu instid0(VALU_DEP_3) | instskip(SKIP_1) | instid1(VALU_DEP_1)
	v_fma_f32 v6, v2, s16, -v6
	v_mul_f32_e32 v5, s6, v15
	v_dual_mul_f32 v4, s7, v15 :: v_dual_fmac_f32 v5, s7, v14
	s_delay_alu instid0(VALU_DEP_1) | instskip(NEXT) | instid1(VALU_DEP_1)
	v_fma_f32 v4, v14, s6, -v4
	v_dual_add_f32 v3, v5, v3 :: v_dual_add_f32 v2, v4, v6
	global_store_b64 v[0:1], v[2:3], off
.LBB1608_19:
	s_nop 0
	s_sendmsg sendmsg(MSG_DEALLOC_VGPRS)
	s_endpgm
	.section	.rodata,"a",@progbits
	.p2align	6, 0x0
	.amdhsa_kernel _ZL34rocblas_syrkx_herkx_general_kernelIl19rocblas_complex_numIfELi16ELi32ELi8ELb0ELb0ELc84ELc76EKPKS1_KPS1_EviT_T0_PT8_S7_lSA_S7_lS8_PT9_S7_li
		.amdhsa_group_segment_fixed_size 4096
		.amdhsa_private_segment_fixed_size 0
		.amdhsa_kernarg_size 108
		.amdhsa_user_sgpr_count 13
		.amdhsa_user_sgpr_dispatch_ptr 0
		.amdhsa_user_sgpr_queue_ptr 0
		.amdhsa_user_sgpr_kernarg_segment_ptr 1
		.amdhsa_user_sgpr_dispatch_id 0
		.amdhsa_user_sgpr_private_segment_size 0
		.amdhsa_wavefront_size32 1
		.amdhsa_uses_dynamic_stack 0
		.amdhsa_enable_private_segment 0
		.amdhsa_system_sgpr_workgroup_id_x 1
		.amdhsa_system_sgpr_workgroup_id_y 1
		.amdhsa_system_sgpr_workgroup_id_z 1
		.amdhsa_system_sgpr_workgroup_info 0
		.amdhsa_system_vgpr_workitem_id 1
		.amdhsa_next_free_vgpr 59
		.amdhsa_next_free_sgpr 24
		.amdhsa_reserve_vcc 1
		.amdhsa_float_round_mode_32 0
		.amdhsa_float_round_mode_16_64 0
		.amdhsa_float_denorm_mode_32 3
		.amdhsa_float_denorm_mode_16_64 3
		.amdhsa_dx10_clamp 1
		.amdhsa_ieee_mode 1
		.amdhsa_fp16_overflow 0
		.amdhsa_workgroup_processor_mode 1
		.amdhsa_memory_ordered 1
		.amdhsa_forward_progress 0
		.amdhsa_shared_vgpr_count 0
		.amdhsa_exception_fp_ieee_invalid_op 0
		.amdhsa_exception_fp_denorm_src 0
		.amdhsa_exception_fp_ieee_div_zero 0
		.amdhsa_exception_fp_ieee_overflow 0
		.amdhsa_exception_fp_ieee_underflow 0
		.amdhsa_exception_fp_ieee_inexact 0
		.amdhsa_exception_int_div_zero 0
	.end_amdhsa_kernel
	.section	.text._ZL34rocblas_syrkx_herkx_general_kernelIl19rocblas_complex_numIfELi16ELi32ELi8ELb0ELb0ELc84ELc76EKPKS1_KPS1_EviT_T0_PT8_S7_lSA_S7_lS8_PT9_S7_li,"axG",@progbits,_ZL34rocblas_syrkx_herkx_general_kernelIl19rocblas_complex_numIfELi16ELi32ELi8ELb0ELb0ELc84ELc76EKPKS1_KPS1_EviT_T0_PT8_S7_lSA_S7_lS8_PT9_S7_li,comdat
.Lfunc_end1608:
	.size	_ZL34rocblas_syrkx_herkx_general_kernelIl19rocblas_complex_numIfELi16ELi32ELi8ELb0ELb0ELc84ELc76EKPKS1_KPS1_EviT_T0_PT8_S7_lSA_S7_lS8_PT9_S7_li, .Lfunc_end1608-_ZL34rocblas_syrkx_herkx_general_kernelIl19rocblas_complex_numIfELi16ELi32ELi8ELb0ELb0ELc84ELc76EKPKS1_KPS1_EviT_T0_PT8_S7_lSA_S7_lS8_PT9_S7_li
                                        ; -- End function
	.section	.AMDGPU.csdata,"",@progbits
; Kernel info:
; codeLenInByte = 2720
; NumSgprs: 26
; NumVgprs: 59
; ScratchSize: 0
; MemoryBound: 1
; FloatMode: 240
; IeeeMode: 1
; LDSByteSize: 4096 bytes/workgroup (compile time only)
; SGPRBlocks: 3
; VGPRBlocks: 7
; NumSGPRsForWavesPerEU: 26
; NumVGPRsForWavesPerEU: 59
; Occupancy: 16
; WaveLimiterHint : 1
; COMPUTE_PGM_RSRC2:SCRATCH_EN: 0
; COMPUTE_PGM_RSRC2:USER_SGPR: 13
; COMPUTE_PGM_RSRC2:TRAP_HANDLER: 0
; COMPUTE_PGM_RSRC2:TGID_X_EN: 1
; COMPUTE_PGM_RSRC2:TGID_Y_EN: 1
; COMPUTE_PGM_RSRC2:TGID_Z_EN: 1
; COMPUTE_PGM_RSRC2:TIDIG_COMP_CNT: 1
	.section	.text._ZL34rocblas_syrkx_herkx_general_kernelIl19rocblas_complex_numIfELi16ELi32ELi8ELb0ELb0ELc67ELc76EKPKS1_KPS1_EviT_T0_PT8_S7_lSA_S7_lS8_PT9_S7_li,"axG",@progbits,_ZL34rocblas_syrkx_herkx_general_kernelIl19rocblas_complex_numIfELi16ELi32ELi8ELb0ELb0ELc67ELc76EKPKS1_KPS1_EviT_T0_PT8_S7_lSA_S7_lS8_PT9_S7_li,comdat
	.globl	_ZL34rocblas_syrkx_herkx_general_kernelIl19rocblas_complex_numIfELi16ELi32ELi8ELb0ELb0ELc67ELc76EKPKS1_KPS1_EviT_T0_PT8_S7_lSA_S7_lS8_PT9_S7_li ; -- Begin function _ZL34rocblas_syrkx_herkx_general_kernelIl19rocblas_complex_numIfELi16ELi32ELi8ELb0ELb0ELc67ELc76EKPKS1_KPS1_EviT_T0_PT8_S7_lSA_S7_lS8_PT9_S7_li
	.p2align	8
	.type	_ZL34rocblas_syrkx_herkx_general_kernelIl19rocblas_complex_numIfELi16ELi32ELi8ELb0ELb0ELc67ELc76EKPKS1_KPS1_EviT_T0_PT8_S7_lSA_S7_lS8_PT9_S7_li,@function
_ZL34rocblas_syrkx_herkx_general_kernelIl19rocblas_complex_numIfELi16ELi32ELi8ELb0ELb0ELc67ELc76EKPKS1_KPS1_EviT_T0_PT8_S7_lSA_S7_lS8_PT9_S7_li: ; @_ZL34rocblas_syrkx_herkx_general_kernelIl19rocblas_complex_numIfELi16ELi32ELi8ELb0ELb0ELc67ELc76EKPKS1_KPS1_EviT_T0_PT8_S7_lSA_S7_lS8_PT9_S7_li
; %bb.0:
	s_clause 0x1
	s_load_b128 s[16:19], s[0:1], 0x48
	s_load_b256 s[4:11], s[0:1], 0x8
	s_mov_b32 s2, s15
	s_mov_b32 s3, 0
	s_load_b64 s[20:21], s[0:1], 0x58
	s_lshl_b64 s[22:23], s[2:3], 3
	v_dual_mov_b32 v23, 0 :: v_dual_and_b32 v8, 0x3ff, v0
	v_bfe_u32 v9, v0, 10, 10
	v_dual_mov_b32 v22, 0 :: v_dual_mov_b32 v21, 0
	v_dual_mov_b32 v20, 0 :: v_dual_mov_b32 v19, 0
	;; [unrolled: 1-line block ×3, first 2 shown]
	v_mov_b32_e32 v16, 0
	s_waitcnt lgkmcnt(0)
	s_add_u32 s2, s18, s22
	s_addc_u32 s3, s19, s23
	s_load_b32 s12, s[0:1], 0x0
	s_load_b64 s[18:19], s[2:3], 0x0
	v_cmp_lt_i64_e64 s2, s[4:5], 1
	s_lshl_b32 s13, s13, 5
	s_lshl_b32 s14, s14, 5
	s_delay_alu instid0(VALU_DEP_1)
	s_and_b32 vcc_lo, exec_lo, s2
	s_cbranch_vccnz .LBB1609_9
; %bb.1:
	s_load_b128 s[0:3], s[0:1], 0x30
	v_lshl_add_u32 v1, v9, 4, v8
	v_and_b32_e32 v10, 7, v8
	v_dual_mov_b32 v0, 0 :: v_dual_lshlrev_b32 v11, 3, v8
	s_delay_alu instid0(VALU_DEP_3) | instskip(SKIP_1) | instid1(VALU_DEP_4)
	v_dual_mov_b32 v23, 0 :: v_dual_and_b32 v2, 31, v1
	v_lshrrev_b32_e32 v3, 3, v1
	v_lshlrev_b32_e32 v6, 3, v10
	v_lshrrev_b32_e32 v13, 5, v1
	s_delay_alu instid0(VALU_DEP_4) | instskip(NEXT) | instid1(VALU_DEP_4)
	v_dual_mov_b32 v21, 0 :: v_dual_add_nc_u32 v4, s13, v2
	v_add_nc_u32_e32 v5, s14, v3
	v_or_b32_e32 v7, s13, v2
	v_lshlrev_b32_e32 v14, 3, v2
	v_lshl_add_u32 v12, v9, 6, 0x800
	v_ashrrev_i32_e32 v16, 31, v4
	v_mul_lo_u32 v17, s11, v4
	v_mad_u64_u32 v[1:2], null, s10, v4, 0
	s_waitcnt lgkmcnt(0)
	s_add_u32 s24, s0, s22
	v_mul_lo_u32 v4, s10, v16
	s_addc_u32 s25, s1, s23
	s_add_u32 s0, s8, s22
	s_addc_u32 s1, s9, s23
	v_ashrrev_i32_e32 v15, 31, v5
	v_lshl_or_b32 v16, v3, 6, v6
	s_load_b64 s[8:9], s[0:1], 0x0
	v_cmp_gt_i32_e64 s0, s12, v7
	v_add3_u32 v2, v2, v4, v17
	v_mul_lo_u32 v18, s2, v15
	v_dual_mov_b32 v20, 0 :: v_dual_add_nc_u32 v15, 0x800, v16
	v_mov_b32_e32 v16, 0
	v_mul_lo_u32 v19, s3, v5
	v_mad_u64_u32 v[3:4], null, s2, v5, 0
	v_lshlrev_b64 v[1:2], 3, v[1:2]
	s_load_b64 s[2:3], s[24:25], 0x0
	v_lshlrev_b32_e32 v17, 3, v13
	v_cmp_gt_i32_e32 vcc_lo, s12, v5
	v_lshl_or_b32 v14, v13, 8, v14
	v_mov_b32_e32 v22, 0
	v_add3_u32 v4, v4, v18, v19
	v_mov_b32_e32 v18, 0
	v_add_co_u32 v5, s1, v1, v17
	s_delay_alu instid0(VALU_DEP_1) | instskip(NEXT) | instid1(VALU_DEP_4)
	v_add_co_ci_u32_e64 v7, s1, 0, v2, s1
	v_lshlrev_b64 v[1:2], 3, v[3:4]
	s_waitcnt lgkmcnt(0)
	s_delay_alu instid0(VALU_DEP_3) | instskip(NEXT) | instid1(VALU_DEP_1)
	v_add_co_u32 v3, s1, v5, s8
	v_add_co_ci_u32_e64 v4, s1, s9, v7, s1
	v_mov_b32_e32 v17, 0
	s_delay_alu instid0(VALU_DEP_4) | instskip(NEXT) | instid1(VALU_DEP_1)
	v_add_co_u32 v1, s1, v1, v6
	v_add_co_ci_u32_e64 v5, s1, 0, v2, s1
	v_add_co_u32 v2, s1, v3, 4
	s_delay_alu instid0(VALU_DEP_1) | instskip(NEXT) | instid1(VALU_DEP_4)
	v_add_co_ci_u32_e64 v3, s1, 0, v4, s1
	v_add_co_u32 v4, s1, s2, v1
	s_delay_alu instid0(VALU_DEP_1)
	v_add_co_ci_u32_e64 v5, s1, s3, v5, s1
	v_mov_b32_e32 v19, 0
	s_mov_b64 s[2:3], 0
	s_xor_b32 s1, vcc_lo, -1
	s_branch .LBB1609_3
.LBB1609_2:                             ;   in Loop: Header=BB1609_3 Depth=1
	s_or_b32 exec_lo, exec_lo, s8
	s_waitcnt lgkmcnt(0)
	s_barrier
	buffer_gl0_inv
	ds_load_2addr_b64 v[24:27], v11 offset1:16
	ds_load_b128 v[28:31], v12
	ds_load_b128 v[32:35], v12 offset:1024
	ds_load_b128 v[36:39], v12 offset:16
	;; [unrolled: 1-line block ×4, first 2 shown]
	ds_load_2addr_b64 v[48:51], v11 offset0:32 offset1:48
	ds_load_b128 v[52:55], v12 offset:1040
	s_add_u32 s2, s2, 8
	s_addc_u32 s3, s3, 0
	v_add_co_u32 v2, vcc_lo, v2, 64
	v_cmp_ge_i64_e64 s8, s[2:3], s[4:5]
	v_add_co_ci_u32_e32 v3, vcc_lo, 0, v3, vcc_lo
	v_add_co_u32 v4, vcc_lo, v4, 64
	v_add_co_ci_u32_e32 v5, vcc_lo, 0, v5, vcc_lo
	s_delay_alu instid0(VALU_DEP_4)
	s_and_b32 vcc_lo, exec_lo, s8
	s_waitcnt lgkmcnt(6)
	v_dual_mul_f32 v1, v29, v25 :: v_dual_mul_f32 v56, v28, v27
	v_dual_mul_f32 v6, v28, v25 :: v_dual_mul_f32 v7, v29, v27
	s_waitcnt lgkmcnt(5)
	v_mul_f32_e32 v58, v33, v27
	s_delay_alu instid0(VALU_DEP_3) | instskip(SKIP_3) | instid1(VALU_DEP_4)
	v_fma_f32 v1, v28, v24, -v1
	v_dual_mul_f32 v27, v32, v27 :: v_dual_fmac_f32 v56, v29, v26
	v_fmac_f32_e32 v6, v29, v24
	v_fma_f32 v7, v28, v26, -v7
	v_add_f32_e32 v1, v22, v1
	v_mul_f32_e32 v57, v33, v25
	s_delay_alu instid0(VALU_DEP_4) | instskip(NEXT) | instid1(VALU_DEP_4)
	v_dual_mul_f32 v25, v32, v25 :: v_dual_add_f32 v6, v23, v6
	v_dual_add_f32 v7, v20, v7 :: v_dual_add_f32 v22, v21, v56
	s_delay_alu instid0(VALU_DEP_3) | instskip(NEXT) | instid1(VALU_DEP_3)
	v_fma_f32 v28, v32, v24, -v57
	v_fmac_f32_e32 v25, v33, v24
	v_fma_f32 v24, v32, v26, -v58
	v_fmac_f32_e32 v27, v33, v26
	s_waitcnt lgkmcnt(1)
	v_dual_add_f32 v23, v18, v28 :: v_dual_mul_f32 v28, v31, v49
	s_delay_alu instid0(VALU_DEP_3)
	v_dual_add_f32 v25, v19, v25 :: v_dual_add_f32 v16, v16, v24
	v_mul_f32_e32 v24, v30, v49
	ds_load_2addr_b64 v[18:21], v11 offset0:64 offset1:80
	v_fma_f32 v26, v30, v48, -v28
	v_mul_f32_e32 v28, v31, v51
	v_dual_add_f32 v17, v17, v27 :: v_dual_fmac_f32 v24, v31, v48
	v_mul_f32_e32 v27, v30, v51
	s_delay_alu instid0(VALU_DEP_4) | instskip(NEXT) | instid1(VALU_DEP_4)
	v_add_f32_e32 v1, v1, v26
	v_fma_f32 v26, v30, v50, -v28
	v_mul_f32_e32 v28, v35, v49
	s_delay_alu instid0(VALU_DEP_4) | instskip(SKIP_1) | instid1(VALU_DEP_1)
	v_dual_add_f32 v6, v6, v24 :: v_dual_fmac_f32 v27, v31, v50
	v_mul_f32_e32 v24, v34, v49
	v_dual_add_f32 v27, v22, v27 :: v_dual_fmac_f32 v24, v35, v48
	v_add_f32_e32 v7, v7, v26
	v_fma_f32 v26, v34, v48, -v28
	v_mul_f32_e32 v29, v34, v51
	s_waitcnt lgkmcnt(0)
	v_mul_f32_e32 v30, v36, v19
	v_mul_f32_e32 v32, v37, v21
	v_add_f32_e32 v26, v23, v26
	v_fmac_f32_e32 v29, v35, v50
	v_mul_f32_e32 v28, v35, v51
	v_fmac_f32_e32 v30, v37, v18
	s_delay_alu instid0(VALU_DEP_3) | instskip(SKIP_1) | instid1(VALU_DEP_4)
	v_add_f32_e32 v29, v17, v29
	v_mul_f32_e32 v17, v36, v21
	v_fma_f32 v22, v34, v50, -v28
	v_mul_f32_e32 v23, v37, v19
	v_add_f32_e32 v28, v25, v24
	v_add_f32_e32 v6, v6, v30
	v_mul_f32_e32 v30, v53, v19
	v_add_f32_e32 v16, v16, v22
	v_fma_f32 v31, v36, v18, -v23
	ds_load_2addr_b64 v[22:25], v11 offset0:96 offset1:112
	v_mul_f32_e32 v19, v52, v19
	v_add_f32_e32 v1, v1, v31
	v_fma_f32 v31, v36, v20, -v32
	s_delay_alu instid0(VALU_DEP_1) | instskip(SKIP_4) | instid1(VALU_DEP_2)
	v_add_f32_e32 v7, v7, v31
	v_mul_f32_e32 v31, v53, v21
	v_mul_f32_e32 v21, v52, v21
	v_fma_f32 v30, v52, v18, -v30
	v_fmac_f32_e32 v17, v37, v20
	v_dual_fmac_f32 v21, v53, v20 :: v_dual_add_f32 v30, v26, v30
	s_delay_alu instid0(VALU_DEP_2)
	v_dual_fmac_f32 v19, v53, v18 :: v_dual_add_f32 v32, v27, v17
	v_fma_f32 v17, v52, v20, -v31
	s_waitcnt lgkmcnt(0)
	v_mul_f32_e32 v26, v38, v23
	v_mul_f32_e32 v20, v39, v23
	v_dual_add_f32 v31, v28, v19 :: v_dual_add_f32 v34, v29, v21
	v_add_f32_e32 v33, v16, v17
	ds_load_2addr_b64 v[16:19], v11 offset0:128 offset1:144
	v_fmac_f32_e32 v26, v39, v22
	v_mul_f32_e32 v27, v39, v25
	v_mul_f32_e32 v21, v38, v25
	;; [unrolled: 1-line block ×4, first 2 shown]
	v_fma_f32 v20, v38, v22, -v20
	v_add_f32_e32 v6, v6, v26
	v_fma_f32 v27, v38, v24, -v27
	s_waitcnt lgkmcnt(0)
	v_dual_fmac_f32 v25, v55, v24 :: v_dual_mul_f32 v38, v40, v17
	s_delay_alu instid0(VALU_DEP_1) | instskip(NEXT) | instid1(VALU_DEP_2)
	v_dual_add_f32 v25, v34, v25 :: v_dual_mul_f32 v34, v40, v19
	v_fmac_f32_e32 v38, v41, v16
	v_fmac_f32_e32 v21, v39, v24
	v_dual_add_f32 v1, v1, v20 :: v_dual_mul_f32 v20, v55, v23
	s_delay_alu instid0(VALU_DEP_4) | instskip(NEXT) | instid1(VALU_DEP_4)
	v_fmac_f32_e32 v34, v41, v18
	v_add_f32_e32 v6, v6, v38
	s_delay_alu instid0(VALU_DEP_4)
	v_add_f32_e32 v36, v32, v21
	v_fma_f32 v21, v54, v24, -v35
	v_add_f32_e32 v7, v7, v27
	ds_load_b128 v[26:29], v12 offset:1056
	v_mul_f32_e32 v23, v54, v23
	v_fma_f32 v20, v54, v22, -v20
	v_add_f32_e32 v24, v33, v21
	v_add_f32_e32 v34, v36, v34
	s_delay_alu instid0(VALU_DEP_4) | instskip(NEXT) | instid1(VALU_DEP_4)
	v_fmac_f32_e32 v23, v55, v22
	v_dual_add_f32 v35, v30, v20 :: v_dual_mul_f32 v20, v41, v17
	s_delay_alu instid0(VALU_DEP_2) | instskip(SKIP_1) | instid1(VALU_DEP_3)
	v_add_f32_e32 v37, v31, v23
	v_mul_f32_e32 v31, v41, v19
	v_fma_f32 v30, v40, v16, -v20
	ds_load_2addr_b64 v[20:23], v11 offset0:160 offset1:176
	v_fma_f32 v39, v40, v18, -v31
	v_add_f32_e32 v1, v1, v30
	ds_load_b128 v[30:33], v12 offset:1072
	s_waitcnt lgkmcnt(2)
	v_mul_f32_e32 v36, v26, v19
	v_mul_f32_e32 v40, v27, v17
	s_delay_alu instid0(VALU_DEP_2) | instskip(NEXT) | instid1(VALU_DEP_2)
	v_dual_fmac_f32 v36, v27, v18 :: v_dual_mul_f32 v17, v26, v17
	v_fma_f32 v38, v26, v16, -v40
	s_delay_alu instid0(VALU_DEP_2)
	v_fmac_f32_e32 v17, v27, v16
	v_add_f32_e32 v7, v7, v39
	v_mul_f32_e32 v39, v27, v19
	s_waitcnt lgkmcnt(1)
	v_mul_f32_e32 v27, v42, v21
	v_mul_f32_e32 v19, v43, v21
	s_delay_alu instid0(VALU_DEP_3) | instskip(NEXT) | instid1(VALU_DEP_1)
	v_fma_f32 v16, v26, v18, -v39
	v_add_f32_e32 v24, v24, v16
	s_delay_alu instid0(VALU_DEP_4) | instskip(SKIP_1) | instid1(VALU_DEP_2)
	v_fmac_f32_e32 v27, v43, v20
	v_add_f32_e32 v36, v25, v36
	v_add_f32_e32 v6, v6, v27
	;; [unrolled: 1-line block ×3, first 2 shown]
	v_fma_f32 v37, v42, v20, -v19
	ds_load_2addr_b64 v[16:19], v11 offset0:192 offset1:208
	v_mul_f32_e32 v25, v42, v23
	v_add_f32_e32 v35, v35, v38
	v_dual_mul_f32 v38, v43, v23 :: v_dual_mul_f32 v27, v29, v21
	v_mul_f32_e32 v21, v28, v21
	s_delay_alu instid0(VALU_DEP_4) | instskip(NEXT) | instid1(VALU_DEP_3)
	v_fmac_f32_e32 v25, v43, v22
	v_fma_f32 v27, v28, v20, -v27
	s_delay_alu instid0(VALU_DEP_2) | instskip(NEXT) | instid1(VALU_DEP_1)
	v_dual_fmac_f32 v21, v29, v20 :: v_dual_add_f32 v20, v34, v25
	v_add_f32_e32 v21, v26, v21
	s_waitcnt lgkmcnt(0)
	v_mul_f32_e32 v34, v45, v17
	v_add_f32_e32 v1, v1, v37
	v_fma_f32 v37, v42, v22, -v38
	s_delay_alu instid0(VALU_DEP_3) | instskip(NEXT) | instid1(VALU_DEP_2)
	v_fma_f32 v34, v44, v16, -v34
	v_add_f32_e32 v7, v7, v37
	v_mul_f32_e32 v37, v29, v23
	v_mul_f32_e32 v23, v28, v23
	s_delay_alu instid0(VALU_DEP_2) | instskip(SKIP_3) | instid1(VALU_DEP_2)
	v_fma_f32 v25, v28, v22, -v37
	v_add_f32_e32 v28, v35, v27
	v_mul_f32_e32 v35, v45, v19
	v_dual_add_f32 v1, v1, v34 :: v_dual_mul_f32 v34, v31, v17
	v_fma_f32 v35, v44, v18, -v35
	s_delay_alu instid0(VALU_DEP_1)
	v_add_f32_e32 v7, v7, v35
	v_dual_fmac_f32 v23, v29, v22 :: v_dual_add_f32 v22, v24, v25
	ds_load_2addr_b64 v[24:27], v11 offset0:224 offset1:240
	s_waitcnt lgkmcnt(0)
	s_barrier
	v_add_f32_e32 v23, v36, v23
	v_mul_f32_e32 v29, v44, v17
	v_dual_mul_f32 v36, v44, v19 :: v_dual_mul_f32 v17, v30, v17
	buffer_gl0_inv
	v_fmac_f32_e32 v29, v45, v16
	v_dual_fmac_f32 v36, v45, v18 :: v_dual_fmac_f32 v17, v31, v16
	s_delay_alu instid0(VALU_DEP_2) | instskip(SKIP_1) | instid1(VALU_DEP_3)
	v_add_f32_e32 v6, v6, v29
	v_fma_f32 v29, v30, v16, -v34
	v_dual_mul_f32 v34, v31, v19 :: v_dual_add_f32 v35, v20, v36
	s_delay_alu instid0(VALU_DEP_2) | instskip(NEXT) | instid1(VALU_DEP_2)
	v_dual_mul_f32 v19, v30, v19 :: v_dual_add_f32 v16, v28, v29
	v_fma_f32 v20, v30, v18, -v34
	v_mul_f32_e32 v28, v47, v25
	v_mul_f32_e32 v29, v46, v25
	s_delay_alu instid0(VALU_DEP_3) | instskip(NEXT) | instid1(VALU_DEP_3)
	v_dual_fmac_f32 v19, v31, v18 :: v_dual_add_f32 v30, v22, v20
	v_fma_f32 v18, v46, v24, -v28
	s_delay_alu instid0(VALU_DEP_3)
	v_fmac_f32_e32 v29, v47, v24
	v_dual_mul_f32 v20, v47, v27 :: v_dual_add_f32 v17, v21, v17
	v_mul_f32_e32 v21, v46, v27
	v_add_f32_e32 v28, v23, v19
	v_add_f32_e32 v22, v1, v18
	v_dual_mul_f32 v18, v33, v27 :: v_dual_add_f32 v23, v6, v29
	v_fma_f32 v1, v46, v26, -v20
	v_mul_f32_e32 v6, v33, v25
	v_mul_f32_e32 v19, v32, v25
	;; [unrolled: 1-line block ×3, first 2 shown]
	v_fmac_f32_e32 v21, v47, v26
	v_add_f32_e32 v20, v7, v1
	v_fma_f32 v1, v32, v24, -v6
	v_fmac_f32_e32 v19, v33, v24
	v_fma_f32 v6, v32, v26, -v18
	v_fmac_f32_e32 v25, v33, v26
	v_add_f32_e32 v21, v35, v21
	s_delay_alu instid0(VALU_DEP_4) | instskip(NEXT) | instid1(VALU_DEP_3)
	v_dual_add_f32 v18, v16, v1 :: v_dual_add_f32 v19, v17, v19
	v_dual_add_f32 v16, v30, v6 :: v_dual_add_f32 v17, v28, v25
	s_cbranch_vccnz .LBB1609_9
.LBB1609_3:                             ; =>This Inner Loop Header: Depth=1
	v_add_co_u32 v6, s8, v13, s2
	s_delay_alu instid0(VALU_DEP_1) | instskip(NEXT) | instid1(VALU_DEP_1)
	v_add_co_ci_u32_e64 v7, null, 0, s3, s8
	v_cmp_gt_i64_e32 vcc_lo, s[4:5], v[6:7]
	v_dual_mov_b32 v6, 0 :: v_dual_mov_b32 v7, 0
	s_and_b32 s9, s0, vcc_lo
	s_delay_alu instid0(SALU_CYCLE_1)
	s_and_saveexec_b32 s8, s9
	s_cbranch_execz .LBB1609_5
; %bb.4:                                ;   in Loop: Header=BB1609_3 Depth=1
	global_load_b64 v[6:7], v[2:3], off offset:-4
.LBB1609_5:                             ;   in Loop: Header=BB1609_3 Depth=1
	s_or_b32 exec_lo, exec_lo, s8
	v_add_co_u32 v24, s8, v10, s2
	s_delay_alu instid0(VALU_DEP_1) | instskip(SKIP_4) | instid1(SALU_CYCLE_1)
	v_add_co_ci_u32_e64 v25, null, 0, s3, s8
	s_waitcnt vmcnt(0)
	ds_store_b64 v14, v[6:7]
	v_cmp_le_i64_e32 vcc_lo, s[4:5], v[24:25]
	s_or_b32 s8, vcc_lo, s1
	s_and_saveexec_b32 s9, s8
	s_delay_alu instid0(SALU_CYCLE_1)
	s_xor_b32 s8, exec_lo, s9
	s_cbranch_execz .LBB1609_7
; %bb.6:                                ;   in Loop: Header=BB1609_3 Depth=1
	v_mov_b32_e32 v1, v0
	ds_store_b64 v15, v[0:1]
.LBB1609_7:                             ;   in Loop: Header=BB1609_3 Depth=1
	s_and_not1_saveexec_b32 s8, s8
	s_cbranch_execz .LBB1609_2
; %bb.8:                                ;   in Loop: Header=BB1609_3 Depth=1
	global_load_b64 v[6:7], v[4:5], off
	s_waitcnt vmcnt(0)
	ds_store_b64 v15, v[6:7]
	s_branch .LBB1609_2
.LBB1609_9:
	v_add_nc_u32_e32 v4, s14, v9
	s_delay_alu instid0(VALU_DEP_1) | instskip(SKIP_2) | instid1(VALU_DEP_3)
	v_ashrrev_i32_e32 v0, 31, v4
	v_mul_lo_u32 v3, v4, s21
	v_mad_u64_u32 v[1:2], null, v4, s20, 0
	v_mul_lo_u32 v0, v0, s20
	s_delay_alu instid0(VALU_DEP_1) | instskip(SKIP_1) | instid1(VALU_DEP_2)
	v_add3_u32 v2, v2, v3, v0
	v_add_nc_u32_e32 v0, s13, v8
	v_lshlrev_b64 v[1:2], 3, v[1:2]
	s_delay_alu instid0(VALU_DEP_2) | instskip(SKIP_2) | instid1(VALU_DEP_3)
	v_cmp_le_i32_e64 s0, v4, v0
	s_waitcnt lgkmcnt(0)
	v_cmp_gt_i32_e32 vcc_lo, s12, v0
	v_add_co_u32 v5, s1, s18, v1
	s_delay_alu instid0(VALU_DEP_1) | instskip(SKIP_1) | instid1(SALU_CYCLE_1)
	v_add_co_ci_u32_e64 v6, s1, s19, v2, s1
	s_and_b32 s0, s0, vcc_lo
	s_and_saveexec_b32 s1, s0
	s_cbranch_execz .LBB1609_11
; %bb.10:
	v_ashrrev_i32_e32 v1, 31, v0
	s_delay_alu instid0(VALU_DEP_1) | instskip(NEXT) | instid1(VALU_DEP_1)
	v_lshlrev_b64 v[1:2], 3, v[0:1]
	v_add_co_u32 v1, s0, v5, v1
	s_delay_alu instid0(VALU_DEP_1)
	v_add_co_ci_u32_e64 v2, s0, v6, v2, s0
	global_load_b64 v[7:8], v[1:2], off
	v_mul_f32_e32 v3, s7, v23
	s_waitcnt vmcnt(0)
	v_dual_mul_f32 v9, s6, v23 :: v_dual_mul_f32 v10, s17, v8
	v_mul_f32_e32 v8, s16, v8
	s_delay_alu instid0(VALU_DEP_3) | instskip(NEXT) | instid1(VALU_DEP_3)
	v_fma_f32 v3, v22, s6, -v3
	v_fmac_f32_e32 v9, s7, v22
	s_delay_alu instid0(VALU_DEP_4) | instskip(NEXT) | instid1(VALU_DEP_1)
	v_fma_f32 v10, v7, s16, -v10
	v_dual_fmac_f32 v8, s17, v7 :: v_dual_add_f32 v7, v3, v10
	s_delay_alu instid0(VALU_DEP_1)
	v_add_f32_e32 v8, v9, v8
	global_store_b64 v[1:2], v[7:8], off
.LBB1609_11:
	s_or_b32 exec_lo, exec_lo, s1
	v_add_nc_u32_e32 v2, 16, v0
	s_delay_alu instid0(VALU_DEP_1) | instskip(SKIP_1) | instid1(VALU_DEP_1)
	v_cmp_le_i32_e64 s1, v4, v2
	v_cmp_gt_i32_e64 s0, s12, v2
	s_and_b32 s1, s1, s0
	s_delay_alu instid0(SALU_CYCLE_1)
	s_and_saveexec_b32 s2, s1
	s_cbranch_execz .LBB1609_13
; %bb.12:
	v_ashrrev_i32_e32 v3, 31, v2
	s_delay_alu instid0(VALU_DEP_1) | instskip(NEXT) | instid1(VALU_DEP_1)
	v_lshlrev_b64 v[7:8], 3, v[2:3]
	v_add_co_u32 v5, s1, v5, v7
	s_delay_alu instid0(VALU_DEP_1)
	v_add_co_ci_u32_e64 v6, s1, v6, v8, s1
	global_load_b64 v[7:8], v[5:6], off
	v_mul_f32_e32 v1, s7, v21
	s_waitcnt vmcnt(0)
	v_mul_f32_e32 v9, s17, v8
	v_dual_mul_f32 v8, s16, v8 :: v_dual_mul_f32 v3, s6, v21
	s_delay_alu instid0(VALU_DEP_3) | instskip(NEXT) | instid1(VALU_DEP_3)
	v_fma_f32 v1, v20, s6, -v1
	v_fma_f32 v9, v7, s16, -v9
	s_delay_alu instid0(VALU_DEP_3) | instskip(NEXT) | instid1(VALU_DEP_1)
	v_dual_fmac_f32 v8, s17, v7 :: v_dual_fmac_f32 v3, s7, v20
	v_dual_add_f32 v7, v1, v9 :: v_dual_add_f32 v8, v3, v8
	global_store_b64 v[5:6], v[7:8], off
.LBB1609_13:
	s_or_b32 exec_lo, exec_lo, s2
	v_add_nc_u32_e32 v3, 16, v4
	s_delay_alu instid0(VALU_DEP_1) | instskip(SKIP_3) | instid1(VALU_DEP_4)
	v_ashrrev_i32_e32 v1, 31, v3
	v_mul_lo_u32 v6, v3, s21
	v_mad_u64_u32 v[4:5], null, v3, s20, 0
	v_cmp_le_i32_e64 s1, v3, v0
	v_mul_lo_u32 v1, v1, s20
	s_delay_alu instid0(VALU_DEP_1) | instskip(NEXT) | instid1(VALU_DEP_1)
	v_add3_u32 v5, v5, v6, v1
	v_lshlrev_b64 v[4:5], 3, v[4:5]
	s_delay_alu instid0(VALU_DEP_1) | instskip(NEXT) | instid1(VALU_DEP_1)
	v_add_co_u32 v4, s2, s18, v4
	v_add_co_ci_u32_e64 v5, s2, s19, v5, s2
	s_and_b32 s2, s1, vcc_lo
	s_delay_alu instid0(SALU_CYCLE_1)
	s_and_saveexec_b32 s1, s2
	s_cbranch_execz .LBB1609_15
; %bb.14:
	v_ashrrev_i32_e32 v1, 31, v0
	s_delay_alu instid0(VALU_DEP_1) | instskip(NEXT) | instid1(VALU_DEP_1)
	v_lshlrev_b64 v[0:1], 3, v[0:1]
	v_add_co_u32 v0, vcc_lo, v4, v0
	s_delay_alu instid0(VALU_DEP_2) | instskip(SKIP_4) | instid1(VALU_DEP_1)
	v_add_co_ci_u32_e32 v1, vcc_lo, v5, v1, vcc_lo
	global_load_b64 v[6:7], v[0:1], off
	s_waitcnt vmcnt(0)
	v_mul_f32_e32 v10, s17, v7
	v_mul_f32_e32 v7, s16, v7
	v_fmac_f32_e32 v7, s17, v6
	s_delay_alu instid0(VALU_DEP_3) | instskip(SKIP_1) | instid1(VALU_DEP_1)
	v_fma_f32 v10, v6, s16, -v10
	v_mul_f32_e32 v9, s6, v19
	v_dual_mul_f32 v8, s7, v19 :: v_dual_fmac_f32 v9, s7, v18
	s_delay_alu instid0(VALU_DEP_1) | instskip(NEXT) | instid1(VALU_DEP_1)
	v_fma_f32 v8, v18, s6, -v8
	v_dual_add_f32 v7, v9, v7 :: v_dual_add_f32 v6, v8, v10
	global_store_b64 v[0:1], v[6:7], off
.LBB1609_15:
	s_or_b32 exec_lo, exec_lo, s1
	v_cmp_le_i32_e32 vcc_lo, v3, v2
	s_and_b32 s0, vcc_lo, s0
	s_delay_alu instid0(SALU_CYCLE_1)
	s_and_saveexec_b32 s1, s0
	s_cbranch_execz .LBB1609_17
; %bb.16:
	v_ashrrev_i32_e32 v3, 31, v2
	s_delay_alu instid0(VALU_DEP_1) | instskip(NEXT) | instid1(VALU_DEP_1)
	v_lshlrev_b64 v[0:1], 3, v[2:3]
	v_add_co_u32 v0, vcc_lo, v4, v0
	s_delay_alu instid0(VALU_DEP_2)
	v_add_co_ci_u32_e32 v1, vcc_lo, v5, v1, vcc_lo
	global_load_b64 v[2:3], v[0:1], off
	v_mul_f32_e32 v4, s7, v17
	s_waitcnt vmcnt(0)
	v_dual_mul_f32 v5, s6, v17 :: v_dual_mul_f32 v6, s17, v3
	v_mul_f32_e32 v3, s16, v3
	s_delay_alu instid0(VALU_DEP_3) | instskip(NEXT) | instid1(VALU_DEP_3)
	v_fma_f32 v4, v16, s6, -v4
	v_fma_f32 v6, v2, s16, -v6
	s_delay_alu instid0(VALU_DEP_4) | instskip(NEXT) | instid1(VALU_DEP_4)
	v_fmac_f32_e32 v5, s7, v16
	v_fmac_f32_e32 v3, s17, v2
	s_delay_alu instid0(VALU_DEP_1)
	v_dual_add_f32 v2, v4, v6 :: v_dual_add_f32 v3, v5, v3
	global_store_b64 v[0:1], v[2:3], off
.LBB1609_17:
	s_nop 0
	s_sendmsg sendmsg(MSG_DEALLOC_VGPRS)
	s_endpgm
	.section	.rodata,"a",@progbits
	.p2align	6, 0x0
	.amdhsa_kernel _ZL34rocblas_syrkx_herkx_general_kernelIl19rocblas_complex_numIfELi16ELi32ELi8ELb0ELb0ELc67ELc76EKPKS1_KPS1_EviT_T0_PT8_S7_lSA_S7_lS8_PT9_S7_li
		.amdhsa_group_segment_fixed_size 4096
		.amdhsa_private_segment_fixed_size 0
		.amdhsa_kernarg_size 108
		.amdhsa_user_sgpr_count 13
		.amdhsa_user_sgpr_dispatch_ptr 0
		.amdhsa_user_sgpr_queue_ptr 0
		.amdhsa_user_sgpr_kernarg_segment_ptr 1
		.amdhsa_user_sgpr_dispatch_id 0
		.amdhsa_user_sgpr_private_segment_size 0
		.amdhsa_wavefront_size32 1
		.amdhsa_uses_dynamic_stack 0
		.amdhsa_enable_private_segment 0
		.amdhsa_system_sgpr_workgroup_id_x 1
		.amdhsa_system_sgpr_workgroup_id_y 1
		.amdhsa_system_sgpr_workgroup_id_z 1
		.amdhsa_system_sgpr_workgroup_info 0
		.amdhsa_system_vgpr_workitem_id 1
		.amdhsa_next_free_vgpr 59
		.amdhsa_next_free_sgpr 26
		.amdhsa_reserve_vcc 1
		.amdhsa_float_round_mode_32 0
		.amdhsa_float_round_mode_16_64 0
		.amdhsa_float_denorm_mode_32 3
		.amdhsa_float_denorm_mode_16_64 3
		.amdhsa_dx10_clamp 1
		.amdhsa_ieee_mode 1
		.amdhsa_fp16_overflow 0
		.amdhsa_workgroup_processor_mode 1
		.amdhsa_memory_ordered 1
		.amdhsa_forward_progress 0
		.amdhsa_shared_vgpr_count 0
		.amdhsa_exception_fp_ieee_invalid_op 0
		.amdhsa_exception_fp_denorm_src 0
		.amdhsa_exception_fp_ieee_div_zero 0
		.amdhsa_exception_fp_ieee_overflow 0
		.amdhsa_exception_fp_ieee_underflow 0
		.amdhsa_exception_fp_ieee_inexact 0
		.amdhsa_exception_int_div_zero 0
	.end_amdhsa_kernel
	.section	.text._ZL34rocblas_syrkx_herkx_general_kernelIl19rocblas_complex_numIfELi16ELi32ELi8ELb0ELb0ELc67ELc76EKPKS1_KPS1_EviT_T0_PT8_S7_lSA_S7_lS8_PT9_S7_li,"axG",@progbits,_ZL34rocblas_syrkx_herkx_general_kernelIl19rocblas_complex_numIfELi16ELi32ELi8ELb0ELb0ELc67ELc76EKPKS1_KPS1_EviT_T0_PT8_S7_lSA_S7_lS8_PT9_S7_li,comdat
.Lfunc_end1609:
	.size	_ZL34rocblas_syrkx_herkx_general_kernelIl19rocblas_complex_numIfELi16ELi32ELi8ELb0ELb0ELc67ELc76EKPKS1_KPS1_EviT_T0_PT8_S7_lSA_S7_lS8_PT9_S7_li, .Lfunc_end1609-_ZL34rocblas_syrkx_herkx_general_kernelIl19rocblas_complex_numIfELi16ELi32ELi8ELb0ELb0ELc67ELc76EKPKS1_KPS1_EviT_T0_PT8_S7_lSA_S7_lS8_PT9_S7_li
                                        ; -- End function
	.section	.AMDGPU.csdata,"",@progbits
; Kernel info:
; codeLenInByte = 2700
; NumSgprs: 28
; NumVgprs: 59
; ScratchSize: 0
; MemoryBound: 1
; FloatMode: 240
; IeeeMode: 1
; LDSByteSize: 4096 bytes/workgroup (compile time only)
; SGPRBlocks: 3
; VGPRBlocks: 7
; NumSGPRsForWavesPerEU: 28
; NumVGPRsForWavesPerEU: 59
; Occupancy: 16
; WaveLimiterHint : 1
; COMPUTE_PGM_RSRC2:SCRATCH_EN: 0
; COMPUTE_PGM_RSRC2:USER_SGPR: 13
; COMPUTE_PGM_RSRC2:TRAP_HANDLER: 0
; COMPUTE_PGM_RSRC2:TGID_X_EN: 1
; COMPUTE_PGM_RSRC2:TGID_Y_EN: 1
; COMPUTE_PGM_RSRC2:TGID_Z_EN: 1
; COMPUTE_PGM_RSRC2:TIDIG_COMP_CNT: 1
	.section	.text._ZL34rocblas_syrkx_herkx_general_kernelIl19rocblas_complex_numIfELi16ELi32ELi8ELb0ELb0ELc78ELc76EKPKS1_KPS1_EviT_T0_PT8_S7_lSA_S7_lS8_PT9_S7_li,"axG",@progbits,_ZL34rocblas_syrkx_herkx_general_kernelIl19rocblas_complex_numIfELi16ELi32ELi8ELb0ELb0ELc78ELc76EKPKS1_KPS1_EviT_T0_PT8_S7_lSA_S7_lS8_PT9_S7_li,comdat
	.globl	_ZL34rocblas_syrkx_herkx_general_kernelIl19rocblas_complex_numIfELi16ELi32ELi8ELb0ELb0ELc78ELc76EKPKS1_KPS1_EviT_T0_PT8_S7_lSA_S7_lS8_PT9_S7_li ; -- Begin function _ZL34rocblas_syrkx_herkx_general_kernelIl19rocblas_complex_numIfELi16ELi32ELi8ELb0ELb0ELc78ELc76EKPKS1_KPS1_EviT_T0_PT8_S7_lSA_S7_lS8_PT9_S7_li
	.p2align	8
	.type	_ZL34rocblas_syrkx_herkx_general_kernelIl19rocblas_complex_numIfELi16ELi32ELi8ELb0ELb0ELc78ELc76EKPKS1_KPS1_EviT_T0_PT8_S7_lSA_S7_lS8_PT9_S7_li,@function
_ZL34rocblas_syrkx_herkx_general_kernelIl19rocblas_complex_numIfELi16ELi32ELi8ELb0ELb0ELc78ELc76EKPKS1_KPS1_EviT_T0_PT8_S7_lSA_S7_lS8_PT9_S7_li: ; @_ZL34rocblas_syrkx_herkx_general_kernelIl19rocblas_complex_numIfELi16ELi32ELi8ELb0ELb0ELc78ELc76EKPKS1_KPS1_EviT_T0_PT8_S7_lSA_S7_lS8_PT9_S7_li
; %bb.0:
	s_clause 0x1
	s_load_b128 s[16:19], s[0:1], 0x48
	s_load_b256 s[4:11], s[0:1], 0x8
	s_mov_b32 s2, s15
	s_mov_b32 s3, 0
	s_load_b64 s[20:21], s[0:1], 0x58
	s_lshl_b64 s[22:23], s[2:3], 3
	v_dual_mov_b32 v23, 0 :: v_dual_and_b32 v8, 0x3ff, v0
	v_bfe_u32 v9, v0, 10, 10
	v_dual_mov_b32 v22, 0 :: v_dual_mov_b32 v21, 0
	v_dual_mov_b32 v20, 0 :: v_dual_mov_b32 v19, 0
	v_dual_mov_b32 v18, 0 :: v_dual_mov_b32 v17, 0
	v_mov_b32_e32 v16, 0
	s_waitcnt lgkmcnt(0)
	s_add_u32 s2, s18, s22
	s_addc_u32 s3, s19, s23
	s_load_b32 s18, s[0:1], 0x0
	s_load_b64 s[2:3], s[2:3], 0x0
	v_cmp_lt_i64_e64 s12, s[4:5], 1
	s_lshl_b32 s19, s13, 5
	s_lshl_b32 s24, s14, 5
	s_delay_alu instid0(VALU_DEP_1)
	s_and_b32 vcc_lo, exec_lo, s12
	s_cbranch_vccnz .LBB1610_9
; %bb.1:
	s_load_b128 s[12:15], s[0:1], 0x30
	v_lshl_add_u32 v1, v9, 4, v8
	v_and_b32_e32 v10, 7, v8
	v_dual_mov_b32 v0, 0 :: v_dual_lshlrev_b32 v11, 3, v8
	v_lshl_add_u32 v12, v9, 6, 0x800
	s_delay_alu instid0(VALU_DEP_4) | instskip(SKIP_3) | instid1(VALU_DEP_4)
	v_lshrrev_b32_e32 v13, 5, v1
	v_lshrrev_b32_e32 v2, 3, v1
	v_lshlrev_b32_e32 v14, 3, v10
	v_dual_mov_b32 v22, 0 :: v_dual_mov_b32 v23, 0
	v_mad_u64_u32 v[5:6], null, s10, v13, 0
	s_waitcnt lgkmcnt(0)
	v_mad_u64_u32 v[3:4], null, s14, v10, 0
	s_add_u32 s12, s12, s22
	s_addc_u32 s13, s13, s23
	s_add_u32 s8, s8, s22
	s_load_b64 s[12:13], s[12:13], 0x0
	s_addc_u32 s9, s9, s23
	s_delay_alu instid0(VALU_DEP_1) | instskip(SKIP_3) | instid1(VALU_DEP_2)
	v_mad_u64_u32 v[18:19], null, s15, v10, v[4:5]
	v_and_b32_e32 v7, 31, v1
	s_load_b64 s[22:23], s[8:9], 0x0
	s_lshl_b64 s[8:9], s[10:11], 6
	v_mov_b32_e32 v4, v18
	s_delay_alu instid0(VALU_DEP_2)
	v_mad_u64_u32 v[19:20], null, s11, v13, v[6:7]
	v_add_nc_u32_e32 v1, s24, v2
	v_or_b32_e32 v15, s19, v7
	v_lshlrev_b32_e32 v17, 3, v7
	v_add_nc_u32_e32 v16, s19, v7
	v_lshlrev_b64 v[3:4], 3, v[3:4]
	v_mov_b32_e32 v20, 0
	v_dual_mov_b32 v6, v19 :: v_dual_mov_b32 v19, 0
	v_lshl_or_b32 v21, v2, 6, v14
	v_ashrrev_i32_e32 v2, 31, v1
	v_cmp_gt_i32_e32 vcc_lo, s18, v15
	v_lshl_or_b32 v14, v13, 8, v17
	v_cmp_gt_i32_e64 s0, s18, v1
	v_dual_mov_b32 v18, 0 :: v_dual_add_nc_u32 v15, 0x800, v21
	v_mov_b32_e32 v21, 0
	v_ashrrev_i32_e32 v17, 31, v16
	v_lshlrev_b64 v[1:2], 3, v[1:2]
	v_lshlrev_b64 v[5:6], 3, v[5:6]
	s_lshl_b64 s[10:11], s[14:15], 6
	s_delay_alu instid0(VALU_DEP_3) | instskip(NEXT) | instid1(VALU_DEP_3)
	v_lshlrev_b64 v[16:17], 3, v[16:17]
	v_add_co_u32 v1, s1, v3, v1
	s_delay_alu instid0(VALU_DEP_1) | instskip(NEXT) | instid1(VALU_DEP_3)
	v_add_co_ci_u32_e64 v2, s1, v4, v2, s1
	v_add_co_u32 v3, s1, v5, v16
	s_delay_alu instid0(VALU_DEP_1) | instskip(SKIP_2) | instid1(VALU_DEP_1)
	v_add_co_ci_u32_e64 v4, s1, v6, v17, s1
	s_waitcnt lgkmcnt(0)
	v_add_co_u32 v1, s1, v1, s12
	v_add_co_ci_u32_e64 v5, s1, s13, v2, s1
	v_add_co_u32 v2, s1, s22, v3
	s_delay_alu instid0(VALU_DEP_1) | instskip(NEXT) | instid1(VALU_DEP_4)
	v_add_co_ci_u32_e64 v3, s1, s23, v4, s1
	v_add_co_u32 v4, s1, v1, 4
	s_delay_alu instid0(VALU_DEP_1)
	v_add_co_ci_u32_e64 v5, s1, 0, v5, s1
	v_dual_mov_b32 v17, 0 :: v_dual_mov_b32 v16, 0
	s_mov_b64 s[12:13], 0
	s_xor_b32 s1, vcc_lo, -1
	s_branch .LBB1610_3
.LBB1610_2:                             ;   in Loop: Header=BB1610_3 Depth=1
	s_or_b32 exec_lo, exec_lo, s14
	s_waitcnt vmcnt(0)
	ds_store_b64 v15, v[6:7]
	s_waitcnt lgkmcnt(0)
	s_barrier
	buffer_gl0_inv
	ds_load_2addr_b64 v[24:27], v11 offset1:16
	ds_load_b128 v[28:31], v12
	ds_load_b128 v[32:35], v12 offset:1024
	ds_load_b128 v[36:39], v12 offset:16
	;; [unrolled: 1-line block ×4, first 2 shown]
	ds_load_2addr_b64 v[48:51], v11 offset0:32 offset1:48
	ds_load_b128 v[52:55], v12 offset:1040
	s_add_u32 s12, s12, 8
	s_addc_u32 s13, s13, 0
	v_add_co_u32 v2, vcc_lo, v2, s8
	v_cmp_ge_i64_e64 s14, s[12:13], s[4:5]
	v_add_co_ci_u32_e32 v3, vcc_lo, s9, v3, vcc_lo
	v_add_co_u32 v4, vcc_lo, v4, s10
	v_add_co_ci_u32_e32 v5, vcc_lo, s11, v5, vcc_lo
	s_delay_alu instid0(VALU_DEP_4)
	s_and_b32 vcc_lo, exec_lo, s14
	s_waitcnt lgkmcnt(6)
	v_dual_mul_f32 v1, v29, v25 :: v_dual_mul_f32 v56, v28, v27
	v_dual_mul_f32 v6, v28, v25 :: v_dual_mul_f32 v7, v29, v27
	s_waitcnt lgkmcnt(5)
	v_mul_f32_e32 v58, v33, v27
	s_delay_alu instid0(VALU_DEP_3) | instskip(SKIP_3) | instid1(VALU_DEP_4)
	v_fma_f32 v1, v28, v24, -v1
	v_dual_mul_f32 v27, v32, v27 :: v_dual_fmac_f32 v56, v29, v26
	v_fmac_f32_e32 v6, v29, v24
	v_fma_f32 v7, v28, v26, -v7
	v_add_f32_e32 v1, v22, v1
	v_mul_f32_e32 v57, v33, v25
	s_delay_alu instid0(VALU_DEP_4) | instskip(NEXT) | instid1(VALU_DEP_4)
	v_dual_mul_f32 v25, v32, v25 :: v_dual_add_f32 v6, v23, v6
	v_dual_add_f32 v7, v20, v7 :: v_dual_add_f32 v22, v21, v56
	s_delay_alu instid0(VALU_DEP_3) | instskip(NEXT) | instid1(VALU_DEP_3)
	v_fma_f32 v28, v32, v24, -v57
	v_fmac_f32_e32 v25, v33, v24
	v_fma_f32 v24, v32, v26, -v58
	v_fmac_f32_e32 v27, v33, v26
	s_waitcnt lgkmcnt(1)
	v_dual_add_f32 v23, v18, v28 :: v_dual_mul_f32 v28, v31, v49
	s_delay_alu instid0(VALU_DEP_3)
	v_dual_add_f32 v25, v19, v25 :: v_dual_add_f32 v16, v16, v24
	v_mul_f32_e32 v24, v30, v49
	ds_load_2addr_b64 v[18:21], v11 offset0:64 offset1:80
	v_fma_f32 v26, v30, v48, -v28
	v_mul_f32_e32 v28, v31, v51
	v_dual_add_f32 v17, v17, v27 :: v_dual_fmac_f32 v24, v31, v48
	v_mul_f32_e32 v27, v30, v51
	s_delay_alu instid0(VALU_DEP_4) | instskip(NEXT) | instid1(VALU_DEP_4)
	v_add_f32_e32 v1, v1, v26
	v_fma_f32 v26, v30, v50, -v28
	v_mul_f32_e32 v28, v35, v49
	s_delay_alu instid0(VALU_DEP_4) | instskip(SKIP_1) | instid1(VALU_DEP_1)
	v_dual_add_f32 v6, v6, v24 :: v_dual_fmac_f32 v27, v31, v50
	v_mul_f32_e32 v24, v34, v49
	v_dual_add_f32 v27, v22, v27 :: v_dual_fmac_f32 v24, v35, v48
	v_add_f32_e32 v7, v7, v26
	v_fma_f32 v26, v34, v48, -v28
	v_mul_f32_e32 v29, v34, v51
	s_waitcnt lgkmcnt(0)
	v_mul_f32_e32 v30, v36, v19
	v_mul_f32_e32 v32, v37, v21
	v_add_f32_e32 v26, v23, v26
	v_fmac_f32_e32 v29, v35, v50
	v_mul_f32_e32 v28, v35, v51
	v_fmac_f32_e32 v30, v37, v18
	s_delay_alu instid0(VALU_DEP_3) | instskip(SKIP_1) | instid1(VALU_DEP_4)
	v_add_f32_e32 v29, v17, v29
	v_mul_f32_e32 v17, v36, v21
	v_fma_f32 v22, v34, v50, -v28
	v_mul_f32_e32 v23, v37, v19
	v_add_f32_e32 v28, v25, v24
	v_add_f32_e32 v6, v6, v30
	v_mul_f32_e32 v30, v53, v19
	v_add_f32_e32 v16, v16, v22
	v_fma_f32 v31, v36, v18, -v23
	ds_load_2addr_b64 v[22:25], v11 offset0:96 offset1:112
	v_mul_f32_e32 v19, v52, v19
	v_add_f32_e32 v1, v1, v31
	v_fma_f32 v31, v36, v20, -v32
	s_delay_alu instid0(VALU_DEP_1) | instskip(SKIP_4) | instid1(VALU_DEP_2)
	v_add_f32_e32 v7, v7, v31
	v_mul_f32_e32 v31, v53, v21
	v_mul_f32_e32 v21, v52, v21
	v_fma_f32 v30, v52, v18, -v30
	v_fmac_f32_e32 v17, v37, v20
	v_dual_fmac_f32 v21, v53, v20 :: v_dual_add_f32 v30, v26, v30
	s_delay_alu instid0(VALU_DEP_2)
	v_dual_fmac_f32 v19, v53, v18 :: v_dual_add_f32 v32, v27, v17
	v_fma_f32 v17, v52, v20, -v31
	s_waitcnt lgkmcnt(0)
	v_mul_f32_e32 v26, v38, v23
	v_mul_f32_e32 v20, v39, v23
	v_dual_add_f32 v31, v28, v19 :: v_dual_add_f32 v34, v29, v21
	v_add_f32_e32 v33, v16, v17
	ds_load_2addr_b64 v[16:19], v11 offset0:128 offset1:144
	v_fmac_f32_e32 v26, v39, v22
	v_mul_f32_e32 v27, v39, v25
	v_mul_f32_e32 v21, v38, v25
	;; [unrolled: 1-line block ×4, first 2 shown]
	v_fma_f32 v20, v38, v22, -v20
	v_add_f32_e32 v6, v6, v26
	v_fma_f32 v27, v38, v24, -v27
	s_waitcnt lgkmcnt(0)
	v_dual_fmac_f32 v25, v55, v24 :: v_dual_mul_f32 v38, v40, v17
	s_delay_alu instid0(VALU_DEP_1) | instskip(NEXT) | instid1(VALU_DEP_2)
	v_dual_add_f32 v25, v34, v25 :: v_dual_mul_f32 v34, v40, v19
	v_fmac_f32_e32 v38, v41, v16
	v_fmac_f32_e32 v21, v39, v24
	v_dual_add_f32 v1, v1, v20 :: v_dual_mul_f32 v20, v55, v23
	s_delay_alu instid0(VALU_DEP_4) | instskip(NEXT) | instid1(VALU_DEP_4)
	v_fmac_f32_e32 v34, v41, v18
	v_add_f32_e32 v6, v6, v38
	s_delay_alu instid0(VALU_DEP_4)
	v_add_f32_e32 v36, v32, v21
	v_fma_f32 v21, v54, v24, -v35
	v_add_f32_e32 v7, v7, v27
	ds_load_b128 v[26:29], v12 offset:1056
	v_mul_f32_e32 v23, v54, v23
	v_fma_f32 v20, v54, v22, -v20
	v_add_f32_e32 v24, v33, v21
	v_add_f32_e32 v34, v36, v34
	s_delay_alu instid0(VALU_DEP_4) | instskip(NEXT) | instid1(VALU_DEP_4)
	v_fmac_f32_e32 v23, v55, v22
	v_dual_add_f32 v35, v30, v20 :: v_dual_mul_f32 v20, v41, v17
	s_delay_alu instid0(VALU_DEP_2) | instskip(SKIP_1) | instid1(VALU_DEP_3)
	v_add_f32_e32 v37, v31, v23
	v_mul_f32_e32 v31, v41, v19
	v_fma_f32 v30, v40, v16, -v20
	ds_load_2addr_b64 v[20:23], v11 offset0:160 offset1:176
	v_fma_f32 v39, v40, v18, -v31
	v_add_f32_e32 v1, v1, v30
	ds_load_b128 v[30:33], v12 offset:1072
	s_waitcnt lgkmcnt(2)
	v_mul_f32_e32 v36, v26, v19
	v_mul_f32_e32 v40, v27, v17
	s_delay_alu instid0(VALU_DEP_2) | instskip(NEXT) | instid1(VALU_DEP_2)
	v_dual_fmac_f32 v36, v27, v18 :: v_dual_mul_f32 v17, v26, v17
	v_fma_f32 v38, v26, v16, -v40
	s_delay_alu instid0(VALU_DEP_2)
	v_fmac_f32_e32 v17, v27, v16
	v_add_f32_e32 v7, v7, v39
	v_mul_f32_e32 v39, v27, v19
	s_waitcnt lgkmcnt(1)
	v_mul_f32_e32 v27, v42, v21
	v_mul_f32_e32 v19, v43, v21
	s_delay_alu instid0(VALU_DEP_3) | instskip(NEXT) | instid1(VALU_DEP_1)
	v_fma_f32 v16, v26, v18, -v39
	v_add_f32_e32 v24, v24, v16
	s_delay_alu instid0(VALU_DEP_4) | instskip(SKIP_1) | instid1(VALU_DEP_2)
	v_fmac_f32_e32 v27, v43, v20
	v_add_f32_e32 v36, v25, v36
	v_add_f32_e32 v6, v6, v27
	;; [unrolled: 1-line block ×3, first 2 shown]
	v_fma_f32 v37, v42, v20, -v19
	ds_load_2addr_b64 v[16:19], v11 offset0:192 offset1:208
	v_mul_f32_e32 v25, v42, v23
	v_add_f32_e32 v35, v35, v38
	v_dual_mul_f32 v38, v43, v23 :: v_dual_mul_f32 v27, v29, v21
	v_mul_f32_e32 v21, v28, v21
	s_delay_alu instid0(VALU_DEP_4) | instskip(NEXT) | instid1(VALU_DEP_3)
	v_fmac_f32_e32 v25, v43, v22
	v_fma_f32 v27, v28, v20, -v27
	s_delay_alu instid0(VALU_DEP_2) | instskip(NEXT) | instid1(VALU_DEP_1)
	v_dual_fmac_f32 v21, v29, v20 :: v_dual_add_f32 v20, v34, v25
	v_add_f32_e32 v21, v26, v21
	s_waitcnt lgkmcnt(0)
	v_mul_f32_e32 v34, v45, v17
	v_add_f32_e32 v1, v1, v37
	v_fma_f32 v37, v42, v22, -v38
	s_delay_alu instid0(VALU_DEP_3) | instskip(NEXT) | instid1(VALU_DEP_2)
	v_fma_f32 v34, v44, v16, -v34
	v_add_f32_e32 v7, v7, v37
	v_mul_f32_e32 v37, v29, v23
	v_mul_f32_e32 v23, v28, v23
	s_delay_alu instid0(VALU_DEP_2) | instskip(SKIP_3) | instid1(VALU_DEP_2)
	v_fma_f32 v25, v28, v22, -v37
	v_add_f32_e32 v28, v35, v27
	v_mul_f32_e32 v35, v45, v19
	v_dual_add_f32 v1, v1, v34 :: v_dual_mul_f32 v34, v31, v17
	v_fma_f32 v35, v44, v18, -v35
	s_delay_alu instid0(VALU_DEP_1)
	v_add_f32_e32 v7, v7, v35
	v_dual_fmac_f32 v23, v29, v22 :: v_dual_add_f32 v22, v24, v25
	ds_load_2addr_b64 v[24:27], v11 offset0:224 offset1:240
	s_waitcnt lgkmcnt(0)
	s_barrier
	v_add_f32_e32 v23, v36, v23
	v_mul_f32_e32 v29, v44, v17
	v_dual_mul_f32 v36, v44, v19 :: v_dual_mul_f32 v17, v30, v17
	buffer_gl0_inv
	v_fmac_f32_e32 v29, v45, v16
	v_dual_fmac_f32 v36, v45, v18 :: v_dual_fmac_f32 v17, v31, v16
	s_delay_alu instid0(VALU_DEP_2) | instskip(SKIP_1) | instid1(VALU_DEP_3)
	v_add_f32_e32 v6, v6, v29
	v_fma_f32 v29, v30, v16, -v34
	v_dual_mul_f32 v34, v31, v19 :: v_dual_add_f32 v35, v20, v36
	s_delay_alu instid0(VALU_DEP_2) | instskip(NEXT) | instid1(VALU_DEP_2)
	v_dual_mul_f32 v19, v30, v19 :: v_dual_add_f32 v16, v28, v29
	v_fma_f32 v20, v30, v18, -v34
	v_mul_f32_e32 v28, v47, v25
	v_mul_f32_e32 v29, v46, v25
	s_delay_alu instid0(VALU_DEP_3) | instskip(NEXT) | instid1(VALU_DEP_3)
	v_dual_fmac_f32 v19, v31, v18 :: v_dual_add_f32 v30, v22, v20
	v_fma_f32 v18, v46, v24, -v28
	s_delay_alu instid0(VALU_DEP_3)
	v_fmac_f32_e32 v29, v47, v24
	v_dual_mul_f32 v20, v47, v27 :: v_dual_add_f32 v17, v21, v17
	v_mul_f32_e32 v21, v46, v27
	v_add_f32_e32 v28, v23, v19
	v_add_f32_e32 v22, v1, v18
	v_dual_mul_f32 v18, v33, v27 :: v_dual_add_f32 v23, v6, v29
	v_fma_f32 v1, v46, v26, -v20
	v_mul_f32_e32 v6, v33, v25
	v_mul_f32_e32 v19, v32, v25
	;; [unrolled: 1-line block ×3, first 2 shown]
	v_fmac_f32_e32 v21, v47, v26
	v_add_f32_e32 v20, v7, v1
	v_fma_f32 v1, v32, v24, -v6
	v_fmac_f32_e32 v19, v33, v24
	v_fma_f32 v6, v32, v26, -v18
	v_fmac_f32_e32 v25, v33, v26
	v_add_f32_e32 v21, v35, v21
	s_delay_alu instid0(VALU_DEP_4) | instskip(NEXT) | instid1(VALU_DEP_3)
	v_dual_add_f32 v18, v16, v1 :: v_dual_add_f32 v19, v17, v19
	v_dual_add_f32 v16, v30, v6 :: v_dual_add_f32 v17, v28, v25
	s_cbranch_vccnz .LBB1610_9
.LBB1610_3:                             ; =>This Inner Loop Header: Depth=1
	v_add_co_u32 v6, s14, v13, s12
	s_delay_alu instid0(VALU_DEP_1) | instskip(NEXT) | instid1(VALU_DEP_1)
	v_add_co_ci_u32_e64 v7, null, 0, s13, s14
	v_cmp_le_i64_e32 vcc_lo, s[4:5], v[6:7]
	s_or_b32 s14, s1, vcc_lo
	s_delay_alu instid0(SALU_CYCLE_1) | instskip(NEXT) | instid1(SALU_CYCLE_1)
	s_and_saveexec_b32 s15, s14
	s_xor_b32 s14, exec_lo, s15
	s_cbranch_execz .LBB1610_5
; %bb.4:                                ;   in Loop: Header=BB1610_3 Depth=1
	v_mov_b32_e32 v1, v0
	ds_store_b64 v14, v[0:1]
.LBB1610_5:                             ;   in Loop: Header=BB1610_3 Depth=1
	s_and_not1_saveexec_b32 s14, s14
	s_cbranch_execz .LBB1610_7
; %bb.6:                                ;   in Loop: Header=BB1610_3 Depth=1
	global_load_b64 v[6:7], v[2:3], off
	s_waitcnt vmcnt(0)
	ds_store_b64 v14, v[6:7]
.LBB1610_7:                             ;   in Loop: Header=BB1610_3 Depth=1
	s_or_b32 exec_lo, exec_lo, s14
	v_add_co_u32 v6, s14, v10, s12
	s_delay_alu instid0(VALU_DEP_1) | instskip(NEXT) | instid1(VALU_DEP_1)
	v_add_co_ci_u32_e64 v7, null, 0, s13, s14
	v_cmp_gt_i64_e32 vcc_lo, s[4:5], v[6:7]
	v_dual_mov_b32 v6, 0 :: v_dual_mov_b32 v7, 0
	s_and_b32 s15, vcc_lo, s0
	s_delay_alu instid0(SALU_CYCLE_1)
	s_and_saveexec_b32 s14, s15
	s_cbranch_execz .LBB1610_2
; %bb.8:                                ;   in Loop: Header=BB1610_3 Depth=1
	global_load_b64 v[6:7], v[4:5], off offset:-4
	s_branch .LBB1610_2
.LBB1610_9:
	v_add_nc_u32_e32 v4, s24, v9
	s_delay_alu instid0(VALU_DEP_1) | instskip(SKIP_2) | instid1(VALU_DEP_3)
	v_ashrrev_i32_e32 v0, 31, v4
	v_mul_lo_u32 v3, v4, s21
	v_mad_u64_u32 v[1:2], null, v4, s20, 0
	v_mul_lo_u32 v0, v0, s20
	s_delay_alu instid0(VALU_DEP_1) | instskip(SKIP_1) | instid1(VALU_DEP_2)
	v_add3_u32 v2, v2, v3, v0
	v_add_nc_u32_e32 v0, s19, v8
	v_lshlrev_b64 v[1:2], 3, v[1:2]
	s_delay_alu instid0(VALU_DEP_2) | instskip(SKIP_2) | instid1(VALU_DEP_3)
	v_cmp_le_i32_e64 s0, v4, v0
	s_waitcnt lgkmcnt(0)
	v_cmp_gt_i32_e32 vcc_lo, s18, v0
	v_add_co_u32 v5, s1, s2, v1
	s_delay_alu instid0(VALU_DEP_1) | instskip(SKIP_1) | instid1(SALU_CYCLE_1)
	v_add_co_ci_u32_e64 v6, s1, s3, v2, s1
	s_and_b32 s0, s0, vcc_lo
	s_and_saveexec_b32 s1, s0
	s_cbranch_execz .LBB1610_11
; %bb.10:
	v_ashrrev_i32_e32 v1, 31, v0
	s_delay_alu instid0(VALU_DEP_1) | instskip(NEXT) | instid1(VALU_DEP_1)
	v_lshlrev_b64 v[1:2], 3, v[0:1]
	v_add_co_u32 v1, s0, v5, v1
	s_delay_alu instid0(VALU_DEP_1)
	v_add_co_ci_u32_e64 v2, s0, v6, v2, s0
	global_load_b64 v[7:8], v[1:2], off
	v_mul_f32_e32 v3, s7, v23
	s_waitcnt vmcnt(0)
	v_dual_mul_f32 v9, s6, v23 :: v_dual_mul_f32 v10, s17, v8
	v_mul_f32_e32 v8, s16, v8
	s_delay_alu instid0(VALU_DEP_3) | instskip(NEXT) | instid1(VALU_DEP_3)
	v_fma_f32 v3, v22, s6, -v3
	v_fmac_f32_e32 v9, s7, v22
	s_delay_alu instid0(VALU_DEP_4) | instskip(NEXT) | instid1(VALU_DEP_1)
	v_fma_f32 v10, v7, s16, -v10
	v_dual_fmac_f32 v8, s17, v7 :: v_dual_add_f32 v7, v3, v10
	s_delay_alu instid0(VALU_DEP_1)
	v_add_f32_e32 v8, v9, v8
	global_store_b64 v[1:2], v[7:8], off
.LBB1610_11:
	s_or_b32 exec_lo, exec_lo, s1
	v_add_nc_u32_e32 v2, 16, v0
	s_delay_alu instid0(VALU_DEP_1) | instskip(SKIP_1) | instid1(VALU_DEP_1)
	v_cmp_le_i32_e64 s1, v4, v2
	v_cmp_gt_i32_e64 s0, s18, v2
	s_and_b32 s1, s1, s0
	s_delay_alu instid0(SALU_CYCLE_1)
	s_and_saveexec_b32 s4, s1
	s_cbranch_execz .LBB1610_13
; %bb.12:
	v_ashrrev_i32_e32 v3, 31, v2
	s_delay_alu instid0(VALU_DEP_1) | instskip(NEXT) | instid1(VALU_DEP_1)
	v_lshlrev_b64 v[7:8], 3, v[2:3]
	v_add_co_u32 v5, s1, v5, v7
	s_delay_alu instid0(VALU_DEP_1)
	v_add_co_ci_u32_e64 v6, s1, v6, v8, s1
	global_load_b64 v[7:8], v[5:6], off
	v_mul_f32_e32 v1, s7, v21
	s_waitcnt vmcnt(0)
	v_mul_f32_e32 v9, s17, v8
	v_dual_mul_f32 v8, s16, v8 :: v_dual_mul_f32 v3, s6, v21
	s_delay_alu instid0(VALU_DEP_3) | instskip(NEXT) | instid1(VALU_DEP_3)
	v_fma_f32 v1, v20, s6, -v1
	v_fma_f32 v9, v7, s16, -v9
	s_delay_alu instid0(VALU_DEP_3) | instskip(NEXT) | instid1(VALU_DEP_1)
	v_dual_fmac_f32 v8, s17, v7 :: v_dual_fmac_f32 v3, s7, v20
	v_dual_add_f32 v7, v1, v9 :: v_dual_add_f32 v8, v3, v8
	global_store_b64 v[5:6], v[7:8], off
.LBB1610_13:
	s_or_b32 exec_lo, exec_lo, s4
	v_add_nc_u32_e32 v3, 16, v4
	s_delay_alu instid0(VALU_DEP_1) | instskip(SKIP_3) | instid1(VALU_DEP_4)
	v_ashrrev_i32_e32 v1, 31, v3
	v_mul_lo_u32 v6, v3, s21
	v_mad_u64_u32 v[4:5], null, v3, s20, 0
	v_cmp_le_i32_e64 s1, v3, v0
	v_mul_lo_u32 v1, v1, s20
	s_delay_alu instid0(VALU_DEP_1) | instskip(NEXT) | instid1(VALU_DEP_1)
	v_add3_u32 v5, v5, v6, v1
	v_lshlrev_b64 v[4:5], 3, v[4:5]
	s_delay_alu instid0(VALU_DEP_1) | instskip(NEXT) | instid1(VALU_DEP_1)
	v_add_co_u32 v4, s2, s2, v4
	v_add_co_ci_u32_e64 v5, s2, s3, v5, s2
	s_and_b32 s2, s1, vcc_lo
	s_delay_alu instid0(SALU_CYCLE_1)
	s_and_saveexec_b32 s1, s2
	s_cbranch_execz .LBB1610_15
; %bb.14:
	v_ashrrev_i32_e32 v1, 31, v0
	s_delay_alu instid0(VALU_DEP_1) | instskip(NEXT) | instid1(VALU_DEP_1)
	v_lshlrev_b64 v[0:1], 3, v[0:1]
	v_add_co_u32 v0, vcc_lo, v4, v0
	s_delay_alu instid0(VALU_DEP_2) | instskip(SKIP_4) | instid1(VALU_DEP_1)
	v_add_co_ci_u32_e32 v1, vcc_lo, v5, v1, vcc_lo
	global_load_b64 v[6:7], v[0:1], off
	s_waitcnt vmcnt(0)
	v_mul_f32_e32 v10, s17, v7
	v_mul_f32_e32 v7, s16, v7
	v_fmac_f32_e32 v7, s17, v6
	s_delay_alu instid0(VALU_DEP_3) | instskip(SKIP_1) | instid1(VALU_DEP_1)
	v_fma_f32 v10, v6, s16, -v10
	v_mul_f32_e32 v9, s6, v19
	v_dual_mul_f32 v8, s7, v19 :: v_dual_fmac_f32 v9, s7, v18
	s_delay_alu instid0(VALU_DEP_1) | instskip(NEXT) | instid1(VALU_DEP_1)
	v_fma_f32 v8, v18, s6, -v8
	v_dual_add_f32 v7, v9, v7 :: v_dual_add_f32 v6, v8, v10
	global_store_b64 v[0:1], v[6:7], off
.LBB1610_15:
	s_or_b32 exec_lo, exec_lo, s1
	v_cmp_le_i32_e32 vcc_lo, v3, v2
	s_and_b32 s0, vcc_lo, s0
	s_delay_alu instid0(SALU_CYCLE_1)
	s_and_saveexec_b32 s1, s0
	s_cbranch_execz .LBB1610_17
; %bb.16:
	v_ashrrev_i32_e32 v3, 31, v2
	s_delay_alu instid0(VALU_DEP_1) | instskip(NEXT) | instid1(VALU_DEP_1)
	v_lshlrev_b64 v[0:1], 3, v[2:3]
	v_add_co_u32 v0, vcc_lo, v4, v0
	s_delay_alu instid0(VALU_DEP_2)
	v_add_co_ci_u32_e32 v1, vcc_lo, v5, v1, vcc_lo
	global_load_b64 v[2:3], v[0:1], off
	v_mul_f32_e32 v4, s7, v17
	s_waitcnt vmcnt(0)
	v_dual_mul_f32 v5, s6, v17 :: v_dual_mul_f32 v6, s17, v3
	v_mul_f32_e32 v3, s16, v3
	s_delay_alu instid0(VALU_DEP_3) | instskip(NEXT) | instid1(VALU_DEP_3)
	v_fma_f32 v4, v16, s6, -v4
	v_fma_f32 v6, v2, s16, -v6
	s_delay_alu instid0(VALU_DEP_4) | instskip(NEXT) | instid1(VALU_DEP_4)
	v_fmac_f32_e32 v5, s7, v16
	v_fmac_f32_e32 v3, s17, v2
	s_delay_alu instid0(VALU_DEP_1)
	v_dual_add_f32 v2, v4, v6 :: v_dual_add_f32 v3, v5, v3
	global_store_b64 v[0:1], v[2:3], off
.LBB1610_17:
	s_nop 0
	s_sendmsg sendmsg(MSG_DEALLOC_VGPRS)
	s_endpgm
	.section	.rodata,"a",@progbits
	.p2align	6, 0x0
	.amdhsa_kernel _ZL34rocblas_syrkx_herkx_general_kernelIl19rocblas_complex_numIfELi16ELi32ELi8ELb0ELb0ELc78ELc76EKPKS1_KPS1_EviT_T0_PT8_S7_lSA_S7_lS8_PT9_S7_li
		.amdhsa_group_segment_fixed_size 4096
		.amdhsa_private_segment_fixed_size 0
		.amdhsa_kernarg_size 108
		.amdhsa_user_sgpr_count 13
		.amdhsa_user_sgpr_dispatch_ptr 0
		.amdhsa_user_sgpr_queue_ptr 0
		.amdhsa_user_sgpr_kernarg_segment_ptr 1
		.amdhsa_user_sgpr_dispatch_id 0
		.amdhsa_user_sgpr_private_segment_size 0
		.amdhsa_wavefront_size32 1
		.amdhsa_uses_dynamic_stack 0
		.amdhsa_enable_private_segment 0
		.amdhsa_system_sgpr_workgroup_id_x 1
		.amdhsa_system_sgpr_workgroup_id_y 1
		.amdhsa_system_sgpr_workgroup_id_z 1
		.amdhsa_system_sgpr_workgroup_info 0
		.amdhsa_system_vgpr_workitem_id 1
		.amdhsa_next_free_vgpr 59
		.amdhsa_next_free_sgpr 25
		.amdhsa_reserve_vcc 1
		.amdhsa_float_round_mode_32 0
		.amdhsa_float_round_mode_16_64 0
		.amdhsa_float_denorm_mode_32 3
		.amdhsa_float_denorm_mode_16_64 3
		.amdhsa_dx10_clamp 1
		.amdhsa_ieee_mode 1
		.amdhsa_fp16_overflow 0
		.amdhsa_workgroup_processor_mode 1
		.amdhsa_memory_ordered 1
		.amdhsa_forward_progress 0
		.amdhsa_shared_vgpr_count 0
		.amdhsa_exception_fp_ieee_invalid_op 0
		.amdhsa_exception_fp_denorm_src 0
		.amdhsa_exception_fp_ieee_div_zero 0
		.amdhsa_exception_fp_ieee_overflow 0
		.amdhsa_exception_fp_ieee_underflow 0
		.amdhsa_exception_fp_ieee_inexact 0
		.amdhsa_exception_int_div_zero 0
	.end_amdhsa_kernel
	.section	.text._ZL34rocblas_syrkx_herkx_general_kernelIl19rocblas_complex_numIfELi16ELi32ELi8ELb0ELb0ELc78ELc76EKPKS1_KPS1_EviT_T0_PT8_S7_lSA_S7_lS8_PT9_S7_li,"axG",@progbits,_ZL34rocblas_syrkx_herkx_general_kernelIl19rocblas_complex_numIfELi16ELi32ELi8ELb0ELb0ELc78ELc76EKPKS1_KPS1_EviT_T0_PT8_S7_lSA_S7_lS8_PT9_S7_li,comdat
.Lfunc_end1610:
	.size	_ZL34rocblas_syrkx_herkx_general_kernelIl19rocblas_complex_numIfELi16ELi32ELi8ELb0ELb0ELc78ELc76EKPKS1_KPS1_EviT_T0_PT8_S7_lSA_S7_lS8_PT9_S7_li, .Lfunc_end1610-_ZL34rocblas_syrkx_herkx_general_kernelIl19rocblas_complex_numIfELi16ELi32ELi8ELb0ELb0ELc78ELc76EKPKS1_KPS1_EviT_T0_PT8_S7_lSA_S7_lS8_PT9_S7_li
                                        ; -- End function
	.section	.AMDGPU.csdata,"",@progbits
; Kernel info:
; codeLenInByte = 2700
; NumSgprs: 27
; NumVgprs: 59
; ScratchSize: 0
; MemoryBound: 1
; FloatMode: 240
; IeeeMode: 1
; LDSByteSize: 4096 bytes/workgroup (compile time only)
; SGPRBlocks: 3
; VGPRBlocks: 7
; NumSGPRsForWavesPerEU: 27
; NumVGPRsForWavesPerEU: 59
; Occupancy: 16
; WaveLimiterHint : 1
; COMPUTE_PGM_RSRC2:SCRATCH_EN: 0
; COMPUTE_PGM_RSRC2:USER_SGPR: 13
; COMPUTE_PGM_RSRC2:TRAP_HANDLER: 0
; COMPUTE_PGM_RSRC2:TGID_X_EN: 1
; COMPUTE_PGM_RSRC2:TGID_Y_EN: 1
; COMPUTE_PGM_RSRC2:TGID_Z_EN: 1
; COMPUTE_PGM_RSRC2:TIDIG_COMP_CNT: 1
	.section	.text._ZL34rocblas_syrkx_herkx_general_kernelIl19rocblas_complex_numIfELi16ELi32ELi8ELb0ELb0ELc84ELc85EKPKS1_KPS1_EviT_T0_PT8_S7_lSA_S7_lS8_PT9_S7_li,"axG",@progbits,_ZL34rocblas_syrkx_herkx_general_kernelIl19rocblas_complex_numIfELi16ELi32ELi8ELb0ELb0ELc84ELc85EKPKS1_KPS1_EviT_T0_PT8_S7_lSA_S7_lS8_PT9_S7_li,comdat
	.globl	_ZL34rocblas_syrkx_herkx_general_kernelIl19rocblas_complex_numIfELi16ELi32ELi8ELb0ELb0ELc84ELc85EKPKS1_KPS1_EviT_T0_PT8_S7_lSA_S7_lS8_PT9_S7_li ; -- Begin function _ZL34rocblas_syrkx_herkx_general_kernelIl19rocblas_complex_numIfELi16ELi32ELi8ELb0ELb0ELc84ELc85EKPKS1_KPS1_EviT_T0_PT8_S7_lSA_S7_lS8_PT9_S7_li
	.p2align	8
	.type	_ZL34rocblas_syrkx_herkx_general_kernelIl19rocblas_complex_numIfELi16ELi32ELi8ELb0ELb0ELc84ELc85EKPKS1_KPS1_EviT_T0_PT8_S7_lSA_S7_lS8_PT9_S7_li,@function
_ZL34rocblas_syrkx_herkx_general_kernelIl19rocblas_complex_numIfELi16ELi32ELi8ELb0ELb0ELc84ELc85EKPKS1_KPS1_EviT_T0_PT8_S7_lSA_S7_lS8_PT9_S7_li: ; @_ZL34rocblas_syrkx_herkx_general_kernelIl19rocblas_complex_numIfELi16ELi32ELi8ELb0ELb0ELc84ELc85EKPKS1_KPS1_EviT_T0_PT8_S7_lSA_S7_lS8_PT9_S7_li
; %bb.0:
	s_clause 0x1
	s_load_b128 s[16:19], s[0:1], 0x48
	s_load_b256 s[4:11], s[0:1], 0x8
	s_mov_b32 s2, s15
	s_mov_b32 s3, 0
	s_load_b64 s[20:21], s[0:1], 0x58
	s_lshl_b64 s[22:23], s[2:3], 3
	v_dual_mov_b32 v21, 0 :: v_dual_and_b32 v6, 0x3ff, v0
	v_bfe_u32 v7, v0, 10, 10
	v_dual_mov_b32 v20, 0 :: v_dual_mov_b32 v19, 0
	v_dual_mov_b32 v18, 0 :: v_dual_mov_b32 v17, 0
	;; [unrolled: 1-line block ×3, first 2 shown]
	v_mov_b32_e32 v14, 0
	s_waitcnt lgkmcnt(0)
	s_add_u32 s2, s18, s22
	s_addc_u32 s3, s19, s23
	s_load_b32 s12, s[0:1], 0x0
	s_load_b64 s[18:19], s[2:3], 0x0
	v_cmp_lt_i64_e64 s2, s[4:5], 1
	s_lshl_b32 s13, s13, 5
	s_lshl_b32 s14, s14, 5
	s_delay_alu instid0(VALU_DEP_1)
	s_and_b32 vcc_lo, exec_lo, s2
	s_cbranch_vccnz .LBB1611_11
; %bb.1:
	s_load_b128 s[0:3], s[0:1], 0x30
	v_lshl_add_u32 v0, v7, 4, v6
	v_and_b32_e32 v8, 7, v6
	v_dual_mov_b32 v20, 0 :: v_dual_mov_b32 v19, 0
	v_mov_b32_e32 v21, 0
	s_delay_alu instid0(VALU_DEP_4) | instskip(SKIP_3) | instid1(VALU_DEP_4)
	v_lshrrev_b32_e32 v5, 3, v0
	v_and_b32_e32 v1, 31, v0
	v_lshrrev_b32_e32 v9, 5, v0
	v_lshlrev_b32_e32 v14, 3, v8
	v_dual_mov_b32 v18, 0 :: v_dual_add_nc_u32 v11, s14, v5
	s_delay_alu instid0(VALU_DEP_4)
	v_add_nc_u32_e32 v0, s13, v1
	v_or_b32_e32 v10, s13, v1
	v_lshlrev_b32_e32 v12, 3, v1
	v_lshl_or_b32 v5, v5, 6, v14
	v_ashrrev_i32_e32 v3, 31, v11
	v_ashrrev_i32_e32 v4, 31, v0
	s_waitcnt lgkmcnt(0)
	v_cmp_gt_i32_e32 vcc_lo, s12, v10
	v_lshl_or_b32 v10, v9, 8, v12
	v_mul_lo_u32 v17, s3, v11
	v_mul_lo_u32 v16, s2, v3
	;; [unrolled: 1-line block ×3, first 2 shown]
	v_mad_u64_u32 v[3:4], null, s2, v11, 0
	s_add_u32 s0, s0, s22
	s_addc_u32 s1, s1, s23
	s_add_u32 s8, s8, s22
	s_addc_u32 s9, s9, s23
	v_lshlrev_b32_e32 v12, 3, v6
	s_mov_b64 s[2:3], 0
	s_delay_alu instid0(VALU_DEP_2)
	v_add3_u32 v4, v4, v16, v17
	v_mov_b32_e32 v17, 0
	v_mul_lo_u32 v13, s11, v0
	v_mad_u64_u32 v[1:2], null, s10, v0, 0
	s_load_b64 s[10:11], s[0:1], 0x0
	s_load_b64 s[8:9], s[8:9], 0x0
	v_cmp_gt_i32_e64 s0, s12, v11
	v_dual_mov_b32 v16, 0 :: v_dual_add_nc_u32 v11, 0x800, v5
	v_lshlrev_b32_e32 v5, 3, v9
	v_lshlrev_b64 v[3:4], 3, v[3:4]
	v_add3_u32 v2, v2, v15, v13
	v_mov_b32_e32 v0, 0
	v_lshl_add_u32 v13, v7, 6, 0x800
	s_xor_b32 s0, s0, -1
	s_delay_alu instid0(VALU_DEP_3) | instskip(NEXT) | instid1(VALU_DEP_1)
	v_lshlrev_b64 v[1:2], 3, v[1:2]
	v_add_co_u32 v1, s1, v1, v5
	s_delay_alu instid0(VALU_DEP_1) | instskip(SKIP_1) | instid1(VALU_DEP_1)
	v_add_co_ci_u32_e64 v5, s1, 0, v2, s1
	v_add_co_u32 v14, s1, v3, v14
	v_add_co_ci_u32_e64 v15, s1, 0, v4, s1
	s_waitcnt lgkmcnt(0)
	v_add_co_u32 v2, s1, s8, v1
	s_delay_alu instid0(VALU_DEP_1) | instskip(SKIP_1) | instid1(VALU_DEP_1)
	v_add_co_ci_u32_e64 v3, s1, s9, v5, s1
	v_add_co_u32 v4, s1, s10, v14
	v_add_co_ci_u32_e64 v5, s1, s11, v15, s1
	v_dual_mov_b32 v15, 0 :: v_dual_mov_b32 v14, 0
	s_xor_b32 s1, vcc_lo, -1
	s_branch .LBB1611_3
.LBB1611_2:                             ;   in Loop: Header=BB1611_3 Depth=1
	s_or_b32 exec_lo, exec_lo, s8
	s_waitcnt lgkmcnt(0)
	s_barrier
	buffer_gl0_inv
	ds_load_2addr_b64 v[22:25], v12 offset1:16
	ds_load_b128 v[26:29], v13
	ds_load_b128 v[30:33], v13 offset:1024
	ds_load_b128 v[34:37], v13 offset:16
	;; [unrolled: 1-line block ×4, first 2 shown]
	ds_load_2addr_b64 v[46:49], v12 offset0:32 offset1:48
	ds_load_b128 v[50:53], v13 offset:1040
	s_add_u32 s2, s2, 8
	s_addc_u32 s3, s3, 0
	v_add_co_u32 v2, vcc_lo, v2, 64
	v_cmp_ge_i64_e64 s8, s[2:3], s[4:5]
	v_add_co_ci_u32_e32 v3, vcc_lo, 0, v3, vcc_lo
	v_add_co_u32 v4, vcc_lo, v4, 64
	v_add_co_ci_u32_e32 v5, vcc_lo, 0, v5, vcc_lo
	s_delay_alu instid0(VALU_DEP_4)
	s_and_b32 vcc_lo, exec_lo, s8
	s_waitcnt lgkmcnt(6)
	v_dual_mul_f32 v1, v27, v23 :: v_dual_mul_f32 v56, v26, v25
	v_dual_mul_f32 v54, v26, v23 :: v_dual_mul_f32 v55, v27, v25
	s_waitcnt lgkmcnt(5)
	v_mul_f32_e32 v58, v31, v25
	s_delay_alu instid0(VALU_DEP_3) | instskip(SKIP_3) | instid1(VALU_DEP_4)
	v_fma_f32 v1, v26, v22, -v1
	v_dual_mul_f32 v25, v30, v25 :: v_dual_fmac_f32 v56, v27, v24
	v_fmac_f32_e32 v54, v27, v22
	v_fma_f32 v26, v26, v24, -v55
	v_add_f32_e32 v1, v20, v1
	v_mul_f32_e32 v57, v31, v23
	s_delay_alu instid0(VALU_DEP_4) | instskip(SKIP_2) | instid1(VALU_DEP_4)
	v_dual_mul_f32 v23, v30, v23 :: v_dual_add_f32 v20, v21, v54
	v_fmac_f32_e32 v25, v31, v24
	v_dual_add_f32 v21, v18, v26 :: v_dual_add_f32 v26, v19, v56
	v_fma_f32 v27, v30, v22, -v57
	s_delay_alu instid0(VALU_DEP_4) | instskip(SKIP_3) | instid1(VALU_DEP_2)
	v_fmac_f32_e32 v23, v31, v22
	v_fma_f32 v22, v30, v24, -v58
	s_waitcnt lgkmcnt(1)
	v_mul_f32_e32 v30, v29, v47
	v_dual_add_f32 v27, v16, v27 :: v_dual_add_f32 v14, v14, v22
	v_dual_mul_f32 v22, v28, v47 :: v_dual_add_f32 v15, v15, v25
	v_mul_f32_e32 v25, v28, v49
	s_delay_alu instid0(VALU_DEP_4) | instskip(NEXT) | instid1(VALU_DEP_3)
	v_fma_f32 v24, v28, v46, -v30
	v_fmac_f32_e32 v22, v29, v46
	v_add_f32_e32 v23, v17, v23
	ds_load_2addr_b64 v[16:19], v12 offset0:64 offset1:80
	v_mul_f32_e32 v30, v29, v49
	v_fmac_f32_e32 v25, v29, v48
	v_add_f32_e32 v1, v1, v24
	s_delay_alu instid0(VALU_DEP_2) | instskip(SKIP_1) | instid1(VALU_DEP_1)
	v_add_f32_e32 v25, v26, v25
	v_mul_f32_e32 v26, v32, v49
	v_fmac_f32_e32 v26, v33, v48
	s_waitcnt lgkmcnt(0)
	s_delay_alu instid0(VALU_DEP_1) | instskip(SKIP_1) | instid1(VALU_DEP_2)
	v_dual_add_f32 v26, v15, v26 :: v_dual_mul_f32 v29, v34, v17
	v_mul_f32_e32 v15, v34, v19
	v_fmac_f32_e32 v29, v35, v16
	v_fma_f32 v24, v28, v48, -v30
	v_mul_f32_e32 v28, v33, v47
	v_add_f32_e32 v30, v20, v22
	v_mul_f32_e32 v20, v32, v47
	v_mul_f32_e32 v22, v33, v49
	v_add_f32_e32 v24, v21, v24
	v_fma_f32 v21, v32, v46, -v28
	s_delay_alu instid0(VALU_DEP_4) | instskip(SKIP_1) | instid1(VALU_DEP_3)
	v_dual_add_f32 v29, v30, v29 :: v_dual_fmac_f32 v20, v33, v46
	v_fmac_f32_e32 v15, v35, v18
	v_add_f32_e32 v27, v27, v21
	v_fma_f32 v21, v32, v48, -v22
	v_mul_f32_e32 v22, v35, v17
	v_mul_f32_e32 v32, v35, v19
	v_add_f32_e32 v28, v23, v20
	s_delay_alu instid0(VALU_DEP_4) | instskip(NEXT) | instid1(VALU_DEP_4)
	v_add_f32_e32 v14, v14, v21
	v_fma_f32 v31, v34, v16, -v22
	ds_load_2addr_b64 v[20:23], v12 offset0:96 offset1:112
	v_add_f32_e32 v1, v1, v31
	v_fma_f32 v31, v34, v18, -v32
	s_delay_alu instid0(VALU_DEP_1) | instskip(SKIP_3) | instid1(VALU_DEP_3)
	v_add_f32_e32 v24, v24, v31
	v_mul_f32_e32 v31, v51, v19
	v_mul_f32_e32 v19, v50, v19
	v_add_f32_e32 v32, v25, v15
	v_fma_f32 v15, v50, v18, -v31
	s_delay_alu instid0(VALU_DEP_3)
	v_fmac_f32_e32 v19, v51, v18
	v_mul_f32_e32 v30, v51, v17
	v_mul_f32_e32 v17, v50, v17
	s_waitcnt lgkmcnt(0)
	v_dual_mul_f32 v18, v37, v21 :: v_dual_add_f32 v31, v14, v15
	v_add_f32_e32 v33, v26, v19
	v_fma_f32 v30, v50, v16, -v30
	v_fmac_f32_e32 v17, v51, v16
	s_delay_alu instid0(VALU_DEP_4) | instskip(SKIP_1) | instid1(VALU_DEP_4)
	v_fma_f32 v18, v36, v20, -v18
	v_mul_f32_e32 v25, v36, v21
	v_dual_mul_f32 v19, v36, v23 :: v_dual_add_f32 v30, v27, v30
	s_delay_alu instid0(VALU_DEP_4) | instskip(SKIP_4) | instid1(VALU_DEP_2)
	v_add_f32_e32 v28, v28, v17
	ds_load_2addr_b64 v[14:17], v12 offset0:128 offset1:144
	v_add_f32_e32 v1, v1, v18
	v_mul_f32_e32 v18, v53, v21
	v_fmac_f32_e32 v19, v37, v22
	v_fma_f32 v18, v52, v20, -v18
	v_mul_f32_e32 v27, v37, v23
	s_delay_alu instid0(VALU_DEP_1) | instskip(NEXT) | instid1(VALU_DEP_3)
	v_fma_f32 v26, v36, v22, -v27
	v_add_f32_e32 v36, v30, v18
	s_waitcnt lgkmcnt(0)
	s_delay_alu instid0(VALU_DEP_2) | instskip(SKIP_2) | instid1(VALU_DEP_3)
	v_dual_add_f32 v35, v24, v26 :: v_dual_mul_f32 v46, v38, v15
	v_dual_fmac_f32 v25, v37, v20 :: v_dual_add_f32 v32, v32, v19
	v_mul_f32_e32 v18, v39, v15
	v_fmac_f32_e32 v46, v39, v14
	s_delay_alu instid0(VALU_DEP_3)
	v_add_f32_e32 v34, v29, v25
	v_mul_f32_e32 v29, v53, v23
	v_mul_f32_e32 v23, v52, v23
	ds_load_b128 v[24:27], v13 offset:1056
	v_add_f32_e32 v34, v34, v46
	v_fma_f32 v19, v52, v22, -v29
	v_mul_f32_e32 v21, v52, v21
	v_fmac_f32_e32 v23, v53, v22
	v_mul_f32_e32 v29, v39, v17
	s_delay_alu instid0(VALU_DEP_3) | instskip(NEXT) | instid1(VALU_DEP_3)
	v_dual_add_f32 v22, v31, v19 :: v_dual_fmac_f32 v21, v53, v20
	v_add_f32_e32 v23, v33, v23
	s_delay_alu instid0(VALU_DEP_2) | instskip(SKIP_4) | instid1(VALU_DEP_2)
	v_add_f32_e32 v37, v28, v21
	v_fma_f32 v28, v38, v14, -v18
	ds_load_2addr_b64 v[18:21], v12 offset0:160 offset1:176
	v_mul_f32_e32 v33, v38, v17
	v_fma_f32 v38, v38, v16, -v29
	v_fmac_f32_e32 v33, v39, v16
	s_delay_alu instid0(VALU_DEP_1)
	v_dual_add_f32 v35, v35, v38 :: v_dual_add_f32 v32, v32, v33
	v_add_f32_e32 v1, v1, v28
	ds_load_b128 v[28:31], v13 offset:1072
	s_waitcnt lgkmcnt(2)
	v_mul_f32_e32 v47, v25, v15
	v_mul_f32_e32 v15, v24, v15
	;; [unrolled: 1-line block ×4, first 2 shown]
	s_delay_alu instid0(VALU_DEP_4) | instskip(NEXT) | instid1(VALU_DEP_4)
	v_fma_f32 v38, v24, v14, -v47
	v_fmac_f32_e32 v15, v25, v14
	s_delay_alu instid0(VALU_DEP_4)
	v_fma_f32 v14, v24, v16, -v39
	s_waitcnt lgkmcnt(1)
	v_mul_f32_e32 v17, v41, v19
	v_dual_fmac_f32 v33, v25, v16 :: v_dual_add_f32 v36, v36, v38
	v_add_f32_e32 v24, v37, v15
	v_add_f32_e32 v22, v22, v14
	s_delay_alu instid0(VALU_DEP_4) | instskip(SKIP_2) | instid1(VALU_DEP_1)
	v_fma_f32 v37, v40, v18, -v17
	ds_load_2addr_b64 v[14:17], v12 offset0:192 offset1:208
	v_dual_mul_f32 v25, v40, v19 :: v_dual_mul_f32 v38, v41, v21
	v_fmac_f32_e32 v25, v41, v18
	s_delay_alu instid0(VALU_DEP_1) | instskip(SKIP_4) | instid1(VALU_DEP_3)
	v_add_f32_e32 v34, v34, v25
	v_add_f32_e32 v33, v23, v33
	v_mul_f32_e32 v23, v40, v21
	v_mul_f32_e32 v25, v27, v19
	;; [unrolled: 1-line block ×3, first 2 shown]
	v_fmac_f32_e32 v23, v41, v20
	s_delay_alu instid0(VALU_DEP_3) | instskip(NEXT) | instid1(VALU_DEP_2)
	v_fma_f32 v25, v26, v18, -v25
	v_dual_fmac_f32 v19, v27, v18 :: v_dual_add_f32 v18, v32, v23
	s_waitcnt lgkmcnt(0)
	v_dual_mul_f32 v32, v43, v15 :: v_dual_add_f32 v1, v1, v37
	v_fma_f32 v37, v40, v20, -v38
	s_delay_alu instid0(VALU_DEP_3) | instskip(NEXT) | instid1(VALU_DEP_3)
	v_add_f32_e32 v19, v24, v19
	v_fma_f32 v32, v42, v14, -v32
	s_delay_alu instid0(VALU_DEP_1) | instskip(NEXT) | instid1(VALU_DEP_4)
	v_add_f32_e32 v1, v1, v32
	v_add_f32_e32 v35, v35, v37
	v_mul_f32_e32 v37, v27, v21
	v_dual_mul_f32 v21, v26, v21 :: v_dual_mul_f32 v32, v29, v15
	s_delay_alu instid0(VALU_DEP_2) | instskip(NEXT) | instid1(VALU_DEP_2)
	v_fma_f32 v23, v26, v20, -v37
	v_dual_add_f32 v26, v36, v25 :: v_dual_fmac_f32 v21, v27, v20
	v_mul_f32_e32 v27, v42, v15
	v_mul_f32_e32 v15, v28, v15
	s_delay_alu instid0(VALU_DEP_4)
	v_add_f32_e32 v20, v22, v23
	ds_load_2addr_b64 v[22:25], v12 offset0:224 offset1:240
	v_fma_f32 v32, v28, v14, -v32
	v_dual_fmac_f32 v27, v43, v14 :: v_dual_mul_f32 v36, v42, v17
	v_fmac_f32_e32 v15, v29, v14
	s_waitcnt lgkmcnt(0)
	s_delay_alu instid0(VALU_DEP_3) | instskip(NEXT) | instid1(VALU_DEP_3)
	v_add_f32_e32 v14, v26, v32
	v_dual_add_f32 v27, v34, v27 :: v_dual_fmac_f32 v36, v43, v16
	s_delay_alu instid0(VALU_DEP_3)
	v_dual_mul_f32 v34, v29, v17 :: v_dual_add_f32 v15, v19, v15
	s_barrier
	buffer_gl0_inv
	v_mul_f32_e32 v26, v45, v23
	v_add_f32_e32 v21, v33, v21
	v_mul_f32_e32 v33, v43, v17
	v_mul_f32_e32 v17, v28, v17
	;; [unrolled: 1-line block ×3, first 2 shown]
	s_delay_alu instid0(VALU_DEP_3) | instskip(NEXT) | instid1(VALU_DEP_3)
	v_fma_f32 v33, v42, v16, -v33
	v_fmac_f32_e32 v17, v29, v16
	s_delay_alu instid0(VALU_DEP_3) | instskip(NEXT) | instid1(VALU_DEP_3)
	v_fmac_f32_e32 v19, v45, v24
	v_add_f32_e32 v33, v35, v33
	v_add_f32_e32 v35, v18, v36
	v_fma_f32 v18, v28, v16, -v34
	v_fma_f32 v16, v44, v22, -v26
	v_mul_f32_e32 v28, v44, v23
	v_dual_add_f32 v26, v21, v17 :: v_dual_mul_f32 v17, v30, v23
	s_delay_alu instid0(VALU_DEP_4) | instskip(NEXT) | instid1(VALU_DEP_4)
	v_dual_add_f32 v29, v20, v18 :: v_dual_mul_f32 v18, v45, v25
	v_add_f32_e32 v20, v1, v16
	v_mul_f32_e32 v16, v31, v23
	v_mul_f32_e32 v23, v31, v25
	;; [unrolled: 1-line block ×3, first 2 shown]
	v_fma_f32 v1, v44, v24, -v18
	v_fmac_f32_e32 v28, v45, v22
	v_fmac_f32_e32 v17, v31, v22
	v_add_f32_e32 v19, v35, v19
	s_delay_alu instid0(VALU_DEP_4)
	v_dual_fmac_f32 v25, v31, v24 :: v_dual_add_f32 v18, v33, v1
	v_fma_f32 v1, v30, v22, -v16
	v_fma_f32 v22, v30, v24, -v23
	v_add_f32_e32 v21, v27, v28
	v_add_f32_e32 v17, v15, v17
	;; [unrolled: 1-line block ×5, first 2 shown]
	s_cbranch_vccnz .LBB1611_11
.LBB1611_3:                             ; =>This Inner Loop Header: Depth=1
	v_add_co_u32 v22, s8, v9, s2
	s_delay_alu instid0(VALU_DEP_1) | instskip(NEXT) | instid1(VALU_DEP_1)
	v_add_co_ci_u32_e64 v23, null, 0, s3, s8
	v_cmp_le_i64_e32 vcc_lo, s[4:5], v[22:23]
	s_or_b32 s8, s1, vcc_lo
	s_delay_alu instid0(SALU_CYCLE_1) | instskip(NEXT) | instid1(SALU_CYCLE_1)
	s_and_saveexec_b32 s9, s8
	s_xor_b32 s8, exec_lo, s9
	s_cbranch_execz .LBB1611_5
; %bb.4:                                ;   in Loop: Header=BB1611_3 Depth=1
	v_mov_b32_e32 v1, v0
	ds_store_b64 v10, v[0:1]
.LBB1611_5:                             ;   in Loop: Header=BB1611_3 Depth=1
	s_and_not1_saveexec_b32 s8, s8
	s_cbranch_execz .LBB1611_7
; %bb.6:                                ;   in Loop: Header=BB1611_3 Depth=1
	global_load_b64 v[22:23], v[2:3], off
	s_waitcnt vmcnt(0)
	ds_store_b64 v10, v[22:23]
.LBB1611_7:                             ;   in Loop: Header=BB1611_3 Depth=1
	s_or_b32 exec_lo, exec_lo, s8
	v_add_co_u32 v22, s8, v8, s2
	s_delay_alu instid0(VALU_DEP_1) | instskip(NEXT) | instid1(VALU_DEP_1)
	v_add_co_ci_u32_e64 v23, null, 0, s3, s8
	v_cmp_le_i64_e32 vcc_lo, s[4:5], v[22:23]
	s_or_b32 s8, vcc_lo, s0
	s_delay_alu instid0(SALU_CYCLE_1) | instskip(NEXT) | instid1(SALU_CYCLE_1)
	s_and_saveexec_b32 s9, s8
	s_xor_b32 s8, exec_lo, s9
	s_cbranch_execz .LBB1611_9
; %bb.8:                                ;   in Loop: Header=BB1611_3 Depth=1
	v_mov_b32_e32 v1, v0
	ds_store_b64 v11, v[0:1]
.LBB1611_9:                             ;   in Loop: Header=BB1611_3 Depth=1
	s_and_not1_saveexec_b32 s8, s8
	s_cbranch_execz .LBB1611_2
; %bb.10:                               ;   in Loop: Header=BB1611_3 Depth=1
	global_load_b64 v[22:23], v[4:5], off
	s_waitcnt vmcnt(0)
	ds_store_b64 v11, v[22:23]
	s_branch .LBB1611_2
.LBB1611_11:
	v_add_nc_u32_e32 v4, s14, v7
	s_delay_alu instid0(VALU_DEP_1)
	v_ashrrev_i32_e32 v0, 31, v4
	v_mul_lo_u32 v3, v4, s21
	v_mad_u64_u32 v[1:2], null, v4, s20, 0
	s_waitcnt lgkmcnt(0)
	v_cmp_gt_i32_e32 vcc_lo, s12, v4
	v_mul_lo_u32 v0, v0, s20
	s_delay_alu instid0(VALU_DEP_1) | instskip(SKIP_1) | instid1(VALU_DEP_2)
	v_add3_u32 v2, v2, v3, v0
	v_add_nc_u32_e32 v0, s13, v6
	v_lshlrev_b64 v[1:2], 3, v[1:2]
	s_delay_alu instid0(VALU_DEP_2) | instskip(NEXT) | instid1(VALU_DEP_1)
	v_cmp_le_i32_e64 s0, v0, v4
	s_and_b32 s0, vcc_lo, s0
	s_delay_alu instid0(VALU_DEP_2) | instskip(NEXT) | instid1(VALU_DEP_1)
	v_add_co_u32 v5, s1, s18, v1
	v_add_co_ci_u32_e64 v6, s1, s19, v2, s1
	s_and_saveexec_b32 s1, s0
	s_cbranch_execz .LBB1611_13
; %bb.12:
	v_ashrrev_i32_e32 v1, 31, v0
	s_delay_alu instid0(VALU_DEP_1) | instskip(NEXT) | instid1(VALU_DEP_1)
	v_lshlrev_b64 v[1:2], 3, v[0:1]
	v_add_co_u32 v1, s0, v5, v1
	s_delay_alu instid0(VALU_DEP_1)
	v_add_co_ci_u32_e64 v2, s0, v6, v2, s0
	global_load_b64 v[7:8], v[1:2], off
	v_mul_f32_e32 v3, s7, v21
	s_waitcnt vmcnt(0)
	v_dual_mul_f32 v9, s6, v21 :: v_dual_mul_f32 v10, s17, v8
	v_mul_f32_e32 v8, s16, v8
	s_delay_alu instid0(VALU_DEP_3) | instskip(NEXT) | instid1(VALU_DEP_3)
	v_fma_f32 v3, v20, s6, -v3
	v_fmac_f32_e32 v9, s7, v20
	s_delay_alu instid0(VALU_DEP_4) | instskip(NEXT) | instid1(VALU_DEP_1)
	v_fma_f32 v10, v7, s16, -v10
	v_dual_fmac_f32 v8, s17, v7 :: v_dual_add_f32 v7, v3, v10
	s_delay_alu instid0(VALU_DEP_1)
	v_add_f32_e32 v8, v9, v8
	global_store_b64 v[1:2], v[7:8], off
.LBB1611_13:
	s_or_b32 exec_lo, exec_lo, s1
	v_add_nc_u32_e32 v2, 16, v0
	s_delay_alu instid0(VALU_DEP_1) | instskip(NEXT) | instid1(VALU_DEP_1)
	v_cmp_le_i32_e64 s0, v2, v4
	s_and_b32 s1, vcc_lo, s0
	s_delay_alu instid0(SALU_CYCLE_1)
	s_and_saveexec_b32 s0, s1
	s_cbranch_execz .LBB1611_15
; %bb.14:
	v_ashrrev_i32_e32 v3, 31, v2
	s_delay_alu instid0(VALU_DEP_1) | instskip(SKIP_1) | instid1(VALU_DEP_1)
	v_lshlrev_b64 v[7:8], 3, v[2:3]
	v_mul_f32_e32 v3, s6, v19
	v_fmac_f32_e32 v3, s7, v18
	s_delay_alu instid0(VALU_DEP_3) | instskip(NEXT) | instid1(VALU_DEP_4)
	v_add_co_u32 v5, vcc_lo, v5, v7
	v_add_co_ci_u32_e32 v6, vcc_lo, v6, v8, vcc_lo
	global_load_b64 v[7:8], v[5:6], off
	v_mul_f32_e32 v1, s7, v19
	s_waitcnt vmcnt(0)
	v_mul_f32_e32 v9, s17, v8
	v_mul_f32_e32 v8, s16, v8
	s_delay_alu instid0(VALU_DEP_3) | instskip(NEXT) | instid1(VALU_DEP_2)
	v_fma_f32 v1, v18, s6, -v1
	v_fmac_f32_e32 v8, s17, v7
	s_delay_alu instid0(VALU_DEP_4) | instskip(NEXT) | instid1(VALU_DEP_1)
	v_fma_f32 v9, v7, s16, -v9
	v_dual_add_f32 v8, v3, v8 :: v_dual_add_f32 v7, v1, v9
	global_store_b64 v[5:6], v[7:8], off
.LBB1611_15:
	s_or_b32 exec_lo, exec_lo, s0
	v_add_nc_u32_e32 v3, 16, v4
	s_delay_alu instid0(VALU_DEP_1) | instskip(SKIP_3) | instid1(VALU_DEP_4)
	v_ashrrev_i32_e32 v1, 31, v3
	v_mul_lo_u32 v6, v3, s21
	v_mad_u64_u32 v[4:5], null, v3, s20, 0
	v_cmp_gt_i32_e32 vcc_lo, s12, v3
	v_mul_lo_u32 v1, v1, s20
	v_cmp_le_i32_e64 s0, v0, v3
	s_delay_alu instid0(VALU_DEP_1) | instskip(NEXT) | instid1(VALU_DEP_2)
	s_and_b32 s0, vcc_lo, s0
	v_add3_u32 v5, v5, v6, v1
	s_delay_alu instid0(VALU_DEP_1) | instskip(NEXT) | instid1(VALU_DEP_1)
	v_lshlrev_b64 v[4:5], 3, v[4:5]
	v_add_co_u32 v4, s1, s18, v4
	s_delay_alu instid0(VALU_DEP_1)
	v_add_co_ci_u32_e64 v5, s1, s19, v5, s1
	s_and_saveexec_b32 s1, s0
	s_cbranch_execz .LBB1611_17
; %bb.16:
	v_ashrrev_i32_e32 v1, 31, v0
	s_delay_alu instid0(VALU_DEP_1) | instskip(NEXT) | instid1(VALU_DEP_1)
	v_lshlrev_b64 v[0:1], 3, v[0:1]
	v_add_co_u32 v0, s0, v4, v0
	s_delay_alu instid0(VALU_DEP_1)
	v_add_co_ci_u32_e64 v1, s0, v5, v1, s0
	global_load_b64 v[6:7], v[0:1], off
	v_mul_f32_e32 v8, s7, v17
	s_waitcnt vmcnt(0)
	v_dual_mul_f32 v9, s6, v17 :: v_dual_mul_f32 v10, s17, v7
	v_mul_f32_e32 v7, s16, v7
	s_delay_alu instid0(VALU_DEP_3) | instskip(NEXT) | instid1(VALU_DEP_3)
	v_fma_f32 v8, v16, s6, -v8
	v_fma_f32 v10, v6, s16, -v10
	s_delay_alu instid0(VALU_DEP_4) | instskip(NEXT) | instid1(VALU_DEP_4)
	v_fmac_f32_e32 v9, s7, v16
	v_fmac_f32_e32 v7, s17, v6
	s_delay_alu instid0(VALU_DEP_1)
	v_dual_add_f32 v6, v8, v10 :: v_dual_add_f32 v7, v9, v7
	global_store_b64 v[0:1], v[6:7], off
.LBB1611_17:
	s_or_b32 exec_lo, exec_lo, s1
	v_cmp_le_i32_e64 s0, v2, v3
	s_delay_alu instid0(VALU_DEP_1) | instskip(NEXT) | instid1(SALU_CYCLE_1)
	s_and_b32 s0, vcc_lo, s0
	s_and_saveexec_b32 s1, s0
	s_cbranch_execz .LBB1611_19
; %bb.18:
	v_ashrrev_i32_e32 v3, 31, v2
	s_delay_alu instid0(VALU_DEP_1) | instskip(NEXT) | instid1(VALU_DEP_1)
	v_lshlrev_b64 v[0:1], 3, v[2:3]
	v_add_co_u32 v0, vcc_lo, v4, v0
	s_delay_alu instid0(VALU_DEP_2) | instskip(SKIP_4) | instid1(VALU_DEP_1)
	v_add_co_ci_u32_e32 v1, vcc_lo, v5, v1, vcc_lo
	global_load_b64 v[2:3], v[0:1], off
	s_waitcnt vmcnt(0)
	v_mul_f32_e32 v6, s17, v3
	v_mul_f32_e32 v3, s16, v3
	v_fmac_f32_e32 v3, s17, v2
	s_delay_alu instid0(VALU_DEP_3) | instskip(SKIP_1) | instid1(VALU_DEP_1)
	v_fma_f32 v6, v2, s16, -v6
	v_mul_f32_e32 v5, s6, v15
	v_dual_mul_f32 v4, s7, v15 :: v_dual_fmac_f32 v5, s7, v14
	s_delay_alu instid0(VALU_DEP_1) | instskip(NEXT) | instid1(VALU_DEP_1)
	v_fma_f32 v4, v14, s6, -v4
	v_dual_add_f32 v3, v5, v3 :: v_dual_add_f32 v2, v4, v6
	global_store_b64 v[0:1], v[2:3], off
.LBB1611_19:
	s_nop 0
	s_sendmsg sendmsg(MSG_DEALLOC_VGPRS)
	s_endpgm
	.section	.rodata,"a",@progbits
	.p2align	6, 0x0
	.amdhsa_kernel _ZL34rocblas_syrkx_herkx_general_kernelIl19rocblas_complex_numIfELi16ELi32ELi8ELb0ELb0ELc84ELc85EKPKS1_KPS1_EviT_T0_PT8_S7_lSA_S7_lS8_PT9_S7_li
		.amdhsa_group_segment_fixed_size 4096
		.amdhsa_private_segment_fixed_size 0
		.amdhsa_kernarg_size 108
		.amdhsa_user_sgpr_count 13
		.amdhsa_user_sgpr_dispatch_ptr 0
		.amdhsa_user_sgpr_queue_ptr 0
		.amdhsa_user_sgpr_kernarg_segment_ptr 1
		.amdhsa_user_sgpr_dispatch_id 0
		.amdhsa_user_sgpr_private_segment_size 0
		.amdhsa_wavefront_size32 1
		.amdhsa_uses_dynamic_stack 0
		.amdhsa_enable_private_segment 0
		.amdhsa_system_sgpr_workgroup_id_x 1
		.amdhsa_system_sgpr_workgroup_id_y 1
		.amdhsa_system_sgpr_workgroup_id_z 1
		.amdhsa_system_sgpr_workgroup_info 0
		.amdhsa_system_vgpr_workitem_id 1
		.amdhsa_next_free_vgpr 59
		.amdhsa_next_free_sgpr 24
		.amdhsa_reserve_vcc 1
		.amdhsa_float_round_mode_32 0
		.amdhsa_float_round_mode_16_64 0
		.amdhsa_float_denorm_mode_32 3
		.amdhsa_float_denorm_mode_16_64 3
		.amdhsa_dx10_clamp 1
		.amdhsa_ieee_mode 1
		.amdhsa_fp16_overflow 0
		.amdhsa_workgroup_processor_mode 1
		.amdhsa_memory_ordered 1
		.amdhsa_forward_progress 0
		.amdhsa_shared_vgpr_count 0
		.amdhsa_exception_fp_ieee_invalid_op 0
		.amdhsa_exception_fp_denorm_src 0
		.amdhsa_exception_fp_ieee_div_zero 0
		.amdhsa_exception_fp_ieee_overflow 0
		.amdhsa_exception_fp_ieee_underflow 0
		.amdhsa_exception_fp_ieee_inexact 0
		.amdhsa_exception_int_div_zero 0
	.end_amdhsa_kernel
	.section	.text._ZL34rocblas_syrkx_herkx_general_kernelIl19rocblas_complex_numIfELi16ELi32ELi8ELb0ELb0ELc84ELc85EKPKS1_KPS1_EviT_T0_PT8_S7_lSA_S7_lS8_PT9_S7_li,"axG",@progbits,_ZL34rocblas_syrkx_herkx_general_kernelIl19rocblas_complex_numIfELi16ELi32ELi8ELb0ELb0ELc84ELc85EKPKS1_KPS1_EviT_T0_PT8_S7_lSA_S7_lS8_PT9_S7_li,comdat
.Lfunc_end1611:
	.size	_ZL34rocblas_syrkx_herkx_general_kernelIl19rocblas_complex_numIfELi16ELi32ELi8ELb0ELb0ELc84ELc85EKPKS1_KPS1_EviT_T0_PT8_S7_lSA_S7_lS8_PT9_S7_li, .Lfunc_end1611-_ZL34rocblas_syrkx_herkx_general_kernelIl19rocblas_complex_numIfELi16ELi32ELi8ELb0ELb0ELc84ELc85EKPKS1_KPS1_EviT_T0_PT8_S7_lSA_S7_lS8_PT9_S7_li
                                        ; -- End function
	.section	.AMDGPU.csdata,"",@progbits
; Kernel info:
; codeLenInByte = 2720
; NumSgprs: 26
; NumVgprs: 59
; ScratchSize: 0
; MemoryBound: 1
; FloatMode: 240
; IeeeMode: 1
; LDSByteSize: 4096 bytes/workgroup (compile time only)
; SGPRBlocks: 3
; VGPRBlocks: 7
; NumSGPRsForWavesPerEU: 26
; NumVGPRsForWavesPerEU: 59
; Occupancy: 16
; WaveLimiterHint : 1
; COMPUTE_PGM_RSRC2:SCRATCH_EN: 0
; COMPUTE_PGM_RSRC2:USER_SGPR: 13
; COMPUTE_PGM_RSRC2:TRAP_HANDLER: 0
; COMPUTE_PGM_RSRC2:TGID_X_EN: 1
; COMPUTE_PGM_RSRC2:TGID_Y_EN: 1
; COMPUTE_PGM_RSRC2:TGID_Z_EN: 1
; COMPUTE_PGM_RSRC2:TIDIG_COMP_CNT: 1
	.section	.text._ZL34rocblas_syrkx_herkx_general_kernelIl19rocblas_complex_numIfELi16ELi32ELi8ELb0ELb0ELc67ELc85EKPKS1_KPS1_EviT_T0_PT8_S7_lSA_S7_lS8_PT9_S7_li,"axG",@progbits,_ZL34rocblas_syrkx_herkx_general_kernelIl19rocblas_complex_numIfELi16ELi32ELi8ELb0ELb0ELc67ELc85EKPKS1_KPS1_EviT_T0_PT8_S7_lSA_S7_lS8_PT9_S7_li,comdat
	.globl	_ZL34rocblas_syrkx_herkx_general_kernelIl19rocblas_complex_numIfELi16ELi32ELi8ELb0ELb0ELc67ELc85EKPKS1_KPS1_EviT_T0_PT8_S7_lSA_S7_lS8_PT9_S7_li ; -- Begin function _ZL34rocblas_syrkx_herkx_general_kernelIl19rocblas_complex_numIfELi16ELi32ELi8ELb0ELb0ELc67ELc85EKPKS1_KPS1_EviT_T0_PT8_S7_lSA_S7_lS8_PT9_S7_li
	.p2align	8
	.type	_ZL34rocblas_syrkx_herkx_general_kernelIl19rocblas_complex_numIfELi16ELi32ELi8ELb0ELb0ELc67ELc85EKPKS1_KPS1_EviT_T0_PT8_S7_lSA_S7_lS8_PT9_S7_li,@function
_ZL34rocblas_syrkx_herkx_general_kernelIl19rocblas_complex_numIfELi16ELi32ELi8ELb0ELb0ELc67ELc85EKPKS1_KPS1_EviT_T0_PT8_S7_lSA_S7_lS8_PT9_S7_li: ; @_ZL34rocblas_syrkx_herkx_general_kernelIl19rocblas_complex_numIfELi16ELi32ELi8ELb0ELb0ELc67ELc85EKPKS1_KPS1_EviT_T0_PT8_S7_lSA_S7_lS8_PT9_S7_li
; %bb.0:
	s_clause 0x1
	s_load_b128 s[16:19], s[0:1], 0x48
	s_load_b256 s[4:11], s[0:1], 0x8
	s_mov_b32 s2, s15
	s_mov_b32 s3, 0
	s_load_b64 s[20:21], s[0:1], 0x58
	s_lshl_b64 s[22:23], s[2:3], 3
	v_dual_mov_b32 v23, 0 :: v_dual_and_b32 v8, 0x3ff, v0
	v_bfe_u32 v9, v0, 10, 10
	v_dual_mov_b32 v22, 0 :: v_dual_mov_b32 v21, 0
	v_dual_mov_b32 v20, 0 :: v_dual_mov_b32 v19, 0
	;; [unrolled: 1-line block ×3, first 2 shown]
	v_mov_b32_e32 v16, 0
	s_waitcnt lgkmcnt(0)
	s_add_u32 s2, s18, s22
	s_addc_u32 s3, s19, s23
	s_load_b32 s12, s[0:1], 0x0
	s_load_b64 s[18:19], s[2:3], 0x0
	v_cmp_lt_i64_e64 s2, s[4:5], 1
	s_lshl_b32 s13, s13, 5
	s_lshl_b32 s14, s14, 5
	s_delay_alu instid0(VALU_DEP_1)
	s_and_b32 vcc_lo, exec_lo, s2
	s_cbranch_vccnz .LBB1612_9
; %bb.1:
	s_load_b128 s[0:3], s[0:1], 0x30
	v_lshl_add_u32 v1, v9, 4, v8
	v_and_b32_e32 v10, 7, v8
	v_dual_mov_b32 v0, 0 :: v_dual_lshlrev_b32 v11, 3, v8
	s_delay_alu instid0(VALU_DEP_3) | instskip(SKIP_1) | instid1(VALU_DEP_4)
	v_dual_mov_b32 v23, 0 :: v_dual_and_b32 v2, 31, v1
	v_lshrrev_b32_e32 v3, 3, v1
	v_lshlrev_b32_e32 v6, 3, v10
	v_lshrrev_b32_e32 v13, 5, v1
	s_delay_alu instid0(VALU_DEP_4) | instskip(NEXT) | instid1(VALU_DEP_4)
	v_dual_mov_b32 v21, 0 :: v_dual_add_nc_u32 v4, s13, v2
	v_add_nc_u32_e32 v5, s14, v3
	v_or_b32_e32 v7, s13, v2
	v_lshlrev_b32_e32 v14, 3, v2
	v_lshl_add_u32 v12, v9, 6, 0x800
	v_ashrrev_i32_e32 v16, 31, v4
	v_mul_lo_u32 v17, s11, v4
	v_mad_u64_u32 v[1:2], null, s10, v4, 0
	s_waitcnt lgkmcnt(0)
	s_add_u32 s24, s0, s22
	v_mul_lo_u32 v4, s10, v16
	s_addc_u32 s25, s1, s23
	s_add_u32 s0, s8, s22
	s_addc_u32 s1, s9, s23
	v_ashrrev_i32_e32 v15, 31, v5
	v_lshl_or_b32 v16, v3, 6, v6
	s_load_b64 s[8:9], s[0:1], 0x0
	v_cmp_gt_i32_e64 s0, s12, v7
	v_add3_u32 v2, v2, v4, v17
	v_mul_lo_u32 v18, s2, v15
	v_dual_mov_b32 v20, 0 :: v_dual_add_nc_u32 v15, 0x800, v16
	v_mov_b32_e32 v16, 0
	v_mul_lo_u32 v19, s3, v5
	v_mad_u64_u32 v[3:4], null, s2, v5, 0
	v_lshlrev_b64 v[1:2], 3, v[1:2]
	s_load_b64 s[2:3], s[24:25], 0x0
	v_lshlrev_b32_e32 v17, 3, v13
	v_cmp_gt_i32_e32 vcc_lo, s12, v5
	v_lshl_or_b32 v14, v13, 8, v14
	v_mov_b32_e32 v22, 0
	v_add3_u32 v4, v4, v18, v19
	v_mov_b32_e32 v18, 0
	v_add_co_u32 v5, s1, v1, v17
	s_delay_alu instid0(VALU_DEP_1) | instskip(NEXT) | instid1(VALU_DEP_4)
	v_add_co_ci_u32_e64 v7, s1, 0, v2, s1
	v_lshlrev_b64 v[1:2], 3, v[3:4]
	s_waitcnt lgkmcnt(0)
	s_delay_alu instid0(VALU_DEP_3) | instskip(NEXT) | instid1(VALU_DEP_1)
	v_add_co_u32 v3, s1, v5, s8
	v_add_co_ci_u32_e64 v4, s1, s9, v7, s1
	v_mov_b32_e32 v17, 0
	s_delay_alu instid0(VALU_DEP_4) | instskip(NEXT) | instid1(VALU_DEP_1)
	v_add_co_u32 v1, s1, v1, v6
	v_add_co_ci_u32_e64 v5, s1, 0, v2, s1
	v_add_co_u32 v2, s1, v3, 4
	s_delay_alu instid0(VALU_DEP_1) | instskip(NEXT) | instid1(VALU_DEP_4)
	v_add_co_ci_u32_e64 v3, s1, 0, v4, s1
	v_add_co_u32 v4, s1, s2, v1
	s_delay_alu instid0(VALU_DEP_1)
	v_add_co_ci_u32_e64 v5, s1, s3, v5, s1
	v_mov_b32_e32 v19, 0
	s_mov_b64 s[2:3], 0
	s_xor_b32 s1, vcc_lo, -1
	s_branch .LBB1612_3
.LBB1612_2:                             ;   in Loop: Header=BB1612_3 Depth=1
	s_or_b32 exec_lo, exec_lo, s8
	s_waitcnt lgkmcnt(0)
	s_barrier
	buffer_gl0_inv
	ds_load_2addr_b64 v[24:27], v11 offset1:16
	ds_load_b128 v[28:31], v12
	ds_load_b128 v[32:35], v12 offset:1024
	ds_load_b128 v[36:39], v12 offset:16
	;; [unrolled: 1-line block ×4, first 2 shown]
	ds_load_2addr_b64 v[48:51], v11 offset0:32 offset1:48
	ds_load_b128 v[52:55], v12 offset:1040
	s_add_u32 s2, s2, 8
	s_addc_u32 s3, s3, 0
	v_add_co_u32 v2, vcc_lo, v2, 64
	v_cmp_ge_i64_e64 s8, s[2:3], s[4:5]
	v_add_co_ci_u32_e32 v3, vcc_lo, 0, v3, vcc_lo
	v_add_co_u32 v4, vcc_lo, v4, 64
	v_add_co_ci_u32_e32 v5, vcc_lo, 0, v5, vcc_lo
	s_delay_alu instid0(VALU_DEP_4)
	s_and_b32 vcc_lo, exec_lo, s8
	s_waitcnt lgkmcnt(6)
	v_dual_mul_f32 v1, v29, v25 :: v_dual_mul_f32 v56, v28, v27
	v_dual_mul_f32 v6, v28, v25 :: v_dual_mul_f32 v7, v29, v27
	s_waitcnt lgkmcnt(5)
	v_mul_f32_e32 v58, v33, v27
	s_delay_alu instid0(VALU_DEP_3) | instskip(SKIP_3) | instid1(VALU_DEP_4)
	v_fma_f32 v1, v28, v24, -v1
	v_dual_mul_f32 v27, v32, v27 :: v_dual_fmac_f32 v56, v29, v26
	v_fmac_f32_e32 v6, v29, v24
	v_fma_f32 v7, v28, v26, -v7
	v_add_f32_e32 v1, v22, v1
	v_mul_f32_e32 v57, v33, v25
	s_delay_alu instid0(VALU_DEP_4) | instskip(NEXT) | instid1(VALU_DEP_4)
	v_dual_mul_f32 v25, v32, v25 :: v_dual_add_f32 v6, v23, v6
	v_dual_add_f32 v7, v20, v7 :: v_dual_add_f32 v22, v21, v56
	s_delay_alu instid0(VALU_DEP_3) | instskip(NEXT) | instid1(VALU_DEP_3)
	v_fma_f32 v28, v32, v24, -v57
	v_fmac_f32_e32 v25, v33, v24
	v_fma_f32 v24, v32, v26, -v58
	v_fmac_f32_e32 v27, v33, v26
	s_waitcnt lgkmcnt(1)
	v_dual_add_f32 v23, v18, v28 :: v_dual_mul_f32 v28, v31, v49
	s_delay_alu instid0(VALU_DEP_3)
	v_dual_add_f32 v25, v19, v25 :: v_dual_add_f32 v16, v16, v24
	v_mul_f32_e32 v24, v30, v49
	ds_load_2addr_b64 v[18:21], v11 offset0:64 offset1:80
	v_fma_f32 v26, v30, v48, -v28
	v_mul_f32_e32 v28, v31, v51
	v_dual_add_f32 v17, v17, v27 :: v_dual_fmac_f32 v24, v31, v48
	v_mul_f32_e32 v27, v30, v51
	s_delay_alu instid0(VALU_DEP_4) | instskip(NEXT) | instid1(VALU_DEP_4)
	v_add_f32_e32 v1, v1, v26
	v_fma_f32 v26, v30, v50, -v28
	v_mul_f32_e32 v28, v35, v49
	s_delay_alu instid0(VALU_DEP_4) | instskip(SKIP_1) | instid1(VALU_DEP_1)
	v_dual_add_f32 v6, v6, v24 :: v_dual_fmac_f32 v27, v31, v50
	v_mul_f32_e32 v24, v34, v49
	v_dual_add_f32 v27, v22, v27 :: v_dual_fmac_f32 v24, v35, v48
	v_add_f32_e32 v7, v7, v26
	v_fma_f32 v26, v34, v48, -v28
	v_mul_f32_e32 v29, v34, v51
	s_waitcnt lgkmcnt(0)
	v_mul_f32_e32 v30, v36, v19
	v_mul_f32_e32 v32, v37, v21
	v_add_f32_e32 v26, v23, v26
	v_fmac_f32_e32 v29, v35, v50
	v_mul_f32_e32 v28, v35, v51
	v_fmac_f32_e32 v30, v37, v18
	s_delay_alu instid0(VALU_DEP_3) | instskip(SKIP_1) | instid1(VALU_DEP_4)
	v_add_f32_e32 v29, v17, v29
	v_mul_f32_e32 v17, v36, v21
	v_fma_f32 v22, v34, v50, -v28
	v_mul_f32_e32 v23, v37, v19
	v_add_f32_e32 v28, v25, v24
	v_add_f32_e32 v6, v6, v30
	v_mul_f32_e32 v30, v53, v19
	v_add_f32_e32 v16, v16, v22
	v_fma_f32 v31, v36, v18, -v23
	ds_load_2addr_b64 v[22:25], v11 offset0:96 offset1:112
	v_mul_f32_e32 v19, v52, v19
	v_add_f32_e32 v1, v1, v31
	v_fma_f32 v31, v36, v20, -v32
	s_delay_alu instid0(VALU_DEP_1) | instskip(SKIP_4) | instid1(VALU_DEP_2)
	v_add_f32_e32 v7, v7, v31
	v_mul_f32_e32 v31, v53, v21
	v_mul_f32_e32 v21, v52, v21
	v_fma_f32 v30, v52, v18, -v30
	v_fmac_f32_e32 v17, v37, v20
	v_dual_fmac_f32 v21, v53, v20 :: v_dual_add_f32 v30, v26, v30
	s_delay_alu instid0(VALU_DEP_2)
	v_dual_fmac_f32 v19, v53, v18 :: v_dual_add_f32 v32, v27, v17
	v_fma_f32 v17, v52, v20, -v31
	s_waitcnt lgkmcnt(0)
	v_mul_f32_e32 v26, v38, v23
	v_mul_f32_e32 v20, v39, v23
	v_dual_add_f32 v31, v28, v19 :: v_dual_add_f32 v34, v29, v21
	v_add_f32_e32 v33, v16, v17
	ds_load_2addr_b64 v[16:19], v11 offset0:128 offset1:144
	v_fmac_f32_e32 v26, v39, v22
	v_mul_f32_e32 v27, v39, v25
	v_mul_f32_e32 v21, v38, v25
	;; [unrolled: 1-line block ×4, first 2 shown]
	v_fma_f32 v20, v38, v22, -v20
	v_add_f32_e32 v6, v6, v26
	v_fma_f32 v27, v38, v24, -v27
	s_waitcnt lgkmcnt(0)
	v_dual_fmac_f32 v25, v55, v24 :: v_dual_mul_f32 v38, v40, v17
	s_delay_alu instid0(VALU_DEP_1) | instskip(NEXT) | instid1(VALU_DEP_2)
	v_dual_add_f32 v25, v34, v25 :: v_dual_mul_f32 v34, v40, v19
	v_fmac_f32_e32 v38, v41, v16
	v_fmac_f32_e32 v21, v39, v24
	v_dual_add_f32 v1, v1, v20 :: v_dual_mul_f32 v20, v55, v23
	s_delay_alu instid0(VALU_DEP_4) | instskip(NEXT) | instid1(VALU_DEP_4)
	v_fmac_f32_e32 v34, v41, v18
	v_add_f32_e32 v6, v6, v38
	s_delay_alu instid0(VALU_DEP_4)
	v_add_f32_e32 v36, v32, v21
	v_fma_f32 v21, v54, v24, -v35
	v_add_f32_e32 v7, v7, v27
	ds_load_b128 v[26:29], v12 offset:1056
	v_mul_f32_e32 v23, v54, v23
	v_fma_f32 v20, v54, v22, -v20
	v_add_f32_e32 v24, v33, v21
	v_add_f32_e32 v34, v36, v34
	s_delay_alu instid0(VALU_DEP_4) | instskip(NEXT) | instid1(VALU_DEP_4)
	v_fmac_f32_e32 v23, v55, v22
	v_dual_add_f32 v35, v30, v20 :: v_dual_mul_f32 v20, v41, v17
	s_delay_alu instid0(VALU_DEP_2) | instskip(SKIP_1) | instid1(VALU_DEP_3)
	v_add_f32_e32 v37, v31, v23
	v_mul_f32_e32 v31, v41, v19
	v_fma_f32 v30, v40, v16, -v20
	ds_load_2addr_b64 v[20:23], v11 offset0:160 offset1:176
	v_fma_f32 v39, v40, v18, -v31
	v_add_f32_e32 v1, v1, v30
	ds_load_b128 v[30:33], v12 offset:1072
	s_waitcnt lgkmcnt(2)
	v_mul_f32_e32 v36, v26, v19
	v_mul_f32_e32 v40, v27, v17
	s_delay_alu instid0(VALU_DEP_2) | instskip(NEXT) | instid1(VALU_DEP_2)
	v_dual_fmac_f32 v36, v27, v18 :: v_dual_mul_f32 v17, v26, v17
	v_fma_f32 v38, v26, v16, -v40
	s_delay_alu instid0(VALU_DEP_2)
	v_fmac_f32_e32 v17, v27, v16
	v_add_f32_e32 v7, v7, v39
	v_mul_f32_e32 v39, v27, v19
	s_waitcnt lgkmcnt(1)
	v_mul_f32_e32 v27, v42, v21
	v_mul_f32_e32 v19, v43, v21
	s_delay_alu instid0(VALU_DEP_3) | instskip(NEXT) | instid1(VALU_DEP_1)
	v_fma_f32 v16, v26, v18, -v39
	v_add_f32_e32 v24, v24, v16
	s_delay_alu instid0(VALU_DEP_4) | instskip(SKIP_1) | instid1(VALU_DEP_2)
	v_fmac_f32_e32 v27, v43, v20
	v_add_f32_e32 v36, v25, v36
	v_add_f32_e32 v6, v6, v27
	;; [unrolled: 1-line block ×3, first 2 shown]
	v_fma_f32 v37, v42, v20, -v19
	ds_load_2addr_b64 v[16:19], v11 offset0:192 offset1:208
	v_mul_f32_e32 v25, v42, v23
	v_add_f32_e32 v35, v35, v38
	v_dual_mul_f32 v38, v43, v23 :: v_dual_mul_f32 v27, v29, v21
	v_mul_f32_e32 v21, v28, v21
	s_delay_alu instid0(VALU_DEP_4) | instskip(NEXT) | instid1(VALU_DEP_3)
	v_fmac_f32_e32 v25, v43, v22
	v_fma_f32 v27, v28, v20, -v27
	s_delay_alu instid0(VALU_DEP_2) | instskip(NEXT) | instid1(VALU_DEP_1)
	v_dual_fmac_f32 v21, v29, v20 :: v_dual_add_f32 v20, v34, v25
	v_add_f32_e32 v21, v26, v21
	s_waitcnt lgkmcnt(0)
	v_mul_f32_e32 v34, v45, v17
	v_add_f32_e32 v1, v1, v37
	v_fma_f32 v37, v42, v22, -v38
	s_delay_alu instid0(VALU_DEP_3) | instskip(NEXT) | instid1(VALU_DEP_2)
	v_fma_f32 v34, v44, v16, -v34
	v_add_f32_e32 v7, v7, v37
	v_mul_f32_e32 v37, v29, v23
	v_mul_f32_e32 v23, v28, v23
	s_delay_alu instid0(VALU_DEP_2) | instskip(SKIP_3) | instid1(VALU_DEP_2)
	v_fma_f32 v25, v28, v22, -v37
	v_add_f32_e32 v28, v35, v27
	v_mul_f32_e32 v35, v45, v19
	v_dual_add_f32 v1, v1, v34 :: v_dual_mul_f32 v34, v31, v17
	v_fma_f32 v35, v44, v18, -v35
	s_delay_alu instid0(VALU_DEP_1)
	v_add_f32_e32 v7, v7, v35
	v_dual_fmac_f32 v23, v29, v22 :: v_dual_add_f32 v22, v24, v25
	ds_load_2addr_b64 v[24:27], v11 offset0:224 offset1:240
	s_waitcnt lgkmcnt(0)
	s_barrier
	v_add_f32_e32 v23, v36, v23
	v_mul_f32_e32 v29, v44, v17
	v_dual_mul_f32 v36, v44, v19 :: v_dual_mul_f32 v17, v30, v17
	buffer_gl0_inv
	v_fmac_f32_e32 v29, v45, v16
	v_dual_fmac_f32 v36, v45, v18 :: v_dual_fmac_f32 v17, v31, v16
	s_delay_alu instid0(VALU_DEP_2) | instskip(SKIP_1) | instid1(VALU_DEP_3)
	v_add_f32_e32 v6, v6, v29
	v_fma_f32 v29, v30, v16, -v34
	v_dual_mul_f32 v34, v31, v19 :: v_dual_add_f32 v35, v20, v36
	s_delay_alu instid0(VALU_DEP_2) | instskip(NEXT) | instid1(VALU_DEP_2)
	v_dual_mul_f32 v19, v30, v19 :: v_dual_add_f32 v16, v28, v29
	v_fma_f32 v20, v30, v18, -v34
	v_mul_f32_e32 v28, v47, v25
	v_mul_f32_e32 v29, v46, v25
	s_delay_alu instid0(VALU_DEP_3) | instskip(NEXT) | instid1(VALU_DEP_3)
	v_dual_fmac_f32 v19, v31, v18 :: v_dual_add_f32 v30, v22, v20
	v_fma_f32 v18, v46, v24, -v28
	s_delay_alu instid0(VALU_DEP_3)
	v_fmac_f32_e32 v29, v47, v24
	v_dual_mul_f32 v20, v47, v27 :: v_dual_add_f32 v17, v21, v17
	v_mul_f32_e32 v21, v46, v27
	v_add_f32_e32 v28, v23, v19
	v_add_f32_e32 v22, v1, v18
	v_dual_mul_f32 v18, v33, v27 :: v_dual_add_f32 v23, v6, v29
	v_fma_f32 v1, v46, v26, -v20
	v_mul_f32_e32 v6, v33, v25
	v_mul_f32_e32 v19, v32, v25
	;; [unrolled: 1-line block ×3, first 2 shown]
	v_fmac_f32_e32 v21, v47, v26
	v_add_f32_e32 v20, v7, v1
	v_fma_f32 v1, v32, v24, -v6
	v_fmac_f32_e32 v19, v33, v24
	v_fma_f32 v6, v32, v26, -v18
	v_fmac_f32_e32 v25, v33, v26
	v_add_f32_e32 v21, v35, v21
	s_delay_alu instid0(VALU_DEP_4) | instskip(NEXT) | instid1(VALU_DEP_3)
	v_dual_add_f32 v18, v16, v1 :: v_dual_add_f32 v19, v17, v19
	v_dual_add_f32 v16, v30, v6 :: v_dual_add_f32 v17, v28, v25
	s_cbranch_vccnz .LBB1612_9
.LBB1612_3:                             ; =>This Inner Loop Header: Depth=1
	v_add_co_u32 v6, s8, v13, s2
	s_delay_alu instid0(VALU_DEP_1) | instskip(NEXT) | instid1(VALU_DEP_1)
	v_add_co_ci_u32_e64 v7, null, 0, s3, s8
	v_cmp_gt_i64_e32 vcc_lo, s[4:5], v[6:7]
	v_dual_mov_b32 v6, 0 :: v_dual_mov_b32 v7, 0
	s_and_b32 s9, s0, vcc_lo
	s_delay_alu instid0(SALU_CYCLE_1)
	s_and_saveexec_b32 s8, s9
	s_cbranch_execz .LBB1612_5
; %bb.4:                                ;   in Loop: Header=BB1612_3 Depth=1
	global_load_b64 v[6:7], v[2:3], off offset:-4
.LBB1612_5:                             ;   in Loop: Header=BB1612_3 Depth=1
	s_or_b32 exec_lo, exec_lo, s8
	v_add_co_u32 v24, s8, v10, s2
	s_delay_alu instid0(VALU_DEP_1) | instskip(SKIP_4) | instid1(SALU_CYCLE_1)
	v_add_co_ci_u32_e64 v25, null, 0, s3, s8
	s_waitcnt vmcnt(0)
	ds_store_b64 v14, v[6:7]
	v_cmp_le_i64_e32 vcc_lo, s[4:5], v[24:25]
	s_or_b32 s8, vcc_lo, s1
	s_and_saveexec_b32 s9, s8
	s_delay_alu instid0(SALU_CYCLE_1)
	s_xor_b32 s8, exec_lo, s9
	s_cbranch_execz .LBB1612_7
; %bb.6:                                ;   in Loop: Header=BB1612_3 Depth=1
	v_mov_b32_e32 v1, v0
	ds_store_b64 v15, v[0:1]
.LBB1612_7:                             ;   in Loop: Header=BB1612_3 Depth=1
	s_and_not1_saveexec_b32 s8, s8
	s_cbranch_execz .LBB1612_2
; %bb.8:                                ;   in Loop: Header=BB1612_3 Depth=1
	global_load_b64 v[6:7], v[4:5], off
	s_waitcnt vmcnt(0)
	ds_store_b64 v15, v[6:7]
	s_branch .LBB1612_2
.LBB1612_9:
	v_add_nc_u32_e32 v4, s14, v9
	s_delay_alu instid0(VALU_DEP_1)
	v_ashrrev_i32_e32 v0, 31, v4
	v_mul_lo_u32 v3, v4, s21
	v_mad_u64_u32 v[1:2], null, v4, s20, 0
	s_waitcnt lgkmcnt(0)
	v_cmp_gt_i32_e32 vcc_lo, s12, v4
	v_mul_lo_u32 v0, v0, s20
	s_delay_alu instid0(VALU_DEP_1) | instskip(SKIP_1) | instid1(VALU_DEP_2)
	v_add3_u32 v2, v2, v3, v0
	v_add_nc_u32_e32 v0, s13, v8
	v_lshlrev_b64 v[1:2], 3, v[1:2]
	s_delay_alu instid0(VALU_DEP_2) | instskip(NEXT) | instid1(VALU_DEP_1)
	v_cmp_le_i32_e64 s0, v0, v4
	s_and_b32 s0, vcc_lo, s0
	s_delay_alu instid0(VALU_DEP_2) | instskip(NEXT) | instid1(VALU_DEP_1)
	v_add_co_u32 v5, s1, s18, v1
	v_add_co_ci_u32_e64 v6, s1, s19, v2, s1
	s_and_saveexec_b32 s1, s0
	s_cbranch_execz .LBB1612_11
; %bb.10:
	v_ashrrev_i32_e32 v1, 31, v0
	s_delay_alu instid0(VALU_DEP_1) | instskip(NEXT) | instid1(VALU_DEP_1)
	v_lshlrev_b64 v[1:2], 3, v[0:1]
	v_add_co_u32 v1, s0, v5, v1
	s_delay_alu instid0(VALU_DEP_1)
	v_add_co_ci_u32_e64 v2, s0, v6, v2, s0
	global_load_b64 v[7:8], v[1:2], off
	v_mul_f32_e32 v3, s7, v23
	s_waitcnt vmcnt(0)
	v_dual_mul_f32 v9, s6, v23 :: v_dual_mul_f32 v10, s17, v8
	v_mul_f32_e32 v8, s16, v8
	s_delay_alu instid0(VALU_DEP_3) | instskip(NEXT) | instid1(VALU_DEP_3)
	v_fma_f32 v3, v22, s6, -v3
	v_fmac_f32_e32 v9, s7, v22
	s_delay_alu instid0(VALU_DEP_4) | instskip(NEXT) | instid1(VALU_DEP_1)
	v_fma_f32 v10, v7, s16, -v10
	v_dual_fmac_f32 v8, s17, v7 :: v_dual_add_f32 v7, v3, v10
	s_delay_alu instid0(VALU_DEP_1)
	v_add_f32_e32 v8, v9, v8
	global_store_b64 v[1:2], v[7:8], off
.LBB1612_11:
	s_or_b32 exec_lo, exec_lo, s1
	v_add_nc_u32_e32 v2, 16, v0
	s_delay_alu instid0(VALU_DEP_1) | instskip(NEXT) | instid1(VALU_DEP_1)
	v_cmp_le_i32_e64 s0, v2, v4
	s_and_b32 s1, vcc_lo, s0
	s_delay_alu instid0(SALU_CYCLE_1)
	s_and_saveexec_b32 s0, s1
	s_cbranch_execz .LBB1612_13
; %bb.12:
	v_ashrrev_i32_e32 v3, 31, v2
	s_delay_alu instid0(VALU_DEP_1) | instskip(NEXT) | instid1(VALU_DEP_1)
	v_lshlrev_b64 v[7:8], 3, v[2:3]
	v_add_co_u32 v5, vcc_lo, v5, v7
	s_delay_alu instid0(VALU_DEP_2)
	v_add_co_ci_u32_e32 v6, vcc_lo, v6, v8, vcc_lo
	global_load_b64 v[7:8], v[5:6], off
	v_mul_f32_e32 v1, s7, v21
	s_waitcnt vmcnt(0)
	v_mul_f32_e32 v9, s17, v8
	v_dual_mul_f32 v8, s16, v8 :: v_dual_mul_f32 v3, s6, v21
	s_delay_alu instid0(VALU_DEP_3) | instskip(NEXT) | instid1(VALU_DEP_3)
	v_fma_f32 v1, v20, s6, -v1
	v_fma_f32 v9, v7, s16, -v9
	s_delay_alu instid0(VALU_DEP_3) | instskip(NEXT) | instid1(VALU_DEP_1)
	v_dual_fmac_f32 v8, s17, v7 :: v_dual_fmac_f32 v3, s7, v20
	v_dual_add_f32 v7, v1, v9 :: v_dual_add_f32 v8, v3, v8
	global_store_b64 v[5:6], v[7:8], off
.LBB1612_13:
	s_or_b32 exec_lo, exec_lo, s0
	v_add_nc_u32_e32 v3, 16, v4
	s_delay_alu instid0(VALU_DEP_1) | instskip(SKIP_3) | instid1(VALU_DEP_4)
	v_ashrrev_i32_e32 v1, 31, v3
	v_mul_lo_u32 v6, v3, s21
	v_mad_u64_u32 v[4:5], null, v3, s20, 0
	v_cmp_gt_i32_e32 vcc_lo, s12, v3
	v_mul_lo_u32 v1, v1, s20
	v_cmp_le_i32_e64 s0, v0, v3
	s_delay_alu instid0(VALU_DEP_1) | instskip(NEXT) | instid1(VALU_DEP_2)
	s_and_b32 s0, vcc_lo, s0
	v_add3_u32 v5, v5, v6, v1
	s_delay_alu instid0(VALU_DEP_1) | instskip(NEXT) | instid1(VALU_DEP_1)
	v_lshlrev_b64 v[4:5], 3, v[4:5]
	v_add_co_u32 v4, s1, s18, v4
	s_delay_alu instid0(VALU_DEP_1)
	v_add_co_ci_u32_e64 v5, s1, s19, v5, s1
	s_and_saveexec_b32 s1, s0
	s_cbranch_execz .LBB1612_15
; %bb.14:
	v_ashrrev_i32_e32 v1, 31, v0
	s_delay_alu instid0(VALU_DEP_1) | instskip(NEXT) | instid1(VALU_DEP_1)
	v_lshlrev_b64 v[0:1], 3, v[0:1]
	v_add_co_u32 v0, s0, v4, v0
	s_delay_alu instid0(VALU_DEP_1) | instskip(SKIP_4) | instid1(VALU_DEP_1)
	v_add_co_ci_u32_e64 v1, s0, v5, v1, s0
	global_load_b64 v[6:7], v[0:1], off
	s_waitcnt vmcnt(0)
	v_mul_f32_e32 v10, s17, v7
	v_mul_f32_e32 v7, s16, v7
	v_fmac_f32_e32 v7, s17, v6
	s_delay_alu instid0(VALU_DEP_3) | instskip(SKIP_1) | instid1(VALU_DEP_1)
	v_fma_f32 v10, v6, s16, -v10
	v_mul_f32_e32 v9, s6, v19
	v_dual_mul_f32 v8, s7, v19 :: v_dual_fmac_f32 v9, s7, v18
	s_delay_alu instid0(VALU_DEP_1) | instskip(NEXT) | instid1(VALU_DEP_1)
	v_fma_f32 v8, v18, s6, -v8
	v_dual_add_f32 v7, v9, v7 :: v_dual_add_f32 v6, v8, v10
	global_store_b64 v[0:1], v[6:7], off
.LBB1612_15:
	s_or_b32 exec_lo, exec_lo, s1
	v_cmp_le_i32_e64 s0, v2, v3
	s_delay_alu instid0(VALU_DEP_1) | instskip(NEXT) | instid1(SALU_CYCLE_1)
	s_and_b32 s0, vcc_lo, s0
	s_and_saveexec_b32 s1, s0
	s_cbranch_execz .LBB1612_17
; %bb.16:
	v_ashrrev_i32_e32 v3, 31, v2
	s_delay_alu instid0(VALU_DEP_1) | instskip(NEXT) | instid1(VALU_DEP_1)
	v_lshlrev_b64 v[0:1], 3, v[2:3]
	v_add_co_u32 v0, vcc_lo, v4, v0
	s_delay_alu instid0(VALU_DEP_2)
	v_add_co_ci_u32_e32 v1, vcc_lo, v5, v1, vcc_lo
	global_load_b64 v[2:3], v[0:1], off
	v_mul_f32_e32 v4, s7, v17
	s_waitcnt vmcnt(0)
	v_dual_mul_f32 v5, s6, v17 :: v_dual_mul_f32 v6, s17, v3
	v_mul_f32_e32 v3, s16, v3
	s_delay_alu instid0(VALU_DEP_3) | instskip(NEXT) | instid1(VALU_DEP_3)
	v_fma_f32 v4, v16, s6, -v4
	v_fma_f32 v6, v2, s16, -v6
	s_delay_alu instid0(VALU_DEP_4) | instskip(NEXT) | instid1(VALU_DEP_4)
	v_fmac_f32_e32 v5, s7, v16
	v_fmac_f32_e32 v3, s17, v2
	s_delay_alu instid0(VALU_DEP_1)
	v_dual_add_f32 v2, v4, v6 :: v_dual_add_f32 v3, v5, v3
	global_store_b64 v[0:1], v[2:3], off
.LBB1612_17:
	s_nop 0
	s_sendmsg sendmsg(MSG_DEALLOC_VGPRS)
	s_endpgm
	.section	.rodata,"a",@progbits
	.p2align	6, 0x0
	.amdhsa_kernel _ZL34rocblas_syrkx_herkx_general_kernelIl19rocblas_complex_numIfELi16ELi32ELi8ELb0ELb0ELc67ELc85EKPKS1_KPS1_EviT_T0_PT8_S7_lSA_S7_lS8_PT9_S7_li
		.amdhsa_group_segment_fixed_size 4096
		.amdhsa_private_segment_fixed_size 0
		.amdhsa_kernarg_size 108
		.amdhsa_user_sgpr_count 13
		.amdhsa_user_sgpr_dispatch_ptr 0
		.amdhsa_user_sgpr_queue_ptr 0
		.amdhsa_user_sgpr_kernarg_segment_ptr 1
		.amdhsa_user_sgpr_dispatch_id 0
		.amdhsa_user_sgpr_private_segment_size 0
		.amdhsa_wavefront_size32 1
		.amdhsa_uses_dynamic_stack 0
		.amdhsa_enable_private_segment 0
		.amdhsa_system_sgpr_workgroup_id_x 1
		.amdhsa_system_sgpr_workgroup_id_y 1
		.amdhsa_system_sgpr_workgroup_id_z 1
		.amdhsa_system_sgpr_workgroup_info 0
		.amdhsa_system_vgpr_workitem_id 1
		.amdhsa_next_free_vgpr 59
		.amdhsa_next_free_sgpr 26
		.amdhsa_reserve_vcc 1
		.amdhsa_float_round_mode_32 0
		.amdhsa_float_round_mode_16_64 0
		.amdhsa_float_denorm_mode_32 3
		.amdhsa_float_denorm_mode_16_64 3
		.amdhsa_dx10_clamp 1
		.amdhsa_ieee_mode 1
		.amdhsa_fp16_overflow 0
		.amdhsa_workgroup_processor_mode 1
		.amdhsa_memory_ordered 1
		.amdhsa_forward_progress 0
		.amdhsa_shared_vgpr_count 0
		.amdhsa_exception_fp_ieee_invalid_op 0
		.amdhsa_exception_fp_denorm_src 0
		.amdhsa_exception_fp_ieee_div_zero 0
		.amdhsa_exception_fp_ieee_overflow 0
		.amdhsa_exception_fp_ieee_underflow 0
		.amdhsa_exception_fp_ieee_inexact 0
		.amdhsa_exception_int_div_zero 0
	.end_amdhsa_kernel
	.section	.text._ZL34rocblas_syrkx_herkx_general_kernelIl19rocblas_complex_numIfELi16ELi32ELi8ELb0ELb0ELc67ELc85EKPKS1_KPS1_EviT_T0_PT8_S7_lSA_S7_lS8_PT9_S7_li,"axG",@progbits,_ZL34rocblas_syrkx_herkx_general_kernelIl19rocblas_complex_numIfELi16ELi32ELi8ELb0ELb0ELc67ELc85EKPKS1_KPS1_EviT_T0_PT8_S7_lSA_S7_lS8_PT9_S7_li,comdat
.Lfunc_end1612:
	.size	_ZL34rocblas_syrkx_herkx_general_kernelIl19rocblas_complex_numIfELi16ELi32ELi8ELb0ELb0ELc67ELc85EKPKS1_KPS1_EviT_T0_PT8_S7_lSA_S7_lS8_PT9_S7_li, .Lfunc_end1612-_ZL34rocblas_syrkx_herkx_general_kernelIl19rocblas_complex_numIfELi16ELi32ELi8ELb0ELb0ELc67ELc85EKPKS1_KPS1_EviT_T0_PT8_S7_lSA_S7_lS8_PT9_S7_li
                                        ; -- End function
	.section	.AMDGPU.csdata,"",@progbits
; Kernel info:
; codeLenInByte = 2700
; NumSgprs: 28
; NumVgprs: 59
; ScratchSize: 0
; MemoryBound: 1
; FloatMode: 240
; IeeeMode: 1
; LDSByteSize: 4096 bytes/workgroup (compile time only)
; SGPRBlocks: 3
; VGPRBlocks: 7
; NumSGPRsForWavesPerEU: 28
; NumVGPRsForWavesPerEU: 59
; Occupancy: 16
; WaveLimiterHint : 1
; COMPUTE_PGM_RSRC2:SCRATCH_EN: 0
; COMPUTE_PGM_RSRC2:USER_SGPR: 13
; COMPUTE_PGM_RSRC2:TRAP_HANDLER: 0
; COMPUTE_PGM_RSRC2:TGID_X_EN: 1
; COMPUTE_PGM_RSRC2:TGID_Y_EN: 1
; COMPUTE_PGM_RSRC2:TGID_Z_EN: 1
; COMPUTE_PGM_RSRC2:TIDIG_COMP_CNT: 1
	.section	.text._ZL34rocblas_syrkx_herkx_general_kernelIl19rocblas_complex_numIfELi16ELi32ELi8ELb0ELb0ELc78ELc85EKPKS1_KPS1_EviT_T0_PT8_S7_lSA_S7_lS8_PT9_S7_li,"axG",@progbits,_ZL34rocblas_syrkx_herkx_general_kernelIl19rocblas_complex_numIfELi16ELi32ELi8ELb0ELb0ELc78ELc85EKPKS1_KPS1_EviT_T0_PT8_S7_lSA_S7_lS8_PT9_S7_li,comdat
	.globl	_ZL34rocblas_syrkx_herkx_general_kernelIl19rocblas_complex_numIfELi16ELi32ELi8ELb0ELb0ELc78ELc85EKPKS1_KPS1_EviT_T0_PT8_S7_lSA_S7_lS8_PT9_S7_li ; -- Begin function _ZL34rocblas_syrkx_herkx_general_kernelIl19rocblas_complex_numIfELi16ELi32ELi8ELb0ELb0ELc78ELc85EKPKS1_KPS1_EviT_T0_PT8_S7_lSA_S7_lS8_PT9_S7_li
	.p2align	8
	.type	_ZL34rocblas_syrkx_herkx_general_kernelIl19rocblas_complex_numIfELi16ELi32ELi8ELb0ELb0ELc78ELc85EKPKS1_KPS1_EviT_T0_PT8_S7_lSA_S7_lS8_PT9_S7_li,@function
_ZL34rocblas_syrkx_herkx_general_kernelIl19rocblas_complex_numIfELi16ELi32ELi8ELb0ELb0ELc78ELc85EKPKS1_KPS1_EviT_T0_PT8_S7_lSA_S7_lS8_PT9_S7_li: ; @_ZL34rocblas_syrkx_herkx_general_kernelIl19rocblas_complex_numIfELi16ELi32ELi8ELb0ELb0ELc78ELc85EKPKS1_KPS1_EviT_T0_PT8_S7_lSA_S7_lS8_PT9_S7_li
; %bb.0:
	s_clause 0x1
	s_load_b128 s[16:19], s[0:1], 0x48
	s_load_b256 s[4:11], s[0:1], 0x8
	s_mov_b32 s2, s15
	s_mov_b32 s3, 0
	s_load_b64 s[20:21], s[0:1], 0x58
	s_lshl_b64 s[22:23], s[2:3], 3
	v_dual_mov_b32 v23, 0 :: v_dual_and_b32 v8, 0x3ff, v0
	v_bfe_u32 v9, v0, 10, 10
	v_dual_mov_b32 v22, 0 :: v_dual_mov_b32 v21, 0
	v_dual_mov_b32 v20, 0 :: v_dual_mov_b32 v19, 0
	;; [unrolled: 1-line block ×3, first 2 shown]
	v_mov_b32_e32 v16, 0
	s_waitcnt lgkmcnt(0)
	s_add_u32 s2, s18, s22
	s_addc_u32 s3, s19, s23
	s_load_b32 s18, s[0:1], 0x0
	s_load_b64 s[2:3], s[2:3], 0x0
	v_cmp_lt_i64_e64 s12, s[4:5], 1
	s_lshl_b32 s19, s13, 5
	s_lshl_b32 s24, s14, 5
	s_delay_alu instid0(VALU_DEP_1)
	s_and_b32 vcc_lo, exec_lo, s12
	s_cbranch_vccnz .LBB1613_9
; %bb.1:
	s_load_b128 s[12:15], s[0:1], 0x30
	v_lshl_add_u32 v1, v9, 4, v8
	v_and_b32_e32 v10, 7, v8
	v_dual_mov_b32 v0, 0 :: v_dual_lshlrev_b32 v11, 3, v8
	v_lshl_add_u32 v12, v9, 6, 0x800
	s_delay_alu instid0(VALU_DEP_4) | instskip(SKIP_3) | instid1(VALU_DEP_4)
	v_lshrrev_b32_e32 v13, 5, v1
	v_lshrrev_b32_e32 v2, 3, v1
	v_lshlrev_b32_e32 v14, 3, v10
	v_dual_mov_b32 v22, 0 :: v_dual_mov_b32 v23, 0
	v_mad_u64_u32 v[5:6], null, s10, v13, 0
	s_waitcnt lgkmcnt(0)
	v_mad_u64_u32 v[3:4], null, s14, v10, 0
	s_add_u32 s12, s12, s22
	s_addc_u32 s13, s13, s23
	s_add_u32 s8, s8, s22
	s_load_b64 s[12:13], s[12:13], 0x0
	s_addc_u32 s9, s9, s23
	s_delay_alu instid0(VALU_DEP_1) | instskip(SKIP_3) | instid1(VALU_DEP_2)
	v_mad_u64_u32 v[18:19], null, s15, v10, v[4:5]
	v_and_b32_e32 v7, 31, v1
	s_load_b64 s[22:23], s[8:9], 0x0
	s_lshl_b64 s[8:9], s[10:11], 6
	v_mov_b32_e32 v4, v18
	s_delay_alu instid0(VALU_DEP_2)
	v_mad_u64_u32 v[19:20], null, s11, v13, v[6:7]
	v_add_nc_u32_e32 v1, s24, v2
	v_or_b32_e32 v15, s19, v7
	v_lshlrev_b32_e32 v17, 3, v7
	v_add_nc_u32_e32 v16, s19, v7
	v_lshlrev_b64 v[3:4], 3, v[3:4]
	v_mov_b32_e32 v20, 0
	v_dual_mov_b32 v6, v19 :: v_dual_mov_b32 v19, 0
	v_lshl_or_b32 v21, v2, 6, v14
	v_ashrrev_i32_e32 v2, 31, v1
	v_cmp_gt_i32_e32 vcc_lo, s18, v15
	v_lshl_or_b32 v14, v13, 8, v17
	v_cmp_gt_i32_e64 s0, s18, v1
	v_dual_mov_b32 v18, 0 :: v_dual_add_nc_u32 v15, 0x800, v21
	v_mov_b32_e32 v21, 0
	v_ashrrev_i32_e32 v17, 31, v16
	v_lshlrev_b64 v[1:2], 3, v[1:2]
	v_lshlrev_b64 v[5:6], 3, v[5:6]
	s_lshl_b64 s[10:11], s[14:15], 6
	s_delay_alu instid0(VALU_DEP_3) | instskip(NEXT) | instid1(VALU_DEP_3)
	v_lshlrev_b64 v[16:17], 3, v[16:17]
	v_add_co_u32 v1, s1, v3, v1
	s_delay_alu instid0(VALU_DEP_1) | instskip(NEXT) | instid1(VALU_DEP_3)
	v_add_co_ci_u32_e64 v2, s1, v4, v2, s1
	v_add_co_u32 v3, s1, v5, v16
	s_delay_alu instid0(VALU_DEP_1) | instskip(SKIP_2) | instid1(VALU_DEP_1)
	v_add_co_ci_u32_e64 v4, s1, v6, v17, s1
	s_waitcnt lgkmcnt(0)
	v_add_co_u32 v1, s1, v1, s12
	v_add_co_ci_u32_e64 v5, s1, s13, v2, s1
	v_add_co_u32 v2, s1, s22, v3
	s_delay_alu instid0(VALU_DEP_1) | instskip(NEXT) | instid1(VALU_DEP_4)
	v_add_co_ci_u32_e64 v3, s1, s23, v4, s1
	v_add_co_u32 v4, s1, v1, 4
	s_delay_alu instid0(VALU_DEP_1)
	v_add_co_ci_u32_e64 v5, s1, 0, v5, s1
	v_dual_mov_b32 v17, 0 :: v_dual_mov_b32 v16, 0
	s_mov_b64 s[12:13], 0
	s_xor_b32 s1, vcc_lo, -1
	s_branch .LBB1613_3
.LBB1613_2:                             ;   in Loop: Header=BB1613_3 Depth=1
	s_or_b32 exec_lo, exec_lo, s14
	s_waitcnt vmcnt(0)
	ds_store_b64 v15, v[6:7]
	s_waitcnt lgkmcnt(0)
	s_barrier
	buffer_gl0_inv
	ds_load_2addr_b64 v[24:27], v11 offset1:16
	ds_load_b128 v[28:31], v12
	ds_load_b128 v[32:35], v12 offset:1024
	ds_load_b128 v[36:39], v12 offset:16
	;; [unrolled: 1-line block ×4, first 2 shown]
	ds_load_2addr_b64 v[48:51], v11 offset0:32 offset1:48
	ds_load_b128 v[52:55], v12 offset:1040
	s_add_u32 s12, s12, 8
	s_addc_u32 s13, s13, 0
	v_add_co_u32 v2, vcc_lo, v2, s8
	v_cmp_ge_i64_e64 s14, s[12:13], s[4:5]
	v_add_co_ci_u32_e32 v3, vcc_lo, s9, v3, vcc_lo
	v_add_co_u32 v4, vcc_lo, v4, s10
	v_add_co_ci_u32_e32 v5, vcc_lo, s11, v5, vcc_lo
	s_delay_alu instid0(VALU_DEP_4)
	s_and_b32 vcc_lo, exec_lo, s14
	s_waitcnt lgkmcnt(6)
	v_dual_mul_f32 v1, v29, v25 :: v_dual_mul_f32 v56, v28, v27
	v_dual_mul_f32 v6, v28, v25 :: v_dual_mul_f32 v7, v29, v27
	s_waitcnt lgkmcnt(5)
	v_mul_f32_e32 v58, v33, v27
	s_delay_alu instid0(VALU_DEP_3) | instskip(SKIP_3) | instid1(VALU_DEP_4)
	v_fma_f32 v1, v28, v24, -v1
	v_dual_mul_f32 v27, v32, v27 :: v_dual_fmac_f32 v56, v29, v26
	v_fmac_f32_e32 v6, v29, v24
	v_fma_f32 v7, v28, v26, -v7
	v_add_f32_e32 v1, v22, v1
	v_mul_f32_e32 v57, v33, v25
	s_delay_alu instid0(VALU_DEP_4) | instskip(NEXT) | instid1(VALU_DEP_4)
	v_dual_mul_f32 v25, v32, v25 :: v_dual_add_f32 v6, v23, v6
	v_dual_add_f32 v7, v20, v7 :: v_dual_add_f32 v22, v21, v56
	s_delay_alu instid0(VALU_DEP_3) | instskip(NEXT) | instid1(VALU_DEP_3)
	v_fma_f32 v28, v32, v24, -v57
	v_fmac_f32_e32 v25, v33, v24
	v_fma_f32 v24, v32, v26, -v58
	v_fmac_f32_e32 v27, v33, v26
	s_waitcnt lgkmcnt(1)
	v_dual_add_f32 v23, v18, v28 :: v_dual_mul_f32 v28, v31, v49
	s_delay_alu instid0(VALU_DEP_3)
	v_dual_add_f32 v25, v19, v25 :: v_dual_add_f32 v16, v16, v24
	v_mul_f32_e32 v24, v30, v49
	ds_load_2addr_b64 v[18:21], v11 offset0:64 offset1:80
	v_fma_f32 v26, v30, v48, -v28
	v_mul_f32_e32 v28, v31, v51
	v_dual_add_f32 v17, v17, v27 :: v_dual_fmac_f32 v24, v31, v48
	v_mul_f32_e32 v27, v30, v51
	s_delay_alu instid0(VALU_DEP_4) | instskip(NEXT) | instid1(VALU_DEP_4)
	v_add_f32_e32 v1, v1, v26
	v_fma_f32 v26, v30, v50, -v28
	v_mul_f32_e32 v28, v35, v49
	s_delay_alu instid0(VALU_DEP_4) | instskip(SKIP_1) | instid1(VALU_DEP_1)
	v_dual_add_f32 v6, v6, v24 :: v_dual_fmac_f32 v27, v31, v50
	v_mul_f32_e32 v24, v34, v49
	v_dual_add_f32 v27, v22, v27 :: v_dual_fmac_f32 v24, v35, v48
	v_add_f32_e32 v7, v7, v26
	v_fma_f32 v26, v34, v48, -v28
	v_mul_f32_e32 v29, v34, v51
	s_waitcnt lgkmcnt(0)
	v_mul_f32_e32 v30, v36, v19
	v_mul_f32_e32 v32, v37, v21
	v_add_f32_e32 v26, v23, v26
	v_fmac_f32_e32 v29, v35, v50
	v_mul_f32_e32 v28, v35, v51
	v_fmac_f32_e32 v30, v37, v18
	s_delay_alu instid0(VALU_DEP_3) | instskip(SKIP_1) | instid1(VALU_DEP_4)
	v_add_f32_e32 v29, v17, v29
	v_mul_f32_e32 v17, v36, v21
	v_fma_f32 v22, v34, v50, -v28
	v_mul_f32_e32 v23, v37, v19
	v_add_f32_e32 v28, v25, v24
	v_add_f32_e32 v6, v6, v30
	v_mul_f32_e32 v30, v53, v19
	v_add_f32_e32 v16, v16, v22
	v_fma_f32 v31, v36, v18, -v23
	ds_load_2addr_b64 v[22:25], v11 offset0:96 offset1:112
	v_mul_f32_e32 v19, v52, v19
	v_add_f32_e32 v1, v1, v31
	v_fma_f32 v31, v36, v20, -v32
	s_delay_alu instid0(VALU_DEP_1) | instskip(SKIP_4) | instid1(VALU_DEP_2)
	v_add_f32_e32 v7, v7, v31
	v_mul_f32_e32 v31, v53, v21
	v_mul_f32_e32 v21, v52, v21
	v_fma_f32 v30, v52, v18, -v30
	v_fmac_f32_e32 v17, v37, v20
	v_dual_fmac_f32 v21, v53, v20 :: v_dual_add_f32 v30, v26, v30
	s_delay_alu instid0(VALU_DEP_2)
	v_dual_fmac_f32 v19, v53, v18 :: v_dual_add_f32 v32, v27, v17
	v_fma_f32 v17, v52, v20, -v31
	s_waitcnt lgkmcnt(0)
	v_mul_f32_e32 v26, v38, v23
	v_mul_f32_e32 v20, v39, v23
	v_dual_add_f32 v31, v28, v19 :: v_dual_add_f32 v34, v29, v21
	v_add_f32_e32 v33, v16, v17
	ds_load_2addr_b64 v[16:19], v11 offset0:128 offset1:144
	v_fmac_f32_e32 v26, v39, v22
	v_mul_f32_e32 v27, v39, v25
	v_mul_f32_e32 v21, v38, v25
	;; [unrolled: 1-line block ×4, first 2 shown]
	v_fma_f32 v20, v38, v22, -v20
	v_add_f32_e32 v6, v6, v26
	v_fma_f32 v27, v38, v24, -v27
	s_waitcnt lgkmcnt(0)
	v_dual_fmac_f32 v25, v55, v24 :: v_dual_mul_f32 v38, v40, v17
	s_delay_alu instid0(VALU_DEP_1) | instskip(NEXT) | instid1(VALU_DEP_2)
	v_dual_add_f32 v25, v34, v25 :: v_dual_mul_f32 v34, v40, v19
	v_fmac_f32_e32 v38, v41, v16
	v_fmac_f32_e32 v21, v39, v24
	v_dual_add_f32 v1, v1, v20 :: v_dual_mul_f32 v20, v55, v23
	s_delay_alu instid0(VALU_DEP_4) | instskip(NEXT) | instid1(VALU_DEP_4)
	v_fmac_f32_e32 v34, v41, v18
	v_add_f32_e32 v6, v6, v38
	s_delay_alu instid0(VALU_DEP_4)
	v_add_f32_e32 v36, v32, v21
	v_fma_f32 v21, v54, v24, -v35
	v_add_f32_e32 v7, v7, v27
	ds_load_b128 v[26:29], v12 offset:1056
	v_mul_f32_e32 v23, v54, v23
	v_fma_f32 v20, v54, v22, -v20
	v_add_f32_e32 v24, v33, v21
	v_add_f32_e32 v34, v36, v34
	s_delay_alu instid0(VALU_DEP_4) | instskip(NEXT) | instid1(VALU_DEP_4)
	v_fmac_f32_e32 v23, v55, v22
	v_dual_add_f32 v35, v30, v20 :: v_dual_mul_f32 v20, v41, v17
	s_delay_alu instid0(VALU_DEP_2) | instskip(SKIP_1) | instid1(VALU_DEP_3)
	v_add_f32_e32 v37, v31, v23
	v_mul_f32_e32 v31, v41, v19
	v_fma_f32 v30, v40, v16, -v20
	ds_load_2addr_b64 v[20:23], v11 offset0:160 offset1:176
	v_fma_f32 v39, v40, v18, -v31
	v_add_f32_e32 v1, v1, v30
	ds_load_b128 v[30:33], v12 offset:1072
	s_waitcnt lgkmcnt(2)
	v_mul_f32_e32 v36, v26, v19
	v_mul_f32_e32 v40, v27, v17
	s_delay_alu instid0(VALU_DEP_2) | instskip(NEXT) | instid1(VALU_DEP_2)
	v_dual_fmac_f32 v36, v27, v18 :: v_dual_mul_f32 v17, v26, v17
	v_fma_f32 v38, v26, v16, -v40
	s_delay_alu instid0(VALU_DEP_2)
	v_fmac_f32_e32 v17, v27, v16
	v_add_f32_e32 v7, v7, v39
	v_mul_f32_e32 v39, v27, v19
	s_waitcnt lgkmcnt(1)
	v_mul_f32_e32 v27, v42, v21
	v_mul_f32_e32 v19, v43, v21
	s_delay_alu instid0(VALU_DEP_3) | instskip(NEXT) | instid1(VALU_DEP_1)
	v_fma_f32 v16, v26, v18, -v39
	v_add_f32_e32 v24, v24, v16
	s_delay_alu instid0(VALU_DEP_4) | instskip(SKIP_1) | instid1(VALU_DEP_2)
	v_fmac_f32_e32 v27, v43, v20
	v_add_f32_e32 v36, v25, v36
	v_add_f32_e32 v6, v6, v27
	;; [unrolled: 1-line block ×3, first 2 shown]
	v_fma_f32 v37, v42, v20, -v19
	ds_load_2addr_b64 v[16:19], v11 offset0:192 offset1:208
	v_mul_f32_e32 v25, v42, v23
	v_add_f32_e32 v35, v35, v38
	v_dual_mul_f32 v38, v43, v23 :: v_dual_mul_f32 v27, v29, v21
	v_mul_f32_e32 v21, v28, v21
	s_delay_alu instid0(VALU_DEP_4) | instskip(NEXT) | instid1(VALU_DEP_3)
	v_fmac_f32_e32 v25, v43, v22
	v_fma_f32 v27, v28, v20, -v27
	s_delay_alu instid0(VALU_DEP_2) | instskip(NEXT) | instid1(VALU_DEP_1)
	v_dual_fmac_f32 v21, v29, v20 :: v_dual_add_f32 v20, v34, v25
	v_add_f32_e32 v21, v26, v21
	s_waitcnt lgkmcnt(0)
	v_mul_f32_e32 v34, v45, v17
	v_add_f32_e32 v1, v1, v37
	v_fma_f32 v37, v42, v22, -v38
	s_delay_alu instid0(VALU_DEP_3) | instskip(NEXT) | instid1(VALU_DEP_2)
	v_fma_f32 v34, v44, v16, -v34
	v_add_f32_e32 v7, v7, v37
	v_mul_f32_e32 v37, v29, v23
	v_mul_f32_e32 v23, v28, v23
	s_delay_alu instid0(VALU_DEP_2) | instskip(SKIP_3) | instid1(VALU_DEP_2)
	v_fma_f32 v25, v28, v22, -v37
	v_add_f32_e32 v28, v35, v27
	v_mul_f32_e32 v35, v45, v19
	v_dual_add_f32 v1, v1, v34 :: v_dual_mul_f32 v34, v31, v17
	v_fma_f32 v35, v44, v18, -v35
	s_delay_alu instid0(VALU_DEP_1)
	v_add_f32_e32 v7, v7, v35
	v_dual_fmac_f32 v23, v29, v22 :: v_dual_add_f32 v22, v24, v25
	ds_load_2addr_b64 v[24:27], v11 offset0:224 offset1:240
	s_waitcnt lgkmcnt(0)
	s_barrier
	v_add_f32_e32 v23, v36, v23
	v_mul_f32_e32 v29, v44, v17
	v_dual_mul_f32 v36, v44, v19 :: v_dual_mul_f32 v17, v30, v17
	buffer_gl0_inv
	v_fmac_f32_e32 v29, v45, v16
	v_dual_fmac_f32 v36, v45, v18 :: v_dual_fmac_f32 v17, v31, v16
	s_delay_alu instid0(VALU_DEP_2) | instskip(SKIP_1) | instid1(VALU_DEP_3)
	v_add_f32_e32 v6, v6, v29
	v_fma_f32 v29, v30, v16, -v34
	v_dual_mul_f32 v34, v31, v19 :: v_dual_add_f32 v35, v20, v36
	s_delay_alu instid0(VALU_DEP_2) | instskip(NEXT) | instid1(VALU_DEP_2)
	v_dual_mul_f32 v19, v30, v19 :: v_dual_add_f32 v16, v28, v29
	v_fma_f32 v20, v30, v18, -v34
	v_mul_f32_e32 v28, v47, v25
	v_mul_f32_e32 v29, v46, v25
	s_delay_alu instid0(VALU_DEP_3) | instskip(NEXT) | instid1(VALU_DEP_3)
	v_dual_fmac_f32 v19, v31, v18 :: v_dual_add_f32 v30, v22, v20
	v_fma_f32 v18, v46, v24, -v28
	s_delay_alu instid0(VALU_DEP_3)
	v_fmac_f32_e32 v29, v47, v24
	v_dual_mul_f32 v20, v47, v27 :: v_dual_add_f32 v17, v21, v17
	v_mul_f32_e32 v21, v46, v27
	v_add_f32_e32 v28, v23, v19
	v_add_f32_e32 v22, v1, v18
	v_dual_mul_f32 v18, v33, v27 :: v_dual_add_f32 v23, v6, v29
	v_fma_f32 v1, v46, v26, -v20
	v_mul_f32_e32 v6, v33, v25
	v_mul_f32_e32 v19, v32, v25
	;; [unrolled: 1-line block ×3, first 2 shown]
	v_fmac_f32_e32 v21, v47, v26
	v_add_f32_e32 v20, v7, v1
	v_fma_f32 v1, v32, v24, -v6
	v_fmac_f32_e32 v19, v33, v24
	v_fma_f32 v6, v32, v26, -v18
	v_fmac_f32_e32 v25, v33, v26
	v_add_f32_e32 v21, v35, v21
	s_delay_alu instid0(VALU_DEP_4) | instskip(NEXT) | instid1(VALU_DEP_3)
	v_dual_add_f32 v18, v16, v1 :: v_dual_add_f32 v19, v17, v19
	v_dual_add_f32 v16, v30, v6 :: v_dual_add_f32 v17, v28, v25
	s_cbranch_vccnz .LBB1613_9
.LBB1613_3:                             ; =>This Inner Loop Header: Depth=1
	v_add_co_u32 v6, s14, v13, s12
	s_delay_alu instid0(VALU_DEP_1) | instskip(NEXT) | instid1(VALU_DEP_1)
	v_add_co_ci_u32_e64 v7, null, 0, s13, s14
	v_cmp_le_i64_e32 vcc_lo, s[4:5], v[6:7]
	s_or_b32 s14, s1, vcc_lo
	s_delay_alu instid0(SALU_CYCLE_1) | instskip(NEXT) | instid1(SALU_CYCLE_1)
	s_and_saveexec_b32 s15, s14
	s_xor_b32 s14, exec_lo, s15
	s_cbranch_execz .LBB1613_5
; %bb.4:                                ;   in Loop: Header=BB1613_3 Depth=1
	v_mov_b32_e32 v1, v0
	ds_store_b64 v14, v[0:1]
.LBB1613_5:                             ;   in Loop: Header=BB1613_3 Depth=1
	s_and_not1_saveexec_b32 s14, s14
	s_cbranch_execz .LBB1613_7
; %bb.6:                                ;   in Loop: Header=BB1613_3 Depth=1
	global_load_b64 v[6:7], v[2:3], off
	s_waitcnt vmcnt(0)
	ds_store_b64 v14, v[6:7]
.LBB1613_7:                             ;   in Loop: Header=BB1613_3 Depth=1
	s_or_b32 exec_lo, exec_lo, s14
	v_add_co_u32 v6, s14, v10, s12
	s_delay_alu instid0(VALU_DEP_1) | instskip(NEXT) | instid1(VALU_DEP_1)
	v_add_co_ci_u32_e64 v7, null, 0, s13, s14
	v_cmp_gt_i64_e32 vcc_lo, s[4:5], v[6:7]
	v_dual_mov_b32 v6, 0 :: v_dual_mov_b32 v7, 0
	s_and_b32 s15, vcc_lo, s0
	s_delay_alu instid0(SALU_CYCLE_1)
	s_and_saveexec_b32 s14, s15
	s_cbranch_execz .LBB1613_2
; %bb.8:                                ;   in Loop: Header=BB1613_3 Depth=1
	global_load_b64 v[6:7], v[4:5], off offset:-4
	s_branch .LBB1613_2
.LBB1613_9:
	v_add_nc_u32_e32 v4, s24, v9
	s_delay_alu instid0(VALU_DEP_1)
	v_ashrrev_i32_e32 v0, 31, v4
	v_mul_lo_u32 v3, v4, s21
	v_mad_u64_u32 v[1:2], null, v4, s20, 0
	s_waitcnt lgkmcnt(0)
	v_cmp_gt_i32_e32 vcc_lo, s18, v4
	v_mul_lo_u32 v0, v0, s20
	s_delay_alu instid0(VALU_DEP_1) | instskip(SKIP_1) | instid1(VALU_DEP_2)
	v_add3_u32 v2, v2, v3, v0
	v_add_nc_u32_e32 v0, s19, v8
	v_lshlrev_b64 v[1:2], 3, v[1:2]
	s_delay_alu instid0(VALU_DEP_2) | instskip(NEXT) | instid1(VALU_DEP_1)
	v_cmp_le_i32_e64 s0, v0, v4
	s_and_b32 s0, vcc_lo, s0
	s_delay_alu instid0(VALU_DEP_2) | instskip(NEXT) | instid1(VALU_DEP_1)
	v_add_co_u32 v5, s1, s2, v1
	v_add_co_ci_u32_e64 v6, s1, s3, v2, s1
	s_and_saveexec_b32 s1, s0
	s_cbranch_execz .LBB1613_11
; %bb.10:
	v_ashrrev_i32_e32 v1, 31, v0
	s_delay_alu instid0(VALU_DEP_1) | instskip(NEXT) | instid1(VALU_DEP_1)
	v_lshlrev_b64 v[1:2], 3, v[0:1]
	v_add_co_u32 v1, s0, v5, v1
	s_delay_alu instid0(VALU_DEP_1)
	v_add_co_ci_u32_e64 v2, s0, v6, v2, s0
	global_load_b64 v[7:8], v[1:2], off
	v_mul_f32_e32 v3, s7, v23
	s_waitcnt vmcnt(0)
	v_dual_mul_f32 v9, s6, v23 :: v_dual_mul_f32 v10, s17, v8
	v_mul_f32_e32 v8, s16, v8
	s_delay_alu instid0(VALU_DEP_3) | instskip(NEXT) | instid1(VALU_DEP_3)
	v_fma_f32 v3, v22, s6, -v3
	v_fmac_f32_e32 v9, s7, v22
	s_delay_alu instid0(VALU_DEP_4) | instskip(NEXT) | instid1(VALU_DEP_1)
	v_fma_f32 v10, v7, s16, -v10
	v_dual_fmac_f32 v8, s17, v7 :: v_dual_add_f32 v7, v3, v10
	s_delay_alu instid0(VALU_DEP_1)
	v_add_f32_e32 v8, v9, v8
	global_store_b64 v[1:2], v[7:8], off
.LBB1613_11:
	s_or_b32 exec_lo, exec_lo, s1
	v_add_nc_u32_e32 v2, 16, v0
	s_delay_alu instid0(VALU_DEP_1) | instskip(NEXT) | instid1(VALU_DEP_1)
	v_cmp_le_i32_e64 s0, v2, v4
	s_and_b32 s1, vcc_lo, s0
	s_delay_alu instid0(SALU_CYCLE_1)
	s_and_saveexec_b32 s0, s1
	s_cbranch_execz .LBB1613_13
; %bb.12:
	v_ashrrev_i32_e32 v3, 31, v2
	s_delay_alu instid0(VALU_DEP_1) | instskip(NEXT) | instid1(VALU_DEP_1)
	v_lshlrev_b64 v[7:8], 3, v[2:3]
	v_add_co_u32 v5, vcc_lo, v5, v7
	s_delay_alu instid0(VALU_DEP_2)
	v_add_co_ci_u32_e32 v6, vcc_lo, v6, v8, vcc_lo
	global_load_b64 v[7:8], v[5:6], off
	v_mul_f32_e32 v1, s7, v21
	s_waitcnt vmcnt(0)
	v_mul_f32_e32 v9, s17, v8
	v_dual_mul_f32 v8, s16, v8 :: v_dual_mul_f32 v3, s6, v21
	s_delay_alu instid0(VALU_DEP_3) | instskip(NEXT) | instid1(VALU_DEP_3)
	v_fma_f32 v1, v20, s6, -v1
	v_fma_f32 v9, v7, s16, -v9
	s_delay_alu instid0(VALU_DEP_3) | instskip(NEXT) | instid1(VALU_DEP_1)
	v_dual_fmac_f32 v8, s17, v7 :: v_dual_fmac_f32 v3, s7, v20
	v_dual_add_f32 v7, v1, v9 :: v_dual_add_f32 v8, v3, v8
	global_store_b64 v[5:6], v[7:8], off
.LBB1613_13:
	s_or_b32 exec_lo, exec_lo, s0
	v_add_nc_u32_e32 v3, 16, v4
	s_delay_alu instid0(VALU_DEP_1) | instskip(SKIP_3) | instid1(VALU_DEP_4)
	v_ashrrev_i32_e32 v1, 31, v3
	v_mul_lo_u32 v6, v3, s21
	v_mad_u64_u32 v[4:5], null, v3, s20, 0
	v_cmp_gt_i32_e32 vcc_lo, s18, v3
	v_mul_lo_u32 v1, v1, s20
	v_cmp_le_i32_e64 s0, v0, v3
	s_delay_alu instid0(VALU_DEP_1) | instskip(NEXT) | instid1(VALU_DEP_2)
	s_and_b32 s0, vcc_lo, s0
	v_add3_u32 v5, v5, v6, v1
	s_delay_alu instid0(VALU_DEP_1) | instskip(NEXT) | instid1(VALU_DEP_1)
	v_lshlrev_b64 v[4:5], 3, v[4:5]
	v_add_co_u32 v4, s1, s2, v4
	s_delay_alu instid0(VALU_DEP_1)
	v_add_co_ci_u32_e64 v5, s1, s3, v5, s1
	s_and_saveexec_b32 s1, s0
	s_cbranch_execz .LBB1613_15
; %bb.14:
	v_ashrrev_i32_e32 v1, 31, v0
	s_delay_alu instid0(VALU_DEP_1) | instskip(NEXT) | instid1(VALU_DEP_1)
	v_lshlrev_b64 v[0:1], 3, v[0:1]
	v_add_co_u32 v0, s0, v4, v0
	s_delay_alu instid0(VALU_DEP_1) | instskip(SKIP_4) | instid1(VALU_DEP_1)
	v_add_co_ci_u32_e64 v1, s0, v5, v1, s0
	global_load_b64 v[6:7], v[0:1], off
	s_waitcnt vmcnt(0)
	v_mul_f32_e32 v10, s17, v7
	v_mul_f32_e32 v7, s16, v7
	v_fmac_f32_e32 v7, s17, v6
	s_delay_alu instid0(VALU_DEP_3) | instskip(SKIP_1) | instid1(VALU_DEP_1)
	v_fma_f32 v10, v6, s16, -v10
	v_mul_f32_e32 v9, s6, v19
	v_dual_mul_f32 v8, s7, v19 :: v_dual_fmac_f32 v9, s7, v18
	s_delay_alu instid0(VALU_DEP_1) | instskip(NEXT) | instid1(VALU_DEP_1)
	v_fma_f32 v8, v18, s6, -v8
	v_dual_add_f32 v7, v9, v7 :: v_dual_add_f32 v6, v8, v10
	global_store_b64 v[0:1], v[6:7], off
.LBB1613_15:
	s_or_b32 exec_lo, exec_lo, s1
	v_cmp_le_i32_e64 s0, v2, v3
	s_delay_alu instid0(VALU_DEP_1) | instskip(NEXT) | instid1(SALU_CYCLE_1)
	s_and_b32 s0, vcc_lo, s0
	s_and_saveexec_b32 s1, s0
	s_cbranch_execz .LBB1613_17
; %bb.16:
	v_ashrrev_i32_e32 v3, 31, v2
	s_delay_alu instid0(VALU_DEP_1) | instskip(NEXT) | instid1(VALU_DEP_1)
	v_lshlrev_b64 v[0:1], 3, v[2:3]
	v_add_co_u32 v0, vcc_lo, v4, v0
	s_delay_alu instid0(VALU_DEP_2)
	v_add_co_ci_u32_e32 v1, vcc_lo, v5, v1, vcc_lo
	global_load_b64 v[2:3], v[0:1], off
	v_mul_f32_e32 v4, s7, v17
	s_waitcnt vmcnt(0)
	v_dual_mul_f32 v5, s6, v17 :: v_dual_mul_f32 v6, s17, v3
	v_mul_f32_e32 v3, s16, v3
	s_delay_alu instid0(VALU_DEP_3) | instskip(NEXT) | instid1(VALU_DEP_3)
	v_fma_f32 v4, v16, s6, -v4
	v_fma_f32 v6, v2, s16, -v6
	s_delay_alu instid0(VALU_DEP_4) | instskip(NEXT) | instid1(VALU_DEP_4)
	v_fmac_f32_e32 v5, s7, v16
	v_fmac_f32_e32 v3, s17, v2
	s_delay_alu instid0(VALU_DEP_1)
	v_dual_add_f32 v2, v4, v6 :: v_dual_add_f32 v3, v5, v3
	global_store_b64 v[0:1], v[2:3], off
.LBB1613_17:
	s_nop 0
	s_sendmsg sendmsg(MSG_DEALLOC_VGPRS)
	s_endpgm
	.section	.rodata,"a",@progbits
	.p2align	6, 0x0
	.amdhsa_kernel _ZL34rocblas_syrkx_herkx_general_kernelIl19rocblas_complex_numIfELi16ELi32ELi8ELb0ELb0ELc78ELc85EKPKS1_KPS1_EviT_T0_PT8_S7_lSA_S7_lS8_PT9_S7_li
		.amdhsa_group_segment_fixed_size 4096
		.amdhsa_private_segment_fixed_size 0
		.amdhsa_kernarg_size 108
		.amdhsa_user_sgpr_count 13
		.amdhsa_user_sgpr_dispatch_ptr 0
		.amdhsa_user_sgpr_queue_ptr 0
		.amdhsa_user_sgpr_kernarg_segment_ptr 1
		.amdhsa_user_sgpr_dispatch_id 0
		.amdhsa_user_sgpr_private_segment_size 0
		.amdhsa_wavefront_size32 1
		.amdhsa_uses_dynamic_stack 0
		.amdhsa_enable_private_segment 0
		.amdhsa_system_sgpr_workgroup_id_x 1
		.amdhsa_system_sgpr_workgroup_id_y 1
		.amdhsa_system_sgpr_workgroup_id_z 1
		.amdhsa_system_sgpr_workgroup_info 0
		.amdhsa_system_vgpr_workitem_id 1
		.amdhsa_next_free_vgpr 59
		.amdhsa_next_free_sgpr 25
		.amdhsa_reserve_vcc 1
		.amdhsa_float_round_mode_32 0
		.amdhsa_float_round_mode_16_64 0
		.amdhsa_float_denorm_mode_32 3
		.amdhsa_float_denorm_mode_16_64 3
		.amdhsa_dx10_clamp 1
		.amdhsa_ieee_mode 1
		.amdhsa_fp16_overflow 0
		.amdhsa_workgroup_processor_mode 1
		.amdhsa_memory_ordered 1
		.amdhsa_forward_progress 0
		.amdhsa_shared_vgpr_count 0
		.amdhsa_exception_fp_ieee_invalid_op 0
		.amdhsa_exception_fp_denorm_src 0
		.amdhsa_exception_fp_ieee_div_zero 0
		.amdhsa_exception_fp_ieee_overflow 0
		.amdhsa_exception_fp_ieee_underflow 0
		.amdhsa_exception_fp_ieee_inexact 0
		.amdhsa_exception_int_div_zero 0
	.end_amdhsa_kernel
	.section	.text._ZL34rocblas_syrkx_herkx_general_kernelIl19rocblas_complex_numIfELi16ELi32ELi8ELb0ELb0ELc78ELc85EKPKS1_KPS1_EviT_T0_PT8_S7_lSA_S7_lS8_PT9_S7_li,"axG",@progbits,_ZL34rocblas_syrkx_herkx_general_kernelIl19rocblas_complex_numIfELi16ELi32ELi8ELb0ELb0ELc78ELc85EKPKS1_KPS1_EviT_T0_PT8_S7_lSA_S7_lS8_PT9_S7_li,comdat
.Lfunc_end1613:
	.size	_ZL34rocblas_syrkx_herkx_general_kernelIl19rocblas_complex_numIfELi16ELi32ELi8ELb0ELb0ELc78ELc85EKPKS1_KPS1_EviT_T0_PT8_S7_lSA_S7_lS8_PT9_S7_li, .Lfunc_end1613-_ZL34rocblas_syrkx_herkx_general_kernelIl19rocblas_complex_numIfELi16ELi32ELi8ELb0ELb0ELc78ELc85EKPKS1_KPS1_EviT_T0_PT8_S7_lSA_S7_lS8_PT9_S7_li
                                        ; -- End function
	.section	.AMDGPU.csdata,"",@progbits
; Kernel info:
; codeLenInByte = 2700
; NumSgprs: 27
; NumVgprs: 59
; ScratchSize: 0
; MemoryBound: 1
; FloatMode: 240
; IeeeMode: 1
; LDSByteSize: 4096 bytes/workgroup (compile time only)
; SGPRBlocks: 3
; VGPRBlocks: 7
; NumSGPRsForWavesPerEU: 27
; NumVGPRsForWavesPerEU: 59
; Occupancy: 16
; WaveLimiterHint : 1
; COMPUTE_PGM_RSRC2:SCRATCH_EN: 0
; COMPUTE_PGM_RSRC2:USER_SGPR: 13
; COMPUTE_PGM_RSRC2:TRAP_HANDLER: 0
; COMPUTE_PGM_RSRC2:TGID_X_EN: 1
; COMPUTE_PGM_RSRC2:TGID_Y_EN: 1
; COMPUTE_PGM_RSRC2:TGID_Z_EN: 1
; COMPUTE_PGM_RSRC2:TIDIG_COMP_CNT: 1
	.section	.text._ZL26rocblas_syr2k_scale_kernelIlLi128ELi8ELb0E19rocblas_complex_numIfES1_PKPS1_EvbiT_T3_T4_T5_S5_li,"axG",@progbits,_ZL26rocblas_syr2k_scale_kernelIlLi128ELi8ELb0E19rocblas_complex_numIfES1_PKPS1_EvbiT_T3_T4_T5_S5_li,comdat
	.globl	_ZL26rocblas_syr2k_scale_kernelIlLi128ELi8ELb0E19rocblas_complex_numIfES1_PKPS1_EvbiT_T3_T4_T5_S5_li ; -- Begin function _ZL26rocblas_syr2k_scale_kernelIlLi128ELi8ELb0E19rocblas_complex_numIfES1_PKPS1_EvbiT_T3_T4_T5_S5_li
	.p2align	8
	.type	_ZL26rocblas_syr2k_scale_kernelIlLi128ELi8ELb0E19rocblas_complex_numIfES1_PKPS1_EvbiT_T3_T4_T5_S5_li,@function
_ZL26rocblas_syr2k_scale_kernelIlLi128ELi8ELb0E19rocblas_complex_numIfES1_PKPS1_EvbiT_T3_T4_T5_S5_li: ; @_ZL26rocblas_syr2k_scale_kernelIlLi128ELi8ELb0E19rocblas_complex_numIfES1_PKPS1_EvbiT_T3_T4_T5_S5_li
; %bb.0:
	s_load_b64 s[4:5], s[0:1], 0x18
	s_waitcnt lgkmcnt(0)
	v_cmp_eq_f32_e64 s2, s4, 1.0
	v_cmp_eq_f32_e64 s3, s5, 0
	s_delay_alu instid0(VALU_DEP_1) | instskip(NEXT) | instid1(SALU_CYCLE_1)
	s_and_b32 s2, s2, s3
	s_and_b32 vcc_lo, exec_lo, s2
	s_cbranch_vccnz .LBB1614_5
; %bb.1:
	s_clause 0x1
	s_load_b64 s[2:3], s[0:1], 0x0
	s_load_b32 s7, s[0:1], 0x4c
	v_and_b32_e32 v2, 0x3ff, v0
	v_bfe_u32 v3, v0, 10, 10
	s_waitcnt lgkmcnt(0)
	s_bitcmp1_b32 s2, 0
	s_cselect_b32 vcc_lo, -1, 0
	s_lshr_b32 s2, s7, 16
	s_and_b32 s7, s7, 0xffff
	s_delay_alu instid0(SALU_CYCLE_1) | instskip(SKIP_1) | instid1(VALU_DEP_1)
	v_mad_u64_u32 v[0:1], null, s13, s7, v[2:3]
	v_mad_u64_u32 v[1:2], null, s14, s2, v[3:4]
	v_cndmask_b32_e32 v2, v1, v0, vcc_lo
	v_max_u32_e32 v3, v0, v1
	v_cndmask_b32_e32 v4, v0, v1, vcc_lo
	s_delay_alu instid0(VALU_DEP_2) | instskip(NEXT) | instid1(VALU_DEP_2)
	v_cmp_gt_u32_e32 vcc_lo, s3, v3
	v_cmp_le_i32_e64 s2, v2, v4
	s_delay_alu instid0(VALU_DEP_1) | instskip(NEXT) | instid1(SALU_CYCLE_1)
	s_and_b32 s2, vcc_lo, s2
	s_and_saveexec_b32 s3, s2
	s_cbranch_execz .LBB1614_5
; %bb.2:
	s_clause 0x1
	s_load_b128 s[8:11], s[0:1], 0x20
	s_load_b64 s[0:1], s[0:1], 0x30
	s_mov_b32 s6, s15
	s_mov_b32 s7, 0
	s_delay_alu instid0(SALU_CYCLE_1)
	s_lshl_b64 s[2:3], s[6:7], 3
	s_waitcnt lgkmcnt(0)
	v_mad_u64_u32 v[2:3], null, v1, s10, 0
	s_add_u32 s2, s8, s2
	s_addc_u32 s3, s9, s3
	s_lshl_b64 s[0:1], s[0:1], 3
	s_load_b64 s[2:3], s[2:3], 0x0
	s_delay_alu instid0(VALU_DEP_1) | instskip(SKIP_1) | instid1(VALU_DEP_2)
	v_mad_u64_u32 v[4:5], null, v1, s11, v[3:4]
	v_mov_b32_e32 v1, 0
	v_mov_b32_e32 v3, v4
	s_delay_alu instid0(VALU_DEP_2) | instskip(NEXT) | instid1(VALU_DEP_2)
	v_lshlrev_b64 v[4:5], 3, v[0:1]
	v_lshlrev_b64 v[2:3], 3, v[2:3]
	s_waitcnt lgkmcnt(0)
	s_add_u32 s0, s2, s0
	s_addc_u32 s1, s3, s1
	s_delay_alu instid0(VALU_DEP_1) | instskip(NEXT) | instid1(VALU_DEP_2)
	v_add_co_u32 v0, vcc_lo, s0, v2
	v_add_co_ci_u32_e32 v3, vcc_lo, s1, v3, vcc_lo
	s_or_b32 s2, s4, s5
	s_delay_alu instid0(VALU_DEP_2) | instskip(SKIP_1) | instid1(VALU_DEP_3)
	v_add_co_u32 v2, vcc_lo, v0, v4
	v_mov_b32_e32 v0, v1
	v_add_co_ci_u32_e32 v3, vcc_lo, v3, v5, vcc_lo
	s_bitset0_b32 s2, 31
	s_delay_alu instid0(SALU_CYCLE_1)
	s_cmp_eq_u32 s2, 0
	s_cbranch_scc1 .LBB1614_4
; %bb.3:
	global_load_b64 v[4:5], v[2:3], off
	s_waitcnt vmcnt(0)
	v_mul_f32_e32 v1, s4, v5
	s_delay_alu instid0(VALU_DEP_1) | instskip(NEXT) | instid1(VALU_DEP_1)
	v_dual_mul_f32 v0, s5, v5 :: v_dual_fmac_f32 v1, s5, v4
	v_fma_f32 v0, v4, s4, -v0
.LBB1614_4:
	global_store_b64 v[2:3], v[0:1], off
.LBB1614_5:
	s_nop 0
	s_sendmsg sendmsg(MSG_DEALLOC_VGPRS)
	s_endpgm
	.section	.rodata,"a",@progbits
	.p2align	6, 0x0
	.amdhsa_kernel _ZL26rocblas_syr2k_scale_kernelIlLi128ELi8ELb0E19rocblas_complex_numIfES1_PKPS1_EvbiT_T3_T4_T5_S5_li
		.amdhsa_group_segment_fixed_size 0
		.amdhsa_private_segment_fixed_size 0
		.amdhsa_kernarg_size 320
		.amdhsa_user_sgpr_count 13
		.amdhsa_user_sgpr_dispatch_ptr 0
		.amdhsa_user_sgpr_queue_ptr 0
		.amdhsa_user_sgpr_kernarg_segment_ptr 1
		.amdhsa_user_sgpr_dispatch_id 0
		.amdhsa_user_sgpr_private_segment_size 0
		.amdhsa_wavefront_size32 1
		.amdhsa_uses_dynamic_stack 0
		.amdhsa_enable_private_segment 0
		.amdhsa_system_sgpr_workgroup_id_x 1
		.amdhsa_system_sgpr_workgroup_id_y 1
		.amdhsa_system_sgpr_workgroup_id_z 1
		.amdhsa_system_sgpr_workgroup_info 0
		.amdhsa_system_vgpr_workitem_id 1
		.amdhsa_next_free_vgpr 6
		.amdhsa_next_free_sgpr 16
		.amdhsa_reserve_vcc 1
		.amdhsa_float_round_mode_32 0
		.amdhsa_float_round_mode_16_64 0
		.amdhsa_float_denorm_mode_32 3
		.amdhsa_float_denorm_mode_16_64 3
		.amdhsa_dx10_clamp 1
		.amdhsa_ieee_mode 1
		.amdhsa_fp16_overflow 0
		.amdhsa_workgroup_processor_mode 1
		.amdhsa_memory_ordered 1
		.amdhsa_forward_progress 0
		.amdhsa_shared_vgpr_count 0
		.amdhsa_exception_fp_ieee_invalid_op 0
		.amdhsa_exception_fp_denorm_src 0
		.amdhsa_exception_fp_ieee_div_zero 0
		.amdhsa_exception_fp_ieee_overflow 0
		.amdhsa_exception_fp_ieee_underflow 0
		.amdhsa_exception_fp_ieee_inexact 0
		.amdhsa_exception_int_div_zero 0
	.end_amdhsa_kernel
	.section	.text._ZL26rocblas_syr2k_scale_kernelIlLi128ELi8ELb0E19rocblas_complex_numIfES1_PKPS1_EvbiT_T3_T4_T5_S5_li,"axG",@progbits,_ZL26rocblas_syr2k_scale_kernelIlLi128ELi8ELb0E19rocblas_complex_numIfES1_PKPS1_EvbiT_T3_T4_T5_S5_li,comdat
.Lfunc_end1614:
	.size	_ZL26rocblas_syr2k_scale_kernelIlLi128ELi8ELb0E19rocblas_complex_numIfES1_PKPS1_EvbiT_T3_T4_T5_S5_li, .Lfunc_end1614-_ZL26rocblas_syr2k_scale_kernelIlLi128ELi8ELb0E19rocblas_complex_numIfES1_PKPS1_EvbiT_T3_T4_T5_S5_li
                                        ; -- End function
	.section	.AMDGPU.csdata,"",@progbits
; Kernel info:
; codeLenInByte = 400
; NumSgprs: 18
; NumVgprs: 6
; ScratchSize: 0
; MemoryBound: 0
; FloatMode: 240
; IeeeMode: 1
; LDSByteSize: 0 bytes/workgroup (compile time only)
; SGPRBlocks: 2
; VGPRBlocks: 0
; NumSGPRsForWavesPerEU: 18
; NumVGPRsForWavesPerEU: 6
; Occupancy: 16
; WaveLimiterHint : 1
; COMPUTE_PGM_RSRC2:SCRATCH_EN: 0
; COMPUTE_PGM_RSRC2:USER_SGPR: 13
; COMPUTE_PGM_RSRC2:TRAP_HANDLER: 0
; COMPUTE_PGM_RSRC2:TGID_X_EN: 1
; COMPUTE_PGM_RSRC2:TGID_Y_EN: 1
; COMPUTE_PGM_RSRC2:TGID_Z_EN: 1
; COMPUTE_PGM_RSRC2:TIDIG_COMP_CNT: 1
	.section	.text._ZL26rocblas_syr2k_her2k_kernelIlLb0ELb0ELb0ELi32EPK19rocblas_complex_numIfEPKS3_PKPS1_EvbiT_T4_T5_S9_lSB_S9_lT6_S9_li,"axG",@progbits,_ZL26rocblas_syr2k_her2k_kernelIlLb0ELb0ELb0ELi32EPK19rocblas_complex_numIfEPKS3_PKPS1_EvbiT_T4_T5_S9_lSB_S9_lT6_S9_li,comdat
	.globl	_ZL26rocblas_syr2k_her2k_kernelIlLb0ELb0ELb0ELi32EPK19rocblas_complex_numIfEPKS3_PKPS1_EvbiT_T4_T5_S9_lSB_S9_lT6_S9_li ; -- Begin function _ZL26rocblas_syr2k_her2k_kernelIlLb0ELb0ELb0ELi32EPK19rocblas_complex_numIfEPKS3_PKPS1_EvbiT_T4_T5_S9_lSB_S9_lT6_S9_li
	.p2align	8
	.type	_ZL26rocblas_syr2k_her2k_kernelIlLb0ELb0ELb0ELi32EPK19rocblas_complex_numIfEPKS3_PKPS1_EvbiT_T4_T5_S9_lSB_S9_lT6_S9_li,@function
_ZL26rocblas_syr2k_her2k_kernelIlLb0ELb0ELb0ELi32EPK19rocblas_complex_numIfEPKS3_PKPS1_EvbiT_T4_T5_S9_lSB_S9_lT6_S9_li: ; @_ZL26rocblas_syr2k_her2k_kernelIlLb0ELb0ELb0ELi32EPK19rocblas_complex_numIfEPKS3_PKPS1_EvbiT_T4_T5_S9_lSB_S9_lT6_S9_li
; %bb.0:
	s_load_b512 s[16:31], s[0:1], 0x8
	s_waitcnt lgkmcnt(0)
	s_load_b64 s[8:9], s[18:19], 0x0
	s_waitcnt lgkmcnt(0)
	v_cmp_eq_f32_e64 s2, s8, 0
	v_cmp_eq_f32_e64 s3, s9, 0
	s_delay_alu instid0(VALU_DEP_1) | instskip(NEXT) | instid1(SALU_CYCLE_1)
	s_and_b32 s2, s2, s3
	s_and_b32 vcc_lo, exec_lo, s2
	s_cbranch_vccnz .LBB1615_11
; %bb.1:
	s_load_b64 s[2:3], s[0:1], 0x0
	s_lshl_b32 s12, s14, 5
	s_lshl_b32 s13, s13, 5
	s_waitcnt lgkmcnt(0)
	s_and_b32 s2, 1, s2
	s_delay_alu instid0(SALU_CYCLE_1) | instskip(SKIP_1) | instid1(SALU_CYCLE_1)
	s_cmp_eq_u32 s2, 1
	s_cselect_b32 s2, -1, 0
	s_and_b32 s4, s2, exec_lo
	s_cselect_b32 s4, s13, s12
	s_cselect_b32 s5, s12, s13
	s_delay_alu instid0(SALU_CYCLE_1)
	s_cmp_gt_i32 s4, s5
	s_cbranch_scc1 .LBB1615_11
; %bb.2:
	v_cmp_lt_i64_e64 s4, s[16:17], 1
	s_delay_alu instid0(VALU_DEP_1)
	s_and_b32 vcc_lo, exec_lo, s4
	s_cbranch_vccnz .LBB1615_11
; %bb.3:
	s_clause 0x1
	s_load_b128 s[4:7], s[0:1], 0x48
	s_load_b64 s[0:1], s[0:1], 0x58
	v_bfe_u32 v10, v0, 10, 10
	v_and_b32_e32 v11, 0x3ff, v0
	v_mov_b32_e32 v3, 0
	s_mov_b32 s10, s15
	s_mov_b32 s11, 0
	v_add_nc_u32_e32 v4, s12, v10
	s_delay_alu instid0(VALU_DEP_2) | instskip(SKIP_2) | instid1(VALU_DEP_2)
	v_dual_mov_b32 v5, v3 :: v_dual_add_nc_u32 v2, s13, v11
	s_lshl_b64 s[10:11], s[10:11], 3
	v_mad_u64_u32 v[6:7], null, s22, v10, 0
	v_cndmask_b32_e64 v16, v2, v4, s2
	v_cndmask_b32_e64 v17, v4, v2, s2
	s_add_u32 s18, s20, s10
	s_addc_u32 s19, s21, s11
	s_add_u32 s12, s26, s10
	s_addc_u32 s13, s27, s11
	v_lshlrev_b32_e32 v8, 3, v10
	s_waitcnt lgkmcnt(0)
	s_add_u32 s4, s4, s10
	v_ashrrev_i32_e32 v9, 31, v4
	v_cmp_le_i32_e64 s2, v17, v16
	v_mov_b32_e32 v16, v2
	v_lshlrev_b32_e32 v12, 8, v11
	s_addc_u32 s5, s5, s11
	v_mad_u64_u32 v[0:1], null, s28, v11, 0
	s_load_b64 s[4:5], s[4:5], 0x0
	s_delay_alu instid0(VALU_DEP_2)
	v_add_nc_u32_e32 v13, v12, v8
	v_or_b32_e32 v14, 0x2000, v8
	v_mul_lo_u32 v19, v9, s6
	v_mul_lo_u32 v20, v4, s7
	v_mad_u64_u32 v[8:9], null, v4, s6, 0
	v_max_i32_e32 v18, v2, v4
	v_ashrrev_i32_e32 v17, 31, v2
	s_lshl_b64 s[0:1], s[0:1], 3
	s_load_b64 s[18:19], s[18:19], 0x0
	s_load_b64 s[12:13], s[12:13], 0x0
	s_mov_b32 s14, s3
	v_cmp_gt_i32_e32 vcc_lo, s3, v18
	v_add3_u32 v9, v9, v20, v19
	v_mad_u64_u32 v[18:19], null, s29, v11, v[1:2]
	v_mov_b32_e32 v1, v7
	v_lshlrev_b64 v[16:17], 3, v[16:17]
	s_delay_alu instid0(VALU_DEP_4)
	v_lshlrev_b64 v[7:8], 3, v[8:9]
	s_mov_b64 s[6:7], 0
	s_waitcnt lgkmcnt(0)
	s_add_u32 s4, s4, s0
	v_mad_u64_u32 v[19:20], null, s23, v10, v[1:2]
	v_mov_b32_e32 v1, v18
	s_addc_u32 s5, s5, s1
	s_and_b32 s10, s2, vcc_lo
	v_add_co_u32 v18, vcc_lo, s4, v7
	v_add_co_ci_u32_e32 v20, vcc_lo, s5, v8, vcc_lo
	s_delay_alu instid0(VALU_DEP_4) | instskip(SKIP_1) | instid1(VALU_DEP_4)
	v_mov_b32_e32 v7, v19
	v_lshlrev_b64 v[8:9], 3, v[0:1]
	v_add_co_u32 v0, vcc_lo, v18, v16
	v_add_nc_u32_e32 v16, 0x800, v14
	s_ashr_i32 s15, s3, 31
	s_lshl_b64 s[2:3], s[30:31], 3
	v_lshlrev_b64 v[6:7], 3, v[6:7]
	v_add_co_ci_u32_e32 v1, vcc_lo, v20, v17, vcc_lo
	v_add_co_u32 v8, vcc_lo, v8, s2
	v_cmp_gt_i64_e64 s1, s[14:15], v[4:5]
	v_lshlrev_b64 v[4:5], 3, v[4:5]
	v_add_co_ci_u32_e32 v9, vcc_lo, s3, v9, vcc_lo
	s_lshl_b64 s[2:3], s[24:25], 3
	v_cmp_gt_i64_e64 s0, s[14:15], v[2:3]
	v_add_co_u32 v6, vcc_lo, v6, s2
	v_lshlrev_b64 v[2:3], 3, v[2:3]
	v_add_co_ci_u32_e32 v7, vcc_lo, s3, v7, vcc_lo
	v_add_co_u32 v4, vcc_lo, v8, v4
	v_add_co_ci_u32_e32 v5, vcc_lo, v9, v5, vcc_lo
	s_delay_alu instid0(VALU_DEP_4) | instskip(NEXT) | instid1(VALU_DEP_4)
	v_add_co_u32 v2, vcc_lo, v6, v2
	v_add_co_ci_u32_e32 v3, vcc_lo, v7, v3, vcc_lo
	s_delay_alu instid0(VALU_DEP_4) | instskip(NEXT) | instid1(VALU_DEP_4)
	;; [unrolled: 3-line block ×4, first 2 shown]
	v_add_co_u32 v2, vcc_lo, v4, 4
	v_add_co_ci_u32_e32 v3, vcc_lo, 0, v5, vcc_lo
	s_delay_alu instid0(VALU_DEP_4)
	v_add_co_u32 v4, vcc_lo, v6, 4
	v_add_nc_u32_e32 v15, v14, v12
	v_add_co_ci_u32_e32 v5, vcc_lo, 0, v7, vcc_lo
	v_add_nc_u32_e32 v17, 0x1000, v14
	v_add_nc_u32_e32 v18, 0x1800, v14
	s_lshl_b64 s[2:3], s[28:29], 8
	s_lshl_b64 s[4:5], s[22:23], 8
	s_branch .LBB1615_5
.LBB1615_4:                             ;   in Loop: Header=BB1615_5 Depth=1
	s_or_b32 exec_lo, exec_lo, s11
	s_add_u32 s6, s6, 32
	s_addc_u32 s7, s7, 0
	v_add_co_u32 v2, vcc_lo, v2, s2
	v_cmp_lt_i64_e64 s11, s[6:7], s[16:17]
	v_add_co_ci_u32_e32 v3, vcc_lo, s3, v3, vcc_lo
	v_add_co_u32 v4, vcc_lo, v4, s4
	v_add_co_ci_u32_e32 v5, vcc_lo, s5, v5, vcc_lo
	s_delay_alu instid0(VALU_DEP_4)
	s_and_b32 vcc_lo, exec_lo, s11
	s_waitcnt_vscnt null, 0x0
	s_barrier
	buffer_gl0_inv
	s_cbranch_vccz .LBB1615_11
.LBB1615_5:                             ; =>This Inner Loop Header: Depth=1
	v_add_co_u32 v6, s11, v10, s6
	s_delay_alu instid0(VALU_DEP_1) | instskip(NEXT) | instid1(VALU_DEP_1)
	v_add_co_ci_u32_e64 v7, null, 0, s7, s11
	v_cmp_gt_i64_e32 vcc_lo, s[16:17], v[6:7]
	v_dual_mov_b32 v6, 0 :: v_dual_mov_b32 v7, 0
	s_and_b32 s12, s0, vcc_lo
	s_delay_alu instid0(SALU_CYCLE_1)
	s_and_saveexec_b32 s11, s12
	s_cbranch_execz .LBB1615_7
; %bb.6:                                ;   in Loop: Header=BB1615_5 Depth=1
	global_load_b64 v[6:7], v[4:5], off offset:-4
.LBB1615_7:                             ;   in Loop: Header=BB1615_5 Depth=1
	s_or_b32 exec_lo, exec_lo, s11
	v_add_co_u32 v8, s11, v11, s6
	s_delay_alu instid0(VALU_DEP_1)
	v_add_co_ci_u32_e64 v9, null, 0, s7, s11
	s_waitcnt vmcnt(0)
	ds_store_b64 v13, v[6:7]
	v_cmp_gt_i64_e32 vcc_lo, s[16:17], v[8:9]
	v_dual_mov_b32 v8, 0 :: v_dual_mov_b32 v9, 0
	s_and_b32 s12, s1, vcc_lo
	s_delay_alu instid0(SALU_CYCLE_1)
	s_and_saveexec_b32 s11, s12
	s_cbranch_execz .LBB1615_9
; %bb.8:                                ;   in Loop: Header=BB1615_5 Depth=1
	global_load_b64 v[8:9], v[2:3], off offset:-4
.LBB1615_9:                             ;   in Loop: Header=BB1615_5 Depth=1
	s_or_b32 exec_lo, exec_lo, s11
	s_waitcnt vmcnt(0)
	ds_store_b64 v15, v[8:9]
	s_waitcnt lgkmcnt(0)
	s_barrier
	buffer_gl0_inv
	s_and_saveexec_b32 s11, s10
	s_cbranch_execz .LBB1615_4
; %bb.10:                               ;   in Loop: Header=BB1615_5 Depth=1
	global_load_b64 v[91:92], v[0:1], off
	ds_load_2addr_b64 v[6:9], v14 offset1:32
	ds_load_b128 v[19:22], v12
	ds_load_b128 v[23:26], v12 offset:16
	ds_load_b128 v[27:30], v12 offset:32
	;; [unrolled: 1-line block ×3, first 2 shown]
	ds_load_2addr_b64 v[35:38], v14 offset0:64 offset1:96
	ds_load_2addr_b64 v[39:42], v14 offset0:128 offset1:160
	;; [unrolled: 1-line block ×3, first 2 shown]
	ds_load_2addr_b64 v[47:50], v16 offset1:32
	ds_load_b128 v[51:54], v12 offset:64
	ds_load_b128 v[55:58], v12 offset:80
	ds_load_2addr_b64 v[59:62], v16 offset0:64 offset1:96
	ds_load_2addr_b64 v[63:66], v16 offset0:128 offset1:160
	ds_load_b128 v[67:70], v12 offset:96
	ds_load_b128 v[71:74], v12 offset:112
	ds_load_2addr_b64 v[75:78], v16 offset0:192 offset1:224
	ds_load_2addr_b64 v[79:82], v17 offset1:32
	ds_load_b128 v[83:86], v12 offset:128
	ds_load_b128 v[87:90], v12 offset:144
	s_waitcnt lgkmcnt(17)
	v_mul_f32_e32 v93, v7, v20
	v_dual_mul_f32 v94, v6, v20 :: v_dual_mul_f32 v95, v8, v22
	s_waitcnt lgkmcnt(13)
	v_dual_mul_f32 v20, v9, v22 :: v_dual_mul_f32 v97, v35, v24
	v_mul_f32_e32 v98, v37, v26
	v_fma_f32 v93, v6, v19, -v93
	v_dual_fmac_f32 v94, v7, v19 :: v_dual_fmac_f32 v95, v9, v21
	v_mul_f32_e32 v19, v36, v24
	v_fma_f32 v96, v8, v21, -v20
	v_mul_f32_e32 v20, v38, v26
	s_waitcnt lgkmcnt(12)
	v_mul_f32_e32 v24, v40, v28
	v_dual_mul_f32 v99, v39, v28 :: v_dual_mul_f32 v26, v42, v30
	v_fma_f32 v100, v35, v23, -v19
	v_mul_f32_e32 v102, v41, v30
	v_add_f32_e32 v35, 0, v94
	s_delay_alu instid0(VALU_DEP_4) | instskip(SKIP_1) | instid1(VALU_DEP_3)
	v_fmac_f32_e32 v99, v40, v27
	v_dual_fmac_f32 v97, v36, v23 :: v_dual_fmac_f32 v98, v38, v25
	v_dual_fmac_f32 v102, v42, v29 :: v_dual_add_f32 v35, v35, v95
	v_fma_f32 v103, v41, v29, -v26
	s_waitcnt lgkmcnt(11)
	v_dual_mul_f32 v36, v44, v32 :: v_dual_mul_f32 v95, v45, v34
	v_mul_f32_e32 v94, v43, v32
	v_dual_mul_f32 v32, v46, v34 :: v_dual_add_f32 v41, v35, v97
	v_add_f32_e32 v34, 0, v93
	v_fma_f32 v101, v37, v25, -v20
	s_waitcnt lgkmcnt(9)
	v_mul_f32_e32 v97, v49, v54
	v_fma_f32 v39, v39, v27, -v24
	v_dual_add_f32 v41, v41, v98 :: v_dual_add_f32 v40, v34, v96
	v_mul_f32_e32 v42, v48, v52
	s_delay_alu instid0(VALU_DEP_4) | instskip(SKIP_1) | instid1(VALU_DEP_4)
	v_dual_mul_f32 v96, v47, v52 :: v_dual_fmac_f32 v97, v50, v53
	v_fma_f32 v93, v43, v31, -v36
	v_dual_add_f32 v40, v40, v100 :: v_dual_fmac_f32 v95, v46, v33
	v_dual_fmac_f32 v94, v44, v31 :: v_dual_mul_f32 v43, v50, v54
	s_delay_alu instid0(VALU_DEP_2) | instskip(SKIP_4) | instid1(VALU_DEP_3)
	v_dual_add_f32 v41, v41, v99 :: v_dual_add_f32 v40, v40, v101
	s_waitcnt lgkmcnt(7)
	v_dual_mul_f32 v101, v61, v58 :: v_dual_mul_f32 v98, v59, v56
	v_fma_f32 v99, v47, v51, -v42
	v_dual_mul_f32 v47, v62, v58 :: v_dual_fmac_f32 v96, v48, v51
	v_fmac_f32_e32 v101, v62, v57
	v_add_f32_e32 v51, v40, v39
	v_mul_f32_e32 v52, v60, v56
	v_fma_f32 v100, v49, v53, -v43
	v_add_f32_e32 v53, v41, v102
	v_fma_f32 v104, v45, v33, -v32
	s_waitcnt lgkmcnt(5)
	v_dual_add_f32 v51, v51, v103 :: v_dual_mul_f32 v56, v66, v70
	v_fma_f32 v102, v59, v55, -v52
	v_fmac_f32_e32 v98, v60, v55
	v_fma_f32 v105, v61, v57, -v47
	s_delay_alu instid0(VALU_DEP_4)
	v_add_f32_e32 v57, v51, v93
	v_dual_mul_f32 v55, v64, v68 :: v_dual_add_f32 v52, v53, v94
	v_mul_f32_e32 v68, v63, v68
	v_mul_f32_e32 v70, v65, v70
	ds_load_2addr_b64 v[6:9], v17 offset0:64 offset1:96
	v_fma_f32 v94, v63, v67, -v55
	v_add_f32_e32 v93, v52, v95
	v_dual_fmac_f32 v68, v64, v67 :: v_dual_add_f32 v63, v57, v104
	v_fma_f32 v67, v65, v69, -v56
	s_waitcnt lgkmcnt(4)
	v_dual_mul_f32 v65, v76, v72 :: v_dual_fmac_f32 v70, v66, v69
	v_mul_f32_e32 v69, v75, v72
	v_dual_add_f32 v64, v93, v96 :: v_dual_add_f32 v63, v63, v99
	ds_load_2addr_b64 v[19:22], v17 offset0:128 offset1:160
	ds_load_b128 v[23:26], v12 offset:160
	ds_load_b128 v[27:30], v12 offset:176
	ds_load_2addr_b64 v[31:34], v17 offset0:192 offset1:224
	v_dual_mul_f32 v66, v78, v74 :: v_dual_fmac_f32 v69, v76, v71
	v_add_f32_e32 v76, v63, v100
	v_fma_f32 v75, v75, v71, -v65
	ds_load_2addr_b64 v[35:38], v18 offset1:32
	v_fma_f32 v71, v77, v73, -v66
	ds_load_b128 v[39:42], v12 offset:192
	ds_load_b128 v[43:46], v12 offset:208
	v_add_f32_e32 v76, v76, v102
	ds_load_2addr_b64 v[47:50], v18 offset0:64 offset1:96
	v_mul_f32_e32 v74, v77, v74
	s_waitcnt lgkmcnt(10)
	v_dual_add_f32 v72, v64, v97 :: v_dual_mul_f32 v77, v79, v84
	v_add_f32_e32 v76, v76, v105
	ds_load_2addr_b64 v[51:54], v18 offset0:128 offset1:160
	v_dual_fmac_f32 v74, v78, v73 :: v_dual_mul_f32 v73, v80, v84
	v_mul_f32_e32 v84, v81, v86
	v_add_f32_e32 v76, v76, v94
	v_mul_f32_e32 v78, v82, v86
	s_waitcnt lgkmcnt(9)
	v_dual_mul_f32 v86, v7, v88 :: v_dual_fmac_f32 v77, v80, v83
	v_fma_f32 v73, v79, v83, -v73
	v_add_f32_e32 v67, v76, v67
	v_add_f32_e32 v72, v72, v98
	s_waitcnt lgkmcnt(7)
	v_mul_f32_e32 v93, v20, v24
	v_mul_f32_e32 v24, v19, v24
	ds_load_b128 v[55:58], v12 offset:224
	ds_load_b128 v[59:62], v12 offset:240
	v_add_f32_e32 v67, v67, v75
	ds_load_2addr_b64 v[63:66], v18 offset0:192 offset1:224
	s_waitcnt lgkmcnt(8)
	v_dual_mul_f32 v75, v34, v30 :: v_dual_fmac_f32 v24, v20, v23
	v_fma_f32 v19, v19, v23, -v93
	v_dual_add_f32 v67, v67, v71 :: v_dual_mul_f32 v88, v6, v88
	s_waitcnt lgkmcnt(6)
	v_mul_f32_e32 v71, v36, v40
	v_mul_f32_e32 v40, v35, v40
	v_fma_f32 v6, v6, v87, -v86
	v_add_f32_e32 v67, v67, v73
	v_add_f32_e32 v72, v72, v101
	v_fmac_f32_e32 v88, v7, v87
	v_fmac_f32_e32 v40, v36, v39
	v_fma_f32 v23, v35, v39, -v71
	s_delay_alu instid0(VALU_DEP_4) | instskip(SKIP_2) | instid1(VALU_DEP_3)
	v_add_f32_e32 v68, v72, v68
	v_mul_f32_e32 v72, v9, v90
	v_mul_f32_e32 v90, v8, v90
	v_add_f32_e32 v68, v68, v70
	s_delay_alu instid0(VALU_DEP_3) | instskip(SKIP_1) | instid1(VALU_DEP_3)
	v_fma_f32 v8, v8, v89, -v72
	s_waitcnt lgkmcnt(4)
	v_dual_fmac_f32 v90, v9, v89 :: v_dual_mul_f32 v9, v47, v44
	v_mul_f32_e32 v30, v33, v30
	v_add_f32_e32 v68, v68, v69
	v_mul_f32_e32 v69, v32, v28
	s_delay_alu instid0(VALU_DEP_4) | instskip(SKIP_1) | instid1(VALU_DEP_4)
	v_dual_mul_f32 v28, v31, v28 :: v_dual_fmac_f32 v9, v48, v43
	v_mul_f32_e32 v76, v38, v42
	v_add_f32_e32 v68, v68, v74
	v_fma_f32 v74, v81, v85, -v78
	v_mul_f32_e32 v42, v37, v42
	v_fmac_f32_e32 v30, v34, v29
	s_delay_alu instid0(VALU_DEP_3) | instskip(NEXT) | instid1(VALU_DEP_3)
	v_dual_fmac_f32 v84, v82, v85 :: v_dual_add_f32 v67, v67, v74
	v_fmac_f32_e32 v42, v38, v41
	v_add_f32_e32 v68, v68, v77
	v_mul_f32_e32 v70, v22, v26
	v_mul_f32_e32 v26, v21, v26
	s_delay_alu instid0(VALU_DEP_3) | instskip(NEXT) | instid1(VALU_DEP_3)
	v_dual_add_f32 v6, v67, v6 :: v_dual_add_f32 v7, v68, v84
	v_fma_f32 v20, v21, v25, -v70
	v_fma_f32 v21, v31, v27, -v69
	s_delay_alu instid0(VALU_DEP_3) | instskip(NEXT) | instid1(VALU_DEP_1)
	v_add_f32_e32 v6, v6, v8
	v_dual_add_f32 v6, v6, v19 :: v_dual_mul_f32 v19, v49, v46
	s_delay_alu instid0(VALU_DEP_1) | instskip(SKIP_1) | instid1(VALU_DEP_2)
	v_add_f32_e32 v6, v6, v20
	s_waitcnt lgkmcnt(2)
	v_dual_fmac_f32 v19, v50, v45 :: v_dual_mul_f32 v20, v52, v56
	s_delay_alu instid0(VALU_DEP_2) | instskip(SKIP_2) | instid1(VALU_DEP_4)
	v_dual_add_f32 v6, v6, v21 :: v_dual_mul_f32 v21, v51, v56
	v_fmac_f32_e32 v26, v22, v25
	v_fma_f32 v22, v33, v29, -v75
	v_fma_f32 v20, v51, v55, -v20
	s_delay_alu instid0(VALU_DEP_2) | instskip(SKIP_1) | instid1(VALU_DEP_2)
	v_dual_fmac_f32 v21, v52, v55 :: v_dual_add_f32 v6, v6, v22
	v_mul_f32_e32 v22, v54, v58
	v_dual_add_f32 v6, v6, v23 :: v_dual_mul_f32 v23, v53, v58
	s_delay_alu instid0(VALU_DEP_1) | instskip(SKIP_1) | instid1(VALU_DEP_1)
	v_dual_fmac_f32 v28, v32, v27 :: v_dual_fmac_f32 v23, v54, v57
	v_add_f32_e32 v7, v7, v88
	v_add_f32_e32 v7, v7, v90
	s_delay_alu instid0(VALU_DEP_1) | instskip(NEXT) | instid1(VALU_DEP_1)
	v_add_f32_e32 v7, v7, v24
	v_add_f32_e32 v7, v7, v26
	s_delay_alu instid0(VALU_DEP_1) | instskip(NEXT) | instid1(VALU_DEP_1)
	;; [unrolled: 3-line block ×3, first 2 shown]
	v_add_f32_e32 v7, v7, v40
	v_add_f32_e32 v7, v7, v42
	s_delay_alu instid0(VALU_DEP_1) | instskip(SKIP_3) | instid1(VALU_DEP_3)
	v_dual_add_f32 v7, v7, v9 :: v_dual_mul_f32 v68, v48, v44
	v_fma_f32 v24, v37, v41, -v76
	s_waitcnt lgkmcnt(0)
	v_mul_f32_e32 v9, v63, v60
	v_add_f32_e32 v7, v7, v19
	v_fma_f32 v25, v47, v43, -v68
	s_delay_alu instid0(VALU_DEP_3) | instskip(NEXT) | instid1(VALU_DEP_3)
	v_dual_add_f32 v6, v6, v24 :: v_dual_fmac_f32 v9, v64, v59
	v_dual_mul_f32 v24, v64, v60 :: v_dual_add_f32 v7, v7, v21
	v_fma_f32 v19, v53, v57, -v22
	s_delay_alu instid0(VALU_DEP_3) | instskip(NEXT) | instid1(VALU_DEP_3)
	v_add_f32_e32 v6, v6, v25
	v_fma_f32 v21, v63, v59, -v24
	s_delay_alu instid0(VALU_DEP_4) | instskip(NEXT) | instid1(VALU_DEP_1)
	v_dual_add_f32 v7, v7, v23 :: v_dual_mul_f32 v8, v50, v46
	v_add_f32_e32 v7, v7, v9
	s_delay_alu instid0(VALU_DEP_2) | instskip(NEXT) | instid1(VALU_DEP_1)
	v_fma_f32 v8, v49, v45, -v8
	v_add_f32_e32 v6, v6, v8
	v_mul_f32_e32 v8, v66, v62
	s_delay_alu instid0(VALU_DEP_2) | instskip(SKIP_1) | instid1(VALU_DEP_3)
	v_add_f32_e32 v6, v6, v20
	v_mul_f32_e32 v20, v65, v62
	v_fma_f32 v8, v65, v61, -v8
	s_delay_alu instid0(VALU_DEP_3) | instskip(NEXT) | instid1(VALU_DEP_3)
	v_add_f32_e32 v6, v6, v19
	v_fmac_f32_e32 v20, v66, v61
	s_delay_alu instid0(VALU_DEP_1) | instskip(NEXT) | instid1(VALU_DEP_1)
	v_dual_add_f32 v6, v6, v21 :: v_dual_add_f32 v7, v7, v20
	v_add_f32_e32 v6, v6, v8
	s_delay_alu instid0(VALU_DEP_1) | instskip(NEXT) | instid1(VALU_DEP_1)
	v_dual_mul_f32 v8, s9, v7 :: v_dual_mul_f32 v9, s9, v6
	v_fma_f32 v6, s8, v6, -v8
	s_waitcnt vmcnt(0)
	s_delay_alu instid0(VALU_DEP_1) | instskip(NEXT) | instid1(VALU_DEP_1)
	v_dual_fmac_f32 v9, s8, v7 :: v_dual_add_f32 v6, v91, v6
	v_add_f32_e32 v7, v92, v9
	global_store_b64 v[0:1], v[6:7], off
	s_branch .LBB1615_4
.LBB1615_11:
	s_endpgm
	.section	.rodata,"a",@progbits
	.p2align	6, 0x0
	.amdhsa_kernel _ZL26rocblas_syr2k_her2k_kernelIlLb0ELb0ELb0ELi32EPK19rocblas_complex_numIfEPKS3_PKPS1_EvbiT_T4_T5_S9_lSB_S9_lT6_S9_li
		.amdhsa_group_segment_fixed_size 16384
		.amdhsa_private_segment_fixed_size 0
		.amdhsa_kernarg_size 100
		.amdhsa_user_sgpr_count 13
		.amdhsa_user_sgpr_dispatch_ptr 0
		.amdhsa_user_sgpr_queue_ptr 0
		.amdhsa_user_sgpr_kernarg_segment_ptr 1
		.amdhsa_user_sgpr_dispatch_id 0
		.amdhsa_user_sgpr_private_segment_size 0
		.amdhsa_wavefront_size32 1
		.amdhsa_uses_dynamic_stack 0
		.amdhsa_enable_private_segment 0
		.amdhsa_system_sgpr_workgroup_id_x 1
		.amdhsa_system_sgpr_workgroup_id_y 1
		.amdhsa_system_sgpr_workgroup_id_z 1
		.amdhsa_system_sgpr_workgroup_info 0
		.amdhsa_system_vgpr_workitem_id 1
		.amdhsa_next_free_vgpr 106
		.amdhsa_next_free_sgpr 32
		.amdhsa_reserve_vcc 1
		.amdhsa_float_round_mode_32 0
		.amdhsa_float_round_mode_16_64 0
		.amdhsa_float_denorm_mode_32 3
		.amdhsa_float_denorm_mode_16_64 3
		.amdhsa_dx10_clamp 1
		.amdhsa_ieee_mode 1
		.amdhsa_fp16_overflow 0
		.amdhsa_workgroup_processor_mode 1
		.amdhsa_memory_ordered 1
		.amdhsa_forward_progress 0
		.amdhsa_shared_vgpr_count 0
		.amdhsa_exception_fp_ieee_invalid_op 0
		.amdhsa_exception_fp_denorm_src 0
		.amdhsa_exception_fp_ieee_div_zero 0
		.amdhsa_exception_fp_ieee_overflow 0
		.amdhsa_exception_fp_ieee_underflow 0
		.amdhsa_exception_fp_ieee_inexact 0
		.amdhsa_exception_int_div_zero 0
	.end_amdhsa_kernel
	.section	.text._ZL26rocblas_syr2k_her2k_kernelIlLb0ELb0ELb0ELi32EPK19rocblas_complex_numIfEPKS3_PKPS1_EvbiT_T4_T5_S9_lSB_S9_lT6_S9_li,"axG",@progbits,_ZL26rocblas_syr2k_her2k_kernelIlLb0ELb0ELb0ELi32EPK19rocblas_complex_numIfEPKS3_PKPS1_EvbiT_T4_T5_S9_lSB_S9_lT6_S9_li,comdat
.Lfunc_end1615:
	.size	_ZL26rocblas_syr2k_her2k_kernelIlLb0ELb0ELb0ELi32EPK19rocblas_complex_numIfEPKS3_PKPS1_EvbiT_T4_T5_S9_lSB_S9_lT6_S9_li, .Lfunc_end1615-_ZL26rocblas_syr2k_her2k_kernelIlLb0ELb0ELb0ELi32EPK19rocblas_complex_numIfEPKS3_PKPS1_EvbiT_T4_T5_S9_lSB_S9_lT6_S9_li
                                        ; -- End function
	.section	.AMDGPU.csdata,"",@progbits
; Kernel info:
; codeLenInByte = 2312
; NumSgprs: 34
; NumVgprs: 106
; ScratchSize: 0
; MemoryBound: 0
; FloatMode: 240
; IeeeMode: 1
; LDSByteSize: 16384 bytes/workgroup (compile time only)
; SGPRBlocks: 4
; VGPRBlocks: 13
; NumSGPRsForWavesPerEU: 34
; NumVGPRsForWavesPerEU: 106
; Occupancy: 12
; WaveLimiterHint : 1
; COMPUTE_PGM_RSRC2:SCRATCH_EN: 0
; COMPUTE_PGM_RSRC2:USER_SGPR: 13
; COMPUTE_PGM_RSRC2:TRAP_HANDLER: 0
; COMPUTE_PGM_RSRC2:TGID_X_EN: 1
; COMPUTE_PGM_RSRC2:TGID_Y_EN: 1
; COMPUTE_PGM_RSRC2:TGID_Z_EN: 1
; COMPUTE_PGM_RSRC2:TIDIG_COMP_CNT: 1
	.section	.text._ZL26rocblas_syr2k_her2k_kernelIlLb0ELb0ELb1ELi32EPK19rocblas_complex_numIfEPKS3_PKPS1_EvbiT_T4_T5_S9_lSB_S9_lT6_S9_li,"axG",@progbits,_ZL26rocblas_syr2k_her2k_kernelIlLb0ELb0ELb1ELi32EPK19rocblas_complex_numIfEPKS3_PKPS1_EvbiT_T4_T5_S9_lSB_S9_lT6_S9_li,comdat
	.globl	_ZL26rocblas_syr2k_her2k_kernelIlLb0ELb0ELb1ELi32EPK19rocblas_complex_numIfEPKS3_PKPS1_EvbiT_T4_T5_S9_lSB_S9_lT6_S9_li ; -- Begin function _ZL26rocblas_syr2k_her2k_kernelIlLb0ELb0ELb1ELi32EPK19rocblas_complex_numIfEPKS3_PKPS1_EvbiT_T4_T5_S9_lSB_S9_lT6_S9_li
	.p2align	8
	.type	_ZL26rocblas_syr2k_her2k_kernelIlLb0ELb0ELb1ELi32EPK19rocblas_complex_numIfEPKS3_PKPS1_EvbiT_T4_T5_S9_lSB_S9_lT6_S9_li,@function
_ZL26rocblas_syr2k_her2k_kernelIlLb0ELb0ELb1ELi32EPK19rocblas_complex_numIfEPKS3_PKPS1_EvbiT_T4_T5_S9_lSB_S9_lT6_S9_li: ; @_ZL26rocblas_syr2k_her2k_kernelIlLb0ELb0ELb1ELi32EPK19rocblas_complex_numIfEPKS3_PKPS1_EvbiT_T4_T5_S9_lSB_S9_lT6_S9_li
; %bb.0:
	s_load_b512 s[16:31], s[0:1], 0x8
	s_waitcnt lgkmcnt(0)
	s_load_b64 s[8:9], s[18:19], 0x0
	s_waitcnt lgkmcnt(0)
	v_cmp_eq_f32_e64 s2, s8, 0
	v_cmp_eq_f32_e64 s3, s9, 0
	s_delay_alu instid0(VALU_DEP_1) | instskip(NEXT) | instid1(SALU_CYCLE_1)
	s_and_b32 s2, s2, s3
	s_and_b32 vcc_lo, exec_lo, s2
	s_cbranch_vccnz .LBB1616_11
; %bb.1:
	s_load_b64 s[2:3], s[0:1], 0x0
	s_lshl_b32 s12, s14, 5
	s_lshl_b32 s13, s13, 5
	s_waitcnt lgkmcnt(0)
	s_and_b32 s2, 1, s2
	s_delay_alu instid0(SALU_CYCLE_1) | instskip(SKIP_1) | instid1(SALU_CYCLE_1)
	s_cmp_eq_u32 s2, 1
	s_cselect_b32 s2, -1, 0
	s_and_b32 s4, s2, exec_lo
	s_cselect_b32 s4, s13, s12
	s_cselect_b32 s5, s12, s13
	s_delay_alu instid0(SALU_CYCLE_1)
	s_cmp_gt_i32 s4, s5
	s_cbranch_scc1 .LBB1616_11
; %bb.2:
	v_cmp_lt_i64_e64 s4, s[16:17], 1
	s_delay_alu instid0(VALU_DEP_1)
	s_and_b32 vcc_lo, exec_lo, s4
	s_cbranch_vccnz .LBB1616_11
; %bb.3:
	s_clause 0x1
	s_load_b128 s[4:7], s[0:1], 0x48
	s_load_b64 s[0:1], s[0:1], 0x58
	s_mov_b32 s10, s15
	s_mov_b32 s11, 0
	v_bfe_u32 v10, v0, 10, 10
	v_and_b32_e32 v11, 0x3ff, v0
	s_lshl_b64 s[10:11], s[10:11], 3
	v_mov_b32_e32 v1, 0
	s_add_u32 s18, s20, s10
	v_add_nc_u32_e32 v2, s12, v10
	s_addc_u32 s19, s21, s11
	s_add_u32 s12, s26, s10
	v_dual_mov_b32 v3, v1 :: v_dual_add_nc_u32 v0, s13, v11
	s_addc_u32 s13, s27, s11
	v_ashrrev_i32_e32 v8, 31, v2
	v_mad_u64_u32 v[4:5], null, s28, v2, 0
	s_delay_alu instid0(VALU_DEP_3)
	v_mad_u64_u32 v[6:7], null, s22, v0, 0
	s_waitcnt lgkmcnt(0)
	s_add_u32 s4, s4, s10
	s_addc_u32 s5, s5, s11
	s_load_b64 s[10:11], s[18:19], 0x0
	s_load_b64 s[4:5], s[4:5], 0x0
	;; [unrolled: 1-line block ×3, first 2 shown]
	v_mul_lo_u32 v17, v8, s6
	v_mul_lo_u32 v21, v2, s7
	v_mad_u64_u32 v[8:9], null, v2, s6, 0
	v_max_i32_e32 v16, v0, v2
	s_lshl_b64 s[0:1], s[0:1], 3
	s_mov_b32 s14, s3
	v_cndmask_b32_e64 v18, v0, v2, s2
	v_cndmask_b32_e64 v20, v2, v0, s2
	v_cmp_gt_i32_e32 vcc_lo, s3, v16
	v_add3_u32 v9, v9, v21, v17
	v_mad_u64_u32 v[16:17], null, s29, v2, v[5:6]
	s_delay_alu instid0(VALU_DEP_4)
	v_cmp_le_i32_e64 s2, v20, v18
	v_lshlrev_b32_e32 v19, 3, v10
	s_waitcnt lgkmcnt(0)
	s_add_u32 s4, s4, s0
	s_addc_u32 s5, s5, s1
	s_ashr_i32 s15, s3, 31
	s_delay_alu instid0(VALU_DEP_3)
	v_mov_b32_e32 v5, v16
	v_cmp_gt_i64_e64 s1, s[14:15], v[2:3]
	v_mov_b32_e32 v2, v7
	v_cmp_gt_i64_e64 s0, s[14:15], v[0:1]
	v_ashrrev_i32_e32 v1, 31, v0
	v_lshlrev_b64 v[7:8], 3, v[8:9]
	v_lshlrev_b32_e32 v12, 8, v11
	v_mad_u64_u32 v[17:18], null, s23, v0, v[2:3]
	s_delay_alu instid0(VALU_DEP_4) | instskip(SKIP_2) | instid1(VALU_DEP_1)
	v_lshlrev_b64 v[0:1], 3, v[0:1]
	v_lshlrev_b64 v[2:3], 3, v[4:5]
	v_add_co_u32 v9, s3, s4, v7
	v_add_co_ci_u32_e64 v8, s3, s5, v8, s3
	v_mov_b32_e32 v7, v17
	s_delay_alu instid0(VALU_DEP_3) | instskip(SKIP_1) | instid1(VALU_DEP_3)
	v_add_co_u32 v0, s3, v9, v0
	s_lshl_b64 s[4:5], s[30:31], 3
	v_add_co_ci_u32_e64 v1, s3, v8, v1, s3
	s_delay_alu instid0(VALU_DEP_3) | instskip(SKIP_2) | instid1(VALU_DEP_1)
	v_lshlrev_b64 v[4:5], 3, v[6:7]
	v_lshlrev_b32_e32 v6, 3, v11
	v_add_co_u32 v2, s3, v2, s4
	v_add_co_ci_u32_e64 v3, s3, s5, v3, s3
	s_lshl_b64 s[4:5], s[24:25], 3
	v_or_b32_e32 v14, 0x2000, v19
	v_add_co_u32 v4, s3, v4, s4
	s_delay_alu instid0(VALU_DEP_1) | instskip(SKIP_1) | instid1(VALU_DEP_1)
	v_add_co_ci_u32_e64 v5, s3, s5, v5, s3
	v_add_co_u32 v2, s3, v2, v6
	v_add_co_ci_u32_e64 v3, s3, 0, v3, s3
	s_delay_alu instid0(VALU_DEP_4) | instskip(NEXT) | instid1(VALU_DEP_1)
	v_add_co_u32 v4, s3, v4, v19
	v_add_co_ci_u32_e64 v5, s3, 0, v5, s3
	s_delay_alu instid0(VALU_DEP_4) | instskip(NEXT) | instid1(VALU_DEP_1)
	;; [unrolled: 3-line block ×4, first 2 shown]
	v_add_co_u32 v2, s3, v2, 4
	v_add_co_ci_u32_e64 v3, s3, 0, v3, s3
	s_delay_alu instid0(VALU_DEP_4)
	v_add_co_u32 v4, s3, v4, 4
	v_add_nc_u32_e32 v13, v12, v19
	v_add_nc_u32_e32 v15, v14, v12
	v_add_co_ci_u32_e64 v5, s3, 0, v5, s3
	v_add_nc_u32_e32 v16, 0x800, v14
	v_add_nc_u32_e32 v17, 0x1000, v14
	;; [unrolled: 1-line block ×3, first 2 shown]
	s_and_b32 s4, s2, vcc_lo
	s_mov_b64 s[2:3], 0
	s_branch .LBB1616_5
.LBB1616_4:                             ;   in Loop: Header=BB1616_5 Depth=1
	s_or_b32 exec_lo, exec_lo, s5
	s_add_u32 s2, s2, 32
	s_addc_u32 s3, s3, 0
	v_add_co_u32 v2, vcc_lo, 0x100, v2
	v_cmp_lt_i64_e64 s5, s[2:3], s[16:17]
	v_add_co_ci_u32_e32 v3, vcc_lo, 0, v3, vcc_lo
	v_add_co_u32 v4, vcc_lo, 0x100, v4
	v_add_co_ci_u32_e32 v5, vcc_lo, 0, v5, vcc_lo
	s_delay_alu instid0(VALU_DEP_4)
	s_and_b32 vcc_lo, exec_lo, s5
	s_waitcnt_vscnt null, 0x0
	s_barrier
	buffer_gl0_inv
	s_cbranch_vccz .LBB1616_11
.LBB1616_5:                             ; =>This Inner Loop Header: Depth=1
	v_add_co_u32 v6, s5, v10, s2
	s_delay_alu instid0(VALU_DEP_1) | instskip(NEXT) | instid1(VALU_DEP_1)
	v_add_co_ci_u32_e64 v7, null, 0, s3, s5
	v_cmp_gt_i64_e32 vcc_lo, s[16:17], v[6:7]
	v_dual_mov_b32 v6, 0 :: v_dual_mov_b32 v7, 0
	s_and_b32 s6, s0, vcc_lo
	s_delay_alu instid0(SALU_CYCLE_1)
	s_and_saveexec_b32 s5, s6
	s_cbranch_execz .LBB1616_7
; %bb.6:                                ;   in Loop: Header=BB1616_5 Depth=1
	global_load_b64 v[6:7], v[4:5], off offset:-4
.LBB1616_7:                             ;   in Loop: Header=BB1616_5 Depth=1
	s_or_b32 exec_lo, exec_lo, s5
	v_add_co_u32 v8, s5, v11, s2
	s_delay_alu instid0(VALU_DEP_1)
	v_add_co_ci_u32_e64 v9, null, 0, s3, s5
	s_waitcnt vmcnt(0)
	ds_store_b64 v13, v[6:7]
	v_cmp_gt_i64_e32 vcc_lo, s[16:17], v[8:9]
	v_dual_mov_b32 v8, 0 :: v_dual_mov_b32 v9, 0
	s_and_b32 s6, s1, vcc_lo
	s_delay_alu instid0(SALU_CYCLE_1)
	s_and_saveexec_b32 s5, s6
	s_cbranch_execz .LBB1616_9
; %bb.8:                                ;   in Loop: Header=BB1616_5 Depth=1
	global_load_b64 v[8:9], v[2:3], off offset:-4
.LBB1616_9:                             ;   in Loop: Header=BB1616_5 Depth=1
	s_or_b32 exec_lo, exec_lo, s5
	s_waitcnt vmcnt(0)
	ds_store_b64 v15, v[8:9]
	s_waitcnt lgkmcnt(0)
	s_barrier
	buffer_gl0_inv
	s_and_saveexec_b32 s5, s4
	s_cbranch_execz .LBB1616_4
; %bb.10:                               ;   in Loop: Header=BB1616_5 Depth=1
	global_load_b64 v[91:92], v[0:1], off
	ds_load_2addr_b64 v[6:9], v14 offset1:32
	ds_load_b128 v[19:22], v12
	ds_load_b128 v[23:26], v12 offset:16
	ds_load_b128 v[27:30], v12 offset:32
	;; [unrolled: 1-line block ×3, first 2 shown]
	ds_load_2addr_b64 v[35:38], v14 offset0:64 offset1:96
	ds_load_2addr_b64 v[39:42], v14 offset0:128 offset1:160
	;; [unrolled: 1-line block ×3, first 2 shown]
	ds_load_2addr_b64 v[47:50], v16 offset1:32
	ds_load_b128 v[51:54], v12 offset:64
	ds_load_b128 v[55:58], v12 offset:80
	ds_load_2addr_b64 v[59:62], v16 offset0:64 offset1:96
	ds_load_2addr_b64 v[63:66], v16 offset0:128 offset1:160
	ds_load_b128 v[67:70], v12 offset:96
	ds_load_b128 v[71:74], v12 offset:112
	ds_load_2addr_b64 v[75:78], v16 offset0:192 offset1:224
	ds_load_2addr_b64 v[79:82], v17 offset1:32
	ds_load_b128 v[83:86], v12 offset:128
	ds_load_b128 v[87:90], v12 offset:144
	s_waitcnt lgkmcnt(17)
	v_mul_f32_e32 v93, v7, v20
	v_dual_mul_f32 v94, v6, v20 :: v_dual_mul_f32 v95, v8, v22
	s_waitcnt lgkmcnt(13)
	v_dual_mul_f32 v20, v9, v22 :: v_dual_mul_f32 v97, v35, v24
	v_mul_f32_e32 v98, v37, v26
	v_fma_f32 v93, v6, v19, -v93
	v_dual_fmac_f32 v94, v7, v19 :: v_dual_fmac_f32 v95, v9, v21
	v_mul_f32_e32 v19, v36, v24
	v_fma_f32 v96, v8, v21, -v20
	v_mul_f32_e32 v20, v38, v26
	s_waitcnt lgkmcnt(12)
	v_mul_f32_e32 v24, v40, v28
	v_dual_mul_f32 v99, v39, v28 :: v_dual_mul_f32 v26, v42, v30
	v_fma_f32 v100, v35, v23, -v19
	v_mul_f32_e32 v102, v41, v30
	v_add_f32_e32 v35, 0, v94
	s_delay_alu instid0(VALU_DEP_4) | instskip(SKIP_1) | instid1(VALU_DEP_3)
	v_fmac_f32_e32 v99, v40, v27
	v_dual_fmac_f32 v97, v36, v23 :: v_dual_fmac_f32 v98, v38, v25
	v_dual_fmac_f32 v102, v42, v29 :: v_dual_add_f32 v35, v35, v95
	v_fma_f32 v103, v41, v29, -v26
	s_waitcnt lgkmcnt(11)
	v_dual_mul_f32 v36, v44, v32 :: v_dual_mul_f32 v95, v45, v34
	v_mul_f32_e32 v94, v43, v32
	v_dual_mul_f32 v32, v46, v34 :: v_dual_add_f32 v41, v35, v97
	v_add_f32_e32 v34, 0, v93
	v_fma_f32 v101, v37, v25, -v20
	s_waitcnt lgkmcnt(9)
	v_mul_f32_e32 v97, v49, v54
	v_fma_f32 v39, v39, v27, -v24
	v_dual_add_f32 v41, v41, v98 :: v_dual_add_f32 v40, v34, v96
	v_mul_f32_e32 v42, v48, v52
	s_delay_alu instid0(VALU_DEP_4) | instskip(SKIP_1) | instid1(VALU_DEP_4)
	v_dual_mul_f32 v96, v47, v52 :: v_dual_fmac_f32 v97, v50, v53
	v_fma_f32 v93, v43, v31, -v36
	v_dual_add_f32 v40, v40, v100 :: v_dual_fmac_f32 v95, v46, v33
	v_dual_fmac_f32 v94, v44, v31 :: v_dual_mul_f32 v43, v50, v54
	s_delay_alu instid0(VALU_DEP_2) | instskip(SKIP_4) | instid1(VALU_DEP_3)
	v_dual_add_f32 v41, v41, v99 :: v_dual_add_f32 v40, v40, v101
	s_waitcnt lgkmcnt(7)
	v_dual_mul_f32 v101, v61, v58 :: v_dual_mul_f32 v98, v59, v56
	v_fma_f32 v99, v47, v51, -v42
	v_dual_mul_f32 v47, v62, v58 :: v_dual_fmac_f32 v96, v48, v51
	v_fmac_f32_e32 v101, v62, v57
	v_add_f32_e32 v51, v40, v39
	v_mul_f32_e32 v52, v60, v56
	v_fma_f32 v100, v49, v53, -v43
	v_add_f32_e32 v53, v41, v102
	v_fma_f32 v104, v45, v33, -v32
	s_waitcnt lgkmcnt(5)
	v_dual_add_f32 v51, v51, v103 :: v_dual_mul_f32 v56, v66, v70
	v_fma_f32 v102, v59, v55, -v52
	v_fmac_f32_e32 v98, v60, v55
	v_fma_f32 v105, v61, v57, -v47
	s_delay_alu instid0(VALU_DEP_4)
	v_add_f32_e32 v57, v51, v93
	v_dual_mul_f32 v55, v64, v68 :: v_dual_add_f32 v52, v53, v94
	v_mul_f32_e32 v68, v63, v68
	v_mul_f32_e32 v70, v65, v70
	ds_load_2addr_b64 v[6:9], v17 offset0:64 offset1:96
	v_fma_f32 v94, v63, v67, -v55
	v_add_f32_e32 v93, v52, v95
	v_dual_fmac_f32 v68, v64, v67 :: v_dual_add_f32 v63, v57, v104
	v_fma_f32 v67, v65, v69, -v56
	s_waitcnt lgkmcnt(4)
	v_dual_mul_f32 v65, v76, v72 :: v_dual_fmac_f32 v70, v66, v69
	v_mul_f32_e32 v69, v75, v72
	v_dual_add_f32 v64, v93, v96 :: v_dual_add_f32 v63, v63, v99
	ds_load_2addr_b64 v[19:22], v17 offset0:128 offset1:160
	ds_load_b128 v[23:26], v12 offset:160
	ds_load_b128 v[27:30], v12 offset:176
	ds_load_2addr_b64 v[31:34], v17 offset0:192 offset1:224
	v_dual_mul_f32 v66, v78, v74 :: v_dual_fmac_f32 v69, v76, v71
	v_add_f32_e32 v76, v63, v100
	v_fma_f32 v75, v75, v71, -v65
	ds_load_2addr_b64 v[35:38], v18 offset1:32
	v_fma_f32 v71, v77, v73, -v66
	ds_load_b128 v[39:42], v12 offset:192
	ds_load_b128 v[43:46], v12 offset:208
	v_add_f32_e32 v76, v76, v102
	ds_load_2addr_b64 v[47:50], v18 offset0:64 offset1:96
	v_mul_f32_e32 v74, v77, v74
	s_waitcnt lgkmcnt(10)
	v_dual_add_f32 v72, v64, v97 :: v_dual_mul_f32 v77, v79, v84
	v_add_f32_e32 v76, v76, v105
	ds_load_2addr_b64 v[51:54], v18 offset0:128 offset1:160
	v_dual_fmac_f32 v74, v78, v73 :: v_dual_mul_f32 v73, v80, v84
	v_mul_f32_e32 v84, v81, v86
	v_add_f32_e32 v76, v76, v94
	v_mul_f32_e32 v78, v82, v86
	s_waitcnt lgkmcnt(9)
	v_dual_mul_f32 v86, v7, v88 :: v_dual_fmac_f32 v77, v80, v83
	v_fma_f32 v73, v79, v83, -v73
	v_add_f32_e32 v67, v76, v67
	v_add_f32_e32 v72, v72, v98
	s_waitcnt lgkmcnt(7)
	v_mul_f32_e32 v93, v20, v24
	v_mul_f32_e32 v24, v19, v24
	ds_load_b128 v[55:58], v12 offset:224
	ds_load_b128 v[59:62], v12 offset:240
	v_add_f32_e32 v67, v67, v75
	ds_load_2addr_b64 v[63:66], v18 offset0:192 offset1:224
	s_waitcnt lgkmcnt(8)
	v_dual_mul_f32 v75, v34, v30 :: v_dual_fmac_f32 v24, v20, v23
	v_fma_f32 v19, v19, v23, -v93
	v_dual_add_f32 v67, v67, v71 :: v_dual_mul_f32 v88, v6, v88
	s_waitcnt lgkmcnt(6)
	v_mul_f32_e32 v71, v36, v40
	v_mul_f32_e32 v40, v35, v40
	v_fma_f32 v6, v6, v87, -v86
	v_add_f32_e32 v67, v67, v73
	v_add_f32_e32 v72, v72, v101
	v_fmac_f32_e32 v88, v7, v87
	v_fmac_f32_e32 v40, v36, v39
	v_fma_f32 v23, v35, v39, -v71
	s_delay_alu instid0(VALU_DEP_4) | instskip(SKIP_2) | instid1(VALU_DEP_3)
	v_add_f32_e32 v68, v72, v68
	v_mul_f32_e32 v72, v9, v90
	v_mul_f32_e32 v90, v8, v90
	v_add_f32_e32 v68, v68, v70
	s_delay_alu instid0(VALU_DEP_3) | instskip(SKIP_1) | instid1(VALU_DEP_3)
	v_fma_f32 v8, v8, v89, -v72
	s_waitcnt lgkmcnt(4)
	v_dual_fmac_f32 v90, v9, v89 :: v_dual_mul_f32 v9, v47, v44
	v_mul_f32_e32 v30, v33, v30
	v_add_f32_e32 v68, v68, v69
	v_mul_f32_e32 v69, v32, v28
	s_delay_alu instid0(VALU_DEP_4) | instskip(SKIP_1) | instid1(VALU_DEP_4)
	v_dual_mul_f32 v28, v31, v28 :: v_dual_fmac_f32 v9, v48, v43
	v_mul_f32_e32 v76, v38, v42
	v_add_f32_e32 v68, v68, v74
	v_fma_f32 v74, v81, v85, -v78
	v_mul_f32_e32 v42, v37, v42
	v_fmac_f32_e32 v30, v34, v29
	s_delay_alu instid0(VALU_DEP_3) | instskip(NEXT) | instid1(VALU_DEP_3)
	v_dual_fmac_f32 v84, v82, v85 :: v_dual_add_f32 v67, v67, v74
	v_fmac_f32_e32 v42, v38, v41
	v_add_f32_e32 v68, v68, v77
	v_mul_f32_e32 v70, v22, v26
	v_mul_f32_e32 v26, v21, v26
	s_delay_alu instid0(VALU_DEP_3) | instskip(NEXT) | instid1(VALU_DEP_3)
	v_dual_add_f32 v6, v67, v6 :: v_dual_add_f32 v7, v68, v84
	v_fma_f32 v20, v21, v25, -v70
	v_fma_f32 v21, v31, v27, -v69
	s_delay_alu instid0(VALU_DEP_3) | instskip(NEXT) | instid1(VALU_DEP_1)
	v_add_f32_e32 v6, v6, v8
	v_dual_add_f32 v6, v6, v19 :: v_dual_mul_f32 v19, v49, v46
	s_delay_alu instid0(VALU_DEP_1) | instskip(SKIP_1) | instid1(VALU_DEP_2)
	v_add_f32_e32 v6, v6, v20
	s_waitcnt lgkmcnt(2)
	v_dual_fmac_f32 v19, v50, v45 :: v_dual_mul_f32 v20, v52, v56
	s_delay_alu instid0(VALU_DEP_2) | instskip(SKIP_2) | instid1(VALU_DEP_4)
	v_dual_add_f32 v6, v6, v21 :: v_dual_mul_f32 v21, v51, v56
	v_fmac_f32_e32 v26, v22, v25
	v_fma_f32 v22, v33, v29, -v75
	v_fma_f32 v20, v51, v55, -v20
	s_delay_alu instid0(VALU_DEP_2) | instskip(SKIP_1) | instid1(VALU_DEP_2)
	v_dual_fmac_f32 v21, v52, v55 :: v_dual_add_f32 v6, v6, v22
	v_mul_f32_e32 v22, v54, v58
	v_dual_add_f32 v6, v6, v23 :: v_dual_mul_f32 v23, v53, v58
	s_delay_alu instid0(VALU_DEP_1) | instskip(SKIP_1) | instid1(VALU_DEP_1)
	v_dual_fmac_f32 v28, v32, v27 :: v_dual_fmac_f32 v23, v54, v57
	v_add_f32_e32 v7, v7, v88
	v_add_f32_e32 v7, v7, v90
	s_delay_alu instid0(VALU_DEP_1) | instskip(NEXT) | instid1(VALU_DEP_1)
	v_add_f32_e32 v7, v7, v24
	v_add_f32_e32 v7, v7, v26
	s_delay_alu instid0(VALU_DEP_1) | instskip(NEXT) | instid1(VALU_DEP_1)
	;; [unrolled: 3-line block ×3, first 2 shown]
	v_add_f32_e32 v7, v7, v40
	v_add_f32_e32 v7, v7, v42
	s_delay_alu instid0(VALU_DEP_1) | instskip(SKIP_3) | instid1(VALU_DEP_3)
	v_dual_add_f32 v7, v7, v9 :: v_dual_mul_f32 v68, v48, v44
	v_fma_f32 v24, v37, v41, -v76
	s_waitcnt lgkmcnt(0)
	v_mul_f32_e32 v9, v63, v60
	v_add_f32_e32 v7, v7, v19
	v_fma_f32 v25, v47, v43, -v68
	s_delay_alu instid0(VALU_DEP_3) | instskip(NEXT) | instid1(VALU_DEP_3)
	v_dual_add_f32 v6, v6, v24 :: v_dual_fmac_f32 v9, v64, v59
	v_dual_mul_f32 v24, v64, v60 :: v_dual_add_f32 v7, v7, v21
	v_fma_f32 v19, v53, v57, -v22
	s_delay_alu instid0(VALU_DEP_3) | instskip(NEXT) | instid1(VALU_DEP_3)
	v_add_f32_e32 v6, v6, v25
	v_fma_f32 v21, v63, v59, -v24
	s_delay_alu instid0(VALU_DEP_4) | instskip(NEXT) | instid1(VALU_DEP_1)
	v_dual_add_f32 v7, v7, v23 :: v_dual_mul_f32 v8, v50, v46
	v_add_f32_e32 v7, v7, v9
	s_delay_alu instid0(VALU_DEP_2) | instskip(NEXT) | instid1(VALU_DEP_1)
	v_fma_f32 v8, v49, v45, -v8
	v_add_f32_e32 v6, v6, v8
	v_mul_f32_e32 v8, v66, v62
	s_delay_alu instid0(VALU_DEP_2) | instskip(SKIP_1) | instid1(VALU_DEP_3)
	v_add_f32_e32 v6, v6, v20
	v_mul_f32_e32 v20, v65, v62
	v_fma_f32 v8, v65, v61, -v8
	s_delay_alu instid0(VALU_DEP_3) | instskip(NEXT) | instid1(VALU_DEP_3)
	v_add_f32_e32 v6, v6, v19
	v_fmac_f32_e32 v20, v66, v61
	s_delay_alu instid0(VALU_DEP_1) | instskip(NEXT) | instid1(VALU_DEP_1)
	v_dual_add_f32 v6, v6, v21 :: v_dual_add_f32 v7, v7, v20
	v_add_f32_e32 v6, v6, v8
	s_delay_alu instid0(VALU_DEP_1) | instskip(NEXT) | instid1(VALU_DEP_1)
	v_dual_mul_f32 v8, s9, v7 :: v_dual_mul_f32 v9, s9, v6
	v_fma_f32 v6, s8, v6, -v8
	s_waitcnt vmcnt(0)
	s_delay_alu instid0(VALU_DEP_1) | instskip(NEXT) | instid1(VALU_DEP_1)
	v_dual_fmac_f32 v9, s8, v7 :: v_dual_add_f32 v6, v91, v6
	v_add_f32_e32 v7, v92, v9
	global_store_b64 v[0:1], v[6:7], off
	s_branch .LBB1616_4
.LBB1616_11:
	s_endpgm
	.section	.rodata,"a",@progbits
	.p2align	6, 0x0
	.amdhsa_kernel _ZL26rocblas_syr2k_her2k_kernelIlLb0ELb0ELb1ELi32EPK19rocblas_complex_numIfEPKS3_PKPS1_EvbiT_T4_T5_S9_lSB_S9_lT6_S9_li
		.amdhsa_group_segment_fixed_size 16384
		.amdhsa_private_segment_fixed_size 0
		.amdhsa_kernarg_size 100
		.amdhsa_user_sgpr_count 13
		.amdhsa_user_sgpr_dispatch_ptr 0
		.amdhsa_user_sgpr_queue_ptr 0
		.amdhsa_user_sgpr_kernarg_segment_ptr 1
		.amdhsa_user_sgpr_dispatch_id 0
		.amdhsa_user_sgpr_private_segment_size 0
		.amdhsa_wavefront_size32 1
		.amdhsa_uses_dynamic_stack 0
		.amdhsa_enable_private_segment 0
		.amdhsa_system_sgpr_workgroup_id_x 1
		.amdhsa_system_sgpr_workgroup_id_y 1
		.amdhsa_system_sgpr_workgroup_id_z 1
		.amdhsa_system_sgpr_workgroup_info 0
		.amdhsa_system_vgpr_workitem_id 1
		.amdhsa_next_free_vgpr 106
		.amdhsa_next_free_sgpr 32
		.amdhsa_reserve_vcc 1
		.amdhsa_float_round_mode_32 0
		.amdhsa_float_round_mode_16_64 0
		.amdhsa_float_denorm_mode_32 3
		.amdhsa_float_denorm_mode_16_64 3
		.amdhsa_dx10_clamp 1
		.amdhsa_ieee_mode 1
		.amdhsa_fp16_overflow 0
		.amdhsa_workgroup_processor_mode 1
		.amdhsa_memory_ordered 1
		.amdhsa_forward_progress 0
		.amdhsa_shared_vgpr_count 0
		.amdhsa_exception_fp_ieee_invalid_op 0
		.amdhsa_exception_fp_denorm_src 0
		.amdhsa_exception_fp_ieee_div_zero 0
		.amdhsa_exception_fp_ieee_overflow 0
		.amdhsa_exception_fp_ieee_underflow 0
		.amdhsa_exception_fp_ieee_inexact 0
		.amdhsa_exception_int_div_zero 0
	.end_amdhsa_kernel
	.section	.text._ZL26rocblas_syr2k_her2k_kernelIlLb0ELb0ELb1ELi32EPK19rocblas_complex_numIfEPKS3_PKPS1_EvbiT_T4_T5_S9_lSB_S9_lT6_S9_li,"axG",@progbits,_ZL26rocblas_syr2k_her2k_kernelIlLb0ELb0ELb1ELi32EPK19rocblas_complex_numIfEPKS3_PKPS1_EvbiT_T4_T5_S9_lSB_S9_lT6_S9_li,comdat
.Lfunc_end1616:
	.size	_ZL26rocblas_syr2k_her2k_kernelIlLb0ELb0ELb1ELi32EPK19rocblas_complex_numIfEPKS3_PKPS1_EvbiT_T4_T5_S9_lSB_S9_lT6_S9_li, .Lfunc_end1616-_ZL26rocblas_syr2k_her2k_kernelIlLb0ELb0ELb1ELi32EPK19rocblas_complex_numIfEPKS3_PKPS1_EvbiT_T4_T5_S9_lSB_S9_lT6_S9_li
                                        ; -- End function
	.section	.AMDGPU.csdata,"",@progbits
; Kernel info:
; codeLenInByte = 2348
; NumSgprs: 34
; NumVgprs: 106
; ScratchSize: 0
; MemoryBound: 0
; FloatMode: 240
; IeeeMode: 1
; LDSByteSize: 16384 bytes/workgroup (compile time only)
; SGPRBlocks: 4
; VGPRBlocks: 13
; NumSGPRsForWavesPerEU: 34
; NumVGPRsForWavesPerEU: 106
; Occupancy: 12
; WaveLimiterHint : 1
; COMPUTE_PGM_RSRC2:SCRATCH_EN: 0
; COMPUTE_PGM_RSRC2:USER_SGPR: 13
; COMPUTE_PGM_RSRC2:TRAP_HANDLER: 0
; COMPUTE_PGM_RSRC2:TGID_X_EN: 1
; COMPUTE_PGM_RSRC2:TGID_Y_EN: 1
; COMPUTE_PGM_RSRC2:TGID_Z_EN: 1
; COMPUTE_PGM_RSRC2:TIDIG_COMP_CNT: 1
	.section	.text._ZL26rocblas_syr2k_her2k_kernelIlLb0ELb0ELb0ELi32E19rocblas_complex_numIdEPKPKS1_PKPS1_EvbiT_T4_T5_S9_lSB_S9_lT6_S9_li,"axG",@progbits,_ZL26rocblas_syr2k_her2k_kernelIlLb0ELb0ELb0ELi32E19rocblas_complex_numIdEPKPKS1_PKPS1_EvbiT_T4_T5_S9_lSB_S9_lT6_S9_li,comdat
	.globl	_ZL26rocblas_syr2k_her2k_kernelIlLb0ELb0ELb0ELi32E19rocblas_complex_numIdEPKPKS1_PKPS1_EvbiT_T4_T5_S9_lSB_S9_lT6_S9_li ; -- Begin function _ZL26rocblas_syr2k_her2k_kernelIlLb0ELb0ELb0ELi32E19rocblas_complex_numIdEPKPKS1_PKPS1_EvbiT_T4_T5_S9_lSB_S9_lT6_S9_li
	.p2align	8
	.type	_ZL26rocblas_syr2k_her2k_kernelIlLb0ELb0ELb0ELi32E19rocblas_complex_numIdEPKPKS1_PKPS1_EvbiT_T4_T5_S9_lSB_S9_lT6_S9_li,@function
_ZL26rocblas_syr2k_her2k_kernelIlLb0ELb0ELb0ELi32E19rocblas_complex_numIdEPKPKS1_PKPS1_EvbiT_T4_T5_S9_lSB_S9_lT6_S9_li: ; @_ZL26rocblas_syr2k_her2k_kernelIlLb0ELb0ELb0ELi32E19rocblas_complex_numIdEPKPKS1_PKPS1_EvbiT_T4_T5_S9_lSB_S9_lT6_S9_li
; %bb.0:
	s_load_b512 s[16:31], s[0:1], 0x8
	s_waitcnt lgkmcnt(0)
	v_cmp_eq_f64_e64 s2, s[18:19], 0
	v_cmp_eq_f64_e64 s3, s[20:21], 0
	s_delay_alu instid0(VALU_DEP_1) | instskip(NEXT) | instid1(SALU_CYCLE_1)
	s_and_b32 s2, s2, s3
	s_and_b32 vcc_lo, exec_lo, s2
	s_cbranch_vccnz .LBB1617_11
; %bb.1:
	s_load_b64 s[2:3], s[0:1], 0x0
	s_mov_b32 s12, s15
	s_lshl_b32 s14, s14, 5
	s_lshl_b32 s15, s13, 5
	s_waitcnt lgkmcnt(0)
	s_and_b32 s2, 1, s2
	s_delay_alu instid0(SALU_CYCLE_1) | instskip(SKIP_1) | instid1(SALU_CYCLE_1)
	s_cmp_eq_u32 s2, 1
	s_cselect_b32 s2, -1, 0
	s_and_b32 s4, s2, exec_lo
	s_cselect_b32 s4, s15, s14
	s_cselect_b32 s5, s14, s15
	s_delay_alu instid0(SALU_CYCLE_1)
	s_cmp_gt_i32 s4, s5
	s_cbranch_scc1 .LBB1617_11
; %bb.2:
	v_cmp_lt_i64_e64 s4, s[16:17], 1
	s_delay_alu instid0(VALU_DEP_1)
	s_and_b32 vcc_lo, exec_lo, s4
	s_cbranch_vccnz .LBB1617_11
; %bb.3:
	s_load_b256 s[4:11], s[0:1], 0x48
	v_bfe_u32 v14, v0, 10, 10
	s_mov_b32 s13, 0
	v_and_b32_e32 v15, 0x3ff, v0
	s_lshl_b64 s[0:1], s[12:13], 3
	s_delay_alu instid0(VALU_DEP_2) | instskip(SKIP_3) | instid1(VALU_DEP_1)
	v_dual_mov_b32 v1, 0 :: v_dual_add_nc_u32 v2, s14, v14
	s_add_u32 s12, s22, s0
	s_addc_u32 s13, s23, s1
	s_add_u32 s14, s28, s0
	v_dual_mov_b32 v3, v1 :: v_dual_add_nc_u32 v0, s15, v15
	s_addc_u32 s15, s29, s1
	v_ashrrev_i32_e32 v9, 31, v2
	v_mad_u64_u32 v[4:5], null, s30, v15, 0
	v_mad_u64_u32 v[6:7], null, s24, v14, 0
	v_cndmask_b32_e64 v11, v0, v2, s2
	v_cndmask_b32_e64 v12, v2, v0, s2
	s_waitcnt lgkmcnt(0)
	s_add_u32 s0, s6, s0
	s_addc_u32 s1, s7, s1
	v_mul_lo_u32 v20, v9, s8
	s_load_b64 s[0:1], s[0:1], 0x0
	v_mul_lo_u32 v21, v2, s9
	v_mad_u64_u32 v[9:10], null, v2, s8, 0
	v_lshlrev_b32_e32 v8, 4, v14
	v_max_i32_e32 v13, v0, v2
	v_cmp_le_i32_e64 s2, v12, v11
	v_mad_u64_u32 v[11:12], null, s31, v15, v[5:6]
	v_dual_mov_b32 v5, v7 :: v_dual_lshlrev_b32 v16, 9, v15
	v_mov_b32_e32 v7, v0
	v_add3_u32 v10, v10, v21, v20
	v_cmp_gt_i32_e32 vcc_lo, s3, v13
	s_delay_alu instid0(VALU_DEP_4)
	v_mad_u64_u32 v[12:13], null, s25, v14, v[5:6]
	v_add_nc_u32_e32 v17, v16, v8
	v_or_b32_e32 v18, 0x4000, v8
	v_ashrrev_i32_e32 v8, 31, v0
	v_lshlrev_b64 v[9:10], 4, v[9:10]
	s_lshl_b64 s[8:9], s[10:11], 4
	v_mov_b32_e32 v5, v11
	s_waitcnt lgkmcnt(0)
	s_add_u32 s10, s0, s8
	v_lshlrev_b64 v[20:21], 4, v[7:8]
	s_addc_u32 s9, s1, s9
	s_and_b32 s8, s2, vcc_lo
	v_add_co_u32 v8, vcc_lo, s10, v9
	s_load_b64 s[6:7], s[12:13], 0x0
	s_load_b64 s[12:13], s[14:15], 0x0
	v_mov_b32_e32 v7, v12
	v_add_co_ci_u32_e32 v9, vcc_lo, s9, v10, vcc_lo
	v_lshlrev_b64 v[4:5], 4, v[4:5]
	v_add_co_u32 v8, vcc_lo, v8, v20
	s_mov_b32 s34, s3
	s_ashr_i32 s35, s3, 31
	s_lshl_b64 s[2:3], s[4:5], 4
	v_lshlrev_b64 v[6:7], 4, v[6:7]
	v_add_co_ci_u32_e32 v9, vcc_lo, v9, v21, vcc_lo
	v_add_co_u32 v4, vcc_lo, v4, s2
	v_cmp_gt_i64_e64 s1, s[34:35], v[2:3]
	v_lshlrev_b64 v[2:3], 4, v[2:3]
	v_add_co_ci_u32_e32 v5, vcc_lo, s3, v5, vcc_lo
	s_lshl_b64 s[2:3], s[26:27], 4
	v_cmp_gt_i64_e64 s0, s[34:35], v[0:1]
	v_add_co_u32 v6, vcc_lo, v6, s2
	v_lshlrev_b64 v[0:1], 4, v[0:1]
	v_add_co_ci_u32_e32 v7, vcc_lo, s3, v7, vcc_lo
	v_add_co_u32 v2, vcc_lo, v4, v2
	v_add_co_ci_u32_e32 v3, vcc_lo, v5, v3, vcc_lo
	s_delay_alu instid0(VALU_DEP_4) | instskip(NEXT) | instid1(VALU_DEP_4)
	v_add_co_u32 v0, vcc_lo, v6, v0
	v_add_co_ci_u32_e32 v1, vcc_lo, v7, v1, vcc_lo
	s_waitcnt lgkmcnt(0)
	v_add_co_u32 v2, vcc_lo, v2, s12
	v_add_co_ci_u32_e32 v3, vcc_lo, s13, v3, vcc_lo
	v_add_co_u32 v0, vcc_lo, v0, s6
	v_add_co_ci_u32_e32 v1, vcc_lo, s7, v1, vcc_lo
	s_delay_alu instid0(VALU_DEP_4) | instskip(NEXT) | instid1(VALU_DEP_4)
	v_add_co_u32 v10, vcc_lo, v2, 8
	v_add_co_ci_u32_e32 v11, vcc_lo, 0, v3, vcc_lo
	s_delay_alu instid0(VALU_DEP_4)
	v_add_co_u32 v12, vcc_lo, v0, 8
	v_add_nc_u32_e32 v19, v18, v16
	v_add_co_ci_u32_e32 v13, vcc_lo, 0, v1, vcc_lo
	s_lshl_b64 s[2:3], s[30:31], 9
	s_lshl_b64 s[4:5], s[24:25], 9
	s_mov_b64 s[6:7], 0
	s_branch .LBB1617_5
.LBB1617_4:                             ;   in Loop: Header=BB1617_5 Depth=1
	s_or_b32 exec_lo, exec_lo, s9
	s_add_u32 s6, s6, 32
	s_addc_u32 s7, s7, 0
	v_add_co_u32 v10, vcc_lo, v10, s2
	v_cmp_lt_i64_e64 s9, s[6:7], s[16:17]
	v_add_co_ci_u32_e32 v11, vcc_lo, s3, v11, vcc_lo
	v_add_co_u32 v12, vcc_lo, v12, s4
	v_add_co_ci_u32_e32 v13, vcc_lo, s5, v13, vcc_lo
	s_delay_alu instid0(VALU_DEP_4)
	s_and_b32 vcc_lo, exec_lo, s9
	s_waitcnt_vscnt null, 0x0
	s_barrier
	buffer_gl0_inv
	s_cbranch_vccz .LBB1617_11
.LBB1617_5:                             ; =>This Inner Loop Header: Depth=1
	v_add_co_u32 v2, s9, v14, s6
	s_delay_alu instid0(VALU_DEP_1) | instskip(SKIP_2) | instid1(VALU_DEP_3)
	v_add_co_ci_u32_e64 v3, null, 0, s7, s9
	v_mov_b32_e32 v0, 0
	v_mov_b32_e32 v1, 0
	v_cmp_gt_i64_e32 vcc_lo, s[16:17], v[2:3]
	s_delay_alu instid0(VALU_DEP_2) | instskip(SKIP_2) | instid1(SALU_CYCLE_1)
	v_dual_mov_b32 v5, v1 :: v_dual_mov_b32 v4, v0
	v_dual_mov_b32 v7, v1 :: v_dual_mov_b32 v6, v0
	s_and_b32 s10, s0, vcc_lo
	s_and_saveexec_b32 s9, s10
	s_cbranch_execz .LBB1617_7
; %bb.6:                                ;   in Loop: Header=BB1617_5 Depth=1
	global_load_b128 v[4:7], v[12:13], off offset:-8
.LBB1617_7:                             ;   in Loop: Header=BB1617_5 Depth=1
	s_or_b32 exec_lo, exec_lo, s9
	v_add_co_u32 v2, s9, v15, s6
	s_delay_alu instid0(VALU_DEP_1)
	v_add_co_ci_u32_e64 v3, null, 0, s7, s9
	s_waitcnt vmcnt(0)
	ds_store_b128 v17, v[4:7]
	v_cmp_gt_i64_e32 vcc_lo, s[16:17], v[2:3]
	v_dual_mov_b32 v3, v1 :: v_dual_mov_b32 v2, v0
	s_and_b32 s10, s1, vcc_lo
	s_delay_alu instid0(SALU_CYCLE_1)
	s_and_saveexec_b32 s9, s10
	s_cbranch_execz .LBB1617_9
; %bb.8:                                ;   in Loop: Header=BB1617_5 Depth=1
	global_load_b128 v[0:3], v[10:11], off offset:-8
.LBB1617_9:                             ;   in Loop: Header=BB1617_5 Depth=1
	s_or_b32 exec_lo, exec_lo, s9
	s_waitcnt vmcnt(0)
	ds_store_b128 v19, v[0:3]
	s_waitcnt lgkmcnt(0)
	s_barrier
	buffer_gl0_inv
	s_and_saveexec_b32 s9, s8
	s_cbranch_execz .LBB1617_4
; %bb.10:                               ;   in Loop: Header=BB1617_5 Depth=1
	ds_load_b128 v[0:3], v18
	ds_load_b128 v[4:7], v16
	ds_load_b128 v[20:23], v16 offset:16
	ds_load_b128 v[24:27], v18 offset:512
	s_waitcnt lgkmcnt(2)
	v_mul_f64 v[28:29], v[0:1], v[6:7]
	v_mul_f64 v[6:7], v[2:3], v[6:7]
	s_waitcnt lgkmcnt(0)
	v_mul_f64 v[36:37], v[26:27], v[22:23]
	v_mul_f64 v[22:23], v[24:25], v[22:23]
	s_delay_alu instid0(VALU_DEP_4) | instskip(NEXT) | instid1(VALU_DEP_4)
	v_fma_f64 v[38:39], v[2:3], v[4:5], v[28:29]
	v_fma_f64 v[40:41], v[0:1], v[4:5], -v[6:7]
	ds_load_b128 v[0:3], v18 offset:1024
	ds_load_b128 v[4:7], v16 offset:32
	;; [unrolled: 1-line block ×4, first 2 shown]
	v_fma_f64 v[24:25], v[24:25], v[20:21], -v[36:37]
	v_fma_f64 v[20:21], v[26:27], v[20:21], v[22:23]
	s_waitcnt lgkmcnt(2)
	v_mul_f64 v[42:43], v[2:3], v[6:7]
	v_mul_f64 v[6:7], v[0:1], v[6:7]
	s_waitcnt lgkmcnt(0)
	v_mul_f64 v[36:37], v[34:35], v[30:31]
	v_mul_f64 v[30:31], v[32:33], v[30:31]
	v_add_f64 v[22:23], v[38:39], 0
	v_add_f64 v[26:27], v[40:41], 0
	v_fma_f64 v[38:39], v[0:1], v[4:5], -v[42:43]
	v_fma_f64 v[40:41], v[2:3], v[4:5], v[6:7]
	v_fma_f64 v[32:33], v[32:33], v[28:29], -v[36:37]
	v_fma_f64 v[28:29], v[34:35], v[28:29], v[30:31]
	v_add_f64 v[42:43], v[22:23], v[20:21]
	v_add_f64 v[44:45], v[26:27], v[24:25]
	ds_load_b128 v[0:3], v16 offset:64
	ds_load_b128 v[4:7], v18 offset:2048
	ds_load_b128 v[20:23], v18 offset:2560
	ds_load_b128 v[24:27], v16 offset:80
	s_waitcnt lgkmcnt(2)
	v_mul_f64 v[46:47], v[6:7], v[2:3]
	v_mul_f64 v[2:3], v[4:5], v[2:3]
	s_waitcnt lgkmcnt(0)
	v_mul_f64 v[36:37], v[22:23], v[26:27]
	v_add_f64 v[30:31], v[42:43], v[40:41]
	v_add_f64 v[34:35], v[44:45], v[38:39]
	v_mul_f64 v[38:39], v[20:21], v[26:27]
	v_fma_f64 v[40:41], v[4:5], v[0:1], -v[46:47]
	v_fma_f64 v[42:43], v[6:7], v[0:1], v[2:3]
	v_fma_f64 v[20:21], v[20:21], v[24:25], -v[36:37]
	v_add_f64 v[44:45], v[30:31], v[28:29]
	v_add_f64 v[34:35], v[34:35], v[32:33]
	ds_load_b128 v[0:3], v16 offset:96
	ds_load_b128 v[4:7], v18 offset:3072
	ds_load_b128 v[26:29], v18 offset:3584
	ds_load_b128 v[30:33], v16 offset:112
	v_fma_f64 v[22:23], v[22:23], v[24:25], v[38:39]
	s_waitcnt lgkmcnt(2)
	v_mul_f64 v[46:47], v[6:7], v[2:3]
	v_mul_f64 v[2:3], v[4:5], v[2:3]
	s_waitcnt lgkmcnt(0)
	v_mul_f64 v[36:37], v[28:29], v[32:33]
	v_mul_f64 v[38:39], v[26:27], v[32:33]
	v_add_f64 v[24:25], v[44:45], v[42:43]
	v_add_f64 v[34:35], v[34:35], v[40:41]
	v_fma_f64 v[40:41], v[4:5], v[0:1], -v[46:47]
	v_fma_f64 v[42:43], v[6:7], v[0:1], v[2:3]
	v_fma_f64 v[26:27], v[26:27], v[30:31], -v[36:37]
	v_fma_f64 v[28:29], v[28:29], v[30:31], v[38:39]
	v_add_f64 v[24:25], v[24:25], v[22:23]
	v_add_f64 v[44:45], v[34:35], v[20:21]
	ds_load_b128 v[0:3], v16 offset:128
	ds_load_b128 v[4:7], v18 offset:4096
	ds_load_b128 v[20:23], v18 offset:4608
	ds_load_b128 v[32:35], v16 offset:144
	s_waitcnt lgkmcnt(2)
	v_mul_f64 v[46:47], v[6:7], v[2:3]
	v_mul_f64 v[2:3], v[4:5], v[2:3]
	s_waitcnt lgkmcnt(0)
	v_mul_f64 v[36:37], v[22:23], v[34:35]
	v_mul_f64 v[34:35], v[20:21], v[34:35]
	v_add_f64 v[24:25], v[24:25], v[42:43]
	v_add_f64 v[30:31], v[44:45], v[40:41]
	v_fma_f64 v[38:39], v[4:5], v[0:1], -v[46:47]
	v_fma_f64 v[40:41], v[6:7], v[0:1], v[2:3]
	v_fma_f64 v[20:21], v[20:21], v[32:33], -v[36:37]
	v_fma_f64 v[22:23], v[22:23], v[32:33], v[34:35]
	v_add_f64 v[42:43], v[24:25], v[28:29]
	v_add_f64 v[44:45], v[30:31], v[26:27]
	ds_load_b128 v[0:3], v16 offset:160
	ds_load_b128 v[4:7], v18 offset:5120
	ds_load_b128 v[24:27], v18 offset:5632
	ds_load_b128 v[28:31], v16 offset:176
	s_waitcnt lgkmcnt(2)
	v_mul_f64 v[46:47], v[6:7], v[2:3]
	v_mul_f64 v[2:3], v[4:5], v[2:3]
	s_waitcnt lgkmcnt(0)
	v_mul_f64 v[36:37], v[26:27], v[30:31]
	v_add_f64 v[32:33], v[42:43], v[40:41]
	v_add_f64 v[34:35], v[44:45], v[38:39]
	v_mul_f64 v[38:39], v[24:25], v[30:31]
	v_fma_f64 v[40:41], v[4:5], v[0:1], -v[46:47]
	v_fma_f64 v[42:43], v[6:7], v[0:1], v[2:3]
	v_fma_f64 v[24:25], v[24:25], v[28:29], -v[36:37]
	v_add_f64 v[44:45], v[32:33], v[22:23]
	v_add_f64 v[34:35], v[34:35], v[20:21]
	ds_load_b128 v[0:3], v16 offset:192
	ds_load_b128 v[4:7], v18 offset:6144
	ds_load_b128 v[20:23], v18 offset:6656
	ds_load_b128 v[30:33], v16 offset:208
	v_fma_f64 v[26:27], v[26:27], v[28:29], v[38:39]
	s_waitcnt lgkmcnt(2)
	v_mul_f64 v[46:47], v[6:7], v[2:3]
	v_mul_f64 v[2:3], v[4:5], v[2:3]
	s_waitcnt lgkmcnt(0)
	v_mul_f64 v[36:37], v[22:23], v[32:33]
	v_mul_f64 v[38:39], v[20:21], v[32:33]
	v_add_f64 v[28:29], v[44:45], v[42:43]
	v_add_f64 v[34:35], v[34:35], v[40:41]
	v_fma_f64 v[40:41], v[4:5], v[0:1], -v[46:47]
	v_fma_f64 v[42:43], v[6:7], v[0:1], v[2:3]
	v_fma_f64 v[20:21], v[20:21], v[30:31], -v[36:37]
	v_fma_f64 v[22:23], v[22:23], v[30:31], v[38:39]
	v_add_f64 v[28:29], v[28:29], v[26:27]
	v_add_f64 v[44:45], v[34:35], v[24:25]
	ds_load_b128 v[0:3], v16 offset:224
	ds_load_b128 v[4:7], v18 offset:7168
	ds_load_b128 v[24:27], v18 offset:7680
	ds_load_b128 v[32:35], v16 offset:240
	;; [unrolled: 54-line block ×4, first 2 shown]
	s_waitcnt lgkmcnt(2)
	v_mul_f64 v[46:47], v[6:7], v[2:3]
	v_mul_f64 v[2:3], v[4:5], v[2:3]
	s_waitcnt lgkmcnt(0)
	v_mul_f64 v[38:39], v[26:27], v[34:35]
	v_add_f64 v[28:29], v[28:29], v[42:43]
	v_add_f64 v[30:31], v[44:45], v[40:41]
	v_mul_f64 v[40:41], v[24:25], v[34:35]
	v_fma_f64 v[42:43], v[4:5], v[0:1], -v[46:47]
	v_fma_f64 v[44:45], v[6:7], v[0:1], v[2:3]
	ds_load_b128 v[0:3], v16 offset:448
	ds_load_b128 v[4:7], v18 offset:14336
	v_fma_f64 v[24:25], v[24:25], v[32:33], -v[38:39]
	v_add_f64 v[46:47], v[28:29], v[22:23]
	v_add_f64 v[48:49], v[30:31], v[20:21]
	global_load_b128 v[20:23], v[8:9], off
	v_fma_f64 v[26:27], v[26:27], v[32:33], v[40:41]
	s_waitcnt lgkmcnt(0)
	v_mul_f64 v[50:51], v[6:7], v[2:3]
	v_mul_f64 v[2:3], v[4:5], v[2:3]
	ds_load_b128 v[28:31], v18 offset:14848
	ds_load_b128 v[34:37], v16 offset:464
	s_waitcnt lgkmcnt(0)
	v_mul_f64 v[40:41], v[30:31], v[36:37]
	v_add_f64 v[32:33], v[46:47], v[44:45]
	v_add_f64 v[38:39], v[48:49], v[42:43]
	v_mul_f64 v[42:43], v[28:29], v[36:37]
	v_fma_f64 v[44:45], v[4:5], v[0:1], -v[50:51]
	v_fma_f64 v[46:47], v[6:7], v[0:1], v[2:3]
	v_fma_f64 v[28:29], v[28:29], v[34:35], -v[40:41]
	v_add_f64 v[32:33], v[32:33], v[26:27]
	v_add_f64 v[48:49], v[38:39], v[24:25]
	ds_load_b128 v[0:3], v16 offset:480
	ds_load_b128 v[4:7], v18 offset:15360
	;; [unrolled: 1-line block ×4, first 2 shown]
	v_fma_f64 v[30:31], v[30:31], v[34:35], v[42:43]
	s_waitcnt lgkmcnt(2)
	v_mul_f64 v[50:51], v[6:7], v[2:3]
	v_mul_f64 v[2:3], v[4:5], v[2:3]
	s_waitcnt lgkmcnt(0)
	v_mul_f64 v[40:41], v[26:27], v[38:39]
	v_mul_f64 v[38:39], v[24:25], v[38:39]
	v_add_f64 v[32:33], v[32:33], v[46:47]
	v_add_f64 v[34:35], v[48:49], v[44:45]
	v_fma_f64 v[4:5], v[4:5], v[0:1], -v[50:51]
	v_fma_f64 v[0:1], v[6:7], v[0:1], v[2:3]
	v_fma_f64 v[24:25], v[24:25], v[36:37], -v[40:41]
	v_fma_f64 v[26:27], v[26:27], v[36:37], v[38:39]
	v_add_f64 v[2:3], v[32:33], v[30:31]
	v_add_f64 v[6:7], v[34:35], v[28:29]
	s_delay_alu instid0(VALU_DEP_2) | instskip(NEXT) | instid1(VALU_DEP_2)
	v_add_f64 v[0:1], v[2:3], v[0:1]
	v_add_f64 v[2:3], v[6:7], v[4:5]
	s_delay_alu instid0(VALU_DEP_2) | instskip(NEXT) | instid1(VALU_DEP_2)
	;; [unrolled: 3-line block ×3, first 2 shown]
	v_mul_f64 v[4:5], s[20:21], v[0:1]
	v_mul_f64 v[6:7], s[20:21], v[2:3]
	s_delay_alu instid0(VALU_DEP_2) | instskip(NEXT) | instid1(VALU_DEP_2)
	v_fma_f64 v[2:3], s[18:19], v[2:3], -v[4:5]
	v_fma_f64 v[4:5], s[18:19], v[0:1], v[6:7]
	s_waitcnt vmcnt(0)
	s_delay_alu instid0(VALU_DEP_2) | instskip(NEXT) | instid1(VALU_DEP_2)
	v_add_f64 v[0:1], v[20:21], v[2:3]
	v_add_f64 v[2:3], v[22:23], v[4:5]
	global_store_b128 v[8:9], v[0:3], off
	s_branch .LBB1617_4
.LBB1617_11:
	s_endpgm
	.section	.rodata,"a",@progbits
	.p2align	6, 0x0
	.amdhsa_kernel _ZL26rocblas_syr2k_her2k_kernelIlLb0ELb0ELb0ELi32E19rocblas_complex_numIdEPKPKS1_PKPS1_EvbiT_T4_T5_S9_lSB_S9_lT6_S9_li
		.amdhsa_group_segment_fixed_size 32768
		.amdhsa_private_segment_fixed_size 0
		.amdhsa_kernarg_size 108
		.amdhsa_user_sgpr_count 13
		.amdhsa_user_sgpr_dispatch_ptr 0
		.amdhsa_user_sgpr_queue_ptr 0
		.amdhsa_user_sgpr_kernarg_segment_ptr 1
		.amdhsa_user_sgpr_dispatch_id 0
		.amdhsa_user_sgpr_private_segment_size 0
		.amdhsa_wavefront_size32 1
		.amdhsa_uses_dynamic_stack 0
		.amdhsa_enable_private_segment 0
		.amdhsa_system_sgpr_workgroup_id_x 1
		.amdhsa_system_sgpr_workgroup_id_y 1
		.amdhsa_system_sgpr_workgroup_id_z 1
		.amdhsa_system_sgpr_workgroup_info 0
		.amdhsa_system_vgpr_workitem_id 1
		.amdhsa_next_free_vgpr 52
		.amdhsa_next_free_sgpr 36
		.amdhsa_reserve_vcc 1
		.amdhsa_float_round_mode_32 0
		.amdhsa_float_round_mode_16_64 0
		.amdhsa_float_denorm_mode_32 3
		.amdhsa_float_denorm_mode_16_64 3
		.amdhsa_dx10_clamp 1
		.amdhsa_ieee_mode 1
		.amdhsa_fp16_overflow 0
		.amdhsa_workgroup_processor_mode 1
		.amdhsa_memory_ordered 1
		.amdhsa_forward_progress 0
		.amdhsa_shared_vgpr_count 0
		.amdhsa_exception_fp_ieee_invalid_op 0
		.amdhsa_exception_fp_denorm_src 0
		.amdhsa_exception_fp_ieee_div_zero 0
		.amdhsa_exception_fp_ieee_overflow 0
		.amdhsa_exception_fp_ieee_underflow 0
		.amdhsa_exception_fp_ieee_inexact 0
		.amdhsa_exception_int_div_zero 0
	.end_amdhsa_kernel
	.section	.text._ZL26rocblas_syr2k_her2k_kernelIlLb0ELb0ELb0ELi32E19rocblas_complex_numIdEPKPKS1_PKPS1_EvbiT_T4_T5_S9_lSB_S9_lT6_S9_li,"axG",@progbits,_ZL26rocblas_syr2k_her2k_kernelIlLb0ELb0ELb0ELi32E19rocblas_complex_numIdEPKPKS1_PKPS1_EvbiT_T4_T5_S9_lSB_S9_lT6_S9_li,comdat
.Lfunc_end1617:
	.size	_ZL26rocblas_syr2k_her2k_kernelIlLb0ELb0ELb0ELi32E19rocblas_complex_numIdEPKPKS1_PKPS1_EvbiT_T4_T5_S9_lSB_S9_lT6_S9_li, .Lfunc_end1617-_ZL26rocblas_syr2k_her2k_kernelIlLb0ELb0ELb0ELi32E19rocblas_complex_numIdEPKPKS1_PKPS1_EvbiT_T4_T5_S9_lSB_S9_lT6_S9_li
                                        ; -- End function
	.section	.AMDGPU.csdata,"",@progbits
; Kernel info:
; codeLenInByte = 3164
; NumSgprs: 38
; NumVgprs: 52
; ScratchSize: 0
; MemoryBound: 1
; FloatMode: 240
; IeeeMode: 1
; LDSByteSize: 32768 bytes/workgroup (compile time only)
; SGPRBlocks: 4
; VGPRBlocks: 6
; NumSGPRsForWavesPerEU: 38
; NumVGPRsForWavesPerEU: 52
; Occupancy: 16
; WaveLimiterHint : 1
; COMPUTE_PGM_RSRC2:SCRATCH_EN: 0
; COMPUTE_PGM_RSRC2:USER_SGPR: 13
; COMPUTE_PGM_RSRC2:TRAP_HANDLER: 0
; COMPUTE_PGM_RSRC2:TGID_X_EN: 1
; COMPUTE_PGM_RSRC2:TGID_Y_EN: 1
; COMPUTE_PGM_RSRC2:TGID_Z_EN: 1
; COMPUTE_PGM_RSRC2:TIDIG_COMP_CNT: 1
	.section	.text._ZL26rocblas_syr2k_her2k_kernelIlLb0ELb0ELb1ELi32E19rocblas_complex_numIdEPKPKS1_PKPS1_EvbiT_T4_T5_S9_lSB_S9_lT6_S9_li,"axG",@progbits,_ZL26rocblas_syr2k_her2k_kernelIlLb0ELb0ELb1ELi32E19rocblas_complex_numIdEPKPKS1_PKPS1_EvbiT_T4_T5_S9_lSB_S9_lT6_S9_li,comdat
	.globl	_ZL26rocblas_syr2k_her2k_kernelIlLb0ELb0ELb1ELi32E19rocblas_complex_numIdEPKPKS1_PKPS1_EvbiT_T4_T5_S9_lSB_S9_lT6_S9_li ; -- Begin function _ZL26rocblas_syr2k_her2k_kernelIlLb0ELb0ELb1ELi32E19rocblas_complex_numIdEPKPKS1_PKPS1_EvbiT_T4_T5_S9_lSB_S9_lT6_S9_li
	.p2align	8
	.type	_ZL26rocblas_syr2k_her2k_kernelIlLb0ELb0ELb1ELi32E19rocblas_complex_numIdEPKPKS1_PKPS1_EvbiT_T4_T5_S9_lSB_S9_lT6_S9_li,@function
_ZL26rocblas_syr2k_her2k_kernelIlLb0ELb0ELb1ELi32E19rocblas_complex_numIdEPKPKS1_PKPS1_EvbiT_T4_T5_S9_lSB_S9_lT6_S9_li: ; @_ZL26rocblas_syr2k_her2k_kernelIlLb0ELb0ELb1ELi32E19rocblas_complex_numIdEPKPKS1_PKPS1_EvbiT_T4_T5_S9_lSB_S9_lT6_S9_li
; %bb.0:
	s_load_b512 s[16:31], s[0:1], 0x8
	s_waitcnt lgkmcnt(0)
	v_cmp_eq_f64_e64 s2, s[18:19], 0
	v_cmp_eq_f64_e64 s3, s[20:21], 0
	s_delay_alu instid0(VALU_DEP_1) | instskip(NEXT) | instid1(SALU_CYCLE_1)
	s_and_b32 s2, s2, s3
	s_and_b32 vcc_lo, exec_lo, s2
	s_cbranch_vccnz .LBB1618_11
; %bb.1:
	s_load_b64 s[2:3], s[0:1], 0x0
	s_mov_b32 s12, s15
	s_lshl_b32 s14, s14, 5
	s_lshl_b32 s15, s13, 5
	s_waitcnt lgkmcnt(0)
	s_and_b32 s2, 1, s2
	s_delay_alu instid0(SALU_CYCLE_1) | instskip(SKIP_1) | instid1(SALU_CYCLE_1)
	s_cmp_eq_u32 s2, 1
	s_cselect_b32 s2, -1, 0
	s_and_b32 s4, s2, exec_lo
	s_cselect_b32 s4, s15, s14
	s_cselect_b32 s5, s14, s15
	s_delay_alu instid0(SALU_CYCLE_1)
	s_cmp_gt_i32 s4, s5
	s_cbranch_scc1 .LBB1618_11
; %bb.2:
	v_cmp_lt_i64_e64 s4, s[16:17], 1
	s_delay_alu instid0(VALU_DEP_1)
	s_and_b32 vcc_lo, exec_lo, s4
	s_cbranch_vccnz .LBB1618_11
; %bb.3:
	s_load_b256 s[4:11], s[0:1], 0x48
	s_mov_b32 s13, 0
	v_bfe_u32 v14, v0, 10, 10
	v_and_b32_e32 v15, 0x3ff, v0
	s_lshl_b64 s[0:1], s[12:13], 3
	v_mov_b32_e32 v1, 0
	s_add_u32 s12, s22, s0
	v_add_nc_u32_e32 v2, s14, v14
	s_addc_u32 s13, s23, s1
	s_add_u32 s14, s28, s0
	v_dual_mov_b32 v3, v1 :: v_dual_add_nc_u32 v0, s15, v15
	s_addc_u32 s15, s29, s1
	s_load_b64 s[12:13], s[12:13], 0x0
	s_load_b64 s[14:15], s[14:15], 0x0
	v_ashrrev_i32_e32 v8, 31, v2
	v_mad_u64_u32 v[4:5], null, s30, v2, 0
	v_mad_u64_u32 v[6:7], null, s24, v0, 0
	v_max_i32_e32 v10, v0, v2
	s_waitcnt lgkmcnt(0)
	s_add_u32 s0, s6, s0
	s_addc_u32 s1, s7, s1
	v_mul_lo_u32 v21, v8, s8
	s_load_b64 s[0:1], s[0:1], 0x0
	v_mul_lo_u32 v22, v2, s9
	v_mad_u64_u32 v[8:9], null, v2, s8, 0
	s_lshl_b64 s[6:7], s[10:11], 4
	s_mov_b32 s34, s3
	v_cndmask_b32_e64 v12, v0, v2, s2
	v_cndmask_b32_e64 v20, v2, v0, s2
	v_cmp_gt_i32_e32 vcc_lo, s3, v10
	v_mad_u64_u32 v[10:11], null, s31, v2, v[5:6]
	v_add3_u32 v9, v9, v22, v21
	s_delay_alu instid0(VALU_DEP_4) | instskip(SKIP_1) | instid1(VALU_DEP_4)
	v_cmp_le_i32_e64 s2, v20, v12
	v_lshlrev_b32_e32 v13, 4, v14
	v_mov_b32_e32 v5, v10
	s_delay_alu instid0(VALU_DEP_2)
	v_or_b32_e32 v18, 0x4000, v13
	s_waitcnt lgkmcnt(0)
	s_add_u32 s6, s0, s6
	s_addc_u32 s7, s1, s7
	s_ashr_i32 s35, s3, 31
	s_lshl_b64 s[4:5], s[4:5], 4
	v_cmp_gt_i64_e64 s1, s[34:35], v[2:3]
	v_mov_b32_e32 v2, v7
	v_cmp_gt_i64_e64 s0, s[34:35], v[0:1]
	v_ashrrev_i32_e32 v1, 31, v0
	v_lshlrev_b64 v[7:8], 4, v[8:9]
	v_lshlrev_b32_e32 v16, 9, v15
	v_mad_u64_u32 v[11:12], null, s25, v0, v[2:3]
	s_delay_alu instid0(VALU_DEP_4) | instskip(SKIP_2) | instid1(VALU_DEP_1)
	v_lshlrev_b64 v[0:1], 4, v[0:1]
	v_lshlrev_b64 v[2:3], 4, v[4:5]
	v_add_co_u32 v9, s3, s6, v7
	v_add_co_ci_u32_e64 v10, s3, s7, v8, s3
	v_dual_mov_b32 v7, v11 :: v_dual_lshlrev_b32 v4, 4, v15
	s_delay_alu instid0(VALU_DEP_3) | instskip(NEXT) | instid1(VALU_DEP_1)
	v_add_co_u32 v8, s3, v9, v0
	v_add_co_ci_u32_e64 v9, s3, v10, v1, s3
	s_delay_alu instid0(VALU_DEP_3) | instskip(SKIP_1) | instid1(VALU_DEP_1)
	v_lshlrev_b64 v[0:1], 4, v[6:7]
	v_add_co_u32 v2, s3, v2, s4
	v_add_co_ci_u32_e64 v3, s3, s5, v3, s3
	s_lshl_b64 s[4:5], s[26:27], 4
	v_add_nc_u32_e32 v17, v16, v13
	s_delay_alu instid0(VALU_DEP_4) | instskip(NEXT) | instid1(VALU_DEP_1)
	v_add_co_u32 v0, s3, v0, s4
	v_add_co_ci_u32_e64 v1, s3, s5, v1, s3
	v_add_co_u32 v2, s3, v2, v4
	s_delay_alu instid0(VALU_DEP_1) | instskip(NEXT) | instid1(VALU_DEP_4)
	v_add_co_ci_u32_e64 v3, s3, 0, v3, s3
	v_add_co_u32 v0, s3, v0, v13
	s_delay_alu instid0(VALU_DEP_1) | instskip(NEXT) | instid1(VALU_DEP_4)
	;; [unrolled: 3-line block ×5, first 2 shown]
	v_add_co_ci_u32_e64 v11, s3, 0, v3, s3
	v_add_co_u32 v12, s3, v0, 8
	v_add_nc_u32_e32 v19, v18, v16
	v_add_co_ci_u32_e64 v13, s3, 0, v1, s3
	s_and_b32 s4, s2, vcc_lo
	s_mov_b64 s[2:3], 0
	s_branch .LBB1618_5
.LBB1618_4:                             ;   in Loop: Header=BB1618_5 Depth=1
	s_or_b32 exec_lo, exec_lo, s5
	s_add_u32 s2, s2, 32
	s_addc_u32 s3, s3, 0
	v_add_co_u32 v10, vcc_lo, 0x200, v10
	v_cmp_lt_i64_e64 s5, s[2:3], s[16:17]
	v_add_co_ci_u32_e32 v11, vcc_lo, 0, v11, vcc_lo
	v_add_co_u32 v12, vcc_lo, 0x200, v12
	v_add_co_ci_u32_e32 v13, vcc_lo, 0, v13, vcc_lo
	s_delay_alu instid0(VALU_DEP_4)
	s_and_b32 vcc_lo, exec_lo, s5
	s_waitcnt_vscnt null, 0x0
	s_barrier
	buffer_gl0_inv
	s_cbranch_vccz .LBB1618_11
.LBB1618_5:                             ; =>This Inner Loop Header: Depth=1
	v_add_co_u32 v2, s5, v14, s2
	s_delay_alu instid0(VALU_DEP_1) | instskip(SKIP_2) | instid1(VALU_DEP_3)
	v_add_co_ci_u32_e64 v3, null, 0, s3, s5
	v_mov_b32_e32 v0, 0
	v_mov_b32_e32 v1, 0
	v_cmp_gt_i64_e32 vcc_lo, s[16:17], v[2:3]
	s_delay_alu instid0(VALU_DEP_2) | instskip(SKIP_2) | instid1(SALU_CYCLE_1)
	v_dual_mov_b32 v5, v1 :: v_dual_mov_b32 v4, v0
	v_dual_mov_b32 v7, v1 :: v_dual_mov_b32 v6, v0
	s_and_b32 s6, s0, vcc_lo
	s_and_saveexec_b32 s5, s6
	s_cbranch_execz .LBB1618_7
; %bb.6:                                ;   in Loop: Header=BB1618_5 Depth=1
	global_load_b128 v[4:7], v[12:13], off offset:-8
.LBB1618_7:                             ;   in Loop: Header=BB1618_5 Depth=1
	s_or_b32 exec_lo, exec_lo, s5
	v_add_co_u32 v2, s5, v15, s2
	s_delay_alu instid0(VALU_DEP_1)
	v_add_co_ci_u32_e64 v3, null, 0, s3, s5
	s_waitcnt vmcnt(0)
	ds_store_b128 v17, v[4:7]
	v_cmp_gt_i64_e32 vcc_lo, s[16:17], v[2:3]
	v_dual_mov_b32 v3, v1 :: v_dual_mov_b32 v2, v0
	s_and_b32 s6, s1, vcc_lo
	s_delay_alu instid0(SALU_CYCLE_1)
	s_and_saveexec_b32 s5, s6
	s_cbranch_execz .LBB1618_9
; %bb.8:                                ;   in Loop: Header=BB1618_5 Depth=1
	global_load_b128 v[0:3], v[10:11], off offset:-8
.LBB1618_9:                             ;   in Loop: Header=BB1618_5 Depth=1
	s_or_b32 exec_lo, exec_lo, s5
	s_waitcnt vmcnt(0)
	ds_store_b128 v19, v[0:3]
	s_waitcnt lgkmcnt(0)
	s_barrier
	buffer_gl0_inv
	s_and_saveexec_b32 s5, s4
	s_cbranch_execz .LBB1618_4
; %bb.10:                               ;   in Loop: Header=BB1618_5 Depth=1
	ds_load_b128 v[0:3], v18
	ds_load_b128 v[4:7], v16
	ds_load_b128 v[20:23], v16 offset:16
	ds_load_b128 v[24:27], v18 offset:512
	s_waitcnt lgkmcnt(2)
	v_mul_f64 v[28:29], v[0:1], v[6:7]
	v_mul_f64 v[6:7], v[2:3], v[6:7]
	s_waitcnt lgkmcnt(0)
	v_mul_f64 v[36:37], v[26:27], v[22:23]
	v_mul_f64 v[22:23], v[24:25], v[22:23]
	s_delay_alu instid0(VALU_DEP_4) | instskip(NEXT) | instid1(VALU_DEP_4)
	v_fma_f64 v[38:39], v[2:3], v[4:5], v[28:29]
	v_fma_f64 v[40:41], v[0:1], v[4:5], -v[6:7]
	ds_load_b128 v[0:3], v18 offset:1024
	ds_load_b128 v[4:7], v16 offset:32
	;; [unrolled: 1-line block ×4, first 2 shown]
	v_fma_f64 v[24:25], v[24:25], v[20:21], -v[36:37]
	v_fma_f64 v[20:21], v[26:27], v[20:21], v[22:23]
	s_waitcnt lgkmcnt(2)
	v_mul_f64 v[42:43], v[2:3], v[6:7]
	v_mul_f64 v[6:7], v[0:1], v[6:7]
	s_waitcnt lgkmcnt(0)
	v_mul_f64 v[36:37], v[34:35], v[30:31]
	v_mul_f64 v[30:31], v[32:33], v[30:31]
	v_add_f64 v[22:23], v[38:39], 0
	v_add_f64 v[26:27], v[40:41], 0
	v_fma_f64 v[38:39], v[0:1], v[4:5], -v[42:43]
	v_fma_f64 v[40:41], v[2:3], v[4:5], v[6:7]
	v_fma_f64 v[32:33], v[32:33], v[28:29], -v[36:37]
	v_fma_f64 v[28:29], v[34:35], v[28:29], v[30:31]
	v_add_f64 v[42:43], v[22:23], v[20:21]
	v_add_f64 v[44:45], v[26:27], v[24:25]
	ds_load_b128 v[0:3], v16 offset:64
	ds_load_b128 v[4:7], v18 offset:2048
	ds_load_b128 v[20:23], v18 offset:2560
	ds_load_b128 v[24:27], v16 offset:80
	s_waitcnt lgkmcnt(2)
	v_mul_f64 v[46:47], v[6:7], v[2:3]
	v_mul_f64 v[2:3], v[4:5], v[2:3]
	s_waitcnt lgkmcnt(0)
	v_mul_f64 v[36:37], v[22:23], v[26:27]
	v_add_f64 v[30:31], v[42:43], v[40:41]
	v_add_f64 v[34:35], v[44:45], v[38:39]
	v_mul_f64 v[38:39], v[20:21], v[26:27]
	v_fma_f64 v[40:41], v[4:5], v[0:1], -v[46:47]
	v_fma_f64 v[42:43], v[6:7], v[0:1], v[2:3]
	v_fma_f64 v[20:21], v[20:21], v[24:25], -v[36:37]
	v_add_f64 v[44:45], v[30:31], v[28:29]
	v_add_f64 v[34:35], v[34:35], v[32:33]
	ds_load_b128 v[0:3], v16 offset:96
	ds_load_b128 v[4:7], v18 offset:3072
	ds_load_b128 v[26:29], v18 offset:3584
	ds_load_b128 v[30:33], v16 offset:112
	v_fma_f64 v[22:23], v[22:23], v[24:25], v[38:39]
	s_waitcnt lgkmcnt(2)
	v_mul_f64 v[46:47], v[6:7], v[2:3]
	v_mul_f64 v[2:3], v[4:5], v[2:3]
	s_waitcnt lgkmcnt(0)
	v_mul_f64 v[36:37], v[28:29], v[32:33]
	v_mul_f64 v[38:39], v[26:27], v[32:33]
	v_add_f64 v[24:25], v[44:45], v[42:43]
	v_add_f64 v[34:35], v[34:35], v[40:41]
	v_fma_f64 v[40:41], v[4:5], v[0:1], -v[46:47]
	v_fma_f64 v[42:43], v[6:7], v[0:1], v[2:3]
	v_fma_f64 v[26:27], v[26:27], v[30:31], -v[36:37]
	v_fma_f64 v[28:29], v[28:29], v[30:31], v[38:39]
	v_add_f64 v[24:25], v[24:25], v[22:23]
	v_add_f64 v[44:45], v[34:35], v[20:21]
	ds_load_b128 v[0:3], v16 offset:128
	ds_load_b128 v[4:7], v18 offset:4096
	ds_load_b128 v[20:23], v18 offset:4608
	ds_load_b128 v[32:35], v16 offset:144
	s_waitcnt lgkmcnt(2)
	v_mul_f64 v[46:47], v[6:7], v[2:3]
	v_mul_f64 v[2:3], v[4:5], v[2:3]
	s_waitcnt lgkmcnt(0)
	v_mul_f64 v[36:37], v[22:23], v[34:35]
	v_mul_f64 v[34:35], v[20:21], v[34:35]
	v_add_f64 v[24:25], v[24:25], v[42:43]
	v_add_f64 v[30:31], v[44:45], v[40:41]
	v_fma_f64 v[38:39], v[4:5], v[0:1], -v[46:47]
	v_fma_f64 v[40:41], v[6:7], v[0:1], v[2:3]
	v_fma_f64 v[20:21], v[20:21], v[32:33], -v[36:37]
	v_fma_f64 v[22:23], v[22:23], v[32:33], v[34:35]
	v_add_f64 v[42:43], v[24:25], v[28:29]
	v_add_f64 v[44:45], v[30:31], v[26:27]
	ds_load_b128 v[0:3], v16 offset:160
	ds_load_b128 v[4:7], v18 offset:5120
	ds_load_b128 v[24:27], v18 offset:5632
	ds_load_b128 v[28:31], v16 offset:176
	s_waitcnt lgkmcnt(2)
	v_mul_f64 v[46:47], v[6:7], v[2:3]
	v_mul_f64 v[2:3], v[4:5], v[2:3]
	s_waitcnt lgkmcnt(0)
	v_mul_f64 v[36:37], v[26:27], v[30:31]
	v_add_f64 v[32:33], v[42:43], v[40:41]
	v_add_f64 v[34:35], v[44:45], v[38:39]
	v_mul_f64 v[38:39], v[24:25], v[30:31]
	v_fma_f64 v[40:41], v[4:5], v[0:1], -v[46:47]
	v_fma_f64 v[42:43], v[6:7], v[0:1], v[2:3]
	v_fma_f64 v[24:25], v[24:25], v[28:29], -v[36:37]
	v_add_f64 v[44:45], v[32:33], v[22:23]
	v_add_f64 v[34:35], v[34:35], v[20:21]
	ds_load_b128 v[0:3], v16 offset:192
	ds_load_b128 v[4:7], v18 offset:6144
	ds_load_b128 v[20:23], v18 offset:6656
	ds_load_b128 v[30:33], v16 offset:208
	v_fma_f64 v[26:27], v[26:27], v[28:29], v[38:39]
	s_waitcnt lgkmcnt(2)
	v_mul_f64 v[46:47], v[6:7], v[2:3]
	v_mul_f64 v[2:3], v[4:5], v[2:3]
	s_waitcnt lgkmcnt(0)
	v_mul_f64 v[36:37], v[22:23], v[32:33]
	v_mul_f64 v[38:39], v[20:21], v[32:33]
	v_add_f64 v[28:29], v[44:45], v[42:43]
	v_add_f64 v[34:35], v[34:35], v[40:41]
	v_fma_f64 v[40:41], v[4:5], v[0:1], -v[46:47]
	v_fma_f64 v[42:43], v[6:7], v[0:1], v[2:3]
	v_fma_f64 v[20:21], v[20:21], v[30:31], -v[36:37]
	v_fma_f64 v[22:23], v[22:23], v[30:31], v[38:39]
	v_add_f64 v[28:29], v[28:29], v[26:27]
	v_add_f64 v[44:45], v[34:35], v[24:25]
	ds_load_b128 v[0:3], v16 offset:224
	ds_load_b128 v[4:7], v18 offset:7168
	ds_load_b128 v[24:27], v18 offset:7680
	ds_load_b128 v[32:35], v16 offset:240
	;; [unrolled: 54-line block ×4, first 2 shown]
	s_waitcnt lgkmcnt(2)
	v_mul_f64 v[46:47], v[6:7], v[2:3]
	v_mul_f64 v[2:3], v[4:5], v[2:3]
	s_waitcnt lgkmcnt(0)
	v_mul_f64 v[38:39], v[26:27], v[34:35]
	v_add_f64 v[28:29], v[28:29], v[42:43]
	v_add_f64 v[30:31], v[44:45], v[40:41]
	v_mul_f64 v[40:41], v[24:25], v[34:35]
	v_fma_f64 v[42:43], v[4:5], v[0:1], -v[46:47]
	v_fma_f64 v[44:45], v[6:7], v[0:1], v[2:3]
	ds_load_b128 v[0:3], v16 offset:448
	ds_load_b128 v[4:7], v18 offset:14336
	v_fma_f64 v[24:25], v[24:25], v[32:33], -v[38:39]
	v_add_f64 v[46:47], v[28:29], v[22:23]
	v_add_f64 v[48:49], v[30:31], v[20:21]
	global_load_b128 v[20:23], v[8:9], off
	v_fma_f64 v[26:27], v[26:27], v[32:33], v[40:41]
	s_waitcnt lgkmcnt(0)
	v_mul_f64 v[50:51], v[6:7], v[2:3]
	v_mul_f64 v[2:3], v[4:5], v[2:3]
	ds_load_b128 v[28:31], v18 offset:14848
	ds_load_b128 v[34:37], v16 offset:464
	s_waitcnt lgkmcnt(0)
	v_mul_f64 v[40:41], v[30:31], v[36:37]
	v_add_f64 v[32:33], v[46:47], v[44:45]
	v_add_f64 v[38:39], v[48:49], v[42:43]
	v_mul_f64 v[42:43], v[28:29], v[36:37]
	v_fma_f64 v[44:45], v[4:5], v[0:1], -v[50:51]
	v_fma_f64 v[46:47], v[6:7], v[0:1], v[2:3]
	v_fma_f64 v[28:29], v[28:29], v[34:35], -v[40:41]
	v_add_f64 v[32:33], v[32:33], v[26:27]
	v_add_f64 v[48:49], v[38:39], v[24:25]
	ds_load_b128 v[0:3], v16 offset:480
	ds_load_b128 v[4:7], v18 offset:15360
	ds_load_b128 v[24:27], v18 offset:15872
	ds_load_b128 v[36:39], v16 offset:496
	v_fma_f64 v[30:31], v[30:31], v[34:35], v[42:43]
	s_waitcnt lgkmcnt(2)
	v_mul_f64 v[50:51], v[6:7], v[2:3]
	v_mul_f64 v[2:3], v[4:5], v[2:3]
	s_waitcnt lgkmcnt(0)
	v_mul_f64 v[40:41], v[26:27], v[38:39]
	v_mul_f64 v[38:39], v[24:25], v[38:39]
	v_add_f64 v[32:33], v[32:33], v[46:47]
	v_add_f64 v[34:35], v[48:49], v[44:45]
	v_fma_f64 v[4:5], v[4:5], v[0:1], -v[50:51]
	v_fma_f64 v[0:1], v[6:7], v[0:1], v[2:3]
	v_fma_f64 v[24:25], v[24:25], v[36:37], -v[40:41]
	v_fma_f64 v[26:27], v[26:27], v[36:37], v[38:39]
	v_add_f64 v[2:3], v[32:33], v[30:31]
	v_add_f64 v[6:7], v[34:35], v[28:29]
	s_delay_alu instid0(VALU_DEP_2) | instskip(NEXT) | instid1(VALU_DEP_2)
	v_add_f64 v[0:1], v[2:3], v[0:1]
	v_add_f64 v[2:3], v[6:7], v[4:5]
	s_delay_alu instid0(VALU_DEP_2) | instskip(NEXT) | instid1(VALU_DEP_2)
	;; [unrolled: 3-line block ×3, first 2 shown]
	v_mul_f64 v[4:5], s[20:21], v[0:1]
	v_mul_f64 v[6:7], s[20:21], v[2:3]
	s_delay_alu instid0(VALU_DEP_2) | instskip(NEXT) | instid1(VALU_DEP_2)
	v_fma_f64 v[2:3], s[18:19], v[2:3], -v[4:5]
	v_fma_f64 v[4:5], s[18:19], v[0:1], v[6:7]
	s_waitcnt vmcnt(0)
	s_delay_alu instid0(VALU_DEP_2) | instskip(NEXT) | instid1(VALU_DEP_2)
	v_add_f64 v[0:1], v[20:21], v[2:3]
	v_add_f64 v[2:3], v[22:23], v[4:5]
	global_store_b128 v[8:9], v[0:3], off
	s_branch .LBB1618_4
.LBB1618_11:
	s_endpgm
	.section	.rodata,"a",@progbits
	.p2align	6, 0x0
	.amdhsa_kernel _ZL26rocblas_syr2k_her2k_kernelIlLb0ELb0ELb1ELi32E19rocblas_complex_numIdEPKPKS1_PKPS1_EvbiT_T4_T5_S9_lSB_S9_lT6_S9_li
		.amdhsa_group_segment_fixed_size 32768
		.amdhsa_private_segment_fixed_size 0
		.amdhsa_kernarg_size 108
		.amdhsa_user_sgpr_count 13
		.amdhsa_user_sgpr_dispatch_ptr 0
		.amdhsa_user_sgpr_queue_ptr 0
		.amdhsa_user_sgpr_kernarg_segment_ptr 1
		.amdhsa_user_sgpr_dispatch_id 0
		.amdhsa_user_sgpr_private_segment_size 0
		.amdhsa_wavefront_size32 1
		.amdhsa_uses_dynamic_stack 0
		.amdhsa_enable_private_segment 0
		.amdhsa_system_sgpr_workgroup_id_x 1
		.amdhsa_system_sgpr_workgroup_id_y 1
		.amdhsa_system_sgpr_workgroup_id_z 1
		.amdhsa_system_sgpr_workgroup_info 0
		.amdhsa_system_vgpr_workitem_id 1
		.amdhsa_next_free_vgpr 52
		.amdhsa_next_free_sgpr 36
		.amdhsa_reserve_vcc 1
		.amdhsa_float_round_mode_32 0
		.amdhsa_float_round_mode_16_64 0
		.amdhsa_float_denorm_mode_32 3
		.amdhsa_float_denorm_mode_16_64 3
		.amdhsa_dx10_clamp 1
		.amdhsa_ieee_mode 1
		.amdhsa_fp16_overflow 0
		.amdhsa_workgroup_processor_mode 1
		.amdhsa_memory_ordered 1
		.amdhsa_forward_progress 0
		.amdhsa_shared_vgpr_count 0
		.amdhsa_exception_fp_ieee_invalid_op 0
		.amdhsa_exception_fp_denorm_src 0
		.amdhsa_exception_fp_ieee_div_zero 0
		.amdhsa_exception_fp_ieee_overflow 0
		.amdhsa_exception_fp_ieee_underflow 0
		.amdhsa_exception_fp_ieee_inexact 0
		.amdhsa_exception_int_div_zero 0
	.end_amdhsa_kernel
	.section	.text._ZL26rocblas_syr2k_her2k_kernelIlLb0ELb0ELb1ELi32E19rocblas_complex_numIdEPKPKS1_PKPS1_EvbiT_T4_T5_S9_lSB_S9_lT6_S9_li,"axG",@progbits,_ZL26rocblas_syr2k_her2k_kernelIlLb0ELb0ELb1ELi32E19rocblas_complex_numIdEPKPKS1_PKPS1_EvbiT_T4_T5_S9_lSB_S9_lT6_S9_li,comdat
.Lfunc_end1618:
	.size	_ZL26rocblas_syr2k_her2k_kernelIlLb0ELb0ELb1ELi32E19rocblas_complex_numIdEPKPKS1_PKPS1_EvbiT_T4_T5_S9_lSB_S9_lT6_S9_li, .Lfunc_end1618-_ZL26rocblas_syr2k_her2k_kernelIlLb0ELb0ELb1ELi32E19rocblas_complex_numIdEPKPKS1_PKPS1_EvbiT_T4_T5_S9_lSB_S9_lT6_S9_li
                                        ; -- End function
	.section	.AMDGPU.csdata,"",@progbits
; Kernel info:
; codeLenInByte = 3208
; NumSgprs: 38
; NumVgprs: 52
; ScratchSize: 0
; MemoryBound: 1
; FloatMode: 240
; IeeeMode: 1
; LDSByteSize: 32768 bytes/workgroup (compile time only)
; SGPRBlocks: 4
; VGPRBlocks: 6
; NumSGPRsForWavesPerEU: 38
; NumVGPRsForWavesPerEU: 52
; Occupancy: 16
; WaveLimiterHint : 1
; COMPUTE_PGM_RSRC2:SCRATCH_EN: 0
; COMPUTE_PGM_RSRC2:USER_SGPR: 13
; COMPUTE_PGM_RSRC2:TRAP_HANDLER: 0
; COMPUTE_PGM_RSRC2:TGID_X_EN: 1
; COMPUTE_PGM_RSRC2:TGID_Y_EN: 1
; COMPUTE_PGM_RSRC2:TGID_Z_EN: 1
; COMPUTE_PGM_RSRC2:TIDIG_COMP_CNT: 1
	.section	.text._ZL37rocblas_syrkx_herkx_restricted_kernelIl19rocblas_complex_numIdELi16ELi32ELi8ELi1ELi1ELb0ELc84ELc76EKPKS1_KPS1_EviT_PT9_S7_lS9_S7_lPT10_S7_li,"axG",@progbits,_ZL37rocblas_syrkx_herkx_restricted_kernelIl19rocblas_complex_numIdELi16ELi32ELi8ELi1ELi1ELb0ELc84ELc76EKPKS1_KPS1_EviT_PT9_S7_lS9_S7_lPT10_S7_li,comdat
	.globl	_ZL37rocblas_syrkx_herkx_restricted_kernelIl19rocblas_complex_numIdELi16ELi32ELi8ELi1ELi1ELb0ELc84ELc76EKPKS1_KPS1_EviT_PT9_S7_lS9_S7_lPT10_S7_li ; -- Begin function _ZL37rocblas_syrkx_herkx_restricted_kernelIl19rocblas_complex_numIdELi16ELi32ELi8ELi1ELi1ELb0ELc84ELc76EKPKS1_KPS1_EviT_PT9_S7_lS9_S7_lPT10_S7_li
	.p2align	8
	.type	_ZL37rocblas_syrkx_herkx_restricted_kernelIl19rocblas_complex_numIdELi16ELi32ELi8ELi1ELi1ELb0ELc84ELc76EKPKS1_KPS1_EviT_PT9_S7_lS9_S7_lPT10_S7_li,@function
_ZL37rocblas_syrkx_herkx_restricted_kernelIl19rocblas_complex_numIdELi16ELi32ELi8ELi1ELi1ELb0ELc84ELc76EKPKS1_KPS1_EviT_PT9_S7_lS9_S7_lPT10_S7_li: ; @_ZL37rocblas_syrkx_herkx_restricted_kernelIl19rocblas_complex_numIdELi16ELi32ELi8ELi1ELi1ELb0ELc84ELc76EKPKS1_KPS1_EviT_PT9_S7_lS9_S7_lPT10_S7_li
; %bb.0:
	s_clause 0x1
	s_load_b128 s[4:7], s[0:1], 0x40
	s_load_b128 s[8:11], s[0:1], 0x8
	s_mov_b32 s2, s15
	s_mov_b32 s3, 0
	v_mov_b32_e32 v16, 0
	s_lshl_b64 s[16:17], s[2:3], 3
	v_dual_mov_b32 v17, 0 :: v_dual_and_b32 v20, 0x3ff, v0
	v_bfe_u32 v21, v0, 10, 10
	s_delay_alu instid0(VALU_DEP_3) | instskip(NEXT) | instid1(VALU_DEP_3)
	v_mov_b32_e32 v14, v16
	v_dual_mov_b32 v12, v16 :: v_dual_mov_b32 v13, v17
	v_dual_mov_b32 v19, v17 :: v_dual_mov_b32 v18, v16
	;; [unrolled: 1-line block ×5, first 2 shown]
	v_mov_b32_e32 v7, v17
	s_waitcnt lgkmcnt(0)
	s_add_u32 s2, s4, s16
	s_addc_u32 s3, s5, s17
	v_cmp_lt_i64_e64 s4, s[8:9], 1
	s_load_b64 s[2:3], s[2:3], 0x0
	v_dual_mov_b32 v4, v16 :: v_dual_mov_b32 v5, v17
	s_lshl_b32 s18, s13, 5
	s_lshl_b32 s19, s14, 5
	s_delay_alu instid0(VALU_DEP_2)
	s_and_b32 vcc_lo, exec_lo, s4
	s_cbranch_vccnz .LBB1619_3
; %bb.1:
	s_clause 0x1
	s_load_b128 s[12:15], s[0:1], 0x28
	s_load_b64 s[4:5], s[0:1], 0x18
	v_lshl_add_u32 v2, v21, 4, v20
	v_dual_mov_b32 v1, 0 :: v_dual_and_b32 v0, 7, v20
	s_add_u32 s10, s10, s16
	s_addc_u32 s11, s11, s17
	s_delay_alu instid0(VALU_DEP_2)
	v_lshrrev_b32_e32 v8, 3, v2
	v_and_b32_e32 v9, 31, v2
	v_lshrrev_b32_e32 v2, 5, v2
	v_mov_b32_e32 v3, v1
	s_load_b64 s[10:11], s[10:11], 0x0
	v_add_nc_u32_e32 v10, s19, v8
	v_add_nc_u32_e32 v6, s18, v9
	v_lshl_add_u32 v23, v21, 7, 0x1000
	s_delay_alu instid0(VALU_DEP_3) | instskip(NEXT) | instid1(VALU_DEP_3)
	v_ashrrev_i32_e32 v4, 31, v10
	v_ashrrev_i32_e32 v5, 31, v6
	s_waitcnt lgkmcnt(0)
	s_add_u32 s12, s12, s16
	s_addc_u32 s13, s13, s17
	v_mul_lo_u32 v11, v4, s14
	v_mul_lo_u32 v12, s4, v5
	v_mad_u64_u32 v[4:5], null, s4, v6, v[2:3]
	v_mul_lo_u32 v3, s5, v6
	s_load_b64 s[4:5], s[12:13], 0x0
	v_mul_lo_u32 v13, v10, s15
	v_mad_u64_u32 v[6:7], null, v10, s14, v[0:1]
	v_lshlrev_b32_e32 v0, 4, v0
	s_delay_alu instid0(VALU_DEP_4) | instskip(NEXT) | instid1(VALU_DEP_2)
	v_add3_u32 v5, v3, v5, v12
	v_lshl_or_b32 v8, v8, 7, v0
	s_delay_alu instid0(VALU_DEP_4) | instskip(NEXT) | instid1(VALU_DEP_3)
	v_add3_u32 v7, v11, v7, v13
	v_lshlrev_b64 v[0:1], 4, v[4:5]
	v_mov_b32_e32 v4, 0
	v_mov_b32_e32 v5, 0
	v_lshlrev_b32_e32 v3, 4, v9
	v_lshlrev_b32_e32 v22, 4, v20
	v_add_nc_u32_e32 v25, 0x1000, v8
	v_add_co_u32 v0, vcc_lo, v0, s10
	s_delay_alu instid0(VALU_DEP_4)
	v_lshl_or_b32 v24, v2, 9, v3
	v_lshlrev_b64 v[2:3], 4, v[6:7]
	v_add_co_ci_u32_e32 v1, vcc_lo, s11, v1, vcc_lo
	v_mov_b32_e32 v7, v5
	v_dual_mov_b32 v9, v5 :: v_dual_mov_b32 v8, v4
	s_waitcnt lgkmcnt(0)
	s_delay_alu instid0(VALU_DEP_4) | instskip(SKIP_3) | instid1(VALU_DEP_4)
	v_add_co_u32 v2, vcc_lo, v2, s4
	v_add_co_ci_u32_e32 v3, vcc_lo, s5, v3, vcc_lo
	v_add_co_u32 v0, vcc_lo, v0, 8
	v_add_co_ci_u32_e32 v1, vcc_lo, 0, v1, vcc_lo
	v_add_co_u32 v2, vcc_lo, v2, 8
	s_delay_alu instid0(VALU_DEP_4)
	v_add_co_ci_u32_e32 v3, vcc_lo, 0, v3, vcc_lo
	v_dual_mov_b32 v6, v4 :: v_dual_mov_b32 v11, v5
	v_dual_mov_b32 v10, v4 :: v_dual_mov_b32 v13, v5
	;; [unrolled: 1-line block ×5, first 2 shown]
	v_mov_b32_e32 v16, v4
	s_mov_b64 s[4:5], 0
.LBB1619_2:                             ; =>This Inner Loop Header: Depth=1
	global_load_b128 v[26:29], v[0:1], off offset:-8
	global_load_b128 v[30:33], v[2:3], off offset:-8
	s_add_u32 s4, s4, 8
	v_add_co_u32 v0, vcc_lo, 0x80, v0
	s_addc_u32 s5, s5, 0
	v_add_co_ci_u32_e32 v1, vcc_lo, 0, v1, vcc_lo
	v_cmp_ge_u64_e64 s10, s[4:5], s[8:9]
	v_add_co_u32 v2, vcc_lo, 0x80, v2
	v_add_co_ci_u32_e32 v3, vcc_lo, 0, v3, vcc_lo
	s_waitcnt vmcnt(1)
	ds_store_b128 v24, v[26:29]
	s_waitcnt vmcnt(0)
	ds_store_b128 v25, v[30:33]
	s_waitcnt lgkmcnt(0)
	s_barrier
	buffer_gl0_inv
	ds_load_b128 v[26:29], v23
	ds_load_b128 v[30:33], v22
	ds_load_b128 v[34:37], v22 offset:256
	ds_load_b128 v[38:41], v23 offset:2048
	;; [unrolled: 1-line block ×13, first 2 shown]
	s_and_b32 vcc_lo, exec_lo, s10
	s_waitcnt lgkmcnt(13)
	v_mul_f64 v[86:87], v[28:29], v[32:33]
	v_mul_f64 v[88:89], v[26:27], v[32:33]
	s_waitcnt lgkmcnt(12)
	v_mul_f64 v[90:91], v[28:29], v[36:37]
	v_mul_f64 v[92:93], v[26:27], v[36:37]
	;; [unrolled: 3-line block ×3, first 2 shown]
	v_mul_f64 v[96:97], v[40:41], v[36:37]
	v_mul_f64 v[36:37], v[38:39], v[36:37]
	s_waitcnt lgkmcnt(8)
	v_mul_f64 v[98:99], v[44:45], v[52:53]
	v_mul_f64 v[100:101], v[42:43], v[52:53]
	s_waitcnt lgkmcnt(7)
	v_mul_f64 v[102:103], v[44:45], v[56:57]
	v_mul_f64 v[104:105], v[42:43], v[56:57]
	;; [unrolled: 1-line block ×6, first 2 shown]
	s_waitcnt lgkmcnt(3)
	v_mul_f64 v[112:113], v[58:59], v[72:73]
	s_waitcnt lgkmcnt(2)
	v_mul_f64 v[114:115], v[76:77], v[68:69]
	v_mul_f64 v[116:117], v[76:77], v[72:73]
	v_fma_f64 v[86:87], v[26:27], v[30:31], -v[86:87]
	v_fma_f64 v[88:89], v[28:29], v[30:31], v[88:89]
	v_fma_f64 v[90:91], v[26:27], v[34:35], -v[90:91]
	v_fma_f64 v[92:93], v[28:29], v[34:35], v[92:93]
	;; [unrolled: 2-line block ×4, first 2 shown]
	v_mul_f64 v[36:37], v[60:61], v[68:69]
	v_mul_f64 v[40:41], v[58:59], v[68:69]
	v_mul_f64 v[96:97], v[60:61], v[72:73]
	v_mul_f64 v[68:69], v[74:75], v[68:69]
	v_mul_f64 v[72:73], v[74:75], v[72:73]
	v_fma_f64 v[98:99], v[42:43], v[50:51], -v[98:99]
	v_fma_f64 v[100:101], v[44:45], v[50:51], v[100:101]
	v_fma_f64 v[42:43], v[42:43], v[54:55], -v[102:103]
	v_fma_f64 v[44:45], v[44:45], v[54:55], v[104:105]
	v_fma_f64 v[102:103], v[46:47], v[50:51], -v[106:107]
	v_fma_f64 v[50:51], v[48:49], v[50:51], v[52:53]
	v_fma_f64 v[46:47], v[46:47], v[54:55], -v[108:109]
	v_fma_f64 v[48:49], v[48:49], v[54:55], v[56:57]
	ds_load_b128 v[26:29], v22 offset:1792
	ds_load_b128 v[30:33], v22 offset:2048
	s_waitcnt lgkmcnt(2)
	v_mul_f64 v[56:57], v[64:65], v[84:85]
	v_add_f64 v[16:17], v[16:17], v[86:87]
	v_add_f64 v[18:19], v[18:19], v[88:89]
	v_add_f64 v[14:15], v[14:15], v[90:91]
	v_add_f64 v[12:13], v[12:13], v[92:93]
	v_add_f64 v[52:53], v[10:11], v[94:95]
	v_add_f64 v[54:55], v[8:9], v[110:111]
	v_add_f64 v[38:39], v[6:7], v[38:39]
	v_add_f64 v[34:35], v[4:5], v[34:35]
	v_mul_f64 v[86:87], v[62:63], v[84:85]
	s_waitcnt lgkmcnt(1)
	v_mul_f64 v[88:89], v[64:65], v[28:29]
	v_mul_f64 v[90:91], v[62:63], v[28:29]
	v_mul_f64 v[92:93], v[80:81], v[84:85]
	v_mul_f64 v[84:85], v[78:79], v[84:85]
	v_mul_f64 v[94:95], v[80:81], v[28:29]
	v_mul_f64 v[28:29], v[78:79], v[28:29]
	v_fma_f64 v[104:105], v[58:59], v[66:67], -v[36:37]
	v_fma_f64 v[106:107], v[60:61], v[66:67], v[40:41]
	v_fma_f64 v[58:59], v[58:59], v[70:71], -v[96:97]
	v_fma_f64 v[60:61], v[60:61], v[70:71], v[112:113]
	v_fma_f64 v[96:97], v[74:75], v[66:67], -v[114:115]
	v_fma_f64 v[66:67], v[76:77], v[66:67], v[68:69]
	v_fma_f64 v[68:69], v[74:75], v[70:71], -v[116:117]
	v_fma_f64 v[70:71], v[76:77], v[70:71], v[72:73]
	ds_load_b128 v[4:7], v22 offset:2304
	ds_load_b128 v[8:11], v23 offset:64
	v_fma_f64 v[56:57], v[62:63], v[82:83], -v[56:57]
	v_add_f64 v[72:73], v[16:17], v[98:99]
	v_add_f64 v[74:75], v[18:19], v[100:101]
	;; [unrolled: 1-line block ×8, first 2 shown]
	ds_load_b128 v[12:15], v23 offset:2112
	ds_load_b128 v[16:19], v23 offset:80
	ds_load_b128 v[34:37], v23 offset:2128
	ds_load_b128 v[38:41], v22 offset:2560
	s_waitcnt lgkmcnt(4)
	v_mul_f64 v[54:55], v[10:11], v[32:33]
	v_mul_f64 v[76:77], v[8:9], v[32:33]
	;; [unrolled: 1-line block ×4, first 2 shown]
	v_fma_f64 v[86:87], v[64:65], v[82:83], v[86:87]
	v_fma_f64 v[62:63], v[62:63], v[26:27], -v[88:89]
	v_fma_f64 v[64:65], v[64:65], v[26:27], v[90:91]
	v_fma_f64 v[88:89], v[78:79], v[82:83], -v[92:93]
	;; [unrolled: 2-line block ×3, first 2 shown]
	v_fma_f64 v[80:81], v[80:81], v[26:27], v[28:29]
	s_waitcnt lgkmcnt(3)
	v_mul_f64 v[102:103], v[14:15], v[32:33]
	v_mul_f64 v[32:33], v[12:13], v[32:33]
	;; [unrolled: 1-line block ×4, first 2 shown]
	s_waitcnt lgkmcnt(0)
	v_mul_f64 v[90:91], v[18:19], v[40:41]
	v_mul_f64 v[92:93], v[16:17], v[40:41]
	v_add_f64 v[72:73], v[72:73], v[104:105]
	v_add_f64 v[74:75], v[74:75], v[106:107]
	v_add_f64 v[58:59], v[42:43], v[58:59]
	v_add_f64 v[60:61], v[44:45], v[60:61]
	v_add_f64 v[84:85], v[52:53], v[96:97]
	v_add_f64 v[66:67], v[50:51], v[66:67]
	v_add_f64 v[68:69], v[46:47], v[68:69]
	v_add_f64 v[70:71], v[48:49], v[70:71]
	ds_load_b128 v[26:29], v22 offset:2816
	ds_load_b128 v[42:45], v22 offset:3072
	;; [unrolled: 1-line block ×4, first 2 shown]
	v_mul_f64 v[104:105], v[36:37], v[40:41]
	v_mul_f64 v[40:41], v[34:35], v[40:41]
	v_fma_f64 v[54:55], v[8:9], v[30:31], -v[54:55]
	v_fma_f64 v[76:77], v[10:11], v[30:31], v[76:77]
	v_fma_f64 v[98:99], v[8:9], v[4:5], -v[98:99]
	v_fma_f64 v[100:101], v[10:11], v[4:5], v[100:101]
	s_waitcnt lgkmcnt(3)
	v_mul_f64 v[94:95], v[18:19], v[28:29]
	v_mul_f64 v[96:97], v[16:17], v[28:29]
	;; [unrolled: 1-line block ×4, first 2 shown]
	v_fma_f64 v[102:103], v[12:13], v[30:31], -v[102:103]
	v_fma_f64 v[32:33], v[14:15], v[30:31], v[32:33]
	v_fma_f64 v[108:109], v[12:13], v[4:5], -v[108:109]
	v_fma_f64 v[112:113], v[14:15], v[4:5], v[6:7]
	ds_load_b128 v[4:7], v23 offset:2144
	ds_load_b128 v[8:11], v23 offset:112
	;; [unrolled: 1-line block ×4, first 2 shown]
	v_add_f64 v[56:57], v[72:73], v[56:57]
	v_add_f64 v[72:73], v[74:75], v[86:87]
	;; [unrolled: 1-line block ×8, first 2 shown]
	s_waitcnt lgkmcnt(4)
	v_mul_f64 v[70:71], v[52:53], v[44:45]
	v_mul_f64 v[74:75], v[50:51], v[44:45]
	;; [unrolled: 1-line block ×4, first 2 shown]
	s_waitcnt lgkmcnt(3)
	v_mul_f64 v[82:83], v[6:7], v[44:45]
	v_mul_f64 v[44:45], v[4:5], v[44:45]
	;; [unrolled: 1-line block ×4, first 2 shown]
	v_fma_f64 v[86:87], v[16:17], v[38:39], -v[90:91]
	v_fma_f64 v[88:89], v[18:19], v[38:39], v[92:93]
	v_fma_f64 v[90:91], v[16:17], v[26:27], -v[94:95]
	v_fma_f64 v[92:93], v[18:19], v[26:27], v[96:97]
	;; [unrolled: 2-line block ×4, first 2 shown]
	ds_load_b128 v[16:19], v22 offset:3840
	s_waitcnt lgkmcnt(0)
	s_barrier
	buffer_gl0_inv
	v_add_f64 v[36:37], v[56:57], v[54:55]
	v_add_f64 v[40:41], v[72:73], v[76:77]
	;; [unrolled: 1-line block ×8, first 2 shown]
	v_mul_f64 v[64:65], v[10:11], v[30:31]
	v_mul_f64 v[66:67], v[8:9], v[30:31]
	;; [unrolled: 1-line block ×4, first 2 shown]
	v_fma_f64 v[70:71], v[50:51], v[42:43], -v[70:71]
	v_mul_f64 v[68:69], v[10:11], v[18:19]
	v_mul_f64 v[72:73], v[8:9], v[18:19]
	;; [unrolled: 1-line block ×4, first 2 shown]
	v_fma_f64 v[74:75], v[52:53], v[42:43], v[74:75]
	v_fma_f64 v[50:51], v[50:51], v[46:47], -v[78:79]
	v_fma_f64 v[52:53], v[52:53], v[46:47], v[80:81]
	v_fma_f64 v[78:79], v[4:5], v[42:43], -v[82:83]
	;; [unrolled: 2-line block ×3, first 2 shown]
	v_fma_f64 v[6:7], v[6:7], v[46:47], v[48:49]
	v_add_f64 v[36:37], v[36:37], v[86:87]
	v_add_f64 v[40:41], v[40:41], v[88:89]
	;; [unrolled: 1-line block ×8, first 2 shown]
	v_fma_f64 v[38:39], v[8:9], v[28:29], -v[64:65]
	v_fma_f64 v[54:55], v[10:11], v[28:29], v[66:67]
	v_fma_f64 v[56:57], v[12:13], v[28:29], -v[76:77]
	v_fma_f64 v[28:29], v[14:15], v[28:29], v[30:31]
	;; [unrolled: 2-line block ×4, first 2 shown]
	v_add_f64 v[12:13], v[36:37], v[70:71]
	v_add_f64 v[14:15], v[40:41], v[74:75]
	;; [unrolled: 1-line block ×16, first 2 shown]
	s_cbranch_vccz .LBB1619_2
.LBB1619_3:
	v_add_nc_u32_e32 v21, s19, v21
	s_load_b32 s4, s[0:1], 0x0
	s_delay_alu instid0(VALU_DEP_1) | instskip(SKIP_2) | instid1(VALU_DEP_3)
	v_ashrrev_i32_e32 v0, 31, v21
	v_mul_lo_u32 v3, v21, s7
	v_mad_u64_u32 v[1:2], null, v21, s6, 0
	v_mul_lo_u32 v0, v0, s6
	s_delay_alu instid0(VALU_DEP_1) | instskip(SKIP_1) | instid1(VALU_DEP_2)
	v_add3_u32 v2, v2, v3, v0
	v_add_nc_u32_e32 v0, s18, v20
	v_lshlrev_b64 v[1:2], 4, v[1:2]
	s_delay_alu instid0(VALU_DEP_2) | instskip(SKIP_2) | instid1(VALU_DEP_3)
	v_cmp_le_i32_e64 s0, v21, v0
	s_waitcnt lgkmcnt(0)
	v_cmp_gt_i32_e32 vcc_lo, s4, v0
	v_add_co_u32 v20, s1, s2, v1
	s_delay_alu instid0(VALU_DEP_1) | instskip(SKIP_1) | instid1(SALU_CYCLE_1)
	v_add_co_ci_u32_e64 v22, s1, s3, v2, s1
	s_and_b32 s0, s0, vcc_lo
	s_and_saveexec_b32 s1, s0
	s_cbranch_execz .LBB1619_5
; %bb.4:
	v_ashrrev_i32_e32 v1, 31, v0
	s_delay_alu instid0(VALU_DEP_1) | instskip(NEXT) | instid1(VALU_DEP_1)
	v_lshlrev_b64 v[1:2], 4, v[0:1]
	v_add_co_u32 v1, s0, v20, v1
	s_delay_alu instid0(VALU_DEP_1)
	v_add_co_ci_u32_e64 v2, s0, v22, v2, s0
	global_load_b128 v[23:26], v[1:2], off
	s_waitcnt vmcnt(0)
	v_add_f64 v[16:17], v[16:17], v[23:24]
	v_add_f64 v[18:19], v[18:19], v[25:26]
	global_store_b128 v[1:2], v[16:19], off
.LBB1619_5:
	s_or_b32 exec_lo, exec_lo, s1
	v_add_nc_u32_e32 v2, 16, v0
	s_delay_alu instid0(VALU_DEP_1) | instskip(SKIP_1) | instid1(VALU_DEP_1)
	v_cmp_le_i32_e64 s1, v21, v2
	v_cmp_gt_i32_e64 s0, s4, v2
	s_and_b32 s1, s1, s0
	s_delay_alu instid0(SALU_CYCLE_1)
	s_and_saveexec_b32 s4, s1
	s_cbranch_execz .LBB1619_7
; %bb.6:
	v_ashrrev_i32_e32 v3, 31, v2
	s_delay_alu instid0(VALU_DEP_1) | instskip(NEXT) | instid1(VALU_DEP_1)
	v_lshlrev_b64 v[16:17], 4, v[2:3]
	v_add_co_u32 v23, s1, v20, v16
	s_delay_alu instid0(VALU_DEP_1)
	v_add_co_ci_u32_e64 v24, s1, v22, v17, s1
	global_load_b128 v[16:19], v[23:24], off
	s_waitcnt vmcnt(0)
	v_add_f64 v[14:15], v[14:15], v[16:17]
	v_add_f64 v[16:17], v[12:13], v[18:19]
	global_store_b128 v[23:24], v[14:17], off
.LBB1619_7:
	s_or_b32 exec_lo, exec_lo, s4
	v_add_nc_u32_e32 v3, 16, v21
	s_delay_alu instid0(VALU_DEP_1) | instskip(SKIP_3) | instid1(VALU_DEP_4)
	v_ashrrev_i32_e32 v1, 31, v3
	v_mul_lo_u32 v14, v3, s7
	v_mad_u64_u32 v[12:13], null, v3, s6, 0
	v_cmp_le_i32_e64 s1, v3, v0
	v_mul_lo_u32 v1, v1, s6
	s_delay_alu instid0(VALU_DEP_1) | instskip(NEXT) | instid1(VALU_DEP_1)
	v_add3_u32 v13, v13, v14, v1
	v_lshlrev_b64 v[12:13], 4, v[12:13]
	s_delay_alu instid0(VALU_DEP_1) | instskip(NEXT) | instid1(VALU_DEP_1)
	v_add_co_u32 v12, s2, s2, v12
	v_add_co_ci_u32_e64 v13, s2, s3, v13, s2
	s_and_b32 s2, s1, vcc_lo
	s_delay_alu instid0(SALU_CYCLE_1)
	s_and_saveexec_b32 s1, s2
	s_cbranch_execz .LBB1619_9
; %bb.8:
	v_ashrrev_i32_e32 v1, 31, v0
	s_delay_alu instid0(VALU_DEP_1) | instskip(NEXT) | instid1(VALU_DEP_1)
	v_lshlrev_b64 v[0:1], 4, v[0:1]
	v_add_co_u32 v0, vcc_lo, v12, v0
	s_delay_alu instid0(VALU_DEP_2)
	v_add_co_ci_u32_e32 v1, vcc_lo, v13, v1, vcc_lo
	global_load_b128 v[14:17], v[0:1], off
	s_waitcnt vmcnt(0)
	v_add_f64 v[14:15], v[10:11], v[14:15]
	v_add_f64 v[16:17], v[8:9], v[16:17]
	global_store_b128 v[0:1], v[14:17], off
.LBB1619_9:
	s_or_b32 exec_lo, exec_lo, s1
	v_cmp_le_i32_e32 vcc_lo, v3, v2
	s_and_b32 s0, vcc_lo, s0
	s_delay_alu instid0(SALU_CYCLE_1)
	s_and_saveexec_b32 s1, s0
	s_cbranch_execz .LBB1619_11
; %bb.10:
	v_ashrrev_i32_e32 v3, 31, v2
	s_delay_alu instid0(VALU_DEP_1) | instskip(NEXT) | instid1(VALU_DEP_1)
	v_lshlrev_b64 v[0:1], 4, v[2:3]
	v_add_co_u32 v8, vcc_lo, v12, v0
	s_delay_alu instid0(VALU_DEP_2)
	v_add_co_ci_u32_e32 v9, vcc_lo, v13, v1, vcc_lo
	global_load_b128 v[0:3], v[8:9], off
	s_waitcnt vmcnt(0)
	v_add_f64 v[0:1], v[6:7], v[0:1]
	v_add_f64 v[2:3], v[4:5], v[2:3]
	global_store_b128 v[8:9], v[0:3], off
.LBB1619_11:
	s_nop 0
	s_sendmsg sendmsg(MSG_DEALLOC_VGPRS)
	s_endpgm
	.section	.rodata,"a",@progbits
	.p2align	6, 0x0
	.amdhsa_kernel _ZL37rocblas_syrkx_herkx_restricted_kernelIl19rocblas_complex_numIdELi16ELi32ELi8ELi1ELi1ELb0ELc84ELc76EKPKS1_KPS1_EviT_PT9_S7_lS9_S7_lPT10_S7_li
		.amdhsa_group_segment_fixed_size 8192
		.amdhsa_private_segment_fixed_size 0
		.amdhsa_kernarg_size 92
		.amdhsa_user_sgpr_count 13
		.amdhsa_user_sgpr_dispatch_ptr 0
		.amdhsa_user_sgpr_queue_ptr 0
		.amdhsa_user_sgpr_kernarg_segment_ptr 1
		.amdhsa_user_sgpr_dispatch_id 0
		.amdhsa_user_sgpr_private_segment_size 0
		.amdhsa_wavefront_size32 1
		.amdhsa_uses_dynamic_stack 0
		.amdhsa_enable_private_segment 0
		.amdhsa_system_sgpr_workgroup_id_x 1
		.amdhsa_system_sgpr_workgroup_id_y 1
		.amdhsa_system_sgpr_workgroup_id_z 1
		.amdhsa_system_sgpr_workgroup_info 0
		.amdhsa_system_vgpr_workitem_id 1
		.amdhsa_next_free_vgpr 118
		.amdhsa_next_free_sgpr 20
		.amdhsa_reserve_vcc 1
		.amdhsa_float_round_mode_32 0
		.amdhsa_float_round_mode_16_64 0
		.amdhsa_float_denorm_mode_32 3
		.amdhsa_float_denorm_mode_16_64 3
		.amdhsa_dx10_clamp 1
		.amdhsa_ieee_mode 1
		.amdhsa_fp16_overflow 0
		.amdhsa_workgroup_processor_mode 1
		.amdhsa_memory_ordered 1
		.amdhsa_forward_progress 0
		.amdhsa_shared_vgpr_count 0
		.amdhsa_exception_fp_ieee_invalid_op 0
		.amdhsa_exception_fp_denorm_src 0
		.amdhsa_exception_fp_ieee_div_zero 0
		.amdhsa_exception_fp_ieee_overflow 0
		.amdhsa_exception_fp_ieee_underflow 0
		.amdhsa_exception_fp_ieee_inexact 0
		.amdhsa_exception_int_div_zero 0
	.end_amdhsa_kernel
	.section	.text._ZL37rocblas_syrkx_herkx_restricted_kernelIl19rocblas_complex_numIdELi16ELi32ELi8ELi1ELi1ELb0ELc84ELc76EKPKS1_KPS1_EviT_PT9_S7_lS9_S7_lPT10_S7_li,"axG",@progbits,_ZL37rocblas_syrkx_herkx_restricted_kernelIl19rocblas_complex_numIdELi16ELi32ELi8ELi1ELi1ELb0ELc84ELc76EKPKS1_KPS1_EviT_PT9_S7_lS9_S7_lPT10_S7_li,comdat
.Lfunc_end1619:
	.size	_ZL37rocblas_syrkx_herkx_restricted_kernelIl19rocblas_complex_numIdELi16ELi32ELi8ELi1ELi1ELb0ELc84ELc76EKPKS1_KPS1_EviT_PT9_S7_lS9_S7_lPT10_S7_li, .Lfunc_end1619-_ZL37rocblas_syrkx_herkx_restricted_kernelIl19rocblas_complex_numIdELi16ELi32ELi8ELi1ELi1ELb0ELc84ELc76EKPKS1_KPS1_EviT_PT9_S7_lS9_S7_lPT10_S7_li
                                        ; -- End function
	.section	.AMDGPU.csdata,"",@progbits
; Kernel info:
; codeLenInByte = 3108
; NumSgprs: 22
; NumVgprs: 118
; ScratchSize: 0
; MemoryBound: 0
; FloatMode: 240
; IeeeMode: 1
; LDSByteSize: 8192 bytes/workgroup (compile time only)
; SGPRBlocks: 2
; VGPRBlocks: 14
; NumSGPRsForWavesPerEU: 22
; NumVGPRsForWavesPerEU: 118
; Occupancy: 12
; WaveLimiterHint : 1
; COMPUTE_PGM_RSRC2:SCRATCH_EN: 0
; COMPUTE_PGM_RSRC2:USER_SGPR: 13
; COMPUTE_PGM_RSRC2:TRAP_HANDLER: 0
; COMPUTE_PGM_RSRC2:TGID_X_EN: 1
; COMPUTE_PGM_RSRC2:TGID_Y_EN: 1
; COMPUTE_PGM_RSRC2:TGID_Z_EN: 1
; COMPUTE_PGM_RSRC2:TIDIG_COMP_CNT: 1
	.section	.text._ZL37rocblas_syrkx_herkx_restricted_kernelIl19rocblas_complex_numIdELi16ELi32ELi8ELi1ELi1ELb0ELc67ELc76EKPKS1_KPS1_EviT_PT9_S7_lS9_S7_lPT10_S7_li,"axG",@progbits,_ZL37rocblas_syrkx_herkx_restricted_kernelIl19rocblas_complex_numIdELi16ELi32ELi8ELi1ELi1ELb0ELc67ELc76EKPKS1_KPS1_EviT_PT9_S7_lS9_S7_lPT10_S7_li,comdat
	.globl	_ZL37rocblas_syrkx_herkx_restricted_kernelIl19rocblas_complex_numIdELi16ELi32ELi8ELi1ELi1ELb0ELc67ELc76EKPKS1_KPS1_EviT_PT9_S7_lS9_S7_lPT10_S7_li ; -- Begin function _ZL37rocblas_syrkx_herkx_restricted_kernelIl19rocblas_complex_numIdELi16ELi32ELi8ELi1ELi1ELb0ELc67ELc76EKPKS1_KPS1_EviT_PT9_S7_lS9_S7_lPT10_S7_li
	.p2align	8
	.type	_ZL37rocblas_syrkx_herkx_restricted_kernelIl19rocblas_complex_numIdELi16ELi32ELi8ELi1ELi1ELb0ELc67ELc76EKPKS1_KPS1_EviT_PT9_S7_lS9_S7_lPT10_S7_li,@function
_ZL37rocblas_syrkx_herkx_restricted_kernelIl19rocblas_complex_numIdELi16ELi32ELi8ELi1ELi1ELb0ELc67ELc76EKPKS1_KPS1_EviT_PT9_S7_lS9_S7_lPT10_S7_li: ; @_ZL37rocblas_syrkx_herkx_restricted_kernelIl19rocblas_complex_numIdELi16ELi32ELi8ELi1ELi1ELb0ELc67ELc76EKPKS1_KPS1_EviT_PT9_S7_lS9_S7_lPT10_S7_li
; %bb.0:
	s_clause 0x1
	s_load_b128 s[4:7], s[0:1], 0x40
	s_load_b128 s[8:11], s[0:1], 0x8
	s_mov_b32 s2, s15
	s_mov_b32 s3, 0
	v_mov_b32_e32 v16, 0
	s_lshl_b64 s[16:17], s[2:3], 3
	v_dual_mov_b32 v17, 0 :: v_dual_and_b32 v20, 0x3ff, v0
	v_bfe_u32 v21, v0, 10, 10
	s_delay_alu instid0(VALU_DEP_3) | instskip(NEXT) | instid1(VALU_DEP_3)
	v_mov_b32_e32 v14, v16
	v_dual_mov_b32 v12, v16 :: v_dual_mov_b32 v13, v17
	v_dual_mov_b32 v19, v17 :: v_dual_mov_b32 v18, v16
	;; [unrolled: 1-line block ×5, first 2 shown]
	v_mov_b32_e32 v7, v17
	s_waitcnt lgkmcnt(0)
	s_add_u32 s2, s4, s16
	s_addc_u32 s3, s5, s17
	v_cmp_lt_i64_e64 s4, s[8:9], 1
	s_load_b64 s[2:3], s[2:3], 0x0
	v_dual_mov_b32 v4, v16 :: v_dual_mov_b32 v5, v17
	s_lshl_b32 s18, s13, 5
	s_lshl_b32 s19, s14, 5
	s_delay_alu instid0(VALU_DEP_2)
	s_and_b32 vcc_lo, exec_lo, s4
	s_cbranch_vccnz .LBB1620_3
; %bb.1:
	s_clause 0x1
	s_load_b128 s[12:15], s[0:1], 0x28
	s_load_b64 s[4:5], s[0:1], 0x18
	v_lshl_add_u32 v2, v21, 4, v20
	v_dual_mov_b32 v1, 0 :: v_dual_and_b32 v0, 7, v20
	s_add_u32 s10, s10, s16
	s_addc_u32 s11, s11, s17
	s_delay_alu instid0(VALU_DEP_2)
	v_lshrrev_b32_e32 v8, 3, v2
	v_and_b32_e32 v9, 31, v2
	v_lshrrev_b32_e32 v2, 5, v2
	v_mov_b32_e32 v3, v1
	s_load_b64 s[10:11], s[10:11], 0x0
	v_add_nc_u32_e32 v10, s19, v8
	v_add_nc_u32_e32 v6, s18, v9
	v_lshl_add_u32 v23, v21, 7, 0x1000
	s_delay_alu instid0(VALU_DEP_3) | instskip(NEXT) | instid1(VALU_DEP_3)
	v_ashrrev_i32_e32 v4, 31, v10
	v_ashrrev_i32_e32 v5, 31, v6
	s_waitcnt lgkmcnt(0)
	s_add_u32 s12, s12, s16
	s_addc_u32 s13, s13, s17
	v_mul_lo_u32 v11, v4, s14
	v_mul_lo_u32 v12, s4, v5
	v_mad_u64_u32 v[4:5], null, s4, v6, v[2:3]
	v_mul_lo_u32 v3, s5, v6
	s_load_b64 s[4:5], s[12:13], 0x0
	v_mul_lo_u32 v13, v10, s15
	v_mad_u64_u32 v[6:7], null, v10, s14, v[0:1]
	v_lshlrev_b32_e32 v0, 4, v0
	s_delay_alu instid0(VALU_DEP_4) | instskip(NEXT) | instid1(VALU_DEP_2)
	v_add3_u32 v5, v3, v5, v12
	v_lshl_or_b32 v8, v8, 7, v0
	s_delay_alu instid0(VALU_DEP_4) | instskip(NEXT) | instid1(VALU_DEP_3)
	v_add3_u32 v7, v11, v7, v13
	v_lshlrev_b64 v[0:1], 4, v[4:5]
	v_mov_b32_e32 v4, 0
	v_mov_b32_e32 v5, 0
	v_lshlrev_b32_e32 v3, 4, v9
	v_lshlrev_b32_e32 v22, 4, v20
	v_add_nc_u32_e32 v25, 0x1000, v8
	v_add_co_u32 v0, vcc_lo, v0, s10
	s_delay_alu instid0(VALU_DEP_4)
	v_lshl_or_b32 v24, v2, 9, v3
	v_lshlrev_b64 v[2:3], 4, v[6:7]
	v_add_co_ci_u32_e32 v1, vcc_lo, s11, v1, vcc_lo
	v_mov_b32_e32 v7, v5
	v_dual_mov_b32 v9, v5 :: v_dual_mov_b32 v8, v4
	s_waitcnt lgkmcnt(0)
	s_delay_alu instid0(VALU_DEP_4) | instskip(SKIP_3) | instid1(VALU_DEP_4)
	v_add_co_u32 v2, vcc_lo, v2, s4
	v_add_co_ci_u32_e32 v3, vcc_lo, s5, v3, vcc_lo
	v_add_co_u32 v0, vcc_lo, v0, 8
	v_add_co_ci_u32_e32 v1, vcc_lo, 0, v1, vcc_lo
	v_add_co_u32 v2, vcc_lo, v2, 8
	s_delay_alu instid0(VALU_DEP_4)
	v_add_co_ci_u32_e32 v3, vcc_lo, 0, v3, vcc_lo
	v_dual_mov_b32 v6, v4 :: v_dual_mov_b32 v11, v5
	v_dual_mov_b32 v10, v4 :: v_dual_mov_b32 v13, v5
	;; [unrolled: 1-line block ×5, first 2 shown]
	v_mov_b32_e32 v16, v4
	s_mov_b64 s[4:5], 0
.LBB1620_2:                             ; =>This Inner Loop Header: Depth=1
	global_load_b128 v[26:29], v[0:1], off offset:-8
	global_load_b128 v[30:33], v[2:3], off offset:-8
	s_add_u32 s4, s4, 8
	v_add_co_u32 v0, vcc_lo, 0x80, v0
	s_addc_u32 s5, s5, 0
	v_add_co_ci_u32_e32 v1, vcc_lo, 0, v1, vcc_lo
	v_cmp_ge_u64_e64 s10, s[4:5], s[8:9]
	v_add_co_u32 v2, vcc_lo, 0x80, v2
	v_add_co_ci_u32_e32 v3, vcc_lo, 0, v3, vcc_lo
	s_waitcnt vmcnt(1)
	ds_store_b128 v24, v[26:29]
	s_waitcnt vmcnt(0)
	ds_store_b128 v25, v[30:33]
	s_waitcnt lgkmcnt(0)
	s_barrier
	buffer_gl0_inv
	ds_load_b128 v[26:29], v23
	ds_load_b128 v[30:33], v22
	ds_load_b128 v[34:37], v22 offset:256
	ds_load_b128 v[38:41], v23 offset:2048
	;; [unrolled: 1-line block ×13, first 2 shown]
	s_and_b32 vcc_lo, exec_lo, s10
	s_waitcnt lgkmcnt(13)
	v_mul_f64 v[86:87], v[28:29], v[32:33]
	v_mul_f64 v[88:89], v[26:27], v[32:33]
	s_waitcnt lgkmcnt(12)
	v_mul_f64 v[90:91], v[28:29], v[36:37]
	v_mul_f64 v[92:93], v[26:27], v[36:37]
	;; [unrolled: 3-line block ×3, first 2 shown]
	v_mul_f64 v[96:97], v[40:41], v[36:37]
	v_mul_f64 v[36:37], v[38:39], v[36:37]
	s_waitcnt lgkmcnt(8)
	v_mul_f64 v[98:99], v[44:45], v[52:53]
	v_mul_f64 v[100:101], v[42:43], v[52:53]
	s_waitcnt lgkmcnt(7)
	v_mul_f64 v[102:103], v[44:45], v[56:57]
	v_mul_f64 v[104:105], v[42:43], v[56:57]
	;; [unrolled: 1-line block ×6, first 2 shown]
	s_waitcnt lgkmcnt(3)
	v_mul_f64 v[112:113], v[58:59], v[72:73]
	s_waitcnt lgkmcnt(2)
	v_mul_f64 v[114:115], v[76:77], v[68:69]
	v_mul_f64 v[116:117], v[76:77], v[72:73]
	v_fma_f64 v[86:87], v[26:27], v[30:31], -v[86:87]
	v_fma_f64 v[88:89], v[28:29], v[30:31], v[88:89]
	v_fma_f64 v[90:91], v[26:27], v[34:35], -v[90:91]
	v_fma_f64 v[92:93], v[28:29], v[34:35], v[92:93]
	;; [unrolled: 2-line block ×4, first 2 shown]
	v_mul_f64 v[36:37], v[60:61], v[68:69]
	v_mul_f64 v[40:41], v[58:59], v[68:69]
	;; [unrolled: 1-line block ×5, first 2 shown]
	v_fma_f64 v[98:99], v[42:43], v[50:51], -v[98:99]
	v_fma_f64 v[100:101], v[44:45], v[50:51], v[100:101]
	v_fma_f64 v[42:43], v[42:43], v[54:55], -v[102:103]
	v_fma_f64 v[44:45], v[44:45], v[54:55], v[104:105]
	;; [unrolled: 2-line block ×4, first 2 shown]
	ds_load_b128 v[26:29], v22 offset:1792
	ds_load_b128 v[30:33], v22 offset:2048
	s_waitcnt lgkmcnt(2)
	v_mul_f64 v[56:57], v[64:65], v[84:85]
	v_add_f64 v[16:17], v[16:17], v[86:87]
	v_add_f64 v[18:19], v[18:19], v[88:89]
	;; [unrolled: 1-line block ×8, first 2 shown]
	v_mul_f64 v[86:87], v[62:63], v[84:85]
	s_waitcnt lgkmcnt(1)
	v_mul_f64 v[88:89], v[64:65], v[28:29]
	v_mul_f64 v[90:91], v[62:63], v[28:29]
	v_mul_f64 v[92:93], v[80:81], v[84:85]
	v_mul_f64 v[84:85], v[78:79], v[84:85]
	v_mul_f64 v[94:95], v[80:81], v[28:29]
	v_mul_f64 v[28:29], v[78:79], v[28:29]
	v_fma_f64 v[104:105], v[58:59], v[66:67], -v[36:37]
	v_fma_f64 v[106:107], v[60:61], v[66:67], v[40:41]
	v_fma_f64 v[58:59], v[58:59], v[70:71], -v[96:97]
	v_fma_f64 v[60:61], v[60:61], v[70:71], v[112:113]
	;; [unrolled: 2-line block ×4, first 2 shown]
	ds_load_b128 v[4:7], v22 offset:2304
	ds_load_b128 v[8:11], v23 offset:64
	v_fma_f64 v[56:57], v[62:63], v[82:83], -v[56:57]
	v_add_f64 v[72:73], v[16:17], v[98:99]
	v_add_f64 v[74:75], v[18:19], v[100:101]
	;; [unrolled: 1-line block ×8, first 2 shown]
	ds_load_b128 v[12:15], v23 offset:2112
	ds_load_b128 v[16:19], v23 offset:80
	;; [unrolled: 1-line block ×4, first 2 shown]
	s_waitcnt lgkmcnt(4)
	v_mul_f64 v[54:55], v[10:11], v[32:33]
	v_mul_f64 v[76:77], v[8:9], v[32:33]
	;; [unrolled: 1-line block ×4, first 2 shown]
	v_fma_f64 v[86:87], v[64:65], v[82:83], v[86:87]
	v_fma_f64 v[62:63], v[62:63], v[26:27], -v[88:89]
	v_fma_f64 v[64:65], v[64:65], v[26:27], v[90:91]
	v_fma_f64 v[88:89], v[78:79], v[82:83], -v[92:93]
	;; [unrolled: 2-line block ×3, first 2 shown]
	v_fma_f64 v[80:81], v[80:81], v[26:27], v[28:29]
	s_waitcnt lgkmcnt(3)
	v_mul_f64 v[102:103], v[14:15], v[32:33]
	v_mul_f64 v[32:33], v[12:13], v[32:33]
	;; [unrolled: 1-line block ×4, first 2 shown]
	s_waitcnt lgkmcnt(0)
	v_mul_f64 v[90:91], v[18:19], v[40:41]
	v_mul_f64 v[92:93], v[16:17], v[40:41]
	v_add_f64 v[72:73], v[72:73], v[104:105]
	v_add_f64 v[74:75], v[74:75], v[106:107]
	;; [unrolled: 1-line block ×8, first 2 shown]
	ds_load_b128 v[26:29], v22 offset:2816
	ds_load_b128 v[42:45], v22 offset:3072
	;; [unrolled: 1-line block ×4, first 2 shown]
	v_mul_f64 v[104:105], v[36:37], v[40:41]
	v_mul_f64 v[40:41], v[34:35], v[40:41]
	v_fma_f64 v[54:55], v[8:9], v[30:31], -v[54:55]
	v_fma_f64 v[76:77], v[10:11], v[30:31], v[76:77]
	v_fma_f64 v[98:99], v[8:9], v[4:5], -v[98:99]
	v_fma_f64 v[100:101], v[10:11], v[4:5], v[100:101]
	s_waitcnt lgkmcnt(3)
	v_mul_f64 v[94:95], v[18:19], v[28:29]
	v_mul_f64 v[96:97], v[16:17], v[28:29]
	;; [unrolled: 1-line block ×4, first 2 shown]
	v_fma_f64 v[102:103], v[12:13], v[30:31], -v[102:103]
	v_fma_f64 v[32:33], v[14:15], v[30:31], v[32:33]
	v_fma_f64 v[108:109], v[12:13], v[4:5], -v[108:109]
	v_fma_f64 v[112:113], v[14:15], v[4:5], v[6:7]
	ds_load_b128 v[4:7], v23 offset:2144
	ds_load_b128 v[8:11], v23 offset:112
	;; [unrolled: 1-line block ×4, first 2 shown]
	v_add_f64 v[56:57], v[72:73], v[56:57]
	v_add_f64 v[72:73], v[74:75], v[86:87]
	;; [unrolled: 1-line block ×8, first 2 shown]
	s_waitcnt lgkmcnt(4)
	v_mul_f64 v[70:71], v[52:53], v[44:45]
	v_mul_f64 v[74:75], v[50:51], v[44:45]
	;; [unrolled: 1-line block ×4, first 2 shown]
	s_waitcnt lgkmcnt(3)
	v_mul_f64 v[82:83], v[6:7], v[44:45]
	v_mul_f64 v[44:45], v[4:5], v[44:45]
	v_mul_f64 v[84:85], v[6:7], v[48:49]
	v_mul_f64 v[48:49], v[4:5], v[48:49]
	v_fma_f64 v[86:87], v[16:17], v[38:39], -v[90:91]
	v_fma_f64 v[88:89], v[18:19], v[38:39], v[92:93]
	v_fma_f64 v[90:91], v[16:17], v[26:27], -v[94:95]
	v_fma_f64 v[92:93], v[18:19], v[26:27], v[96:97]
	;; [unrolled: 2-line block ×4, first 2 shown]
	ds_load_b128 v[16:19], v22 offset:3840
	s_waitcnt lgkmcnt(0)
	s_barrier
	buffer_gl0_inv
	v_add_f64 v[36:37], v[56:57], v[54:55]
	v_add_f64 v[40:41], v[72:73], v[76:77]
	;; [unrolled: 1-line block ×8, first 2 shown]
	v_mul_f64 v[64:65], v[10:11], v[30:31]
	v_mul_f64 v[66:67], v[8:9], v[30:31]
	;; [unrolled: 1-line block ×4, first 2 shown]
	v_fma_f64 v[70:71], v[50:51], v[42:43], -v[70:71]
	v_mul_f64 v[68:69], v[10:11], v[18:19]
	v_mul_f64 v[72:73], v[8:9], v[18:19]
	;; [unrolled: 1-line block ×4, first 2 shown]
	v_fma_f64 v[74:75], v[52:53], v[42:43], v[74:75]
	v_fma_f64 v[50:51], v[50:51], v[46:47], -v[78:79]
	v_fma_f64 v[52:53], v[52:53], v[46:47], v[80:81]
	v_fma_f64 v[78:79], v[4:5], v[42:43], -v[82:83]
	;; [unrolled: 2-line block ×3, first 2 shown]
	v_fma_f64 v[6:7], v[6:7], v[46:47], v[48:49]
	v_add_f64 v[36:37], v[36:37], v[86:87]
	v_add_f64 v[40:41], v[40:41], v[88:89]
	;; [unrolled: 1-line block ×8, first 2 shown]
	v_fma_f64 v[38:39], v[8:9], v[28:29], -v[64:65]
	v_fma_f64 v[54:55], v[10:11], v[28:29], v[66:67]
	v_fma_f64 v[56:57], v[12:13], v[28:29], -v[76:77]
	v_fma_f64 v[28:29], v[14:15], v[28:29], v[30:31]
	;; [unrolled: 2-line block ×4, first 2 shown]
	v_add_f64 v[12:13], v[36:37], v[70:71]
	v_add_f64 v[14:15], v[40:41], v[74:75]
	v_add_f64 v[36:37], v[44:45], v[50:51]
	v_add_f64 v[40:41], v[46:47], v[52:53]
	v_add_f64 v[44:45], v[48:49], v[78:79]
	v_add_f64 v[32:33], v[32:33], v[42:43]
	v_add_f64 v[4:5], v[34:35], v[4:5]
	v_add_f64 v[26:27], v[26:27], v[6:7]
	v_add_f64 v[16:17], v[12:13], v[38:39]
	v_add_f64 v[18:19], v[14:15], v[54:55]
	v_add_f64 v[14:15], v[36:37], v[8:9]
	v_add_f64 v[12:13], v[40:41], v[10:11]
	v_add_f64 v[10:11], v[44:45], v[56:57]
	v_add_f64 v[8:9], v[32:33], v[28:29]
	v_add_f64 v[6:7], v[4:5], v[30:31]
	v_add_f64 v[4:5], v[26:27], v[58:59]
	s_cbranch_vccz .LBB1620_2
.LBB1620_3:
	v_add_nc_u32_e32 v21, s19, v21
	s_load_b32 s4, s[0:1], 0x0
	s_delay_alu instid0(VALU_DEP_1) | instskip(SKIP_2) | instid1(VALU_DEP_3)
	v_ashrrev_i32_e32 v0, 31, v21
	v_mul_lo_u32 v3, v21, s7
	v_mad_u64_u32 v[1:2], null, v21, s6, 0
	v_mul_lo_u32 v0, v0, s6
	s_delay_alu instid0(VALU_DEP_1) | instskip(SKIP_1) | instid1(VALU_DEP_2)
	v_add3_u32 v2, v2, v3, v0
	v_add_nc_u32_e32 v0, s18, v20
	v_lshlrev_b64 v[1:2], 4, v[1:2]
	s_delay_alu instid0(VALU_DEP_2) | instskip(SKIP_2) | instid1(VALU_DEP_3)
	v_cmp_le_i32_e64 s0, v21, v0
	s_waitcnt lgkmcnt(0)
	v_cmp_gt_i32_e32 vcc_lo, s4, v0
	v_add_co_u32 v20, s1, s2, v1
	s_delay_alu instid0(VALU_DEP_1) | instskip(SKIP_1) | instid1(SALU_CYCLE_1)
	v_add_co_ci_u32_e64 v22, s1, s3, v2, s1
	s_and_b32 s0, s0, vcc_lo
	s_and_saveexec_b32 s1, s0
	s_cbranch_execz .LBB1620_5
; %bb.4:
	v_ashrrev_i32_e32 v1, 31, v0
	s_delay_alu instid0(VALU_DEP_1) | instskip(NEXT) | instid1(VALU_DEP_1)
	v_lshlrev_b64 v[1:2], 4, v[0:1]
	v_add_co_u32 v1, s0, v20, v1
	s_delay_alu instid0(VALU_DEP_1)
	v_add_co_ci_u32_e64 v2, s0, v22, v2, s0
	global_load_b128 v[23:26], v[1:2], off
	s_waitcnt vmcnt(0)
	v_add_f64 v[16:17], v[16:17], v[23:24]
	v_add_f64 v[18:19], v[18:19], v[25:26]
	global_store_b128 v[1:2], v[16:19], off
.LBB1620_5:
	s_or_b32 exec_lo, exec_lo, s1
	v_add_nc_u32_e32 v2, 16, v0
	s_delay_alu instid0(VALU_DEP_1) | instskip(SKIP_1) | instid1(VALU_DEP_1)
	v_cmp_le_i32_e64 s1, v21, v2
	v_cmp_gt_i32_e64 s0, s4, v2
	s_and_b32 s1, s1, s0
	s_delay_alu instid0(SALU_CYCLE_1)
	s_and_saveexec_b32 s4, s1
	s_cbranch_execz .LBB1620_7
; %bb.6:
	v_ashrrev_i32_e32 v3, 31, v2
	s_delay_alu instid0(VALU_DEP_1) | instskip(NEXT) | instid1(VALU_DEP_1)
	v_lshlrev_b64 v[16:17], 4, v[2:3]
	v_add_co_u32 v23, s1, v20, v16
	s_delay_alu instid0(VALU_DEP_1)
	v_add_co_ci_u32_e64 v24, s1, v22, v17, s1
	global_load_b128 v[16:19], v[23:24], off
	s_waitcnt vmcnt(0)
	v_add_f64 v[14:15], v[14:15], v[16:17]
	v_add_f64 v[16:17], v[12:13], v[18:19]
	global_store_b128 v[23:24], v[14:17], off
.LBB1620_7:
	s_or_b32 exec_lo, exec_lo, s4
	v_add_nc_u32_e32 v3, 16, v21
	s_delay_alu instid0(VALU_DEP_1) | instskip(SKIP_3) | instid1(VALU_DEP_4)
	v_ashrrev_i32_e32 v1, 31, v3
	v_mul_lo_u32 v14, v3, s7
	v_mad_u64_u32 v[12:13], null, v3, s6, 0
	v_cmp_le_i32_e64 s1, v3, v0
	v_mul_lo_u32 v1, v1, s6
	s_delay_alu instid0(VALU_DEP_1) | instskip(NEXT) | instid1(VALU_DEP_1)
	v_add3_u32 v13, v13, v14, v1
	v_lshlrev_b64 v[12:13], 4, v[12:13]
	s_delay_alu instid0(VALU_DEP_1) | instskip(NEXT) | instid1(VALU_DEP_1)
	v_add_co_u32 v12, s2, s2, v12
	v_add_co_ci_u32_e64 v13, s2, s3, v13, s2
	s_and_b32 s2, s1, vcc_lo
	s_delay_alu instid0(SALU_CYCLE_1)
	s_and_saveexec_b32 s1, s2
	s_cbranch_execz .LBB1620_9
; %bb.8:
	v_ashrrev_i32_e32 v1, 31, v0
	s_delay_alu instid0(VALU_DEP_1) | instskip(NEXT) | instid1(VALU_DEP_1)
	v_lshlrev_b64 v[0:1], 4, v[0:1]
	v_add_co_u32 v0, vcc_lo, v12, v0
	s_delay_alu instid0(VALU_DEP_2)
	v_add_co_ci_u32_e32 v1, vcc_lo, v13, v1, vcc_lo
	global_load_b128 v[14:17], v[0:1], off
	s_waitcnt vmcnt(0)
	v_add_f64 v[14:15], v[10:11], v[14:15]
	v_add_f64 v[16:17], v[8:9], v[16:17]
	global_store_b128 v[0:1], v[14:17], off
.LBB1620_9:
	s_or_b32 exec_lo, exec_lo, s1
	v_cmp_le_i32_e32 vcc_lo, v3, v2
	s_and_b32 s0, vcc_lo, s0
	s_delay_alu instid0(SALU_CYCLE_1)
	s_and_saveexec_b32 s1, s0
	s_cbranch_execz .LBB1620_11
; %bb.10:
	v_ashrrev_i32_e32 v3, 31, v2
	s_delay_alu instid0(VALU_DEP_1) | instskip(NEXT) | instid1(VALU_DEP_1)
	v_lshlrev_b64 v[0:1], 4, v[2:3]
	v_add_co_u32 v8, vcc_lo, v12, v0
	s_delay_alu instid0(VALU_DEP_2)
	v_add_co_ci_u32_e32 v9, vcc_lo, v13, v1, vcc_lo
	global_load_b128 v[0:3], v[8:9], off
	s_waitcnt vmcnt(0)
	v_add_f64 v[0:1], v[6:7], v[0:1]
	v_add_f64 v[2:3], v[4:5], v[2:3]
	global_store_b128 v[8:9], v[0:3], off
.LBB1620_11:
	s_nop 0
	s_sendmsg sendmsg(MSG_DEALLOC_VGPRS)
	s_endpgm
	.section	.rodata,"a",@progbits
	.p2align	6, 0x0
	.amdhsa_kernel _ZL37rocblas_syrkx_herkx_restricted_kernelIl19rocblas_complex_numIdELi16ELi32ELi8ELi1ELi1ELb0ELc67ELc76EKPKS1_KPS1_EviT_PT9_S7_lS9_S7_lPT10_S7_li
		.amdhsa_group_segment_fixed_size 8192
		.amdhsa_private_segment_fixed_size 0
		.amdhsa_kernarg_size 92
		.amdhsa_user_sgpr_count 13
		.amdhsa_user_sgpr_dispatch_ptr 0
		.amdhsa_user_sgpr_queue_ptr 0
		.amdhsa_user_sgpr_kernarg_segment_ptr 1
		.amdhsa_user_sgpr_dispatch_id 0
		.amdhsa_user_sgpr_private_segment_size 0
		.amdhsa_wavefront_size32 1
		.amdhsa_uses_dynamic_stack 0
		.amdhsa_enable_private_segment 0
		.amdhsa_system_sgpr_workgroup_id_x 1
		.amdhsa_system_sgpr_workgroup_id_y 1
		.amdhsa_system_sgpr_workgroup_id_z 1
		.amdhsa_system_sgpr_workgroup_info 0
		.amdhsa_system_vgpr_workitem_id 1
		.amdhsa_next_free_vgpr 118
		.amdhsa_next_free_sgpr 20
		.amdhsa_reserve_vcc 1
		.amdhsa_float_round_mode_32 0
		.amdhsa_float_round_mode_16_64 0
		.amdhsa_float_denorm_mode_32 3
		.amdhsa_float_denorm_mode_16_64 3
		.amdhsa_dx10_clamp 1
		.amdhsa_ieee_mode 1
		.amdhsa_fp16_overflow 0
		.amdhsa_workgroup_processor_mode 1
		.amdhsa_memory_ordered 1
		.amdhsa_forward_progress 0
		.amdhsa_shared_vgpr_count 0
		.amdhsa_exception_fp_ieee_invalid_op 0
		.amdhsa_exception_fp_denorm_src 0
		.amdhsa_exception_fp_ieee_div_zero 0
		.amdhsa_exception_fp_ieee_overflow 0
		.amdhsa_exception_fp_ieee_underflow 0
		.amdhsa_exception_fp_ieee_inexact 0
		.amdhsa_exception_int_div_zero 0
	.end_amdhsa_kernel
	.section	.text._ZL37rocblas_syrkx_herkx_restricted_kernelIl19rocblas_complex_numIdELi16ELi32ELi8ELi1ELi1ELb0ELc67ELc76EKPKS1_KPS1_EviT_PT9_S7_lS9_S7_lPT10_S7_li,"axG",@progbits,_ZL37rocblas_syrkx_herkx_restricted_kernelIl19rocblas_complex_numIdELi16ELi32ELi8ELi1ELi1ELb0ELc67ELc76EKPKS1_KPS1_EviT_PT9_S7_lS9_S7_lPT10_S7_li,comdat
.Lfunc_end1620:
	.size	_ZL37rocblas_syrkx_herkx_restricted_kernelIl19rocblas_complex_numIdELi16ELi32ELi8ELi1ELi1ELb0ELc67ELc76EKPKS1_KPS1_EviT_PT9_S7_lS9_S7_lPT10_S7_li, .Lfunc_end1620-_ZL37rocblas_syrkx_herkx_restricted_kernelIl19rocblas_complex_numIdELi16ELi32ELi8ELi1ELi1ELb0ELc67ELc76EKPKS1_KPS1_EviT_PT9_S7_lS9_S7_lPT10_S7_li
                                        ; -- End function
	.section	.AMDGPU.csdata,"",@progbits
; Kernel info:
; codeLenInByte = 3108
; NumSgprs: 22
; NumVgprs: 118
; ScratchSize: 0
; MemoryBound: 0
; FloatMode: 240
; IeeeMode: 1
; LDSByteSize: 8192 bytes/workgroup (compile time only)
; SGPRBlocks: 2
; VGPRBlocks: 14
; NumSGPRsForWavesPerEU: 22
; NumVGPRsForWavesPerEU: 118
; Occupancy: 12
; WaveLimiterHint : 1
; COMPUTE_PGM_RSRC2:SCRATCH_EN: 0
; COMPUTE_PGM_RSRC2:USER_SGPR: 13
; COMPUTE_PGM_RSRC2:TRAP_HANDLER: 0
; COMPUTE_PGM_RSRC2:TGID_X_EN: 1
; COMPUTE_PGM_RSRC2:TGID_Y_EN: 1
; COMPUTE_PGM_RSRC2:TGID_Z_EN: 1
; COMPUTE_PGM_RSRC2:TIDIG_COMP_CNT: 1
	.section	.text._ZL37rocblas_syrkx_herkx_restricted_kernelIl19rocblas_complex_numIdELi16ELi32ELi8ELi1ELi1ELb0ELc78ELc76EKPKS1_KPS1_EviT_PT9_S7_lS9_S7_lPT10_S7_li,"axG",@progbits,_ZL37rocblas_syrkx_herkx_restricted_kernelIl19rocblas_complex_numIdELi16ELi32ELi8ELi1ELi1ELb0ELc78ELc76EKPKS1_KPS1_EviT_PT9_S7_lS9_S7_lPT10_S7_li,comdat
	.globl	_ZL37rocblas_syrkx_herkx_restricted_kernelIl19rocblas_complex_numIdELi16ELi32ELi8ELi1ELi1ELb0ELc78ELc76EKPKS1_KPS1_EviT_PT9_S7_lS9_S7_lPT10_S7_li ; -- Begin function _ZL37rocblas_syrkx_herkx_restricted_kernelIl19rocblas_complex_numIdELi16ELi32ELi8ELi1ELi1ELb0ELc78ELc76EKPKS1_KPS1_EviT_PT9_S7_lS9_S7_lPT10_S7_li
	.p2align	8
	.type	_ZL37rocblas_syrkx_herkx_restricted_kernelIl19rocblas_complex_numIdELi16ELi32ELi8ELi1ELi1ELb0ELc78ELc76EKPKS1_KPS1_EviT_PT9_S7_lS9_S7_lPT10_S7_li,@function
_ZL37rocblas_syrkx_herkx_restricted_kernelIl19rocblas_complex_numIdELi16ELi32ELi8ELi1ELi1ELb0ELc78ELc76EKPKS1_KPS1_EviT_PT9_S7_lS9_S7_lPT10_S7_li: ; @_ZL37rocblas_syrkx_herkx_restricted_kernelIl19rocblas_complex_numIdELi16ELi32ELi8ELi1ELi1ELb0ELc78ELc76EKPKS1_KPS1_EviT_PT9_S7_lS9_S7_lPT10_S7_li
; %bb.0:
	s_clause 0x1
	s_load_b128 s[4:7], s[0:1], 0x40
	s_load_b128 s[8:11], s[0:1], 0x8
	s_mov_b32 s2, s15
	s_mov_b32 s3, 0
	v_mov_b32_e32 v16, 0
	s_lshl_b64 s[16:17], s[2:3], 3
	v_dual_mov_b32 v17, 0 :: v_dual_and_b32 v20, 0x3ff, v0
	v_bfe_u32 v21, v0, 10, 10
	s_delay_alu instid0(VALU_DEP_3) | instskip(NEXT) | instid1(VALU_DEP_3)
	v_mov_b32_e32 v14, v16
	v_dual_mov_b32 v12, v16 :: v_dual_mov_b32 v13, v17
	v_dual_mov_b32 v19, v17 :: v_dual_mov_b32 v18, v16
	;; [unrolled: 1-line block ×5, first 2 shown]
	v_mov_b32_e32 v7, v17
	s_waitcnt lgkmcnt(0)
	s_add_u32 s2, s4, s16
	s_addc_u32 s3, s5, s17
	v_cmp_lt_i64_e64 s4, s[8:9], 1
	s_load_b64 s[2:3], s[2:3], 0x0
	v_dual_mov_b32 v4, v16 :: v_dual_mov_b32 v5, v17
	s_lshl_b32 s18, s13, 5
	s_lshl_b32 s19, s14, 5
	s_delay_alu instid0(VALU_DEP_2)
	s_and_b32 vcc_lo, exec_lo, s4
	s_cbranch_vccnz .LBB1621_3
; %bb.1:
	v_lshl_add_u32 v1, v21, 4, v20
	s_clause 0x1
	s_load_b64 s[4:5], s[0:1], 0x18
	s_load_b128 s[12:15], s[0:1], 0x28
	v_and_b32_e32 v6, 7, v20
	s_add_u32 s10, s10, s16
	s_addc_u32 s11, s11, s17
	v_and_b32_e32 v14, 31, v1
	v_lshrrev_b32_e32 v15, 3, v1
	v_lshrrev_b32_e32 v16, 5, v1
	s_load_b64 s[10:11], s[10:11], 0x0
	v_lshl_add_u32 v23, v21, 7, 0x1000
	v_add_nc_u32_e32 v0, s18, v14
	v_add_nc_u32_e32 v2, s19, v15
	s_delay_alu instid0(VALU_DEP_2) | instskip(NEXT) | instid1(VALU_DEP_2)
	v_ashrrev_i32_e32 v1, 31, v0
	v_ashrrev_i32_e32 v3, 31, v2
	s_waitcnt lgkmcnt(0)
	s_delay_alu instid0(VALU_DEP_2) | instskip(NEXT) | instid1(VALU_DEP_2)
	v_mad_u64_u32 v[10:11], null, v16, s4, v[0:1]
	v_mad_u64_u32 v[0:1], null, v6, s14, v[2:3]
	s_add_u32 s12, s12, s16
	s_addc_u32 s13, s13, s17
	s_load_b64 s[12:13], s[12:13], 0x0
	s_delay_alu instid0(VALU_DEP_2) | instskip(NEXT) | instid1(VALU_DEP_1)
	v_mov_b32_e32 v2, v11
	v_mad_u64_u32 v[3:4], null, v16, s5, v[2:3]
	v_mov_b32_e32 v4, 0
	v_mov_b32_e32 v5, 0
	s_lshl_b64 s[4:5], s[4:5], 7
	s_delay_alu instid0(VALU_DEP_1)
	v_mov_b32_e32 v9, v5
	v_mad_u64_u32 v[12:13], null, v6, s15, v[1:2]
	v_lshlrev_b32_e32 v13, 4, v14
	v_lshlrev_b32_e32 v1, 4, v6
	v_dual_mov_b32 v11, v3 :: v_dual_lshlrev_b32 v22, 4, v20
	v_mov_b32_e32 v7, v5
	s_delay_alu instid0(VALU_DEP_4) | instskip(NEXT) | instid1(VALU_DEP_4)
	v_lshl_or_b32 v24, v16, 9, v13
	v_lshl_or_b32 v14, v15, 7, v1
	v_mov_b32_e32 v1, v12
	v_lshlrev_b64 v[2:3], 4, v[10:11]
	v_dual_mov_b32 v6, v4 :: v_dual_mov_b32 v11, v5
	v_mov_b32_e32 v10, v4
	s_delay_alu instid0(VALU_DEP_4) | instskip(SKIP_4) | instid1(VALU_DEP_4)
	v_lshlrev_b64 v[0:1], 4, v[0:1]
	v_dual_mov_b32 v8, v4 :: v_dual_add_nc_u32 v25, 0x1000, v14
	v_add_co_u32 v2, vcc_lo, v2, s10
	v_add_co_ci_u32_e32 v3, vcc_lo, s11, v3, vcc_lo
	s_waitcnt lgkmcnt(0)
	v_add_co_u32 v12, vcc_lo, v0, s12
	v_add_co_ci_u32_e32 v13, vcc_lo, s13, v1, vcc_lo
	v_add_co_u32 v0, vcc_lo, v2, 8
	v_add_co_ci_u32_e32 v1, vcc_lo, 0, v3, vcc_lo
	s_delay_alu instid0(VALU_DEP_4) | instskip(NEXT) | instid1(VALU_DEP_4)
	v_add_co_u32 v2, vcc_lo, v12, 8
	v_add_co_ci_u32_e32 v3, vcc_lo, 0, v13, vcc_lo
	v_dual_mov_b32 v13, v5 :: v_dual_mov_b32 v12, v4
	v_dual_mov_b32 v15, v5 :: v_dual_mov_b32 v14, v4
	;; [unrolled: 1-line block ×4, first 2 shown]
	s_lshl_b64 s[10:11], s[14:15], 7
	s_mov_b64 s[12:13], 0
.LBB1621_2:                             ; =>This Inner Loop Header: Depth=1
	global_load_b128 v[26:29], v[0:1], off offset:-8
	global_load_b128 v[30:33], v[2:3], off offset:-8
	s_add_u32 s12, s12, 8
	v_add_co_u32 v0, vcc_lo, v0, s4
	s_addc_u32 s13, s13, 0
	v_add_co_ci_u32_e32 v1, vcc_lo, s5, v1, vcc_lo
	v_cmp_ge_u64_e64 s14, s[12:13], s[8:9]
	v_add_co_u32 v2, vcc_lo, v2, s10
	v_add_co_ci_u32_e32 v3, vcc_lo, s11, v3, vcc_lo
	s_waitcnt vmcnt(1)
	ds_store_b128 v24, v[26:29]
	s_waitcnt vmcnt(0)
	ds_store_b128 v25, v[30:33]
	s_waitcnt lgkmcnt(0)
	s_barrier
	buffer_gl0_inv
	ds_load_b128 v[26:29], v23
	ds_load_b128 v[30:33], v22
	ds_load_b128 v[34:37], v22 offset:256
	ds_load_b128 v[38:41], v23 offset:2048
	;; [unrolled: 1-line block ×13, first 2 shown]
	s_and_b32 vcc_lo, exec_lo, s14
	s_waitcnt lgkmcnt(13)
	v_mul_f64 v[86:87], v[28:29], v[32:33]
	v_mul_f64 v[88:89], v[26:27], v[32:33]
	s_waitcnt lgkmcnt(12)
	v_mul_f64 v[90:91], v[28:29], v[36:37]
	v_mul_f64 v[92:93], v[26:27], v[36:37]
	;; [unrolled: 3-line block ×3, first 2 shown]
	v_mul_f64 v[96:97], v[40:41], v[36:37]
	v_mul_f64 v[36:37], v[38:39], v[36:37]
	s_waitcnt lgkmcnt(8)
	v_mul_f64 v[98:99], v[44:45], v[52:53]
	v_mul_f64 v[100:101], v[42:43], v[52:53]
	s_waitcnt lgkmcnt(7)
	v_mul_f64 v[102:103], v[44:45], v[56:57]
	v_mul_f64 v[104:105], v[42:43], v[56:57]
	;; [unrolled: 1-line block ×6, first 2 shown]
	s_waitcnt lgkmcnt(3)
	v_mul_f64 v[112:113], v[58:59], v[72:73]
	s_waitcnt lgkmcnt(2)
	v_mul_f64 v[114:115], v[76:77], v[68:69]
	v_mul_f64 v[116:117], v[76:77], v[72:73]
	v_fma_f64 v[86:87], v[26:27], v[30:31], -v[86:87]
	v_fma_f64 v[88:89], v[28:29], v[30:31], v[88:89]
	v_fma_f64 v[90:91], v[26:27], v[34:35], -v[90:91]
	v_fma_f64 v[92:93], v[28:29], v[34:35], v[92:93]
	;; [unrolled: 2-line block ×4, first 2 shown]
	v_mul_f64 v[36:37], v[60:61], v[68:69]
	v_mul_f64 v[40:41], v[58:59], v[68:69]
	;; [unrolled: 1-line block ×5, first 2 shown]
	v_fma_f64 v[98:99], v[42:43], v[50:51], -v[98:99]
	v_fma_f64 v[100:101], v[44:45], v[50:51], v[100:101]
	v_fma_f64 v[42:43], v[42:43], v[54:55], -v[102:103]
	v_fma_f64 v[44:45], v[44:45], v[54:55], v[104:105]
	;; [unrolled: 2-line block ×4, first 2 shown]
	ds_load_b128 v[26:29], v22 offset:1792
	ds_load_b128 v[30:33], v22 offset:2048
	s_waitcnt lgkmcnt(2)
	v_mul_f64 v[56:57], v[64:65], v[84:85]
	v_add_f64 v[16:17], v[16:17], v[86:87]
	v_add_f64 v[18:19], v[18:19], v[88:89]
	;; [unrolled: 1-line block ×8, first 2 shown]
	v_mul_f64 v[86:87], v[62:63], v[84:85]
	s_waitcnt lgkmcnt(1)
	v_mul_f64 v[88:89], v[64:65], v[28:29]
	v_mul_f64 v[90:91], v[62:63], v[28:29]
	v_mul_f64 v[92:93], v[80:81], v[84:85]
	v_mul_f64 v[84:85], v[78:79], v[84:85]
	v_mul_f64 v[94:95], v[80:81], v[28:29]
	v_mul_f64 v[28:29], v[78:79], v[28:29]
	v_fma_f64 v[104:105], v[58:59], v[66:67], -v[36:37]
	v_fma_f64 v[106:107], v[60:61], v[66:67], v[40:41]
	v_fma_f64 v[58:59], v[58:59], v[70:71], -v[96:97]
	v_fma_f64 v[60:61], v[60:61], v[70:71], v[112:113]
	;; [unrolled: 2-line block ×4, first 2 shown]
	ds_load_b128 v[4:7], v22 offset:2304
	ds_load_b128 v[8:11], v23 offset:64
	v_fma_f64 v[56:57], v[62:63], v[82:83], -v[56:57]
	v_add_f64 v[72:73], v[16:17], v[98:99]
	v_add_f64 v[74:75], v[18:19], v[100:101]
	;; [unrolled: 1-line block ×8, first 2 shown]
	ds_load_b128 v[12:15], v23 offset:2112
	ds_load_b128 v[16:19], v23 offset:80
	;; [unrolled: 1-line block ×4, first 2 shown]
	s_waitcnt lgkmcnt(4)
	v_mul_f64 v[54:55], v[10:11], v[32:33]
	v_mul_f64 v[76:77], v[8:9], v[32:33]
	;; [unrolled: 1-line block ×4, first 2 shown]
	v_fma_f64 v[86:87], v[64:65], v[82:83], v[86:87]
	v_fma_f64 v[62:63], v[62:63], v[26:27], -v[88:89]
	v_fma_f64 v[64:65], v[64:65], v[26:27], v[90:91]
	v_fma_f64 v[88:89], v[78:79], v[82:83], -v[92:93]
	;; [unrolled: 2-line block ×3, first 2 shown]
	v_fma_f64 v[80:81], v[80:81], v[26:27], v[28:29]
	s_waitcnt lgkmcnt(3)
	v_mul_f64 v[102:103], v[14:15], v[32:33]
	v_mul_f64 v[32:33], v[12:13], v[32:33]
	;; [unrolled: 1-line block ×4, first 2 shown]
	s_waitcnt lgkmcnt(0)
	v_mul_f64 v[90:91], v[18:19], v[40:41]
	v_mul_f64 v[92:93], v[16:17], v[40:41]
	v_add_f64 v[72:73], v[72:73], v[104:105]
	v_add_f64 v[74:75], v[74:75], v[106:107]
	;; [unrolled: 1-line block ×8, first 2 shown]
	ds_load_b128 v[26:29], v22 offset:2816
	ds_load_b128 v[42:45], v22 offset:3072
	;; [unrolled: 1-line block ×4, first 2 shown]
	v_mul_f64 v[104:105], v[36:37], v[40:41]
	v_mul_f64 v[40:41], v[34:35], v[40:41]
	v_fma_f64 v[54:55], v[8:9], v[30:31], -v[54:55]
	v_fma_f64 v[76:77], v[10:11], v[30:31], v[76:77]
	v_fma_f64 v[98:99], v[8:9], v[4:5], -v[98:99]
	v_fma_f64 v[100:101], v[10:11], v[4:5], v[100:101]
	s_waitcnt lgkmcnt(3)
	v_mul_f64 v[94:95], v[18:19], v[28:29]
	v_mul_f64 v[96:97], v[16:17], v[28:29]
	;; [unrolled: 1-line block ×4, first 2 shown]
	v_fma_f64 v[102:103], v[12:13], v[30:31], -v[102:103]
	v_fma_f64 v[32:33], v[14:15], v[30:31], v[32:33]
	v_fma_f64 v[108:109], v[12:13], v[4:5], -v[108:109]
	v_fma_f64 v[112:113], v[14:15], v[4:5], v[6:7]
	ds_load_b128 v[4:7], v23 offset:2144
	ds_load_b128 v[8:11], v23 offset:112
	;; [unrolled: 1-line block ×4, first 2 shown]
	v_add_f64 v[56:57], v[72:73], v[56:57]
	v_add_f64 v[72:73], v[74:75], v[86:87]
	;; [unrolled: 1-line block ×8, first 2 shown]
	s_waitcnt lgkmcnt(4)
	v_mul_f64 v[70:71], v[52:53], v[44:45]
	v_mul_f64 v[74:75], v[50:51], v[44:45]
	;; [unrolled: 1-line block ×4, first 2 shown]
	s_waitcnt lgkmcnt(3)
	v_mul_f64 v[82:83], v[6:7], v[44:45]
	v_mul_f64 v[44:45], v[4:5], v[44:45]
	;; [unrolled: 1-line block ×4, first 2 shown]
	v_fma_f64 v[86:87], v[16:17], v[38:39], -v[90:91]
	v_fma_f64 v[88:89], v[18:19], v[38:39], v[92:93]
	v_fma_f64 v[90:91], v[16:17], v[26:27], -v[94:95]
	v_fma_f64 v[92:93], v[18:19], v[26:27], v[96:97]
	;; [unrolled: 2-line block ×4, first 2 shown]
	ds_load_b128 v[16:19], v22 offset:3840
	s_waitcnt lgkmcnt(0)
	s_barrier
	buffer_gl0_inv
	v_add_f64 v[36:37], v[56:57], v[54:55]
	v_add_f64 v[40:41], v[72:73], v[76:77]
	;; [unrolled: 1-line block ×8, first 2 shown]
	v_mul_f64 v[64:65], v[10:11], v[30:31]
	v_mul_f64 v[66:67], v[8:9], v[30:31]
	;; [unrolled: 1-line block ×4, first 2 shown]
	v_fma_f64 v[70:71], v[50:51], v[42:43], -v[70:71]
	v_mul_f64 v[68:69], v[10:11], v[18:19]
	v_mul_f64 v[72:73], v[8:9], v[18:19]
	;; [unrolled: 1-line block ×4, first 2 shown]
	v_fma_f64 v[74:75], v[52:53], v[42:43], v[74:75]
	v_fma_f64 v[50:51], v[50:51], v[46:47], -v[78:79]
	v_fma_f64 v[52:53], v[52:53], v[46:47], v[80:81]
	v_fma_f64 v[78:79], v[4:5], v[42:43], -v[82:83]
	;; [unrolled: 2-line block ×3, first 2 shown]
	v_fma_f64 v[6:7], v[6:7], v[46:47], v[48:49]
	v_add_f64 v[36:37], v[36:37], v[86:87]
	v_add_f64 v[40:41], v[40:41], v[88:89]
	v_add_f64 v[44:45], v[54:55], v[90:91]
	v_add_f64 v[46:47], v[56:57], v[92:93]
	v_add_f64 v[48:49], v[58:59], v[94:95]
	v_add_f64 v[32:33], v[32:33], v[38:39]
	v_add_f64 v[34:35], v[60:61], v[34:35]
	v_add_f64 v[26:27], v[62:63], v[26:27]
	v_fma_f64 v[38:39], v[8:9], v[28:29], -v[64:65]
	v_fma_f64 v[54:55], v[10:11], v[28:29], v[66:67]
	v_fma_f64 v[56:57], v[12:13], v[28:29], -v[76:77]
	v_fma_f64 v[28:29], v[14:15], v[28:29], v[30:31]
	;; [unrolled: 2-line block ×4, first 2 shown]
	v_add_f64 v[12:13], v[36:37], v[70:71]
	v_add_f64 v[14:15], v[40:41], v[74:75]
	;; [unrolled: 1-line block ×16, first 2 shown]
	s_cbranch_vccz .LBB1621_2
.LBB1621_3:
	v_add_nc_u32_e32 v21, s19, v21
	s_load_b32 s4, s[0:1], 0x0
	s_delay_alu instid0(VALU_DEP_1) | instskip(SKIP_2) | instid1(VALU_DEP_3)
	v_ashrrev_i32_e32 v0, 31, v21
	v_mul_lo_u32 v3, v21, s7
	v_mad_u64_u32 v[1:2], null, v21, s6, 0
	v_mul_lo_u32 v0, v0, s6
	s_delay_alu instid0(VALU_DEP_1) | instskip(SKIP_1) | instid1(VALU_DEP_2)
	v_add3_u32 v2, v2, v3, v0
	v_add_nc_u32_e32 v0, s18, v20
	v_lshlrev_b64 v[1:2], 4, v[1:2]
	s_delay_alu instid0(VALU_DEP_2) | instskip(SKIP_2) | instid1(VALU_DEP_3)
	v_cmp_le_i32_e64 s0, v21, v0
	s_waitcnt lgkmcnt(0)
	v_cmp_gt_i32_e32 vcc_lo, s4, v0
	v_add_co_u32 v20, s1, s2, v1
	s_delay_alu instid0(VALU_DEP_1) | instskip(SKIP_1) | instid1(SALU_CYCLE_1)
	v_add_co_ci_u32_e64 v22, s1, s3, v2, s1
	s_and_b32 s0, s0, vcc_lo
	s_and_saveexec_b32 s1, s0
	s_cbranch_execz .LBB1621_5
; %bb.4:
	v_ashrrev_i32_e32 v1, 31, v0
	s_delay_alu instid0(VALU_DEP_1) | instskip(NEXT) | instid1(VALU_DEP_1)
	v_lshlrev_b64 v[1:2], 4, v[0:1]
	v_add_co_u32 v1, s0, v20, v1
	s_delay_alu instid0(VALU_DEP_1)
	v_add_co_ci_u32_e64 v2, s0, v22, v2, s0
	global_load_b128 v[23:26], v[1:2], off
	s_waitcnt vmcnt(0)
	v_add_f64 v[16:17], v[16:17], v[23:24]
	v_add_f64 v[18:19], v[18:19], v[25:26]
	global_store_b128 v[1:2], v[16:19], off
.LBB1621_5:
	s_or_b32 exec_lo, exec_lo, s1
	v_add_nc_u32_e32 v2, 16, v0
	s_delay_alu instid0(VALU_DEP_1) | instskip(SKIP_1) | instid1(VALU_DEP_1)
	v_cmp_le_i32_e64 s1, v21, v2
	v_cmp_gt_i32_e64 s0, s4, v2
	s_and_b32 s1, s1, s0
	s_delay_alu instid0(SALU_CYCLE_1)
	s_and_saveexec_b32 s4, s1
	s_cbranch_execz .LBB1621_7
; %bb.6:
	v_ashrrev_i32_e32 v3, 31, v2
	s_delay_alu instid0(VALU_DEP_1) | instskip(NEXT) | instid1(VALU_DEP_1)
	v_lshlrev_b64 v[16:17], 4, v[2:3]
	v_add_co_u32 v23, s1, v20, v16
	s_delay_alu instid0(VALU_DEP_1)
	v_add_co_ci_u32_e64 v24, s1, v22, v17, s1
	global_load_b128 v[16:19], v[23:24], off
	s_waitcnt vmcnt(0)
	v_add_f64 v[14:15], v[14:15], v[16:17]
	v_add_f64 v[16:17], v[12:13], v[18:19]
	global_store_b128 v[23:24], v[14:17], off
.LBB1621_7:
	s_or_b32 exec_lo, exec_lo, s4
	v_add_nc_u32_e32 v3, 16, v21
	s_delay_alu instid0(VALU_DEP_1) | instskip(SKIP_3) | instid1(VALU_DEP_4)
	v_ashrrev_i32_e32 v1, 31, v3
	v_mul_lo_u32 v14, v3, s7
	v_mad_u64_u32 v[12:13], null, v3, s6, 0
	v_cmp_le_i32_e64 s1, v3, v0
	v_mul_lo_u32 v1, v1, s6
	s_delay_alu instid0(VALU_DEP_1) | instskip(NEXT) | instid1(VALU_DEP_1)
	v_add3_u32 v13, v13, v14, v1
	v_lshlrev_b64 v[12:13], 4, v[12:13]
	s_delay_alu instid0(VALU_DEP_1) | instskip(NEXT) | instid1(VALU_DEP_1)
	v_add_co_u32 v12, s2, s2, v12
	v_add_co_ci_u32_e64 v13, s2, s3, v13, s2
	s_and_b32 s2, s1, vcc_lo
	s_delay_alu instid0(SALU_CYCLE_1)
	s_and_saveexec_b32 s1, s2
	s_cbranch_execz .LBB1621_9
; %bb.8:
	v_ashrrev_i32_e32 v1, 31, v0
	s_delay_alu instid0(VALU_DEP_1) | instskip(NEXT) | instid1(VALU_DEP_1)
	v_lshlrev_b64 v[0:1], 4, v[0:1]
	v_add_co_u32 v0, vcc_lo, v12, v0
	s_delay_alu instid0(VALU_DEP_2)
	v_add_co_ci_u32_e32 v1, vcc_lo, v13, v1, vcc_lo
	global_load_b128 v[14:17], v[0:1], off
	s_waitcnt vmcnt(0)
	v_add_f64 v[14:15], v[10:11], v[14:15]
	v_add_f64 v[16:17], v[8:9], v[16:17]
	global_store_b128 v[0:1], v[14:17], off
.LBB1621_9:
	s_or_b32 exec_lo, exec_lo, s1
	v_cmp_le_i32_e32 vcc_lo, v3, v2
	s_and_b32 s0, vcc_lo, s0
	s_delay_alu instid0(SALU_CYCLE_1)
	s_and_saveexec_b32 s1, s0
	s_cbranch_execz .LBB1621_11
; %bb.10:
	v_ashrrev_i32_e32 v3, 31, v2
	s_delay_alu instid0(VALU_DEP_1) | instskip(NEXT) | instid1(VALU_DEP_1)
	v_lshlrev_b64 v[0:1], 4, v[2:3]
	v_add_co_u32 v8, vcc_lo, v12, v0
	s_delay_alu instid0(VALU_DEP_2)
	v_add_co_ci_u32_e32 v9, vcc_lo, v13, v1, vcc_lo
	global_load_b128 v[0:3], v[8:9], off
	s_waitcnt vmcnt(0)
	v_add_f64 v[0:1], v[6:7], v[0:1]
	v_add_f64 v[2:3], v[4:5], v[2:3]
	global_store_b128 v[8:9], v[0:3], off
.LBB1621_11:
	s_nop 0
	s_sendmsg sendmsg(MSG_DEALLOC_VGPRS)
	s_endpgm
	.section	.rodata,"a",@progbits
	.p2align	6, 0x0
	.amdhsa_kernel _ZL37rocblas_syrkx_herkx_restricted_kernelIl19rocblas_complex_numIdELi16ELi32ELi8ELi1ELi1ELb0ELc78ELc76EKPKS1_KPS1_EviT_PT9_S7_lS9_S7_lPT10_S7_li
		.amdhsa_group_segment_fixed_size 8192
		.amdhsa_private_segment_fixed_size 0
		.amdhsa_kernarg_size 92
		.amdhsa_user_sgpr_count 13
		.amdhsa_user_sgpr_dispatch_ptr 0
		.amdhsa_user_sgpr_queue_ptr 0
		.amdhsa_user_sgpr_kernarg_segment_ptr 1
		.amdhsa_user_sgpr_dispatch_id 0
		.amdhsa_user_sgpr_private_segment_size 0
		.amdhsa_wavefront_size32 1
		.amdhsa_uses_dynamic_stack 0
		.amdhsa_enable_private_segment 0
		.amdhsa_system_sgpr_workgroup_id_x 1
		.amdhsa_system_sgpr_workgroup_id_y 1
		.amdhsa_system_sgpr_workgroup_id_z 1
		.amdhsa_system_sgpr_workgroup_info 0
		.amdhsa_system_vgpr_workitem_id 1
		.amdhsa_next_free_vgpr 118
		.amdhsa_next_free_sgpr 20
		.amdhsa_reserve_vcc 1
		.amdhsa_float_round_mode_32 0
		.amdhsa_float_round_mode_16_64 0
		.amdhsa_float_denorm_mode_32 3
		.amdhsa_float_denorm_mode_16_64 3
		.amdhsa_dx10_clamp 1
		.amdhsa_ieee_mode 1
		.amdhsa_fp16_overflow 0
		.amdhsa_workgroup_processor_mode 1
		.amdhsa_memory_ordered 1
		.amdhsa_forward_progress 0
		.amdhsa_shared_vgpr_count 0
		.amdhsa_exception_fp_ieee_invalid_op 0
		.amdhsa_exception_fp_denorm_src 0
		.amdhsa_exception_fp_ieee_div_zero 0
		.amdhsa_exception_fp_ieee_overflow 0
		.amdhsa_exception_fp_ieee_underflow 0
		.amdhsa_exception_fp_ieee_inexact 0
		.amdhsa_exception_int_div_zero 0
	.end_amdhsa_kernel
	.section	.text._ZL37rocblas_syrkx_herkx_restricted_kernelIl19rocblas_complex_numIdELi16ELi32ELi8ELi1ELi1ELb0ELc78ELc76EKPKS1_KPS1_EviT_PT9_S7_lS9_S7_lPT10_S7_li,"axG",@progbits,_ZL37rocblas_syrkx_herkx_restricted_kernelIl19rocblas_complex_numIdELi16ELi32ELi8ELi1ELi1ELb0ELc78ELc76EKPKS1_KPS1_EviT_PT9_S7_lS9_S7_lPT10_S7_li,comdat
.Lfunc_end1621:
	.size	_ZL37rocblas_syrkx_herkx_restricted_kernelIl19rocblas_complex_numIdELi16ELi32ELi8ELi1ELi1ELb0ELc78ELc76EKPKS1_KPS1_EviT_PT9_S7_lS9_S7_lPT10_S7_li, .Lfunc_end1621-_ZL37rocblas_syrkx_herkx_restricted_kernelIl19rocblas_complex_numIdELi16ELi32ELi8ELi1ELi1ELb0ELc78ELc76EKPKS1_KPS1_EviT_PT9_S7_lS9_S7_lPT10_S7_li
                                        ; -- End function
	.section	.AMDGPU.csdata,"",@progbits
; Kernel info:
; codeLenInByte = 3080
; NumSgprs: 22
; NumVgprs: 118
; ScratchSize: 0
; MemoryBound: 0
; FloatMode: 240
; IeeeMode: 1
; LDSByteSize: 8192 bytes/workgroup (compile time only)
; SGPRBlocks: 2
; VGPRBlocks: 14
; NumSGPRsForWavesPerEU: 22
; NumVGPRsForWavesPerEU: 118
; Occupancy: 12
; WaveLimiterHint : 1
; COMPUTE_PGM_RSRC2:SCRATCH_EN: 0
; COMPUTE_PGM_RSRC2:USER_SGPR: 13
; COMPUTE_PGM_RSRC2:TRAP_HANDLER: 0
; COMPUTE_PGM_RSRC2:TGID_X_EN: 1
; COMPUTE_PGM_RSRC2:TGID_Y_EN: 1
; COMPUTE_PGM_RSRC2:TGID_Z_EN: 1
; COMPUTE_PGM_RSRC2:TIDIG_COMP_CNT: 1
	.section	.text._ZL37rocblas_syrkx_herkx_restricted_kernelIl19rocblas_complex_numIdELi16ELi32ELi8ELi1ELi1ELb0ELc84ELc85EKPKS1_KPS1_EviT_PT9_S7_lS9_S7_lPT10_S7_li,"axG",@progbits,_ZL37rocblas_syrkx_herkx_restricted_kernelIl19rocblas_complex_numIdELi16ELi32ELi8ELi1ELi1ELb0ELc84ELc85EKPKS1_KPS1_EviT_PT9_S7_lS9_S7_lPT10_S7_li,comdat
	.globl	_ZL37rocblas_syrkx_herkx_restricted_kernelIl19rocblas_complex_numIdELi16ELi32ELi8ELi1ELi1ELb0ELc84ELc85EKPKS1_KPS1_EviT_PT9_S7_lS9_S7_lPT10_S7_li ; -- Begin function _ZL37rocblas_syrkx_herkx_restricted_kernelIl19rocblas_complex_numIdELi16ELi32ELi8ELi1ELi1ELb0ELc84ELc85EKPKS1_KPS1_EviT_PT9_S7_lS9_S7_lPT10_S7_li
	.p2align	8
	.type	_ZL37rocblas_syrkx_herkx_restricted_kernelIl19rocblas_complex_numIdELi16ELi32ELi8ELi1ELi1ELb0ELc84ELc85EKPKS1_KPS1_EviT_PT9_S7_lS9_S7_lPT10_S7_li,@function
_ZL37rocblas_syrkx_herkx_restricted_kernelIl19rocblas_complex_numIdELi16ELi32ELi8ELi1ELi1ELb0ELc84ELc85EKPKS1_KPS1_EviT_PT9_S7_lS9_S7_lPT10_S7_li: ; @_ZL37rocblas_syrkx_herkx_restricted_kernelIl19rocblas_complex_numIdELi16ELi32ELi8ELi1ELi1ELb0ELc84ELc85EKPKS1_KPS1_EviT_PT9_S7_lS9_S7_lPT10_S7_li
; %bb.0:
	s_clause 0x1
	s_load_b128 s[4:7], s[0:1], 0x40
	s_load_b128 s[8:11], s[0:1], 0x8
	s_mov_b32 s2, s15
	s_mov_b32 s3, 0
	v_mov_b32_e32 v16, 0
	s_lshl_b64 s[16:17], s[2:3], 3
	v_dual_mov_b32 v17, 0 :: v_dual_and_b32 v20, 0x3ff, v0
	v_bfe_u32 v21, v0, 10, 10
	s_delay_alu instid0(VALU_DEP_3) | instskip(NEXT) | instid1(VALU_DEP_3)
	v_mov_b32_e32 v14, v16
	v_dual_mov_b32 v12, v16 :: v_dual_mov_b32 v13, v17
	v_dual_mov_b32 v19, v17 :: v_dual_mov_b32 v18, v16
	;; [unrolled: 1-line block ×5, first 2 shown]
	v_mov_b32_e32 v7, v17
	s_waitcnt lgkmcnt(0)
	s_add_u32 s2, s4, s16
	s_addc_u32 s3, s5, s17
	v_cmp_lt_i64_e64 s4, s[8:9], 1
	s_load_b64 s[2:3], s[2:3], 0x0
	v_dual_mov_b32 v4, v16 :: v_dual_mov_b32 v5, v17
	s_lshl_b32 s18, s13, 5
	s_lshl_b32 s19, s14, 5
	s_delay_alu instid0(VALU_DEP_2)
	s_and_b32 vcc_lo, exec_lo, s4
	s_cbranch_vccnz .LBB1622_3
; %bb.1:
	s_clause 0x1
	s_load_b128 s[12:15], s[0:1], 0x28
	s_load_b64 s[4:5], s[0:1], 0x18
	v_lshl_add_u32 v2, v21, 4, v20
	v_dual_mov_b32 v1, 0 :: v_dual_and_b32 v0, 7, v20
	s_add_u32 s10, s10, s16
	s_addc_u32 s11, s11, s17
	s_delay_alu instid0(VALU_DEP_2)
	v_lshrrev_b32_e32 v8, 3, v2
	v_and_b32_e32 v9, 31, v2
	v_lshrrev_b32_e32 v2, 5, v2
	v_mov_b32_e32 v3, v1
	s_load_b64 s[10:11], s[10:11], 0x0
	v_add_nc_u32_e32 v10, s19, v8
	v_add_nc_u32_e32 v6, s18, v9
	v_lshl_add_u32 v23, v21, 7, 0x1000
	s_delay_alu instid0(VALU_DEP_3) | instskip(NEXT) | instid1(VALU_DEP_3)
	v_ashrrev_i32_e32 v4, 31, v10
	v_ashrrev_i32_e32 v5, 31, v6
	s_waitcnt lgkmcnt(0)
	s_add_u32 s12, s12, s16
	s_addc_u32 s13, s13, s17
	v_mul_lo_u32 v11, v4, s14
	v_mul_lo_u32 v12, s4, v5
	v_mad_u64_u32 v[4:5], null, s4, v6, v[2:3]
	v_mul_lo_u32 v3, s5, v6
	s_load_b64 s[4:5], s[12:13], 0x0
	v_mul_lo_u32 v13, v10, s15
	v_mad_u64_u32 v[6:7], null, v10, s14, v[0:1]
	v_lshlrev_b32_e32 v0, 4, v0
	s_delay_alu instid0(VALU_DEP_4) | instskip(NEXT) | instid1(VALU_DEP_2)
	v_add3_u32 v5, v3, v5, v12
	v_lshl_or_b32 v8, v8, 7, v0
	s_delay_alu instid0(VALU_DEP_4) | instskip(NEXT) | instid1(VALU_DEP_3)
	v_add3_u32 v7, v11, v7, v13
	v_lshlrev_b64 v[0:1], 4, v[4:5]
	v_mov_b32_e32 v4, 0
	v_mov_b32_e32 v5, 0
	v_lshlrev_b32_e32 v3, 4, v9
	v_lshlrev_b32_e32 v22, 4, v20
	v_add_nc_u32_e32 v25, 0x1000, v8
	v_add_co_u32 v0, vcc_lo, v0, s10
	s_delay_alu instid0(VALU_DEP_4)
	v_lshl_or_b32 v24, v2, 9, v3
	v_lshlrev_b64 v[2:3], 4, v[6:7]
	v_add_co_ci_u32_e32 v1, vcc_lo, s11, v1, vcc_lo
	v_mov_b32_e32 v7, v5
	v_dual_mov_b32 v9, v5 :: v_dual_mov_b32 v8, v4
	s_waitcnt lgkmcnt(0)
	s_delay_alu instid0(VALU_DEP_4) | instskip(SKIP_3) | instid1(VALU_DEP_4)
	v_add_co_u32 v2, vcc_lo, v2, s4
	v_add_co_ci_u32_e32 v3, vcc_lo, s5, v3, vcc_lo
	v_add_co_u32 v0, vcc_lo, v0, 8
	v_add_co_ci_u32_e32 v1, vcc_lo, 0, v1, vcc_lo
	v_add_co_u32 v2, vcc_lo, v2, 8
	s_delay_alu instid0(VALU_DEP_4)
	v_add_co_ci_u32_e32 v3, vcc_lo, 0, v3, vcc_lo
	v_dual_mov_b32 v6, v4 :: v_dual_mov_b32 v11, v5
	v_dual_mov_b32 v10, v4 :: v_dual_mov_b32 v13, v5
	v_dual_mov_b32 v12, v4 :: v_dual_mov_b32 v15, v5
	v_dual_mov_b32 v14, v4 :: v_dual_mov_b32 v19, v5
	v_dual_mov_b32 v18, v4 :: v_dual_mov_b32 v17, v5
	v_mov_b32_e32 v16, v4
	s_mov_b64 s[4:5], 0
.LBB1622_2:                             ; =>This Inner Loop Header: Depth=1
	global_load_b128 v[26:29], v[0:1], off offset:-8
	global_load_b128 v[30:33], v[2:3], off offset:-8
	s_add_u32 s4, s4, 8
	v_add_co_u32 v0, vcc_lo, 0x80, v0
	s_addc_u32 s5, s5, 0
	v_add_co_ci_u32_e32 v1, vcc_lo, 0, v1, vcc_lo
	v_cmp_ge_u64_e64 s10, s[4:5], s[8:9]
	v_add_co_u32 v2, vcc_lo, 0x80, v2
	v_add_co_ci_u32_e32 v3, vcc_lo, 0, v3, vcc_lo
	s_waitcnt vmcnt(1)
	ds_store_b128 v24, v[26:29]
	s_waitcnt vmcnt(0)
	ds_store_b128 v25, v[30:33]
	s_waitcnt lgkmcnt(0)
	s_barrier
	buffer_gl0_inv
	ds_load_b128 v[26:29], v23
	ds_load_b128 v[30:33], v22
	ds_load_b128 v[34:37], v22 offset:256
	ds_load_b128 v[38:41], v23 offset:2048
	;; [unrolled: 1-line block ×13, first 2 shown]
	s_and_b32 vcc_lo, exec_lo, s10
	s_waitcnt lgkmcnt(13)
	v_mul_f64 v[86:87], v[28:29], v[32:33]
	v_mul_f64 v[88:89], v[26:27], v[32:33]
	s_waitcnt lgkmcnt(12)
	v_mul_f64 v[90:91], v[28:29], v[36:37]
	v_mul_f64 v[92:93], v[26:27], v[36:37]
	;; [unrolled: 3-line block ×3, first 2 shown]
	v_mul_f64 v[96:97], v[40:41], v[36:37]
	v_mul_f64 v[36:37], v[38:39], v[36:37]
	s_waitcnt lgkmcnt(8)
	v_mul_f64 v[98:99], v[44:45], v[52:53]
	v_mul_f64 v[100:101], v[42:43], v[52:53]
	s_waitcnt lgkmcnt(7)
	v_mul_f64 v[102:103], v[44:45], v[56:57]
	v_mul_f64 v[104:105], v[42:43], v[56:57]
	;; [unrolled: 1-line block ×6, first 2 shown]
	s_waitcnt lgkmcnt(3)
	v_mul_f64 v[112:113], v[58:59], v[72:73]
	s_waitcnt lgkmcnt(2)
	v_mul_f64 v[114:115], v[76:77], v[68:69]
	v_mul_f64 v[116:117], v[76:77], v[72:73]
	v_fma_f64 v[86:87], v[26:27], v[30:31], -v[86:87]
	v_fma_f64 v[88:89], v[28:29], v[30:31], v[88:89]
	v_fma_f64 v[90:91], v[26:27], v[34:35], -v[90:91]
	v_fma_f64 v[92:93], v[28:29], v[34:35], v[92:93]
	;; [unrolled: 2-line block ×4, first 2 shown]
	v_mul_f64 v[36:37], v[60:61], v[68:69]
	v_mul_f64 v[40:41], v[58:59], v[68:69]
	v_mul_f64 v[96:97], v[60:61], v[72:73]
	v_mul_f64 v[68:69], v[74:75], v[68:69]
	v_mul_f64 v[72:73], v[74:75], v[72:73]
	v_fma_f64 v[98:99], v[42:43], v[50:51], -v[98:99]
	v_fma_f64 v[100:101], v[44:45], v[50:51], v[100:101]
	v_fma_f64 v[42:43], v[42:43], v[54:55], -v[102:103]
	v_fma_f64 v[44:45], v[44:45], v[54:55], v[104:105]
	;; [unrolled: 2-line block ×4, first 2 shown]
	ds_load_b128 v[26:29], v22 offset:1792
	ds_load_b128 v[30:33], v22 offset:2048
	s_waitcnt lgkmcnt(2)
	v_mul_f64 v[56:57], v[64:65], v[84:85]
	v_add_f64 v[16:17], v[16:17], v[86:87]
	v_add_f64 v[18:19], v[18:19], v[88:89]
	;; [unrolled: 1-line block ×8, first 2 shown]
	v_mul_f64 v[86:87], v[62:63], v[84:85]
	s_waitcnt lgkmcnt(1)
	v_mul_f64 v[88:89], v[64:65], v[28:29]
	v_mul_f64 v[90:91], v[62:63], v[28:29]
	;; [unrolled: 1-line block ×6, first 2 shown]
	v_fma_f64 v[104:105], v[58:59], v[66:67], -v[36:37]
	v_fma_f64 v[106:107], v[60:61], v[66:67], v[40:41]
	v_fma_f64 v[58:59], v[58:59], v[70:71], -v[96:97]
	v_fma_f64 v[60:61], v[60:61], v[70:71], v[112:113]
	;; [unrolled: 2-line block ×4, first 2 shown]
	ds_load_b128 v[4:7], v22 offset:2304
	ds_load_b128 v[8:11], v23 offset:64
	v_fma_f64 v[56:57], v[62:63], v[82:83], -v[56:57]
	v_add_f64 v[72:73], v[16:17], v[98:99]
	v_add_f64 v[74:75], v[18:19], v[100:101]
	;; [unrolled: 1-line block ×8, first 2 shown]
	ds_load_b128 v[12:15], v23 offset:2112
	ds_load_b128 v[16:19], v23 offset:80
	;; [unrolled: 1-line block ×4, first 2 shown]
	s_waitcnt lgkmcnt(4)
	v_mul_f64 v[54:55], v[10:11], v[32:33]
	v_mul_f64 v[76:77], v[8:9], v[32:33]
	;; [unrolled: 1-line block ×4, first 2 shown]
	v_fma_f64 v[86:87], v[64:65], v[82:83], v[86:87]
	v_fma_f64 v[62:63], v[62:63], v[26:27], -v[88:89]
	v_fma_f64 v[64:65], v[64:65], v[26:27], v[90:91]
	v_fma_f64 v[88:89], v[78:79], v[82:83], -v[92:93]
	;; [unrolled: 2-line block ×3, first 2 shown]
	v_fma_f64 v[80:81], v[80:81], v[26:27], v[28:29]
	s_waitcnt lgkmcnt(3)
	v_mul_f64 v[102:103], v[14:15], v[32:33]
	v_mul_f64 v[32:33], v[12:13], v[32:33]
	;; [unrolled: 1-line block ×4, first 2 shown]
	s_waitcnt lgkmcnt(0)
	v_mul_f64 v[90:91], v[18:19], v[40:41]
	v_mul_f64 v[92:93], v[16:17], v[40:41]
	v_add_f64 v[72:73], v[72:73], v[104:105]
	v_add_f64 v[74:75], v[74:75], v[106:107]
	;; [unrolled: 1-line block ×8, first 2 shown]
	ds_load_b128 v[26:29], v22 offset:2816
	ds_load_b128 v[42:45], v22 offset:3072
	;; [unrolled: 1-line block ×4, first 2 shown]
	v_mul_f64 v[104:105], v[36:37], v[40:41]
	v_mul_f64 v[40:41], v[34:35], v[40:41]
	v_fma_f64 v[54:55], v[8:9], v[30:31], -v[54:55]
	v_fma_f64 v[76:77], v[10:11], v[30:31], v[76:77]
	v_fma_f64 v[98:99], v[8:9], v[4:5], -v[98:99]
	v_fma_f64 v[100:101], v[10:11], v[4:5], v[100:101]
	s_waitcnt lgkmcnt(3)
	v_mul_f64 v[94:95], v[18:19], v[28:29]
	v_mul_f64 v[96:97], v[16:17], v[28:29]
	;; [unrolled: 1-line block ×4, first 2 shown]
	v_fma_f64 v[102:103], v[12:13], v[30:31], -v[102:103]
	v_fma_f64 v[32:33], v[14:15], v[30:31], v[32:33]
	v_fma_f64 v[108:109], v[12:13], v[4:5], -v[108:109]
	v_fma_f64 v[112:113], v[14:15], v[4:5], v[6:7]
	ds_load_b128 v[4:7], v23 offset:2144
	ds_load_b128 v[8:11], v23 offset:112
	;; [unrolled: 1-line block ×4, first 2 shown]
	v_add_f64 v[56:57], v[72:73], v[56:57]
	v_add_f64 v[72:73], v[74:75], v[86:87]
	;; [unrolled: 1-line block ×8, first 2 shown]
	s_waitcnt lgkmcnt(4)
	v_mul_f64 v[70:71], v[52:53], v[44:45]
	v_mul_f64 v[74:75], v[50:51], v[44:45]
	;; [unrolled: 1-line block ×4, first 2 shown]
	s_waitcnt lgkmcnt(3)
	v_mul_f64 v[82:83], v[6:7], v[44:45]
	v_mul_f64 v[44:45], v[4:5], v[44:45]
	;; [unrolled: 1-line block ×4, first 2 shown]
	v_fma_f64 v[86:87], v[16:17], v[38:39], -v[90:91]
	v_fma_f64 v[88:89], v[18:19], v[38:39], v[92:93]
	v_fma_f64 v[90:91], v[16:17], v[26:27], -v[94:95]
	v_fma_f64 v[92:93], v[18:19], v[26:27], v[96:97]
	;; [unrolled: 2-line block ×4, first 2 shown]
	ds_load_b128 v[16:19], v22 offset:3840
	s_waitcnt lgkmcnt(0)
	s_barrier
	buffer_gl0_inv
	v_add_f64 v[36:37], v[56:57], v[54:55]
	v_add_f64 v[40:41], v[72:73], v[76:77]
	;; [unrolled: 1-line block ×8, first 2 shown]
	v_mul_f64 v[64:65], v[10:11], v[30:31]
	v_mul_f64 v[66:67], v[8:9], v[30:31]
	;; [unrolled: 1-line block ×4, first 2 shown]
	v_fma_f64 v[70:71], v[50:51], v[42:43], -v[70:71]
	v_mul_f64 v[68:69], v[10:11], v[18:19]
	v_mul_f64 v[72:73], v[8:9], v[18:19]
	;; [unrolled: 1-line block ×4, first 2 shown]
	v_fma_f64 v[74:75], v[52:53], v[42:43], v[74:75]
	v_fma_f64 v[50:51], v[50:51], v[46:47], -v[78:79]
	v_fma_f64 v[52:53], v[52:53], v[46:47], v[80:81]
	v_fma_f64 v[78:79], v[4:5], v[42:43], -v[82:83]
	v_fma_f64 v[42:43], v[6:7], v[42:43], v[44:45]
	v_fma_f64 v[4:5], v[4:5], v[46:47], -v[84:85]
	v_fma_f64 v[6:7], v[6:7], v[46:47], v[48:49]
	v_add_f64 v[36:37], v[36:37], v[86:87]
	v_add_f64 v[40:41], v[40:41], v[88:89]
	;; [unrolled: 1-line block ×8, first 2 shown]
	v_fma_f64 v[38:39], v[8:9], v[28:29], -v[64:65]
	v_fma_f64 v[54:55], v[10:11], v[28:29], v[66:67]
	v_fma_f64 v[56:57], v[12:13], v[28:29], -v[76:77]
	v_fma_f64 v[28:29], v[14:15], v[28:29], v[30:31]
	;; [unrolled: 2-line block ×4, first 2 shown]
	v_add_f64 v[12:13], v[36:37], v[70:71]
	v_add_f64 v[14:15], v[40:41], v[74:75]
	;; [unrolled: 1-line block ×16, first 2 shown]
	s_cbranch_vccz .LBB1622_2
.LBB1622_3:
	v_add_nc_u32_e32 v21, s19, v21
	s_load_b32 s4, s[0:1], 0x0
	s_delay_alu instid0(VALU_DEP_1) | instskip(SKIP_2) | instid1(VALU_DEP_3)
	v_ashrrev_i32_e32 v0, 31, v21
	v_mul_lo_u32 v3, v21, s7
	v_mad_u64_u32 v[1:2], null, v21, s6, 0
	v_mul_lo_u32 v0, v0, s6
	s_delay_alu instid0(VALU_DEP_1) | instskip(SKIP_3) | instid1(VALU_DEP_3)
	v_add3_u32 v2, v2, v3, v0
	v_add_nc_u32_e32 v0, s18, v20
	s_waitcnt lgkmcnt(0)
	v_cmp_gt_i32_e32 vcc_lo, s4, v21
	v_lshlrev_b64 v[1:2], 4, v[1:2]
	s_delay_alu instid0(VALU_DEP_3) | instskip(NEXT) | instid1(VALU_DEP_1)
	v_cmp_le_i32_e64 s0, v0, v21
	s_and_b32 s0, vcc_lo, s0
	s_delay_alu instid0(VALU_DEP_2) | instskip(NEXT) | instid1(VALU_DEP_1)
	v_add_co_u32 v20, s1, s2, v1
	v_add_co_ci_u32_e64 v22, s1, s3, v2, s1
	s_and_saveexec_b32 s1, s0
	s_cbranch_execz .LBB1622_5
; %bb.4:
	v_ashrrev_i32_e32 v1, 31, v0
	s_delay_alu instid0(VALU_DEP_1) | instskip(NEXT) | instid1(VALU_DEP_1)
	v_lshlrev_b64 v[1:2], 4, v[0:1]
	v_add_co_u32 v1, s0, v20, v1
	s_delay_alu instid0(VALU_DEP_1)
	v_add_co_ci_u32_e64 v2, s0, v22, v2, s0
	global_load_b128 v[23:26], v[1:2], off
	s_waitcnt vmcnt(0)
	v_add_f64 v[16:17], v[16:17], v[23:24]
	v_add_f64 v[18:19], v[18:19], v[25:26]
	global_store_b128 v[1:2], v[16:19], off
.LBB1622_5:
	s_or_b32 exec_lo, exec_lo, s1
	v_add_nc_u32_e32 v2, 16, v0
	s_delay_alu instid0(VALU_DEP_1) | instskip(NEXT) | instid1(VALU_DEP_1)
	v_cmp_le_i32_e64 s0, v2, v21
	s_and_b32 s1, vcc_lo, s0
	s_delay_alu instid0(SALU_CYCLE_1)
	s_and_saveexec_b32 s0, s1
	s_cbranch_execz .LBB1622_7
; %bb.6:
	v_ashrrev_i32_e32 v3, 31, v2
	s_delay_alu instid0(VALU_DEP_1) | instskip(NEXT) | instid1(VALU_DEP_1)
	v_lshlrev_b64 v[16:17], 4, v[2:3]
	v_add_co_u32 v23, vcc_lo, v20, v16
	s_delay_alu instid0(VALU_DEP_2)
	v_add_co_ci_u32_e32 v24, vcc_lo, v22, v17, vcc_lo
	global_load_b128 v[16:19], v[23:24], off
	s_waitcnt vmcnt(0)
	v_add_f64 v[14:15], v[14:15], v[16:17]
	v_add_f64 v[16:17], v[12:13], v[18:19]
	global_store_b128 v[23:24], v[14:17], off
.LBB1622_7:
	s_or_b32 exec_lo, exec_lo, s0
	v_add_nc_u32_e32 v3, 16, v21
	s_delay_alu instid0(VALU_DEP_1) | instskip(SKIP_3) | instid1(VALU_DEP_4)
	v_ashrrev_i32_e32 v1, 31, v3
	v_mul_lo_u32 v14, v3, s7
	v_mad_u64_u32 v[12:13], null, v3, s6, 0
	v_cmp_gt_i32_e32 vcc_lo, s4, v3
	v_mul_lo_u32 v1, v1, s6
	v_cmp_le_i32_e64 s0, v0, v3
	s_delay_alu instid0(VALU_DEP_1) | instskip(NEXT) | instid1(VALU_DEP_2)
	s_and_b32 s0, vcc_lo, s0
	v_add3_u32 v13, v13, v14, v1
	s_delay_alu instid0(VALU_DEP_1) | instskip(NEXT) | instid1(VALU_DEP_1)
	v_lshlrev_b64 v[12:13], 4, v[12:13]
	v_add_co_u32 v12, s1, s2, v12
	s_delay_alu instid0(VALU_DEP_1)
	v_add_co_ci_u32_e64 v13, s1, s3, v13, s1
	s_and_saveexec_b32 s1, s0
	s_cbranch_execz .LBB1622_9
; %bb.8:
	v_ashrrev_i32_e32 v1, 31, v0
	s_delay_alu instid0(VALU_DEP_1) | instskip(NEXT) | instid1(VALU_DEP_1)
	v_lshlrev_b64 v[0:1], 4, v[0:1]
	v_add_co_u32 v0, s0, v12, v0
	s_delay_alu instid0(VALU_DEP_1)
	v_add_co_ci_u32_e64 v1, s0, v13, v1, s0
	global_load_b128 v[14:17], v[0:1], off
	s_waitcnt vmcnt(0)
	v_add_f64 v[14:15], v[10:11], v[14:15]
	v_add_f64 v[16:17], v[8:9], v[16:17]
	global_store_b128 v[0:1], v[14:17], off
.LBB1622_9:
	s_or_b32 exec_lo, exec_lo, s1
	v_cmp_le_i32_e64 s0, v2, v3
	s_delay_alu instid0(VALU_DEP_1) | instskip(NEXT) | instid1(SALU_CYCLE_1)
	s_and_b32 s0, vcc_lo, s0
	s_and_saveexec_b32 s1, s0
	s_cbranch_execz .LBB1622_11
; %bb.10:
	v_ashrrev_i32_e32 v3, 31, v2
	s_delay_alu instid0(VALU_DEP_1) | instskip(NEXT) | instid1(VALU_DEP_1)
	v_lshlrev_b64 v[0:1], 4, v[2:3]
	v_add_co_u32 v8, vcc_lo, v12, v0
	s_delay_alu instid0(VALU_DEP_2)
	v_add_co_ci_u32_e32 v9, vcc_lo, v13, v1, vcc_lo
	global_load_b128 v[0:3], v[8:9], off
	s_waitcnt vmcnt(0)
	v_add_f64 v[0:1], v[6:7], v[0:1]
	v_add_f64 v[2:3], v[4:5], v[2:3]
	global_store_b128 v[8:9], v[0:3], off
.LBB1622_11:
	s_nop 0
	s_sendmsg sendmsg(MSG_DEALLOC_VGPRS)
	s_endpgm
	.section	.rodata,"a",@progbits
	.p2align	6, 0x0
	.amdhsa_kernel _ZL37rocblas_syrkx_herkx_restricted_kernelIl19rocblas_complex_numIdELi16ELi32ELi8ELi1ELi1ELb0ELc84ELc85EKPKS1_KPS1_EviT_PT9_S7_lS9_S7_lPT10_S7_li
		.amdhsa_group_segment_fixed_size 8192
		.amdhsa_private_segment_fixed_size 0
		.amdhsa_kernarg_size 92
		.amdhsa_user_sgpr_count 13
		.amdhsa_user_sgpr_dispatch_ptr 0
		.amdhsa_user_sgpr_queue_ptr 0
		.amdhsa_user_sgpr_kernarg_segment_ptr 1
		.amdhsa_user_sgpr_dispatch_id 0
		.amdhsa_user_sgpr_private_segment_size 0
		.amdhsa_wavefront_size32 1
		.amdhsa_uses_dynamic_stack 0
		.amdhsa_enable_private_segment 0
		.amdhsa_system_sgpr_workgroup_id_x 1
		.amdhsa_system_sgpr_workgroup_id_y 1
		.amdhsa_system_sgpr_workgroup_id_z 1
		.amdhsa_system_sgpr_workgroup_info 0
		.amdhsa_system_vgpr_workitem_id 1
		.amdhsa_next_free_vgpr 118
		.amdhsa_next_free_sgpr 20
		.amdhsa_reserve_vcc 1
		.amdhsa_float_round_mode_32 0
		.amdhsa_float_round_mode_16_64 0
		.amdhsa_float_denorm_mode_32 3
		.amdhsa_float_denorm_mode_16_64 3
		.amdhsa_dx10_clamp 1
		.amdhsa_ieee_mode 1
		.amdhsa_fp16_overflow 0
		.amdhsa_workgroup_processor_mode 1
		.amdhsa_memory_ordered 1
		.amdhsa_forward_progress 0
		.amdhsa_shared_vgpr_count 0
		.amdhsa_exception_fp_ieee_invalid_op 0
		.amdhsa_exception_fp_denorm_src 0
		.amdhsa_exception_fp_ieee_div_zero 0
		.amdhsa_exception_fp_ieee_overflow 0
		.amdhsa_exception_fp_ieee_underflow 0
		.amdhsa_exception_fp_ieee_inexact 0
		.amdhsa_exception_int_div_zero 0
	.end_amdhsa_kernel
	.section	.text._ZL37rocblas_syrkx_herkx_restricted_kernelIl19rocblas_complex_numIdELi16ELi32ELi8ELi1ELi1ELb0ELc84ELc85EKPKS1_KPS1_EviT_PT9_S7_lS9_S7_lPT10_S7_li,"axG",@progbits,_ZL37rocblas_syrkx_herkx_restricted_kernelIl19rocblas_complex_numIdELi16ELi32ELi8ELi1ELi1ELb0ELc84ELc85EKPKS1_KPS1_EviT_PT9_S7_lS9_S7_lPT10_S7_li,comdat
.Lfunc_end1622:
	.size	_ZL37rocblas_syrkx_herkx_restricted_kernelIl19rocblas_complex_numIdELi16ELi32ELi8ELi1ELi1ELb0ELc84ELc85EKPKS1_KPS1_EviT_PT9_S7_lS9_S7_lPT10_S7_li, .Lfunc_end1622-_ZL37rocblas_syrkx_herkx_restricted_kernelIl19rocblas_complex_numIdELi16ELi32ELi8ELi1ELi1ELb0ELc84ELc85EKPKS1_KPS1_EviT_PT9_S7_lS9_S7_lPT10_S7_li
                                        ; -- End function
	.section	.AMDGPU.csdata,"",@progbits
; Kernel info:
; codeLenInByte = 3108
; NumSgprs: 22
; NumVgprs: 118
; ScratchSize: 0
; MemoryBound: 0
; FloatMode: 240
; IeeeMode: 1
; LDSByteSize: 8192 bytes/workgroup (compile time only)
; SGPRBlocks: 2
; VGPRBlocks: 14
; NumSGPRsForWavesPerEU: 22
; NumVGPRsForWavesPerEU: 118
; Occupancy: 12
; WaveLimiterHint : 1
; COMPUTE_PGM_RSRC2:SCRATCH_EN: 0
; COMPUTE_PGM_RSRC2:USER_SGPR: 13
; COMPUTE_PGM_RSRC2:TRAP_HANDLER: 0
; COMPUTE_PGM_RSRC2:TGID_X_EN: 1
; COMPUTE_PGM_RSRC2:TGID_Y_EN: 1
; COMPUTE_PGM_RSRC2:TGID_Z_EN: 1
; COMPUTE_PGM_RSRC2:TIDIG_COMP_CNT: 1
	.section	.text._ZL37rocblas_syrkx_herkx_restricted_kernelIl19rocblas_complex_numIdELi16ELi32ELi8ELi1ELi1ELb0ELc67ELc85EKPKS1_KPS1_EviT_PT9_S7_lS9_S7_lPT10_S7_li,"axG",@progbits,_ZL37rocblas_syrkx_herkx_restricted_kernelIl19rocblas_complex_numIdELi16ELi32ELi8ELi1ELi1ELb0ELc67ELc85EKPKS1_KPS1_EviT_PT9_S7_lS9_S7_lPT10_S7_li,comdat
	.globl	_ZL37rocblas_syrkx_herkx_restricted_kernelIl19rocblas_complex_numIdELi16ELi32ELi8ELi1ELi1ELb0ELc67ELc85EKPKS1_KPS1_EviT_PT9_S7_lS9_S7_lPT10_S7_li ; -- Begin function _ZL37rocblas_syrkx_herkx_restricted_kernelIl19rocblas_complex_numIdELi16ELi32ELi8ELi1ELi1ELb0ELc67ELc85EKPKS1_KPS1_EviT_PT9_S7_lS9_S7_lPT10_S7_li
	.p2align	8
	.type	_ZL37rocblas_syrkx_herkx_restricted_kernelIl19rocblas_complex_numIdELi16ELi32ELi8ELi1ELi1ELb0ELc67ELc85EKPKS1_KPS1_EviT_PT9_S7_lS9_S7_lPT10_S7_li,@function
_ZL37rocblas_syrkx_herkx_restricted_kernelIl19rocblas_complex_numIdELi16ELi32ELi8ELi1ELi1ELb0ELc67ELc85EKPKS1_KPS1_EviT_PT9_S7_lS9_S7_lPT10_S7_li: ; @_ZL37rocblas_syrkx_herkx_restricted_kernelIl19rocblas_complex_numIdELi16ELi32ELi8ELi1ELi1ELb0ELc67ELc85EKPKS1_KPS1_EviT_PT9_S7_lS9_S7_lPT10_S7_li
; %bb.0:
	s_clause 0x1
	s_load_b128 s[4:7], s[0:1], 0x40
	s_load_b128 s[8:11], s[0:1], 0x8
	s_mov_b32 s2, s15
	s_mov_b32 s3, 0
	v_mov_b32_e32 v16, 0
	s_lshl_b64 s[16:17], s[2:3], 3
	v_dual_mov_b32 v17, 0 :: v_dual_and_b32 v20, 0x3ff, v0
	v_bfe_u32 v21, v0, 10, 10
	s_delay_alu instid0(VALU_DEP_3) | instskip(NEXT) | instid1(VALU_DEP_3)
	v_mov_b32_e32 v14, v16
	v_dual_mov_b32 v12, v16 :: v_dual_mov_b32 v13, v17
	v_dual_mov_b32 v19, v17 :: v_dual_mov_b32 v18, v16
	;; [unrolled: 1-line block ×5, first 2 shown]
	v_mov_b32_e32 v7, v17
	s_waitcnt lgkmcnt(0)
	s_add_u32 s2, s4, s16
	s_addc_u32 s3, s5, s17
	v_cmp_lt_i64_e64 s4, s[8:9], 1
	s_load_b64 s[2:3], s[2:3], 0x0
	v_dual_mov_b32 v4, v16 :: v_dual_mov_b32 v5, v17
	s_lshl_b32 s18, s13, 5
	s_lshl_b32 s19, s14, 5
	s_delay_alu instid0(VALU_DEP_2)
	s_and_b32 vcc_lo, exec_lo, s4
	s_cbranch_vccnz .LBB1623_3
; %bb.1:
	s_clause 0x1
	s_load_b128 s[12:15], s[0:1], 0x28
	s_load_b64 s[4:5], s[0:1], 0x18
	v_lshl_add_u32 v2, v21, 4, v20
	v_dual_mov_b32 v1, 0 :: v_dual_and_b32 v0, 7, v20
	s_add_u32 s10, s10, s16
	s_addc_u32 s11, s11, s17
	s_delay_alu instid0(VALU_DEP_2)
	v_lshrrev_b32_e32 v8, 3, v2
	v_and_b32_e32 v9, 31, v2
	v_lshrrev_b32_e32 v2, 5, v2
	v_mov_b32_e32 v3, v1
	s_load_b64 s[10:11], s[10:11], 0x0
	v_add_nc_u32_e32 v10, s19, v8
	v_add_nc_u32_e32 v6, s18, v9
	v_lshl_add_u32 v23, v21, 7, 0x1000
	s_delay_alu instid0(VALU_DEP_3) | instskip(NEXT) | instid1(VALU_DEP_3)
	v_ashrrev_i32_e32 v4, 31, v10
	v_ashrrev_i32_e32 v5, 31, v6
	s_waitcnt lgkmcnt(0)
	s_add_u32 s12, s12, s16
	s_addc_u32 s13, s13, s17
	v_mul_lo_u32 v11, v4, s14
	v_mul_lo_u32 v12, s4, v5
	v_mad_u64_u32 v[4:5], null, s4, v6, v[2:3]
	v_mul_lo_u32 v3, s5, v6
	s_load_b64 s[4:5], s[12:13], 0x0
	v_mul_lo_u32 v13, v10, s15
	v_mad_u64_u32 v[6:7], null, v10, s14, v[0:1]
	v_lshlrev_b32_e32 v0, 4, v0
	s_delay_alu instid0(VALU_DEP_4) | instskip(NEXT) | instid1(VALU_DEP_2)
	v_add3_u32 v5, v3, v5, v12
	v_lshl_or_b32 v8, v8, 7, v0
	s_delay_alu instid0(VALU_DEP_4) | instskip(NEXT) | instid1(VALU_DEP_3)
	v_add3_u32 v7, v11, v7, v13
	v_lshlrev_b64 v[0:1], 4, v[4:5]
	v_mov_b32_e32 v4, 0
	v_mov_b32_e32 v5, 0
	v_lshlrev_b32_e32 v3, 4, v9
	v_lshlrev_b32_e32 v22, 4, v20
	v_add_nc_u32_e32 v25, 0x1000, v8
	v_add_co_u32 v0, vcc_lo, v0, s10
	s_delay_alu instid0(VALU_DEP_4)
	v_lshl_or_b32 v24, v2, 9, v3
	v_lshlrev_b64 v[2:3], 4, v[6:7]
	v_add_co_ci_u32_e32 v1, vcc_lo, s11, v1, vcc_lo
	v_mov_b32_e32 v7, v5
	v_dual_mov_b32 v9, v5 :: v_dual_mov_b32 v8, v4
	s_waitcnt lgkmcnt(0)
	s_delay_alu instid0(VALU_DEP_4) | instskip(SKIP_3) | instid1(VALU_DEP_4)
	v_add_co_u32 v2, vcc_lo, v2, s4
	v_add_co_ci_u32_e32 v3, vcc_lo, s5, v3, vcc_lo
	v_add_co_u32 v0, vcc_lo, v0, 8
	v_add_co_ci_u32_e32 v1, vcc_lo, 0, v1, vcc_lo
	v_add_co_u32 v2, vcc_lo, v2, 8
	s_delay_alu instid0(VALU_DEP_4)
	v_add_co_ci_u32_e32 v3, vcc_lo, 0, v3, vcc_lo
	v_dual_mov_b32 v6, v4 :: v_dual_mov_b32 v11, v5
	v_dual_mov_b32 v10, v4 :: v_dual_mov_b32 v13, v5
	;; [unrolled: 1-line block ×5, first 2 shown]
	v_mov_b32_e32 v16, v4
	s_mov_b64 s[4:5], 0
.LBB1623_2:                             ; =>This Inner Loop Header: Depth=1
	global_load_b128 v[26:29], v[0:1], off offset:-8
	global_load_b128 v[30:33], v[2:3], off offset:-8
	s_add_u32 s4, s4, 8
	v_add_co_u32 v0, vcc_lo, 0x80, v0
	s_addc_u32 s5, s5, 0
	v_add_co_ci_u32_e32 v1, vcc_lo, 0, v1, vcc_lo
	v_cmp_ge_u64_e64 s10, s[4:5], s[8:9]
	v_add_co_u32 v2, vcc_lo, 0x80, v2
	v_add_co_ci_u32_e32 v3, vcc_lo, 0, v3, vcc_lo
	s_waitcnt vmcnt(1)
	ds_store_b128 v24, v[26:29]
	s_waitcnt vmcnt(0)
	ds_store_b128 v25, v[30:33]
	s_waitcnt lgkmcnt(0)
	s_barrier
	buffer_gl0_inv
	ds_load_b128 v[26:29], v23
	ds_load_b128 v[30:33], v22
	ds_load_b128 v[34:37], v22 offset:256
	ds_load_b128 v[38:41], v23 offset:2048
	ds_load_b128 v[42:45], v23 offset:16
	ds_load_b128 v[46:49], v23 offset:2064
	ds_load_b128 v[50:53], v22 offset:512
	ds_load_b128 v[54:57], v22 offset:768
	ds_load_b128 v[58:61], v23 offset:32
	ds_load_b128 v[62:65], v23 offset:48
	ds_load_b128 v[66:69], v22 offset:1024
	ds_load_b128 v[70:73], v22 offset:1280
	ds_load_b128 v[74:77], v23 offset:2080
	ds_load_b128 v[78:81], v23 offset:2096
	ds_load_b128 v[82:85], v22 offset:1536
	s_and_b32 vcc_lo, exec_lo, s10
	s_waitcnt lgkmcnt(13)
	v_mul_f64 v[86:87], v[28:29], v[32:33]
	v_mul_f64 v[88:89], v[26:27], v[32:33]
	s_waitcnt lgkmcnt(12)
	v_mul_f64 v[90:91], v[28:29], v[36:37]
	v_mul_f64 v[92:93], v[26:27], v[36:37]
	;; [unrolled: 3-line block ×3, first 2 shown]
	v_mul_f64 v[96:97], v[40:41], v[36:37]
	v_mul_f64 v[36:37], v[38:39], v[36:37]
	s_waitcnt lgkmcnt(8)
	v_mul_f64 v[98:99], v[44:45], v[52:53]
	v_mul_f64 v[100:101], v[42:43], v[52:53]
	s_waitcnt lgkmcnt(7)
	v_mul_f64 v[102:103], v[44:45], v[56:57]
	v_mul_f64 v[104:105], v[42:43], v[56:57]
	;; [unrolled: 1-line block ×6, first 2 shown]
	s_waitcnt lgkmcnt(3)
	v_mul_f64 v[112:113], v[58:59], v[72:73]
	s_waitcnt lgkmcnt(2)
	v_mul_f64 v[114:115], v[76:77], v[68:69]
	v_mul_f64 v[116:117], v[76:77], v[72:73]
	v_fma_f64 v[86:87], v[26:27], v[30:31], -v[86:87]
	v_fma_f64 v[88:89], v[28:29], v[30:31], v[88:89]
	v_fma_f64 v[90:91], v[26:27], v[34:35], -v[90:91]
	v_fma_f64 v[92:93], v[28:29], v[34:35], v[92:93]
	;; [unrolled: 2-line block ×4, first 2 shown]
	v_mul_f64 v[36:37], v[60:61], v[68:69]
	v_mul_f64 v[40:41], v[58:59], v[68:69]
	;; [unrolled: 1-line block ×5, first 2 shown]
	v_fma_f64 v[98:99], v[42:43], v[50:51], -v[98:99]
	v_fma_f64 v[100:101], v[44:45], v[50:51], v[100:101]
	v_fma_f64 v[42:43], v[42:43], v[54:55], -v[102:103]
	v_fma_f64 v[44:45], v[44:45], v[54:55], v[104:105]
	;; [unrolled: 2-line block ×4, first 2 shown]
	ds_load_b128 v[26:29], v22 offset:1792
	ds_load_b128 v[30:33], v22 offset:2048
	s_waitcnt lgkmcnt(2)
	v_mul_f64 v[56:57], v[64:65], v[84:85]
	v_add_f64 v[16:17], v[16:17], v[86:87]
	v_add_f64 v[18:19], v[18:19], v[88:89]
	;; [unrolled: 1-line block ×8, first 2 shown]
	v_mul_f64 v[86:87], v[62:63], v[84:85]
	s_waitcnt lgkmcnt(1)
	v_mul_f64 v[88:89], v[64:65], v[28:29]
	v_mul_f64 v[90:91], v[62:63], v[28:29]
	;; [unrolled: 1-line block ×6, first 2 shown]
	v_fma_f64 v[104:105], v[58:59], v[66:67], -v[36:37]
	v_fma_f64 v[106:107], v[60:61], v[66:67], v[40:41]
	v_fma_f64 v[58:59], v[58:59], v[70:71], -v[96:97]
	v_fma_f64 v[60:61], v[60:61], v[70:71], v[112:113]
	;; [unrolled: 2-line block ×4, first 2 shown]
	ds_load_b128 v[4:7], v22 offset:2304
	ds_load_b128 v[8:11], v23 offset:64
	v_fma_f64 v[56:57], v[62:63], v[82:83], -v[56:57]
	v_add_f64 v[72:73], v[16:17], v[98:99]
	v_add_f64 v[74:75], v[18:19], v[100:101]
	;; [unrolled: 1-line block ×8, first 2 shown]
	ds_load_b128 v[12:15], v23 offset:2112
	ds_load_b128 v[16:19], v23 offset:80
	;; [unrolled: 1-line block ×4, first 2 shown]
	s_waitcnt lgkmcnt(4)
	v_mul_f64 v[54:55], v[10:11], v[32:33]
	v_mul_f64 v[76:77], v[8:9], v[32:33]
	;; [unrolled: 1-line block ×4, first 2 shown]
	v_fma_f64 v[86:87], v[64:65], v[82:83], v[86:87]
	v_fma_f64 v[62:63], v[62:63], v[26:27], -v[88:89]
	v_fma_f64 v[64:65], v[64:65], v[26:27], v[90:91]
	v_fma_f64 v[88:89], v[78:79], v[82:83], -v[92:93]
	;; [unrolled: 2-line block ×3, first 2 shown]
	v_fma_f64 v[80:81], v[80:81], v[26:27], v[28:29]
	s_waitcnt lgkmcnt(3)
	v_mul_f64 v[102:103], v[14:15], v[32:33]
	v_mul_f64 v[32:33], v[12:13], v[32:33]
	;; [unrolled: 1-line block ×4, first 2 shown]
	s_waitcnt lgkmcnt(0)
	v_mul_f64 v[90:91], v[18:19], v[40:41]
	v_mul_f64 v[92:93], v[16:17], v[40:41]
	v_add_f64 v[72:73], v[72:73], v[104:105]
	v_add_f64 v[74:75], v[74:75], v[106:107]
	;; [unrolled: 1-line block ×8, first 2 shown]
	ds_load_b128 v[26:29], v22 offset:2816
	ds_load_b128 v[42:45], v22 offset:3072
	;; [unrolled: 1-line block ×4, first 2 shown]
	v_mul_f64 v[104:105], v[36:37], v[40:41]
	v_mul_f64 v[40:41], v[34:35], v[40:41]
	v_fma_f64 v[54:55], v[8:9], v[30:31], -v[54:55]
	v_fma_f64 v[76:77], v[10:11], v[30:31], v[76:77]
	v_fma_f64 v[98:99], v[8:9], v[4:5], -v[98:99]
	v_fma_f64 v[100:101], v[10:11], v[4:5], v[100:101]
	s_waitcnt lgkmcnt(3)
	v_mul_f64 v[94:95], v[18:19], v[28:29]
	v_mul_f64 v[96:97], v[16:17], v[28:29]
	v_mul_f64 v[106:107], v[36:37], v[28:29]
	v_mul_f64 v[110:111], v[34:35], v[28:29]
	v_fma_f64 v[102:103], v[12:13], v[30:31], -v[102:103]
	v_fma_f64 v[32:33], v[14:15], v[30:31], v[32:33]
	v_fma_f64 v[108:109], v[12:13], v[4:5], -v[108:109]
	v_fma_f64 v[112:113], v[14:15], v[4:5], v[6:7]
	ds_load_b128 v[4:7], v23 offset:2144
	ds_load_b128 v[8:11], v23 offset:112
	;; [unrolled: 1-line block ×4, first 2 shown]
	v_add_f64 v[56:57], v[72:73], v[56:57]
	v_add_f64 v[72:73], v[74:75], v[86:87]
	;; [unrolled: 1-line block ×8, first 2 shown]
	s_waitcnt lgkmcnt(4)
	v_mul_f64 v[70:71], v[52:53], v[44:45]
	v_mul_f64 v[74:75], v[50:51], v[44:45]
	;; [unrolled: 1-line block ×4, first 2 shown]
	s_waitcnt lgkmcnt(3)
	v_mul_f64 v[82:83], v[6:7], v[44:45]
	v_mul_f64 v[44:45], v[4:5], v[44:45]
	v_mul_f64 v[84:85], v[6:7], v[48:49]
	v_mul_f64 v[48:49], v[4:5], v[48:49]
	v_fma_f64 v[86:87], v[16:17], v[38:39], -v[90:91]
	v_fma_f64 v[88:89], v[18:19], v[38:39], v[92:93]
	v_fma_f64 v[90:91], v[16:17], v[26:27], -v[94:95]
	v_fma_f64 v[92:93], v[18:19], v[26:27], v[96:97]
	;; [unrolled: 2-line block ×4, first 2 shown]
	ds_load_b128 v[16:19], v22 offset:3840
	s_waitcnt lgkmcnt(0)
	s_barrier
	buffer_gl0_inv
	v_add_f64 v[36:37], v[56:57], v[54:55]
	v_add_f64 v[40:41], v[72:73], v[76:77]
	;; [unrolled: 1-line block ×8, first 2 shown]
	v_mul_f64 v[64:65], v[10:11], v[30:31]
	v_mul_f64 v[66:67], v[8:9], v[30:31]
	;; [unrolled: 1-line block ×4, first 2 shown]
	v_fma_f64 v[70:71], v[50:51], v[42:43], -v[70:71]
	v_mul_f64 v[68:69], v[10:11], v[18:19]
	v_mul_f64 v[72:73], v[8:9], v[18:19]
	;; [unrolled: 1-line block ×4, first 2 shown]
	v_fma_f64 v[74:75], v[52:53], v[42:43], v[74:75]
	v_fma_f64 v[50:51], v[50:51], v[46:47], -v[78:79]
	v_fma_f64 v[52:53], v[52:53], v[46:47], v[80:81]
	v_fma_f64 v[78:79], v[4:5], v[42:43], -v[82:83]
	;; [unrolled: 2-line block ×3, first 2 shown]
	v_fma_f64 v[6:7], v[6:7], v[46:47], v[48:49]
	v_add_f64 v[36:37], v[36:37], v[86:87]
	v_add_f64 v[40:41], v[40:41], v[88:89]
	;; [unrolled: 1-line block ×8, first 2 shown]
	v_fma_f64 v[38:39], v[8:9], v[28:29], -v[64:65]
	v_fma_f64 v[54:55], v[10:11], v[28:29], v[66:67]
	v_fma_f64 v[56:57], v[12:13], v[28:29], -v[76:77]
	v_fma_f64 v[28:29], v[14:15], v[28:29], v[30:31]
	;; [unrolled: 2-line block ×4, first 2 shown]
	v_add_f64 v[12:13], v[36:37], v[70:71]
	v_add_f64 v[14:15], v[40:41], v[74:75]
	;; [unrolled: 1-line block ×16, first 2 shown]
	s_cbranch_vccz .LBB1623_2
.LBB1623_3:
	v_add_nc_u32_e32 v21, s19, v21
	s_load_b32 s4, s[0:1], 0x0
	s_delay_alu instid0(VALU_DEP_1) | instskip(SKIP_2) | instid1(VALU_DEP_3)
	v_ashrrev_i32_e32 v0, 31, v21
	v_mul_lo_u32 v3, v21, s7
	v_mad_u64_u32 v[1:2], null, v21, s6, 0
	v_mul_lo_u32 v0, v0, s6
	s_delay_alu instid0(VALU_DEP_1) | instskip(SKIP_3) | instid1(VALU_DEP_3)
	v_add3_u32 v2, v2, v3, v0
	v_add_nc_u32_e32 v0, s18, v20
	s_waitcnt lgkmcnt(0)
	v_cmp_gt_i32_e32 vcc_lo, s4, v21
	v_lshlrev_b64 v[1:2], 4, v[1:2]
	s_delay_alu instid0(VALU_DEP_3) | instskip(NEXT) | instid1(VALU_DEP_1)
	v_cmp_le_i32_e64 s0, v0, v21
	s_and_b32 s0, vcc_lo, s0
	s_delay_alu instid0(VALU_DEP_2) | instskip(NEXT) | instid1(VALU_DEP_1)
	v_add_co_u32 v20, s1, s2, v1
	v_add_co_ci_u32_e64 v22, s1, s3, v2, s1
	s_and_saveexec_b32 s1, s0
	s_cbranch_execz .LBB1623_5
; %bb.4:
	v_ashrrev_i32_e32 v1, 31, v0
	s_delay_alu instid0(VALU_DEP_1) | instskip(NEXT) | instid1(VALU_DEP_1)
	v_lshlrev_b64 v[1:2], 4, v[0:1]
	v_add_co_u32 v1, s0, v20, v1
	s_delay_alu instid0(VALU_DEP_1)
	v_add_co_ci_u32_e64 v2, s0, v22, v2, s0
	global_load_b128 v[23:26], v[1:2], off
	s_waitcnt vmcnt(0)
	v_add_f64 v[16:17], v[16:17], v[23:24]
	v_add_f64 v[18:19], v[18:19], v[25:26]
	global_store_b128 v[1:2], v[16:19], off
.LBB1623_5:
	s_or_b32 exec_lo, exec_lo, s1
	v_add_nc_u32_e32 v2, 16, v0
	s_delay_alu instid0(VALU_DEP_1) | instskip(NEXT) | instid1(VALU_DEP_1)
	v_cmp_le_i32_e64 s0, v2, v21
	s_and_b32 s1, vcc_lo, s0
	s_delay_alu instid0(SALU_CYCLE_1)
	s_and_saveexec_b32 s0, s1
	s_cbranch_execz .LBB1623_7
; %bb.6:
	v_ashrrev_i32_e32 v3, 31, v2
	s_delay_alu instid0(VALU_DEP_1) | instskip(NEXT) | instid1(VALU_DEP_1)
	v_lshlrev_b64 v[16:17], 4, v[2:3]
	v_add_co_u32 v23, vcc_lo, v20, v16
	s_delay_alu instid0(VALU_DEP_2)
	v_add_co_ci_u32_e32 v24, vcc_lo, v22, v17, vcc_lo
	global_load_b128 v[16:19], v[23:24], off
	s_waitcnt vmcnt(0)
	v_add_f64 v[14:15], v[14:15], v[16:17]
	v_add_f64 v[16:17], v[12:13], v[18:19]
	global_store_b128 v[23:24], v[14:17], off
.LBB1623_7:
	s_or_b32 exec_lo, exec_lo, s0
	v_add_nc_u32_e32 v3, 16, v21
	s_delay_alu instid0(VALU_DEP_1) | instskip(SKIP_3) | instid1(VALU_DEP_4)
	v_ashrrev_i32_e32 v1, 31, v3
	v_mul_lo_u32 v14, v3, s7
	v_mad_u64_u32 v[12:13], null, v3, s6, 0
	v_cmp_gt_i32_e32 vcc_lo, s4, v3
	v_mul_lo_u32 v1, v1, s6
	v_cmp_le_i32_e64 s0, v0, v3
	s_delay_alu instid0(VALU_DEP_1) | instskip(NEXT) | instid1(VALU_DEP_2)
	s_and_b32 s0, vcc_lo, s0
	v_add3_u32 v13, v13, v14, v1
	s_delay_alu instid0(VALU_DEP_1) | instskip(NEXT) | instid1(VALU_DEP_1)
	v_lshlrev_b64 v[12:13], 4, v[12:13]
	v_add_co_u32 v12, s1, s2, v12
	s_delay_alu instid0(VALU_DEP_1)
	v_add_co_ci_u32_e64 v13, s1, s3, v13, s1
	s_and_saveexec_b32 s1, s0
	s_cbranch_execz .LBB1623_9
; %bb.8:
	v_ashrrev_i32_e32 v1, 31, v0
	s_delay_alu instid0(VALU_DEP_1) | instskip(NEXT) | instid1(VALU_DEP_1)
	v_lshlrev_b64 v[0:1], 4, v[0:1]
	v_add_co_u32 v0, s0, v12, v0
	s_delay_alu instid0(VALU_DEP_1)
	v_add_co_ci_u32_e64 v1, s0, v13, v1, s0
	global_load_b128 v[14:17], v[0:1], off
	s_waitcnt vmcnt(0)
	v_add_f64 v[14:15], v[10:11], v[14:15]
	v_add_f64 v[16:17], v[8:9], v[16:17]
	global_store_b128 v[0:1], v[14:17], off
.LBB1623_9:
	s_or_b32 exec_lo, exec_lo, s1
	v_cmp_le_i32_e64 s0, v2, v3
	s_delay_alu instid0(VALU_DEP_1) | instskip(NEXT) | instid1(SALU_CYCLE_1)
	s_and_b32 s0, vcc_lo, s0
	s_and_saveexec_b32 s1, s0
	s_cbranch_execz .LBB1623_11
; %bb.10:
	v_ashrrev_i32_e32 v3, 31, v2
	s_delay_alu instid0(VALU_DEP_1) | instskip(NEXT) | instid1(VALU_DEP_1)
	v_lshlrev_b64 v[0:1], 4, v[2:3]
	v_add_co_u32 v8, vcc_lo, v12, v0
	s_delay_alu instid0(VALU_DEP_2)
	v_add_co_ci_u32_e32 v9, vcc_lo, v13, v1, vcc_lo
	global_load_b128 v[0:3], v[8:9], off
	s_waitcnt vmcnt(0)
	v_add_f64 v[0:1], v[6:7], v[0:1]
	v_add_f64 v[2:3], v[4:5], v[2:3]
	global_store_b128 v[8:9], v[0:3], off
.LBB1623_11:
	s_nop 0
	s_sendmsg sendmsg(MSG_DEALLOC_VGPRS)
	s_endpgm
	.section	.rodata,"a",@progbits
	.p2align	6, 0x0
	.amdhsa_kernel _ZL37rocblas_syrkx_herkx_restricted_kernelIl19rocblas_complex_numIdELi16ELi32ELi8ELi1ELi1ELb0ELc67ELc85EKPKS1_KPS1_EviT_PT9_S7_lS9_S7_lPT10_S7_li
		.amdhsa_group_segment_fixed_size 8192
		.amdhsa_private_segment_fixed_size 0
		.amdhsa_kernarg_size 92
		.amdhsa_user_sgpr_count 13
		.amdhsa_user_sgpr_dispatch_ptr 0
		.amdhsa_user_sgpr_queue_ptr 0
		.amdhsa_user_sgpr_kernarg_segment_ptr 1
		.amdhsa_user_sgpr_dispatch_id 0
		.amdhsa_user_sgpr_private_segment_size 0
		.amdhsa_wavefront_size32 1
		.amdhsa_uses_dynamic_stack 0
		.amdhsa_enable_private_segment 0
		.amdhsa_system_sgpr_workgroup_id_x 1
		.amdhsa_system_sgpr_workgroup_id_y 1
		.amdhsa_system_sgpr_workgroup_id_z 1
		.amdhsa_system_sgpr_workgroup_info 0
		.amdhsa_system_vgpr_workitem_id 1
		.amdhsa_next_free_vgpr 118
		.amdhsa_next_free_sgpr 20
		.amdhsa_reserve_vcc 1
		.amdhsa_float_round_mode_32 0
		.amdhsa_float_round_mode_16_64 0
		.amdhsa_float_denorm_mode_32 3
		.amdhsa_float_denorm_mode_16_64 3
		.amdhsa_dx10_clamp 1
		.amdhsa_ieee_mode 1
		.amdhsa_fp16_overflow 0
		.amdhsa_workgroup_processor_mode 1
		.amdhsa_memory_ordered 1
		.amdhsa_forward_progress 0
		.amdhsa_shared_vgpr_count 0
		.amdhsa_exception_fp_ieee_invalid_op 0
		.amdhsa_exception_fp_denorm_src 0
		.amdhsa_exception_fp_ieee_div_zero 0
		.amdhsa_exception_fp_ieee_overflow 0
		.amdhsa_exception_fp_ieee_underflow 0
		.amdhsa_exception_fp_ieee_inexact 0
		.amdhsa_exception_int_div_zero 0
	.end_amdhsa_kernel
	.section	.text._ZL37rocblas_syrkx_herkx_restricted_kernelIl19rocblas_complex_numIdELi16ELi32ELi8ELi1ELi1ELb0ELc67ELc85EKPKS1_KPS1_EviT_PT9_S7_lS9_S7_lPT10_S7_li,"axG",@progbits,_ZL37rocblas_syrkx_herkx_restricted_kernelIl19rocblas_complex_numIdELi16ELi32ELi8ELi1ELi1ELb0ELc67ELc85EKPKS1_KPS1_EviT_PT9_S7_lS9_S7_lPT10_S7_li,comdat
.Lfunc_end1623:
	.size	_ZL37rocblas_syrkx_herkx_restricted_kernelIl19rocblas_complex_numIdELi16ELi32ELi8ELi1ELi1ELb0ELc67ELc85EKPKS1_KPS1_EviT_PT9_S7_lS9_S7_lPT10_S7_li, .Lfunc_end1623-_ZL37rocblas_syrkx_herkx_restricted_kernelIl19rocblas_complex_numIdELi16ELi32ELi8ELi1ELi1ELb0ELc67ELc85EKPKS1_KPS1_EviT_PT9_S7_lS9_S7_lPT10_S7_li
                                        ; -- End function
	.section	.AMDGPU.csdata,"",@progbits
; Kernel info:
; codeLenInByte = 3108
; NumSgprs: 22
; NumVgprs: 118
; ScratchSize: 0
; MemoryBound: 0
; FloatMode: 240
; IeeeMode: 1
; LDSByteSize: 8192 bytes/workgroup (compile time only)
; SGPRBlocks: 2
; VGPRBlocks: 14
; NumSGPRsForWavesPerEU: 22
; NumVGPRsForWavesPerEU: 118
; Occupancy: 12
; WaveLimiterHint : 1
; COMPUTE_PGM_RSRC2:SCRATCH_EN: 0
; COMPUTE_PGM_RSRC2:USER_SGPR: 13
; COMPUTE_PGM_RSRC2:TRAP_HANDLER: 0
; COMPUTE_PGM_RSRC2:TGID_X_EN: 1
; COMPUTE_PGM_RSRC2:TGID_Y_EN: 1
; COMPUTE_PGM_RSRC2:TGID_Z_EN: 1
; COMPUTE_PGM_RSRC2:TIDIG_COMP_CNT: 1
	.section	.text._ZL37rocblas_syrkx_herkx_restricted_kernelIl19rocblas_complex_numIdELi16ELi32ELi8ELi1ELi1ELb0ELc78ELc85EKPKS1_KPS1_EviT_PT9_S7_lS9_S7_lPT10_S7_li,"axG",@progbits,_ZL37rocblas_syrkx_herkx_restricted_kernelIl19rocblas_complex_numIdELi16ELi32ELi8ELi1ELi1ELb0ELc78ELc85EKPKS1_KPS1_EviT_PT9_S7_lS9_S7_lPT10_S7_li,comdat
	.globl	_ZL37rocblas_syrkx_herkx_restricted_kernelIl19rocblas_complex_numIdELi16ELi32ELi8ELi1ELi1ELb0ELc78ELc85EKPKS1_KPS1_EviT_PT9_S7_lS9_S7_lPT10_S7_li ; -- Begin function _ZL37rocblas_syrkx_herkx_restricted_kernelIl19rocblas_complex_numIdELi16ELi32ELi8ELi1ELi1ELb0ELc78ELc85EKPKS1_KPS1_EviT_PT9_S7_lS9_S7_lPT10_S7_li
	.p2align	8
	.type	_ZL37rocblas_syrkx_herkx_restricted_kernelIl19rocblas_complex_numIdELi16ELi32ELi8ELi1ELi1ELb0ELc78ELc85EKPKS1_KPS1_EviT_PT9_S7_lS9_S7_lPT10_S7_li,@function
_ZL37rocblas_syrkx_herkx_restricted_kernelIl19rocblas_complex_numIdELi16ELi32ELi8ELi1ELi1ELb0ELc78ELc85EKPKS1_KPS1_EviT_PT9_S7_lS9_S7_lPT10_S7_li: ; @_ZL37rocblas_syrkx_herkx_restricted_kernelIl19rocblas_complex_numIdELi16ELi32ELi8ELi1ELi1ELb0ELc78ELc85EKPKS1_KPS1_EviT_PT9_S7_lS9_S7_lPT10_S7_li
; %bb.0:
	s_clause 0x1
	s_load_b128 s[4:7], s[0:1], 0x40
	s_load_b128 s[8:11], s[0:1], 0x8
	s_mov_b32 s2, s15
	s_mov_b32 s3, 0
	v_mov_b32_e32 v16, 0
	s_lshl_b64 s[16:17], s[2:3], 3
	v_dual_mov_b32 v17, 0 :: v_dual_and_b32 v20, 0x3ff, v0
	v_bfe_u32 v21, v0, 10, 10
	s_delay_alu instid0(VALU_DEP_3) | instskip(NEXT) | instid1(VALU_DEP_3)
	v_mov_b32_e32 v14, v16
	v_dual_mov_b32 v12, v16 :: v_dual_mov_b32 v13, v17
	v_dual_mov_b32 v19, v17 :: v_dual_mov_b32 v18, v16
	;; [unrolled: 1-line block ×5, first 2 shown]
	v_mov_b32_e32 v7, v17
	s_waitcnt lgkmcnt(0)
	s_add_u32 s2, s4, s16
	s_addc_u32 s3, s5, s17
	v_cmp_lt_i64_e64 s4, s[8:9], 1
	s_load_b64 s[2:3], s[2:3], 0x0
	v_dual_mov_b32 v4, v16 :: v_dual_mov_b32 v5, v17
	s_lshl_b32 s18, s13, 5
	s_lshl_b32 s19, s14, 5
	s_delay_alu instid0(VALU_DEP_2)
	s_and_b32 vcc_lo, exec_lo, s4
	s_cbranch_vccnz .LBB1624_3
; %bb.1:
	v_lshl_add_u32 v1, v21, 4, v20
	s_clause 0x1
	s_load_b64 s[4:5], s[0:1], 0x18
	s_load_b128 s[12:15], s[0:1], 0x28
	v_and_b32_e32 v6, 7, v20
	s_add_u32 s10, s10, s16
	s_addc_u32 s11, s11, s17
	v_and_b32_e32 v14, 31, v1
	v_lshrrev_b32_e32 v15, 3, v1
	v_lshrrev_b32_e32 v16, 5, v1
	s_load_b64 s[10:11], s[10:11], 0x0
	v_lshl_add_u32 v23, v21, 7, 0x1000
	v_add_nc_u32_e32 v0, s18, v14
	v_add_nc_u32_e32 v2, s19, v15
	s_delay_alu instid0(VALU_DEP_2) | instskip(NEXT) | instid1(VALU_DEP_2)
	v_ashrrev_i32_e32 v1, 31, v0
	v_ashrrev_i32_e32 v3, 31, v2
	s_waitcnt lgkmcnt(0)
	s_delay_alu instid0(VALU_DEP_2) | instskip(NEXT) | instid1(VALU_DEP_2)
	v_mad_u64_u32 v[10:11], null, v16, s4, v[0:1]
	v_mad_u64_u32 v[0:1], null, v6, s14, v[2:3]
	s_add_u32 s12, s12, s16
	s_addc_u32 s13, s13, s17
	s_load_b64 s[12:13], s[12:13], 0x0
	s_delay_alu instid0(VALU_DEP_2) | instskip(NEXT) | instid1(VALU_DEP_1)
	v_mov_b32_e32 v2, v11
	v_mad_u64_u32 v[3:4], null, v16, s5, v[2:3]
	v_mov_b32_e32 v4, 0
	v_mov_b32_e32 v5, 0
	s_lshl_b64 s[4:5], s[4:5], 7
	s_delay_alu instid0(VALU_DEP_1)
	v_mov_b32_e32 v9, v5
	v_mad_u64_u32 v[12:13], null, v6, s15, v[1:2]
	v_lshlrev_b32_e32 v13, 4, v14
	v_lshlrev_b32_e32 v1, 4, v6
	v_dual_mov_b32 v11, v3 :: v_dual_lshlrev_b32 v22, 4, v20
	v_mov_b32_e32 v7, v5
	s_delay_alu instid0(VALU_DEP_4) | instskip(NEXT) | instid1(VALU_DEP_4)
	v_lshl_or_b32 v24, v16, 9, v13
	v_lshl_or_b32 v14, v15, 7, v1
	v_mov_b32_e32 v1, v12
	v_lshlrev_b64 v[2:3], 4, v[10:11]
	v_dual_mov_b32 v6, v4 :: v_dual_mov_b32 v11, v5
	v_mov_b32_e32 v10, v4
	s_delay_alu instid0(VALU_DEP_4) | instskip(SKIP_4) | instid1(VALU_DEP_4)
	v_lshlrev_b64 v[0:1], 4, v[0:1]
	v_dual_mov_b32 v8, v4 :: v_dual_add_nc_u32 v25, 0x1000, v14
	v_add_co_u32 v2, vcc_lo, v2, s10
	v_add_co_ci_u32_e32 v3, vcc_lo, s11, v3, vcc_lo
	s_waitcnt lgkmcnt(0)
	v_add_co_u32 v12, vcc_lo, v0, s12
	v_add_co_ci_u32_e32 v13, vcc_lo, s13, v1, vcc_lo
	v_add_co_u32 v0, vcc_lo, v2, 8
	v_add_co_ci_u32_e32 v1, vcc_lo, 0, v3, vcc_lo
	s_delay_alu instid0(VALU_DEP_4) | instskip(NEXT) | instid1(VALU_DEP_4)
	v_add_co_u32 v2, vcc_lo, v12, 8
	v_add_co_ci_u32_e32 v3, vcc_lo, 0, v13, vcc_lo
	v_dual_mov_b32 v13, v5 :: v_dual_mov_b32 v12, v4
	v_dual_mov_b32 v15, v5 :: v_dual_mov_b32 v14, v4
	;; [unrolled: 1-line block ×4, first 2 shown]
	s_lshl_b64 s[10:11], s[14:15], 7
	s_mov_b64 s[12:13], 0
.LBB1624_2:                             ; =>This Inner Loop Header: Depth=1
	global_load_b128 v[26:29], v[0:1], off offset:-8
	global_load_b128 v[30:33], v[2:3], off offset:-8
	s_add_u32 s12, s12, 8
	v_add_co_u32 v0, vcc_lo, v0, s4
	s_addc_u32 s13, s13, 0
	v_add_co_ci_u32_e32 v1, vcc_lo, s5, v1, vcc_lo
	v_cmp_ge_u64_e64 s14, s[12:13], s[8:9]
	v_add_co_u32 v2, vcc_lo, v2, s10
	v_add_co_ci_u32_e32 v3, vcc_lo, s11, v3, vcc_lo
	s_waitcnt vmcnt(1)
	ds_store_b128 v24, v[26:29]
	s_waitcnt vmcnt(0)
	ds_store_b128 v25, v[30:33]
	s_waitcnt lgkmcnt(0)
	s_barrier
	buffer_gl0_inv
	ds_load_b128 v[26:29], v23
	ds_load_b128 v[30:33], v22
	ds_load_b128 v[34:37], v22 offset:256
	ds_load_b128 v[38:41], v23 offset:2048
	;; [unrolled: 1-line block ×13, first 2 shown]
	s_and_b32 vcc_lo, exec_lo, s14
	s_waitcnt lgkmcnt(13)
	v_mul_f64 v[86:87], v[28:29], v[32:33]
	v_mul_f64 v[88:89], v[26:27], v[32:33]
	s_waitcnt lgkmcnt(12)
	v_mul_f64 v[90:91], v[28:29], v[36:37]
	v_mul_f64 v[92:93], v[26:27], v[36:37]
	;; [unrolled: 3-line block ×3, first 2 shown]
	v_mul_f64 v[96:97], v[40:41], v[36:37]
	v_mul_f64 v[36:37], v[38:39], v[36:37]
	s_waitcnt lgkmcnt(8)
	v_mul_f64 v[98:99], v[44:45], v[52:53]
	v_mul_f64 v[100:101], v[42:43], v[52:53]
	s_waitcnt lgkmcnt(7)
	v_mul_f64 v[102:103], v[44:45], v[56:57]
	v_mul_f64 v[104:105], v[42:43], v[56:57]
	v_mul_f64 v[106:107], v[48:49], v[52:53]
	v_mul_f64 v[52:53], v[46:47], v[52:53]
	v_mul_f64 v[108:109], v[48:49], v[56:57]
	v_mul_f64 v[56:57], v[46:47], v[56:57]
	s_waitcnt lgkmcnt(3)
	v_mul_f64 v[112:113], v[58:59], v[72:73]
	s_waitcnt lgkmcnt(2)
	v_mul_f64 v[114:115], v[76:77], v[68:69]
	v_mul_f64 v[116:117], v[76:77], v[72:73]
	v_fma_f64 v[86:87], v[26:27], v[30:31], -v[86:87]
	v_fma_f64 v[88:89], v[28:29], v[30:31], v[88:89]
	v_fma_f64 v[90:91], v[26:27], v[34:35], -v[90:91]
	v_fma_f64 v[92:93], v[28:29], v[34:35], v[92:93]
	;; [unrolled: 2-line block ×4, first 2 shown]
	v_mul_f64 v[36:37], v[60:61], v[68:69]
	v_mul_f64 v[40:41], v[58:59], v[68:69]
	;; [unrolled: 1-line block ×5, first 2 shown]
	v_fma_f64 v[98:99], v[42:43], v[50:51], -v[98:99]
	v_fma_f64 v[100:101], v[44:45], v[50:51], v[100:101]
	v_fma_f64 v[42:43], v[42:43], v[54:55], -v[102:103]
	v_fma_f64 v[44:45], v[44:45], v[54:55], v[104:105]
	;; [unrolled: 2-line block ×4, first 2 shown]
	ds_load_b128 v[26:29], v22 offset:1792
	ds_load_b128 v[30:33], v22 offset:2048
	s_waitcnt lgkmcnt(2)
	v_mul_f64 v[56:57], v[64:65], v[84:85]
	v_add_f64 v[16:17], v[16:17], v[86:87]
	v_add_f64 v[18:19], v[18:19], v[88:89]
	;; [unrolled: 1-line block ×8, first 2 shown]
	v_mul_f64 v[86:87], v[62:63], v[84:85]
	s_waitcnt lgkmcnt(1)
	v_mul_f64 v[88:89], v[64:65], v[28:29]
	v_mul_f64 v[90:91], v[62:63], v[28:29]
	v_mul_f64 v[92:93], v[80:81], v[84:85]
	v_mul_f64 v[84:85], v[78:79], v[84:85]
	v_mul_f64 v[94:95], v[80:81], v[28:29]
	v_mul_f64 v[28:29], v[78:79], v[28:29]
	v_fma_f64 v[104:105], v[58:59], v[66:67], -v[36:37]
	v_fma_f64 v[106:107], v[60:61], v[66:67], v[40:41]
	v_fma_f64 v[58:59], v[58:59], v[70:71], -v[96:97]
	v_fma_f64 v[60:61], v[60:61], v[70:71], v[112:113]
	;; [unrolled: 2-line block ×4, first 2 shown]
	ds_load_b128 v[4:7], v22 offset:2304
	ds_load_b128 v[8:11], v23 offset:64
	v_fma_f64 v[56:57], v[62:63], v[82:83], -v[56:57]
	v_add_f64 v[72:73], v[16:17], v[98:99]
	v_add_f64 v[74:75], v[18:19], v[100:101]
	;; [unrolled: 1-line block ×8, first 2 shown]
	ds_load_b128 v[12:15], v23 offset:2112
	ds_load_b128 v[16:19], v23 offset:80
	;; [unrolled: 1-line block ×4, first 2 shown]
	s_waitcnt lgkmcnt(4)
	v_mul_f64 v[54:55], v[10:11], v[32:33]
	v_mul_f64 v[76:77], v[8:9], v[32:33]
	;; [unrolled: 1-line block ×4, first 2 shown]
	v_fma_f64 v[86:87], v[64:65], v[82:83], v[86:87]
	v_fma_f64 v[62:63], v[62:63], v[26:27], -v[88:89]
	v_fma_f64 v[64:65], v[64:65], v[26:27], v[90:91]
	v_fma_f64 v[88:89], v[78:79], v[82:83], -v[92:93]
	;; [unrolled: 2-line block ×3, first 2 shown]
	v_fma_f64 v[80:81], v[80:81], v[26:27], v[28:29]
	s_waitcnt lgkmcnt(3)
	v_mul_f64 v[102:103], v[14:15], v[32:33]
	v_mul_f64 v[32:33], v[12:13], v[32:33]
	;; [unrolled: 1-line block ×4, first 2 shown]
	s_waitcnt lgkmcnt(0)
	v_mul_f64 v[90:91], v[18:19], v[40:41]
	v_mul_f64 v[92:93], v[16:17], v[40:41]
	v_add_f64 v[72:73], v[72:73], v[104:105]
	v_add_f64 v[74:75], v[74:75], v[106:107]
	;; [unrolled: 1-line block ×8, first 2 shown]
	ds_load_b128 v[26:29], v22 offset:2816
	ds_load_b128 v[42:45], v22 offset:3072
	;; [unrolled: 1-line block ×4, first 2 shown]
	v_mul_f64 v[104:105], v[36:37], v[40:41]
	v_mul_f64 v[40:41], v[34:35], v[40:41]
	v_fma_f64 v[54:55], v[8:9], v[30:31], -v[54:55]
	v_fma_f64 v[76:77], v[10:11], v[30:31], v[76:77]
	v_fma_f64 v[98:99], v[8:9], v[4:5], -v[98:99]
	v_fma_f64 v[100:101], v[10:11], v[4:5], v[100:101]
	s_waitcnt lgkmcnt(3)
	v_mul_f64 v[94:95], v[18:19], v[28:29]
	v_mul_f64 v[96:97], v[16:17], v[28:29]
	v_mul_f64 v[106:107], v[36:37], v[28:29]
	v_mul_f64 v[110:111], v[34:35], v[28:29]
	v_fma_f64 v[102:103], v[12:13], v[30:31], -v[102:103]
	v_fma_f64 v[32:33], v[14:15], v[30:31], v[32:33]
	v_fma_f64 v[108:109], v[12:13], v[4:5], -v[108:109]
	v_fma_f64 v[112:113], v[14:15], v[4:5], v[6:7]
	ds_load_b128 v[4:7], v23 offset:2144
	ds_load_b128 v[8:11], v23 offset:112
	;; [unrolled: 1-line block ×4, first 2 shown]
	v_add_f64 v[56:57], v[72:73], v[56:57]
	v_add_f64 v[72:73], v[74:75], v[86:87]
	;; [unrolled: 1-line block ×8, first 2 shown]
	s_waitcnt lgkmcnt(4)
	v_mul_f64 v[70:71], v[52:53], v[44:45]
	v_mul_f64 v[74:75], v[50:51], v[44:45]
	;; [unrolled: 1-line block ×4, first 2 shown]
	s_waitcnt lgkmcnt(3)
	v_mul_f64 v[82:83], v[6:7], v[44:45]
	v_mul_f64 v[44:45], v[4:5], v[44:45]
	;; [unrolled: 1-line block ×4, first 2 shown]
	v_fma_f64 v[86:87], v[16:17], v[38:39], -v[90:91]
	v_fma_f64 v[88:89], v[18:19], v[38:39], v[92:93]
	v_fma_f64 v[90:91], v[16:17], v[26:27], -v[94:95]
	v_fma_f64 v[92:93], v[18:19], v[26:27], v[96:97]
	;; [unrolled: 2-line block ×4, first 2 shown]
	ds_load_b128 v[16:19], v22 offset:3840
	s_waitcnt lgkmcnt(0)
	s_barrier
	buffer_gl0_inv
	v_add_f64 v[36:37], v[56:57], v[54:55]
	v_add_f64 v[40:41], v[72:73], v[76:77]
	;; [unrolled: 1-line block ×8, first 2 shown]
	v_mul_f64 v[64:65], v[10:11], v[30:31]
	v_mul_f64 v[66:67], v[8:9], v[30:31]
	v_mul_f64 v[76:77], v[14:15], v[30:31]
	v_mul_f64 v[30:31], v[12:13], v[30:31]
	v_fma_f64 v[70:71], v[50:51], v[42:43], -v[70:71]
	v_mul_f64 v[68:69], v[10:11], v[18:19]
	v_mul_f64 v[72:73], v[8:9], v[18:19]
	;; [unrolled: 1-line block ×4, first 2 shown]
	v_fma_f64 v[74:75], v[52:53], v[42:43], v[74:75]
	v_fma_f64 v[50:51], v[50:51], v[46:47], -v[78:79]
	v_fma_f64 v[52:53], v[52:53], v[46:47], v[80:81]
	v_fma_f64 v[78:79], v[4:5], v[42:43], -v[82:83]
	;; [unrolled: 2-line block ×3, first 2 shown]
	v_fma_f64 v[6:7], v[6:7], v[46:47], v[48:49]
	v_add_f64 v[36:37], v[36:37], v[86:87]
	v_add_f64 v[40:41], v[40:41], v[88:89]
	;; [unrolled: 1-line block ×8, first 2 shown]
	v_fma_f64 v[38:39], v[8:9], v[28:29], -v[64:65]
	v_fma_f64 v[54:55], v[10:11], v[28:29], v[66:67]
	v_fma_f64 v[56:57], v[12:13], v[28:29], -v[76:77]
	v_fma_f64 v[28:29], v[14:15], v[28:29], v[30:31]
	v_fma_f64 v[8:9], v[8:9], v[16:17], -v[68:69]
	v_fma_f64 v[10:11], v[10:11], v[16:17], v[72:73]
	v_fma_f64 v[30:31], v[12:13], v[16:17], -v[96:97]
	v_fma_f64 v[58:59], v[14:15], v[16:17], v[18:19]
	v_add_f64 v[12:13], v[36:37], v[70:71]
	v_add_f64 v[14:15], v[40:41], v[74:75]
	;; [unrolled: 1-line block ×16, first 2 shown]
	s_cbranch_vccz .LBB1624_2
.LBB1624_3:
	v_add_nc_u32_e32 v21, s19, v21
	s_load_b32 s4, s[0:1], 0x0
	s_delay_alu instid0(VALU_DEP_1) | instskip(SKIP_2) | instid1(VALU_DEP_3)
	v_ashrrev_i32_e32 v0, 31, v21
	v_mul_lo_u32 v3, v21, s7
	v_mad_u64_u32 v[1:2], null, v21, s6, 0
	v_mul_lo_u32 v0, v0, s6
	s_delay_alu instid0(VALU_DEP_1) | instskip(SKIP_3) | instid1(VALU_DEP_3)
	v_add3_u32 v2, v2, v3, v0
	v_add_nc_u32_e32 v0, s18, v20
	s_waitcnt lgkmcnt(0)
	v_cmp_gt_i32_e32 vcc_lo, s4, v21
	v_lshlrev_b64 v[1:2], 4, v[1:2]
	s_delay_alu instid0(VALU_DEP_3) | instskip(NEXT) | instid1(VALU_DEP_1)
	v_cmp_le_i32_e64 s0, v0, v21
	s_and_b32 s0, vcc_lo, s0
	s_delay_alu instid0(VALU_DEP_2) | instskip(NEXT) | instid1(VALU_DEP_1)
	v_add_co_u32 v20, s1, s2, v1
	v_add_co_ci_u32_e64 v22, s1, s3, v2, s1
	s_and_saveexec_b32 s1, s0
	s_cbranch_execz .LBB1624_5
; %bb.4:
	v_ashrrev_i32_e32 v1, 31, v0
	s_delay_alu instid0(VALU_DEP_1) | instskip(NEXT) | instid1(VALU_DEP_1)
	v_lshlrev_b64 v[1:2], 4, v[0:1]
	v_add_co_u32 v1, s0, v20, v1
	s_delay_alu instid0(VALU_DEP_1)
	v_add_co_ci_u32_e64 v2, s0, v22, v2, s0
	global_load_b128 v[23:26], v[1:2], off
	s_waitcnt vmcnt(0)
	v_add_f64 v[16:17], v[16:17], v[23:24]
	v_add_f64 v[18:19], v[18:19], v[25:26]
	global_store_b128 v[1:2], v[16:19], off
.LBB1624_5:
	s_or_b32 exec_lo, exec_lo, s1
	v_add_nc_u32_e32 v2, 16, v0
	s_delay_alu instid0(VALU_DEP_1) | instskip(NEXT) | instid1(VALU_DEP_1)
	v_cmp_le_i32_e64 s0, v2, v21
	s_and_b32 s1, vcc_lo, s0
	s_delay_alu instid0(SALU_CYCLE_1)
	s_and_saveexec_b32 s0, s1
	s_cbranch_execz .LBB1624_7
; %bb.6:
	v_ashrrev_i32_e32 v3, 31, v2
	s_delay_alu instid0(VALU_DEP_1) | instskip(NEXT) | instid1(VALU_DEP_1)
	v_lshlrev_b64 v[16:17], 4, v[2:3]
	v_add_co_u32 v23, vcc_lo, v20, v16
	s_delay_alu instid0(VALU_DEP_2)
	v_add_co_ci_u32_e32 v24, vcc_lo, v22, v17, vcc_lo
	global_load_b128 v[16:19], v[23:24], off
	s_waitcnt vmcnt(0)
	v_add_f64 v[14:15], v[14:15], v[16:17]
	v_add_f64 v[16:17], v[12:13], v[18:19]
	global_store_b128 v[23:24], v[14:17], off
.LBB1624_7:
	s_or_b32 exec_lo, exec_lo, s0
	v_add_nc_u32_e32 v3, 16, v21
	s_delay_alu instid0(VALU_DEP_1) | instskip(SKIP_3) | instid1(VALU_DEP_4)
	v_ashrrev_i32_e32 v1, 31, v3
	v_mul_lo_u32 v14, v3, s7
	v_mad_u64_u32 v[12:13], null, v3, s6, 0
	v_cmp_gt_i32_e32 vcc_lo, s4, v3
	v_mul_lo_u32 v1, v1, s6
	v_cmp_le_i32_e64 s0, v0, v3
	s_delay_alu instid0(VALU_DEP_1) | instskip(NEXT) | instid1(VALU_DEP_2)
	s_and_b32 s0, vcc_lo, s0
	v_add3_u32 v13, v13, v14, v1
	s_delay_alu instid0(VALU_DEP_1) | instskip(NEXT) | instid1(VALU_DEP_1)
	v_lshlrev_b64 v[12:13], 4, v[12:13]
	v_add_co_u32 v12, s1, s2, v12
	s_delay_alu instid0(VALU_DEP_1)
	v_add_co_ci_u32_e64 v13, s1, s3, v13, s1
	s_and_saveexec_b32 s1, s0
	s_cbranch_execz .LBB1624_9
; %bb.8:
	v_ashrrev_i32_e32 v1, 31, v0
	s_delay_alu instid0(VALU_DEP_1) | instskip(NEXT) | instid1(VALU_DEP_1)
	v_lshlrev_b64 v[0:1], 4, v[0:1]
	v_add_co_u32 v0, s0, v12, v0
	s_delay_alu instid0(VALU_DEP_1)
	v_add_co_ci_u32_e64 v1, s0, v13, v1, s0
	global_load_b128 v[14:17], v[0:1], off
	s_waitcnt vmcnt(0)
	v_add_f64 v[14:15], v[10:11], v[14:15]
	v_add_f64 v[16:17], v[8:9], v[16:17]
	global_store_b128 v[0:1], v[14:17], off
.LBB1624_9:
	s_or_b32 exec_lo, exec_lo, s1
	v_cmp_le_i32_e64 s0, v2, v3
	s_delay_alu instid0(VALU_DEP_1) | instskip(NEXT) | instid1(SALU_CYCLE_1)
	s_and_b32 s0, vcc_lo, s0
	s_and_saveexec_b32 s1, s0
	s_cbranch_execz .LBB1624_11
; %bb.10:
	v_ashrrev_i32_e32 v3, 31, v2
	s_delay_alu instid0(VALU_DEP_1) | instskip(NEXT) | instid1(VALU_DEP_1)
	v_lshlrev_b64 v[0:1], 4, v[2:3]
	v_add_co_u32 v8, vcc_lo, v12, v0
	s_delay_alu instid0(VALU_DEP_2)
	v_add_co_ci_u32_e32 v9, vcc_lo, v13, v1, vcc_lo
	global_load_b128 v[0:3], v[8:9], off
	s_waitcnt vmcnt(0)
	v_add_f64 v[0:1], v[6:7], v[0:1]
	v_add_f64 v[2:3], v[4:5], v[2:3]
	global_store_b128 v[8:9], v[0:3], off
.LBB1624_11:
	s_nop 0
	s_sendmsg sendmsg(MSG_DEALLOC_VGPRS)
	s_endpgm
	.section	.rodata,"a",@progbits
	.p2align	6, 0x0
	.amdhsa_kernel _ZL37rocblas_syrkx_herkx_restricted_kernelIl19rocblas_complex_numIdELi16ELi32ELi8ELi1ELi1ELb0ELc78ELc85EKPKS1_KPS1_EviT_PT9_S7_lS9_S7_lPT10_S7_li
		.amdhsa_group_segment_fixed_size 8192
		.amdhsa_private_segment_fixed_size 0
		.amdhsa_kernarg_size 92
		.amdhsa_user_sgpr_count 13
		.amdhsa_user_sgpr_dispatch_ptr 0
		.amdhsa_user_sgpr_queue_ptr 0
		.amdhsa_user_sgpr_kernarg_segment_ptr 1
		.amdhsa_user_sgpr_dispatch_id 0
		.amdhsa_user_sgpr_private_segment_size 0
		.amdhsa_wavefront_size32 1
		.amdhsa_uses_dynamic_stack 0
		.amdhsa_enable_private_segment 0
		.amdhsa_system_sgpr_workgroup_id_x 1
		.amdhsa_system_sgpr_workgroup_id_y 1
		.amdhsa_system_sgpr_workgroup_id_z 1
		.amdhsa_system_sgpr_workgroup_info 0
		.amdhsa_system_vgpr_workitem_id 1
		.amdhsa_next_free_vgpr 118
		.amdhsa_next_free_sgpr 20
		.amdhsa_reserve_vcc 1
		.amdhsa_float_round_mode_32 0
		.amdhsa_float_round_mode_16_64 0
		.amdhsa_float_denorm_mode_32 3
		.amdhsa_float_denorm_mode_16_64 3
		.amdhsa_dx10_clamp 1
		.amdhsa_ieee_mode 1
		.amdhsa_fp16_overflow 0
		.amdhsa_workgroup_processor_mode 1
		.amdhsa_memory_ordered 1
		.amdhsa_forward_progress 0
		.amdhsa_shared_vgpr_count 0
		.amdhsa_exception_fp_ieee_invalid_op 0
		.amdhsa_exception_fp_denorm_src 0
		.amdhsa_exception_fp_ieee_div_zero 0
		.amdhsa_exception_fp_ieee_overflow 0
		.amdhsa_exception_fp_ieee_underflow 0
		.amdhsa_exception_fp_ieee_inexact 0
		.amdhsa_exception_int_div_zero 0
	.end_amdhsa_kernel
	.section	.text._ZL37rocblas_syrkx_herkx_restricted_kernelIl19rocblas_complex_numIdELi16ELi32ELi8ELi1ELi1ELb0ELc78ELc85EKPKS1_KPS1_EviT_PT9_S7_lS9_S7_lPT10_S7_li,"axG",@progbits,_ZL37rocblas_syrkx_herkx_restricted_kernelIl19rocblas_complex_numIdELi16ELi32ELi8ELi1ELi1ELb0ELc78ELc85EKPKS1_KPS1_EviT_PT9_S7_lS9_S7_lPT10_S7_li,comdat
.Lfunc_end1624:
	.size	_ZL37rocblas_syrkx_herkx_restricted_kernelIl19rocblas_complex_numIdELi16ELi32ELi8ELi1ELi1ELb0ELc78ELc85EKPKS1_KPS1_EviT_PT9_S7_lS9_S7_lPT10_S7_li, .Lfunc_end1624-_ZL37rocblas_syrkx_herkx_restricted_kernelIl19rocblas_complex_numIdELi16ELi32ELi8ELi1ELi1ELb0ELc78ELc85EKPKS1_KPS1_EviT_PT9_S7_lS9_S7_lPT10_S7_li
                                        ; -- End function
	.section	.AMDGPU.csdata,"",@progbits
; Kernel info:
; codeLenInByte = 3080
; NumSgprs: 22
; NumVgprs: 118
; ScratchSize: 0
; MemoryBound: 0
; FloatMode: 240
; IeeeMode: 1
; LDSByteSize: 8192 bytes/workgroup (compile time only)
; SGPRBlocks: 2
; VGPRBlocks: 14
; NumSGPRsForWavesPerEU: 22
; NumVGPRsForWavesPerEU: 118
; Occupancy: 12
; WaveLimiterHint : 1
; COMPUTE_PGM_RSRC2:SCRATCH_EN: 0
; COMPUTE_PGM_RSRC2:USER_SGPR: 13
; COMPUTE_PGM_RSRC2:TRAP_HANDLER: 0
; COMPUTE_PGM_RSRC2:TGID_X_EN: 1
; COMPUTE_PGM_RSRC2:TGID_Y_EN: 1
; COMPUTE_PGM_RSRC2:TGID_Z_EN: 1
; COMPUTE_PGM_RSRC2:TIDIG_COMP_CNT: 1
	.section	.text._ZL37rocblas_syrkx_herkx_restricted_kernelIl19rocblas_complex_numIdELi16ELi32ELi8ELi1ELin1ELb0ELc84ELc76EKPKS1_KPS1_EviT_PT9_S7_lS9_S7_lPT10_S7_li,"axG",@progbits,_ZL37rocblas_syrkx_herkx_restricted_kernelIl19rocblas_complex_numIdELi16ELi32ELi8ELi1ELin1ELb0ELc84ELc76EKPKS1_KPS1_EviT_PT9_S7_lS9_S7_lPT10_S7_li,comdat
	.globl	_ZL37rocblas_syrkx_herkx_restricted_kernelIl19rocblas_complex_numIdELi16ELi32ELi8ELi1ELin1ELb0ELc84ELc76EKPKS1_KPS1_EviT_PT9_S7_lS9_S7_lPT10_S7_li ; -- Begin function _ZL37rocblas_syrkx_herkx_restricted_kernelIl19rocblas_complex_numIdELi16ELi32ELi8ELi1ELin1ELb0ELc84ELc76EKPKS1_KPS1_EviT_PT9_S7_lS9_S7_lPT10_S7_li
	.p2align	8
	.type	_ZL37rocblas_syrkx_herkx_restricted_kernelIl19rocblas_complex_numIdELi16ELi32ELi8ELi1ELin1ELb0ELc84ELc76EKPKS1_KPS1_EviT_PT9_S7_lS9_S7_lPT10_S7_li,@function
_ZL37rocblas_syrkx_herkx_restricted_kernelIl19rocblas_complex_numIdELi16ELi32ELi8ELi1ELin1ELb0ELc84ELc76EKPKS1_KPS1_EviT_PT9_S7_lS9_S7_lPT10_S7_li: ; @_ZL37rocblas_syrkx_herkx_restricted_kernelIl19rocblas_complex_numIdELi16ELi32ELi8ELi1ELin1ELb0ELc84ELc76EKPKS1_KPS1_EviT_PT9_S7_lS9_S7_lPT10_S7_li
; %bb.0:
	s_clause 0x1
	s_load_b128 s[4:7], s[0:1], 0x40
	s_load_b128 s[8:11], s[0:1], 0x8
	s_mov_b32 s2, s15
	s_mov_b32 s3, 0
	v_mov_b32_e32 v16, 0
	s_lshl_b64 s[16:17], s[2:3], 3
	v_dual_mov_b32 v17, 0 :: v_dual_and_b32 v20, 0x3ff, v0
	v_bfe_u32 v21, v0, 10, 10
	s_delay_alu instid0(VALU_DEP_3) | instskip(NEXT) | instid1(VALU_DEP_3)
	v_mov_b32_e32 v14, v16
	v_dual_mov_b32 v12, v16 :: v_dual_mov_b32 v13, v17
	v_dual_mov_b32 v19, v17 :: v_dual_mov_b32 v18, v16
	;; [unrolled: 1-line block ×5, first 2 shown]
	v_mov_b32_e32 v7, v17
	s_waitcnt lgkmcnt(0)
	s_add_u32 s2, s4, s16
	s_addc_u32 s3, s5, s17
	v_cmp_lt_i64_e64 s4, s[8:9], 1
	s_load_b64 s[2:3], s[2:3], 0x0
	v_dual_mov_b32 v4, v16 :: v_dual_mov_b32 v5, v17
	s_lshl_b32 s18, s13, 5
	s_lshl_b32 s19, s14, 5
	s_delay_alu instid0(VALU_DEP_2)
	s_and_b32 vcc_lo, exec_lo, s4
	s_cbranch_vccnz .LBB1625_3
; %bb.1:
	s_clause 0x1
	s_load_b128 s[12:15], s[0:1], 0x28
	s_load_b64 s[4:5], s[0:1], 0x18
	v_lshl_add_u32 v2, v21, 4, v20
	v_dual_mov_b32 v1, 0 :: v_dual_and_b32 v0, 7, v20
	s_add_u32 s10, s10, s16
	s_addc_u32 s11, s11, s17
	s_delay_alu instid0(VALU_DEP_2)
	v_lshrrev_b32_e32 v8, 3, v2
	v_and_b32_e32 v9, 31, v2
	v_lshrrev_b32_e32 v2, 5, v2
	v_mov_b32_e32 v3, v1
	s_load_b64 s[10:11], s[10:11], 0x0
	v_add_nc_u32_e32 v10, s19, v8
	v_add_nc_u32_e32 v6, s18, v9
	v_lshl_add_u32 v23, v21, 7, 0x1000
	s_delay_alu instid0(VALU_DEP_3) | instskip(NEXT) | instid1(VALU_DEP_3)
	v_ashrrev_i32_e32 v4, 31, v10
	v_ashrrev_i32_e32 v5, 31, v6
	s_waitcnt lgkmcnt(0)
	s_add_u32 s12, s12, s16
	s_addc_u32 s13, s13, s17
	v_mul_lo_u32 v11, v4, s14
	v_mul_lo_u32 v12, s4, v5
	v_mad_u64_u32 v[4:5], null, s4, v6, v[2:3]
	v_mul_lo_u32 v3, s5, v6
	s_load_b64 s[4:5], s[12:13], 0x0
	v_mul_lo_u32 v13, v10, s15
	v_mad_u64_u32 v[6:7], null, v10, s14, v[0:1]
	v_lshlrev_b32_e32 v0, 4, v0
	s_delay_alu instid0(VALU_DEP_4) | instskip(NEXT) | instid1(VALU_DEP_2)
	v_add3_u32 v5, v3, v5, v12
	v_lshl_or_b32 v8, v8, 7, v0
	s_delay_alu instid0(VALU_DEP_4) | instskip(NEXT) | instid1(VALU_DEP_3)
	v_add3_u32 v7, v11, v7, v13
	v_lshlrev_b64 v[0:1], 4, v[4:5]
	v_mov_b32_e32 v4, 0
	v_mov_b32_e32 v5, 0
	v_lshlrev_b32_e32 v3, 4, v9
	v_lshlrev_b32_e32 v22, 4, v20
	v_add_nc_u32_e32 v25, 0x1000, v8
	v_add_co_u32 v0, vcc_lo, v0, s10
	s_delay_alu instid0(VALU_DEP_4)
	v_lshl_or_b32 v24, v2, 9, v3
	v_lshlrev_b64 v[2:3], 4, v[6:7]
	v_add_co_ci_u32_e32 v1, vcc_lo, s11, v1, vcc_lo
	v_mov_b32_e32 v7, v5
	v_dual_mov_b32 v9, v5 :: v_dual_mov_b32 v8, v4
	s_waitcnt lgkmcnt(0)
	s_delay_alu instid0(VALU_DEP_4) | instskip(SKIP_3) | instid1(VALU_DEP_4)
	v_add_co_u32 v2, vcc_lo, v2, s4
	v_add_co_ci_u32_e32 v3, vcc_lo, s5, v3, vcc_lo
	v_add_co_u32 v0, vcc_lo, v0, 8
	v_add_co_ci_u32_e32 v1, vcc_lo, 0, v1, vcc_lo
	v_add_co_u32 v2, vcc_lo, v2, 8
	s_delay_alu instid0(VALU_DEP_4)
	v_add_co_ci_u32_e32 v3, vcc_lo, 0, v3, vcc_lo
	v_dual_mov_b32 v6, v4 :: v_dual_mov_b32 v11, v5
	v_dual_mov_b32 v10, v4 :: v_dual_mov_b32 v13, v5
	;; [unrolled: 1-line block ×5, first 2 shown]
	v_mov_b32_e32 v16, v4
	s_mov_b64 s[4:5], 0
.LBB1625_2:                             ; =>This Inner Loop Header: Depth=1
	global_load_b128 v[26:29], v[0:1], off offset:-8
	global_load_b128 v[30:33], v[2:3], off offset:-8
	s_add_u32 s4, s4, 8
	v_add_co_u32 v0, vcc_lo, 0x80, v0
	s_addc_u32 s5, s5, 0
	v_add_co_ci_u32_e32 v1, vcc_lo, 0, v1, vcc_lo
	v_cmp_ge_u64_e64 s10, s[4:5], s[8:9]
	v_add_co_u32 v2, vcc_lo, 0x80, v2
	v_add_co_ci_u32_e32 v3, vcc_lo, 0, v3, vcc_lo
	s_waitcnt vmcnt(1)
	ds_store_b128 v24, v[26:29]
	s_waitcnt vmcnt(0)
	ds_store_b128 v25, v[30:33]
	s_waitcnt lgkmcnt(0)
	s_barrier
	buffer_gl0_inv
	ds_load_b128 v[26:29], v23
	ds_load_b128 v[30:33], v22
	ds_load_b128 v[34:37], v22 offset:256
	ds_load_b128 v[38:41], v23 offset:2048
	;; [unrolled: 1-line block ×13, first 2 shown]
	s_and_b32 vcc_lo, exec_lo, s10
	s_waitcnt lgkmcnt(13)
	v_mul_f64 v[86:87], v[28:29], v[32:33]
	v_mul_f64 v[88:89], v[26:27], v[32:33]
	s_waitcnt lgkmcnt(12)
	v_mul_f64 v[90:91], v[28:29], v[36:37]
	v_mul_f64 v[92:93], v[26:27], v[36:37]
	;; [unrolled: 3-line block ×3, first 2 shown]
	v_mul_f64 v[96:97], v[40:41], v[36:37]
	v_mul_f64 v[36:37], v[38:39], v[36:37]
	s_waitcnt lgkmcnt(8)
	v_mul_f64 v[98:99], v[44:45], v[52:53]
	v_mul_f64 v[100:101], v[42:43], v[52:53]
	s_waitcnt lgkmcnt(7)
	v_mul_f64 v[102:103], v[44:45], v[56:57]
	v_mul_f64 v[104:105], v[42:43], v[56:57]
	;; [unrolled: 1-line block ×6, first 2 shown]
	s_waitcnt lgkmcnt(3)
	v_mul_f64 v[112:113], v[58:59], v[72:73]
	s_waitcnt lgkmcnt(2)
	v_mul_f64 v[114:115], v[76:77], v[68:69]
	v_mul_f64 v[116:117], v[76:77], v[72:73]
	v_fma_f64 v[86:87], v[26:27], v[30:31], -v[86:87]
	v_fma_f64 v[88:89], v[28:29], v[30:31], v[88:89]
	v_fma_f64 v[90:91], v[26:27], v[34:35], -v[90:91]
	v_fma_f64 v[92:93], v[28:29], v[34:35], v[92:93]
	;; [unrolled: 2-line block ×4, first 2 shown]
	v_mul_f64 v[36:37], v[60:61], v[68:69]
	v_mul_f64 v[40:41], v[58:59], v[68:69]
	;; [unrolled: 1-line block ×5, first 2 shown]
	v_fma_f64 v[98:99], v[42:43], v[50:51], -v[98:99]
	v_fma_f64 v[100:101], v[44:45], v[50:51], v[100:101]
	v_fma_f64 v[42:43], v[42:43], v[54:55], -v[102:103]
	v_fma_f64 v[44:45], v[44:45], v[54:55], v[104:105]
	;; [unrolled: 2-line block ×4, first 2 shown]
	ds_load_b128 v[26:29], v22 offset:1792
	ds_load_b128 v[30:33], v22 offset:2048
	s_waitcnt lgkmcnt(2)
	v_mul_f64 v[56:57], v[64:65], v[84:85]
	v_add_f64 v[16:17], v[16:17], v[86:87]
	v_add_f64 v[18:19], v[18:19], v[88:89]
	v_add_f64 v[14:15], v[14:15], v[90:91]
	v_add_f64 v[12:13], v[12:13], v[92:93]
	v_add_f64 v[52:53], v[10:11], v[94:95]
	v_add_f64 v[54:55], v[8:9], v[110:111]
	v_add_f64 v[38:39], v[6:7], v[38:39]
	v_add_f64 v[34:35], v[4:5], v[34:35]
	v_mul_f64 v[86:87], v[62:63], v[84:85]
	s_waitcnt lgkmcnt(1)
	v_mul_f64 v[88:89], v[64:65], v[28:29]
	v_mul_f64 v[90:91], v[62:63], v[28:29]
	v_mul_f64 v[92:93], v[80:81], v[84:85]
	v_mul_f64 v[84:85], v[78:79], v[84:85]
	v_mul_f64 v[94:95], v[80:81], v[28:29]
	v_mul_f64 v[28:29], v[78:79], v[28:29]
	v_fma_f64 v[104:105], v[58:59], v[66:67], -v[36:37]
	v_fma_f64 v[106:107], v[60:61], v[66:67], v[40:41]
	v_fma_f64 v[58:59], v[58:59], v[70:71], -v[96:97]
	v_fma_f64 v[60:61], v[60:61], v[70:71], v[112:113]
	;; [unrolled: 2-line block ×4, first 2 shown]
	ds_load_b128 v[4:7], v22 offset:2304
	ds_load_b128 v[8:11], v23 offset:64
	v_fma_f64 v[56:57], v[62:63], v[82:83], -v[56:57]
	v_add_f64 v[72:73], v[16:17], v[98:99]
	v_add_f64 v[74:75], v[18:19], v[100:101]
	v_add_f64 v[42:43], v[14:15], v[42:43]
	v_add_f64 v[44:45], v[12:13], v[44:45]
	v_add_f64 v[52:53], v[52:53], v[102:103]
	v_add_f64 v[50:51], v[54:55], v[50:51]
	v_add_f64 v[46:47], v[38:39], v[46:47]
	v_add_f64 v[48:49], v[34:35], v[48:49]
	ds_load_b128 v[12:15], v23 offset:2112
	ds_load_b128 v[16:19], v23 offset:80
	;; [unrolled: 1-line block ×4, first 2 shown]
	s_waitcnt lgkmcnt(4)
	v_mul_f64 v[54:55], v[10:11], v[32:33]
	v_mul_f64 v[76:77], v[8:9], v[32:33]
	;; [unrolled: 1-line block ×4, first 2 shown]
	v_fma_f64 v[86:87], v[64:65], v[82:83], v[86:87]
	v_fma_f64 v[62:63], v[62:63], v[26:27], -v[88:89]
	v_fma_f64 v[64:65], v[64:65], v[26:27], v[90:91]
	v_fma_f64 v[88:89], v[78:79], v[82:83], -v[92:93]
	;; [unrolled: 2-line block ×3, first 2 shown]
	v_fma_f64 v[80:81], v[80:81], v[26:27], v[28:29]
	s_waitcnt lgkmcnt(3)
	v_mul_f64 v[102:103], v[14:15], v[32:33]
	v_mul_f64 v[32:33], v[12:13], v[32:33]
	;; [unrolled: 1-line block ×4, first 2 shown]
	s_waitcnt lgkmcnt(0)
	v_mul_f64 v[90:91], v[18:19], v[40:41]
	v_mul_f64 v[92:93], v[16:17], v[40:41]
	v_add_f64 v[72:73], v[72:73], v[104:105]
	v_add_f64 v[74:75], v[74:75], v[106:107]
	;; [unrolled: 1-line block ×8, first 2 shown]
	ds_load_b128 v[26:29], v22 offset:2816
	ds_load_b128 v[42:45], v22 offset:3072
	;; [unrolled: 1-line block ×4, first 2 shown]
	v_mul_f64 v[104:105], v[36:37], v[40:41]
	v_mul_f64 v[40:41], v[34:35], v[40:41]
	v_fma_f64 v[54:55], v[8:9], v[30:31], -v[54:55]
	v_fma_f64 v[76:77], v[10:11], v[30:31], v[76:77]
	v_fma_f64 v[98:99], v[8:9], v[4:5], -v[98:99]
	v_fma_f64 v[100:101], v[10:11], v[4:5], v[100:101]
	s_waitcnt lgkmcnt(3)
	v_mul_f64 v[94:95], v[18:19], v[28:29]
	v_mul_f64 v[96:97], v[16:17], v[28:29]
	;; [unrolled: 1-line block ×4, first 2 shown]
	v_fma_f64 v[102:103], v[12:13], v[30:31], -v[102:103]
	v_fma_f64 v[32:33], v[14:15], v[30:31], v[32:33]
	v_fma_f64 v[108:109], v[12:13], v[4:5], -v[108:109]
	v_fma_f64 v[112:113], v[14:15], v[4:5], v[6:7]
	ds_load_b128 v[4:7], v23 offset:2144
	ds_load_b128 v[8:11], v23 offset:112
	;; [unrolled: 1-line block ×4, first 2 shown]
	v_add_f64 v[56:57], v[72:73], v[56:57]
	v_add_f64 v[72:73], v[74:75], v[86:87]
	;; [unrolled: 1-line block ×8, first 2 shown]
	s_waitcnt lgkmcnt(4)
	v_mul_f64 v[70:71], v[52:53], v[44:45]
	v_mul_f64 v[74:75], v[50:51], v[44:45]
	;; [unrolled: 1-line block ×4, first 2 shown]
	s_waitcnt lgkmcnt(3)
	v_mul_f64 v[82:83], v[6:7], v[44:45]
	v_mul_f64 v[44:45], v[4:5], v[44:45]
	;; [unrolled: 1-line block ×4, first 2 shown]
	v_fma_f64 v[86:87], v[16:17], v[38:39], -v[90:91]
	v_fma_f64 v[88:89], v[18:19], v[38:39], v[92:93]
	v_fma_f64 v[90:91], v[16:17], v[26:27], -v[94:95]
	v_fma_f64 v[92:93], v[18:19], v[26:27], v[96:97]
	;; [unrolled: 2-line block ×4, first 2 shown]
	ds_load_b128 v[16:19], v22 offset:3840
	s_waitcnt lgkmcnt(0)
	s_barrier
	buffer_gl0_inv
	v_add_f64 v[36:37], v[56:57], v[54:55]
	v_add_f64 v[40:41], v[72:73], v[76:77]
	;; [unrolled: 1-line block ×8, first 2 shown]
	v_mul_f64 v[64:65], v[10:11], v[30:31]
	v_mul_f64 v[66:67], v[8:9], v[30:31]
	;; [unrolled: 1-line block ×4, first 2 shown]
	v_fma_f64 v[70:71], v[50:51], v[42:43], -v[70:71]
	v_mul_f64 v[68:69], v[10:11], v[18:19]
	v_mul_f64 v[72:73], v[8:9], v[18:19]
	;; [unrolled: 1-line block ×4, first 2 shown]
	v_fma_f64 v[74:75], v[52:53], v[42:43], v[74:75]
	v_fma_f64 v[50:51], v[50:51], v[46:47], -v[78:79]
	v_fma_f64 v[52:53], v[52:53], v[46:47], v[80:81]
	v_fma_f64 v[78:79], v[4:5], v[42:43], -v[82:83]
	;; [unrolled: 2-line block ×3, first 2 shown]
	v_fma_f64 v[6:7], v[6:7], v[46:47], v[48:49]
	v_add_f64 v[36:37], v[36:37], v[86:87]
	v_add_f64 v[40:41], v[40:41], v[88:89]
	;; [unrolled: 1-line block ×8, first 2 shown]
	v_fma_f64 v[38:39], v[8:9], v[28:29], -v[64:65]
	v_fma_f64 v[54:55], v[10:11], v[28:29], v[66:67]
	v_fma_f64 v[56:57], v[12:13], v[28:29], -v[76:77]
	v_fma_f64 v[28:29], v[14:15], v[28:29], v[30:31]
	;; [unrolled: 2-line block ×4, first 2 shown]
	v_add_f64 v[12:13], v[36:37], v[70:71]
	v_add_f64 v[14:15], v[40:41], v[74:75]
	;; [unrolled: 1-line block ×16, first 2 shown]
	s_cbranch_vccz .LBB1625_2
.LBB1625_3:
	v_add_nc_u32_e32 v21, s19, v21
	s_load_b32 s4, s[0:1], 0x0
	s_delay_alu instid0(VALU_DEP_1) | instskip(SKIP_2) | instid1(VALU_DEP_3)
	v_ashrrev_i32_e32 v0, 31, v21
	v_mul_lo_u32 v3, v21, s7
	v_mad_u64_u32 v[1:2], null, v21, s6, 0
	v_mul_lo_u32 v0, v0, s6
	s_delay_alu instid0(VALU_DEP_1) | instskip(SKIP_1) | instid1(VALU_DEP_2)
	v_add3_u32 v2, v2, v3, v0
	v_add_nc_u32_e32 v0, s18, v20
	v_lshlrev_b64 v[1:2], 4, v[1:2]
	s_delay_alu instid0(VALU_DEP_2) | instskip(SKIP_2) | instid1(VALU_DEP_3)
	v_cmp_le_i32_e64 s0, v21, v0
	s_waitcnt lgkmcnt(0)
	v_cmp_gt_i32_e32 vcc_lo, s4, v0
	v_add_co_u32 v20, s1, s2, v1
	s_delay_alu instid0(VALU_DEP_1) | instskip(SKIP_1) | instid1(SALU_CYCLE_1)
	v_add_co_ci_u32_e64 v22, s1, s3, v2, s1
	s_and_b32 s0, s0, vcc_lo
	s_and_saveexec_b32 s1, s0
	s_cbranch_execz .LBB1625_5
; %bb.4:
	v_ashrrev_i32_e32 v1, 31, v0
	s_delay_alu instid0(VALU_DEP_1) | instskip(NEXT) | instid1(VALU_DEP_1)
	v_lshlrev_b64 v[1:2], 4, v[0:1]
	v_add_co_u32 v1, s0, v20, v1
	s_delay_alu instid0(VALU_DEP_1)
	v_add_co_ci_u32_e64 v2, s0, v22, v2, s0
	global_load_b128 v[23:26], v[1:2], off
	s_waitcnt vmcnt(0)
	v_add_f64 v[16:17], v[16:17], -v[23:24]
	v_add_f64 v[18:19], v[18:19], -v[25:26]
	global_store_b128 v[1:2], v[16:19], off
.LBB1625_5:
	s_or_b32 exec_lo, exec_lo, s1
	v_add_nc_u32_e32 v2, 16, v0
	s_delay_alu instid0(VALU_DEP_1) | instskip(SKIP_1) | instid1(VALU_DEP_1)
	v_cmp_le_i32_e64 s1, v21, v2
	v_cmp_gt_i32_e64 s0, s4, v2
	s_and_b32 s1, s1, s0
	s_delay_alu instid0(SALU_CYCLE_1)
	s_and_saveexec_b32 s4, s1
	s_cbranch_execz .LBB1625_7
; %bb.6:
	v_ashrrev_i32_e32 v3, 31, v2
	s_delay_alu instid0(VALU_DEP_1) | instskip(NEXT) | instid1(VALU_DEP_1)
	v_lshlrev_b64 v[16:17], 4, v[2:3]
	v_add_co_u32 v23, s1, v20, v16
	s_delay_alu instid0(VALU_DEP_1)
	v_add_co_ci_u32_e64 v24, s1, v22, v17, s1
	global_load_b128 v[16:19], v[23:24], off
	s_waitcnt vmcnt(0)
	v_add_f64 v[14:15], v[14:15], -v[16:17]
	v_add_f64 v[16:17], v[12:13], -v[18:19]
	global_store_b128 v[23:24], v[14:17], off
.LBB1625_7:
	s_or_b32 exec_lo, exec_lo, s4
	v_add_nc_u32_e32 v3, 16, v21
	s_delay_alu instid0(VALU_DEP_1) | instskip(SKIP_3) | instid1(VALU_DEP_4)
	v_ashrrev_i32_e32 v1, 31, v3
	v_mul_lo_u32 v14, v3, s7
	v_mad_u64_u32 v[12:13], null, v3, s6, 0
	v_cmp_le_i32_e64 s1, v3, v0
	v_mul_lo_u32 v1, v1, s6
	s_delay_alu instid0(VALU_DEP_1) | instskip(NEXT) | instid1(VALU_DEP_1)
	v_add3_u32 v13, v13, v14, v1
	v_lshlrev_b64 v[12:13], 4, v[12:13]
	s_delay_alu instid0(VALU_DEP_1) | instskip(NEXT) | instid1(VALU_DEP_1)
	v_add_co_u32 v12, s2, s2, v12
	v_add_co_ci_u32_e64 v13, s2, s3, v13, s2
	s_and_b32 s2, s1, vcc_lo
	s_delay_alu instid0(SALU_CYCLE_1)
	s_and_saveexec_b32 s1, s2
	s_cbranch_execz .LBB1625_9
; %bb.8:
	v_ashrrev_i32_e32 v1, 31, v0
	s_delay_alu instid0(VALU_DEP_1) | instskip(NEXT) | instid1(VALU_DEP_1)
	v_lshlrev_b64 v[0:1], 4, v[0:1]
	v_add_co_u32 v0, vcc_lo, v12, v0
	s_delay_alu instid0(VALU_DEP_2)
	v_add_co_ci_u32_e32 v1, vcc_lo, v13, v1, vcc_lo
	global_load_b128 v[14:17], v[0:1], off
	s_waitcnt vmcnt(0)
	v_add_f64 v[14:15], v[10:11], -v[14:15]
	v_add_f64 v[16:17], v[8:9], -v[16:17]
	global_store_b128 v[0:1], v[14:17], off
.LBB1625_9:
	s_or_b32 exec_lo, exec_lo, s1
	v_cmp_le_i32_e32 vcc_lo, v3, v2
	s_and_b32 s0, vcc_lo, s0
	s_delay_alu instid0(SALU_CYCLE_1)
	s_and_saveexec_b32 s1, s0
	s_cbranch_execz .LBB1625_11
; %bb.10:
	v_ashrrev_i32_e32 v3, 31, v2
	s_delay_alu instid0(VALU_DEP_1) | instskip(NEXT) | instid1(VALU_DEP_1)
	v_lshlrev_b64 v[0:1], 4, v[2:3]
	v_add_co_u32 v8, vcc_lo, v12, v0
	s_delay_alu instid0(VALU_DEP_2)
	v_add_co_ci_u32_e32 v9, vcc_lo, v13, v1, vcc_lo
	global_load_b128 v[0:3], v[8:9], off
	s_waitcnt vmcnt(0)
	v_add_f64 v[0:1], v[6:7], -v[0:1]
	v_add_f64 v[2:3], v[4:5], -v[2:3]
	global_store_b128 v[8:9], v[0:3], off
.LBB1625_11:
	s_nop 0
	s_sendmsg sendmsg(MSG_DEALLOC_VGPRS)
	s_endpgm
	.section	.rodata,"a",@progbits
	.p2align	6, 0x0
	.amdhsa_kernel _ZL37rocblas_syrkx_herkx_restricted_kernelIl19rocblas_complex_numIdELi16ELi32ELi8ELi1ELin1ELb0ELc84ELc76EKPKS1_KPS1_EviT_PT9_S7_lS9_S7_lPT10_S7_li
		.amdhsa_group_segment_fixed_size 8192
		.amdhsa_private_segment_fixed_size 0
		.amdhsa_kernarg_size 92
		.amdhsa_user_sgpr_count 13
		.amdhsa_user_sgpr_dispatch_ptr 0
		.amdhsa_user_sgpr_queue_ptr 0
		.amdhsa_user_sgpr_kernarg_segment_ptr 1
		.amdhsa_user_sgpr_dispatch_id 0
		.amdhsa_user_sgpr_private_segment_size 0
		.amdhsa_wavefront_size32 1
		.amdhsa_uses_dynamic_stack 0
		.amdhsa_enable_private_segment 0
		.amdhsa_system_sgpr_workgroup_id_x 1
		.amdhsa_system_sgpr_workgroup_id_y 1
		.amdhsa_system_sgpr_workgroup_id_z 1
		.amdhsa_system_sgpr_workgroup_info 0
		.amdhsa_system_vgpr_workitem_id 1
		.amdhsa_next_free_vgpr 118
		.amdhsa_next_free_sgpr 20
		.amdhsa_reserve_vcc 1
		.amdhsa_float_round_mode_32 0
		.amdhsa_float_round_mode_16_64 0
		.amdhsa_float_denorm_mode_32 3
		.amdhsa_float_denorm_mode_16_64 3
		.amdhsa_dx10_clamp 1
		.amdhsa_ieee_mode 1
		.amdhsa_fp16_overflow 0
		.amdhsa_workgroup_processor_mode 1
		.amdhsa_memory_ordered 1
		.amdhsa_forward_progress 0
		.amdhsa_shared_vgpr_count 0
		.amdhsa_exception_fp_ieee_invalid_op 0
		.amdhsa_exception_fp_denorm_src 0
		.amdhsa_exception_fp_ieee_div_zero 0
		.amdhsa_exception_fp_ieee_overflow 0
		.amdhsa_exception_fp_ieee_underflow 0
		.amdhsa_exception_fp_ieee_inexact 0
		.amdhsa_exception_int_div_zero 0
	.end_amdhsa_kernel
	.section	.text._ZL37rocblas_syrkx_herkx_restricted_kernelIl19rocblas_complex_numIdELi16ELi32ELi8ELi1ELin1ELb0ELc84ELc76EKPKS1_KPS1_EviT_PT9_S7_lS9_S7_lPT10_S7_li,"axG",@progbits,_ZL37rocblas_syrkx_herkx_restricted_kernelIl19rocblas_complex_numIdELi16ELi32ELi8ELi1ELin1ELb0ELc84ELc76EKPKS1_KPS1_EviT_PT9_S7_lS9_S7_lPT10_S7_li,comdat
.Lfunc_end1625:
	.size	_ZL37rocblas_syrkx_herkx_restricted_kernelIl19rocblas_complex_numIdELi16ELi32ELi8ELi1ELin1ELb0ELc84ELc76EKPKS1_KPS1_EviT_PT9_S7_lS9_S7_lPT10_S7_li, .Lfunc_end1625-_ZL37rocblas_syrkx_herkx_restricted_kernelIl19rocblas_complex_numIdELi16ELi32ELi8ELi1ELin1ELb0ELc84ELc76EKPKS1_KPS1_EviT_PT9_S7_lS9_S7_lPT10_S7_li
                                        ; -- End function
	.section	.AMDGPU.csdata,"",@progbits
; Kernel info:
; codeLenInByte = 3108
; NumSgprs: 22
; NumVgprs: 118
; ScratchSize: 0
; MemoryBound: 0
; FloatMode: 240
; IeeeMode: 1
; LDSByteSize: 8192 bytes/workgroup (compile time only)
; SGPRBlocks: 2
; VGPRBlocks: 14
; NumSGPRsForWavesPerEU: 22
; NumVGPRsForWavesPerEU: 118
; Occupancy: 12
; WaveLimiterHint : 1
; COMPUTE_PGM_RSRC2:SCRATCH_EN: 0
; COMPUTE_PGM_RSRC2:USER_SGPR: 13
; COMPUTE_PGM_RSRC2:TRAP_HANDLER: 0
; COMPUTE_PGM_RSRC2:TGID_X_EN: 1
; COMPUTE_PGM_RSRC2:TGID_Y_EN: 1
; COMPUTE_PGM_RSRC2:TGID_Z_EN: 1
; COMPUTE_PGM_RSRC2:TIDIG_COMP_CNT: 1
	.section	.text._ZL37rocblas_syrkx_herkx_restricted_kernelIl19rocblas_complex_numIdELi16ELi32ELi8ELi1ELin1ELb0ELc67ELc76EKPKS1_KPS1_EviT_PT9_S7_lS9_S7_lPT10_S7_li,"axG",@progbits,_ZL37rocblas_syrkx_herkx_restricted_kernelIl19rocblas_complex_numIdELi16ELi32ELi8ELi1ELin1ELb0ELc67ELc76EKPKS1_KPS1_EviT_PT9_S7_lS9_S7_lPT10_S7_li,comdat
	.globl	_ZL37rocblas_syrkx_herkx_restricted_kernelIl19rocblas_complex_numIdELi16ELi32ELi8ELi1ELin1ELb0ELc67ELc76EKPKS1_KPS1_EviT_PT9_S7_lS9_S7_lPT10_S7_li ; -- Begin function _ZL37rocblas_syrkx_herkx_restricted_kernelIl19rocblas_complex_numIdELi16ELi32ELi8ELi1ELin1ELb0ELc67ELc76EKPKS1_KPS1_EviT_PT9_S7_lS9_S7_lPT10_S7_li
	.p2align	8
	.type	_ZL37rocblas_syrkx_herkx_restricted_kernelIl19rocblas_complex_numIdELi16ELi32ELi8ELi1ELin1ELb0ELc67ELc76EKPKS1_KPS1_EviT_PT9_S7_lS9_S7_lPT10_S7_li,@function
_ZL37rocblas_syrkx_herkx_restricted_kernelIl19rocblas_complex_numIdELi16ELi32ELi8ELi1ELin1ELb0ELc67ELc76EKPKS1_KPS1_EviT_PT9_S7_lS9_S7_lPT10_S7_li: ; @_ZL37rocblas_syrkx_herkx_restricted_kernelIl19rocblas_complex_numIdELi16ELi32ELi8ELi1ELin1ELb0ELc67ELc76EKPKS1_KPS1_EviT_PT9_S7_lS9_S7_lPT10_S7_li
; %bb.0:
	s_clause 0x1
	s_load_b128 s[4:7], s[0:1], 0x40
	s_load_b128 s[8:11], s[0:1], 0x8
	s_mov_b32 s2, s15
	s_mov_b32 s3, 0
	v_mov_b32_e32 v16, 0
	s_lshl_b64 s[16:17], s[2:3], 3
	v_dual_mov_b32 v17, 0 :: v_dual_and_b32 v20, 0x3ff, v0
	v_bfe_u32 v21, v0, 10, 10
	s_delay_alu instid0(VALU_DEP_3) | instskip(NEXT) | instid1(VALU_DEP_3)
	v_mov_b32_e32 v14, v16
	v_dual_mov_b32 v12, v16 :: v_dual_mov_b32 v13, v17
	v_dual_mov_b32 v19, v17 :: v_dual_mov_b32 v18, v16
	v_dual_mov_b32 v15, v17 :: v_dual_mov_b32 v10, v16
	v_dual_mov_b32 v11, v17 :: v_dual_mov_b32 v8, v16
	v_dual_mov_b32 v9, v17 :: v_dual_mov_b32 v6, v16
	v_mov_b32_e32 v7, v17
	s_waitcnt lgkmcnt(0)
	s_add_u32 s2, s4, s16
	s_addc_u32 s3, s5, s17
	v_cmp_lt_i64_e64 s4, s[8:9], 1
	s_load_b64 s[2:3], s[2:3], 0x0
	v_dual_mov_b32 v4, v16 :: v_dual_mov_b32 v5, v17
	s_lshl_b32 s18, s13, 5
	s_lshl_b32 s19, s14, 5
	s_delay_alu instid0(VALU_DEP_2)
	s_and_b32 vcc_lo, exec_lo, s4
	s_cbranch_vccnz .LBB1626_3
; %bb.1:
	s_clause 0x1
	s_load_b128 s[12:15], s[0:1], 0x28
	s_load_b64 s[4:5], s[0:1], 0x18
	v_lshl_add_u32 v2, v21, 4, v20
	v_dual_mov_b32 v1, 0 :: v_dual_and_b32 v0, 7, v20
	s_add_u32 s10, s10, s16
	s_addc_u32 s11, s11, s17
	s_delay_alu instid0(VALU_DEP_2)
	v_lshrrev_b32_e32 v8, 3, v2
	v_and_b32_e32 v9, 31, v2
	v_lshrrev_b32_e32 v2, 5, v2
	v_mov_b32_e32 v3, v1
	s_load_b64 s[10:11], s[10:11], 0x0
	v_add_nc_u32_e32 v10, s19, v8
	v_add_nc_u32_e32 v6, s18, v9
	v_lshl_add_u32 v23, v21, 7, 0x1000
	s_delay_alu instid0(VALU_DEP_3) | instskip(NEXT) | instid1(VALU_DEP_3)
	v_ashrrev_i32_e32 v4, 31, v10
	v_ashrrev_i32_e32 v5, 31, v6
	s_waitcnt lgkmcnt(0)
	s_add_u32 s12, s12, s16
	s_addc_u32 s13, s13, s17
	v_mul_lo_u32 v11, v4, s14
	v_mul_lo_u32 v12, s4, v5
	v_mad_u64_u32 v[4:5], null, s4, v6, v[2:3]
	v_mul_lo_u32 v3, s5, v6
	s_load_b64 s[4:5], s[12:13], 0x0
	v_mul_lo_u32 v13, v10, s15
	v_mad_u64_u32 v[6:7], null, v10, s14, v[0:1]
	v_lshlrev_b32_e32 v0, 4, v0
	s_delay_alu instid0(VALU_DEP_4) | instskip(NEXT) | instid1(VALU_DEP_2)
	v_add3_u32 v5, v3, v5, v12
	v_lshl_or_b32 v8, v8, 7, v0
	s_delay_alu instid0(VALU_DEP_4) | instskip(NEXT) | instid1(VALU_DEP_3)
	v_add3_u32 v7, v11, v7, v13
	v_lshlrev_b64 v[0:1], 4, v[4:5]
	v_mov_b32_e32 v4, 0
	v_mov_b32_e32 v5, 0
	v_lshlrev_b32_e32 v3, 4, v9
	v_lshlrev_b32_e32 v22, 4, v20
	v_add_nc_u32_e32 v25, 0x1000, v8
	v_add_co_u32 v0, vcc_lo, v0, s10
	s_delay_alu instid0(VALU_DEP_4)
	v_lshl_or_b32 v24, v2, 9, v3
	v_lshlrev_b64 v[2:3], 4, v[6:7]
	v_add_co_ci_u32_e32 v1, vcc_lo, s11, v1, vcc_lo
	v_mov_b32_e32 v7, v5
	v_dual_mov_b32 v9, v5 :: v_dual_mov_b32 v8, v4
	s_waitcnt lgkmcnt(0)
	s_delay_alu instid0(VALU_DEP_4) | instskip(SKIP_3) | instid1(VALU_DEP_4)
	v_add_co_u32 v2, vcc_lo, v2, s4
	v_add_co_ci_u32_e32 v3, vcc_lo, s5, v3, vcc_lo
	v_add_co_u32 v0, vcc_lo, v0, 8
	v_add_co_ci_u32_e32 v1, vcc_lo, 0, v1, vcc_lo
	v_add_co_u32 v2, vcc_lo, v2, 8
	s_delay_alu instid0(VALU_DEP_4)
	v_add_co_ci_u32_e32 v3, vcc_lo, 0, v3, vcc_lo
	v_dual_mov_b32 v6, v4 :: v_dual_mov_b32 v11, v5
	v_dual_mov_b32 v10, v4 :: v_dual_mov_b32 v13, v5
	v_dual_mov_b32 v12, v4 :: v_dual_mov_b32 v15, v5
	v_dual_mov_b32 v14, v4 :: v_dual_mov_b32 v19, v5
	v_dual_mov_b32 v18, v4 :: v_dual_mov_b32 v17, v5
	v_mov_b32_e32 v16, v4
	s_mov_b64 s[4:5], 0
.LBB1626_2:                             ; =>This Inner Loop Header: Depth=1
	global_load_b128 v[26:29], v[0:1], off offset:-8
	global_load_b128 v[30:33], v[2:3], off offset:-8
	s_add_u32 s4, s4, 8
	v_add_co_u32 v0, vcc_lo, 0x80, v0
	s_addc_u32 s5, s5, 0
	v_add_co_ci_u32_e32 v1, vcc_lo, 0, v1, vcc_lo
	v_cmp_ge_u64_e64 s10, s[4:5], s[8:9]
	v_add_co_u32 v2, vcc_lo, 0x80, v2
	v_add_co_ci_u32_e32 v3, vcc_lo, 0, v3, vcc_lo
	s_waitcnt vmcnt(1)
	ds_store_b128 v24, v[26:29]
	s_waitcnt vmcnt(0)
	ds_store_b128 v25, v[30:33]
	s_waitcnt lgkmcnt(0)
	s_barrier
	buffer_gl0_inv
	ds_load_b128 v[26:29], v23
	ds_load_b128 v[30:33], v22
	ds_load_b128 v[34:37], v22 offset:256
	ds_load_b128 v[38:41], v23 offset:2048
	;; [unrolled: 1-line block ×13, first 2 shown]
	s_and_b32 vcc_lo, exec_lo, s10
	s_waitcnt lgkmcnt(13)
	v_mul_f64 v[86:87], v[28:29], v[32:33]
	v_mul_f64 v[88:89], v[26:27], v[32:33]
	s_waitcnt lgkmcnt(12)
	v_mul_f64 v[90:91], v[28:29], v[36:37]
	v_mul_f64 v[92:93], v[26:27], v[36:37]
	;; [unrolled: 3-line block ×3, first 2 shown]
	v_mul_f64 v[96:97], v[40:41], v[36:37]
	v_mul_f64 v[36:37], v[38:39], v[36:37]
	s_waitcnt lgkmcnt(8)
	v_mul_f64 v[98:99], v[44:45], v[52:53]
	v_mul_f64 v[100:101], v[42:43], v[52:53]
	s_waitcnt lgkmcnt(7)
	v_mul_f64 v[102:103], v[44:45], v[56:57]
	v_mul_f64 v[104:105], v[42:43], v[56:57]
	v_mul_f64 v[106:107], v[48:49], v[52:53]
	v_mul_f64 v[52:53], v[46:47], v[52:53]
	v_mul_f64 v[108:109], v[48:49], v[56:57]
	v_mul_f64 v[56:57], v[46:47], v[56:57]
	s_waitcnt lgkmcnt(3)
	v_mul_f64 v[112:113], v[58:59], v[72:73]
	s_waitcnt lgkmcnt(2)
	v_mul_f64 v[114:115], v[76:77], v[68:69]
	v_mul_f64 v[116:117], v[76:77], v[72:73]
	v_fma_f64 v[86:87], v[26:27], v[30:31], -v[86:87]
	v_fma_f64 v[88:89], v[28:29], v[30:31], v[88:89]
	v_fma_f64 v[90:91], v[26:27], v[34:35], -v[90:91]
	v_fma_f64 v[92:93], v[28:29], v[34:35], v[92:93]
	v_fma_f64 v[94:95], v[38:39], v[30:31], -v[94:95]
	v_fma_f64 v[110:111], v[40:41], v[30:31], v[32:33]
	v_fma_f64 v[38:39], v[38:39], v[34:35], -v[96:97]
	v_fma_f64 v[34:35], v[40:41], v[34:35], v[36:37]
	v_mul_f64 v[36:37], v[60:61], v[68:69]
	v_mul_f64 v[40:41], v[58:59], v[68:69]
	;; [unrolled: 1-line block ×5, first 2 shown]
	v_fma_f64 v[98:99], v[42:43], v[50:51], -v[98:99]
	v_fma_f64 v[100:101], v[44:45], v[50:51], v[100:101]
	v_fma_f64 v[42:43], v[42:43], v[54:55], -v[102:103]
	v_fma_f64 v[44:45], v[44:45], v[54:55], v[104:105]
	;; [unrolled: 2-line block ×4, first 2 shown]
	ds_load_b128 v[26:29], v22 offset:1792
	ds_load_b128 v[30:33], v22 offset:2048
	s_waitcnt lgkmcnt(2)
	v_mul_f64 v[56:57], v[64:65], v[84:85]
	v_add_f64 v[16:17], v[16:17], v[86:87]
	v_add_f64 v[18:19], v[18:19], v[88:89]
	;; [unrolled: 1-line block ×8, first 2 shown]
	v_mul_f64 v[86:87], v[62:63], v[84:85]
	s_waitcnt lgkmcnt(1)
	v_mul_f64 v[88:89], v[64:65], v[28:29]
	v_mul_f64 v[90:91], v[62:63], v[28:29]
	;; [unrolled: 1-line block ×6, first 2 shown]
	v_fma_f64 v[104:105], v[58:59], v[66:67], -v[36:37]
	v_fma_f64 v[106:107], v[60:61], v[66:67], v[40:41]
	v_fma_f64 v[58:59], v[58:59], v[70:71], -v[96:97]
	v_fma_f64 v[60:61], v[60:61], v[70:71], v[112:113]
	;; [unrolled: 2-line block ×4, first 2 shown]
	ds_load_b128 v[4:7], v22 offset:2304
	ds_load_b128 v[8:11], v23 offset:64
	v_fma_f64 v[56:57], v[62:63], v[82:83], -v[56:57]
	v_add_f64 v[72:73], v[16:17], v[98:99]
	v_add_f64 v[74:75], v[18:19], v[100:101]
	;; [unrolled: 1-line block ×8, first 2 shown]
	ds_load_b128 v[12:15], v23 offset:2112
	ds_load_b128 v[16:19], v23 offset:80
	;; [unrolled: 1-line block ×4, first 2 shown]
	s_waitcnt lgkmcnt(4)
	v_mul_f64 v[54:55], v[10:11], v[32:33]
	v_mul_f64 v[76:77], v[8:9], v[32:33]
	;; [unrolled: 1-line block ×4, first 2 shown]
	v_fma_f64 v[86:87], v[64:65], v[82:83], v[86:87]
	v_fma_f64 v[62:63], v[62:63], v[26:27], -v[88:89]
	v_fma_f64 v[64:65], v[64:65], v[26:27], v[90:91]
	v_fma_f64 v[88:89], v[78:79], v[82:83], -v[92:93]
	v_fma_f64 v[82:83], v[80:81], v[82:83], v[84:85]
	v_fma_f64 v[78:79], v[78:79], v[26:27], -v[94:95]
	v_fma_f64 v[80:81], v[80:81], v[26:27], v[28:29]
	s_waitcnt lgkmcnt(3)
	v_mul_f64 v[102:103], v[14:15], v[32:33]
	v_mul_f64 v[32:33], v[12:13], v[32:33]
	;; [unrolled: 1-line block ×4, first 2 shown]
	s_waitcnt lgkmcnt(0)
	v_mul_f64 v[90:91], v[18:19], v[40:41]
	v_mul_f64 v[92:93], v[16:17], v[40:41]
	v_add_f64 v[72:73], v[72:73], v[104:105]
	v_add_f64 v[74:75], v[74:75], v[106:107]
	;; [unrolled: 1-line block ×8, first 2 shown]
	ds_load_b128 v[26:29], v22 offset:2816
	ds_load_b128 v[42:45], v22 offset:3072
	;; [unrolled: 1-line block ×4, first 2 shown]
	v_mul_f64 v[104:105], v[36:37], v[40:41]
	v_mul_f64 v[40:41], v[34:35], v[40:41]
	v_fma_f64 v[54:55], v[8:9], v[30:31], -v[54:55]
	v_fma_f64 v[76:77], v[10:11], v[30:31], v[76:77]
	v_fma_f64 v[98:99], v[8:9], v[4:5], -v[98:99]
	v_fma_f64 v[100:101], v[10:11], v[4:5], v[100:101]
	s_waitcnt lgkmcnt(3)
	v_mul_f64 v[94:95], v[18:19], v[28:29]
	v_mul_f64 v[96:97], v[16:17], v[28:29]
	;; [unrolled: 1-line block ×4, first 2 shown]
	v_fma_f64 v[102:103], v[12:13], v[30:31], -v[102:103]
	v_fma_f64 v[32:33], v[14:15], v[30:31], v[32:33]
	v_fma_f64 v[108:109], v[12:13], v[4:5], -v[108:109]
	v_fma_f64 v[112:113], v[14:15], v[4:5], v[6:7]
	ds_load_b128 v[4:7], v23 offset:2144
	ds_load_b128 v[8:11], v23 offset:112
	;; [unrolled: 1-line block ×4, first 2 shown]
	v_add_f64 v[56:57], v[72:73], v[56:57]
	v_add_f64 v[72:73], v[74:75], v[86:87]
	;; [unrolled: 1-line block ×8, first 2 shown]
	s_waitcnt lgkmcnt(4)
	v_mul_f64 v[70:71], v[52:53], v[44:45]
	v_mul_f64 v[74:75], v[50:51], v[44:45]
	;; [unrolled: 1-line block ×4, first 2 shown]
	s_waitcnt lgkmcnt(3)
	v_mul_f64 v[82:83], v[6:7], v[44:45]
	v_mul_f64 v[44:45], v[4:5], v[44:45]
	;; [unrolled: 1-line block ×4, first 2 shown]
	v_fma_f64 v[86:87], v[16:17], v[38:39], -v[90:91]
	v_fma_f64 v[88:89], v[18:19], v[38:39], v[92:93]
	v_fma_f64 v[90:91], v[16:17], v[26:27], -v[94:95]
	v_fma_f64 v[92:93], v[18:19], v[26:27], v[96:97]
	;; [unrolled: 2-line block ×4, first 2 shown]
	ds_load_b128 v[16:19], v22 offset:3840
	s_waitcnt lgkmcnt(0)
	s_barrier
	buffer_gl0_inv
	v_add_f64 v[36:37], v[56:57], v[54:55]
	v_add_f64 v[40:41], v[72:73], v[76:77]
	;; [unrolled: 1-line block ×8, first 2 shown]
	v_mul_f64 v[64:65], v[10:11], v[30:31]
	v_mul_f64 v[66:67], v[8:9], v[30:31]
	;; [unrolled: 1-line block ×4, first 2 shown]
	v_fma_f64 v[70:71], v[50:51], v[42:43], -v[70:71]
	v_mul_f64 v[68:69], v[10:11], v[18:19]
	v_mul_f64 v[72:73], v[8:9], v[18:19]
	;; [unrolled: 1-line block ×4, first 2 shown]
	v_fma_f64 v[74:75], v[52:53], v[42:43], v[74:75]
	v_fma_f64 v[50:51], v[50:51], v[46:47], -v[78:79]
	v_fma_f64 v[52:53], v[52:53], v[46:47], v[80:81]
	v_fma_f64 v[78:79], v[4:5], v[42:43], -v[82:83]
	;; [unrolled: 2-line block ×3, first 2 shown]
	v_fma_f64 v[6:7], v[6:7], v[46:47], v[48:49]
	v_add_f64 v[36:37], v[36:37], v[86:87]
	v_add_f64 v[40:41], v[40:41], v[88:89]
	;; [unrolled: 1-line block ×8, first 2 shown]
	v_fma_f64 v[38:39], v[8:9], v[28:29], -v[64:65]
	v_fma_f64 v[54:55], v[10:11], v[28:29], v[66:67]
	v_fma_f64 v[56:57], v[12:13], v[28:29], -v[76:77]
	v_fma_f64 v[28:29], v[14:15], v[28:29], v[30:31]
	;; [unrolled: 2-line block ×4, first 2 shown]
	v_add_f64 v[12:13], v[36:37], v[70:71]
	v_add_f64 v[14:15], v[40:41], v[74:75]
	;; [unrolled: 1-line block ×16, first 2 shown]
	s_cbranch_vccz .LBB1626_2
.LBB1626_3:
	v_add_nc_u32_e32 v21, s19, v21
	s_load_b32 s4, s[0:1], 0x0
	s_delay_alu instid0(VALU_DEP_1) | instskip(SKIP_2) | instid1(VALU_DEP_3)
	v_ashrrev_i32_e32 v0, 31, v21
	v_mul_lo_u32 v3, v21, s7
	v_mad_u64_u32 v[1:2], null, v21, s6, 0
	v_mul_lo_u32 v0, v0, s6
	s_delay_alu instid0(VALU_DEP_1) | instskip(SKIP_1) | instid1(VALU_DEP_2)
	v_add3_u32 v2, v2, v3, v0
	v_add_nc_u32_e32 v0, s18, v20
	v_lshlrev_b64 v[1:2], 4, v[1:2]
	s_delay_alu instid0(VALU_DEP_2) | instskip(SKIP_2) | instid1(VALU_DEP_3)
	v_cmp_le_i32_e64 s0, v21, v0
	s_waitcnt lgkmcnt(0)
	v_cmp_gt_i32_e32 vcc_lo, s4, v0
	v_add_co_u32 v20, s1, s2, v1
	s_delay_alu instid0(VALU_DEP_1) | instskip(SKIP_1) | instid1(SALU_CYCLE_1)
	v_add_co_ci_u32_e64 v22, s1, s3, v2, s1
	s_and_b32 s0, s0, vcc_lo
	s_and_saveexec_b32 s1, s0
	s_cbranch_execz .LBB1626_5
; %bb.4:
	v_ashrrev_i32_e32 v1, 31, v0
	s_delay_alu instid0(VALU_DEP_1) | instskip(NEXT) | instid1(VALU_DEP_1)
	v_lshlrev_b64 v[1:2], 4, v[0:1]
	v_add_co_u32 v1, s0, v20, v1
	s_delay_alu instid0(VALU_DEP_1)
	v_add_co_ci_u32_e64 v2, s0, v22, v2, s0
	global_load_b128 v[23:26], v[1:2], off
	s_waitcnt vmcnt(0)
	v_add_f64 v[16:17], v[16:17], -v[23:24]
	v_add_f64 v[18:19], v[18:19], -v[25:26]
	global_store_b128 v[1:2], v[16:19], off
.LBB1626_5:
	s_or_b32 exec_lo, exec_lo, s1
	v_add_nc_u32_e32 v2, 16, v0
	s_delay_alu instid0(VALU_DEP_1) | instskip(SKIP_1) | instid1(VALU_DEP_1)
	v_cmp_le_i32_e64 s1, v21, v2
	v_cmp_gt_i32_e64 s0, s4, v2
	s_and_b32 s1, s1, s0
	s_delay_alu instid0(SALU_CYCLE_1)
	s_and_saveexec_b32 s4, s1
	s_cbranch_execz .LBB1626_7
; %bb.6:
	v_ashrrev_i32_e32 v3, 31, v2
	s_delay_alu instid0(VALU_DEP_1) | instskip(NEXT) | instid1(VALU_DEP_1)
	v_lshlrev_b64 v[16:17], 4, v[2:3]
	v_add_co_u32 v23, s1, v20, v16
	s_delay_alu instid0(VALU_DEP_1)
	v_add_co_ci_u32_e64 v24, s1, v22, v17, s1
	global_load_b128 v[16:19], v[23:24], off
	s_waitcnt vmcnt(0)
	v_add_f64 v[14:15], v[14:15], -v[16:17]
	v_add_f64 v[16:17], v[12:13], -v[18:19]
	global_store_b128 v[23:24], v[14:17], off
.LBB1626_7:
	s_or_b32 exec_lo, exec_lo, s4
	v_add_nc_u32_e32 v3, 16, v21
	s_delay_alu instid0(VALU_DEP_1) | instskip(SKIP_3) | instid1(VALU_DEP_4)
	v_ashrrev_i32_e32 v1, 31, v3
	v_mul_lo_u32 v14, v3, s7
	v_mad_u64_u32 v[12:13], null, v3, s6, 0
	v_cmp_le_i32_e64 s1, v3, v0
	v_mul_lo_u32 v1, v1, s6
	s_delay_alu instid0(VALU_DEP_1) | instskip(NEXT) | instid1(VALU_DEP_1)
	v_add3_u32 v13, v13, v14, v1
	v_lshlrev_b64 v[12:13], 4, v[12:13]
	s_delay_alu instid0(VALU_DEP_1) | instskip(NEXT) | instid1(VALU_DEP_1)
	v_add_co_u32 v12, s2, s2, v12
	v_add_co_ci_u32_e64 v13, s2, s3, v13, s2
	s_and_b32 s2, s1, vcc_lo
	s_delay_alu instid0(SALU_CYCLE_1)
	s_and_saveexec_b32 s1, s2
	s_cbranch_execz .LBB1626_9
; %bb.8:
	v_ashrrev_i32_e32 v1, 31, v0
	s_delay_alu instid0(VALU_DEP_1) | instskip(NEXT) | instid1(VALU_DEP_1)
	v_lshlrev_b64 v[0:1], 4, v[0:1]
	v_add_co_u32 v0, vcc_lo, v12, v0
	s_delay_alu instid0(VALU_DEP_2)
	v_add_co_ci_u32_e32 v1, vcc_lo, v13, v1, vcc_lo
	global_load_b128 v[14:17], v[0:1], off
	s_waitcnt vmcnt(0)
	v_add_f64 v[14:15], v[10:11], -v[14:15]
	v_add_f64 v[16:17], v[8:9], -v[16:17]
	global_store_b128 v[0:1], v[14:17], off
.LBB1626_9:
	s_or_b32 exec_lo, exec_lo, s1
	v_cmp_le_i32_e32 vcc_lo, v3, v2
	s_and_b32 s0, vcc_lo, s0
	s_delay_alu instid0(SALU_CYCLE_1)
	s_and_saveexec_b32 s1, s0
	s_cbranch_execz .LBB1626_11
; %bb.10:
	v_ashrrev_i32_e32 v3, 31, v2
	s_delay_alu instid0(VALU_DEP_1) | instskip(NEXT) | instid1(VALU_DEP_1)
	v_lshlrev_b64 v[0:1], 4, v[2:3]
	v_add_co_u32 v8, vcc_lo, v12, v0
	s_delay_alu instid0(VALU_DEP_2)
	v_add_co_ci_u32_e32 v9, vcc_lo, v13, v1, vcc_lo
	global_load_b128 v[0:3], v[8:9], off
	s_waitcnt vmcnt(0)
	v_add_f64 v[0:1], v[6:7], -v[0:1]
	v_add_f64 v[2:3], v[4:5], -v[2:3]
	global_store_b128 v[8:9], v[0:3], off
.LBB1626_11:
	s_nop 0
	s_sendmsg sendmsg(MSG_DEALLOC_VGPRS)
	s_endpgm
	.section	.rodata,"a",@progbits
	.p2align	6, 0x0
	.amdhsa_kernel _ZL37rocblas_syrkx_herkx_restricted_kernelIl19rocblas_complex_numIdELi16ELi32ELi8ELi1ELin1ELb0ELc67ELc76EKPKS1_KPS1_EviT_PT9_S7_lS9_S7_lPT10_S7_li
		.amdhsa_group_segment_fixed_size 8192
		.amdhsa_private_segment_fixed_size 0
		.amdhsa_kernarg_size 92
		.amdhsa_user_sgpr_count 13
		.amdhsa_user_sgpr_dispatch_ptr 0
		.amdhsa_user_sgpr_queue_ptr 0
		.amdhsa_user_sgpr_kernarg_segment_ptr 1
		.amdhsa_user_sgpr_dispatch_id 0
		.amdhsa_user_sgpr_private_segment_size 0
		.amdhsa_wavefront_size32 1
		.amdhsa_uses_dynamic_stack 0
		.amdhsa_enable_private_segment 0
		.amdhsa_system_sgpr_workgroup_id_x 1
		.amdhsa_system_sgpr_workgroup_id_y 1
		.amdhsa_system_sgpr_workgroup_id_z 1
		.amdhsa_system_sgpr_workgroup_info 0
		.amdhsa_system_vgpr_workitem_id 1
		.amdhsa_next_free_vgpr 118
		.amdhsa_next_free_sgpr 20
		.amdhsa_reserve_vcc 1
		.amdhsa_float_round_mode_32 0
		.amdhsa_float_round_mode_16_64 0
		.amdhsa_float_denorm_mode_32 3
		.amdhsa_float_denorm_mode_16_64 3
		.amdhsa_dx10_clamp 1
		.amdhsa_ieee_mode 1
		.amdhsa_fp16_overflow 0
		.amdhsa_workgroup_processor_mode 1
		.amdhsa_memory_ordered 1
		.amdhsa_forward_progress 0
		.amdhsa_shared_vgpr_count 0
		.amdhsa_exception_fp_ieee_invalid_op 0
		.amdhsa_exception_fp_denorm_src 0
		.amdhsa_exception_fp_ieee_div_zero 0
		.amdhsa_exception_fp_ieee_overflow 0
		.amdhsa_exception_fp_ieee_underflow 0
		.amdhsa_exception_fp_ieee_inexact 0
		.amdhsa_exception_int_div_zero 0
	.end_amdhsa_kernel
	.section	.text._ZL37rocblas_syrkx_herkx_restricted_kernelIl19rocblas_complex_numIdELi16ELi32ELi8ELi1ELin1ELb0ELc67ELc76EKPKS1_KPS1_EviT_PT9_S7_lS9_S7_lPT10_S7_li,"axG",@progbits,_ZL37rocblas_syrkx_herkx_restricted_kernelIl19rocblas_complex_numIdELi16ELi32ELi8ELi1ELin1ELb0ELc67ELc76EKPKS1_KPS1_EviT_PT9_S7_lS9_S7_lPT10_S7_li,comdat
.Lfunc_end1626:
	.size	_ZL37rocblas_syrkx_herkx_restricted_kernelIl19rocblas_complex_numIdELi16ELi32ELi8ELi1ELin1ELb0ELc67ELc76EKPKS1_KPS1_EviT_PT9_S7_lS9_S7_lPT10_S7_li, .Lfunc_end1626-_ZL37rocblas_syrkx_herkx_restricted_kernelIl19rocblas_complex_numIdELi16ELi32ELi8ELi1ELin1ELb0ELc67ELc76EKPKS1_KPS1_EviT_PT9_S7_lS9_S7_lPT10_S7_li
                                        ; -- End function
	.section	.AMDGPU.csdata,"",@progbits
; Kernel info:
; codeLenInByte = 3108
; NumSgprs: 22
; NumVgprs: 118
; ScratchSize: 0
; MemoryBound: 0
; FloatMode: 240
; IeeeMode: 1
; LDSByteSize: 8192 bytes/workgroup (compile time only)
; SGPRBlocks: 2
; VGPRBlocks: 14
; NumSGPRsForWavesPerEU: 22
; NumVGPRsForWavesPerEU: 118
; Occupancy: 12
; WaveLimiterHint : 1
; COMPUTE_PGM_RSRC2:SCRATCH_EN: 0
; COMPUTE_PGM_RSRC2:USER_SGPR: 13
; COMPUTE_PGM_RSRC2:TRAP_HANDLER: 0
; COMPUTE_PGM_RSRC2:TGID_X_EN: 1
; COMPUTE_PGM_RSRC2:TGID_Y_EN: 1
; COMPUTE_PGM_RSRC2:TGID_Z_EN: 1
; COMPUTE_PGM_RSRC2:TIDIG_COMP_CNT: 1
	.section	.text._ZL37rocblas_syrkx_herkx_restricted_kernelIl19rocblas_complex_numIdELi16ELi32ELi8ELi1ELin1ELb0ELc78ELc76EKPKS1_KPS1_EviT_PT9_S7_lS9_S7_lPT10_S7_li,"axG",@progbits,_ZL37rocblas_syrkx_herkx_restricted_kernelIl19rocblas_complex_numIdELi16ELi32ELi8ELi1ELin1ELb0ELc78ELc76EKPKS1_KPS1_EviT_PT9_S7_lS9_S7_lPT10_S7_li,comdat
	.globl	_ZL37rocblas_syrkx_herkx_restricted_kernelIl19rocblas_complex_numIdELi16ELi32ELi8ELi1ELin1ELb0ELc78ELc76EKPKS1_KPS1_EviT_PT9_S7_lS9_S7_lPT10_S7_li ; -- Begin function _ZL37rocblas_syrkx_herkx_restricted_kernelIl19rocblas_complex_numIdELi16ELi32ELi8ELi1ELin1ELb0ELc78ELc76EKPKS1_KPS1_EviT_PT9_S7_lS9_S7_lPT10_S7_li
	.p2align	8
	.type	_ZL37rocblas_syrkx_herkx_restricted_kernelIl19rocblas_complex_numIdELi16ELi32ELi8ELi1ELin1ELb0ELc78ELc76EKPKS1_KPS1_EviT_PT9_S7_lS9_S7_lPT10_S7_li,@function
_ZL37rocblas_syrkx_herkx_restricted_kernelIl19rocblas_complex_numIdELi16ELi32ELi8ELi1ELin1ELb0ELc78ELc76EKPKS1_KPS1_EviT_PT9_S7_lS9_S7_lPT10_S7_li: ; @_ZL37rocblas_syrkx_herkx_restricted_kernelIl19rocblas_complex_numIdELi16ELi32ELi8ELi1ELin1ELb0ELc78ELc76EKPKS1_KPS1_EviT_PT9_S7_lS9_S7_lPT10_S7_li
; %bb.0:
	s_clause 0x1
	s_load_b128 s[4:7], s[0:1], 0x40
	s_load_b128 s[8:11], s[0:1], 0x8
	s_mov_b32 s2, s15
	s_mov_b32 s3, 0
	v_mov_b32_e32 v16, 0
	s_lshl_b64 s[16:17], s[2:3], 3
	v_dual_mov_b32 v17, 0 :: v_dual_and_b32 v20, 0x3ff, v0
	v_bfe_u32 v21, v0, 10, 10
	s_delay_alu instid0(VALU_DEP_3) | instskip(NEXT) | instid1(VALU_DEP_3)
	v_mov_b32_e32 v14, v16
	v_dual_mov_b32 v12, v16 :: v_dual_mov_b32 v13, v17
	v_dual_mov_b32 v19, v17 :: v_dual_mov_b32 v18, v16
	;; [unrolled: 1-line block ×5, first 2 shown]
	v_mov_b32_e32 v7, v17
	s_waitcnt lgkmcnt(0)
	s_add_u32 s2, s4, s16
	s_addc_u32 s3, s5, s17
	v_cmp_lt_i64_e64 s4, s[8:9], 1
	s_load_b64 s[2:3], s[2:3], 0x0
	v_dual_mov_b32 v4, v16 :: v_dual_mov_b32 v5, v17
	s_lshl_b32 s18, s13, 5
	s_lshl_b32 s19, s14, 5
	s_delay_alu instid0(VALU_DEP_2)
	s_and_b32 vcc_lo, exec_lo, s4
	s_cbranch_vccnz .LBB1627_3
; %bb.1:
	v_lshl_add_u32 v1, v21, 4, v20
	s_clause 0x1
	s_load_b64 s[4:5], s[0:1], 0x18
	s_load_b128 s[12:15], s[0:1], 0x28
	v_and_b32_e32 v6, 7, v20
	s_add_u32 s10, s10, s16
	s_addc_u32 s11, s11, s17
	v_and_b32_e32 v14, 31, v1
	v_lshrrev_b32_e32 v15, 3, v1
	v_lshrrev_b32_e32 v16, 5, v1
	s_load_b64 s[10:11], s[10:11], 0x0
	v_lshl_add_u32 v23, v21, 7, 0x1000
	v_add_nc_u32_e32 v0, s18, v14
	v_add_nc_u32_e32 v2, s19, v15
	s_delay_alu instid0(VALU_DEP_2) | instskip(NEXT) | instid1(VALU_DEP_2)
	v_ashrrev_i32_e32 v1, 31, v0
	v_ashrrev_i32_e32 v3, 31, v2
	s_waitcnt lgkmcnt(0)
	s_delay_alu instid0(VALU_DEP_2) | instskip(NEXT) | instid1(VALU_DEP_2)
	v_mad_u64_u32 v[10:11], null, v16, s4, v[0:1]
	v_mad_u64_u32 v[0:1], null, v6, s14, v[2:3]
	s_add_u32 s12, s12, s16
	s_addc_u32 s13, s13, s17
	s_load_b64 s[12:13], s[12:13], 0x0
	s_delay_alu instid0(VALU_DEP_2) | instskip(NEXT) | instid1(VALU_DEP_1)
	v_mov_b32_e32 v2, v11
	v_mad_u64_u32 v[3:4], null, v16, s5, v[2:3]
	v_mov_b32_e32 v4, 0
	v_mov_b32_e32 v5, 0
	s_lshl_b64 s[4:5], s[4:5], 7
	s_delay_alu instid0(VALU_DEP_1)
	v_mov_b32_e32 v9, v5
	v_mad_u64_u32 v[12:13], null, v6, s15, v[1:2]
	v_lshlrev_b32_e32 v13, 4, v14
	v_lshlrev_b32_e32 v1, 4, v6
	v_dual_mov_b32 v11, v3 :: v_dual_lshlrev_b32 v22, 4, v20
	v_mov_b32_e32 v7, v5
	s_delay_alu instid0(VALU_DEP_4) | instskip(NEXT) | instid1(VALU_DEP_4)
	v_lshl_or_b32 v24, v16, 9, v13
	v_lshl_or_b32 v14, v15, 7, v1
	v_mov_b32_e32 v1, v12
	v_lshlrev_b64 v[2:3], 4, v[10:11]
	v_dual_mov_b32 v6, v4 :: v_dual_mov_b32 v11, v5
	v_mov_b32_e32 v10, v4
	s_delay_alu instid0(VALU_DEP_4) | instskip(SKIP_4) | instid1(VALU_DEP_4)
	v_lshlrev_b64 v[0:1], 4, v[0:1]
	v_dual_mov_b32 v8, v4 :: v_dual_add_nc_u32 v25, 0x1000, v14
	v_add_co_u32 v2, vcc_lo, v2, s10
	v_add_co_ci_u32_e32 v3, vcc_lo, s11, v3, vcc_lo
	s_waitcnt lgkmcnt(0)
	v_add_co_u32 v12, vcc_lo, v0, s12
	v_add_co_ci_u32_e32 v13, vcc_lo, s13, v1, vcc_lo
	v_add_co_u32 v0, vcc_lo, v2, 8
	v_add_co_ci_u32_e32 v1, vcc_lo, 0, v3, vcc_lo
	s_delay_alu instid0(VALU_DEP_4) | instskip(NEXT) | instid1(VALU_DEP_4)
	v_add_co_u32 v2, vcc_lo, v12, 8
	v_add_co_ci_u32_e32 v3, vcc_lo, 0, v13, vcc_lo
	v_dual_mov_b32 v13, v5 :: v_dual_mov_b32 v12, v4
	v_dual_mov_b32 v15, v5 :: v_dual_mov_b32 v14, v4
	;; [unrolled: 1-line block ×4, first 2 shown]
	s_lshl_b64 s[10:11], s[14:15], 7
	s_mov_b64 s[12:13], 0
.LBB1627_2:                             ; =>This Inner Loop Header: Depth=1
	global_load_b128 v[26:29], v[0:1], off offset:-8
	global_load_b128 v[30:33], v[2:3], off offset:-8
	s_add_u32 s12, s12, 8
	v_add_co_u32 v0, vcc_lo, v0, s4
	s_addc_u32 s13, s13, 0
	v_add_co_ci_u32_e32 v1, vcc_lo, s5, v1, vcc_lo
	v_cmp_ge_u64_e64 s14, s[12:13], s[8:9]
	v_add_co_u32 v2, vcc_lo, v2, s10
	v_add_co_ci_u32_e32 v3, vcc_lo, s11, v3, vcc_lo
	s_waitcnt vmcnt(1)
	ds_store_b128 v24, v[26:29]
	s_waitcnt vmcnt(0)
	ds_store_b128 v25, v[30:33]
	s_waitcnt lgkmcnt(0)
	s_barrier
	buffer_gl0_inv
	ds_load_b128 v[26:29], v23
	ds_load_b128 v[30:33], v22
	ds_load_b128 v[34:37], v22 offset:256
	ds_load_b128 v[38:41], v23 offset:2048
	;; [unrolled: 1-line block ×13, first 2 shown]
	s_and_b32 vcc_lo, exec_lo, s14
	s_waitcnt lgkmcnt(13)
	v_mul_f64 v[86:87], v[28:29], v[32:33]
	v_mul_f64 v[88:89], v[26:27], v[32:33]
	s_waitcnt lgkmcnt(12)
	v_mul_f64 v[90:91], v[28:29], v[36:37]
	v_mul_f64 v[92:93], v[26:27], v[36:37]
	;; [unrolled: 3-line block ×3, first 2 shown]
	v_mul_f64 v[96:97], v[40:41], v[36:37]
	v_mul_f64 v[36:37], v[38:39], v[36:37]
	s_waitcnt lgkmcnt(8)
	v_mul_f64 v[98:99], v[44:45], v[52:53]
	v_mul_f64 v[100:101], v[42:43], v[52:53]
	s_waitcnt lgkmcnt(7)
	v_mul_f64 v[102:103], v[44:45], v[56:57]
	v_mul_f64 v[104:105], v[42:43], v[56:57]
	;; [unrolled: 1-line block ×6, first 2 shown]
	s_waitcnt lgkmcnt(3)
	v_mul_f64 v[112:113], v[58:59], v[72:73]
	s_waitcnt lgkmcnt(2)
	v_mul_f64 v[114:115], v[76:77], v[68:69]
	v_mul_f64 v[116:117], v[76:77], v[72:73]
	v_fma_f64 v[86:87], v[26:27], v[30:31], -v[86:87]
	v_fma_f64 v[88:89], v[28:29], v[30:31], v[88:89]
	v_fma_f64 v[90:91], v[26:27], v[34:35], -v[90:91]
	v_fma_f64 v[92:93], v[28:29], v[34:35], v[92:93]
	;; [unrolled: 2-line block ×4, first 2 shown]
	v_mul_f64 v[36:37], v[60:61], v[68:69]
	v_mul_f64 v[40:41], v[58:59], v[68:69]
	;; [unrolled: 1-line block ×5, first 2 shown]
	v_fma_f64 v[98:99], v[42:43], v[50:51], -v[98:99]
	v_fma_f64 v[100:101], v[44:45], v[50:51], v[100:101]
	v_fma_f64 v[42:43], v[42:43], v[54:55], -v[102:103]
	v_fma_f64 v[44:45], v[44:45], v[54:55], v[104:105]
	;; [unrolled: 2-line block ×4, first 2 shown]
	ds_load_b128 v[26:29], v22 offset:1792
	ds_load_b128 v[30:33], v22 offset:2048
	s_waitcnt lgkmcnt(2)
	v_mul_f64 v[56:57], v[64:65], v[84:85]
	v_add_f64 v[16:17], v[16:17], v[86:87]
	v_add_f64 v[18:19], v[18:19], v[88:89]
	;; [unrolled: 1-line block ×8, first 2 shown]
	v_mul_f64 v[86:87], v[62:63], v[84:85]
	s_waitcnt lgkmcnt(1)
	v_mul_f64 v[88:89], v[64:65], v[28:29]
	v_mul_f64 v[90:91], v[62:63], v[28:29]
	;; [unrolled: 1-line block ×6, first 2 shown]
	v_fma_f64 v[104:105], v[58:59], v[66:67], -v[36:37]
	v_fma_f64 v[106:107], v[60:61], v[66:67], v[40:41]
	v_fma_f64 v[58:59], v[58:59], v[70:71], -v[96:97]
	v_fma_f64 v[60:61], v[60:61], v[70:71], v[112:113]
	;; [unrolled: 2-line block ×4, first 2 shown]
	ds_load_b128 v[4:7], v22 offset:2304
	ds_load_b128 v[8:11], v23 offset:64
	v_fma_f64 v[56:57], v[62:63], v[82:83], -v[56:57]
	v_add_f64 v[72:73], v[16:17], v[98:99]
	v_add_f64 v[74:75], v[18:19], v[100:101]
	v_add_f64 v[42:43], v[14:15], v[42:43]
	v_add_f64 v[44:45], v[12:13], v[44:45]
	v_add_f64 v[52:53], v[52:53], v[102:103]
	v_add_f64 v[50:51], v[54:55], v[50:51]
	v_add_f64 v[46:47], v[38:39], v[46:47]
	v_add_f64 v[48:49], v[34:35], v[48:49]
	ds_load_b128 v[12:15], v23 offset:2112
	ds_load_b128 v[16:19], v23 offset:80
	;; [unrolled: 1-line block ×4, first 2 shown]
	s_waitcnt lgkmcnt(4)
	v_mul_f64 v[54:55], v[10:11], v[32:33]
	v_mul_f64 v[76:77], v[8:9], v[32:33]
	;; [unrolled: 1-line block ×4, first 2 shown]
	v_fma_f64 v[86:87], v[64:65], v[82:83], v[86:87]
	v_fma_f64 v[62:63], v[62:63], v[26:27], -v[88:89]
	v_fma_f64 v[64:65], v[64:65], v[26:27], v[90:91]
	v_fma_f64 v[88:89], v[78:79], v[82:83], -v[92:93]
	;; [unrolled: 2-line block ×3, first 2 shown]
	v_fma_f64 v[80:81], v[80:81], v[26:27], v[28:29]
	s_waitcnt lgkmcnt(3)
	v_mul_f64 v[102:103], v[14:15], v[32:33]
	v_mul_f64 v[32:33], v[12:13], v[32:33]
	;; [unrolled: 1-line block ×4, first 2 shown]
	s_waitcnt lgkmcnt(0)
	v_mul_f64 v[90:91], v[18:19], v[40:41]
	v_mul_f64 v[92:93], v[16:17], v[40:41]
	v_add_f64 v[72:73], v[72:73], v[104:105]
	v_add_f64 v[74:75], v[74:75], v[106:107]
	;; [unrolled: 1-line block ×8, first 2 shown]
	ds_load_b128 v[26:29], v22 offset:2816
	ds_load_b128 v[42:45], v22 offset:3072
	;; [unrolled: 1-line block ×4, first 2 shown]
	v_mul_f64 v[104:105], v[36:37], v[40:41]
	v_mul_f64 v[40:41], v[34:35], v[40:41]
	v_fma_f64 v[54:55], v[8:9], v[30:31], -v[54:55]
	v_fma_f64 v[76:77], v[10:11], v[30:31], v[76:77]
	v_fma_f64 v[98:99], v[8:9], v[4:5], -v[98:99]
	v_fma_f64 v[100:101], v[10:11], v[4:5], v[100:101]
	s_waitcnt lgkmcnt(3)
	v_mul_f64 v[94:95], v[18:19], v[28:29]
	v_mul_f64 v[96:97], v[16:17], v[28:29]
	;; [unrolled: 1-line block ×4, first 2 shown]
	v_fma_f64 v[102:103], v[12:13], v[30:31], -v[102:103]
	v_fma_f64 v[32:33], v[14:15], v[30:31], v[32:33]
	v_fma_f64 v[108:109], v[12:13], v[4:5], -v[108:109]
	v_fma_f64 v[112:113], v[14:15], v[4:5], v[6:7]
	ds_load_b128 v[4:7], v23 offset:2144
	ds_load_b128 v[8:11], v23 offset:112
	;; [unrolled: 1-line block ×4, first 2 shown]
	v_add_f64 v[56:57], v[72:73], v[56:57]
	v_add_f64 v[72:73], v[74:75], v[86:87]
	;; [unrolled: 1-line block ×8, first 2 shown]
	s_waitcnt lgkmcnt(4)
	v_mul_f64 v[70:71], v[52:53], v[44:45]
	v_mul_f64 v[74:75], v[50:51], v[44:45]
	v_mul_f64 v[78:79], v[52:53], v[48:49]
	v_mul_f64 v[80:81], v[50:51], v[48:49]
	s_waitcnt lgkmcnt(3)
	v_mul_f64 v[82:83], v[6:7], v[44:45]
	v_mul_f64 v[44:45], v[4:5], v[44:45]
	;; [unrolled: 1-line block ×4, first 2 shown]
	v_fma_f64 v[86:87], v[16:17], v[38:39], -v[90:91]
	v_fma_f64 v[88:89], v[18:19], v[38:39], v[92:93]
	v_fma_f64 v[90:91], v[16:17], v[26:27], -v[94:95]
	v_fma_f64 v[92:93], v[18:19], v[26:27], v[96:97]
	;; [unrolled: 2-line block ×4, first 2 shown]
	ds_load_b128 v[16:19], v22 offset:3840
	s_waitcnt lgkmcnt(0)
	s_barrier
	buffer_gl0_inv
	v_add_f64 v[36:37], v[56:57], v[54:55]
	v_add_f64 v[40:41], v[72:73], v[76:77]
	;; [unrolled: 1-line block ×8, first 2 shown]
	v_mul_f64 v[64:65], v[10:11], v[30:31]
	v_mul_f64 v[66:67], v[8:9], v[30:31]
	v_mul_f64 v[76:77], v[14:15], v[30:31]
	v_mul_f64 v[30:31], v[12:13], v[30:31]
	v_fma_f64 v[70:71], v[50:51], v[42:43], -v[70:71]
	v_mul_f64 v[68:69], v[10:11], v[18:19]
	v_mul_f64 v[72:73], v[8:9], v[18:19]
	;; [unrolled: 1-line block ×4, first 2 shown]
	v_fma_f64 v[74:75], v[52:53], v[42:43], v[74:75]
	v_fma_f64 v[50:51], v[50:51], v[46:47], -v[78:79]
	v_fma_f64 v[52:53], v[52:53], v[46:47], v[80:81]
	v_fma_f64 v[78:79], v[4:5], v[42:43], -v[82:83]
	;; [unrolled: 2-line block ×3, first 2 shown]
	v_fma_f64 v[6:7], v[6:7], v[46:47], v[48:49]
	v_add_f64 v[36:37], v[36:37], v[86:87]
	v_add_f64 v[40:41], v[40:41], v[88:89]
	;; [unrolled: 1-line block ×8, first 2 shown]
	v_fma_f64 v[38:39], v[8:9], v[28:29], -v[64:65]
	v_fma_f64 v[54:55], v[10:11], v[28:29], v[66:67]
	v_fma_f64 v[56:57], v[12:13], v[28:29], -v[76:77]
	v_fma_f64 v[28:29], v[14:15], v[28:29], v[30:31]
	;; [unrolled: 2-line block ×4, first 2 shown]
	v_add_f64 v[12:13], v[36:37], v[70:71]
	v_add_f64 v[14:15], v[40:41], v[74:75]
	;; [unrolled: 1-line block ×16, first 2 shown]
	s_cbranch_vccz .LBB1627_2
.LBB1627_3:
	v_add_nc_u32_e32 v21, s19, v21
	s_load_b32 s4, s[0:1], 0x0
	s_delay_alu instid0(VALU_DEP_1) | instskip(SKIP_2) | instid1(VALU_DEP_3)
	v_ashrrev_i32_e32 v0, 31, v21
	v_mul_lo_u32 v3, v21, s7
	v_mad_u64_u32 v[1:2], null, v21, s6, 0
	v_mul_lo_u32 v0, v0, s6
	s_delay_alu instid0(VALU_DEP_1) | instskip(SKIP_1) | instid1(VALU_DEP_2)
	v_add3_u32 v2, v2, v3, v0
	v_add_nc_u32_e32 v0, s18, v20
	v_lshlrev_b64 v[1:2], 4, v[1:2]
	s_delay_alu instid0(VALU_DEP_2) | instskip(SKIP_2) | instid1(VALU_DEP_3)
	v_cmp_le_i32_e64 s0, v21, v0
	s_waitcnt lgkmcnt(0)
	v_cmp_gt_i32_e32 vcc_lo, s4, v0
	v_add_co_u32 v20, s1, s2, v1
	s_delay_alu instid0(VALU_DEP_1) | instskip(SKIP_1) | instid1(SALU_CYCLE_1)
	v_add_co_ci_u32_e64 v22, s1, s3, v2, s1
	s_and_b32 s0, s0, vcc_lo
	s_and_saveexec_b32 s1, s0
	s_cbranch_execz .LBB1627_5
; %bb.4:
	v_ashrrev_i32_e32 v1, 31, v0
	s_delay_alu instid0(VALU_DEP_1) | instskip(NEXT) | instid1(VALU_DEP_1)
	v_lshlrev_b64 v[1:2], 4, v[0:1]
	v_add_co_u32 v1, s0, v20, v1
	s_delay_alu instid0(VALU_DEP_1)
	v_add_co_ci_u32_e64 v2, s0, v22, v2, s0
	global_load_b128 v[23:26], v[1:2], off
	s_waitcnt vmcnt(0)
	v_add_f64 v[16:17], v[16:17], -v[23:24]
	v_add_f64 v[18:19], v[18:19], -v[25:26]
	global_store_b128 v[1:2], v[16:19], off
.LBB1627_5:
	s_or_b32 exec_lo, exec_lo, s1
	v_add_nc_u32_e32 v2, 16, v0
	s_delay_alu instid0(VALU_DEP_1) | instskip(SKIP_1) | instid1(VALU_DEP_1)
	v_cmp_le_i32_e64 s1, v21, v2
	v_cmp_gt_i32_e64 s0, s4, v2
	s_and_b32 s1, s1, s0
	s_delay_alu instid0(SALU_CYCLE_1)
	s_and_saveexec_b32 s4, s1
	s_cbranch_execz .LBB1627_7
; %bb.6:
	v_ashrrev_i32_e32 v3, 31, v2
	s_delay_alu instid0(VALU_DEP_1) | instskip(NEXT) | instid1(VALU_DEP_1)
	v_lshlrev_b64 v[16:17], 4, v[2:3]
	v_add_co_u32 v23, s1, v20, v16
	s_delay_alu instid0(VALU_DEP_1)
	v_add_co_ci_u32_e64 v24, s1, v22, v17, s1
	global_load_b128 v[16:19], v[23:24], off
	s_waitcnt vmcnt(0)
	v_add_f64 v[14:15], v[14:15], -v[16:17]
	v_add_f64 v[16:17], v[12:13], -v[18:19]
	global_store_b128 v[23:24], v[14:17], off
.LBB1627_7:
	s_or_b32 exec_lo, exec_lo, s4
	v_add_nc_u32_e32 v3, 16, v21
	s_delay_alu instid0(VALU_DEP_1) | instskip(SKIP_3) | instid1(VALU_DEP_4)
	v_ashrrev_i32_e32 v1, 31, v3
	v_mul_lo_u32 v14, v3, s7
	v_mad_u64_u32 v[12:13], null, v3, s6, 0
	v_cmp_le_i32_e64 s1, v3, v0
	v_mul_lo_u32 v1, v1, s6
	s_delay_alu instid0(VALU_DEP_1) | instskip(NEXT) | instid1(VALU_DEP_1)
	v_add3_u32 v13, v13, v14, v1
	v_lshlrev_b64 v[12:13], 4, v[12:13]
	s_delay_alu instid0(VALU_DEP_1) | instskip(NEXT) | instid1(VALU_DEP_1)
	v_add_co_u32 v12, s2, s2, v12
	v_add_co_ci_u32_e64 v13, s2, s3, v13, s2
	s_and_b32 s2, s1, vcc_lo
	s_delay_alu instid0(SALU_CYCLE_1)
	s_and_saveexec_b32 s1, s2
	s_cbranch_execz .LBB1627_9
; %bb.8:
	v_ashrrev_i32_e32 v1, 31, v0
	s_delay_alu instid0(VALU_DEP_1) | instskip(NEXT) | instid1(VALU_DEP_1)
	v_lshlrev_b64 v[0:1], 4, v[0:1]
	v_add_co_u32 v0, vcc_lo, v12, v0
	s_delay_alu instid0(VALU_DEP_2)
	v_add_co_ci_u32_e32 v1, vcc_lo, v13, v1, vcc_lo
	global_load_b128 v[14:17], v[0:1], off
	s_waitcnt vmcnt(0)
	v_add_f64 v[14:15], v[10:11], -v[14:15]
	v_add_f64 v[16:17], v[8:9], -v[16:17]
	global_store_b128 v[0:1], v[14:17], off
.LBB1627_9:
	s_or_b32 exec_lo, exec_lo, s1
	v_cmp_le_i32_e32 vcc_lo, v3, v2
	s_and_b32 s0, vcc_lo, s0
	s_delay_alu instid0(SALU_CYCLE_1)
	s_and_saveexec_b32 s1, s0
	s_cbranch_execz .LBB1627_11
; %bb.10:
	v_ashrrev_i32_e32 v3, 31, v2
	s_delay_alu instid0(VALU_DEP_1) | instskip(NEXT) | instid1(VALU_DEP_1)
	v_lshlrev_b64 v[0:1], 4, v[2:3]
	v_add_co_u32 v8, vcc_lo, v12, v0
	s_delay_alu instid0(VALU_DEP_2)
	v_add_co_ci_u32_e32 v9, vcc_lo, v13, v1, vcc_lo
	global_load_b128 v[0:3], v[8:9], off
	s_waitcnt vmcnt(0)
	v_add_f64 v[0:1], v[6:7], -v[0:1]
	v_add_f64 v[2:3], v[4:5], -v[2:3]
	global_store_b128 v[8:9], v[0:3], off
.LBB1627_11:
	s_nop 0
	s_sendmsg sendmsg(MSG_DEALLOC_VGPRS)
	s_endpgm
	.section	.rodata,"a",@progbits
	.p2align	6, 0x0
	.amdhsa_kernel _ZL37rocblas_syrkx_herkx_restricted_kernelIl19rocblas_complex_numIdELi16ELi32ELi8ELi1ELin1ELb0ELc78ELc76EKPKS1_KPS1_EviT_PT9_S7_lS9_S7_lPT10_S7_li
		.amdhsa_group_segment_fixed_size 8192
		.amdhsa_private_segment_fixed_size 0
		.amdhsa_kernarg_size 92
		.amdhsa_user_sgpr_count 13
		.amdhsa_user_sgpr_dispatch_ptr 0
		.amdhsa_user_sgpr_queue_ptr 0
		.amdhsa_user_sgpr_kernarg_segment_ptr 1
		.amdhsa_user_sgpr_dispatch_id 0
		.amdhsa_user_sgpr_private_segment_size 0
		.amdhsa_wavefront_size32 1
		.amdhsa_uses_dynamic_stack 0
		.amdhsa_enable_private_segment 0
		.amdhsa_system_sgpr_workgroup_id_x 1
		.amdhsa_system_sgpr_workgroup_id_y 1
		.amdhsa_system_sgpr_workgroup_id_z 1
		.amdhsa_system_sgpr_workgroup_info 0
		.amdhsa_system_vgpr_workitem_id 1
		.amdhsa_next_free_vgpr 118
		.amdhsa_next_free_sgpr 20
		.amdhsa_reserve_vcc 1
		.amdhsa_float_round_mode_32 0
		.amdhsa_float_round_mode_16_64 0
		.amdhsa_float_denorm_mode_32 3
		.amdhsa_float_denorm_mode_16_64 3
		.amdhsa_dx10_clamp 1
		.amdhsa_ieee_mode 1
		.amdhsa_fp16_overflow 0
		.amdhsa_workgroup_processor_mode 1
		.amdhsa_memory_ordered 1
		.amdhsa_forward_progress 0
		.amdhsa_shared_vgpr_count 0
		.amdhsa_exception_fp_ieee_invalid_op 0
		.amdhsa_exception_fp_denorm_src 0
		.amdhsa_exception_fp_ieee_div_zero 0
		.amdhsa_exception_fp_ieee_overflow 0
		.amdhsa_exception_fp_ieee_underflow 0
		.amdhsa_exception_fp_ieee_inexact 0
		.amdhsa_exception_int_div_zero 0
	.end_amdhsa_kernel
	.section	.text._ZL37rocblas_syrkx_herkx_restricted_kernelIl19rocblas_complex_numIdELi16ELi32ELi8ELi1ELin1ELb0ELc78ELc76EKPKS1_KPS1_EviT_PT9_S7_lS9_S7_lPT10_S7_li,"axG",@progbits,_ZL37rocblas_syrkx_herkx_restricted_kernelIl19rocblas_complex_numIdELi16ELi32ELi8ELi1ELin1ELb0ELc78ELc76EKPKS1_KPS1_EviT_PT9_S7_lS9_S7_lPT10_S7_li,comdat
.Lfunc_end1627:
	.size	_ZL37rocblas_syrkx_herkx_restricted_kernelIl19rocblas_complex_numIdELi16ELi32ELi8ELi1ELin1ELb0ELc78ELc76EKPKS1_KPS1_EviT_PT9_S7_lS9_S7_lPT10_S7_li, .Lfunc_end1627-_ZL37rocblas_syrkx_herkx_restricted_kernelIl19rocblas_complex_numIdELi16ELi32ELi8ELi1ELin1ELb0ELc78ELc76EKPKS1_KPS1_EviT_PT9_S7_lS9_S7_lPT10_S7_li
                                        ; -- End function
	.section	.AMDGPU.csdata,"",@progbits
; Kernel info:
; codeLenInByte = 3080
; NumSgprs: 22
; NumVgprs: 118
; ScratchSize: 0
; MemoryBound: 0
; FloatMode: 240
; IeeeMode: 1
; LDSByteSize: 8192 bytes/workgroup (compile time only)
; SGPRBlocks: 2
; VGPRBlocks: 14
; NumSGPRsForWavesPerEU: 22
; NumVGPRsForWavesPerEU: 118
; Occupancy: 12
; WaveLimiterHint : 1
; COMPUTE_PGM_RSRC2:SCRATCH_EN: 0
; COMPUTE_PGM_RSRC2:USER_SGPR: 13
; COMPUTE_PGM_RSRC2:TRAP_HANDLER: 0
; COMPUTE_PGM_RSRC2:TGID_X_EN: 1
; COMPUTE_PGM_RSRC2:TGID_Y_EN: 1
; COMPUTE_PGM_RSRC2:TGID_Z_EN: 1
; COMPUTE_PGM_RSRC2:TIDIG_COMP_CNT: 1
	.section	.text._ZL37rocblas_syrkx_herkx_restricted_kernelIl19rocblas_complex_numIdELi16ELi32ELi8ELi1ELin1ELb0ELc84ELc85EKPKS1_KPS1_EviT_PT9_S7_lS9_S7_lPT10_S7_li,"axG",@progbits,_ZL37rocblas_syrkx_herkx_restricted_kernelIl19rocblas_complex_numIdELi16ELi32ELi8ELi1ELin1ELb0ELc84ELc85EKPKS1_KPS1_EviT_PT9_S7_lS9_S7_lPT10_S7_li,comdat
	.globl	_ZL37rocblas_syrkx_herkx_restricted_kernelIl19rocblas_complex_numIdELi16ELi32ELi8ELi1ELin1ELb0ELc84ELc85EKPKS1_KPS1_EviT_PT9_S7_lS9_S7_lPT10_S7_li ; -- Begin function _ZL37rocblas_syrkx_herkx_restricted_kernelIl19rocblas_complex_numIdELi16ELi32ELi8ELi1ELin1ELb0ELc84ELc85EKPKS1_KPS1_EviT_PT9_S7_lS9_S7_lPT10_S7_li
	.p2align	8
	.type	_ZL37rocblas_syrkx_herkx_restricted_kernelIl19rocblas_complex_numIdELi16ELi32ELi8ELi1ELin1ELb0ELc84ELc85EKPKS1_KPS1_EviT_PT9_S7_lS9_S7_lPT10_S7_li,@function
_ZL37rocblas_syrkx_herkx_restricted_kernelIl19rocblas_complex_numIdELi16ELi32ELi8ELi1ELin1ELb0ELc84ELc85EKPKS1_KPS1_EviT_PT9_S7_lS9_S7_lPT10_S7_li: ; @_ZL37rocblas_syrkx_herkx_restricted_kernelIl19rocblas_complex_numIdELi16ELi32ELi8ELi1ELin1ELb0ELc84ELc85EKPKS1_KPS1_EviT_PT9_S7_lS9_S7_lPT10_S7_li
; %bb.0:
	s_clause 0x1
	s_load_b128 s[4:7], s[0:1], 0x40
	s_load_b128 s[8:11], s[0:1], 0x8
	s_mov_b32 s2, s15
	s_mov_b32 s3, 0
	v_mov_b32_e32 v16, 0
	s_lshl_b64 s[16:17], s[2:3], 3
	v_dual_mov_b32 v17, 0 :: v_dual_and_b32 v20, 0x3ff, v0
	v_bfe_u32 v21, v0, 10, 10
	s_delay_alu instid0(VALU_DEP_3) | instskip(NEXT) | instid1(VALU_DEP_3)
	v_mov_b32_e32 v14, v16
	v_dual_mov_b32 v12, v16 :: v_dual_mov_b32 v13, v17
	v_dual_mov_b32 v19, v17 :: v_dual_mov_b32 v18, v16
	;; [unrolled: 1-line block ×5, first 2 shown]
	v_mov_b32_e32 v7, v17
	s_waitcnt lgkmcnt(0)
	s_add_u32 s2, s4, s16
	s_addc_u32 s3, s5, s17
	v_cmp_lt_i64_e64 s4, s[8:9], 1
	s_load_b64 s[2:3], s[2:3], 0x0
	v_dual_mov_b32 v4, v16 :: v_dual_mov_b32 v5, v17
	s_lshl_b32 s18, s13, 5
	s_lshl_b32 s19, s14, 5
	s_delay_alu instid0(VALU_DEP_2)
	s_and_b32 vcc_lo, exec_lo, s4
	s_cbranch_vccnz .LBB1628_3
; %bb.1:
	s_clause 0x1
	s_load_b128 s[12:15], s[0:1], 0x28
	s_load_b64 s[4:5], s[0:1], 0x18
	v_lshl_add_u32 v2, v21, 4, v20
	v_dual_mov_b32 v1, 0 :: v_dual_and_b32 v0, 7, v20
	s_add_u32 s10, s10, s16
	s_addc_u32 s11, s11, s17
	s_delay_alu instid0(VALU_DEP_2)
	v_lshrrev_b32_e32 v8, 3, v2
	v_and_b32_e32 v9, 31, v2
	v_lshrrev_b32_e32 v2, 5, v2
	v_mov_b32_e32 v3, v1
	s_load_b64 s[10:11], s[10:11], 0x0
	v_add_nc_u32_e32 v10, s19, v8
	v_add_nc_u32_e32 v6, s18, v9
	v_lshl_add_u32 v23, v21, 7, 0x1000
	s_delay_alu instid0(VALU_DEP_3) | instskip(NEXT) | instid1(VALU_DEP_3)
	v_ashrrev_i32_e32 v4, 31, v10
	v_ashrrev_i32_e32 v5, 31, v6
	s_waitcnt lgkmcnt(0)
	s_add_u32 s12, s12, s16
	s_addc_u32 s13, s13, s17
	v_mul_lo_u32 v11, v4, s14
	v_mul_lo_u32 v12, s4, v5
	v_mad_u64_u32 v[4:5], null, s4, v6, v[2:3]
	v_mul_lo_u32 v3, s5, v6
	s_load_b64 s[4:5], s[12:13], 0x0
	v_mul_lo_u32 v13, v10, s15
	v_mad_u64_u32 v[6:7], null, v10, s14, v[0:1]
	v_lshlrev_b32_e32 v0, 4, v0
	s_delay_alu instid0(VALU_DEP_4) | instskip(NEXT) | instid1(VALU_DEP_2)
	v_add3_u32 v5, v3, v5, v12
	v_lshl_or_b32 v8, v8, 7, v0
	s_delay_alu instid0(VALU_DEP_4) | instskip(NEXT) | instid1(VALU_DEP_3)
	v_add3_u32 v7, v11, v7, v13
	v_lshlrev_b64 v[0:1], 4, v[4:5]
	v_mov_b32_e32 v4, 0
	v_mov_b32_e32 v5, 0
	v_lshlrev_b32_e32 v3, 4, v9
	v_lshlrev_b32_e32 v22, 4, v20
	v_add_nc_u32_e32 v25, 0x1000, v8
	v_add_co_u32 v0, vcc_lo, v0, s10
	s_delay_alu instid0(VALU_DEP_4)
	v_lshl_or_b32 v24, v2, 9, v3
	v_lshlrev_b64 v[2:3], 4, v[6:7]
	v_add_co_ci_u32_e32 v1, vcc_lo, s11, v1, vcc_lo
	v_mov_b32_e32 v7, v5
	v_dual_mov_b32 v9, v5 :: v_dual_mov_b32 v8, v4
	s_waitcnt lgkmcnt(0)
	s_delay_alu instid0(VALU_DEP_4) | instskip(SKIP_3) | instid1(VALU_DEP_4)
	v_add_co_u32 v2, vcc_lo, v2, s4
	v_add_co_ci_u32_e32 v3, vcc_lo, s5, v3, vcc_lo
	v_add_co_u32 v0, vcc_lo, v0, 8
	v_add_co_ci_u32_e32 v1, vcc_lo, 0, v1, vcc_lo
	v_add_co_u32 v2, vcc_lo, v2, 8
	s_delay_alu instid0(VALU_DEP_4)
	v_add_co_ci_u32_e32 v3, vcc_lo, 0, v3, vcc_lo
	v_dual_mov_b32 v6, v4 :: v_dual_mov_b32 v11, v5
	v_dual_mov_b32 v10, v4 :: v_dual_mov_b32 v13, v5
	;; [unrolled: 1-line block ×5, first 2 shown]
	v_mov_b32_e32 v16, v4
	s_mov_b64 s[4:5], 0
.LBB1628_2:                             ; =>This Inner Loop Header: Depth=1
	global_load_b128 v[26:29], v[0:1], off offset:-8
	global_load_b128 v[30:33], v[2:3], off offset:-8
	s_add_u32 s4, s4, 8
	v_add_co_u32 v0, vcc_lo, 0x80, v0
	s_addc_u32 s5, s5, 0
	v_add_co_ci_u32_e32 v1, vcc_lo, 0, v1, vcc_lo
	v_cmp_ge_u64_e64 s10, s[4:5], s[8:9]
	v_add_co_u32 v2, vcc_lo, 0x80, v2
	v_add_co_ci_u32_e32 v3, vcc_lo, 0, v3, vcc_lo
	s_waitcnt vmcnt(1)
	ds_store_b128 v24, v[26:29]
	s_waitcnt vmcnt(0)
	ds_store_b128 v25, v[30:33]
	s_waitcnt lgkmcnt(0)
	s_barrier
	buffer_gl0_inv
	ds_load_b128 v[26:29], v23
	ds_load_b128 v[30:33], v22
	ds_load_b128 v[34:37], v22 offset:256
	ds_load_b128 v[38:41], v23 offset:2048
	;; [unrolled: 1-line block ×13, first 2 shown]
	s_and_b32 vcc_lo, exec_lo, s10
	s_waitcnt lgkmcnt(13)
	v_mul_f64 v[86:87], v[28:29], v[32:33]
	v_mul_f64 v[88:89], v[26:27], v[32:33]
	s_waitcnt lgkmcnt(12)
	v_mul_f64 v[90:91], v[28:29], v[36:37]
	v_mul_f64 v[92:93], v[26:27], v[36:37]
	;; [unrolled: 3-line block ×3, first 2 shown]
	v_mul_f64 v[96:97], v[40:41], v[36:37]
	v_mul_f64 v[36:37], v[38:39], v[36:37]
	s_waitcnt lgkmcnt(8)
	v_mul_f64 v[98:99], v[44:45], v[52:53]
	v_mul_f64 v[100:101], v[42:43], v[52:53]
	s_waitcnt lgkmcnt(7)
	v_mul_f64 v[102:103], v[44:45], v[56:57]
	v_mul_f64 v[104:105], v[42:43], v[56:57]
	;; [unrolled: 1-line block ×6, first 2 shown]
	s_waitcnt lgkmcnt(3)
	v_mul_f64 v[112:113], v[58:59], v[72:73]
	s_waitcnt lgkmcnt(2)
	v_mul_f64 v[114:115], v[76:77], v[68:69]
	v_mul_f64 v[116:117], v[76:77], v[72:73]
	v_fma_f64 v[86:87], v[26:27], v[30:31], -v[86:87]
	v_fma_f64 v[88:89], v[28:29], v[30:31], v[88:89]
	v_fma_f64 v[90:91], v[26:27], v[34:35], -v[90:91]
	v_fma_f64 v[92:93], v[28:29], v[34:35], v[92:93]
	;; [unrolled: 2-line block ×4, first 2 shown]
	v_mul_f64 v[36:37], v[60:61], v[68:69]
	v_mul_f64 v[40:41], v[58:59], v[68:69]
	v_mul_f64 v[96:97], v[60:61], v[72:73]
	v_mul_f64 v[68:69], v[74:75], v[68:69]
	v_mul_f64 v[72:73], v[74:75], v[72:73]
	v_fma_f64 v[98:99], v[42:43], v[50:51], -v[98:99]
	v_fma_f64 v[100:101], v[44:45], v[50:51], v[100:101]
	v_fma_f64 v[42:43], v[42:43], v[54:55], -v[102:103]
	v_fma_f64 v[44:45], v[44:45], v[54:55], v[104:105]
	;; [unrolled: 2-line block ×4, first 2 shown]
	ds_load_b128 v[26:29], v22 offset:1792
	ds_load_b128 v[30:33], v22 offset:2048
	s_waitcnt lgkmcnt(2)
	v_mul_f64 v[56:57], v[64:65], v[84:85]
	v_add_f64 v[16:17], v[16:17], v[86:87]
	v_add_f64 v[18:19], v[18:19], v[88:89]
	;; [unrolled: 1-line block ×8, first 2 shown]
	v_mul_f64 v[86:87], v[62:63], v[84:85]
	s_waitcnt lgkmcnt(1)
	v_mul_f64 v[88:89], v[64:65], v[28:29]
	v_mul_f64 v[90:91], v[62:63], v[28:29]
	;; [unrolled: 1-line block ×6, first 2 shown]
	v_fma_f64 v[104:105], v[58:59], v[66:67], -v[36:37]
	v_fma_f64 v[106:107], v[60:61], v[66:67], v[40:41]
	v_fma_f64 v[58:59], v[58:59], v[70:71], -v[96:97]
	v_fma_f64 v[60:61], v[60:61], v[70:71], v[112:113]
	;; [unrolled: 2-line block ×4, first 2 shown]
	ds_load_b128 v[4:7], v22 offset:2304
	ds_load_b128 v[8:11], v23 offset:64
	v_fma_f64 v[56:57], v[62:63], v[82:83], -v[56:57]
	v_add_f64 v[72:73], v[16:17], v[98:99]
	v_add_f64 v[74:75], v[18:19], v[100:101]
	;; [unrolled: 1-line block ×8, first 2 shown]
	ds_load_b128 v[12:15], v23 offset:2112
	ds_load_b128 v[16:19], v23 offset:80
	;; [unrolled: 1-line block ×4, first 2 shown]
	s_waitcnt lgkmcnt(4)
	v_mul_f64 v[54:55], v[10:11], v[32:33]
	v_mul_f64 v[76:77], v[8:9], v[32:33]
	;; [unrolled: 1-line block ×4, first 2 shown]
	v_fma_f64 v[86:87], v[64:65], v[82:83], v[86:87]
	v_fma_f64 v[62:63], v[62:63], v[26:27], -v[88:89]
	v_fma_f64 v[64:65], v[64:65], v[26:27], v[90:91]
	v_fma_f64 v[88:89], v[78:79], v[82:83], -v[92:93]
	;; [unrolled: 2-line block ×3, first 2 shown]
	v_fma_f64 v[80:81], v[80:81], v[26:27], v[28:29]
	s_waitcnt lgkmcnt(3)
	v_mul_f64 v[102:103], v[14:15], v[32:33]
	v_mul_f64 v[32:33], v[12:13], v[32:33]
	;; [unrolled: 1-line block ×4, first 2 shown]
	s_waitcnt lgkmcnt(0)
	v_mul_f64 v[90:91], v[18:19], v[40:41]
	v_mul_f64 v[92:93], v[16:17], v[40:41]
	v_add_f64 v[72:73], v[72:73], v[104:105]
	v_add_f64 v[74:75], v[74:75], v[106:107]
	v_add_f64 v[58:59], v[42:43], v[58:59]
	v_add_f64 v[60:61], v[44:45], v[60:61]
	v_add_f64 v[84:85], v[52:53], v[96:97]
	v_add_f64 v[66:67], v[50:51], v[66:67]
	v_add_f64 v[68:69], v[46:47], v[68:69]
	v_add_f64 v[70:71], v[48:49], v[70:71]
	ds_load_b128 v[26:29], v22 offset:2816
	ds_load_b128 v[42:45], v22 offset:3072
	ds_load_b128 v[46:49], v22 offset:3328
	ds_load_b128 v[50:53], v23 offset:96
	v_mul_f64 v[104:105], v[36:37], v[40:41]
	v_mul_f64 v[40:41], v[34:35], v[40:41]
	v_fma_f64 v[54:55], v[8:9], v[30:31], -v[54:55]
	v_fma_f64 v[76:77], v[10:11], v[30:31], v[76:77]
	v_fma_f64 v[98:99], v[8:9], v[4:5], -v[98:99]
	v_fma_f64 v[100:101], v[10:11], v[4:5], v[100:101]
	s_waitcnt lgkmcnt(3)
	v_mul_f64 v[94:95], v[18:19], v[28:29]
	v_mul_f64 v[96:97], v[16:17], v[28:29]
	v_mul_f64 v[106:107], v[36:37], v[28:29]
	v_mul_f64 v[110:111], v[34:35], v[28:29]
	v_fma_f64 v[102:103], v[12:13], v[30:31], -v[102:103]
	v_fma_f64 v[32:33], v[14:15], v[30:31], v[32:33]
	v_fma_f64 v[108:109], v[12:13], v[4:5], -v[108:109]
	v_fma_f64 v[112:113], v[14:15], v[4:5], v[6:7]
	ds_load_b128 v[4:7], v23 offset:2144
	ds_load_b128 v[8:11], v23 offset:112
	;; [unrolled: 1-line block ×4, first 2 shown]
	v_add_f64 v[56:57], v[72:73], v[56:57]
	v_add_f64 v[72:73], v[74:75], v[86:87]
	;; [unrolled: 1-line block ×8, first 2 shown]
	s_waitcnt lgkmcnt(4)
	v_mul_f64 v[70:71], v[52:53], v[44:45]
	v_mul_f64 v[74:75], v[50:51], v[44:45]
	;; [unrolled: 1-line block ×4, first 2 shown]
	s_waitcnt lgkmcnt(3)
	v_mul_f64 v[82:83], v[6:7], v[44:45]
	v_mul_f64 v[44:45], v[4:5], v[44:45]
	;; [unrolled: 1-line block ×4, first 2 shown]
	v_fma_f64 v[86:87], v[16:17], v[38:39], -v[90:91]
	v_fma_f64 v[88:89], v[18:19], v[38:39], v[92:93]
	v_fma_f64 v[90:91], v[16:17], v[26:27], -v[94:95]
	v_fma_f64 v[92:93], v[18:19], v[26:27], v[96:97]
	;; [unrolled: 2-line block ×4, first 2 shown]
	ds_load_b128 v[16:19], v22 offset:3840
	s_waitcnt lgkmcnt(0)
	s_barrier
	buffer_gl0_inv
	v_add_f64 v[36:37], v[56:57], v[54:55]
	v_add_f64 v[40:41], v[72:73], v[76:77]
	;; [unrolled: 1-line block ×8, first 2 shown]
	v_mul_f64 v[64:65], v[10:11], v[30:31]
	v_mul_f64 v[66:67], v[8:9], v[30:31]
	v_mul_f64 v[76:77], v[14:15], v[30:31]
	v_mul_f64 v[30:31], v[12:13], v[30:31]
	v_fma_f64 v[70:71], v[50:51], v[42:43], -v[70:71]
	v_mul_f64 v[68:69], v[10:11], v[18:19]
	v_mul_f64 v[72:73], v[8:9], v[18:19]
	;; [unrolled: 1-line block ×4, first 2 shown]
	v_fma_f64 v[74:75], v[52:53], v[42:43], v[74:75]
	v_fma_f64 v[50:51], v[50:51], v[46:47], -v[78:79]
	v_fma_f64 v[52:53], v[52:53], v[46:47], v[80:81]
	v_fma_f64 v[78:79], v[4:5], v[42:43], -v[82:83]
	;; [unrolled: 2-line block ×3, first 2 shown]
	v_fma_f64 v[6:7], v[6:7], v[46:47], v[48:49]
	v_add_f64 v[36:37], v[36:37], v[86:87]
	v_add_f64 v[40:41], v[40:41], v[88:89]
	;; [unrolled: 1-line block ×8, first 2 shown]
	v_fma_f64 v[38:39], v[8:9], v[28:29], -v[64:65]
	v_fma_f64 v[54:55], v[10:11], v[28:29], v[66:67]
	v_fma_f64 v[56:57], v[12:13], v[28:29], -v[76:77]
	v_fma_f64 v[28:29], v[14:15], v[28:29], v[30:31]
	;; [unrolled: 2-line block ×4, first 2 shown]
	v_add_f64 v[12:13], v[36:37], v[70:71]
	v_add_f64 v[14:15], v[40:41], v[74:75]
	;; [unrolled: 1-line block ×16, first 2 shown]
	s_cbranch_vccz .LBB1628_2
.LBB1628_3:
	v_add_nc_u32_e32 v21, s19, v21
	s_load_b32 s4, s[0:1], 0x0
	s_delay_alu instid0(VALU_DEP_1) | instskip(SKIP_2) | instid1(VALU_DEP_3)
	v_ashrrev_i32_e32 v0, 31, v21
	v_mul_lo_u32 v3, v21, s7
	v_mad_u64_u32 v[1:2], null, v21, s6, 0
	v_mul_lo_u32 v0, v0, s6
	s_delay_alu instid0(VALU_DEP_1) | instskip(SKIP_3) | instid1(VALU_DEP_3)
	v_add3_u32 v2, v2, v3, v0
	v_add_nc_u32_e32 v0, s18, v20
	s_waitcnt lgkmcnt(0)
	v_cmp_gt_i32_e32 vcc_lo, s4, v21
	v_lshlrev_b64 v[1:2], 4, v[1:2]
	s_delay_alu instid0(VALU_DEP_3) | instskip(NEXT) | instid1(VALU_DEP_1)
	v_cmp_le_i32_e64 s0, v0, v21
	s_and_b32 s0, vcc_lo, s0
	s_delay_alu instid0(VALU_DEP_2) | instskip(NEXT) | instid1(VALU_DEP_1)
	v_add_co_u32 v20, s1, s2, v1
	v_add_co_ci_u32_e64 v22, s1, s3, v2, s1
	s_and_saveexec_b32 s1, s0
	s_cbranch_execz .LBB1628_5
; %bb.4:
	v_ashrrev_i32_e32 v1, 31, v0
	s_delay_alu instid0(VALU_DEP_1) | instskip(NEXT) | instid1(VALU_DEP_1)
	v_lshlrev_b64 v[1:2], 4, v[0:1]
	v_add_co_u32 v1, s0, v20, v1
	s_delay_alu instid0(VALU_DEP_1)
	v_add_co_ci_u32_e64 v2, s0, v22, v2, s0
	global_load_b128 v[23:26], v[1:2], off
	s_waitcnt vmcnt(0)
	v_add_f64 v[16:17], v[16:17], -v[23:24]
	v_add_f64 v[18:19], v[18:19], -v[25:26]
	global_store_b128 v[1:2], v[16:19], off
.LBB1628_5:
	s_or_b32 exec_lo, exec_lo, s1
	v_add_nc_u32_e32 v2, 16, v0
	s_delay_alu instid0(VALU_DEP_1) | instskip(NEXT) | instid1(VALU_DEP_1)
	v_cmp_le_i32_e64 s0, v2, v21
	s_and_b32 s1, vcc_lo, s0
	s_delay_alu instid0(SALU_CYCLE_1)
	s_and_saveexec_b32 s0, s1
	s_cbranch_execz .LBB1628_7
; %bb.6:
	v_ashrrev_i32_e32 v3, 31, v2
	s_delay_alu instid0(VALU_DEP_1) | instskip(NEXT) | instid1(VALU_DEP_1)
	v_lshlrev_b64 v[16:17], 4, v[2:3]
	v_add_co_u32 v23, vcc_lo, v20, v16
	s_delay_alu instid0(VALU_DEP_2)
	v_add_co_ci_u32_e32 v24, vcc_lo, v22, v17, vcc_lo
	global_load_b128 v[16:19], v[23:24], off
	s_waitcnt vmcnt(0)
	v_add_f64 v[14:15], v[14:15], -v[16:17]
	v_add_f64 v[16:17], v[12:13], -v[18:19]
	global_store_b128 v[23:24], v[14:17], off
.LBB1628_7:
	s_or_b32 exec_lo, exec_lo, s0
	v_add_nc_u32_e32 v3, 16, v21
	s_delay_alu instid0(VALU_DEP_1) | instskip(SKIP_3) | instid1(VALU_DEP_4)
	v_ashrrev_i32_e32 v1, 31, v3
	v_mul_lo_u32 v14, v3, s7
	v_mad_u64_u32 v[12:13], null, v3, s6, 0
	v_cmp_gt_i32_e32 vcc_lo, s4, v3
	v_mul_lo_u32 v1, v1, s6
	v_cmp_le_i32_e64 s0, v0, v3
	s_delay_alu instid0(VALU_DEP_1) | instskip(NEXT) | instid1(VALU_DEP_2)
	s_and_b32 s0, vcc_lo, s0
	v_add3_u32 v13, v13, v14, v1
	s_delay_alu instid0(VALU_DEP_1) | instskip(NEXT) | instid1(VALU_DEP_1)
	v_lshlrev_b64 v[12:13], 4, v[12:13]
	v_add_co_u32 v12, s1, s2, v12
	s_delay_alu instid0(VALU_DEP_1)
	v_add_co_ci_u32_e64 v13, s1, s3, v13, s1
	s_and_saveexec_b32 s1, s0
	s_cbranch_execz .LBB1628_9
; %bb.8:
	v_ashrrev_i32_e32 v1, 31, v0
	s_delay_alu instid0(VALU_DEP_1) | instskip(NEXT) | instid1(VALU_DEP_1)
	v_lshlrev_b64 v[0:1], 4, v[0:1]
	v_add_co_u32 v0, s0, v12, v0
	s_delay_alu instid0(VALU_DEP_1)
	v_add_co_ci_u32_e64 v1, s0, v13, v1, s0
	global_load_b128 v[14:17], v[0:1], off
	s_waitcnt vmcnt(0)
	v_add_f64 v[14:15], v[10:11], -v[14:15]
	v_add_f64 v[16:17], v[8:9], -v[16:17]
	global_store_b128 v[0:1], v[14:17], off
.LBB1628_9:
	s_or_b32 exec_lo, exec_lo, s1
	v_cmp_le_i32_e64 s0, v2, v3
	s_delay_alu instid0(VALU_DEP_1) | instskip(NEXT) | instid1(SALU_CYCLE_1)
	s_and_b32 s0, vcc_lo, s0
	s_and_saveexec_b32 s1, s0
	s_cbranch_execz .LBB1628_11
; %bb.10:
	v_ashrrev_i32_e32 v3, 31, v2
	s_delay_alu instid0(VALU_DEP_1) | instskip(NEXT) | instid1(VALU_DEP_1)
	v_lshlrev_b64 v[0:1], 4, v[2:3]
	v_add_co_u32 v8, vcc_lo, v12, v0
	s_delay_alu instid0(VALU_DEP_2)
	v_add_co_ci_u32_e32 v9, vcc_lo, v13, v1, vcc_lo
	global_load_b128 v[0:3], v[8:9], off
	s_waitcnt vmcnt(0)
	v_add_f64 v[0:1], v[6:7], -v[0:1]
	v_add_f64 v[2:3], v[4:5], -v[2:3]
	global_store_b128 v[8:9], v[0:3], off
.LBB1628_11:
	s_nop 0
	s_sendmsg sendmsg(MSG_DEALLOC_VGPRS)
	s_endpgm
	.section	.rodata,"a",@progbits
	.p2align	6, 0x0
	.amdhsa_kernel _ZL37rocblas_syrkx_herkx_restricted_kernelIl19rocblas_complex_numIdELi16ELi32ELi8ELi1ELin1ELb0ELc84ELc85EKPKS1_KPS1_EviT_PT9_S7_lS9_S7_lPT10_S7_li
		.amdhsa_group_segment_fixed_size 8192
		.amdhsa_private_segment_fixed_size 0
		.amdhsa_kernarg_size 92
		.amdhsa_user_sgpr_count 13
		.amdhsa_user_sgpr_dispatch_ptr 0
		.amdhsa_user_sgpr_queue_ptr 0
		.amdhsa_user_sgpr_kernarg_segment_ptr 1
		.amdhsa_user_sgpr_dispatch_id 0
		.amdhsa_user_sgpr_private_segment_size 0
		.amdhsa_wavefront_size32 1
		.amdhsa_uses_dynamic_stack 0
		.amdhsa_enable_private_segment 0
		.amdhsa_system_sgpr_workgroup_id_x 1
		.amdhsa_system_sgpr_workgroup_id_y 1
		.amdhsa_system_sgpr_workgroup_id_z 1
		.amdhsa_system_sgpr_workgroup_info 0
		.amdhsa_system_vgpr_workitem_id 1
		.amdhsa_next_free_vgpr 118
		.amdhsa_next_free_sgpr 20
		.amdhsa_reserve_vcc 1
		.amdhsa_float_round_mode_32 0
		.amdhsa_float_round_mode_16_64 0
		.amdhsa_float_denorm_mode_32 3
		.amdhsa_float_denorm_mode_16_64 3
		.amdhsa_dx10_clamp 1
		.amdhsa_ieee_mode 1
		.amdhsa_fp16_overflow 0
		.amdhsa_workgroup_processor_mode 1
		.amdhsa_memory_ordered 1
		.amdhsa_forward_progress 0
		.amdhsa_shared_vgpr_count 0
		.amdhsa_exception_fp_ieee_invalid_op 0
		.amdhsa_exception_fp_denorm_src 0
		.amdhsa_exception_fp_ieee_div_zero 0
		.amdhsa_exception_fp_ieee_overflow 0
		.amdhsa_exception_fp_ieee_underflow 0
		.amdhsa_exception_fp_ieee_inexact 0
		.amdhsa_exception_int_div_zero 0
	.end_amdhsa_kernel
	.section	.text._ZL37rocblas_syrkx_herkx_restricted_kernelIl19rocblas_complex_numIdELi16ELi32ELi8ELi1ELin1ELb0ELc84ELc85EKPKS1_KPS1_EviT_PT9_S7_lS9_S7_lPT10_S7_li,"axG",@progbits,_ZL37rocblas_syrkx_herkx_restricted_kernelIl19rocblas_complex_numIdELi16ELi32ELi8ELi1ELin1ELb0ELc84ELc85EKPKS1_KPS1_EviT_PT9_S7_lS9_S7_lPT10_S7_li,comdat
.Lfunc_end1628:
	.size	_ZL37rocblas_syrkx_herkx_restricted_kernelIl19rocblas_complex_numIdELi16ELi32ELi8ELi1ELin1ELb0ELc84ELc85EKPKS1_KPS1_EviT_PT9_S7_lS9_S7_lPT10_S7_li, .Lfunc_end1628-_ZL37rocblas_syrkx_herkx_restricted_kernelIl19rocblas_complex_numIdELi16ELi32ELi8ELi1ELin1ELb0ELc84ELc85EKPKS1_KPS1_EviT_PT9_S7_lS9_S7_lPT10_S7_li
                                        ; -- End function
	.section	.AMDGPU.csdata,"",@progbits
; Kernel info:
; codeLenInByte = 3108
; NumSgprs: 22
; NumVgprs: 118
; ScratchSize: 0
; MemoryBound: 0
; FloatMode: 240
; IeeeMode: 1
; LDSByteSize: 8192 bytes/workgroup (compile time only)
; SGPRBlocks: 2
; VGPRBlocks: 14
; NumSGPRsForWavesPerEU: 22
; NumVGPRsForWavesPerEU: 118
; Occupancy: 12
; WaveLimiterHint : 1
; COMPUTE_PGM_RSRC2:SCRATCH_EN: 0
; COMPUTE_PGM_RSRC2:USER_SGPR: 13
; COMPUTE_PGM_RSRC2:TRAP_HANDLER: 0
; COMPUTE_PGM_RSRC2:TGID_X_EN: 1
; COMPUTE_PGM_RSRC2:TGID_Y_EN: 1
; COMPUTE_PGM_RSRC2:TGID_Z_EN: 1
; COMPUTE_PGM_RSRC2:TIDIG_COMP_CNT: 1
	.section	.text._ZL37rocblas_syrkx_herkx_restricted_kernelIl19rocblas_complex_numIdELi16ELi32ELi8ELi1ELin1ELb0ELc67ELc85EKPKS1_KPS1_EviT_PT9_S7_lS9_S7_lPT10_S7_li,"axG",@progbits,_ZL37rocblas_syrkx_herkx_restricted_kernelIl19rocblas_complex_numIdELi16ELi32ELi8ELi1ELin1ELb0ELc67ELc85EKPKS1_KPS1_EviT_PT9_S7_lS9_S7_lPT10_S7_li,comdat
	.globl	_ZL37rocblas_syrkx_herkx_restricted_kernelIl19rocblas_complex_numIdELi16ELi32ELi8ELi1ELin1ELb0ELc67ELc85EKPKS1_KPS1_EviT_PT9_S7_lS9_S7_lPT10_S7_li ; -- Begin function _ZL37rocblas_syrkx_herkx_restricted_kernelIl19rocblas_complex_numIdELi16ELi32ELi8ELi1ELin1ELb0ELc67ELc85EKPKS1_KPS1_EviT_PT9_S7_lS9_S7_lPT10_S7_li
	.p2align	8
	.type	_ZL37rocblas_syrkx_herkx_restricted_kernelIl19rocblas_complex_numIdELi16ELi32ELi8ELi1ELin1ELb0ELc67ELc85EKPKS1_KPS1_EviT_PT9_S7_lS9_S7_lPT10_S7_li,@function
_ZL37rocblas_syrkx_herkx_restricted_kernelIl19rocblas_complex_numIdELi16ELi32ELi8ELi1ELin1ELb0ELc67ELc85EKPKS1_KPS1_EviT_PT9_S7_lS9_S7_lPT10_S7_li: ; @_ZL37rocblas_syrkx_herkx_restricted_kernelIl19rocblas_complex_numIdELi16ELi32ELi8ELi1ELin1ELb0ELc67ELc85EKPKS1_KPS1_EviT_PT9_S7_lS9_S7_lPT10_S7_li
; %bb.0:
	s_clause 0x1
	s_load_b128 s[4:7], s[0:1], 0x40
	s_load_b128 s[8:11], s[0:1], 0x8
	s_mov_b32 s2, s15
	s_mov_b32 s3, 0
	v_mov_b32_e32 v16, 0
	s_lshl_b64 s[16:17], s[2:3], 3
	v_dual_mov_b32 v17, 0 :: v_dual_and_b32 v20, 0x3ff, v0
	v_bfe_u32 v21, v0, 10, 10
	s_delay_alu instid0(VALU_DEP_3) | instskip(NEXT) | instid1(VALU_DEP_3)
	v_mov_b32_e32 v14, v16
	v_dual_mov_b32 v12, v16 :: v_dual_mov_b32 v13, v17
	v_dual_mov_b32 v19, v17 :: v_dual_mov_b32 v18, v16
	v_dual_mov_b32 v15, v17 :: v_dual_mov_b32 v10, v16
	v_dual_mov_b32 v11, v17 :: v_dual_mov_b32 v8, v16
	v_dual_mov_b32 v9, v17 :: v_dual_mov_b32 v6, v16
	v_mov_b32_e32 v7, v17
	s_waitcnt lgkmcnt(0)
	s_add_u32 s2, s4, s16
	s_addc_u32 s3, s5, s17
	v_cmp_lt_i64_e64 s4, s[8:9], 1
	s_load_b64 s[2:3], s[2:3], 0x0
	v_dual_mov_b32 v4, v16 :: v_dual_mov_b32 v5, v17
	s_lshl_b32 s18, s13, 5
	s_lshl_b32 s19, s14, 5
	s_delay_alu instid0(VALU_DEP_2)
	s_and_b32 vcc_lo, exec_lo, s4
	s_cbranch_vccnz .LBB1629_3
; %bb.1:
	s_clause 0x1
	s_load_b128 s[12:15], s[0:1], 0x28
	s_load_b64 s[4:5], s[0:1], 0x18
	v_lshl_add_u32 v2, v21, 4, v20
	v_dual_mov_b32 v1, 0 :: v_dual_and_b32 v0, 7, v20
	s_add_u32 s10, s10, s16
	s_addc_u32 s11, s11, s17
	s_delay_alu instid0(VALU_DEP_2)
	v_lshrrev_b32_e32 v8, 3, v2
	v_and_b32_e32 v9, 31, v2
	v_lshrrev_b32_e32 v2, 5, v2
	v_mov_b32_e32 v3, v1
	s_load_b64 s[10:11], s[10:11], 0x0
	v_add_nc_u32_e32 v10, s19, v8
	v_add_nc_u32_e32 v6, s18, v9
	v_lshl_add_u32 v23, v21, 7, 0x1000
	s_delay_alu instid0(VALU_DEP_3) | instskip(NEXT) | instid1(VALU_DEP_3)
	v_ashrrev_i32_e32 v4, 31, v10
	v_ashrrev_i32_e32 v5, 31, v6
	s_waitcnt lgkmcnt(0)
	s_add_u32 s12, s12, s16
	s_addc_u32 s13, s13, s17
	v_mul_lo_u32 v11, v4, s14
	v_mul_lo_u32 v12, s4, v5
	v_mad_u64_u32 v[4:5], null, s4, v6, v[2:3]
	v_mul_lo_u32 v3, s5, v6
	s_load_b64 s[4:5], s[12:13], 0x0
	v_mul_lo_u32 v13, v10, s15
	v_mad_u64_u32 v[6:7], null, v10, s14, v[0:1]
	v_lshlrev_b32_e32 v0, 4, v0
	s_delay_alu instid0(VALU_DEP_4) | instskip(NEXT) | instid1(VALU_DEP_2)
	v_add3_u32 v5, v3, v5, v12
	v_lshl_or_b32 v8, v8, 7, v0
	s_delay_alu instid0(VALU_DEP_4) | instskip(NEXT) | instid1(VALU_DEP_3)
	v_add3_u32 v7, v11, v7, v13
	v_lshlrev_b64 v[0:1], 4, v[4:5]
	v_mov_b32_e32 v4, 0
	v_mov_b32_e32 v5, 0
	v_lshlrev_b32_e32 v3, 4, v9
	v_lshlrev_b32_e32 v22, 4, v20
	v_add_nc_u32_e32 v25, 0x1000, v8
	v_add_co_u32 v0, vcc_lo, v0, s10
	s_delay_alu instid0(VALU_DEP_4)
	v_lshl_or_b32 v24, v2, 9, v3
	v_lshlrev_b64 v[2:3], 4, v[6:7]
	v_add_co_ci_u32_e32 v1, vcc_lo, s11, v1, vcc_lo
	v_mov_b32_e32 v7, v5
	v_dual_mov_b32 v9, v5 :: v_dual_mov_b32 v8, v4
	s_waitcnt lgkmcnt(0)
	s_delay_alu instid0(VALU_DEP_4) | instskip(SKIP_3) | instid1(VALU_DEP_4)
	v_add_co_u32 v2, vcc_lo, v2, s4
	v_add_co_ci_u32_e32 v3, vcc_lo, s5, v3, vcc_lo
	v_add_co_u32 v0, vcc_lo, v0, 8
	v_add_co_ci_u32_e32 v1, vcc_lo, 0, v1, vcc_lo
	v_add_co_u32 v2, vcc_lo, v2, 8
	s_delay_alu instid0(VALU_DEP_4)
	v_add_co_ci_u32_e32 v3, vcc_lo, 0, v3, vcc_lo
	v_dual_mov_b32 v6, v4 :: v_dual_mov_b32 v11, v5
	v_dual_mov_b32 v10, v4 :: v_dual_mov_b32 v13, v5
	;; [unrolled: 1-line block ×5, first 2 shown]
	v_mov_b32_e32 v16, v4
	s_mov_b64 s[4:5], 0
.LBB1629_2:                             ; =>This Inner Loop Header: Depth=1
	global_load_b128 v[26:29], v[0:1], off offset:-8
	global_load_b128 v[30:33], v[2:3], off offset:-8
	s_add_u32 s4, s4, 8
	v_add_co_u32 v0, vcc_lo, 0x80, v0
	s_addc_u32 s5, s5, 0
	v_add_co_ci_u32_e32 v1, vcc_lo, 0, v1, vcc_lo
	v_cmp_ge_u64_e64 s10, s[4:5], s[8:9]
	v_add_co_u32 v2, vcc_lo, 0x80, v2
	v_add_co_ci_u32_e32 v3, vcc_lo, 0, v3, vcc_lo
	s_waitcnt vmcnt(1)
	ds_store_b128 v24, v[26:29]
	s_waitcnt vmcnt(0)
	ds_store_b128 v25, v[30:33]
	s_waitcnt lgkmcnt(0)
	s_barrier
	buffer_gl0_inv
	ds_load_b128 v[26:29], v23
	ds_load_b128 v[30:33], v22
	ds_load_b128 v[34:37], v22 offset:256
	ds_load_b128 v[38:41], v23 offset:2048
	;; [unrolled: 1-line block ×13, first 2 shown]
	s_and_b32 vcc_lo, exec_lo, s10
	s_waitcnt lgkmcnt(13)
	v_mul_f64 v[86:87], v[28:29], v[32:33]
	v_mul_f64 v[88:89], v[26:27], v[32:33]
	s_waitcnt lgkmcnt(12)
	v_mul_f64 v[90:91], v[28:29], v[36:37]
	v_mul_f64 v[92:93], v[26:27], v[36:37]
	;; [unrolled: 3-line block ×3, first 2 shown]
	v_mul_f64 v[96:97], v[40:41], v[36:37]
	v_mul_f64 v[36:37], v[38:39], v[36:37]
	s_waitcnt lgkmcnt(8)
	v_mul_f64 v[98:99], v[44:45], v[52:53]
	v_mul_f64 v[100:101], v[42:43], v[52:53]
	s_waitcnt lgkmcnt(7)
	v_mul_f64 v[102:103], v[44:45], v[56:57]
	v_mul_f64 v[104:105], v[42:43], v[56:57]
	;; [unrolled: 1-line block ×6, first 2 shown]
	s_waitcnt lgkmcnt(3)
	v_mul_f64 v[112:113], v[58:59], v[72:73]
	s_waitcnt lgkmcnt(2)
	v_mul_f64 v[114:115], v[76:77], v[68:69]
	v_mul_f64 v[116:117], v[76:77], v[72:73]
	v_fma_f64 v[86:87], v[26:27], v[30:31], -v[86:87]
	v_fma_f64 v[88:89], v[28:29], v[30:31], v[88:89]
	v_fma_f64 v[90:91], v[26:27], v[34:35], -v[90:91]
	v_fma_f64 v[92:93], v[28:29], v[34:35], v[92:93]
	;; [unrolled: 2-line block ×4, first 2 shown]
	v_mul_f64 v[36:37], v[60:61], v[68:69]
	v_mul_f64 v[40:41], v[58:59], v[68:69]
	;; [unrolled: 1-line block ×5, first 2 shown]
	v_fma_f64 v[98:99], v[42:43], v[50:51], -v[98:99]
	v_fma_f64 v[100:101], v[44:45], v[50:51], v[100:101]
	v_fma_f64 v[42:43], v[42:43], v[54:55], -v[102:103]
	v_fma_f64 v[44:45], v[44:45], v[54:55], v[104:105]
	;; [unrolled: 2-line block ×4, first 2 shown]
	ds_load_b128 v[26:29], v22 offset:1792
	ds_load_b128 v[30:33], v22 offset:2048
	s_waitcnt lgkmcnt(2)
	v_mul_f64 v[56:57], v[64:65], v[84:85]
	v_add_f64 v[16:17], v[16:17], v[86:87]
	v_add_f64 v[18:19], v[18:19], v[88:89]
	;; [unrolled: 1-line block ×8, first 2 shown]
	v_mul_f64 v[86:87], v[62:63], v[84:85]
	s_waitcnt lgkmcnt(1)
	v_mul_f64 v[88:89], v[64:65], v[28:29]
	v_mul_f64 v[90:91], v[62:63], v[28:29]
	;; [unrolled: 1-line block ×6, first 2 shown]
	v_fma_f64 v[104:105], v[58:59], v[66:67], -v[36:37]
	v_fma_f64 v[106:107], v[60:61], v[66:67], v[40:41]
	v_fma_f64 v[58:59], v[58:59], v[70:71], -v[96:97]
	v_fma_f64 v[60:61], v[60:61], v[70:71], v[112:113]
	;; [unrolled: 2-line block ×4, first 2 shown]
	ds_load_b128 v[4:7], v22 offset:2304
	ds_load_b128 v[8:11], v23 offset:64
	v_fma_f64 v[56:57], v[62:63], v[82:83], -v[56:57]
	v_add_f64 v[72:73], v[16:17], v[98:99]
	v_add_f64 v[74:75], v[18:19], v[100:101]
	;; [unrolled: 1-line block ×8, first 2 shown]
	ds_load_b128 v[12:15], v23 offset:2112
	ds_load_b128 v[16:19], v23 offset:80
	;; [unrolled: 1-line block ×4, first 2 shown]
	s_waitcnt lgkmcnt(4)
	v_mul_f64 v[54:55], v[10:11], v[32:33]
	v_mul_f64 v[76:77], v[8:9], v[32:33]
	;; [unrolled: 1-line block ×4, first 2 shown]
	v_fma_f64 v[86:87], v[64:65], v[82:83], v[86:87]
	v_fma_f64 v[62:63], v[62:63], v[26:27], -v[88:89]
	v_fma_f64 v[64:65], v[64:65], v[26:27], v[90:91]
	v_fma_f64 v[88:89], v[78:79], v[82:83], -v[92:93]
	;; [unrolled: 2-line block ×3, first 2 shown]
	v_fma_f64 v[80:81], v[80:81], v[26:27], v[28:29]
	s_waitcnt lgkmcnt(3)
	v_mul_f64 v[102:103], v[14:15], v[32:33]
	v_mul_f64 v[32:33], v[12:13], v[32:33]
	;; [unrolled: 1-line block ×4, first 2 shown]
	s_waitcnt lgkmcnt(0)
	v_mul_f64 v[90:91], v[18:19], v[40:41]
	v_mul_f64 v[92:93], v[16:17], v[40:41]
	v_add_f64 v[72:73], v[72:73], v[104:105]
	v_add_f64 v[74:75], v[74:75], v[106:107]
	;; [unrolled: 1-line block ×8, first 2 shown]
	ds_load_b128 v[26:29], v22 offset:2816
	ds_load_b128 v[42:45], v22 offset:3072
	;; [unrolled: 1-line block ×4, first 2 shown]
	v_mul_f64 v[104:105], v[36:37], v[40:41]
	v_mul_f64 v[40:41], v[34:35], v[40:41]
	v_fma_f64 v[54:55], v[8:9], v[30:31], -v[54:55]
	v_fma_f64 v[76:77], v[10:11], v[30:31], v[76:77]
	v_fma_f64 v[98:99], v[8:9], v[4:5], -v[98:99]
	v_fma_f64 v[100:101], v[10:11], v[4:5], v[100:101]
	s_waitcnt lgkmcnt(3)
	v_mul_f64 v[94:95], v[18:19], v[28:29]
	v_mul_f64 v[96:97], v[16:17], v[28:29]
	;; [unrolled: 1-line block ×4, first 2 shown]
	v_fma_f64 v[102:103], v[12:13], v[30:31], -v[102:103]
	v_fma_f64 v[32:33], v[14:15], v[30:31], v[32:33]
	v_fma_f64 v[108:109], v[12:13], v[4:5], -v[108:109]
	v_fma_f64 v[112:113], v[14:15], v[4:5], v[6:7]
	ds_load_b128 v[4:7], v23 offset:2144
	ds_load_b128 v[8:11], v23 offset:112
	;; [unrolled: 1-line block ×4, first 2 shown]
	v_add_f64 v[56:57], v[72:73], v[56:57]
	v_add_f64 v[72:73], v[74:75], v[86:87]
	;; [unrolled: 1-line block ×8, first 2 shown]
	s_waitcnt lgkmcnt(4)
	v_mul_f64 v[70:71], v[52:53], v[44:45]
	v_mul_f64 v[74:75], v[50:51], v[44:45]
	;; [unrolled: 1-line block ×4, first 2 shown]
	s_waitcnt lgkmcnt(3)
	v_mul_f64 v[82:83], v[6:7], v[44:45]
	v_mul_f64 v[44:45], v[4:5], v[44:45]
	v_mul_f64 v[84:85], v[6:7], v[48:49]
	v_mul_f64 v[48:49], v[4:5], v[48:49]
	v_fma_f64 v[86:87], v[16:17], v[38:39], -v[90:91]
	v_fma_f64 v[88:89], v[18:19], v[38:39], v[92:93]
	v_fma_f64 v[90:91], v[16:17], v[26:27], -v[94:95]
	v_fma_f64 v[92:93], v[18:19], v[26:27], v[96:97]
	;; [unrolled: 2-line block ×4, first 2 shown]
	ds_load_b128 v[16:19], v22 offset:3840
	s_waitcnt lgkmcnt(0)
	s_barrier
	buffer_gl0_inv
	v_add_f64 v[36:37], v[56:57], v[54:55]
	v_add_f64 v[40:41], v[72:73], v[76:77]
	;; [unrolled: 1-line block ×8, first 2 shown]
	v_mul_f64 v[64:65], v[10:11], v[30:31]
	v_mul_f64 v[66:67], v[8:9], v[30:31]
	;; [unrolled: 1-line block ×4, first 2 shown]
	v_fma_f64 v[70:71], v[50:51], v[42:43], -v[70:71]
	v_mul_f64 v[68:69], v[10:11], v[18:19]
	v_mul_f64 v[72:73], v[8:9], v[18:19]
	;; [unrolled: 1-line block ×4, first 2 shown]
	v_fma_f64 v[74:75], v[52:53], v[42:43], v[74:75]
	v_fma_f64 v[50:51], v[50:51], v[46:47], -v[78:79]
	v_fma_f64 v[52:53], v[52:53], v[46:47], v[80:81]
	v_fma_f64 v[78:79], v[4:5], v[42:43], -v[82:83]
	;; [unrolled: 2-line block ×3, first 2 shown]
	v_fma_f64 v[6:7], v[6:7], v[46:47], v[48:49]
	v_add_f64 v[36:37], v[36:37], v[86:87]
	v_add_f64 v[40:41], v[40:41], v[88:89]
	;; [unrolled: 1-line block ×8, first 2 shown]
	v_fma_f64 v[38:39], v[8:9], v[28:29], -v[64:65]
	v_fma_f64 v[54:55], v[10:11], v[28:29], v[66:67]
	v_fma_f64 v[56:57], v[12:13], v[28:29], -v[76:77]
	v_fma_f64 v[28:29], v[14:15], v[28:29], v[30:31]
	;; [unrolled: 2-line block ×4, first 2 shown]
	v_add_f64 v[12:13], v[36:37], v[70:71]
	v_add_f64 v[14:15], v[40:41], v[74:75]
	;; [unrolled: 1-line block ×16, first 2 shown]
	s_cbranch_vccz .LBB1629_2
.LBB1629_3:
	v_add_nc_u32_e32 v21, s19, v21
	s_load_b32 s4, s[0:1], 0x0
	s_delay_alu instid0(VALU_DEP_1) | instskip(SKIP_2) | instid1(VALU_DEP_3)
	v_ashrrev_i32_e32 v0, 31, v21
	v_mul_lo_u32 v3, v21, s7
	v_mad_u64_u32 v[1:2], null, v21, s6, 0
	v_mul_lo_u32 v0, v0, s6
	s_delay_alu instid0(VALU_DEP_1) | instskip(SKIP_3) | instid1(VALU_DEP_3)
	v_add3_u32 v2, v2, v3, v0
	v_add_nc_u32_e32 v0, s18, v20
	s_waitcnt lgkmcnt(0)
	v_cmp_gt_i32_e32 vcc_lo, s4, v21
	v_lshlrev_b64 v[1:2], 4, v[1:2]
	s_delay_alu instid0(VALU_DEP_3) | instskip(NEXT) | instid1(VALU_DEP_1)
	v_cmp_le_i32_e64 s0, v0, v21
	s_and_b32 s0, vcc_lo, s0
	s_delay_alu instid0(VALU_DEP_2) | instskip(NEXT) | instid1(VALU_DEP_1)
	v_add_co_u32 v20, s1, s2, v1
	v_add_co_ci_u32_e64 v22, s1, s3, v2, s1
	s_and_saveexec_b32 s1, s0
	s_cbranch_execz .LBB1629_5
; %bb.4:
	v_ashrrev_i32_e32 v1, 31, v0
	s_delay_alu instid0(VALU_DEP_1) | instskip(NEXT) | instid1(VALU_DEP_1)
	v_lshlrev_b64 v[1:2], 4, v[0:1]
	v_add_co_u32 v1, s0, v20, v1
	s_delay_alu instid0(VALU_DEP_1)
	v_add_co_ci_u32_e64 v2, s0, v22, v2, s0
	global_load_b128 v[23:26], v[1:2], off
	s_waitcnt vmcnt(0)
	v_add_f64 v[16:17], v[16:17], -v[23:24]
	v_add_f64 v[18:19], v[18:19], -v[25:26]
	global_store_b128 v[1:2], v[16:19], off
.LBB1629_5:
	s_or_b32 exec_lo, exec_lo, s1
	v_add_nc_u32_e32 v2, 16, v0
	s_delay_alu instid0(VALU_DEP_1) | instskip(NEXT) | instid1(VALU_DEP_1)
	v_cmp_le_i32_e64 s0, v2, v21
	s_and_b32 s1, vcc_lo, s0
	s_delay_alu instid0(SALU_CYCLE_1)
	s_and_saveexec_b32 s0, s1
	s_cbranch_execz .LBB1629_7
; %bb.6:
	v_ashrrev_i32_e32 v3, 31, v2
	s_delay_alu instid0(VALU_DEP_1) | instskip(NEXT) | instid1(VALU_DEP_1)
	v_lshlrev_b64 v[16:17], 4, v[2:3]
	v_add_co_u32 v23, vcc_lo, v20, v16
	s_delay_alu instid0(VALU_DEP_2)
	v_add_co_ci_u32_e32 v24, vcc_lo, v22, v17, vcc_lo
	global_load_b128 v[16:19], v[23:24], off
	s_waitcnt vmcnt(0)
	v_add_f64 v[14:15], v[14:15], -v[16:17]
	v_add_f64 v[16:17], v[12:13], -v[18:19]
	global_store_b128 v[23:24], v[14:17], off
.LBB1629_7:
	s_or_b32 exec_lo, exec_lo, s0
	v_add_nc_u32_e32 v3, 16, v21
	s_delay_alu instid0(VALU_DEP_1) | instskip(SKIP_3) | instid1(VALU_DEP_4)
	v_ashrrev_i32_e32 v1, 31, v3
	v_mul_lo_u32 v14, v3, s7
	v_mad_u64_u32 v[12:13], null, v3, s6, 0
	v_cmp_gt_i32_e32 vcc_lo, s4, v3
	v_mul_lo_u32 v1, v1, s6
	v_cmp_le_i32_e64 s0, v0, v3
	s_delay_alu instid0(VALU_DEP_1) | instskip(NEXT) | instid1(VALU_DEP_2)
	s_and_b32 s0, vcc_lo, s0
	v_add3_u32 v13, v13, v14, v1
	s_delay_alu instid0(VALU_DEP_1) | instskip(NEXT) | instid1(VALU_DEP_1)
	v_lshlrev_b64 v[12:13], 4, v[12:13]
	v_add_co_u32 v12, s1, s2, v12
	s_delay_alu instid0(VALU_DEP_1)
	v_add_co_ci_u32_e64 v13, s1, s3, v13, s1
	s_and_saveexec_b32 s1, s0
	s_cbranch_execz .LBB1629_9
; %bb.8:
	v_ashrrev_i32_e32 v1, 31, v0
	s_delay_alu instid0(VALU_DEP_1) | instskip(NEXT) | instid1(VALU_DEP_1)
	v_lshlrev_b64 v[0:1], 4, v[0:1]
	v_add_co_u32 v0, s0, v12, v0
	s_delay_alu instid0(VALU_DEP_1)
	v_add_co_ci_u32_e64 v1, s0, v13, v1, s0
	global_load_b128 v[14:17], v[0:1], off
	s_waitcnt vmcnt(0)
	v_add_f64 v[14:15], v[10:11], -v[14:15]
	v_add_f64 v[16:17], v[8:9], -v[16:17]
	global_store_b128 v[0:1], v[14:17], off
.LBB1629_9:
	s_or_b32 exec_lo, exec_lo, s1
	v_cmp_le_i32_e64 s0, v2, v3
	s_delay_alu instid0(VALU_DEP_1) | instskip(NEXT) | instid1(SALU_CYCLE_1)
	s_and_b32 s0, vcc_lo, s0
	s_and_saveexec_b32 s1, s0
	s_cbranch_execz .LBB1629_11
; %bb.10:
	v_ashrrev_i32_e32 v3, 31, v2
	s_delay_alu instid0(VALU_DEP_1) | instskip(NEXT) | instid1(VALU_DEP_1)
	v_lshlrev_b64 v[0:1], 4, v[2:3]
	v_add_co_u32 v8, vcc_lo, v12, v0
	s_delay_alu instid0(VALU_DEP_2)
	v_add_co_ci_u32_e32 v9, vcc_lo, v13, v1, vcc_lo
	global_load_b128 v[0:3], v[8:9], off
	s_waitcnt vmcnt(0)
	v_add_f64 v[0:1], v[6:7], -v[0:1]
	v_add_f64 v[2:3], v[4:5], -v[2:3]
	global_store_b128 v[8:9], v[0:3], off
.LBB1629_11:
	s_nop 0
	s_sendmsg sendmsg(MSG_DEALLOC_VGPRS)
	s_endpgm
	.section	.rodata,"a",@progbits
	.p2align	6, 0x0
	.amdhsa_kernel _ZL37rocblas_syrkx_herkx_restricted_kernelIl19rocblas_complex_numIdELi16ELi32ELi8ELi1ELin1ELb0ELc67ELc85EKPKS1_KPS1_EviT_PT9_S7_lS9_S7_lPT10_S7_li
		.amdhsa_group_segment_fixed_size 8192
		.amdhsa_private_segment_fixed_size 0
		.amdhsa_kernarg_size 92
		.amdhsa_user_sgpr_count 13
		.amdhsa_user_sgpr_dispatch_ptr 0
		.amdhsa_user_sgpr_queue_ptr 0
		.amdhsa_user_sgpr_kernarg_segment_ptr 1
		.amdhsa_user_sgpr_dispatch_id 0
		.amdhsa_user_sgpr_private_segment_size 0
		.amdhsa_wavefront_size32 1
		.amdhsa_uses_dynamic_stack 0
		.amdhsa_enable_private_segment 0
		.amdhsa_system_sgpr_workgroup_id_x 1
		.amdhsa_system_sgpr_workgroup_id_y 1
		.amdhsa_system_sgpr_workgroup_id_z 1
		.amdhsa_system_sgpr_workgroup_info 0
		.amdhsa_system_vgpr_workitem_id 1
		.amdhsa_next_free_vgpr 118
		.amdhsa_next_free_sgpr 20
		.amdhsa_reserve_vcc 1
		.amdhsa_float_round_mode_32 0
		.amdhsa_float_round_mode_16_64 0
		.amdhsa_float_denorm_mode_32 3
		.amdhsa_float_denorm_mode_16_64 3
		.amdhsa_dx10_clamp 1
		.amdhsa_ieee_mode 1
		.amdhsa_fp16_overflow 0
		.amdhsa_workgroup_processor_mode 1
		.amdhsa_memory_ordered 1
		.amdhsa_forward_progress 0
		.amdhsa_shared_vgpr_count 0
		.amdhsa_exception_fp_ieee_invalid_op 0
		.amdhsa_exception_fp_denorm_src 0
		.amdhsa_exception_fp_ieee_div_zero 0
		.amdhsa_exception_fp_ieee_overflow 0
		.amdhsa_exception_fp_ieee_underflow 0
		.amdhsa_exception_fp_ieee_inexact 0
		.amdhsa_exception_int_div_zero 0
	.end_amdhsa_kernel
	.section	.text._ZL37rocblas_syrkx_herkx_restricted_kernelIl19rocblas_complex_numIdELi16ELi32ELi8ELi1ELin1ELb0ELc67ELc85EKPKS1_KPS1_EviT_PT9_S7_lS9_S7_lPT10_S7_li,"axG",@progbits,_ZL37rocblas_syrkx_herkx_restricted_kernelIl19rocblas_complex_numIdELi16ELi32ELi8ELi1ELin1ELb0ELc67ELc85EKPKS1_KPS1_EviT_PT9_S7_lS9_S7_lPT10_S7_li,comdat
.Lfunc_end1629:
	.size	_ZL37rocblas_syrkx_herkx_restricted_kernelIl19rocblas_complex_numIdELi16ELi32ELi8ELi1ELin1ELb0ELc67ELc85EKPKS1_KPS1_EviT_PT9_S7_lS9_S7_lPT10_S7_li, .Lfunc_end1629-_ZL37rocblas_syrkx_herkx_restricted_kernelIl19rocblas_complex_numIdELi16ELi32ELi8ELi1ELin1ELb0ELc67ELc85EKPKS1_KPS1_EviT_PT9_S7_lS9_S7_lPT10_S7_li
                                        ; -- End function
	.section	.AMDGPU.csdata,"",@progbits
; Kernel info:
; codeLenInByte = 3108
; NumSgprs: 22
; NumVgprs: 118
; ScratchSize: 0
; MemoryBound: 0
; FloatMode: 240
; IeeeMode: 1
; LDSByteSize: 8192 bytes/workgroup (compile time only)
; SGPRBlocks: 2
; VGPRBlocks: 14
; NumSGPRsForWavesPerEU: 22
; NumVGPRsForWavesPerEU: 118
; Occupancy: 12
; WaveLimiterHint : 1
; COMPUTE_PGM_RSRC2:SCRATCH_EN: 0
; COMPUTE_PGM_RSRC2:USER_SGPR: 13
; COMPUTE_PGM_RSRC2:TRAP_HANDLER: 0
; COMPUTE_PGM_RSRC2:TGID_X_EN: 1
; COMPUTE_PGM_RSRC2:TGID_Y_EN: 1
; COMPUTE_PGM_RSRC2:TGID_Z_EN: 1
; COMPUTE_PGM_RSRC2:TIDIG_COMP_CNT: 1
	.section	.text._ZL37rocblas_syrkx_herkx_restricted_kernelIl19rocblas_complex_numIdELi16ELi32ELi8ELi1ELin1ELb0ELc78ELc85EKPKS1_KPS1_EviT_PT9_S7_lS9_S7_lPT10_S7_li,"axG",@progbits,_ZL37rocblas_syrkx_herkx_restricted_kernelIl19rocblas_complex_numIdELi16ELi32ELi8ELi1ELin1ELb0ELc78ELc85EKPKS1_KPS1_EviT_PT9_S7_lS9_S7_lPT10_S7_li,comdat
	.globl	_ZL37rocblas_syrkx_herkx_restricted_kernelIl19rocblas_complex_numIdELi16ELi32ELi8ELi1ELin1ELb0ELc78ELc85EKPKS1_KPS1_EviT_PT9_S7_lS9_S7_lPT10_S7_li ; -- Begin function _ZL37rocblas_syrkx_herkx_restricted_kernelIl19rocblas_complex_numIdELi16ELi32ELi8ELi1ELin1ELb0ELc78ELc85EKPKS1_KPS1_EviT_PT9_S7_lS9_S7_lPT10_S7_li
	.p2align	8
	.type	_ZL37rocblas_syrkx_herkx_restricted_kernelIl19rocblas_complex_numIdELi16ELi32ELi8ELi1ELin1ELb0ELc78ELc85EKPKS1_KPS1_EviT_PT9_S7_lS9_S7_lPT10_S7_li,@function
_ZL37rocblas_syrkx_herkx_restricted_kernelIl19rocblas_complex_numIdELi16ELi32ELi8ELi1ELin1ELb0ELc78ELc85EKPKS1_KPS1_EviT_PT9_S7_lS9_S7_lPT10_S7_li: ; @_ZL37rocblas_syrkx_herkx_restricted_kernelIl19rocblas_complex_numIdELi16ELi32ELi8ELi1ELin1ELb0ELc78ELc85EKPKS1_KPS1_EviT_PT9_S7_lS9_S7_lPT10_S7_li
; %bb.0:
	s_clause 0x1
	s_load_b128 s[4:7], s[0:1], 0x40
	s_load_b128 s[8:11], s[0:1], 0x8
	s_mov_b32 s2, s15
	s_mov_b32 s3, 0
	v_mov_b32_e32 v16, 0
	s_lshl_b64 s[16:17], s[2:3], 3
	v_dual_mov_b32 v17, 0 :: v_dual_and_b32 v20, 0x3ff, v0
	v_bfe_u32 v21, v0, 10, 10
	s_delay_alu instid0(VALU_DEP_3) | instskip(NEXT) | instid1(VALU_DEP_3)
	v_mov_b32_e32 v14, v16
	v_dual_mov_b32 v12, v16 :: v_dual_mov_b32 v13, v17
	v_dual_mov_b32 v19, v17 :: v_dual_mov_b32 v18, v16
	;; [unrolled: 1-line block ×5, first 2 shown]
	v_mov_b32_e32 v7, v17
	s_waitcnt lgkmcnt(0)
	s_add_u32 s2, s4, s16
	s_addc_u32 s3, s5, s17
	v_cmp_lt_i64_e64 s4, s[8:9], 1
	s_load_b64 s[2:3], s[2:3], 0x0
	v_dual_mov_b32 v4, v16 :: v_dual_mov_b32 v5, v17
	s_lshl_b32 s18, s13, 5
	s_lshl_b32 s19, s14, 5
	s_delay_alu instid0(VALU_DEP_2)
	s_and_b32 vcc_lo, exec_lo, s4
	s_cbranch_vccnz .LBB1630_3
; %bb.1:
	v_lshl_add_u32 v1, v21, 4, v20
	s_clause 0x1
	s_load_b64 s[4:5], s[0:1], 0x18
	s_load_b128 s[12:15], s[0:1], 0x28
	v_and_b32_e32 v6, 7, v20
	s_add_u32 s10, s10, s16
	s_addc_u32 s11, s11, s17
	v_and_b32_e32 v14, 31, v1
	v_lshrrev_b32_e32 v15, 3, v1
	v_lshrrev_b32_e32 v16, 5, v1
	s_load_b64 s[10:11], s[10:11], 0x0
	v_lshl_add_u32 v23, v21, 7, 0x1000
	v_add_nc_u32_e32 v0, s18, v14
	v_add_nc_u32_e32 v2, s19, v15
	s_delay_alu instid0(VALU_DEP_2) | instskip(NEXT) | instid1(VALU_DEP_2)
	v_ashrrev_i32_e32 v1, 31, v0
	v_ashrrev_i32_e32 v3, 31, v2
	s_waitcnt lgkmcnt(0)
	s_delay_alu instid0(VALU_DEP_2) | instskip(NEXT) | instid1(VALU_DEP_2)
	v_mad_u64_u32 v[10:11], null, v16, s4, v[0:1]
	v_mad_u64_u32 v[0:1], null, v6, s14, v[2:3]
	s_add_u32 s12, s12, s16
	s_addc_u32 s13, s13, s17
	s_load_b64 s[12:13], s[12:13], 0x0
	s_delay_alu instid0(VALU_DEP_2) | instskip(NEXT) | instid1(VALU_DEP_1)
	v_mov_b32_e32 v2, v11
	v_mad_u64_u32 v[3:4], null, v16, s5, v[2:3]
	v_mov_b32_e32 v4, 0
	v_mov_b32_e32 v5, 0
	s_lshl_b64 s[4:5], s[4:5], 7
	s_delay_alu instid0(VALU_DEP_1)
	v_mov_b32_e32 v9, v5
	v_mad_u64_u32 v[12:13], null, v6, s15, v[1:2]
	v_lshlrev_b32_e32 v13, 4, v14
	v_lshlrev_b32_e32 v1, 4, v6
	v_dual_mov_b32 v11, v3 :: v_dual_lshlrev_b32 v22, 4, v20
	v_mov_b32_e32 v7, v5
	s_delay_alu instid0(VALU_DEP_4) | instskip(NEXT) | instid1(VALU_DEP_4)
	v_lshl_or_b32 v24, v16, 9, v13
	v_lshl_or_b32 v14, v15, 7, v1
	v_mov_b32_e32 v1, v12
	v_lshlrev_b64 v[2:3], 4, v[10:11]
	v_dual_mov_b32 v6, v4 :: v_dual_mov_b32 v11, v5
	v_mov_b32_e32 v10, v4
	s_delay_alu instid0(VALU_DEP_4) | instskip(SKIP_4) | instid1(VALU_DEP_4)
	v_lshlrev_b64 v[0:1], 4, v[0:1]
	v_dual_mov_b32 v8, v4 :: v_dual_add_nc_u32 v25, 0x1000, v14
	v_add_co_u32 v2, vcc_lo, v2, s10
	v_add_co_ci_u32_e32 v3, vcc_lo, s11, v3, vcc_lo
	s_waitcnt lgkmcnt(0)
	v_add_co_u32 v12, vcc_lo, v0, s12
	v_add_co_ci_u32_e32 v13, vcc_lo, s13, v1, vcc_lo
	v_add_co_u32 v0, vcc_lo, v2, 8
	v_add_co_ci_u32_e32 v1, vcc_lo, 0, v3, vcc_lo
	s_delay_alu instid0(VALU_DEP_4) | instskip(NEXT) | instid1(VALU_DEP_4)
	v_add_co_u32 v2, vcc_lo, v12, 8
	v_add_co_ci_u32_e32 v3, vcc_lo, 0, v13, vcc_lo
	v_dual_mov_b32 v13, v5 :: v_dual_mov_b32 v12, v4
	v_dual_mov_b32 v15, v5 :: v_dual_mov_b32 v14, v4
	;; [unrolled: 1-line block ×4, first 2 shown]
	s_lshl_b64 s[10:11], s[14:15], 7
	s_mov_b64 s[12:13], 0
.LBB1630_2:                             ; =>This Inner Loop Header: Depth=1
	global_load_b128 v[26:29], v[0:1], off offset:-8
	global_load_b128 v[30:33], v[2:3], off offset:-8
	s_add_u32 s12, s12, 8
	v_add_co_u32 v0, vcc_lo, v0, s4
	s_addc_u32 s13, s13, 0
	v_add_co_ci_u32_e32 v1, vcc_lo, s5, v1, vcc_lo
	v_cmp_ge_u64_e64 s14, s[12:13], s[8:9]
	v_add_co_u32 v2, vcc_lo, v2, s10
	v_add_co_ci_u32_e32 v3, vcc_lo, s11, v3, vcc_lo
	s_waitcnt vmcnt(1)
	ds_store_b128 v24, v[26:29]
	s_waitcnt vmcnt(0)
	ds_store_b128 v25, v[30:33]
	s_waitcnt lgkmcnt(0)
	s_barrier
	buffer_gl0_inv
	ds_load_b128 v[26:29], v23
	ds_load_b128 v[30:33], v22
	ds_load_b128 v[34:37], v22 offset:256
	ds_load_b128 v[38:41], v23 offset:2048
	;; [unrolled: 1-line block ×13, first 2 shown]
	s_and_b32 vcc_lo, exec_lo, s14
	s_waitcnt lgkmcnt(13)
	v_mul_f64 v[86:87], v[28:29], v[32:33]
	v_mul_f64 v[88:89], v[26:27], v[32:33]
	s_waitcnt lgkmcnt(12)
	v_mul_f64 v[90:91], v[28:29], v[36:37]
	v_mul_f64 v[92:93], v[26:27], v[36:37]
	s_waitcnt lgkmcnt(11)
	v_mul_f64 v[94:95], v[40:41], v[32:33]
	v_mul_f64 v[32:33], v[38:39], v[32:33]
	v_mul_f64 v[96:97], v[40:41], v[36:37]
	v_mul_f64 v[36:37], v[38:39], v[36:37]
	s_waitcnt lgkmcnt(8)
	v_mul_f64 v[98:99], v[44:45], v[52:53]
	v_mul_f64 v[100:101], v[42:43], v[52:53]
	s_waitcnt lgkmcnt(7)
	v_mul_f64 v[102:103], v[44:45], v[56:57]
	v_mul_f64 v[104:105], v[42:43], v[56:57]
	;; [unrolled: 1-line block ×6, first 2 shown]
	s_waitcnt lgkmcnt(3)
	v_mul_f64 v[112:113], v[58:59], v[72:73]
	s_waitcnt lgkmcnt(2)
	v_mul_f64 v[114:115], v[76:77], v[68:69]
	v_mul_f64 v[116:117], v[76:77], v[72:73]
	v_fma_f64 v[86:87], v[26:27], v[30:31], -v[86:87]
	v_fma_f64 v[88:89], v[28:29], v[30:31], v[88:89]
	v_fma_f64 v[90:91], v[26:27], v[34:35], -v[90:91]
	v_fma_f64 v[92:93], v[28:29], v[34:35], v[92:93]
	;; [unrolled: 2-line block ×4, first 2 shown]
	v_mul_f64 v[36:37], v[60:61], v[68:69]
	v_mul_f64 v[40:41], v[58:59], v[68:69]
	;; [unrolled: 1-line block ×5, first 2 shown]
	v_fma_f64 v[98:99], v[42:43], v[50:51], -v[98:99]
	v_fma_f64 v[100:101], v[44:45], v[50:51], v[100:101]
	v_fma_f64 v[42:43], v[42:43], v[54:55], -v[102:103]
	v_fma_f64 v[44:45], v[44:45], v[54:55], v[104:105]
	;; [unrolled: 2-line block ×4, first 2 shown]
	ds_load_b128 v[26:29], v22 offset:1792
	ds_load_b128 v[30:33], v22 offset:2048
	s_waitcnt lgkmcnt(2)
	v_mul_f64 v[56:57], v[64:65], v[84:85]
	v_add_f64 v[16:17], v[16:17], v[86:87]
	v_add_f64 v[18:19], v[18:19], v[88:89]
	;; [unrolled: 1-line block ×8, first 2 shown]
	v_mul_f64 v[86:87], v[62:63], v[84:85]
	s_waitcnt lgkmcnt(1)
	v_mul_f64 v[88:89], v[64:65], v[28:29]
	v_mul_f64 v[90:91], v[62:63], v[28:29]
	;; [unrolled: 1-line block ×6, first 2 shown]
	v_fma_f64 v[104:105], v[58:59], v[66:67], -v[36:37]
	v_fma_f64 v[106:107], v[60:61], v[66:67], v[40:41]
	v_fma_f64 v[58:59], v[58:59], v[70:71], -v[96:97]
	v_fma_f64 v[60:61], v[60:61], v[70:71], v[112:113]
	;; [unrolled: 2-line block ×4, first 2 shown]
	ds_load_b128 v[4:7], v22 offset:2304
	ds_load_b128 v[8:11], v23 offset:64
	v_fma_f64 v[56:57], v[62:63], v[82:83], -v[56:57]
	v_add_f64 v[72:73], v[16:17], v[98:99]
	v_add_f64 v[74:75], v[18:19], v[100:101]
	v_add_f64 v[42:43], v[14:15], v[42:43]
	v_add_f64 v[44:45], v[12:13], v[44:45]
	v_add_f64 v[52:53], v[52:53], v[102:103]
	v_add_f64 v[50:51], v[54:55], v[50:51]
	v_add_f64 v[46:47], v[38:39], v[46:47]
	v_add_f64 v[48:49], v[34:35], v[48:49]
	ds_load_b128 v[12:15], v23 offset:2112
	ds_load_b128 v[16:19], v23 offset:80
	;; [unrolled: 1-line block ×4, first 2 shown]
	s_waitcnt lgkmcnt(4)
	v_mul_f64 v[54:55], v[10:11], v[32:33]
	v_mul_f64 v[76:77], v[8:9], v[32:33]
	;; [unrolled: 1-line block ×4, first 2 shown]
	v_fma_f64 v[86:87], v[64:65], v[82:83], v[86:87]
	v_fma_f64 v[62:63], v[62:63], v[26:27], -v[88:89]
	v_fma_f64 v[64:65], v[64:65], v[26:27], v[90:91]
	v_fma_f64 v[88:89], v[78:79], v[82:83], -v[92:93]
	v_fma_f64 v[82:83], v[80:81], v[82:83], v[84:85]
	v_fma_f64 v[78:79], v[78:79], v[26:27], -v[94:95]
	v_fma_f64 v[80:81], v[80:81], v[26:27], v[28:29]
	s_waitcnt lgkmcnt(3)
	v_mul_f64 v[102:103], v[14:15], v[32:33]
	v_mul_f64 v[32:33], v[12:13], v[32:33]
	v_mul_f64 v[108:109], v[14:15], v[6:7]
	v_mul_f64 v[6:7], v[12:13], v[6:7]
	s_waitcnt lgkmcnt(0)
	v_mul_f64 v[90:91], v[18:19], v[40:41]
	v_mul_f64 v[92:93], v[16:17], v[40:41]
	v_add_f64 v[72:73], v[72:73], v[104:105]
	v_add_f64 v[74:75], v[74:75], v[106:107]
	v_add_f64 v[58:59], v[42:43], v[58:59]
	v_add_f64 v[60:61], v[44:45], v[60:61]
	v_add_f64 v[84:85], v[52:53], v[96:97]
	v_add_f64 v[66:67], v[50:51], v[66:67]
	v_add_f64 v[68:69], v[46:47], v[68:69]
	v_add_f64 v[70:71], v[48:49], v[70:71]
	ds_load_b128 v[26:29], v22 offset:2816
	ds_load_b128 v[42:45], v22 offset:3072
	;; [unrolled: 1-line block ×4, first 2 shown]
	v_mul_f64 v[104:105], v[36:37], v[40:41]
	v_mul_f64 v[40:41], v[34:35], v[40:41]
	v_fma_f64 v[54:55], v[8:9], v[30:31], -v[54:55]
	v_fma_f64 v[76:77], v[10:11], v[30:31], v[76:77]
	v_fma_f64 v[98:99], v[8:9], v[4:5], -v[98:99]
	v_fma_f64 v[100:101], v[10:11], v[4:5], v[100:101]
	s_waitcnt lgkmcnt(3)
	v_mul_f64 v[94:95], v[18:19], v[28:29]
	v_mul_f64 v[96:97], v[16:17], v[28:29]
	;; [unrolled: 1-line block ×4, first 2 shown]
	v_fma_f64 v[102:103], v[12:13], v[30:31], -v[102:103]
	v_fma_f64 v[32:33], v[14:15], v[30:31], v[32:33]
	v_fma_f64 v[108:109], v[12:13], v[4:5], -v[108:109]
	v_fma_f64 v[112:113], v[14:15], v[4:5], v[6:7]
	ds_load_b128 v[4:7], v23 offset:2144
	ds_load_b128 v[8:11], v23 offset:112
	;; [unrolled: 1-line block ×4, first 2 shown]
	v_add_f64 v[56:57], v[72:73], v[56:57]
	v_add_f64 v[72:73], v[74:75], v[86:87]
	;; [unrolled: 1-line block ×8, first 2 shown]
	s_waitcnt lgkmcnt(4)
	v_mul_f64 v[70:71], v[52:53], v[44:45]
	v_mul_f64 v[74:75], v[50:51], v[44:45]
	;; [unrolled: 1-line block ×4, first 2 shown]
	s_waitcnt lgkmcnt(3)
	v_mul_f64 v[82:83], v[6:7], v[44:45]
	v_mul_f64 v[44:45], v[4:5], v[44:45]
	v_mul_f64 v[84:85], v[6:7], v[48:49]
	v_mul_f64 v[48:49], v[4:5], v[48:49]
	v_fma_f64 v[86:87], v[16:17], v[38:39], -v[90:91]
	v_fma_f64 v[88:89], v[18:19], v[38:39], v[92:93]
	v_fma_f64 v[90:91], v[16:17], v[26:27], -v[94:95]
	v_fma_f64 v[92:93], v[18:19], v[26:27], v[96:97]
	;; [unrolled: 2-line block ×4, first 2 shown]
	ds_load_b128 v[16:19], v22 offset:3840
	s_waitcnt lgkmcnt(0)
	s_barrier
	buffer_gl0_inv
	v_add_f64 v[36:37], v[56:57], v[54:55]
	v_add_f64 v[40:41], v[72:73], v[76:77]
	;; [unrolled: 1-line block ×8, first 2 shown]
	v_mul_f64 v[64:65], v[10:11], v[30:31]
	v_mul_f64 v[66:67], v[8:9], v[30:31]
	;; [unrolled: 1-line block ×4, first 2 shown]
	v_fma_f64 v[70:71], v[50:51], v[42:43], -v[70:71]
	v_mul_f64 v[68:69], v[10:11], v[18:19]
	v_mul_f64 v[72:73], v[8:9], v[18:19]
	v_mul_f64 v[96:97], v[14:15], v[18:19]
	v_mul_f64 v[18:19], v[12:13], v[18:19]
	v_fma_f64 v[74:75], v[52:53], v[42:43], v[74:75]
	v_fma_f64 v[50:51], v[50:51], v[46:47], -v[78:79]
	v_fma_f64 v[52:53], v[52:53], v[46:47], v[80:81]
	v_fma_f64 v[78:79], v[4:5], v[42:43], -v[82:83]
	;; [unrolled: 2-line block ×3, first 2 shown]
	v_fma_f64 v[6:7], v[6:7], v[46:47], v[48:49]
	v_add_f64 v[36:37], v[36:37], v[86:87]
	v_add_f64 v[40:41], v[40:41], v[88:89]
	;; [unrolled: 1-line block ×8, first 2 shown]
	v_fma_f64 v[38:39], v[8:9], v[28:29], -v[64:65]
	v_fma_f64 v[54:55], v[10:11], v[28:29], v[66:67]
	v_fma_f64 v[56:57], v[12:13], v[28:29], -v[76:77]
	v_fma_f64 v[28:29], v[14:15], v[28:29], v[30:31]
	;; [unrolled: 2-line block ×4, first 2 shown]
	v_add_f64 v[12:13], v[36:37], v[70:71]
	v_add_f64 v[14:15], v[40:41], v[74:75]
	;; [unrolled: 1-line block ×16, first 2 shown]
	s_cbranch_vccz .LBB1630_2
.LBB1630_3:
	v_add_nc_u32_e32 v21, s19, v21
	s_load_b32 s4, s[0:1], 0x0
	s_delay_alu instid0(VALU_DEP_1) | instskip(SKIP_2) | instid1(VALU_DEP_3)
	v_ashrrev_i32_e32 v0, 31, v21
	v_mul_lo_u32 v3, v21, s7
	v_mad_u64_u32 v[1:2], null, v21, s6, 0
	v_mul_lo_u32 v0, v0, s6
	s_delay_alu instid0(VALU_DEP_1) | instskip(SKIP_3) | instid1(VALU_DEP_3)
	v_add3_u32 v2, v2, v3, v0
	v_add_nc_u32_e32 v0, s18, v20
	s_waitcnt lgkmcnt(0)
	v_cmp_gt_i32_e32 vcc_lo, s4, v21
	v_lshlrev_b64 v[1:2], 4, v[1:2]
	s_delay_alu instid0(VALU_DEP_3) | instskip(NEXT) | instid1(VALU_DEP_1)
	v_cmp_le_i32_e64 s0, v0, v21
	s_and_b32 s0, vcc_lo, s0
	s_delay_alu instid0(VALU_DEP_2) | instskip(NEXT) | instid1(VALU_DEP_1)
	v_add_co_u32 v20, s1, s2, v1
	v_add_co_ci_u32_e64 v22, s1, s3, v2, s1
	s_and_saveexec_b32 s1, s0
	s_cbranch_execz .LBB1630_5
; %bb.4:
	v_ashrrev_i32_e32 v1, 31, v0
	s_delay_alu instid0(VALU_DEP_1) | instskip(NEXT) | instid1(VALU_DEP_1)
	v_lshlrev_b64 v[1:2], 4, v[0:1]
	v_add_co_u32 v1, s0, v20, v1
	s_delay_alu instid0(VALU_DEP_1)
	v_add_co_ci_u32_e64 v2, s0, v22, v2, s0
	global_load_b128 v[23:26], v[1:2], off
	s_waitcnt vmcnt(0)
	v_add_f64 v[16:17], v[16:17], -v[23:24]
	v_add_f64 v[18:19], v[18:19], -v[25:26]
	global_store_b128 v[1:2], v[16:19], off
.LBB1630_5:
	s_or_b32 exec_lo, exec_lo, s1
	v_add_nc_u32_e32 v2, 16, v0
	s_delay_alu instid0(VALU_DEP_1) | instskip(NEXT) | instid1(VALU_DEP_1)
	v_cmp_le_i32_e64 s0, v2, v21
	s_and_b32 s1, vcc_lo, s0
	s_delay_alu instid0(SALU_CYCLE_1)
	s_and_saveexec_b32 s0, s1
	s_cbranch_execz .LBB1630_7
; %bb.6:
	v_ashrrev_i32_e32 v3, 31, v2
	s_delay_alu instid0(VALU_DEP_1) | instskip(NEXT) | instid1(VALU_DEP_1)
	v_lshlrev_b64 v[16:17], 4, v[2:3]
	v_add_co_u32 v23, vcc_lo, v20, v16
	s_delay_alu instid0(VALU_DEP_2)
	v_add_co_ci_u32_e32 v24, vcc_lo, v22, v17, vcc_lo
	global_load_b128 v[16:19], v[23:24], off
	s_waitcnt vmcnt(0)
	v_add_f64 v[14:15], v[14:15], -v[16:17]
	v_add_f64 v[16:17], v[12:13], -v[18:19]
	global_store_b128 v[23:24], v[14:17], off
.LBB1630_7:
	s_or_b32 exec_lo, exec_lo, s0
	v_add_nc_u32_e32 v3, 16, v21
	s_delay_alu instid0(VALU_DEP_1) | instskip(SKIP_3) | instid1(VALU_DEP_4)
	v_ashrrev_i32_e32 v1, 31, v3
	v_mul_lo_u32 v14, v3, s7
	v_mad_u64_u32 v[12:13], null, v3, s6, 0
	v_cmp_gt_i32_e32 vcc_lo, s4, v3
	v_mul_lo_u32 v1, v1, s6
	v_cmp_le_i32_e64 s0, v0, v3
	s_delay_alu instid0(VALU_DEP_1) | instskip(NEXT) | instid1(VALU_DEP_2)
	s_and_b32 s0, vcc_lo, s0
	v_add3_u32 v13, v13, v14, v1
	s_delay_alu instid0(VALU_DEP_1) | instskip(NEXT) | instid1(VALU_DEP_1)
	v_lshlrev_b64 v[12:13], 4, v[12:13]
	v_add_co_u32 v12, s1, s2, v12
	s_delay_alu instid0(VALU_DEP_1)
	v_add_co_ci_u32_e64 v13, s1, s3, v13, s1
	s_and_saveexec_b32 s1, s0
	s_cbranch_execz .LBB1630_9
; %bb.8:
	v_ashrrev_i32_e32 v1, 31, v0
	s_delay_alu instid0(VALU_DEP_1) | instskip(NEXT) | instid1(VALU_DEP_1)
	v_lshlrev_b64 v[0:1], 4, v[0:1]
	v_add_co_u32 v0, s0, v12, v0
	s_delay_alu instid0(VALU_DEP_1)
	v_add_co_ci_u32_e64 v1, s0, v13, v1, s0
	global_load_b128 v[14:17], v[0:1], off
	s_waitcnt vmcnt(0)
	v_add_f64 v[14:15], v[10:11], -v[14:15]
	v_add_f64 v[16:17], v[8:9], -v[16:17]
	global_store_b128 v[0:1], v[14:17], off
.LBB1630_9:
	s_or_b32 exec_lo, exec_lo, s1
	v_cmp_le_i32_e64 s0, v2, v3
	s_delay_alu instid0(VALU_DEP_1) | instskip(NEXT) | instid1(SALU_CYCLE_1)
	s_and_b32 s0, vcc_lo, s0
	s_and_saveexec_b32 s1, s0
	s_cbranch_execz .LBB1630_11
; %bb.10:
	v_ashrrev_i32_e32 v3, 31, v2
	s_delay_alu instid0(VALU_DEP_1) | instskip(NEXT) | instid1(VALU_DEP_1)
	v_lshlrev_b64 v[0:1], 4, v[2:3]
	v_add_co_u32 v8, vcc_lo, v12, v0
	s_delay_alu instid0(VALU_DEP_2)
	v_add_co_ci_u32_e32 v9, vcc_lo, v13, v1, vcc_lo
	global_load_b128 v[0:3], v[8:9], off
	s_waitcnt vmcnt(0)
	v_add_f64 v[0:1], v[6:7], -v[0:1]
	v_add_f64 v[2:3], v[4:5], -v[2:3]
	global_store_b128 v[8:9], v[0:3], off
.LBB1630_11:
	s_nop 0
	s_sendmsg sendmsg(MSG_DEALLOC_VGPRS)
	s_endpgm
	.section	.rodata,"a",@progbits
	.p2align	6, 0x0
	.amdhsa_kernel _ZL37rocblas_syrkx_herkx_restricted_kernelIl19rocblas_complex_numIdELi16ELi32ELi8ELi1ELin1ELb0ELc78ELc85EKPKS1_KPS1_EviT_PT9_S7_lS9_S7_lPT10_S7_li
		.amdhsa_group_segment_fixed_size 8192
		.amdhsa_private_segment_fixed_size 0
		.amdhsa_kernarg_size 92
		.amdhsa_user_sgpr_count 13
		.amdhsa_user_sgpr_dispatch_ptr 0
		.amdhsa_user_sgpr_queue_ptr 0
		.amdhsa_user_sgpr_kernarg_segment_ptr 1
		.amdhsa_user_sgpr_dispatch_id 0
		.amdhsa_user_sgpr_private_segment_size 0
		.amdhsa_wavefront_size32 1
		.amdhsa_uses_dynamic_stack 0
		.amdhsa_enable_private_segment 0
		.amdhsa_system_sgpr_workgroup_id_x 1
		.amdhsa_system_sgpr_workgroup_id_y 1
		.amdhsa_system_sgpr_workgroup_id_z 1
		.amdhsa_system_sgpr_workgroup_info 0
		.amdhsa_system_vgpr_workitem_id 1
		.amdhsa_next_free_vgpr 118
		.amdhsa_next_free_sgpr 20
		.amdhsa_reserve_vcc 1
		.amdhsa_float_round_mode_32 0
		.amdhsa_float_round_mode_16_64 0
		.amdhsa_float_denorm_mode_32 3
		.amdhsa_float_denorm_mode_16_64 3
		.amdhsa_dx10_clamp 1
		.amdhsa_ieee_mode 1
		.amdhsa_fp16_overflow 0
		.amdhsa_workgroup_processor_mode 1
		.amdhsa_memory_ordered 1
		.amdhsa_forward_progress 0
		.amdhsa_shared_vgpr_count 0
		.amdhsa_exception_fp_ieee_invalid_op 0
		.amdhsa_exception_fp_denorm_src 0
		.amdhsa_exception_fp_ieee_div_zero 0
		.amdhsa_exception_fp_ieee_overflow 0
		.amdhsa_exception_fp_ieee_underflow 0
		.amdhsa_exception_fp_ieee_inexact 0
		.amdhsa_exception_int_div_zero 0
	.end_amdhsa_kernel
	.section	.text._ZL37rocblas_syrkx_herkx_restricted_kernelIl19rocblas_complex_numIdELi16ELi32ELi8ELi1ELin1ELb0ELc78ELc85EKPKS1_KPS1_EviT_PT9_S7_lS9_S7_lPT10_S7_li,"axG",@progbits,_ZL37rocblas_syrkx_herkx_restricted_kernelIl19rocblas_complex_numIdELi16ELi32ELi8ELi1ELin1ELb0ELc78ELc85EKPKS1_KPS1_EviT_PT9_S7_lS9_S7_lPT10_S7_li,comdat
.Lfunc_end1630:
	.size	_ZL37rocblas_syrkx_herkx_restricted_kernelIl19rocblas_complex_numIdELi16ELi32ELi8ELi1ELin1ELb0ELc78ELc85EKPKS1_KPS1_EviT_PT9_S7_lS9_S7_lPT10_S7_li, .Lfunc_end1630-_ZL37rocblas_syrkx_herkx_restricted_kernelIl19rocblas_complex_numIdELi16ELi32ELi8ELi1ELin1ELb0ELc78ELc85EKPKS1_KPS1_EviT_PT9_S7_lS9_S7_lPT10_S7_li
                                        ; -- End function
	.section	.AMDGPU.csdata,"",@progbits
; Kernel info:
; codeLenInByte = 3080
; NumSgprs: 22
; NumVgprs: 118
; ScratchSize: 0
; MemoryBound: 0
; FloatMode: 240
; IeeeMode: 1
; LDSByteSize: 8192 bytes/workgroup (compile time only)
; SGPRBlocks: 2
; VGPRBlocks: 14
; NumSGPRsForWavesPerEU: 22
; NumVGPRsForWavesPerEU: 118
; Occupancy: 12
; WaveLimiterHint : 1
; COMPUTE_PGM_RSRC2:SCRATCH_EN: 0
; COMPUTE_PGM_RSRC2:USER_SGPR: 13
; COMPUTE_PGM_RSRC2:TRAP_HANDLER: 0
; COMPUTE_PGM_RSRC2:TGID_X_EN: 1
; COMPUTE_PGM_RSRC2:TGID_Y_EN: 1
; COMPUTE_PGM_RSRC2:TGID_Z_EN: 1
; COMPUTE_PGM_RSRC2:TIDIG_COMP_CNT: 1
	.section	.text._ZL37rocblas_syrkx_herkx_restricted_kernelIl19rocblas_complex_numIdELi16ELi32ELi8ELi1ELi0ELb0ELc84ELc76EKPKS1_KPS1_EviT_PT9_S7_lS9_S7_lPT10_S7_li,"axG",@progbits,_ZL37rocblas_syrkx_herkx_restricted_kernelIl19rocblas_complex_numIdELi16ELi32ELi8ELi1ELi0ELb0ELc84ELc76EKPKS1_KPS1_EviT_PT9_S7_lS9_S7_lPT10_S7_li,comdat
	.globl	_ZL37rocblas_syrkx_herkx_restricted_kernelIl19rocblas_complex_numIdELi16ELi32ELi8ELi1ELi0ELb0ELc84ELc76EKPKS1_KPS1_EviT_PT9_S7_lS9_S7_lPT10_S7_li ; -- Begin function _ZL37rocblas_syrkx_herkx_restricted_kernelIl19rocblas_complex_numIdELi16ELi32ELi8ELi1ELi0ELb0ELc84ELc76EKPKS1_KPS1_EviT_PT9_S7_lS9_S7_lPT10_S7_li
	.p2align	8
	.type	_ZL37rocblas_syrkx_herkx_restricted_kernelIl19rocblas_complex_numIdELi16ELi32ELi8ELi1ELi0ELb0ELc84ELc76EKPKS1_KPS1_EviT_PT9_S7_lS9_S7_lPT10_S7_li,@function
_ZL37rocblas_syrkx_herkx_restricted_kernelIl19rocblas_complex_numIdELi16ELi32ELi8ELi1ELi0ELb0ELc84ELc76EKPKS1_KPS1_EviT_PT9_S7_lS9_S7_lPT10_S7_li: ; @_ZL37rocblas_syrkx_herkx_restricted_kernelIl19rocblas_complex_numIdELi16ELi32ELi8ELi1ELi0ELb0ELc84ELc76EKPKS1_KPS1_EviT_PT9_S7_lS9_S7_lPT10_S7_li
; %bb.0:
	s_clause 0x1
	s_load_b128 s[4:7], s[0:1], 0x40
	s_load_b128 s[8:11], s[0:1], 0x8
	s_mov_b32 s2, s15
	s_mov_b32 s3, 0
	v_mov_b32_e32 v12, 0
	s_lshl_b64 s[16:17], s[2:3], 3
	v_dual_mov_b32 v13, 0 :: v_dual_and_b32 v20, 0x3ff, v0
	v_bfe_u32 v21, v0, 10, 10
	s_delay_alu instid0(VALU_DEP_3) | instskip(NEXT) | instid1(VALU_DEP_3)
	v_mov_b32_e32 v8, v12
	v_dual_mov_b32 v10, v12 :: v_dual_mov_b32 v11, v13
	v_dual_mov_b32 v15, v13 :: v_dual_mov_b32 v14, v12
	v_dual_mov_b32 v9, v13 :: v_dual_mov_b32 v4, v12
	v_dual_mov_b32 v5, v13 :: v_dual_mov_b32 v6, v12
	v_dual_mov_b32 v7, v13 :: v_dual_mov_b32 v0, v12
	v_mov_b32_e32 v1, v13
	s_waitcnt lgkmcnt(0)
	s_add_u32 s2, s4, s16
	s_addc_u32 s3, s5, s17
	v_cmp_lt_i64_e64 s4, s[8:9], 1
	s_load_b64 s[2:3], s[2:3], 0x0
	v_dual_mov_b32 v2, v12 :: v_dual_mov_b32 v3, v13
	s_lshl_b32 s18, s13, 5
	s_lshl_b32 s19, s14, 5
	s_delay_alu instid0(VALU_DEP_2)
	s_and_b32 vcc_lo, exec_lo, s4
	s_cbranch_vccnz .LBB1631_3
; %bb.1:
	s_clause 0x1
	s_load_b128 s[12:15], s[0:1], 0x28
	s_load_b64 s[4:5], s[0:1], 0x18
	v_lshl_add_u32 v2, v21, 4, v20
	v_dual_mov_b32 v1, 0 :: v_dual_and_b32 v0, 7, v20
	s_add_u32 s10, s10, s16
	s_addc_u32 s11, s11, s17
	s_delay_alu instid0(VALU_DEP_2)
	v_lshrrev_b32_e32 v8, 3, v2
	v_and_b32_e32 v9, 31, v2
	v_lshrrev_b32_e32 v2, 5, v2
	v_mov_b32_e32 v3, v1
	s_load_b64 s[10:11], s[10:11], 0x0
	v_add_nc_u32_e32 v10, s19, v8
	v_add_nc_u32_e32 v6, s18, v9
	v_lshl_add_u32 v23, v21, 7, 0x1000
	s_delay_alu instid0(VALU_DEP_3) | instskip(NEXT) | instid1(VALU_DEP_3)
	v_ashrrev_i32_e32 v4, 31, v10
	v_ashrrev_i32_e32 v5, 31, v6
	s_waitcnt lgkmcnt(0)
	s_add_u32 s12, s12, s16
	s_addc_u32 s13, s13, s17
	v_mul_lo_u32 v11, v4, s14
	v_mul_lo_u32 v12, s4, v5
	v_mad_u64_u32 v[4:5], null, s4, v6, v[2:3]
	v_mul_lo_u32 v3, s5, v6
	s_load_b64 s[4:5], s[12:13], 0x0
	v_mul_lo_u32 v13, v10, s15
	v_mad_u64_u32 v[6:7], null, v10, s14, v[0:1]
	v_lshlrev_b32_e32 v0, 4, v0
	s_delay_alu instid0(VALU_DEP_4) | instskip(SKIP_1) | instid1(VALU_DEP_3)
	v_add3_u32 v5, v3, v5, v12
	v_lshlrev_b32_e32 v3, 4, v9
	v_lshl_or_b32 v8, v8, 7, v0
	v_add3_u32 v7, v11, v7, v13
	s_delay_alu instid0(VALU_DEP_4) | instskip(NEXT) | instid1(VALU_DEP_4)
	v_lshlrev_b64 v[0:1], 4, v[4:5]
	v_lshl_or_b32 v24, v2, 9, v3
	s_delay_alu instid0(VALU_DEP_3) | instskip(NEXT) | instid1(VALU_DEP_3)
	v_lshlrev_b64 v[2:3], 4, v[6:7]
	v_add_co_u32 v0, vcc_lo, v0, s10
	s_delay_alu instid0(VALU_DEP_4) | instskip(SKIP_1) | instid1(VALU_DEP_3)
	v_add_co_ci_u32_e32 v1, vcc_lo, s11, v1, vcc_lo
	s_waitcnt lgkmcnt(0)
	v_add_co_u32 v4, vcc_lo, v2, s4
	s_delay_alu instid0(VALU_DEP_4)
	v_add_co_ci_u32_e32 v5, vcc_lo, s5, v3, vcc_lo
	v_mov_b32_e32 v2, 0
	v_mov_b32_e32 v3, 0
	v_add_co_u32 v16, vcc_lo, v0, 8
	v_add_co_ci_u32_e32 v17, vcc_lo, 0, v1, vcc_lo
	v_add_co_u32 v18, vcc_lo, v4, 8
	s_delay_alu instid0(VALU_DEP_4)
	v_dual_mov_b32 v7, v3 :: v_dual_lshlrev_b32 v22, 4, v20
	v_add_co_ci_u32_e32 v19, vcc_lo, 0, v5, vcc_lo
	v_dual_mov_b32 v6, v2 :: v_dual_mov_b32 v5, v3
	v_dual_mov_b32 v4, v2 :: v_dual_mov_b32 v11, v3
	v_dual_mov_b32 v0, v2 :: v_dual_add_nc_u32 v25, 0x1000, v8
	v_dual_mov_b32 v10, v2 :: v_dual_mov_b32 v9, v3
	v_dual_mov_b32 v8, v2 :: v_dual_mov_b32 v15, v3
	;; [unrolled: 1-line block ×4, first 2 shown]
	s_mov_b64 s[4:5], 0
.LBB1631_2:                             ; =>This Inner Loop Header: Depth=1
	global_load_b128 v[26:29], v[16:17], off offset:-8
	global_load_b128 v[30:33], v[18:19], off offset:-8
	s_add_u32 s4, s4, 8
	v_add_co_u32 v16, vcc_lo, 0x80, v16
	s_addc_u32 s5, s5, 0
	v_add_co_ci_u32_e32 v17, vcc_lo, 0, v17, vcc_lo
	v_cmp_ge_u64_e64 s10, s[4:5], s[8:9]
	v_add_co_u32 v18, vcc_lo, 0x80, v18
	v_add_co_ci_u32_e32 v19, vcc_lo, 0, v19, vcc_lo
	s_waitcnt vmcnt(1)
	ds_store_b128 v24, v[26:29]
	s_waitcnt vmcnt(0)
	ds_store_b128 v25, v[30:33]
	s_waitcnt lgkmcnt(0)
	s_barrier
	buffer_gl0_inv
	ds_load_b128 v[26:29], v23
	ds_load_b128 v[30:33], v22
	ds_load_b128 v[34:37], v22 offset:256
	ds_load_b128 v[38:41], v23 offset:2048
	;; [unrolled: 1-line block ×13, first 2 shown]
	s_and_b32 vcc_lo, exec_lo, s10
	s_waitcnt lgkmcnt(13)
	v_mul_f64 v[86:87], v[28:29], v[32:33]
	v_mul_f64 v[88:89], v[26:27], v[32:33]
	s_waitcnt lgkmcnt(12)
	v_mul_f64 v[90:91], v[28:29], v[36:37]
	v_mul_f64 v[92:93], v[26:27], v[36:37]
	;; [unrolled: 3-line block ×3, first 2 shown]
	v_mul_f64 v[96:97], v[40:41], v[36:37]
	v_mul_f64 v[36:37], v[38:39], v[36:37]
	s_waitcnt lgkmcnt(8)
	v_mul_f64 v[98:99], v[44:45], v[52:53]
	v_mul_f64 v[100:101], v[42:43], v[52:53]
	s_waitcnt lgkmcnt(7)
	v_mul_f64 v[102:103], v[44:45], v[56:57]
	v_mul_f64 v[104:105], v[42:43], v[56:57]
	;; [unrolled: 1-line block ×6, first 2 shown]
	s_waitcnt lgkmcnt(3)
	v_mul_f64 v[112:113], v[58:59], v[72:73]
	s_waitcnt lgkmcnt(2)
	v_mul_f64 v[114:115], v[76:77], v[68:69]
	v_mul_f64 v[116:117], v[76:77], v[72:73]
	v_fma_f64 v[86:87], v[26:27], v[30:31], -v[86:87]
	v_fma_f64 v[88:89], v[28:29], v[30:31], v[88:89]
	v_fma_f64 v[90:91], v[26:27], v[34:35], -v[90:91]
	v_fma_f64 v[92:93], v[28:29], v[34:35], v[92:93]
	;; [unrolled: 2-line block ×4, first 2 shown]
	v_mul_f64 v[36:37], v[60:61], v[68:69]
	v_mul_f64 v[40:41], v[58:59], v[68:69]
	;; [unrolled: 1-line block ×5, first 2 shown]
	v_fma_f64 v[98:99], v[42:43], v[50:51], -v[98:99]
	v_fma_f64 v[100:101], v[44:45], v[50:51], v[100:101]
	v_fma_f64 v[42:43], v[42:43], v[54:55], -v[102:103]
	v_fma_f64 v[44:45], v[44:45], v[54:55], v[104:105]
	;; [unrolled: 2-line block ×4, first 2 shown]
	ds_load_b128 v[26:29], v22 offset:1792
	ds_load_b128 v[30:33], v22 offset:2048
	s_waitcnt lgkmcnt(2)
	v_mul_f64 v[56:57], v[64:65], v[84:85]
	v_add_f64 v[12:13], v[12:13], v[86:87]
	v_add_f64 v[14:15], v[14:15], v[88:89]
	;; [unrolled: 1-line block ×8, first 2 shown]
	v_mul_f64 v[86:87], v[62:63], v[84:85]
	s_waitcnt lgkmcnt(1)
	v_mul_f64 v[88:89], v[64:65], v[28:29]
	v_mul_f64 v[90:91], v[62:63], v[28:29]
	;; [unrolled: 1-line block ×6, first 2 shown]
	v_fma_f64 v[104:105], v[58:59], v[66:67], -v[36:37]
	v_fma_f64 v[106:107], v[60:61], v[66:67], v[40:41]
	v_fma_f64 v[58:59], v[58:59], v[70:71], -v[96:97]
	v_fma_f64 v[60:61], v[60:61], v[70:71], v[112:113]
	;; [unrolled: 2-line block ×4, first 2 shown]
	ds_load_b128 v[0:3], v22 offset:2304
	ds_load_b128 v[4:7], v23 offset:64
	v_fma_f64 v[56:57], v[62:63], v[82:83], -v[56:57]
	v_add_f64 v[72:73], v[12:13], v[98:99]
	v_add_f64 v[74:75], v[14:15], v[100:101]
	;; [unrolled: 1-line block ×8, first 2 shown]
	ds_load_b128 v[8:11], v23 offset:2112
	ds_load_b128 v[12:15], v23 offset:80
	;; [unrolled: 1-line block ×4, first 2 shown]
	s_waitcnt lgkmcnt(4)
	v_mul_f64 v[54:55], v[6:7], v[32:33]
	v_mul_f64 v[76:77], v[4:5], v[32:33]
	;; [unrolled: 1-line block ×4, first 2 shown]
	v_fma_f64 v[86:87], v[64:65], v[82:83], v[86:87]
	v_fma_f64 v[62:63], v[62:63], v[26:27], -v[88:89]
	v_fma_f64 v[64:65], v[64:65], v[26:27], v[90:91]
	v_fma_f64 v[88:89], v[78:79], v[82:83], -v[92:93]
	;; [unrolled: 2-line block ×3, first 2 shown]
	v_fma_f64 v[80:81], v[80:81], v[26:27], v[28:29]
	s_waitcnt lgkmcnt(3)
	v_mul_f64 v[102:103], v[10:11], v[32:33]
	v_mul_f64 v[32:33], v[8:9], v[32:33]
	v_mul_f64 v[108:109], v[10:11], v[2:3]
	v_mul_f64 v[2:3], v[8:9], v[2:3]
	s_waitcnt lgkmcnt(0)
	v_mul_f64 v[90:91], v[14:15], v[40:41]
	v_mul_f64 v[92:93], v[12:13], v[40:41]
	v_add_f64 v[72:73], v[72:73], v[104:105]
	v_add_f64 v[74:75], v[74:75], v[106:107]
	;; [unrolled: 1-line block ×8, first 2 shown]
	ds_load_b128 v[26:29], v22 offset:2816
	ds_load_b128 v[42:45], v22 offset:3072
	;; [unrolled: 1-line block ×4, first 2 shown]
	v_mul_f64 v[104:105], v[36:37], v[40:41]
	v_mul_f64 v[40:41], v[34:35], v[40:41]
	v_fma_f64 v[54:55], v[4:5], v[30:31], -v[54:55]
	v_fma_f64 v[76:77], v[6:7], v[30:31], v[76:77]
	v_fma_f64 v[98:99], v[4:5], v[0:1], -v[98:99]
	v_fma_f64 v[100:101], v[6:7], v[0:1], v[100:101]
	s_waitcnt lgkmcnt(3)
	v_mul_f64 v[94:95], v[14:15], v[28:29]
	v_mul_f64 v[96:97], v[12:13], v[28:29]
	;; [unrolled: 1-line block ×4, first 2 shown]
	v_fma_f64 v[102:103], v[8:9], v[30:31], -v[102:103]
	v_fma_f64 v[32:33], v[10:11], v[30:31], v[32:33]
	v_fma_f64 v[108:109], v[8:9], v[0:1], -v[108:109]
	v_fma_f64 v[112:113], v[10:11], v[0:1], v[2:3]
	ds_load_b128 v[0:3], v23 offset:2144
	ds_load_b128 v[4:7], v23 offset:112
	;; [unrolled: 1-line block ×4, first 2 shown]
	v_add_f64 v[56:57], v[72:73], v[56:57]
	v_add_f64 v[72:73], v[74:75], v[86:87]
	;; [unrolled: 1-line block ×8, first 2 shown]
	s_waitcnt lgkmcnt(4)
	v_mul_f64 v[70:71], v[52:53], v[44:45]
	v_mul_f64 v[74:75], v[50:51], v[44:45]
	;; [unrolled: 1-line block ×4, first 2 shown]
	s_waitcnt lgkmcnt(3)
	v_mul_f64 v[82:83], v[2:3], v[44:45]
	v_mul_f64 v[44:45], v[0:1], v[44:45]
	v_mul_f64 v[84:85], v[2:3], v[48:49]
	v_mul_f64 v[48:49], v[0:1], v[48:49]
	v_fma_f64 v[86:87], v[12:13], v[38:39], -v[90:91]
	v_fma_f64 v[88:89], v[14:15], v[38:39], v[92:93]
	v_fma_f64 v[90:91], v[12:13], v[26:27], -v[94:95]
	v_fma_f64 v[92:93], v[14:15], v[26:27], v[96:97]
	;; [unrolled: 2-line block ×4, first 2 shown]
	ds_load_b128 v[12:15], v22 offset:3840
	s_waitcnt lgkmcnt(0)
	s_barrier
	buffer_gl0_inv
	v_add_f64 v[36:37], v[56:57], v[54:55]
	v_add_f64 v[40:41], v[72:73], v[76:77]
	;; [unrolled: 1-line block ×8, first 2 shown]
	v_mul_f64 v[64:65], v[6:7], v[30:31]
	v_mul_f64 v[66:67], v[4:5], v[30:31]
	v_mul_f64 v[76:77], v[10:11], v[30:31]
	v_mul_f64 v[30:31], v[8:9], v[30:31]
	v_fma_f64 v[70:71], v[50:51], v[42:43], -v[70:71]
	v_mul_f64 v[68:69], v[6:7], v[14:15]
	v_mul_f64 v[72:73], v[4:5], v[14:15]
	v_mul_f64 v[96:97], v[10:11], v[14:15]
	v_mul_f64 v[14:15], v[8:9], v[14:15]
	v_fma_f64 v[74:75], v[52:53], v[42:43], v[74:75]
	v_fma_f64 v[50:51], v[50:51], v[46:47], -v[78:79]
	v_fma_f64 v[52:53], v[52:53], v[46:47], v[80:81]
	v_fma_f64 v[78:79], v[0:1], v[42:43], -v[82:83]
	;; [unrolled: 2-line block ×3, first 2 shown]
	v_fma_f64 v[2:3], v[2:3], v[46:47], v[48:49]
	v_add_f64 v[36:37], v[36:37], v[86:87]
	v_add_f64 v[40:41], v[40:41], v[88:89]
	;; [unrolled: 1-line block ×8, first 2 shown]
	v_fma_f64 v[38:39], v[4:5], v[28:29], -v[64:65]
	v_fma_f64 v[54:55], v[6:7], v[28:29], v[66:67]
	v_fma_f64 v[56:57], v[8:9], v[28:29], -v[76:77]
	v_fma_f64 v[28:29], v[10:11], v[28:29], v[30:31]
	;; [unrolled: 2-line block ×4, first 2 shown]
	v_add_f64 v[8:9], v[36:37], v[70:71]
	v_add_f64 v[10:11], v[40:41], v[74:75]
	;; [unrolled: 1-line block ×16, first 2 shown]
	s_cbranch_vccz .LBB1631_2
.LBB1631_3:
	v_add_nc_u32_e32 v18, s19, v21
	s_load_b32 s4, s[0:1], 0x0
	s_delay_alu instid0(VALU_DEP_1) | instskip(SKIP_2) | instid1(VALU_DEP_3)
	v_ashrrev_i32_e32 v16, 31, v18
	v_mul_lo_u32 v17, v18, s7
	v_mad_u64_u32 v[21:22], null, v18, s6, 0
	v_mul_lo_u32 v16, v16, s6
	s_delay_alu instid0(VALU_DEP_1) | instskip(SKIP_1) | instid1(VALU_DEP_2)
	v_add3_u32 v22, v22, v17, v16
	v_add_nc_u32_e32 v16, s18, v20
	v_lshlrev_b64 v[19:20], 4, v[21:22]
	s_delay_alu instid0(VALU_DEP_2) | instskip(SKIP_2) | instid1(VALU_DEP_3)
	v_cmp_le_i32_e64 s0, v18, v16
	s_waitcnt lgkmcnt(0)
	v_cmp_gt_i32_e32 vcc_lo, s4, v16
	v_add_co_u32 v19, s1, s2, v19
	s_delay_alu instid0(VALU_DEP_1) | instskip(SKIP_1) | instid1(SALU_CYCLE_1)
	v_add_co_ci_u32_e64 v20, s1, s3, v20, s1
	s_and_b32 s0, s0, vcc_lo
	s_and_saveexec_b32 s1, s0
	s_cbranch_execz .LBB1631_5
; %bb.4:
	v_ashrrev_i32_e32 v17, 31, v16
	s_delay_alu instid0(VALU_DEP_1) | instskip(NEXT) | instid1(VALU_DEP_1)
	v_lshlrev_b64 v[21:22], 4, v[16:17]
	v_add_co_u32 v21, s0, v19, v21
	s_delay_alu instid0(VALU_DEP_1)
	v_add_co_ci_u32_e64 v22, s0, v20, v22, s0
	global_store_b128 v[21:22], v[12:15], off
.LBB1631_5:
	s_or_b32 exec_lo, exec_lo, s1
	v_add_nc_u32_e32 v12, 16, v16
	s_delay_alu instid0(VALU_DEP_1) | instskip(SKIP_1) | instid1(VALU_DEP_1)
	v_cmp_le_i32_e64 s1, v18, v12
	v_cmp_gt_i32_e64 s0, s4, v12
	s_and_b32 s1, s1, s0
	s_delay_alu instid0(SALU_CYCLE_1)
	s_and_saveexec_b32 s4, s1
	s_cbranch_execz .LBB1631_7
; %bb.6:
	v_ashrrev_i32_e32 v13, 31, v12
	s_delay_alu instid0(VALU_DEP_1) | instskip(NEXT) | instid1(VALU_DEP_1)
	v_lshlrev_b64 v[13:14], 4, v[12:13]
	v_add_co_u32 v13, s1, v19, v13
	s_delay_alu instid0(VALU_DEP_1)
	v_add_co_ci_u32_e64 v14, s1, v20, v14, s1
	global_store_b128 v[13:14], v[8:11], off
.LBB1631_7:
	s_or_b32 exec_lo, exec_lo, s4
	v_add_nc_u32_e32 v8, 16, v18
	s_delay_alu instid0(VALU_DEP_1) | instskip(SKIP_3) | instid1(VALU_DEP_4)
	v_ashrrev_i32_e32 v11, 31, v8
	v_mul_lo_u32 v13, v8, s7
	v_mad_u64_u32 v[9:10], null, v8, s6, 0
	v_cmp_le_i32_e64 s1, v8, v16
	v_mul_lo_u32 v11, v11, s6
	s_delay_alu instid0(VALU_DEP_1) | instskip(NEXT) | instid1(VALU_DEP_1)
	v_add3_u32 v10, v10, v13, v11
	v_lshlrev_b64 v[9:10], 4, v[9:10]
	s_delay_alu instid0(VALU_DEP_1) | instskip(NEXT) | instid1(VALU_DEP_1)
	v_add_co_u32 v9, s2, s2, v9
	v_add_co_ci_u32_e64 v10, s2, s3, v10, s2
	s_and_b32 s2, s1, vcc_lo
	s_delay_alu instid0(SALU_CYCLE_1)
	s_and_saveexec_b32 s1, s2
	s_cbranch_execz .LBB1631_9
; %bb.8:
	v_ashrrev_i32_e32 v17, 31, v16
	s_delay_alu instid0(VALU_DEP_1) | instskip(NEXT) | instid1(VALU_DEP_1)
	v_lshlrev_b64 v[13:14], 4, v[16:17]
	v_add_co_u32 v13, vcc_lo, v9, v13
	s_delay_alu instid0(VALU_DEP_2)
	v_add_co_ci_u32_e32 v14, vcc_lo, v10, v14, vcc_lo
	global_store_b128 v[13:14], v[4:7], off
.LBB1631_9:
	s_or_b32 exec_lo, exec_lo, s1
	v_cmp_le_i32_e32 vcc_lo, v8, v12
	s_and_b32 s0, vcc_lo, s0
	s_delay_alu instid0(SALU_CYCLE_1)
	s_and_saveexec_b32 s1, s0
	s_cbranch_execz .LBB1631_11
; %bb.10:
	v_ashrrev_i32_e32 v13, 31, v12
	s_delay_alu instid0(VALU_DEP_1) | instskip(NEXT) | instid1(VALU_DEP_1)
	v_lshlrev_b64 v[4:5], 4, v[12:13]
	v_add_co_u32 v4, vcc_lo, v9, v4
	s_delay_alu instid0(VALU_DEP_2)
	v_add_co_ci_u32_e32 v5, vcc_lo, v10, v5, vcc_lo
	global_store_b128 v[4:5], v[0:3], off
.LBB1631_11:
	s_nop 0
	s_sendmsg sendmsg(MSG_DEALLOC_VGPRS)
	s_endpgm
	.section	.rodata,"a",@progbits
	.p2align	6, 0x0
	.amdhsa_kernel _ZL37rocblas_syrkx_herkx_restricted_kernelIl19rocblas_complex_numIdELi16ELi32ELi8ELi1ELi0ELb0ELc84ELc76EKPKS1_KPS1_EviT_PT9_S7_lS9_S7_lPT10_S7_li
		.amdhsa_group_segment_fixed_size 8192
		.amdhsa_private_segment_fixed_size 0
		.amdhsa_kernarg_size 92
		.amdhsa_user_sgpr_count 13
		.amdhsa_user_sgpr_dispatch_ptr 0
		.amdhsa_user_sgpr_queue_ptr 0
		.amdhsa_user_sgpr_kernarg_segment_ptr 1
		.amdhsa_user_sgpr_dispatch_id 0
		.amdhsa_user_sgpr_private_segment_size 0
		.amdhsa_wavefront_size32 1
		.amdhsa_uses_dynamic_stack 0
		.amdhsa_enable_private_segment 0
		.amdhsa_system_sgpr_workgroup_id_x 1
		.amdhsa_system_sgpr_workgroup_id_y 1
		.amdhsa_system_sgpr_workgroup_id_z 1
		.amdhsa_system_sgpr_workgroup_info 0
		.amdhsa_system_vgpr_workitem_id 1
		.amdhsa_next_free_vgpr 118
		.amdhsa_next_free_sgpr 20
		.amdhsa_reserve_vcc 1
		.amdhsa_float_round_mode_32 0
		.amdhsa_float_round_mode_16_64 0
		.amdhsa_float_denorm_mode_32 3
		.amdhsa_float_denorm_mode_16_64 3
		.amdhsa_dx10_clamp 1
		.amdhsa_ieee_mode 1
		.amdhsa_fp16_overflow 0
		.amdhsa_workgroup_processor_mode 1
		.amdhsa_memory_ordered 1
		.amdhsa_forward_progress 0
		.amdhsa_shared_vgpr_count 0
		.amdhsa_exception_fp_ieee_invalid_op 0
		.amdhsa_exception_fp_denorm_src 0
		.amdhsa_exception_fp_ieee_div_zero 0
		.amdhsa_exception_fp_ieee_overflow 0
		.amdhsa_exception_fp_ieee_underflow 0
		.amdhsa_exception_fp_ieee_inexact 0
		.amdhsa_exception_int_div_zero 0
	.end_amdhsa_kernel
	.section	.text._ZL37rocblas_syrkx_herkx_restricted_kernelIl19rocblas_complex_numIdELi16ELi32ELi8ELi1ELi0ELb0ELc84ELc76EKPKS1_KPS1_EviT_PT9_S7_lS9_S7_lPT10_S7_li,"axG",@progbits,_ZL37rocblas_syrkx_herkx_restricted_kernelIl19rocblas_complex_numIdELi16ELi32ELi8ELi1ELi0ELb0ELc84ELc76EKPKS1_KPS1_EviT_PT9_S7_lS9_S7_lPT10_S7_li,comdat
.Lfunc_end1631:
	.size	_ZL37rocblas_syrkx_herkx_restricted_kernelIl19rocblas_complex_numIdELi16ELi32ELi8ELi1ELi0ELb0ELc84ELc76EKPKS1_KPS1_EviT_PT9_S7_lS9_S7_lPT10_S7_li, .Lfunc_end1631-_ZL37rocblas_syrkx_herkx_restricted_kernelIl19rocblas_complex_numIdELi16ELi32ELi8ELi1ELi0ELb0ELc84ELc76EKPKS1_KPS1_EviT_PT9_S7_lS9_S7_lPT10_S7_li
                                        ; -- End function
	.section	.AMDGPU.csdata,"",@progbits
; Kernel info:
; codeLenInByte = 3000
; NumSgprs: 22
; NumVgprs: 118
; ScratchSize: 0
; MemoryBound: 0
; FloatMode: 240
; IeeeMode: 1
; LDSByteSize: 8192 bytes/workgroup (compile time only)
; SGPRBlocks: 2
; VGPRBlocks: 14
; NumSGPRsForWavesPerEU: 22
; NumVGPRsForWavesPerEU: 118
; Occupancy: 12
; WaveLimiterHint : 1
; COMPUTE_PGM_RSRC2:SCRATCH_EN: 0
; COMPUTE_PGM_RSRC2:USER_SGPR: 13
; COMPUTE_PGM_RSRC2:TRAP_HANDLER: 0
; COMPUTE_PGM_RSRC2:TGID_X_EN: 1
; COMPUTE_PGM_RSRC2:TGID_Y_EN: 1
; COMPUTE_PGM_RSRC2:TGID_Z_EN: 1
; COMPUTE_PGM_RSRC2:TIDIG_COMP_CNT: 1
	.section	.text._ZL37rocblas_syrkx_herkx_restricted_kernelIl19rocblas_complex_numIdELi16ELi32ELi8ELi1ELi0ELb0ELc67ELc76EKPKS1_KPS1_EviT_PT9_S7_lS9_S7_lPT10_S7_li,"axG",@progbits,_ZL37rocblas_syrkx_herkx_restricted_kernelIl19rocblas_complex_numIdELi16ELi32ELi8ELi1ELi0ELb0ELc67ELc76EKPKS1_KPS1_EviT_PT9_S7_lS9_S7_lPT10_S7_li,comdat
	.globl	_ZL37rocblas_syrkx_herkx_restricted_kernelIl19rocblas_complex_numIdELi16ELi32ELi8ELi1ELi0ELb0ELc67ELc76EKPKS1_KPS1_EviT_PT9_S7_lS9_S7_lPT10_S7_li ; -- Begin function _ZL37rocblas_syrkx_herkx_restricted_kernelIl19rocblas_complex_numIdELi16ELi32ELi8ELi1ELi0ELb0ELc67ELc76EKPKS1_KPS1_EviT_PT9_S7_lS9_S7_lPT10_S7_li
	.p2align	8
	.type	_ZL37rocblas_syrkx_herkx_restricted_kernelIl19rocblas_complex_numIdELi16ELi32ELi8ELi1ELi0ELb0ELc67ELc76EKPKS1_KPS1_EviT_PT9_S7_lS9_S7_lPT10_S7_li,@function
_ZL37rocblas_syrkx_herkx_restricted_kernelIl19rocblas_complex_numIdELi16ELi32ELi8ELi1ELi0ELb0ELc67ELc76EKPKS1_KPS1_EviT_PT9_S7_lS9_S7_lPT10_S7_li: ; @_ZL37rocblas_syrkx_herkx_restricted_kernelIl19rocblas_complex_numIdELi16ELi32ELi8ELi1ELi0ELb0ELc67ELc76EKPKS1_KPS1_EviT_PT9_S7_lS9_S7_lPT10_S7_li
; %bb.0:
	s_clause 0x1
	s_load_b128 s[4:7], s[0:1], 0x40
	s_load_b128 s[8:11], s[0:1], 0x8
	s_mov_b32 s2, s15
	s_mov_b32 s3, 0
	v_mov_b32_e32 v12, 0
	s_lshl_b64 s[16:17], s[2:3], 3
	v_dual_mov_b32 v13, 0 :: v_dual_and_b32 v20, 0x3ff, v0
	v_bfe_u32 v21, v0, 10, 10
	s_delay_alu instid0(VALU_DEP_3) | instskip(NEXT) | instid1(VALU_DEP_3)
	v_mov_b32_e32 v8, v12
	v_dual_mov_b32 v10, v12 :: v_dual_mov_b32 v11, v13
	v_dual_mov_b32 v15, v13 :: v_dual_mov_b32 v14, v12
	;; [unrolled: 1-line block ×5, first 2 shown]
	v_mov_b32_e32 v1, v13
	s_waitcnt lgkmcnt(0)
	s_add_u32 s2, s4, s16
	s_addc_u32 s3, s5, s17
	v_cmp_lt_i64_e64 s4, s[8:9], 1
	s_load_b64 s[2:3], s[2:3], 0x0
	v_dual_mov_b32 v2, v12 :: v_dual_mov_b32 v3, v13
	s_lshl_b32 s18, s13, 5
	s_lshl_b32 s19, s14, 5
	s_delay_alu instid0(VALU_DEP_2)
	s_and_b32 vcc_lo, exec_lo, s4
	s_cbranch_vccnz .LBB1632_3
; %bb.1:
	s_clause 0x1
	s_load_b128 s[12:15], s[0:1], 0x28
	s_load_b64 s[4:5], s[0:1], 0x18
	v_lshl_add_u32 v2, v21, 4, v20
	v_dual_mov_b32 v1, 0 :: v_dual_and_b32 v0, 7, v20
	s_add_u32 s10, s10, s16
	s_addc_u32 s11, s11, s17
	s_delay_alu instid0(VALU_DEP_2)
	v_lshrrev_b32_e32 v8, 3, v2
	v_and_b32_e32 v9, 31, v2
	v_lshrrev_b32_e32 v2, 5, v2
	v_mov_b32_e32 v3, v1
	s_load_b64 s[10:11], s[10:11], 0x0
	v_add_nc_u32_e32 v10, s19, v8
	v_add_nc_u32_e32 v6, s18, v9
	v_lshl_add_u32 v23, v21, 7, 0x1000
	s_delay_alu instid0(VALU_DEP_3) | instskip(NEXT) | instid1(VALU_DEP_3)
	v_ashrrev_i32_e32 v4, 31, v10
	v_ashrrev_i32_e32 v5, 31, v6
	s_waitcnt lgkmcnt(0)
	s_add_u32 s12, s12, s16
	s_addc_u32 s13, s13, s17
	v_mul_lo_u32 v11, v4, s14
	v_mul_lo_u32 v12, s4, v5
	v_mad_u64_u32 v[4:5], null, s4, v6, v[2:3]
	v_mul_lo_u32 v3, s5, v6
	s_load_b64 s[4:5], s[12:13], 0x0
	v_mul_lo_u32 v13, v10, s15
	v_mad_u64_u32 v[6:7], null, v10, s14, v[0:1]
	v_lshlrev_b32_e32 v0, 4, v0
	s_delay_alu instid0(VALU_DEP_4) | instskip(SKIP_1) | instid1(VALU_DEP_3)
	v_add3_u32 v5, v3, v5, v12
	v_lshlrev_b32_e32 v3, 4, v9
	v_lshl_or_b32 v8, v8, 7, v0
	v_add3_u32 v7, v11, v7, v13
	s_delay_alu instid0(VALU_DEP_4) | instskip(NEXT) | instid1(VALU_DEP_4)
	v_lshlrev_b64 v[0:1], 4, v[4:5]
	v_lshl_or_b32 v24, v2, 9, v3
	s_delay_alu instid0(VALU_DEP_3) | instskip(NEXT) | instid1(VALU_DEP_3)
	v_lshlrev_b64 v[2:3], 4, v[6:7]
	v_add_co_u32 v0, vcc_lo, v0, s10
	s_delay_alu instid0(VALU_DEP_4) | instskip(SKIP_1) | instid1(VALU_DEP_3)
	v_add_co_ci_u32_e32 v1, vcc_lo, s11, v1, vcc_lo
	s_waitcnt lgkmcnt(0)
	v_add_co_u32 v4, vcc_lo, v2, s4
	s_delay_alu instid0(VALU_DEP_4)
	v_add_co_ci_u32_e32 v5, vcc_lo, s5, v3, vcc_lo
	v_mov_b32_e32 v2, 0
	v_mov_b32_e32 v3, 0
	v_add_co_u32 v16, vcc_lo, v0, 8
	v_add_co_ci_u32_e32 v17, vcc_lo, 0, v1, vcc_lo
	v_add_co_u32 v18, vcc_lo, v4, 8
	s_delay_alu instid0(VALU_DEP_4)
	v_dual_mov_b32 v7, v3 :: v_dual_lshlrev_b32 v22, 4, v20
	v_add_co_ci_u32_e32 v19, vcc_lo, 0, v5, vcc_lo
	v_dual_mov_b32 v6, v2 :: v_dual_mov_b32 v5, v3
	v_dual_mov_b32 v4, v2 :: v_dual_mov_b32 v11, v3
	v_dual_mov_b32 v0, v2 :: v_dual_add_nc_u32 v25, 0x1000, v8
	v_dual_mov_b32 v10, v2 :: v_dual_mov_b32 v9, v3
	v_dual_mov_b32 v8, v2 :: v_dual_mov_b32 v15, v3
	;; [unrolled: 1-line block ×4, first 2 shown]
	s_mov_b64 s[4:5], 0
.LBB1632_2:                             ; =>This Inner Loop Header: Depth=1
	global_load_b128 v[26:29], v[16:17], off offset:-8
	global_load_b128 v[30:33], v[18:19], off offset:-8
	s_add_u32 s4, s4, 8
	v_add_co_u32 v16, vcc_lo, 0x80, v16
	s_addc_u32 s5, s5, 0
	v_add_co_ci_u32_e32 v17, vcc_lo, 0, v17, vcc_lo
	v_cmp_ge_u64_e64 s10, s[4:5], s[8:9]
	v_add_co_u32 v18, vcc_lo, 0x80, v18
	v_add_co_ci_u32_e32 v19, vcc_lo, 0, v19, vcc_lo
	s_waitcnt vmcnt(1)
	ds_store_b128 v24, v[26:29]
	s_waitcnt vmcnt(0)
	ds_store_b128 v25, v[30:33]
	s_waitcnt lgkmcnt(0)
	s_barrier
	buffer_gl0_inv
	ds_load_b128 v[26:29], v23
	ds_load_b128 v[30:33], v22
	ds_load_b128 v[34:37], v22 offset:256
	ds_load_b128 v[38:41], v23 offset:2048
	;; [unrolled: 1-line block ×13, first 2 shown]
	s_and_b32 vcc_lo, exec_lo, s10
	s_waitcnt lgkmcnt(13)
	v_mul_f64 v[86:87], v[28:29], v[32:33]
	v_mul_f64 v[88:89], v[26:27], v[32:33]
	s_waitcnt lgkmcnt(12)
	v_mul_f64 v[90:91], v[28:29], v[36:37]
	v_mul_f64 v[92:93], v[26:27], v[36:37]
	;; [unrolled: 3-line block ×3, first 2 shown]
	v_mul_f64 v[96:97], v[40:41], v[36:37]
	v_mul_f64 v[36:37], v[38:39], v[36:37]
	s_waitcnt lgkmcnt(8)
	v_mul_f64 v[98:99], v[44:45], v[52:53]
	v_mul_f64 v[100:101], v[42:43], v[52:53]
	s_waitcnt lgkmcnt(7)
	v_mul_f64 v[102:103], v[44:45], v[56:57]
	v_mul_f64 v[104:105], v[42:43], v[56:57]
	;; [unrolled: 1-line block ×6, first 2 shown]
	s_waitcnt lgkmcnt(3)
	v_mul_f64 v[112:113], v[58:59], v[72:73]
	s_waitcnt lgkmcnt(2)
	v_mul_f64 v[114:115], v[76:77], v[68:69]
	v_mul_f64 v[116:117], v[76:77], v[72:73]
	v_fma_f64 v[86:87], v[26:27], v[30:31], -v[86:87]
	v_fma_f64 v[88:89], v[28:29], v[30:31], v[88:89]
	v_fma_f64 v[90:91], v[26:27], v[34:35], -v[90:91]
	v_fma_f64 v[92:93], v[28:29], v[34:35], v[92:93]
	;; [unrolled: 2-line block ×4, first 2 shown]
	v_mul_f64 v[36:37], v[60:61], v[68:69]
	v_mul_f64 v[40:41], v[58:59], v[68:69]
	;; [unrolled: 1-line block ×5, first 2 shown]
	v_fma_f64 v[98:99], v[42:43], v[50:51], -v[98:99]
	v_fma_f64 v[100:101], v[44:45], v[50:51], v[100:101]
	v_fma_f64 v[42:43], v[42:43], v[54:55], -v[102:103]
	v_fma_f64 v[44:45], v[44:45], v[54:55], v[104:105]
	;; [unrolled: 2-line block ×4, first 2 shown]
	ds_load_b128 v[26:29], v22 offset:1792
	ds_load_b128 v[30:33], v22 offset:2048
	s_waitcnt lgkmcnt(2)
	v_mul_f64 v[56:57], v[64:65], v[84:85]
	v_add_f64 v[12:13], v[12:13], v[86:87]
	v_add_f64 v[14:15], v[14:15], v[88:89]
	;; [unrolled: 1-line block ×8, first 2 shown]
	v_mul_f64 v[86:87], v[62:63], v[84:85]
	s_waitcnt lgkmcnt(1)
	v_mul_f64 v[88:89], v[64:65], v[28:29]
	v_mul_f64 v[90:91], v[62:63], v[28:29]
	;; [unrolled: 1-line block ×6, first 2 shown]
	v_fma_f64 v[104:105], v[58:59], v[66:67], -v[36:37]
	v_fma_f64 v[106:107], v[60:61], v[66:67], v[40:41]
	v_fma_f64 v[58:59], v[58:59], v[70:71], -v[96:97]
	v_fma_f64 v[60:61], v[60:61], v[70:71], v[112:113]
	;; [unrolled: 2-line block ×4, first 2 shown]
	ds_load_b128 v[0:3], v22 offset:2304
	ds_load_b128 v[4:7], v23 offset:64
	v_fma_f64 v[56:57], v[62:63], v[82:83], -v[56:57]
	v_add_f64 v[72:73], v[12:13], v[98:99]
	v_add_f64 v[74:75], v[14:15], v[100:101]
	;; [unrolled: 1-line block ×8, first 2 shown]
	ds_load_b128 v[8:11], v23 offset:2112
	ds_load_b128 v[12:15], v23 offset:80
	;; [unrolled: 1-line block ×4, first 2 shown]
	s_waitcnt lgkmcnt(4)
	v_mul_f64 v[54:55], v[6:7], v[32:33]
	v_mul_f64 v[76:77], v[4:5], v[32:33]
	;; [unrolled: 1-line block ×4, first 2 shown]
	v_fma_f64 v[86:87], v[64:65], v[82:83], v[86:87]
	v_fma_f64 v[62:63], v[62:63], v[26:27], -v[88:89]
	v_fma_f64 v[64:65], v[64:65], v[26:27], v[90:91]
	v_fma_f64 v[88:89], v[78:79], v[82:83], -v[92:93]
	;; [unrolled: 2-line block ×3, first 2 shown]
	v_fma_f64 v[80:81], v[80:81], v[26:27], v[28:29]
	s_waitcnt lgkmcnt(3)
	v_mul_f64 v[102:103], v[10:11], v[32:33]
	v_mul_f64 v[32:33], v[8:9], v[32:33]
	;; [unrolled: 1-line block ×4, first 2 shown]
	s_waitcnt lgkmcnt(0)
	v_mul_f64 v[90:91], v[14:15], v[40:41]
	v_mul_f64 v[92:93], v[12:13], v[40:41]
	v_add_f64 v[72:73], v[72:73], v[104:105]
	v_add_f64 v[74:75], v[74:75], v[106:107]
	;; [unrolled: 1-line block ×8, first 2 shown]
	ds_load_b128 v[26:29], v22 offset:2816
	ds_load_b128 v[42:45], v22 offset:3072
	;; [unrolled: 1-line block ×4, first 2 shown]
	v_mul_f64 v[104:105], v[36:37], v[40:41]
	v_mul_f64 v[40:41], v[34:35], v[40:41]
	v_fma_f64 v[54:55], v[4:5], v[30:31], -v[54:55]
	v_fma_f64 v[76:77], v[6:7], v[30:31], v[76:77]
	v_fma_f64 v[98:99], v[4:5], v[0:1], -v[98:99]
	v_fma_f64 v[100:101], v[6:7], v[0:1], v[100:101]
	s_waitcnt lgkmcnt(3)
	v_mul_f64 v[94:95], v[14:15], v[28:29]
	v_mul_f64 v[96:97], v[12:13], v[28:29]
	;; [unrolled: 1-line block ×4, first 2 shown]
	v_fma_f64 v[102:103], v[8:9], v[30:31], -v[102:103]
	v_fma_f64 v[32:33], v[10:11], v[30:31], v[32:33]
	v_fma_f64 v[108:109], v[8:9], v[0:1], -v[108:109]
	v_fma_f64 v[112:113], v[10:11], v[0:1], v[2:3]
	ds_load_b128 v[0:3], v23 offset:2144
	ds_load_b128 v[4:7], v23 offset:112
	;; [unrolled: 1-line block ×4, first 2 shown]
	v_add_f64 v[56:57], v[72:73], v[56:57]
	v_add_f64 v[72:73], v[74:75], v[86:87]
	;; [unrolled: 1-line block ×8, first 2 shown]
	s_waitcnt lgkmcnt(4)
	v_mul_f64 v[70:71], v[52:53], v[44:45]
	v_mul_f64 v[74:75], v[50:51], v[44:45]
	;; [unrolled: 1-line block ×4, first 2 shown]
	s_waitcnt lgkmcnt(3)
	v_mul_f64 v[82:83], v[2:3], v[44:45]
	v_mul_f64 v[44:45], v[0:1], v[44:45]
	;; [unrolled: 1-line block ×4, first 2 shown]
	v_fma_f64 v[86:87], v[12:13], v[38:39], -v[90:91]
	v_fma_f64 v[88:89], v[14:15], v[38:39], v[92:93]
	v_fma_f64 v[90:91], v[12:13], v[26:27], -v[94:95]
	v_fma_f64 v[92:93], v[14:15], v[26:27], v[96:97]
	;; [unrolled: 2-line block ×4, first 2 shown]
	ds_load_b128 v[12:15], v22 offset:3840
	s_waitcnt lgkmcnt(0)
	s_barrier
	buffer_gl0_inv
	v_add_f64 v[36:37], v[56:57], v[54:55]
	v_add_f64 v[40:41], v[72:73], v[76:77]
	;; [unrolled: 1-line block ×8, first 2 shown]
	v_mul_f64 v[64:65], v[6:7], v[30:31]
	v_mul_f64 v[66:67], v[4:5], v[30:31]
	;; [unrolled: 1-line block ×4, first 2 shown]
	v_fma_f64 v[70:71], v[50:51], v[42:43], -v[70:71]
	v_mul_f64 v[68:69], v[6:7], v[14:15]
	v_mul_f64 v[72:73], v[4:5], v[14:15]
	;; [unrolled: 1-line block ×4, first 2 shown]
	v_fma_f64 v[74:75], v[52:53], v[42:43], v[74:75]
	v_fma_f64 v[50:51], v[50:51], v[46:47], -v[78:79]
	v_fma_f64 v[52:53], v[52:53], v[46:47], v[80:81]
	v_fma_f64 v[78:79], v[0:1], v[42:43], -v[82:83]
	;; [unrolled: 2-line block ×3, first 2 shown]
	v_fma_f64 v[2:3], v[2:3], v[46:47], v[48:49]
	v_add_f64 v[36:37], v[36:37], v[86:87]
	v_add_f64 v[40:41], v[40:41], v[88:89]
	;; [unrolled: 1-line block ×8, first 2 shown]
	v_fma_f64 v[38:39], v[4:5], v[28:29], -v[64:65]
	v_fma_f64 v[54:55], v[6:7], v[28:29], v[66:67]
	v_fma_f64 v[56:57], v[8:9], v[28:29], -v[76:77]
	v_fma_f64 v[28:29], v[10:11], v[28:29], v[30:31]
	v_fma_f64 v[4:5], v[4:5], v[12:13], -v[68:69]
	v_fma_f64 v[6:7], v[6:7], v[12:13], v[72:73]
	v_fma_f64 v[30:31], v[8:9], v[12:13], -v[96:97]
	v_fma_f64 v[58:59], v[10:11], v[12:13], v[14:15]
	v_add_f64 v[8:9], v[36:37], v[70:71]
	v_add_f64 v[10:11], v[40:41], v[74:75]
	;; [unrolled: 1-line block ×16, first 2 shown]
	s_cbranch_vccz .LBB1632_2
.LBB1632_3:
	v_add_nc_u32_e32 v18, s19, v21
	s_load_b32 s4, s[0:1], 0x0
	s_delay_alu instid0(VALU_DEP_1) | instskip(SKIP_2) | instid1(VALU_DEP_3)
	v_ashrrev_i32_e32 v16, 31, v18
	v_mul_lo_u32 v17, v18, s7
	v_mad_u64_u32 v[21:22], null, v18, s6, 0
	v_mul_lo_u32 v16, v16, s6
	s_delay_alu instid0(VALU_DEP_1) | instskip(SKIP_1) | instid1(VALU_DEP_2)
	v_add3_u32 v22, v22, v17, v16
	v_add_nc_u32_e32 v16, s18, v20
	v_lshlrev_b64 v[19:20], 4, v[21:22]
	s_delay_alu instid0(VALU_DEP_2) | instskip(SKIP_2) | instid1(VALU_DEP_3)
	v_cmp_le_i32_e64 s0, v18, v16
	s_waitcnt lgkmcnt(0)
	v_cmp_gt_i32_e32 vcc_lo, s4, v16
	v_add_co_u32 v19, s1, s2, v19
	s_delay_alu instid0(VALU_DEP_1) | instskip(SKIP_1) | instid1(SALU_CYCLE_1)
	v_add_co_ci_u32_e64 v20, s1, s3, v20, s1
	s_and_b32 s0, s0, vcc_lo
	s_and_saveexec_b32 s1, s0
	s_cbranch_execz .LBB1632_5
; %bb.4:
	v_ashrrev_i32_e32 v17, 31, v16
	s_delay_alu instid0(VALU_DEP_1) | instskip(NEXT) | instid1(VALU_DEP_1)
	v_lshlrev_b64 v[21:22], 4, v[16:17]
	v_add_co_u32 v21, s0, v19, v21
	s_delay_alu instid0(VALU_DEP_1)
	v_add_co_ci_u32_e64 v22, s0, v20, v22, s0
	global_store_b128 v[21:22], v[12:15], off
.LBB1632_5:
	s_or_b32 exec_lo, exec_lo, s1
	v_add_nc_u32_e32 v12, 16, v16
	s_delay_alu instid0(VALU_DEP_1) | instskip(SKIP_1) | instid1(VALU_DEP_1)
	v_cmp_le_i32_e64 s1, v18, v12
	v_cmp_gt_i32_e64 s0, s4, v12
	s_and_b32 s1, s1, s0
	s_delay_alu instid0(SALU_CYCLE_1)
	s_and_saveexec_b32 s4, s1
	s_cbranch_execz .LBB1632_7
; %bb.6:
	v_ashrrev_i32_e32 v13, 31, v12
	s_delay_alu instid0(VALU_DEP_1) | instskip(NEXT) | instid1(VALU_DEP_1)
	v_lshlrev_b64 v[13:14], 4, v[12:13]
	v_add_co_u32 v13, s1, v19, v13
	s_delay_alu instid0(VALU_DEP_1)
	v_add_co_ci_u32_e64 v14, s1, v20, v14, s1
	global_store_b128 v[13:14], v[8:11], off
.LBB1632_7:
	s_or_b32 exec_lo, exec_lo, s4
	v_add_nc_u32_e32 v8, 16, v18
	s_delay_alu instid0(VALU_DEP_1) | instskip(SKIP_3) | instid1(VALU_DEP_4)
	v_ashrrev_i32_e32 v11, 31, v8
	v_mul_lo_u32 v13, v8, s7
	v_mad_u64_u32 v[9:10], null, v8, s6, 0
	v_cmp_le_i32_e64 s1, v8, v16
	v_mul_lo_u32 v11, v11, s6
	s_delay_alu instid0(VALU_DEP_1) | instskip(NEXT) | instid1(VALU_DEP_1)
	v_add3_u32 v10, v10, v13, v11
	v_lshlrev_b64 v[9:10], 4, v[9:10]
	s_delay_alu instid0(VALU_DEP_1) | instskip(NEXT) | instid1(VALU_DEP_1)
	v_add_co_u32 v9, s2, s2, v9
	v_add_co_ci_u32_e64 v10, s2, s3, v10, s2
	s_and_b32 s2, s1, vcc_lo
	s_delay_alu instid0(SALU_CYCLE_1)
	s_and_saveexec_b32 s1, s2
	s_cbranch_execz .LBB1632_9
; %bb.8:
	v_ashrrev_i32_e32 v17, 31, v16
	s_delay_alu instid0(VALU_DEP_1) | instskip(NEXT) | instid1(VALU_DEP_1)
	v_lshlrev_b64 v[13:14], 4, v[16:17]
	v_add_co_u32 v13, vcc_lo, v9, v13
	s_delay_alu instid0(VALU_DEP_2)
	v_add_co_ci_u32_e32 v14, vcc_lo, v10, v14, vcc_lo
	global_store_b128 v[13:14], v[4:7], off
.LBB1632_9:
	s_or_b32 exec_lo, exec_lo, s1
	v_cmp_le_i32_e32 vcc_lo, v8, v12
	s_and_b32 s0, vcc_lo, s0
	s_delay_alu instid0(SALU_CYCLE_1)
	s_and_saveexec_b32 s1, s0
	s_cbranch_execz .LBB1632_11
; %bb.10:
	v_ashrrev_i32_e32 v13, 31, v12
	s_delay_alu instid0(VALU_DEP_1) | instskip(NEXT) | instid1(VALU_DEP_1)
	v_lshlrev_b64 v[4:5], 4, v[12:13]
	v_add_co_u32 v4, vcc_lo, v9, v4
	s_delay_alu instid0(VALU_DEP_2)
	v_add_co_ci_u32_e32 v5, vcc_lo, v10, v5, vcc_lo
	global_store_b128 v[4:5], v[0:3], off
.LBB1632_11:
	s_nop 0
	s_sendmsg sendmsg(MSG_DEALLOC_VGPRS)
	s_endpgm
	.section	.rodata,"a",@progbits
	.p2align	6, 0x0
	.amdhsa_kernel _ZL37rocblas_syrkx_herkx_restricted_kernelIl19rocblas_complex_numIdELi16ELi32ELi8ELi1ELi0ELb0ELc67ELc76EKPKS1_KPS1_EviT_PT9_S7_lS9_S7_lPT10_S7_li
		.amdhsa_group_segment_fixed_size 8192
		.amdhsa_private_segment_fixed_size 0
		.amdhsa_kernarg_size 92
		.amdhsa_user_sgpr_count 13
		.amdhsa_user_sgpr_dispatch_ptr 0
		.amdhsa_user_sgpr_queue_ptr 0
		.amdhsa_user_sgpr_kernarg_segment_ptr 1
		.amdhsa_user_sgpr_dispatch_id 0
		.amdhsa_user_sgpr_private_segment_size 0
		.amdhsa_wavefront_size32 1
		.amdhsa_uses_dynamic_stack 0
		.amdhsa_enable_private_segment 0
		.amdhsa_system_sgpr_workgroup_id_x 1
		.amdhsa_system_sgpr_workgroup_id_y 1
		.amdhsa_system_sgpr_workgroup_id_z 1
		.amdhsa_system_sgpr_workgroup_info 0
		.amdhsa_system_vgpr_workitem_id 1
		.amdhsa_next_free_vgpr 118
		.amdhsa_next_free_sgpr 20
		.amdhsa_reserve_vcc 1
		.amdhsa_float_round_mode_32 0
		.amdhsa_float_round_mode_16_64 0
		.amdhsa_float_denorm_mode_32 3
		.amdhsa_float_denorm_mode_16_64 3
		.amdhsa_dx10_clamp 1
		.amdhsa_ieee_mode 1
		.amdhsa_fp16_overflow 0
		.amdhsa_workgroup_processor_mode 1
		.amdhsa_memory_ordered 1
		.amdhsa_forward_progress 0
		.amdhsa_shared_vgpr_count 0
		.amdhsa_exception_fp_ieee_invalid_op 0
		.amdhsa_exception_fp_denorm_src 0
		.amdhsa_exception_fp_ieee_div_zero 0
		.amdhsa_exception_fp_ieee_overflow 0
		.amdhsa_exception_fp_ieee_underflow 0
		.amdhsa_exception_fp_ieee_inexact 0
		.amdhsa_exception_int_div_zero 0
	.end_amdhsa_kernel
	.section	.text._ZL37rocblas_syrkx_herkx_restricted_kernelIl19rocblas_complex_numIdELi16ELi32ELi8ELi1ELi0ELb0ELc67ELc76EKPKS1_KPS1_EviT_PT9_S7_lS9_S7_lPT10_S7_li,"axG",@progbits,_ZL37rocblas_syrkx_herkx_restricted_kernelIl19rocblas_complex_numIdELi16ELi32ELi8ELi1ELi0ELb0ELc67ELc76EKPKS1_KPS1_EviT_PT9_S7_lS9_S7_lPT10_S7_li,comdat
.Lfunc_end1632:
	.size	_ZL37rocblas_syrkx_herkx_restricted_kernelIl19rocblas_complex_numIdELi16ELi32ELi8ELi1ELi0ELb0ELc67ELc76EKPKS1_KPS1_EviT_PT9_S7_lS9_S7_lPT10_S7_li, .Lfunc_end1632-_ZL37rocblas_syrkx_herkx_restricted_kernelIl19rocblas_complex_numIdELi16ELi32ELi8ELi1ELi0ELb0ELc67ELc76EKPKS1_KPS1_EviT_PT9_S7_lS9_S7_lPT10_S7_li
                                        ; -- End function
	.section	.AMDGPU.csdata,"",@progbits
; Kernel info:
; codeLenInByte = 3000
; NumSgprs: 22
; NumVgprs: 118
; ScratchSize: 0
; MemoryBound: 0
; FloatMode: 240
; IeeeMode: 1
; LDSByteSize: 8192 bytes/workgroup (compile time only)
; SGPRBlocks: 2
; VGPRBlocks: 14
; NumSGPRsForWavesPerEU: 22
; NumVGPRsForWavesPerEU: 118
; Occupancy: 12
; WaveLimiterHint : 1
; COMPUTE_PGM_RSRC2:SCRATCH_EN: 0
; COMPUTE_PGM_RSRC2:USER_SGPR: 13
; COMPUTE_PGM_RSRC2:TRAP_HANDLER: 0
; COMPUTE_PGM_RSRC2:TGID_X_EN: 1
; COMPUTE_PGM_RSRC2:TGID_Y_EN: 1
; COMPUTE_PGM_RSRC2:TGID_Z_EN: 1
; COMPUTE_PGM_RSRC2:TIDIG_COMP_CNT: 1
	.section	.text._ZL37rocblas_syrkx_herkx_restricted_kernelIl19rocblas_complex_numIdELi16ELi32ELi8ELi1ELi0ELb0ELc78ELc76EKPKS1_KPS1_EviT_PT9_S7_lS9_S7_lPT10_S7_li,"axG",@progbits,_ZL37rocblas_syrkx_herkx_restricted_kernelIl19rocblas_complex_numIdELi16ELi32ELi8ELi1ELi0ELb0ELc78ELc76EKPKS1_KPS1_EviT_PT9_S7_lS9_S7_lPT10_S7_li,comdat
	.globl	_ZL37rocblas_syrkx_herkx_restricted_kernelIl19rocblas_complex_numIdELi16ELi32ELi8ELi1ELi0ELb0ELc78ELc76EKPKS1_KPS1_EviT_PT9_S7_lS9_S7_lPT10_S7_li ; -- Begin function _ZL37rocblas_syrkx_herkx_restricted_kernelIl19rocblas_complex_numIdELi16ELi32ELi8ELi1ELi0ELb0ELc78ELc76EKPKS1_KPS1_EviT_PT9_S7_lS9_S7_lPT10_S7_li
	.p2align	8
	.type	_ZL37rocblas_syrkx_herkx_restricted_kernelIl19rocblas_complex_numIdELi16ELi32ELi8ELi1ELi0ELb0ELc78ELc76EKPKS1_KPS1_EviT_PT9_S7_lS9_S7_lPT10_S7_li,@function
_ZL37rocblas_syrkx_herkx_restricted_kernelIl19rocblas_complex_numIdELi16ELi32ELi8ELi1ELi0ELb0ELc78ELc76EKPKS1_KPS1_EviT_PT9_S7_lS9_S7_lPT10_S7_li: ; @_ZL37rocblas_syrkx_herkx_restricted_kernelIl19rocblas_complex_numIdELi16ELi32ELi8ELi1ELi0ELb0ELc78ELc76EKPKS1_KPS1_EviT_PT9_S7_lS9_S7_lPT10_S7_li
; %bb.0:
	s_clause 0x1
	s_load_b128 s[4:7], s[0:1], 0x40
	s_load_b128 s[8:11], s[0:1], 0x8
	s_mov_b32 s2, s15
	s_mov_b32 s3, 0
	v_mov_b32_e32 v12, 0
	s_lshl_b64 s[16:17], s[2:3], 3
	v_dual_mov_b32 v13, 0 :: v_dual_and_b32 v20, 0x3ff, v0
	v_bfe_u32 v21, v0, 10, 10
	s_delay_alu instid0(VALU_DEP_3) | instskip(NEXT) | instid1(VALU_DEP_3)
	v_mov_b32_e32 v8, v12
	v_dual_mov_b32 v10, v12 :: v_dual_mov_b32 v11, v13
	v_dual_mov_b32 v15, v13 :: v_dual_mov_b32 v14, v12
	;; [unrolled: 1-line block ×5, first 2 shown]
	v_mov_b32_e32 v1, v13
	s_waitcnt lgkmcnt(0)
	s_add_u32 s2, s4, s16
	s_addc_u32 s3, s5, s17
	v_cmp_lt_i64_e64 s4, s[8:9], 1
	s_load_b64 s[2:3], s[2:3], 0x0
	v_dual_mov_b32 v2, v12 :: v_dual_mov_b32 v3, v13
	s_lshl_b32 s18, s13, 5
	s_lshl_b32 s19, s14, 5
	s_delay_alu instid0(VALU_DEP_2)
	s_and_b32 vcc_lo, exec_lo, s4
	s_cbranch_vccnz .LBB1633_3
; %bb.1:
	v_lshl_add_u32 v1, v21, 4, v20
	s_clause 0x1
	s_load_b64 s[4:5], s[0:1], 0x18
	s_load_b128 s[12:15], s[0:1], 0x28
	v_and_b32_e32 v7, 7, v20
	s_add_u32 s10, s10, s16
	s_addc_u32 s11, s11, s17
	v_lshrrev_b32_e32 v12, 3, v1
	v_and_b32_e32 v11, 31, v1
	v_lshrrev_b32_e32 v13, 5, v1
	s_load_b64 s[10:11], s[10:11], 0x0
	v_lshlrev_b32_e32 v22, 4, v20
	v_add_nc_u32_e32 v2, s19, v12
	v_lshl_add_u32 v23, v21, 7, 0x1000
	s_delay_alu instid0(VALU_DEP_2) | instskip(SKIP_1) | instid1(VALU_DEP_1)
	v_ashrrev_i32_e32 v3, 31, v2
	s_waitcnt lgkmcnt(0)
	v_mad_u64_u32 v[8:9], null, v7, s14, v[2:3]
	v_add_nc_u32_e32 v0, s18, v11
	s_add_u32 s12, s12, s16
	s_addc_u32 s13, s13, s17
	v_mov_b32_e32 v2, 0
	s_load_b64 s[12:13], s[12:13], 0x0
	v_ashrrev_i32_e32 v1, 31, v0
	v_mov_b32_e32 v3, 0
	s_delay_alu instid0(VALU_DEP_2) | instskip(SKIP_1) | instid1(VALU_DEP_1)
	v_mad_u64_u32 v[4:5], null, v13, s4, v[0:1]
	v_mov_b32_e32 v1, v9
	v_mad_u64_u32 v[9:10], null, v7, s15, v[1:2]
	s_delay_alu instid0(VALU_DEP_3) | instskip(SKIP_2) | instid1(VALU_DEP_3)
	v_mov_b32_e32 v0, v5
	v_lshlrev_b32_e32 v10, 4, v7
	v_lshlrev_b32_e32 v14, 4, v11
	v_mad_u64_u32 v[5:6], null, v13, s5, v[0:1]
	v_dual_mov_b32 v0, v2 :: v_dual_mov_b32 v7, v3
	v_mov_b32_e32 v1, v3
	v_lshl_or_b32 v12, v12, 7, v10
	v_lshlrev_b64 v[8:9], 4, v[8:9]
	v_mov_b32_e32 v6, v2
	v_lshlrev_b64 v[10:11], 4, v[4:5]
	v_dual_mov_b32 v5, v3 :: v_dual_mov_b32 v4, v2
	v_add_nc_u32_e32 v25, 0x1000, v12
	s_lshl_b64 s[4:5], s[4:5], 7
	s_delay_alu instid0(VALU_DEP_3) | instskip(NEXT) | instid1(VALU_DEP_4)
	v_add_co_u32 v10, vcc_lo, v10, s10
	v_add_co_ci_u32_e32 v11, vcc_lo, s11, v11, vcc_lo
	s_waitcnt lgkmcnt(0)
	v_add_co_u32 v8, vcc_lo, v8, s12
	v_add_co_ci_u32_e32 v9, vcc_lo, s13, v9, vcc_lo
	v_add_co_u32 v16, vcc_lo, v10, 8
	v_add_co_ci_u32_e32 v17, vcc_lo, 0, v11, vcc_lo
	s_delay_alu instid0(VALU_DEP_4)
	v_add_co_u32 v18, vcc_lo, v8, 8
	v_mov_b32_e32 v11, v3
	v_add_co_ci_u32_e32 v19, vcc_lo, 0, v9, vcc_lo
	v_dual_mov_b32 v10, v2 :: v_dual_mov_b32 v9, v3
	v_lshl_or_b32 v24, v13, 9, v14
	v_dual_mov_b32 v8, v2 :: v_dual_mov_b32 v15, v3
	v_dual_mov_b32 v14, v2 :: v_dual_mov_b32 v13, v3
	v_mov_b32_e32 v12, v2
	s_lshl_b64 s[10:11], s[14:15], 7
	s_mov_b64 s[12:13], 0
.LBB1633_2:                             ; =>This Inner Loop Header: Depth=1
	global_load_b128 v[26:29], v[16:17], off offset:-8
	global_load_b128 v[30:33], v[18:19], off offset:-8
	s_add_u32 s12, s12, 8
	v_add_co_u32 v16, vcc_lo, v16, s4
	s_addc_u32 s13, s13, 0
	v_add_co_ci_u32_e32 v17, vcc_lo, s5, v17, vcc_lo
	v_cmp_ge_u64_e64 s14, s[12:13], s[8:9]
	v_add_co_u32 v18, vcc_lo, v18, s10
	v_add_co_ci_u32_e32 v19, vcc_lo, s11, v19, vcc_lo
	s_waitcnt vmcnt(1)
	ds_store_b128 v24, v[26:29]
	s_waitcnt vmcnt(0)
	ds_store_b128 v25, v[30:33]
	s_waitcnt lgkmcnt(0)
	s_barrier
	buffer_gl0_inv
	ds_load_b128 v[26:29], v23
	ds_load_b128 v[30:33], v22
	ds_load_b128 v[34:37], v22 offset:256
	ds_load_b128 v[38:41], v23 offset:2048
	;; [unrolled: 1-line block ×13, first 2 shown]
	s_and_b32 vcc_lo, exec_lo, s14
	s_waitcnt lgkmcnt(13)
	v_mul_f64 v[86:87], v[28:29], v[32:33]
	v_mul_f64 v[88:89], v[26:27], v[32:33]
	s_waitcnt lgkmcnt(12)
	v_mul_f64 v[90:91], v[28:29], v[36:37]
	v_mul_f64 v[92:93], v[26:27], v[36:37]
	s_waitcnt lgkmcnt(11)
	v_mul_f64 v[94:95], v[40:41], v[32:33]
	v_mul_f64 v[32:33], v[38:39], v[32:33]
	v_mul_f64 v[96:97], v[40:41], v[36:37]
	v_mul_f64 v[36:37], v[38:39], v[36:37]
	s_waitcnt lgkmcnt(8)
	v_mul_f64 v[98:99], v[44:45], v[52:53]
	v_mul_f64 v[100:101], v[42:43], v[52:53]
	s_waitcnt lgkmcnt(7)
	v_mul_f64 v[102:103], v[44:45], v[56:57]
	v_mul_f64 v[104:105], v[42:43], v[56:57]
	;; [unrolled: 1-line block ×6, first 2 shown]
	s_waitcnt lgkmcnt(3)
	v_mul_f64 v[112:113], v[58:59], v[72:73]
	s_waitcnt lgkmcnt(2)
	v_mul_f64 v[114:115], v[76:77], v[68:69]
	v_mul_f64 v[116:117], v[76:77], v[72:73]
	v_fma_f64 v[86:87], v[26:27], v[30:31], -v[86:87]
	v_fma_f64 v[88:89], v[28:29], v[30:31], v[88:89]
	v_fma_f64 v[90:91], v[26:27], v[34:35], -v[90:91]
	v_fma_f64 v[92:93], v[28:29], v[34:35], v[92:93]
	;; [unrolled: 2-line block ×4, first 2 shown]
	v_mul_f64 v[36:37], v[60:61], v[68:69]
	v_mul_f64 v[40:41], v[58:59], v[68:69]
	;; [unrolled: 1-line block ×5, first 2 shown]
	v_fma_f64 v[98:99], v[42:43], v[50:51], -v[98:99]
	v_fma_f64 v[100:101], v[44:45], v[50:51], v[100:101]
	v_fma_f64 v[42:43], v[42:43], v[54:55], -v[102:103]
	v_fma_f64 v[44:45], v[44:45], v[54:55], v[104:105]
	;; [unrolled: 2-line block ×4, first 2 shown]
	ds_load_b128 v[26:29], v22 offset:1792
	ds_load_b128 v[30:33], v22 offset:2048
	s_waitcnt lgkmcnt(2)
	v_mul_f64 v[56:57], v[64:65], v[84:85]
	v_add_f64 v[12:13], v[12:13], v[86:87]
	v_add_f64 v[14:15], v[14:15], v[88:89]
	v_add_f64 v[8:9], v[8:9], v[90:91]
	v_add_f64 v[10:11], v[10:11], v[92:93]
	v_add_f64 v[52:53], v[4:5], v[94:95]
	v_add_f64 v[54:55], v[6:7], v[110:111]
	v_add_f64 v[38:39], v[0:1], v[38:39]
	v_add_f64 v[34:35], v[2:3], v[34:35]
	v_mul_f64 v[86:87], v[62:63], v[84:85]
	s_waitcnt lgkmcnt(1)
	v_mul_f64 v[88:89], v[64:65], v[28:29]
	v_mul_f64 v[90:91], v[62:63], v[28:29]
	;; [unrolled: 1-line block ×6, first 2 shown]
	v_fma_f64 v[104:105], v[58:59], v[66:67], -v[36:37]
	v_fma_f64 v[106:107], v[60:61], v[66:67], v[40:41]
	v_fma_f64 v[58:59], v[58:59], v[70:71], -v[96:97]
	v_fma_f64 v[60:61], v[60:61], v[70:71], v[112:113]
	;; [unrolled: 2-line block ×4, first 2 shown]
	ds_load_b128 v[0:3], v22 offset:2304
	ds_load_b128 v[4:7], v23 offset:64
	v_fma_f64 v[56:57], v[62:63], v[82:83], -v[56:57]
	v_add_f64 v[72:73], v[12:13], v[98:99]
	v_add_f64 v[74:75], v[14:15], v[100:101]
	;; [unrolled: 1-line block ×8, first 2 shown]
	ds_load_b128 v[8:11], v23 offset:2112
	ds_load_b128 v[12:15], v23 offset:80
	;; [unrolled: 1-line block ×4, first 2 shown]
	s_waitcnt lgkmcnt(4)
	v_mul_f64 v[54:55], v[6:7], v[32:33]
	v_mul_f64 v[76:77], v[4:5], v[32:33]
	;; [unrolled: 1-line block ×4, first 2 shown]
	v_fma_f64 v[86:87], v[64:65], v[82:83], v[86:87]
	v_fma_f64 v[62:63], v[62:63], v[26:27], -v[88:89]
	v_fma_f64 v[64:65], v[64:65], v[26:27], v[90:91]
	v_fma_f64 v[88:89], v[78:79], v[82:83], -v[92:93]
	;; [unrolled: 2-line block ×3, first 2 shown]
	v_fma_f64 v[80:81], v[80:81], v[26:27], v[28:29]
	s_waitcnt lgkmcnt(3)
	v_mul_f64 v[102:103], v[10:11], v[32:33]
	v_mul_f64 v[32:33], v[8:9], v[32:33]
	;; [unrolled: 1-line block ×4, first 2 shown]
	s_waitcnt lgkmcnt(0)
	v_mul_f64 v[90:91], v[14:15], v[40:41]
	v_mul_f64 v[92:93], v[12:13], v[40:41]
	v_add_f64 v[72:73], v[72:73], v[104:105]
	v_add_f64 v[74:75], v[74:75], v[106:107]
	;; [unrolled: 1-line block ×8, first 2 shown]
	ds_load_b128 v[26:29], v22 offset:2816
	ds_load_b128 v[42:45], v22 offset:3072
	;; [unrolled: 1-line block ×4, first 2 shown]
	v_mul_f64 v[104:105], v[36:37], v[40:41]
	v_mul_f64 v[40:41], v[34:35], v[40:41]
	v_fma_f64 v[54:55], v[4:5], v[30:31], -v[54:55]
	v_fma_f64 v[76:77], v[6:7], v[30:31], v[76:77]
	v_fma_f64 v[98:99], v[4:5], v[0:1], -v[98:99]
	v_fma_f64 v[100:101], v[6:7], v[0:1], v[100:101]
	s_waitcnt lgkmcnt(3)
	v_mul_f64 v[94:95], v[14:15], v[28:29]
	v_mul_f64 v[96:97], v[12:13], v[28:29]
	;; [unrolled: 1-line block ×4, first 2 shown]
	v_fma_f64 v[102:103], v[8:9], v[30:31], -v[102:103]
	v_fma_f64 v[32:33], v[10:11], v[30:31], v[32:33]
	v_fma_f64 v[108:109], v[8:9], v[0:1], -v[108:109]
	v_fma_f64 v[112:113], v[10:11], v[0:1], v[2:3]
	ds_load_b128 v[0:3], v23 offset:2144
	ds_load_b128 v[4:7], v23 offset:112
	;; [unrolled: 1-line block ×4, first 2 shown]
	v_add_f64 v[56:57], v[72:73], v[56:57]
	v_add_f64 v[72:73], v[74:75], v[86:87]
	;; [unrolled: 1-line block ×8, first 2 shown]
	s_waitcnt lgkmcnt(4)
	v_mul_f64 v[70:71], v[52:53], v[44:45]
	v_mul_f64 v[74:75], v[50:51], v[44:45]
	;; [unrolled: 1-line block ×4, first 2 shown]
	s_waitcnt lgkmcnt(3)
	v_mul_f64 v[82:83], v[2:3], v[44:45]
	v_mul_f64 v[44:45], v[0:1], v[44:45]
	;; [unrolled: 1-line block ×4, first 2 shown]
	v_fma_f64 v[86:87], v[12:13], v[38:39], -v[90:91]
	v_fma_f64 v[88:89], v[14:15], v[38:39], v[92:93]
	v_fma_f64 v[90:91], v[12:13], v[26:27], -v[94:95]
	v_fma_f64 v[92:93], v[14:15], v[26:27], v[96:97]
	;; [unrolled: 2-line block ×4, first 2 shown]
	ds_load_b128 v[12:15], v22 offset:3840
	s_waitcnt lgkmcnt(0)
	s_barrier
	buffer_gl0_inv
	v_add_f64 v[36:37], v[56:57], v[54:55]
	v_add_f64 v[40:41], v[72:73], v[76:77]
	;; [unrolled: 1-line block ×8, first 2 shown]
	v_mul_f64 v[64:65], v[6:7], v[30:31]
	v_mul_f64 v[66:67], v[4:5], v[30:31]
	v_mul_f64 v[76:77], v[10:11], v[30:31]
	v_mul_f64 v[30:31], v[8:9], v[30:31]
	v_fma_f64 v[70:71], v[50:51], v[42:43], -v[70:71]
	v_mul_f64 v[68:69], v[6:7], v[14:15]
	v_mul_f64 v[72:73], v[4:5], v[14:15]
	;; [unrolled: 1-line block ×4, first 2 shown]
	v_fma_f64 v[74:75], v[52:53], v[42:43], v[74:75]
	v_fma_f64 v[50:51], v[50:51], v[46:47], -v[78:79]
	v_fma_f64 v[52:53], v[52:53], v[46:47], v[80:81]
	v_fma_f64 v[78:79], v[0:1], v[42:43], -v[82:83]
	;; [unrolled: 2-line block ×3, first 2 shown]
	v_fma_f64 v[2:3], v[2:3], v[46:47], v[48:49]
	v_add_f64 v[36:37], v[36:37], v[86:87]
	v_add_f64 v[40:41], v[40:41], v[88:89]
	;; [unrolled: 1-line block ×8, first 2 shown]
	v_fma_f64 v[38:39], v[4:5], v[28:29], -v[64:65]
	v_fma_f64 v[54:55], v[6:7], v[28:29], v[66:67]
	v_fma_f64 v[56:57], v[8:9], v[28:29], -v[76:77]
	v_fma_f64 v[28:29], v[10:11], v[28:29], v[30:31]
	;; [unrolled: 2-line block ×4, first 2 shown]
	v_add_f64 v[8:9], v[36:37], v[70:71]
	v_add_f64 v[10:11], v[40:41], v[74:75]
	;; [unrolled: 1-line block ×16, first 2 shown]
	s_cbranch_vccz .LBB1633_2
.LBB1633_3:
	v_add_nc_u32_e32 v18, s19, v21
	s_load_b32 s4, s[0:1], 0x0
	s_delay_alu instid0(VALU_DEP_1) | instskip(SKIP_2) | instid1(VALU_DEP_3)
	v_ashrrev_i32_e32 v16, 31, v18
	v_mul_lo_u32 v17, v18, s7
	v_mad_u64_u32 v[21:22], null, v18, s6, 0
	v_mul_lo_u32 v16, v16, s6
	s_delay_alu instid0(VALU_DEP_1) | instskip(SKIP_1) | instid1(VALU_DEP_2)
	v_add3_u32 v22, v22, v17, v16
	v_add_nc_u32_e32 v16, s18, v20
	v_lshlrev_b64 v[19:20], 4, v[21:22]
	s_delay_alu instid0(VALU_DEP_2) | instskip(SKIP_2) | instid1(VALU_DEP_3)
	v_cmp_le_i32_e64 s0, v18, v16
	s_waitcnt lgkmcnt(0)
	v_cmp_gt_i32_e32 vcc_lo, s4, v16
	v_add_co_u32 v19, s1, s2, v19
	s_delay_alu instid0(VALU_DEP_1) | instskip(SKIP_1) | instid1(SALU_CYCLE_1)
	v_add_co_ci_u32_e64 v20, s1, s3, v20, s1
	s_and_b32 s0, s0, vcc_lo
	s_and_saveexec_b32 s1, s0
	s_cbranch_execz .LBB1633_5
; %bb.4:
	v_ashrrev_i32_e32 v17, 31, v16
	s_delay_alu instid0(VALU_DEP_1) | instskip(NEXT) | instid1(VALU_DEP_1)
	v_lshlrev_b64 v[21:22], 4, v[16:17]
	v_add_co_u32 v21, s0, v19, v21
	s_delay_alu instid0(VALU_DEP_1)
	v_add_co_ci_u32_e64 v22, s0, v20, v22, s0
	global_store_b128 v[21:22], v[12:15], off
.LBB1633_5:
	s_or_b32 exec_lo, exec_lo, s1
	v_add_nc_u32_e32 v12, 16, v16
	s_delay_alu instid0(VALU_DEP_1) | instskip(SKIP_1) | instid1(VALU_DEP_1)
	v_cmp_le_i32_e64 s1, v18, v12
	v_cmp_gt_i32_e64 s0, s4, v12
	s_and_b32 s1, s1, s0
	s_delay_alu instid0(SALU_CYCLE_1)
	s_and_saveexec_b32 s4, s1
	s_cbranch_execz .LBB1633_7
; %bb.6:
	v_ashrrev_i32_e32 v13, 31, v12
	s_delay_alu instid0(VALU_DEP_1) | instskip(NEXT) | instid1(VALU_DEP_1)
	v_lshlrev_b64 v[13:14], 4, v[12:13]
	v_add_co_u32 v13, s1, v19, v13
	s_delay_alu instid0(VALU_DEP_1)
	v_add_co_ci_u32_e64 v14, s1, v20, v14, s1
	global_store_b128 v[13:14], v[8:11], off
.LBB1633_7:
	s_or_b32 exec_lo, exec_lo, s4
	v_add_nc_u32_e32 v8, 16, v18
	s_delay_alu instid0(VALU_DEP_1) | instskip(SKIP_3) | instid1(VALU_DEP_4)
	v_ashrrev_i32_e32 v11, 31, v8
	v_mul_lo_u32 v13, v8, s7
	v_mad_u64_u32 v[9:10], null, v8, s6, 0
	v_cmp_le_i32_e64 s1, v8, v16
	v_mul_lo_u32 v11, v11, s6
	s_delay_alu instid0(VALU_DEP_1) | instskip(NEXT) | instid1(VALU_DEP_1)
	v_add3_u32 v10, v10, v13, v11
	v_lshlrev_b64 v[9:10], 4, v[9:10]
	s_delay_alu instid0(VALU_DEP_1) | instskip(NEXT) | instid1(VALU_DEP_1)
	v_add_co_u32 v9, s2, s2, v9
	v_add_co_ci_u32_e64 v10, s2, s3, v10, s2
	s_and_b32 s2, s1, vcc_lo
	s_delay_alu instid0(SALU_CYCLE_1)
	s_and_saveexec_b32 s1, s2
	s_cbranch_execz .LBB1633_9
; %bb.8:
	v_ashrrev_i32_e32 v17, 31, v16
	s_delay_alu instid0(VALU_DEP_1) | instskip(NEXT) | instid1(VALU_DEP_1)
	v_lshlrev_b64 v[13:14], 4, v[16:17]
	v_add_co_u32 v13, vcc_lo, v9, v13
	s_delay_alu instid0(VALU_DEP_2)
	v_add_co_ci_u32_e32 v14, vcc_lo, v10, v14, vcc_lo
	global_store_b128 v[13:14], v[4:7], off
.LBB1633_9:
	s_or_b32 exec_lo, exec_lo, s1
	v_cmp_le_i32_e32 vcc_lo, v8, v12
	s_and_b32 s0, vcc_lo, s0
	s_delay_alu instid0(SALU_CYCLE_1)
	s_and_saveexec_b32 s1, s0
	s_cbranch_execz .LBB1633_11
; %bb.10:
	v_ashrrev_i32_e32 v13, 31, v12
	s_delay_alu instid0(VALU_DEP_1) | instskip(NEXT) | instid1(VALU_DEP_1)
	v_lshlrev_b64 v[4:5], 4, v[12:13]
	v_add_co_u32 v4, vcc_lo, v9, v4
	s_delay_alu instid0(VALU_DEP_2)
	v_add_co_ci_u32_e32 v5, vcc_lo, v10, v5, vcc_lo
	global_store_b128 v[4:5], v[0:3], off
.LBB1633_11:
	s_nop 0
	s_sendmsg sendmsg(MSG_DEALLOC_VGPRS)
	s_endpgm
	.section	.rodata,"a",@progbits
	.p2align	6, 0x0
	.amdhsa_kernel _ZL37rocblas_syrkx_herkx_restricted_kernelIl19rocblas_complex_numIdELi16ELi32ELi8ELi1ELi0ELb0ELc78ELc76EKPKS1_KPS1_EviT_PT9_S7_lS9_S7_lPT10_S7_li
		.amdhsa_group_segment_fixed_size 8192
		.amdhsa_private_segment_fixed_size 0
		.amdhsa_kernarg_size 92
		.amdhsa_user_sgpr_count 13
		.amdhsa_user_sgpr_dispatch_ptr 0
		.amdhsa_user_sgpr_queue_ptr 0
		.amdhsa_user_sgpr_kernarg_segment_ptr 1
		.amdhsa_user_sgpr_dispatch_id 0
		.amdhsa_user_sgpr_private_segment_size 0
		.amdhsa_wavefront_size32 1
		.amdhsa_uses_dynamic_stack 0
		.amdhsa_enable_private_segment 0
		.amdhsa_system_sgpr_workgroup_id_x 1
		.amdhsa_system_sgpr_workgroup_id_y 1
		.amdhsa_system_sgpr_workgroup_id_z 1
		.amdhsa_system_sgpr_workgroup_info 0
		.amdhsa_system_vgpr_workitem_id 1
		.amdhsa_next_free_vgpr 118
		.amdhsa_next_free_sgpr 20
		.amdhsa_reserve_vcc 1
		.amdhsa_float_round_mode_32 0
		.amdhsa_float_round_mode_16_64 0
		.amdhsa_float_denorm_mode_32 3
		.amdhsa_float_denorm_mode_16_64 3
		.amdhsa_dx10_clamp 1
		.amdhsa_ieee_mode 1
		.amdhsa_fp16_overflow 0
		.amdhsa_workgroup_processor_mode 1
		.amdhsa_memory_ordered 1
		.amdhsa_forward_progress 0
		.amdhsa_shared_vgpr_count 0
		.amdhsa_exception_fp_ieee_invalid_op 0
		.amdhsa_exception_fp_denorm_src 0
		.amdhsa_exception_fp_ieee_div_zero 0
		.amdhsa_exception_fp_ieee_overflow 0
		.amdhsa_exception_fp_ieee_underflow 0
		.amdhsa_exception_fp_ieee_inexact 0
		.amdhsa_exception_int_div_zero 0
	.end_amdhsa_kernel
	.section	.text._ZL37rocblas_syrkx_herkx_restricted_kernelIl19rocblas_complex_numIdELi16ELi32ELi8ELi1ELi0ELb0ELc78ELc76EKPKS1_KPS1_EviT_PT9_S7_lS9_S7_lPT10_S7_li,"axG",@progbits,_ZL37rocblas_syrkx_herkx_restricted_kernelIl19rocblas_complex_numIdELi16ELi32ELi8ELi1ELi0ELb0ELc78ELc76EKPKS1_KPS1_EviT_PT9_S7_lS9_S7_lPT10_S7_li,comdat
.Lfunc_end1633:
	.size	_ZL37rocblas_syrkx_herkx_restricted_kernelIl19rocblas_complex_numIdELi16ELi32ELi8ELi1ELi0ELb0ELc78ELc76EKPKS1_KPS1_EviT_PT9_S7_lS9_S7_lPT10_S7_li, .Lfunc_end1633-_ZL37rocblas_syrkx_herkx_restricted_kernelIl19rocblas_complex_numIdELi16ELi32ELi8ELi1ELi0ELb0ELc78ELc76EKPKS1_KPS1_EviT_PT9_S7_lS9_S7_lPT10_S7_li
                                        ; -- End function
	.section	.AMDGPU.csdata,"",@progbits
; Kernel info:
; codeLenInByte = 2956
; NumSgprs: 22
; NumVgprs: 118
; ScratchSize: 0
; MemoryBound: 0
; FloatMode: 240
; IeeeMode: 1
; LDSByteSize: 8192 bytes/workgroup (compile time only)
; SGPRBlocks: 2
; VGPRBlocks: 14
; NumSGPRsForWavesPerEU: 22
; NumVGPRsForWavesPerEU: 118
; Occupancy: 12
; WaveLimiterHint : 1
; COMPUTE_PGM_RSRC2:SCRATCH_EN: 0
; COMPUTE_PGM_RSRC2:USER_SGPR: 13
; COMPUTE_PGM_RSRC2:TRAP_HANDLER: 0
; COMPUTE_PGM_RSRC2:TGID_X_EN: 1
; COMPUTE_PGM_RSRC2:TGID_Y_EN: 1
; COMPUTE_PGM_RSRC2:TGID_Z_EN: 1
; COMPUTE_PGM_RSRC2:TIDIG_COMP_CNT: 1
	.section	.text._ZL37rocblas_syrkx_herkx_restricted_kernelIl19rocblas_complex_numIdELi16ELi32ELi8ELi1ELi0ELb0ELc84ELc85EKPKS1_KPS1_EviT_PT9_S7_lS9_S7_lPT10_S7_li,"axG",@progbits,_ZL37rocblas_syrkx_herkx_restricted_kernelIl19rocblas_complex_numIdELi16ELi32ELi8ELi1ELi0ELb0ELc84ELc85EKPKS1_KPS1_EviT_PT9_S7_lS9_S7_lPT10_S7_li,comdat
	.globl	_ZL37rocblas_syrkx_herkx_restricted_kernelIl19rocblas_complex_numIdELi16ELi32ELi8ELi1ELi0ELb0ELc84ELc85EKPKS1_KPS1_EviT_PT9_S7_lS9_S7_lPT10_S7_li ; -- Begin function _ZL37rocblas_syrkx_herkx_restricted_kernelIl19rocblas_complex_numIdELi16ELi32ELi8ELi1ELi0ELb0ELc84ELc85EKPKS1_KPS1_EviT_PT9_S7_lS9_S7_lPT10_S7_li
	.p2align	8
	.type	_ZL37rocblas_syrkx_herkx_restricted_kernelIl19rocblas_complex_numIdELi16ELi32ELi8ELi1ELi0ELb0ELc84ELc85EKPKS1_KPS1_EviT_PT9_S7_lS9_S7_lPT10_S7_li,@function
_ZL37rocblas_syrkx_herkx_restricted_kernelIl19rocblas_complex_numIdELi16ELi32ELi8ELi1ELi0ELb0ELc84ELc85EKPKS1_KPS1_EviT_PT9_S7_lS9_S7_lPT10_S7_li: ; @_ZL37rocblas_syrkx_herkx_restricted_kernelIl19rocblas_complex_numIdELi16ELi32ELi8ELi1ELi0ELb0ELc84ELc85EKPKS1_KPS1_EviT_PT9_S7_lS9_S7_lPT10_S7_li
; %bb.0:
	s_clause 0x1
	s_load_b128 s[4:7], s[0:1], 0x40
	s_load_b128 s[8:11], s[0:1], 0x8
	s_mov_b32 s2, s15
	s_mov_b32 s3, 0
	v_mov_b32_e32 v12, 0
	s_lshl_b64 s[16:17], s[2:3], 3
	v_dual_mov_b32 v13, 0 :: v_dual_and_b32 v20, 0x3ff, v0
	v_bfe_u32 v21, v0, 10, 10
	s_delay_alu instid0(VALU_DEP_3) | instskip(NEXT) | instid1(VALU_DEP_3)
	v_mov_b32_e32 v8, v12
	v_dual_mov_b32 v10, v12 :: v_dual_mov_b32 v11, v13
	v_dual_mov_b32 v15, v13 :: v_dual_mov_b32 v14, v12
	;; [unrolled: 1-line block ×5, first 2 shown]
	v_mov_b32_e32 v1, v13
	s_waitcnt lgkmcnt(0)
	s_add_u32 s2, s4, s16
	s_addc_u32 s3, s5, s17
	v_cmp_lt_i64_e64 s4, s[8:9], 1
	s_load_b64 s[2:3], s[2:3], 0x0
	v_dual_mov_b32 v2, v12 :: v_dual_mov_b32 v3, v13
	s_lshl_b32 s18, s13, 5
	s_lshl_b32 s19, s14, 5
	s_delay_alu instid0(VALU_DEP_2)
	s_and_b32 vcc_lo, exec_lo, s4
	s_cbranch_vccnz .LBB1634_3
; %bb.1:
	s_clause 0x1
	s_load_b128 s[12:15], s[0:1], 0x28
	s_load_b64 s[4:5], s[0:1], 0x18
	v_lshl_add_u32 v2, v21, 4, v20
	v_dual_mov_b32 v1, 0 :: v_dual_and_b32 v0, 7, v20
	s_add_u32 s10, s10, s16
	s_addc_u32 s11, s11, s17
	s_delay_alu instid0(VALU_DEP_2)
	v_lshrrev_b32_e32 v8, 3, v2
	v_and_b32_e32 v9, 31, v2
	v_lshrrev_b32_e32 v2, 5, v2
	v_mov_b32_e32 v3, v1
	s_load_b64 s[10:11], s[10:11], 0x0
	v_add_nc_u32_e32 v10, s19, v8
	v_add_nc_u32_e32 v6, s18, v9
	v_lshl_add_u32 v23, v21, 7, 0x1000
	s_delay_alu instid0(VALU_DEP_3) | instskip(NEXT) | instid1(VALU_DEP_3)
	v_ashrrev_i32_e32 v4, 31, v10
	v_ashrrev_i32_e32 v5, 31, v6
	s_waitcnt lgkmcnt(0)
	s_add_u32 s12, s12, s16
	s_addc_u32 s13, s13, s17
	v_mul_lo_u32 v11, v4, s14
	v_mul_lo_u32 v12, s4, v5
	v_mad_u64_u32 v[4:5], null, s4, v6, v[2:3]
	v_mul_lo_u32 v3, s5, v6
	s_load_b64 s[4:5], s[12:13], 0x0
	v_mul_lo_u32 v13, v10, s15
	v_mad_u64_u32 v[6:7], null, v10, s14, v[0:1]
	v_lshlrev_b32_e32 v0, 4, v0
	s_delay_alu instid0(VALU_DEP_4) | instskip(SKIP_1) | instid1(VALU_DEP_3)
	v_add3_u32 v5, v3, v5, v12
	v_lshlrev_b32_e32 v3, 4, v9
	v_lshl_or_b32 v8, v8, 7, v0
	v_add3_u32 v7, v11, v7, v13
	s_delay_alu instid0(VALU_DEP_4) | instskip(NEXT) | instid1(VALU_DEP_4)
	v_lshlrev_b64 v[0:1], 4, v[4:5]
	v_lshl_or_b32 v24, v2, 9, v3
	s_delay_alu instid0(VALU_DEP_3) | instskip(NEXT) | instid1(VALU_DEP_3)
	v_lshlrev_b64 v[2:3], 4, v[6:7]
	v_add_co_u32 v0, vcc_lo, v0, s10
	s_delay_alu instid0(VALU_DEP_4) | instskip(SKIP_1) | instid1(VALU_DEP_3)
	v_add_co_ci_u32_e32 v1, vcc_lo, s11, v1, vcc_lo
	s_waitcnt lgkmcnt(0)
	v_add_co_u32 v4, vcc_lo, v2, s4
	s_delay_alu instid0(VALU_DEP_4)
	v_add_co_ci_u32_e32 v5, vcc_lo, s5, v3, vcc_lo
	v_mov_b32_e32 v2, 0
	v_mov_b32_e32 v3, 0
	v_add_co_u32 v16, vcc_lo, v0, 8
	v_add_co_ci_u32_e32 v17, vcc_lo, 0, v1, vcc_lo
	v_add_co_u32 v18, vcc_lo, v4, 8
	s_delay_alu instid0(VALU_DEP_4)
	v_dual_mov_b32 v7, v3 :: v_dual_lshlrev_b32 v22, 4, v20
	v_add_co_ci_u32_e32 v19, vcc_lo, 0, v5, vcc_lo
	v_dual_mov_b32 v6, v2 :: v_dual_mov_b32 v5, v3
	v_dual_mov_b32 v4, v2 :: v_dual_mov_b32 v11, v3
	v_dual_mov_b32 v0, v2 :: v_dual_add_nc_u32 v25, 0x1000, v8
	v_dual_mov_b32 v10, v2 :: v_dual_mov_b32 v9, v3
	v_dual_mov_b32 v8, v2 :: v_dual_mov_b32 v15, v3
	;; [unrolled: 1-line block ×4, first 2 shown]
	s_mov_b64 s[4:5], 0
.LBB1634_2:                             ; =>This Inner Loop Header: Depth=1
	global_load_b128 v[26:29], v[16:17], off offset:-8
	global_load_b128 v[30:33], v[18:19], off offset:-8
	s_add_u32 s4, s4, 8
	v_add_co_u32 v16, vcc_lo, 0x80, v16
	s_addc_u32 s5, s5, 0
	v_add_co_ci_u32_e32 v17, vcc_lo, 0, v17, vcc_lo
	v_cmp_ge_u64_e64 s10, s[4:5], s[8:9]
	v_add_co_u32 v18, vcc_lo, 0x80, v18
	v_add_co_ci_u32_e32 v19, vcc_lo, 0, v19, vcc_lo
	s_waitcnt vmcnt(1)
	ds_store_b128 v24, v[26:29]
	s_waitcnt vmcnt(0)
	ds_store_b128 v25, v[30:33]
	s_waitcnt lgkmcnt(0)
	s_barrier
	buffer_gl0_inv
	ds_load_b128 v[26:29], v23
	ds_load_b128 v[30:33], v22
	ds_load_b128 v[34:37], v22 offset:256
	ds_load_b128 v[38:41], v23 offset:2048
	;; [unrolled: 1-line block ×13, first 2 shown]
	s_and_b32 vcc_lo, exec_lo, s10
	s_waitcnt lgkmcnt(13)
	v_mul_f64 v[86:87], v[28:29], v[32:33]
	v_mul_f64 v[88:89], v[26:27], v[32:33]
	s_waitcnt lgkmcnt(12)
	v_mul_f64 v[90:91], v[28:29], v[36:37]
	v_mul_f64 v[92:93], v[26:27], v[36:37]
	;; [unrolled: 3-line block ×3, first 2 shown]
	v_mul_f64 v[96:97], v[40:41], v[36:37]
	v_mul_f64 v[36:37], v[38:39], v[36:37]
	s_waitcnt lgkmcnt(8)
	v_mul_f64 v[98:99], v[44:45], v[52:53]
	v_mul_f64 v[100:101], v[42:43], v[52:53]
	s_waitcnt lgkmcnt(7)
	v_mul_f64 v[102:103], v[44:45], v[56:57]
	v_mul_f64 v[104:105], v[42:43], v[56:57]
	;; [unrolled: 1-line block ×6, first 2 shown]
	s_waitcnt lgkmcnt(3)
	v_mul_f64 v[112:113], v[58:59], v[72:73]
	s_waitcnt lgkmcnt(2)
	v_mul_f64 v[114:115], v[76:77], v[68:69]
	v_mul_f64 v[116:117], v[76:77], v[72:73]
	v_fma_f64 v[86:87], v[26:27], v[30:31], -v[86:87]
	v_fma_f64 v[88:89], v[28:29], v[30:31], v[88:89]
	v_fma_f64 v[90:91], v[26:27], v[34:35], -v[90:91]
	v_fma_f64 v[92:93], v[28:29], v[34:35], v[92:93]
	;; [unrolled: 2-line block ×4, first 2 shown]
	v_mul_f64 v[36:37], v[60:61], v[68:69]
	v_mul_f64 v[40:41], v[58:59], v[68:69]
	v_mul_f64 v[96:97], v[60:61], v[72:73]
	v_mul_f64 v[68:69], v[74:75], v[68:69]
	v_mul_f64 v[72:73], v[74:75], v[72:73]
	v_fma_f64 v[98:99], v[42:43], v[50:51], -v[98:99]
	v_fma_f64 v[100:101], v[44:45], v[50:51], v[100:101]
	v_fma_f64 v[42:43], v[42:43], v[54:55], -v[102:103]
	v_fma_f64 v[44:45], v[44:45], v[54:55], v[104:105]
	;; [unrolled: 2-line block ×4, first 2 shown]
	ds_load_b128 v[26:29], v22 offset:1792
	ds_load_b128 v[30:33], v22 offset:2048
	s_waitcnt lgkmcnt(2)
	v_mul_f64 v[56:57], v[64:65], v[84:85]
	v_add_f64 v[12:13], v[12:13], v[86:87]
	v_add_f64 v[14:15], v[14:15], v[88:89]
	;; [unrolled: 1-line block ×8, first 2 shown]
	v_mul_f64 v[86:87], v[62:63], v[84:85]
	s_waitcnt lgkmcnt(1)
	v_mul_f64 v[88:89], v[64:65], v[28:29]
	v_mul_f64 v[90:91], v[62:63], v[28:29]
	;; [unrolled: 1-line block ×6, first 2 shown]
	v_fma_f64 v[104:105], v[58:59], v[66:67], -v[36:37]
	v_fma_f64 v[106:107], v[60:61], v[66:67], v[40:41]
	v_fma_f64 v[58:59], v[58:59], v[70:71], -v[96:97]
	v_fma_f64 v[60:61], v[60:61], v[70:71], v[112:113]
	;; [unrolled: 2-line block ×4, first 2 shown]
	ds_load_b128 v[0:3], v22 offset:2304
	ds_load_b128 v[4:7], v23 offset:64
	v_fma_f64 v[56:57], v[62:63], v[82:83], -v[56:57]
	v_add_f64 v[72:73], v[12:13], v[98:99]
	v_add_f64 v[74:75], v[14:15], v[100:101]
	;; [unrolled: 1-line block ×8, first 2 shown]
	ds_load_b128 v[8:11], v23 offset:2112
	ds_load_b128 v[12:15], v23 offset:80
	;; [unrolled: 1-line block ×4, first 2 shown]
	s_waitcnt lgkmcnt(4)
	v_mul_f64 v[54:55], v[6:7], v[32:33]
	v_mul_f64 v[76:77], v[4:5], v[32:33]
	;; [unrolled: 1-line block ×4, first 2 shown]
	v_fma_f64 v[86:87], v[64:65], v[82:83], v[86:87]
	v_fma_f64 v[62:63], v[62:63], v[26:27], -v[88:89]
	v_fma_f64 v[64:65], v[64:65], v[26:27], v[90:91]
	v_fma_f64 v[88:89], v[78:79], v[82:83], -v[92:93]
	;; [unrolled: 2-line block ×3, first 2 shown]
	v_fma_f64 v[80:81], v[80:81], v[26:27], v[28:29]
	s_waitcnt lgkmcnt(3)
	v_mul_f64 v[102:103], v[10:11], v[32:33]
	v_mul_f64 v[32:33], v[8:9], v[32:33]
	;; [unrolled: 1-line block ×4, first 2 shown]
	s_waitcnt lgkmcnt(0)
	v_mul_f64 v[90:91], v[14:15], v[40:41]
	v_mul_f64 v[92:93], v[12:13], v[40:41]
	v_add_f64 v[72:73], v[72:73], v[104:105]
	v_add_f64 v[74:75], v[74:75], v[106:107]
	;; [unrolled: 1-line block ×8, first 2 shown]
	ds_load_b128 v[26:29], v22 offset:2816
	ds_load_b128 v[42:45], v22 offset:3072
	;; [unrolled: 1-line block ×4, first 2 shown]
	v_mul_f64 v[104:105], v[36:37], v[40:41]
	v_mul_f64 v[40:41], v[34:35], v[40:41]
	v_fma_f64 v[54:55], v[4:5], v[30:31], -v[54:55]
	v_fma_f64 v[76:77], v[6:7], v[30:31], v[76:77]
	v_fma_f64 v[98:99], v[4:5], v[0:1], -v[98:99]
	v_fma_f64 v[100:101], v[6:7], v[0:1], v[100:101]
	s_waitcnt lgkmcnt(3)
	v_mul_f64 v[94:95], v[14:15], v[28:29]
	v_mul_f64 v[96:97], v[12:13], v[28:29]
	;; [unrolled: 1-line block ×4, first 2 shown]
	v_fma_f64 v[102:103], v[8:9], v[30:31], -v[102:103]
	v_fma_f64 v[32:33], v[10:11], v[30:31], v[32:33]
	v_fma_f64 v[108:109], v[8:9], v[0:1], -v[108:109]
	v_fma_f64 v[112:113], v[10:11], v[0:1], v[2:3]
	ds_load_b128 v[0:3], v23 offset:2144
	ds_load_b128 v[4:7], v23 offset:112
	;; [unrolled: 1-line block ×4, first 2 shown]
	v_add_f64 v[56:57], v[72:73], v[56:57]
	v_add_f64 v[72:73], v[74:75], v[86:87]
	;; [unrolled: 1-line block ×8, first 2 shown]
	s_waitcnt lgkmcnt(4)
	v_mul_f64 v[70:71], v[52:53], v[44:45]
	v_mul_f64 v[74:75], v[50:51], v[44:45]
	v_mul_f64 v[78:79], v[52:53], v[48:49]
	v_mul_f64 v[80:81], v[50:51], v[48:49]
	s_waitcnt lgkmcnt(3)
	v_mul_f64 v[82:83], v[2:3], v[44:45]
	v_mul_f64 v[44:45], v[0:1], v[44:45]
	;; [unrolled: 1-line block ×4, first 2 shown]
	v_fma_f64 v[86:87], v[12:13], v[38:39], -v[90:91]
	v_fma_f64 v[88:89], v[14:15], v[38:39], v[92:93]
	v_fma_f64 v[90:91], v[12:13], v[26:27], -v[94:95]
	v_fma_f64 v[92:93], v[14:15], v[26:27], v[96:97]
	;; [unrolled: 2-line block ×4, first 2 shown]
	ds_load_b128 v[12:15], v22 offset:3840
	s_waitcnt lgkmcnt(0)
	s_barrier
	buffer_gl0_inv
	v_add_f64 v[36:37], v[56:57], v[54:55]
	v_add_f64 v[40:41], v[72:73], v[76:77]
	;; [unrolled: 1-line block ×8, first 2 shown]
	v_mul_f64 v[64:65], v[6:7], v[30:31]
	v_mul_f64 v[66:67], v[4:5], v[30:31]
	;; [unrolled: 1-line block ×4, first 2 shown]
	v_fma_f64 v[70:71], v[50:51], v[42:43], -v[70:71]
	v_mul_f64 v[68:69], v[6:7], v[14:15]
	v_mul_f64 v[72:73], v[4:5], v[14:15]
	;; [unrolled: 1-line block ×4, first 2 shown]
	v_fma_f64 v[74:75], v[52:53], v[42:43], v[74:75]
	v_fma_f64 v[50:51], v[50:51], v[46:47], -v[78:79]
	v_fma_f64 v[52:53], v[52:53], v[46:47], v[80:81]
	v_fma_f64 v[78:79], v[0:1], v[42:43], -v[82:83]
	;; [unrolled: 2-line block ×3, first 2 shown]
	v_fma_f64 v[2:3], v[2:3], v[46:47], v[48:49]
	v_add_f64 v[36:37], v[36:37], v[86:87]
	v_add_f64 v[40:41], v[40:41], v[88:89]
	;; [unrolled: 1-line block ×8, first 2 shown]
	v_fma_f64 v[38:39], v[4:5], v[28:29], -v[64:65]
	v_fma_f64 v[54:55], v[6:7], v[28:29], v[66:67]
	v_fma_f64 v[56:57], v[8:9], v[28:29], -v[76:77]
	v_fma_f64 v[28:29], v[10:11], v[28:29], v[30:31]
	;; [unrolled: 2-line block ×4, first 2 shown]
	v_add_f64 v[8:9], v[36:37], v[70:71]
	v_add_f64 v[10:11], v[40:41], v[74:75]
	;; [unrolled: 1-line block ×16, first 2 shown]
	s_cbranch_vccz .LBB1634_2
.LBB1634_3:
	v_add_nc_u32_e32 v18, s19, v21
	s_load_b32 s4, s[0:1], 0x0
	s_delay_alu instid0(VALU_DEP_1) | instskip(SKIP_2) | instid1(VALU_DEP_3)
	v_ashrrev_i32_e32 v16, 31, v18
	v_mul_lo_u32 v17, v18, s7
	v_mad_u64_u32 v[21:22], null, v18, s6, 0
	v_mul_lo_u32 v16, v16, s6
	s_delay_alu instid0(VALU_DEP_1) | instskip(SKIP_3) | instid1(VALU_DEP_3)
	v_add3_u32 v22, v22, v17, v16
	v_add_nc_u32_e32 v16, s18, v20
	s_waitcnt lgkmcnt(0)
	v_cmp_gt_i32_e32 vcc_lo, s4, v18
	v_lshlrev_b64 v[19:20], 4, v[21:22]
	s_delay_alu instid0(VALU_DEP_3) | instskip(NEXT) | instid1(VALU_DEP_1)
	v_cmp_le_i32_e64 s0, v16, v18
	s_and_b32 s0, vcc_lo, s0
	s_delay_alu instid0(VALU_DEP_2) | instskip(NEXT) | instid1(VALU_DEP_1)
	v_add_co_u32 v19, s1, s2, v19
	v_add_co_ci_u32_e64 v20, s1, s3, v20, s1
	s_and_saveexec_b32 s1, s0
	s_cbranch_execz .LBB1634_5
; %bb.4:
	v_ashrrev_i32_e32 v17, 31, v16
	s_delay_alu instid0(VALU_DEP_1) | instskip(NEXT) | instid1(VALU_DEP_1)
	v_lshlrev_b64 v[21:22], 4, v[16:17]
	v_add_co_u32 v21, s0, v19, v21
	s_delay_alu instid0(VALU_DEP_1)
	v_add_co_ci_u32_e64 v22, s0, v20, v22, s0
	global_store_b128 v[21:22], v[12:15], off
.LBB1634_5:
	s_or_b32 exec_lo, exec_lo, s1
	v_add_nc_u32_e32 v12, 16, v16
	s_delay_alu instid0(VALU_DEP_1) | instskip(NEXT) | instid1(VALU_DEP_1)
	v_cmp_le_i32_e64 s0, v12, v18
	s_and_b32 s1, vcc_lo, s0
	s_delay_alu instid0(SALU_CYCLE_1)
	s_and_saveexec_b32 s0, s1
	s_cbranch_execz .LBB1634_7
; %bb.6:
	v_ashrrev_i32_e32 v13, 31, v12
	s_delay_alu instid0(VALU_DEP_1) | instskip(NEXT) | instid1(VALU_DEP_1)
	v_lshlrev_b64 v[13:14], 4, v[12:13]
	v_add_co_u32 v13, vcc_lo, v19, v13
	s_delay_alu instid0(VALU_DEP_2)
	v_add_co_ci_u32_e32 v14, vcc_lo, v20, v14, vcc_lo
	global_store_b128 v[13:14], v[8:11], off
.LBB1634_7:
	s_or_b32 exec_lo, exec_lo, s0
	v_add_nc_u32_e32 v8, 16, v18
	s_delay_alu instid0(VALU_DEP_1) | instskip(SKIP_3) | instid1(VALU_DEP_4)
	v_ashrrev_i32_e32 v11, 31, v8
	v_mul_lo_u32 v13, v8, s7
	v_mad_u64_u32 v[9:10], null, v8, s6, 0
	v_cmp_gt_i32_e32 vcc_lo, s4, v8
	v_mul_lo_u32 v11, v11, s6
	v_cmp_le_i32_e64 s0, v16, v8
	s_delay_alu instid0(VALU_DEP_1) | instskip(NEXT) | instid1(VALU_DEP_2)
	s_and_b32 s0, vcc_lo, s0
	v_add3_u32 v10, v10, v13, v11
	s_delay_alu instid0(VALU_DEP_1) | instskip(NEXT) | instid1(VALU_DEP_1)
	v_lshlrev_b64 v[9:10], 4, v[9:10]
	v_add_co_u32 v9, s1, s2, v9
	s_delay_alu instid0(VALU_DEP_1)
	v_add_co_ci_u32_e64 v10, s1, s3, v10, s1
	s_and_saveexec_b32 s1, s0
	s_cbranch_execz .LBB1634_9
; %bb.8:
	v_ashrrev_i32_e32 v17, 31, v16
	s_delay_alu instid0(VALU_DEP_1) | instskip(NEXT) | instid1(VALU_DEP_1)
	v_lshlrev_b64 v[13:14], 4, v[16:17]
	v_add_co_u32 v13, s0, v9, v13
	s_delay_alu instid0(VALU_DEP_1)
	v_add_co_ci_u32_e64 v14, s0, v10, v14, s0
	global_store_b128 v[13:14], v[4:7], off
.LBB1634_9:
	s_or_b32 exec_lo, exec_lo, s1
	v_cmp_le_i32_e64 s0, v12, v8
	s_delay_alu instid0(VALU_DEP_1) | instskip(NEXT) | instid1(SALU_CYCLE_1)
	s_and_b32 s0, vcc_lo, s0
	s_and_saveexec_b32 s1, s0
	s_cbranch_execz .LBB1634_11
; %bb.10:
	v_ashrrev_i32_e32 v13, 31, v12
	s_delay_alu instid0(VALU_DEP_1) | instskip(NEXT) | instid1(VALU_DEP_1)
	v_lshlrev_b64 v[4:5], 4, v[12:13]
	v_add_co_u32 v4, vcc_lo, v9, v4
	s_delay_alu instid0(VALU_DEP_2)
	v_add_co_ci_u32_e32 v5, vcc_lo, v10, v5, vcc_lo
	global_store_b128 v[4:5], v[0:3], off
.LBB1634_11:
	s_nop 0
	s_sendmsg sendmsg(MSG_DEALLOC_VGPRS)
	s_endpgm
	.section	.rodata,"a",@progbits
	.p2align	6, 0x0
	.amdhsa_kernel _ZL37rocblas_syrkx_herkx_restricted_kernelIl19rocblas_complex_numIdELi16ELi32ELi8ELi1ELi0ELb0ELc84ELc85EKPKS1_KPS1_EviT_PT9_S7_lS9_S7_lPT10_S7_li
		.amdhsa_group_segment_fixed_size 8192
		.amdhsa_private_segment_fixed_size 0
		.amdhsa_kernarg_size 92
		.amdhsa_user_sgpr_count 13
		.amdhsa_user_sgpr_dispatch_ptr 0
		.amdhsa_user_sgpr_queue_ptr 0
		.amdhsa_user_sgpr_kernarg_segment_ptr 1
		.amdhsa_user_sgpr_dispatch_id 0
		.amdhsa_user_sgpr_private_segment_size 0
		.amdhsa_wavefront_size32 1
		.amdhsa_uses_dynamic_stack 0
		.amdhsa_enable_private_segment 0
		.amdhsa_system_sgpr_workgroup_id_x 1
		.amdhsa_system_sgpr_workgroup_id_y 1
		.amdhsa_system_sgpr_workgroup_id_z 1
		.amdhsa_system_sgpr_workgroup_info 0
		.amdhsa_system_vgpr_workitem_id 1
		.amdhsa_next_free_vgpr 118
		.amdhsa_next_free_sgpr 20
		.amdhsa_reserve_vcc 1
		.amdhsa_float_round_mode_32 0
		.amdhsa_float_round_mode_16_64 0
		.amdhsa_float_denorm_mode_32 3
		.amdhsa_float_denorm_mode_16_64 3
		.amdhsa_dx10_clamp 1
		.amdhsa_ieee_mode 1
		.amdhsa_fp16_overflow 0
		.amdhsa_workgroup_processor_mode 1
		.amdhsa_memory_ordered 1
		.amdhsa_forward_progress 0
		.amdhsa_shared_vgpr_count 0
		.amdhsa_exception_fp_ieee_invalid_op 0
		.amdhsa_exception_fp_denorm_src 0
		.amdhsa_exception_fp_ieee_div_zero 0
		.amdhsa_exception_fp_ieee_overflow 0
		.amdhsa_exception_fp_ieee_underflow 0
		.amdhsa_exception_fp_ieee_inexact 0
		.amdhsa_exception_int_div_zero 0
	.end_amdhsa_kernel
	.section	.text._ZL37rocblas_syrkx_herkx_restricted_kernelIl19rocblas_complex_numIdELi16ELi32ELi8ELi1ELi0ELb0ELc84ELc85EKPKS1_KPS1_EviT_PT9_S7_lS9_S7_lPT10_S7_li,"axG",@progbits,_ZL37rocblas_syrkx_herkx_restricted_kernelIl19rocblas_complex_numIdELi16ELi32ELi8ELi1ELi0ELb0ELc84ELc85EKPKS1_KPS1_EviT_PT9_S7_lS9_S7_lPT10_S7_li,comdat
.Lfunc_end1634:
	.size	_ZL37rocblas_syrkx_herkx_restricted_kernelIl19rocblas_complex_numIdELi16ELi32ELi8ELi1ELi0ELb0ELc84ELc85EKPKS1_KPS1_EviT_PT9_S7_lS9_S7_lPT10_S7_li, .Lfunc_end1634-_ZL37rocblas_syrkx_herkx_restricted_kernelIl19rocblas_complex_numIdELi16ELi32ELi8ELi1ELi0ELb0ELc84ELc85EKPKS1_KPS1_EviT_PT9_S7_lS9_S7_lPT10_S7_li
                                        ; -- End function
	.section	.AMDGPU.csdata,"",@progbits
; Kernel info:
; codeLenInByte = 3000
; NumSgprs: 22
; NumVgprs: 118
; ScratchSize: 0
; MemoryBound: 0
; FloatMode: 240
; IeeeMode: 1
; LDSByteSize: 8192 bytes/workgroup (compile time only)
; SGPRBlocks: 2
; VGPRBlocks: 14
; NumSGPRsForWavesPerEU: 22
; NumVGPRsForWavesPerEU: 118
; Occupancy: 12
; WaveLimiterHint : 1
; COMPUTE_PGM_RSRC2:SCRATCH_EN: 0
; COMPUTE_PGM_RSRC2:USER_SGPR: 13
; COMPUTE_PGM_RSRC2:TRAP_HANDLER: 0
; COMPUTE_PGM_RSRC2:TGID_X_EN: 1
; COMPUTE_PGM_RSRC2:TGID_Y_EN: 1
; COMPUTE_PGM_RSRC2:TGID_Z_EN: 1
; COMPUTE_PGM_RSRC2:TIDIG_COMP_CNT: 1
	.section	.text._ZL37rocblas_syrkx_herkx_restricted_kernelIl19rocblas_complex_numIdELi16ELi32ELi8ELi1ELi0ELb0ELc67ELc85EKPKS1_KPS1_EviT_PT9_S7_lS9_S7_lPT10_S7_li,"axG",@progbits,_ZL37rocblas_syrkx_herkx_restricted_kernelIl19rocblas_complex_numIdELi16ELi32ELi8ELi1ELi0ELb0ELc67ELc85EKPKS1_KPS1_EviT_PT9_S7_lS9_S7_lPT10_S7_li,comdat
	.globl	_ZL37rocblas_syrkx_herkx_restricted_kernelIl19rocblas_complex_numIdELi16ELi32ELi8ELi1ELi0ELb0ELc67ELc85EKPKS1_KPS1_EviT_PT9_S7_lS9_S7_lPT10_S7_li ; -- Begin function _ZL37rocblas_syrkx_herkx_restricted_kernelIl19rocblas_complex_numIdELi16ELi32ELi8ELi1ELi0ELb0ELc67ELc85EKPKS1_KPS1_EviT_PT9_S7_lS9_S7_lPT10_S7_li
	.p2align	8
	.type	_ZL37rocblas_syrkx_herkx_restricted_kernelIl19rocblas_complex_numIdELi16ELi32ELi8ELi1ELi0ELb0ELc67ELc85EKPKS1_KPS1_EviT_PT9_S7_lS9_S7_lPT10_S7_li,@function
_ZL37rocblas_syrkx_herkx_restricted_kernelIl19rocblas_complex_numIdELi16ELi32ELi8ELi1ELi0ELb0ELc67ELc85EKPKS1_KPS1_EviT_PT9_S7_lS9_S7_lPT10_S7_li: ; @_ZL37rocblas_syrkx_herkx_restricted_kernelIl19rocblas_complex_numIdELi16ELi32ELi8ELi1ELi0ELb0ELc67ELc85EKPKS1_KPS1_EviT_PT9_S7_lS9_S7_lPT10_S7_li
; %bb.0:
	s_clause 0x1
	s_load_b128 s[4:7], s[0:1], 0x40
	s_load_b128 s[8:11], s[0:1], 0x8
	s_mov_b32 s2, s15
	s_mov_b32 s3, 0
	v_mov_b32_e32 v12, 0
	s_lshl_b64 s[16:17], s[2:3], 3
	v_dual_mov_b32 v13, 0 :: v_dual_and_b32 v20, 0x3ff, v0
	v_bfe_u32 v21, v0, 10, 10
	s_delay_alu instid0(VALU_DEP_3) | instskip(NEXT) | instid1(VALU_DEP_3)
	v_mov_b32_e32 v8, v12
	v_dual_mov_b32 v10, v12 :: v_dual_mov_b32 v11, v13
	v_dual_mov_b32 v15, v13 :: v_dual_mov_b32 v14, v12
	v_dual_mov_b32 v9, v13 :: v_dual_mov_b32 v4, v12
	v_dual_mov_b32 v5, v13 :: v_dual_mov_b32 v6, v12
	v_dual_mov_b32 v7, v13 :: v_dual_mov_b32 v0, v12
	v_mov_b32_e32 v1, v13
	s_waitcnt lgkmcnt(0)
	s_add_u32 s2, s4, s16
	s_addc_u32 s3, s5, s17
	v_cmp_lt_i64_e64 s4, s[8:9], 1
	s_load_b64 s[2:3], s[2:3], 0x0
	v_dual_mov_b32 v2, v12 :: v_dual_mov_b32 v3, v13
	s_lshl_b32 s18, s13, 5
	s_lshl_b32 s19, s14, 5
	s_delay_alu instid0(VALU_DEP_2)
	s_and_b32 vcc_lo, exec_lo, s4
	s_cbranch_vccnz .LBB1635_3
; %bb.1:
	s_clause 0x1
	s_load_b128 s[12:15], s[0:1], 0x28
	s_load_b64 s[4:5], s[0:1], 0x18
	v_lshl_add_u32 v2, v21, 4, v20
	v_dual_mov_b32 v1, 0 :: v_dual_and_b32 v0, 7, v20
	s_add_u32 s10, s10, s16
	s_addc_u32 s11, s11, s17
	s_delay_alu instid0(VALU_DEP_2)
	v_lshrrev_b32_e32 v8, 3, v2
	v_and_b32_e32 v9, 31, v2
	v_lshrrev_b32_e32 v2, 5, v2
	v_mov_b32_e32 v3, v1
	s_load_b64 s[10:11], s[10:11], 0x0
	v_add_nc_u32_e32 v10, s19, v8
	v_add_nc_u32_e32 v6, s18, v9
	v_lshl_add_u32 v23, v21, 7, 0x1000
	s_delay_alu instid0(VALU_DEP_3) | instskip(NEXT) | instid1(VALU_DEP_3)
	v_ashrrev_i32_e32 v4, 31, v10
	v_ashrrev_i32_e32 v5, 31, v6
	s_waitcnt lgkmcnt(0)
	s_add_u32 s12, s12, s16
	s_addc_u32 s13, s13, s17
	v_mul_lo_u32 v11, v4, s14
	v_mul_lo_u32 v12, s4, v5
	v_mad_u64_u32 v[4:5], null, s4, v6, v[2:3]
	v_mul_lo_u32 v3, s5, v6
	s_load_b64 s[4:5], s[12:13], 0x0
	v_mul_lo_u32 v13, v10, s15
	v_mad_u64_u32 v[6:7], null, v10, s14, v[0:1]
	v_lshlrev_b32_e32 v0, 4, v0
	s_delay_alu instid0(VALU_DEP_4) | instskip(SKIP_1) | instid1(VALU_DEP_3)
	v_add3_u32 v5, v3, v5, v12
	v_lshlrev_b32_e32 v3, 4, v9
	v_lshl_or_b32 v8, v8, 7, v0
	v_add3_u32 v7, v11, v7, v13
	s_delay_alu instid0(VALU_DEP_4) | instskip(NEXT) | instid1(VALU_DEP_4)
	v_lshlrev_b64 v[0:1], 4, v[4:5]
	v_lshl_or_b32 v24, v2, 9, v3
	s_delay_alu instid0(VALU_DEP_3) | instskip(NEXT) | instid1(VALU_DEP_3)
	v_lshlrev_b64 v[2:3], 4, v[6:7]
	v_add_co_u32 v0, vcc_lo, v0, s10
	s_delay_alu instid0(VALU_DEP_4) | instskip(SKIP_1) | instid1(VALU_DEP_3)
	v_add_co_ci_u32_e32 v1, vcc_lo, s11, v1, vcc_lo
	s_waitcnt lgkmcnt(0)
	v_add_co_u32 v4, vcc_lo, v2, s4
	s_delay_alu instid0(VALU_DEP_4)
	v_add_co_ci_u32_e32 v5, vcc_lo, s5, v3, vcc_lo
	v_mov_b32_e32 v2, 0
	v_mov_b32_e32 v3, 0
	v_add_co_u32 v16, vcc_lo, v0, 8
	v_add_co_ci_u32_e32 v17, vcc_lo, 0, v1, vcc_lo
	v_add_co_u32 v18, vcc_lo, v4, 8
	s_delay_alu instid0(VALU_DEP_4)
	v_dual_mov_b32 v7, v3 :: v_dual_lshlrev_b32 v22, 4, v20
	v_add_co_ci_u32_e32 v19, vcc_lo, 0, v5, vcc_lo
	v_dual_mov_b32 v6, v2 :: v_dual_mov_b32 v5, v3
	v_dual_mov_b32 v4, v2 :: v_dual_mov_b32 v11, v3
	v_dual_mov_b32 v0, v2 :: v_dual_add_nc_u32 v25, 0x1000, v8
	v_dual_mov_b32 v10, v2 :: v_dual_mov_b32 v9, v3
	v_dual_mov_b32 v8, v2 :: v_dual_mov_b32 v15, v3
	;; [unrolled: 1-line block ×4, first 2 shown]
	s_mov_b64 s[4:5], 0
.LBB1635_2:                             ; =>This Inner Loop Header: Depth=1
	global_load_b128 v[26:29], v[16:17], off offset:-8
	global_load_b128 v[30:33], v[18:19], off offset:-8
	s_add_u32 s4, s4, 8
	v_add_co_u32 v16, vcc_lo, 0x80, v16
	s_addc_u32 s5, s5, 0
	v_add_co_ci_u32_e32 v17, vcc_lo, 0, v17, vcc_lo
	v_cmp_ge_u64_e64 s10, s[4:5], s[8:9]
	v_add_co_u32 v18, vcc_lo, 0x80, v18
	v_add_co_ci_u32_e32 v19, vcc_lo, 0, v19, vcc_lo
	s_waitcnt vmcnt(1)
	ds_store_b128 v24, v[26:29]
	s_waitcnt vmcnt(0)
	ds_store_b128 v25, v[30:33]
	s_waitcnt lgkmcnt(0)
	s_barrier
	buffer_gl0_inv
	ds_load_b128 v[26:29], v23
	ds_load_b128 v[30:33], v22
	ds_load_b128 v[34:37], v22 offset:256
	ds_load_b128 v[38:41], v23 offset:2048
	;; [unrolled: 1-line block ×13, first 2 shown]
	s_and_b32 vcc_lo, exec_lo, s10
	s_waitcnt lgkmcnt(13)
	v_mul_f64 v[86:87], v[28:29], v[32:33]
	v_mul_f64 v[88:89], v[26:27], v[32:33]
	s_waitcnt lgkmcnt(12)
	v_mul_f64 v[90:91], v[28:29], v[36:37]
	v_mul_f64 v[92:93], v[26:27], v[36:37]
	;; [unrolled: 3-line block ×3, first 2 shown]
	v_mul_f64 v[96:97], v[40:41], v[36:37]
	v_mul_f64 v[36:37], v[38:39], v[36:37]
	s_waitcnt lgkmcnt(8)
	v_mul_f64 v[98:99], v[44:45], v[52:53]
	v_mul_f64 v[100:101], v[42:43], v[52:53]
	s_waitcnt lgkmcnt(7)
	v_mul_f64 v[102:103], v[44:45], v[56:57]
	v_mul_f64 v[104:105], v[42:43], v[56:57]
	;; [unrolled: 1-line block ×6, first 2 shown]
	s_waitcnt lgkmcnt(3)
	v_mul_f64 v[112:113], v[58:59], v[72:73]
	s_waitcnt lgkmcnt(2)
	v_mul_f64 v[114:115], v[76:77], v[68:69]
	v_mul_f64 v[116:117], v[76:77], v[72:73]
	v_fma_f64 v[86:87], v[26:27], v[30:31], -v[86:87]
	v_fma_f64 v[88:89], v[28:29], v[30:31], v[88:89]
	v_fma_f64 v[90:91], v[26:27], v[34:35], -v[90:91]
	v_fma_f64 v[92:93], v[28:29], v[34:35], v[92:93]
	;; [unrolled: 2-line block ×4, first 2 shown]
	v_mul_f64 v[36:37], v[60:61], v[68:69]
	v_mul_f64 v[40:41], v[58:59], v[68:69]
	;; [unrolled: 1-line block ×5, first 2 shown]
	v_fma_f64 v[98:99], v[42:43], v[50:51], -v[98:99]
	v_fma_f64 v[100:101], v[44:45], v[50:51], v[100:101]
	v_fma_f64 v[42:43], v[42:43], v[54:55], -v[102:103]
	v_fma_f64 v[44:45], v[44:45], v[54:55], v[104:105]
	;; [unrolled: 2-line block ×4, first 2 shown]
	ds_load_b128 v[26:29], v22 offset:1792
	ds_load_b128 v[30:33], v22 offset:2048
	s_waitcnt lgkmcnt(2)
	v_mul_f64 v[56:57], v[64:65], v[84:85]
	v_add_f64 v[12:13], v[12:13], v[86:87]
	v_add_f64 v[14:15], v[14:15], v[88:89]
	;; [unrolled: 1-line block ×8, first 2 shown]
	v_mul_f64 v[86:87], v[62:63], v[84:85]
	s_waitcnt lgkmcnt(1)
	v_mul_f64 v[88:89], v[64:65], v[28:29]
	v_mul_f64 v[90:91], v[62:63], v[28:29]
	;; [unrolled: 1-line block ×6, first 2 shown]
	v_fma_f64 v[104:105], v[58:59], v[66:67], -v[36:37]
	v_fma_f64 v[106:107], v[60:61], v[66:67], v[40:41]
	v_fma_f64 v[58:59], v[58:59], v[70:71], -v[96:97]
	v_fma_f64 v[60:61], v[60:61], v[70:71], v[112:113]
	;; [unrolled: 2-line block ×4, first 2 shown]
	ds_load_b128 v[0:3], v22 offset:2304
	ds_load_b128 v[4:7], v23 offset:64
	v_fma_f64 v[56:57], v[62:63], v[82:83], -v[56:57]
	v_add_f64 v[72:73], v[12:13], v[98:99]
	v_add_f64 v[74:75], v[14:15], v[100:101]
	;; [unrolled: 1-line block ×8, first 2 shown]
	ds_load_b128 v[8:11], v23 offset:2112
	ds_load_b128 v[12:15], v23 offset:80
	;; [unrolled: 1-line block ×4, first 2 shown]
	s_waitcnt lgkmcnt(4)
	v_mul_f64 v[54:55], v[6:7], v[32:33]
	v_mul_f64 v[76:77], v[4:5], v[32:33]
	;; [unrolled: 1-line block ×4, first 2 shown]
	v_fma_f64 v[86:87], v[64:65], v[82:83], v[86:87]
	v_fma_f64 v[62:63], v[62:63], v[26:27], -v[88:89]
	v_fma_f64 v[64:65], v[64:65], v[26:27], v[90:91]
	v_fma_f64 v[88:89], v[78:79], v[82:83], -v[92:93]
	;; [unrolled: 2-line block ×3, first 2 shown]
	v_fma_f64 v[80:81], v[80:81], v[26:27], v[28:29]
	s_waitcnt lgkmcnt(3)
	v_mul_f64 v[102:103], v[10:11], v[32:33]
	v_mul_f64 v[32:33], v[8:9], v[32:33]
	;; [unrolled: 1-line block ×4, first 2 shown]
	s_waitcnt lgkmcnt(0)
	v_mul_f64 v[90:91], v[14:15], v[40:41]
	v_mul_f64 v[92:93], v[12:13], v[40:41]
	v_add_f64 v[72:73], v[72:73], v[104:105]
	v_add_f64 v[74:75], v[74:75], v[106:107]
	;; [unrolled: 1-line block ×8, first 2 shown]
	ds_load_b128 v[26:29], v22 offset:2816
	ds_load_b128 v[42:45], v22 offset:3072
	;; [unrolled: 1-line block ×4, first 2 shown]
	v_mul_f64 v[104:105], v[36:37], v[40:41]
	v_mul_f64 v[40:41], v[34:35], v[40:41]
	v_fma_f64 v[54:55], v[4:5], v[30:31], -v[54:55]
	v_fma_f64 v[76:77], v[6:7], v[30:31], v[76:77]
	v_fma_f64 v[98:99], v[4:5], v[0:1], -v[98:99]
	v_fma_f64 v[100:101], v[6:7], v[0:1], v[100:101]
	s_waitcnt lgkmcnt(3)
	v_mul_f64 v[94:95], v[14:15], v[28:29]
	v_mul_f64 v[96:97], v[12:13], v[28:29]
	;; [unrolled: 1-line block ×4, first 2 shown]
	v_fma_f64 v[102:103], v[8:9], v[30:31], -v[102:103]
	v_fma_f64 v[32:33], v[10:11], v[30:31], v[32:33]
	v_fma_f64 v[108:109], v[8:9], v[0:1], -v[108:109]
	v_fma_f64 v[112:113], v[10:11], v[0:1], v[2:3]
	ds_load_b128 v[0:3], v23 offset:2144
	ds_load_b128 v[4:7], v23 offset:112
	;; [unrolled: 1-line block ×4, first 2 shown]
	v_add_f64 v[56:57], v[72:73], v[56:57]
	v_add_f64 v[72:73], v[74:75], v[86:87]
	;; [unrolled: 1-line block ×8, first 2 shown]
	s_waitcnt lgkmcnt(4)
	v_mul_f64 v[70:71], v[52:53], v[44:45]
	v_mul_f64 v[74:75], v[50:51], v[44:45]
	;; [unrolled: 1-line block ×4, first 2 shown]
	s_waitcnt lgkmcnt(3)
	v_mul_f64 v[82:83], v[2:3], v[44:45]
	v_mul_f64 v[44:45], v[0:1], v[44:45]
	;; [unrolled: 1-line block ×4, first 2 shown]
	v_fma_f64 v[86:87], v[12:13], v[38:39], -v[90:91]
	v_fma_f64 v[88:89], v[14:15], v[38:39], v[92:93]
	v_fma_f64 v[90:91], v[12:13], v[26:27], -v[94:95]
	v_fma_f64 v[92:93], v[14:15], v[26:27], v[96:97]
	;; [unrolled: 2-line block ×4, first 2 shown]
	ds_load_b128 v[12:15], v22 offset:3840
	s_waitcnt lgkmcnt(0)
	s_barrier
	buffer_gl0_inv
	v_add_f64 v[36:37], v[56:57], v[54:55]
	v_add_f64 v[40:41], v[72:73], v[76:77]
	;; [unrolled: 1-line block ×8, first 2 shown]
	v_mul_f64 v[64:65], v[6:7], v[30:31]
	v_mul_f64 v[66:67], v[4:5], v[30:31]
	;; [unrolled: 1-line block ×4, first 2 shown]
	v_fma_f64 v[70:71], v[50:51], v[42:43], -v[70:71]
	v_mul_f64 v[68:69], v[6:7], v[14:15]
	v_mul_f64 v[72:73], v[4:5], v[14:15]
	;; [unrolled: 1-line block ×4, first 2 shown]
	v_fma_f64 v[74:75], v[52:53], v[42:43], v[74:75]
	v_fma_f64 v[50:51], v[50:51], v[46:47], -v[78:79]
	v_fma_f64 v[52:53], v[52:53], v[46:47], v[80:81]
	v_fma_f64 v[78:79], v[0:1], v[42:43], -v[82:83]
	;; [unrolled: 2-line block ×3, first 2 shown]
	v_fma_f64 v[2:3], v[2:3], v[46:47], v[48:49]
	v_add_f64 v[36:37], v[36:37], v[86:87]
	v_add_f64 v[40:41], v[40:41], v[88:89]
	;; [unrolled: 1-line block ×8, first 2 shown]
	v_fma_f64 v[38:39], v[4:5], v[28:29], -v[64:65]
	v_fma_f64 v[54:55], v[6:7], v[28:29], v[66:67]
	v_fma_f64 v[56:57], v[8:9], v[28:29], -v[76:77]
	v_fma_f64 v[28:29], v[10:11], v[28:29], v[30:31]
	;; [unrolled: 2-line block ×4, first 2 shown]
	v_add_f64 v[8:9], v[36:37], v[70:71]
	v_add_f64 v[10:11], v[40:41], v[74:75]
	;; [unrolled: 1-line block ×16, first 2 shown]
	s_cbranch_vccz .LBB1635_2
.LBB1635_3:
	v_add_nc_u32_e32 v18, s19, v21
	s_load_b32 s4, s[0:1], 0x0
	s_delay_alu instid0(VALU_DEP_1) | instskip(SKIP_2) | instid1(VALU_DEP_3)
	v_ashrrev_i32_e32 v16, 31, v18
	v_mul_lo_u32 v17, v18, s7
	v_mad_u64_u32 v[21:22], null, v18, s6, 0
	v_mul_lo_u32 v16, v16, s6
	s_delay_alu instid0(VALU_DEP_1) | instskip(SKIP_3) | instid1(VALU_DEP_3)
	v_add3_u32 v22, v22, v17, v16
	v_add_nc_u32_e32 v16, s18, v20
	s_waitcnt lgkmcnt(0)
	v_cmp_gt_i32_e32 vcc_lo, s4, v18
	v_lshlrev_b64 v[19:20], 4, v[21:22]
	s_delay_alu instid0(VALU_DEP_3) | instskip(NEXT) | instid1(VALU_DEP_1)
	v_cmp_le_i32_e64 s0, v16, v18
	s_and_b32 s0, vcc_lo, s0
	s_delay_alu instid0(VALU_DEP_2) | instskip(NEXT) | instid1(VALU_DEP_1)
	v_add_co_u32 v19, s1, s2, v19
	v_add_co_ci_u32_e64 v20, s1, s3, v20, s1
	s_and_saveexec_b32 s1, s0
	s_cbranch_execz .LBB1635_5
; %bb.4:
	v_ashrrev_i32_e32 v17, 31, v16
	s_delay_alu instid0(VALU_DEP_1) | instskip(NEXT) | instid1(VALU_DEP_1)
	v_lshlrev_b64 v[21:22], 4, v[16:17]
	v_add_co_u32 v21, s0, v19, v21
	s_delay_alu instid0(VALU_DEP_1)
	v_add_co_ci_u32_e64 v22, s0, v20, v22, s0
	global_store_b128 v[21:22], v[12:15], off
.LBB1635_5:
	s_or_b32 exec_lo, exec_lo, s1
	v_add_nc_u32_e32 v12, 16, v16
	s_delay_alu instid0(VALU_DEP_1) | instskip(NEXT) | instid1(VALU_DEP_1)
	v_cmp_le_i32_e64 s0, v12, v18
	s_and_b32 s1, vcc_lo, s0
	s_delay_alu instid0(SALU_CYCLE_1)
	s_and_saveexec_b32 s0, s1
	s_cbranch_execz .LBB1635_7
; %bb.6:
	v_ashrrev_i32_e32 v13, 31, v12
	s_delay_alu instid0(VALU_DEP_1) | instskip(NEXT) | instid1(VALU_DEP_1)
	v_lshlrev_b64 v[13:14], 4, v[12:13]
	v_add_co_u32 v13, vcc_lo, v19, v13
	s_delay_alu instid0(VALU_DEP_2)
	v_add_co_ci_u32_e32 v14, vcc_lo, v20, v14, vcc_lo
	global_store_b128 v[13:14], v[8:11], off
.LBB1635_7:
	s_or_b32 exec_lo, exec_lo, s0
	v_add_nc_u32_e32 v8, 16, v18
	s_delay_alu instid0(VALU_DEP_1) | instskip(SKIP_3) | instid1(VALU_DEP_4)
	v_ashrrev_i32_e32 v11, 31, v8
	v_mul_lo_u32 v13, v8, s7
	v_mad_u64_u32 v[9:10], null, v8, s6, 0
	v_cmp_gt_i32_e32 vcc_lo, s4, v8
	v_mul_lo_u32 v11, v11, s6
	v_cmp_le_i32_e64 s0, v16, v8
	s_delay_alu instid0(VALU_DEP_1) | instskip(NEXT) | instid1(VALU_DEP_2)
	s_and_b32 s0, vcc_lo, s0
	v_add3_u32 v10, v10, v13, v11
	s_delay_alu instid0(VALU_DEP_1) | instskip(NEXT) | instid1(VALU_DEP_1)
	v_lshlrev_b64 v[9:10], 4, v[9:10]
	v_add_co_u32 v9, s1, s2, v9
	s_delay_alu instid0(VALU_DEP_1)
	v_add_co_ci_u32_e64 v10, s1, s3, v10, s1
	s_and_saveexec_b32 s1, s0
	s_cbranch_execz .LBB1635_9
; %bb.8:
	v_ashrrev_i32_e32 v17, 31, v16
	s_delay_alu instid0(VALU_DEP_1) | instskip(NEXT) | instid1(VALU_DEP_1)
	v_lshlrev_b64 v[13:14], 4, v[16:17]
	v_add_co_u32 v13, s0, v9, v13
	s_delay_alu instid0(VALU_DEP_1)
	v_add_co_ci_u32_e64 v14, s0, v10, v14, s0
	global_store_b128 v[13:14], v[4:7], off
.LBB1635_9:
	s_or_b32 exec_lo, exec_lo, s1
	v_cmp_le_i32_e64 s0, v12, v8
	s_delay_alu instid0(VALU_DEP_1) | instskip(NEXT) | instid1(SALU_CYCLE_1)
	s_and_b32 s0, vcc_lo, s0
	s_and_saveexec_b32 s1, s0
	s_cbranch_execz .LBB1635_11
; %bb.10:
	v_ashrrev_i32_e32 v13, 31, v12
	s_delay_alu instid0(VALU_DEP_1) | instskip(NEXT) | instid1(VALU_DEP_1)
	v_lshlrev_b64 v[4:5], 4, v[12:13]
	v_add_co_u32 v4, vcc_lo, v9, v4
	s_delay_alu instid0(VALU_DEP_2)
	v_add_co_ci_u32_e32 v5, vcc_lo, v10, v5, vcc_lo
	global_store_b128 v[4:5], v[0:3], off
.LBB1635_11:
	s_nop 0
	s_sendmsg sendmsg(MSG_DEALLOC_VGPRS)
	s_endpgm
	.section	.rodata,"a",@progbits
	.p2align	6, 0x0
	.amdhsa_kernel _ZL37rocblas_syrkx_herkx_restricted_kernelIl19rocblas_complex_numIdELi16ELi32ELi8ELi1ELi0ELb0ELc67ELc85EKPKS1_KPS1_EviT_PT9_S7_lS9_S7_lPT10_S7_li
		.amdhsa_group_segment_fixed_size 8192
		.amdhsa_private_segment_fixed_size 0
		.amdhsa_kernarg_size 92
		.amdhsa_user_sgpr_count 13
		.amdhsa_user_sgpr_dispatch_ptr 0
		.amdhsa_user_sgpr_queue_ptr 0
		.amdhsa_user_sgpr_kernarg_segment_ptr 1
		.amdhsa_user_sgpr_dispatch_id 0
		.amdhsa_user_sgpr_private_segment_size 0
		.amdhsa_wavefront_size32 1
		.amdhsa_uses_dynamic_stack 0
		.amdhsa_enable_private_segment 0
		.amdhsa_system_sgpr_workgroup_id_x 1
		.amdhsa_system_sgpr_workgroup_id_y 1
		.amdhsa_system_sgpr_workgroup_id_z 1
		.amdhsa_system_sgpr_workgroup_info 0
		.amdhsa_system_vgpr_workitem_id 1
		.amdhsa_next_free_vgpr 118
		.amdhsa_next_free_sgpr 20
		.amdhsa_reserve_vcc 1
		.amdhsa_float_round_mode_32 0
		.amdhsa_float_round_mode_16_64 0
		.amdhsa_float_denorm_mode_32 3
		.amdhsa_float_denorm_mode_16_64 3
		.amdhsa_dx10_clamp 1
		.amdhsa_ieee_mode 1
		.amdhsa_fp16_overflow 0
		.amdhsa_workgroup_processor_mode 1
		.amdhsa_memory_ordered 1
		.amdhsa_forward_progress 0
		.amdhsa_shared_vgpr_count 0
		.amdhsa_exception_fp_ieee_invalid_op 0
		.amdhsa_exception_fp_denorm_src 0
		.amdhsa_exception_fp_ieee_div_zero 0
		.amdhsa_exception_fp_ieee_overflow 0
		.amdhsa_exception_fp_ieee_underflow 0
		.amdhsa_exception_fp_ieee_inexact 0
		.amdhsa_exception_int_div_zero 0
	.end_amdhsa_kernel
	.section	.text._ZL37rocblas_syrkx_herkx_restricted_kernelIl19rocblas_complex_numIdELi16ELi32ELi8ELi1ELi0ELb0ELc67ELc85EKPKS1_KPS1_EviT_PT9_S7_lS9_S7_lPT10_S7_li,"axG",@progbits,_ZL37rocblas_syrkx_herkx_restricted_kernelIl19rocblas_complex_numIdELi16ELi32ELi8ELi1ELi0ELb0ELc67ELc85EKPKS1_KPS1_EviT_PT9_S7_lS9_S7_lPT10_S7_li,comdat
.Lfunc_end1635:
	.size	_ZL37rocblas_syrkx_herkx_restricted_kernelIl19rocblas_complex_numIdELi16ELi32ELi8ELi1ELi0ELb0ELc67ELc85EKPKS1_KPS1_EviT_PT9_S7_lS9_S7_lPT10_S7_li, .Lfunc_end1635-_ZL37rocblas_syrkx_herkx_restricted_kernelIl19rocblas_complex_numIdELi16ELi32ELi8ELi1ELi0ELb0ELc67ELc85EKPKS1_KPS1_EviT_PT9_S7_lS9_S7_lPT10_S7_li
                                        ; -- End function
	.section	.AMDGPU.csdata,"",@progbits
; Kernel info:
; codeLenInByte = 3000
; NumSgprs: 22
; NumVgprs: 118
; ScratchSize: 0
; MemoryBound: 0
; FloatMode: 240
; IeeeMode: 1
; LDSByteSize: 8192 bytes/workgroup (compile time only)
; SGPRBlocks: 2
; VGPRBlocks: 14
; NumSGPRsForWavesPerEU: 22
; NumVGPRsForWavesPerEU: 118
; Occupancy: 12
; WaveLimiterHint : 1
; COMPUTE_PGM_RSRC2:SCRATCH_EN: 0
; COMPUTE_PGM_RSRC2:USER_SGPR: 13
; COMPUTE_PGM_RSRC2:TRAP_HANDLER: 0
; COMPUTE_PGM_RSRC2:TGID_X_EN: 1
; COMPUTE_PGM_RSRC2:TGID_Y_EN: 1
; COMPUTE_PGM_RSRC2:TGID_Z_EN: 1
; COMPUTE_PGM_RSRC2:TIDIG_COMP_CNT: 1
	.section	.text._ZL37rocblas_syrkx_herkx_restricted_kernelIl19rocblas_complex_numIdELi16ELi32ELi8ELi1ELi0ELb0ELc78ELc85EKPKS1_KPS1_EviT_PT9_S7_lS9_S7_lPT10_S7_li,"axG",@progbits,_ZL37rocblas_syrkx_herkx_restricted_kernelIl19rocblas_complex_numIdELi16ELi32ELi8ELi1ELi0ELb0ELc78ELc85EKPKS1_KPS1_EviT_PT9_S7_lS9_S7_lPT10_S7_li,comdat
	.globl	_ZL37rocblas_syrkx_herkx_restricted_kernelIl19rocblas_complex_numIdELi16ELi32ELi8ELi1ELi0ELb0ELc78ELc85EKPKS1_KPS1_EviT_PT9_S7_lS9_S7_lPT10_S7_li ; -- Begin function _ZL37rocblas_syrkx_herkx_restricted_kernelIl19rocblas_complex_numIdELi16ELi32ELi8ELi1ELi0ELb0ELc78ELc85EKPKS1_KPS1_EviT_PT9_S7_lS9_S7_lPT10_S7_li
	.p2align	8
	.type	_ZL37rocblas_syrkx_herkx_restricted_kernelIl19rocblas_complex_numIdELi16ELi32ELi8ELi1ELi0ELb0ELc78ELc85EKPKS1_KPS1_EviT_PT9_S7_lS9_S7_lPT10_S7_li,@function
_ZL37rocblas_syrkx_herkx_restricted_kernelIl19rocblas_complex_numIdELi16ELi32ELi8ELi1ELi0ELb0ELc78ELc85EKPKS1_KPS1_EviT_PT9_S7_lS9_S7_lPT10_S7_li: ; @_ZL37rocblas_syrkx_herkx_restricted_kernelIl19rocblas_complex_numIdELi16ELi32ELi8ELi1ELi0ELb0ELc78ELc85EKPKS1_KPS1_EviT_PT9_S7_lS9_S7_lPT10_S7_li
; %bb.0:
	s_clause 0x1
	s_load_b128 s[4:7], s[0:1], 0x40
	s_load_b128 s[8:11], s[0:1], 0x8
	s_mov_b32 s2, s15
	s_mov_b32 s3, 0
	v_mov_b32_e32 v12, 0
	s_lshl_b64 s[16:17], s[2:3], 3
	v_dual_mov_b32 v13, 0 :: v_dual_and_b32 v20, 0x3ff, v0
	v_bfe_u32 v21, v0, 10, 10
	s_delay_alu instid0(VALU_DEP_3) | instskip(NEXT) | instid1(VALU_DEP_3)
	v_mov_b32_e32 v8, v12
	v_dual_mov_b32 v10, v12 :: v_dual_mov_b32 v11, v13
	v_dual_mov_b32 v15, v13 :: v_dual_mov_b32 v14, v12
	;; [unrolled: 1-line block ×5, first 2 shown]
	v_mov_b32_e32 v1, v13
	s_waitcnt lgkmcnt(0)
	s_add_u32 s2, s4, s16
	s_addc_u32 s3, s5, s17
	v_cmp_lt_i64_e64 s4, s[8:9], 1
	s_load_b64 s[2:3], s[2:3], 0x0
	v_dual_mov_b32 v2, v12 :: v_dual_mov_b32 v3, v13
	s_lshl_b32 s18, s13, 5
	s_lshl_b32 s19, s14, 5
	s_delay_alu instid0(VALU_DEP_2)
	s_and_b32 vcc_lo, exec_lo, s4
	s_cbranch_vccnz .LBB1636_3
; %bb.1:
	v_lshl_add_u32 v1, v21, 4, v20
	s_clause 0x1
	s_load_b64 s[4:5], s[0:1], 0x18
	s_load_b128 s[12:15], s[0:1], 0x28
	v_and_b32_e32 v7, 7, v20
	s_add_u32 s10, s10, s16
	s_addc_u32 s11, s11, s17
	v_lshrrev_b32_e32 v12, 3, v1
	v_and_b32_e32 v11, 31, v1
	v_lshrrev_b32_e32 v13, 5, v1
	s_load_b64 s[10:11], s[10:11], 0x0
	v_lshlrev_b32_e32 v22, 4, v20
	v_add_nc_u32_e32 v2, s19, v12
	v_lshl_add_u32 v23, v21, 7, 0x1000
	s_delay_alu instid0(VALU_DEP_2) | instskip(SKIP_1) | instid1(VALU_DEP_1)
	v_ashrrev_i32_e32 v3, 31, v2
	s_waitcnt lgkmcnt(0)
	v_mad_u64_u32 v[8:9], null, v7, s14, v[2:3]
	v_add_nc_u32_e32 v0, s18, v11
	s_add_u32 s12, s12, s16
	s_addc_u32 s13, s13, s17
	v_mov_b32_e32 v2, 0
	s_load_b64 s[12:13], s[12:13], 0x0
	v_ashrrev_i32_e32 v1, 31, v0
	v_mov_b32_e32 v3, 0
	s_delay_alu instid0(VALU_DEP_2) | instskip(SKIP_1) | instid1(VALU_DEP_1)
	v_mad_u64_u32 v[4:5], null, v13, s4, v[0:1]
	v_mov_b32_e32 v1, v9
	v_mad_u64_u32 v[9:10], null, v7, s15, v[1:2]
	s_delay_alu instid0(VALU_DEP_3) | instskip(SKIP_2) | instid1(VALU_DEP_3)
	v_mov_b32_e32 v0, v5
	v_lshlrev_b32_e32 v10, 4, v7
	v_lshlrev_b32_e32 v14, 4, v11
	v_mad_u64_u32 v[5:6], null, v13, s5, v[0:1]
	v_dual_mov_b32 v0, v2 :: v_dual_mov_b32 v7, v3
	v_mov_b32_e32 v1, v3
	v_lshl_or_b32 v12, v12, 7, v10
	v_lshlrev_b64 v[8:9], 4, v[8:9]
	v_mov_b32_e32 v6, v2
	v_lshlrev_b64 v[10:11], 4, v[4:5]
	v_dual_mov_b32 v5, v3 :: v_dual_mov_b32 v4, v2
	v_add_nc_u32_e32 v25, 0x1000, v12
	s_lshl_b64 s[4:5], s[4:5], 7
	s_delay_alu instid0(VALU_DEP_3) | instskip(NEXT) | instid1(VALU_DEP_4)
	v_add_co_u32 v10, vcc_lo, v10, s10
	v_add_co_ci_u32_e32 v11, vcc_lo, s11, v11, vcc_lo
	s_waitcnt lgkmcnt(0)
	v_add_co_u32 v8, vcc_lo, v8, s12
	v_add_co_ci_u32_e32 v9, vcc_lo, s13, v9, vcc_lo
	v_add_co_u32 v16, vcc_lo, v10, 8
	v_add_co_ci_u32_e32 v17, vcc_lo, 0, v11, vcc_lo
	s_delay_alu instid0(VALU_DEP_4)
	v_add_co_u32 v18, vcc_lo, v8, 8
	v_mov_b32_e32 v11, v3
	v_add_co_ci_u32_e32 v19, vcc_lo, 0, v9, vcc_lo
	v_dual_mov_b32 v10, v2 :: v_dual_mov_b32 v9, v3
	v_lshl_or_b32 v24, v13, 9, v14
	v_dual_mov_b32 v8, v2 :: v_dual_mov_b32 v15, v3
	v_dual_mov_b32 v14, v2 :: v_dual_mov_b32 v13, v3
	v_mov_b32_e32 v12, v2
	s_lshl_b64 s[10:11], s[14:15], 7
	s_mov_b64 s[12:13], 0
.LBB1636_2:                             ; =>This Inner Loop Header: Depth=1
	global_load_b128 v[26:29], v[16:17], off offset:-8
	global_load_b128 v[30:33], v[18:19], off offset:-8
	s_add_u32 s12, s12, 8
	v_add_co_u32 v16, vcc_lo, v16, s4
	s_addc_u32 s13, s13, 0
	v_add_co_ci_u32_e32 v17, vcc_lo, s5, v17, vcc_lo
	v_cmp_ge_u64_e64 s14, s[12:13], s[8:9]
	v_add_co_u32 v18, vcc_lo, v18, s10
	v_add_co_ci_u32_e32 v19, vcc_lo, s11, v19, vcc_lo
	s_waitcnt vmcnt(1)
	ds_store_b128 v24, v[26:29]
	s_waitcnt vmcnt(0)
	ds_store_b128 v25, v[30:33]
	s_waitcnt lgkmcnt(0)
	s_barrier
	buffer_gl0_inv
	ds_load_b128 v[26:29], v23
	ds_load_b128 v[30:33], v22
	ds_load_b128 v[34:37], v22 offset:256
	ds_load_b128 v[38:41], v23 offset:2048
	ds_load_b128 v[42:45], v23 offset:16
	ds_load_b128 v[46:49], v23 offset:2064
	ds_load_b128 v[50:53], v22 offset:512
	ds_load_b128 v[54:57], v22 offset:768
	ds_load_b128 v[58:61], v23 offset:32
	ds_load_b128 v[62:65], v23 offset:48
	ds_load_b128 v[66:69], v22 offset:1024
	ds_load_b128 v[70:73], v22 offset:1280
	ds_load_b128 v[74:77], v23 offset:2080
	ds_load_b128 v[78:81], v23 offset:2096
	ds_load_b128 v[82:85], v22 offset:1536
	s_and_b32 vcc_lo, exec_lo, s14
	s_waitcnt lgkmcnt(13)
	v_mul_f64 v[86:87], v[28:29], v[32:33]
	v_mul_f64 v[88:89], v[26:27], v[32:33]
	s_waitcnt lgkmcnt(12)
	v_mul_f64 v[90:91], v[28:29], v[36:37]
	v_mul_f64 v[92:93], v[26:27], v[36:37]
	;; [unrolled: 3-line block ×3, first 2 shown]
	v_mul_f64 v[96:97], v[40:41], v[36:37]
	v_mul_f64 v[36:37], v[38:39], v[36:37]
	s_waitcnt lgkmcnt(8)
	v_mul_f64 v[98:99], v[44:45], v[52:53]
	v_mul_f64 v[100:101], v[42:43], v[52:53]
	s_waitcnt lgkmcnt(7)
	v_mul_f64 v[102:103], v[44:45], v[56:57]
	v_mul_f64 v[104:105], v[42:43], v[56:57]
	;; [unrolled: 1-line block ×6, first 2 shown]
	s_waitcnt lgkmcnt(3)
	v_mul_f64 v[112:113], v[58:59], v[72:73]
	s_waitcnt lgkmcnt(2)
	v_mul_f64 v[114:115], v[76:77], v[68:69]
	v_mul_f64 v[116:117], v[76:77], v[72:73]
	v_fma_f64 v[86:87], v[26:27], v[30:31], -v[86:87]
	v_fma_f64 v[88:89], v[28:29], v[30:31], v[88:89]
	v_fma_f64 v[90:91], v[26:27], v[34:35], -v[90:91]
	v_fma_f64 v[92:93], v[28:29], v[34:35], v[92:93]
	v_fma_f64 v[94:95], v[38:39], v[30:31], -v[94:95]
	v_fma_f64 v[110:111], v[40:41], v[30:31], v[32:33]
	v_fma_f64 v[38:39], v[38:39], v[34:35], -v[96:97]
	v_fma_f64 v[34:35], v[40:41], v[34:35], v[36:37]
	v_mul_f64 v[36:37], v[60:61], v[68:69]
	v_mul_f64 v[40:41], v[58:59], v[68:69]
	;; [unrolled: 1-line block ×5, first 2 shown]
	v_fma_f64 v[98:99], v[42:43], v[50:51], -v[98:99]
	v_fma_f64 v[100:101], v[44:45], v[50:51], v[100:101]
	v_fma_f64 v[42:43], v[42:43], v[54:55], -v[102:103]
	v_fma_f64 v[44:45], v[44:45], v[54:55], v[104:105]
	;; [unrolled: 2-line block ×4, first 2 shown]
	ds_load_b128 v[26:29], v22 offset:1792
	ds_load_b128 v[30:33], v22 offset:2048
	s_waitcnt lgkmcnt(2)
	v_mul_f64 v[56:57], v[64:65], v[84:85]
	v_add_f64 v[12:13], v[12:13], v[86:87]
	v_add_f64 v[14:15], v[14:15], v[88:89]
	;; [unrolled: 1-line block ×8, first 2 shown]
	v_mul_f64 v[86:87], v[62:63], v[84:85]
	s_waitcnt lgkmcnt(1)
	v_mul_f64 v[88:89], v[64:65], v[28:29]
	v_mul_f64 v[90:91], v[62:63], v[28:29]
	;; [unrolled: 1-line block ×6, first 2 shown]
	v_fma_f64 v[104:105], v[58:59], v[66:67], -v[36:37]
	v_fma_f64 v[106:107], v[60:61], v[66:67], v[40:41]
	v_fma_f64 v[58:59], v[58:59], v[70:71], -v[96:97]
	v_fma_f64 v[60:61], v[60:61], v[70:71], v[112:113]
	;; [unrolled: 2-line block ×4, first 2 shown]
	ds_load_b128 v[0:3], v22 offset:2304
	ds_load_b128 v[4:7], v23 offset:64
	v_fma_f64 v[56:57], v[62:63], v[82:83], -v[56:57]
	v_add_f64 v[72:73], v[12:13], v[98:99]
	v_add_f64 v[74:75], v[14:15], v[100:101]
	;; [unrolled: 1-line block ×8, first 2 shown]
	ds_load_b128 v[8:11], v23 offset:2112
	ds_load_b128 v[12:15], v23 offset:80
	;; [unrolled: 1-line block ×4, first 2 shown]
	s_waitcnt lgkmcnt(4)
	v_mul_f64 v[54:55], v[6:7], v[32:33]
	v_mul_f64 v[76:77], v[4:5], v[32:33]
	;; [unrolled: 1-line block ×4, first 2 shown]
	v_fma_f64 v[86:87], v[64:65], v[82:83], v[86:87]
	v_fma_f64 v[62:63], v[62:63], v[26:27], -v[88:89]
	v_fma_f64 v[64:65], v[64:65], v[26:27], v[90:91]
	v_fma_f64 v[88:89], v[78:79], v[82:83], -v[92:93]
	;; [unrolled: 2-line block ×3, first 2 shown]
	v_fma_f64 v[80:81], v[80:81], v[26:27], v[28:29]
	s_waitcnt lgkmcnt(3)
	v_mul_f64 v[102:103], v[10:11], v[32:33]
	v_mul_f64 v[32:33], v[8:9], v[32:33]
	;; [unrolled: 1-line block ×4, first 2 shown]
	s_waitcnt lgkmcnt(0)
	v_mul_f64 v[90:91], v[14:15], v[40:41]
	v_mul_f64 v[92:93], v[12:13], v[40:41]
	v_add_f64 v[72:73], v[72:73], v[104:105]
	v_add_f64 v[74:75], v[74:75], v[106:107]
	;; [unrolled: 1-line block ×8, first 2 shown]
	ds_load_b128 v[26:29], v22 offset:2816
	ds_load_b128 v[42:45], v22 offset:3072
	;; [unrolled: 1-line block ×4, first 2 shown]
	v_mul_f64 v[104:105], v[36:37], v[40:41]
	v_mul_f64 v[40:41], v[34:35], v[40:41]
	v_fma_f64 v[54:55], v[4:5], v[30:31], -v[54:55]
	v_fma_f64 v[76:77], v[6:7], v[30:31], v[76:77]
	v_fma_f64 v[98:99], v[4:5], v[0:1], -v[98:99]
	v_fma_f64 v[100:101], v[6:7], v[0:1], v[100:101]
	s_waitcnt lgkmcnt(3)
	v_mul_f64 v[94:95], v[14:15], v[28:29]
	v_mul_f64 v[96:97], v[12:13], v[28:29]
	;; [unrolled: 1-line block ×4, first 2 shown]
	v_fma_f64 v[102:103], v[8:9], v[30:31], -v[102:103]
	v_fma_f64 v[32:33], v[10:11], v[30:31], v[32:33]
	v_fma_f64 v[108:109], v[8:9], v[0:1], -v[108:109]
	v_fma_f64 v[112:113], v[10:11], v[0:1], v[2:3]
	ds_load_b128 v[0:3], v23 offset:2144
	ds_load_b128 v[4:7], v23 offset:112
	;; [unrolled: 1-line block ×4, first 2 shown]
	v_add_f64 v[56:57], v[72:73], v[56:57]
	v_add_f64 v[72:73], v[74:75], v[86:87]
	;; [unrolled: 1-line block ×8, first 2 shown]
	s_waitcnt lgkmcnt(4)
	v_mul_f64 v[70:71], v[52:53], v[44:45]
	v_mul_f64 v[74:75], v[50:51], v[44:45]
	v_mul_f64 v[78:79], v[52:53], v[48:49]
	v_mul_f64 v[80:81], v[50:51], v[48:49]
	s_waitcnt lgkmcnt(3)
	v_mul_f64 v[82:83], v[2:3], v[44:45]
	v_mul_f64 v[44:45], v[0:1], v[44:45]
	;; [unrolled: 1-line block ×4, first 2 shown]
	v_fma_f64 v[86:87], v[12:13], v[38:39], -v[90:91]
	v_fma_f64 v[88:89], v[14:15], v[38:39], v[92:93]
	v_fma_f64 v[90:91], v[12:13], v[26:27], -v[94:95]
	v_fma_f64 v[92:93], v[14:15], v[26:27], v[96:97]
	;; [unrolled: 2-line block ×4, first 2 shown]
	ds_load_b128 v[12:15], v22 offset:3840
	s_waitcnt lgkmcnt(0)
	s_barrier
	buffer_gl0_inv
	v_add_f64 v[36:37], v[56:57], v[54:55]
	v_add_f64 v[40:41], v[72:73], v[76:77]
	;; [unrolled: 1-line block ×8, first 2 shown]
	v_mul_f64 v[64:65], v[6:7], v[30:31]
	v_mul_f64 v[66:67], v[4:5], v[30:31]
	;; [unrolled: 1-line block ×4, first 2 shown]
	v_fma_f64 v[70:71], v[50:51], v[42:43], -v[70:71]
	v_mul_f64 v[68:69], v[6:7], v[14:15]
	v_mul_f64 v[72:73], v[4:5], v[14:15]
	;; [unrolled: 1-line block ×4, first 2 shown]
	v_fma_f64 v[74:75], v[52:53], v[42:43], v[74:75]
	v_fma_f64 v[50:51], v[50:51], v[46:47], -v[78:79]
	v_fma_f64 v[52:53], v[52:53], v[46:47], v[80:81]
	v_fma_f64 v[78:79], v[0:1], v[42:43], -v[82:83]
	;; [unrolled: 2-line block ×3, first 2 shown]
	v_fma_f64 v[2:3], v[2:3], v[46:47], v[48:49]
	v_add_f64 v[36:37], v[36:37], v[86:87]
	v_add_f64 v[40:41], v[40:41], v[88:89]
	;; [unrolled: 1-line block ×8, first 2 shown]
	v_fma_f64 v[38:39], v[4:5], v[28:29], -v[64:65]
	v_fma_f64 v[54:55], v[6:7], v[28:29], v[66:67]
	v_fma_f64 v[56:57], v[8:9], v[28:29], -v[76:77]
	v_fma_f64 v[28:29], v[10:11], v[28:29], v[30:31]
	;; [unrolled: 2-line block ×4, first 2 shown]
	v_add_f64 v[8:9], v[36:37], v[70:71]
	v_add_f64 v[10:11], v[40:41], v[74:75]
	;; [unrolled: 1-line block ×16, first 2 shown]
	s_cbranch_vccz .LBB1636_2
.LBB1636_3:
	v_add_nc_u32_e32 v18, s19, v21
	s_load_b32 s4, s[0:1], 0x0
	s_delay_alu instid0(VALU_DEP_1) | instskip(SKIP_2) | instid1(VALU_DEP_3)
	v_ashrrev_i32_e32 v16, 31, v18
	v_mul_lo_u32 v17, v18, s7
	v_mad_u64_u32 v[21:22], null, v18, s6, 0
	v_mul_lo_u32 v16, v16, s6
	s_delay_alu instid0(VALU_DEP_1) | instskip(SKIP_3) | instid1(VALU_DEP_3)
	v_add3_u32 v22, v22, v17, v16
	v_add_nc_u32_e32 v16, s18, v20
	s_waitcnt lgkmcnt(0)
	v_cmp_gt_i32_e32 vcc_lo, s4, v18
	v_lshlrev_b64 v[19:20], 4, v[21:22]
	s_delay_alu instid0(VALU_DEP_3) | instskip(NEXT) | instid1(VALU_DEP_1)
	v_cmp_le_i32_e64 s0, v16, v18
	s_and_b32 s0, vcc_lo, s0
	s_delay_alu instid0(VALU_DEP_2) | instskip(NEXT) | instid1(VALU_DEP_1)
	v_add_co_u32 v19, s1, s2, v19
	v_add_co_ci_u32_e64 v20, s1, s3, v20, s1
	s_and_saveexec_b32 s1, s0
	s_cbranch_execz .LBB1636_5
; %bb.4:
	v_ashrrev_i32_e32 v17, 31, v16
	s_delay_alu instid0(VALU_DEP_1) | instskip(NEXT) | instid1(VALU_DEP_1)
	v_lshlrev_b64 v[21:22], 4, v[16:17]
	v_add_co_u32 v21, s0, v19, v21
	s_delay_alu instid0(VALU_DEP_1)
	v_add_co_ci_u32_e64 v22, s0, v20, v22, s0
	global_store_b128 v[21:22], v[12:15], off
.LBB1636_5:
	s_or_b32 exec_lo, exec_lo, s1
	v_add_nc_u32_e32 v12, 16, v16
	s_delay_alu instid0(VALU_DEP_1) | instskip(NEXT) | instid1(VALU_DEP_1)
	v_cmp_le_i32_e64 s0, v12, v18
	s_and_b32 s1, vcc_lo, s0
	s_delay_alu instid0(SALU_CYCLE_1)
	s_and_saveexec_b32 s0, s1
	s_cbranch_execz .LBB1636_7
; %bb.6:
	v_ashrrev_i32_e32 v13, 31, v12
	s_delay_alu instid0(VALU_DEP_1) | instskip(NEXT) | instid1(VALU_DEP_1)
	v_lshlrev_b64 v[13:14], 4, v[12:13]
	v_add_co_u32 v13, vcc_lo, v19, v13
	s_delay_alu instid0(VALU_DEP_2)
	v_add_co_ci_u32_e32 v14, vcc_lo, v20, v14, vcc_lo
	global_store_b128 v[13:14], v[8:11], off
.LBB1636_7:
	s_or_b32 exec_lo, exec_lo, s0
	v_add_nc_u32_e32 v8, 16, v18
	s_delay_alu instid0(VALU_DEP_1) | instskip(SKIP_3) | instid1(VALU_DEP_4)
	v_ashrrev_i32_e32 v11, 31, v8
	v_mul_lo_u32 v13, v8, s7
	v_mad_u64_u32 v[9:10], null, v8, s6, 0
	v_cmp_gt_i32_e32 vcc_lo, s4, v8
	v_mul_lo_u32 v11, v11, s6
	v_cmp_le_i32_e64 s0, v16, v8
	s_delay_alu instid0(VALU_DEP_1) | instskip(NEXT) | instid1(VALU_DEP_2)
	s_and_b32 s0, vcc_lo, s0
	v_add3_u32 v10, v10, v13, v11
	s_delay_alu instid0(VALU_DEP_1) | instskip(NEXT) | instid1(VALU_DEP_1)
	v_lshlrev_b64 v[9:10], 4, v[9:10]
	v_add_co_u32 v9, s1, s2, v9
	s_delay_alu instid0(VALU_DEP_1)
	v_add_co_ci_u32_e64 v10, s1, s3, v10, s1
	s_and_saveexec_b32 s1, s0
	s_cbranch_execz .LBB1636_9
; %bb.8:
	v_ashrrev_i32_e32 v17, 31, v16
	s_delay_alu instid0(VALU_DEP_1) | instskip(NEXT) | instid1(VALU_DEP_1)
	v_lshlrev_b64 v[13:14], 4, v[16:17]
	v_add_co_u32 v13, s0, v9, v13
	s_delay_alu instid0(VALU_DEP_1)
	v_add_co_ci_u32_e64 v14, s0, v10, v14, s0
	global_store_b128 v[13:14], v[4:7], off
.LBB1636_9:
	s_or_b32 exec_lo, exec_lo, s1
	v_cmp_le_i32_e64 s0, v12, v8
	s_delay_alu instid0(VALU_DEP_1) | instskip(NEXT) | instid1(SALU_CYCLE_1)
	s_and_b32 s0, vcc_lo, s0
	s_and_saveexec_b32 s1, s0
	s_cbranch_execz .LBB1636_11
; %bb.10:
	v_ashrrev_i32_e32 v13, 31, v12
	s_delay_alu instid0(VALU_DEP_1) | instskip(NEXT) | instid1(VALU_DEP_1)
	v_lshlrev_b64 v[4:5], 4, v[12:13]
	v_add_co_u32 v4, vcc_lo, v9, v4
	s_delay_alu instid0(VALU_DEP_2)
	v_add_co_ci_u32_e32 v5, vcc_lo, v10, v5, vcc_lo
	global_store_b128 v[4:5], v[0:3], off
.LBB1636_11:
	s_nop 0
	s_sendmsg sendmsg(MSG_DEALLOC_VGPRS)
	s_endpgm
	.section	.rodata,"a",@progbits
	.p2align	6, 0x0
	.amdhsa_kernel _ZL37rocblas_syrkx_herkx_restricted_kernelIl19rocblas_complex_numIdELi16ELi32ELi8ELi1ELi0ELb0ELc78ELc85EKPKS1_KPS1_EviT_PT9_S7_lS9_S7_lPT10_S7_li
		.amdhsa_group_segment_fixed_size 8192
		.amdhsa_private_segment_fixed_size 0
		.amdhsa_kernarg_size 92
		.amdhsa_user_sgpr_count 13
		.amdhsa_user_sgpr_dispatch_ptr 0
		.amdhsa_user_sgpr_queue_ptr 0
		.amdhsa_user_sgpr_kernarg_segment_ptr 1
		.amdhsa_user_sgpr_dispatch_id 0
		.amdhsa_user_sgpr_private_segment_size 0
		.amdhsa_wavefront_size32 1
		.amdhsa_uses_dynamic_stack 0
		.amdhsa_enable_private_segment 0
		.amdhsa_system_sgpr_workgroup_id_x 1
		.amdhsa_system_sgpr_workgroup_id_y 1
		.amdhsa_system_sgpr_workgroup_id_z 1
		.amdhsa_system_sgpr_workgroup_info 0
		.amdhsa_system_vgpr_workitem_id 1
		.amdhsa_next_free_vgpr 118
		.amdhsa_next_free_sgpr 20
		.amdhsa_reserve_vcc 1
		.amdhsa_float_round_mode_32 0
		.amdhsa_float_round_mode_16_64 0
		.amdhsa_float_denorm_mode_32 3
		.amdhsa_float_denorm_mode_16_64 3
		.amdhsa_dx10_clamp 1
		.amdhsa_ieee_mode 1
		.amdhsa_fp16_overflow 0
		.amdhsa_workgroup_processor_mode 1
		.amdhsa_memory_ordered 1
		.amdhsa_forward_progress 0
		.amdhsa_shared_vgpr_count 0
		.amdhsa_exception_fp_ieee_invalid_op 0
		.amdhsa_exception_fp_denorm_src 0
		.amdhsa_exception_fp_ieee_div_zero 0
		.amdhsa_exception_fp_ieee_overflow 0
		.amdhsa_exception_fp_ieee_underflow 0
		.amdhsa_exception_fp_ieee_inexact 0
		.amdhsa_exception_int_div_zero 0
	.end_amdhsa_kernel
	.section	.text._ZL37rocblas_syrkx_herkx_restricted_kernelIl19rocblas_complex_numIdELi16ELi32ELi8ELi1ELi0ELb0ELc78ELc85EKPKS1_KPS1_EviT_PT9_S7_lS9_S7_lPT10_S7_li,"axG",@progbits,_ZL37rocblas_syrkx_herkx_restricted_kernelIl19rocblas_complex_numIdELi16ELi32ELi8ELi1ELi0ELb0ELc78ELc85EKPKS1_KPS1_EviT_PT9_S7_lS9_S7_lPT10_S7_li,comdat
.Lfunc_end1636:
	.size	_ZL37rocblas_syrkx_herkx_restricted_kernelIl19rocblas_complex_numIdELi16ELi32ELi8ELi1ELi0ELb0ELc78ELc85EKPKS1_KPS1_EviT_PT9_S7_lS9_S7_lPT10_S7_li, .Lfunc_end1636-_ZL37rocblas_syrkx_herkx_restricted_kernelIl19rocblas_complex_numIdELi16ELi32ELi8ELi1ELi0ELb0ELc78ELc85EKPKS1_KPS1_EviT_PT9_S7_lS9_S7_lPT10_S7_li
                                        ; -- End function
	.section	.AMDGPU.csdata,"",@progbits
; Kernel info:
; codeLenInByte = 2956
; NumSgprs: 22
; NumVgprs: 118
; ScratchSize: 0
; MemoryBound: 0
; FloatMode: 240
; IeeeMode: 1
; LDSByteSize: 8192 bytes/workgroup (compile time only)
; SGPRBlocks: 2
; VGPRBlocks: 14
; NumSGPRsForWavesPerEU: 22
; NumVGPRsForWavesPerEU: 118
; Occupancy: 12
; WaveLimiterHint : 1
; COMPUTE_PGM_RSRC2:SCRATCH_EN: 0
; COMPUTE_PGM_RSRC2:USER_SGPR: 13
; COMPUTE_PGM_RSRC2:TRAP_HANDLER: 0
; COMPUTE_PGM_RSRC2:TGID_X_EN: 1
; COMPUTE_PGM_RSRC2:TGID_Y_EN: 1
; COMPUTE_PGM_RSRC2:TGID_Z_EN: 1
; COMPUTE_PGM_RSRC2:TIDIG_COMP_CNT: 1
	.section	.text._ZL37rocblas_syrkx_herkx_restricted_kernelIl19rocblas_complex_numIdELi16ELi32ELi8ELin1ELi0ELb0ELc84ELc76EKPKS1_KPS1_EviT_PT9_S7_lS9_S7_lPT10_S7_li,"axG",@progbits,_ZL37rocblas_syrkx_herkx_restricted_kernelIl19rocblas_complex_numIdELi16ELi32ELi8ELin1ELi0ELb0ELc84ELc76EKPKS1_KPS1_EviT_PT9_S7_lS9_S7_lPT10_S7_li,comdat
	.globl	_ZL37rocblas_syrkx_herkx_restricted_kernelIl19rocblas_complex_numIdELi16ELi32ELi8ELin1ELi0ELb0ELc84ELc76EKPKS1_KPS1_EviT_PT9_S7_lS9_S7_lPT10_S7_li ; -- Begin function _ZL37rocblas_syrkx_herkx_restricted_kernelIl19rocblas_complex_numIdELi16ELi32ELi8ELin1ELi0ELb0ELc84ELc76EKPKS1_KPS1_EviT_PT9_S7_lS9_S7_lPT10_S7_li
	.p2align	8
	.type	_ZL37rocblas_syrkx_herkx_restricted_kernelIl19rocblas_complex_numIdELi16ELi32ELi8ELin1ELi0ELb0ELc84ELc76EKPKS1_KPS1_EviT_PT9_S7_lS9_S7_lPT10_S7_li,@function
_ZL37rocblas_syrkx_herkx_restricted_kernelIl19rocblas_complex_numIdELi16ELi32ELi8ELin1ELi0ELb0ELc84ELc76EKPKS1_KPS1_EviT_PT9_S7_lS9_S7_lPT10_S7_li: ; @_ZL37rocblas_syrkx_herkx_restricted_kernelIl19rocblas_complex_numIdELi16ELi32ELi8ELin1ELi0ELb0ELc84ELc76EKPKS1_KPS1_EviT_PT9_S7_lS9_S7_lPT10_S7_li
; %bb.0:
	s_clause 0x1
	s_load_b128 s[4:7], s[0:1], 0x40
	s_load_b128 s[8:11], s[0:1], 0x8
	s_mov_b32 s2, s15
	s_mov_b32 s3, 0
	v_mov_b32_e32 v12, 0
	s_lshl_b64 s[16:17], s[2:3], 3
	v_dual_mov_b32 v13, 0 :: v_dual_and_b32 v20, 0x3ff, v0
	v_bfe_u32 v21, v0, 10, 10
	s_delay_alu instid0(VALU_DEP_3) | instskip(NEXT) | instid1(VALU_DEP_3)
	v_mov_b32_e32 v8, v12
	v_dual_mov_b32 v10, v12 :: v_dual_mov_b32 v11, v13
	v_dual_mov_b32 v15, v13 :: v_dual_mov_b32 v14, v12
	;; [unrolled: 1-line block ×5, first 2 shown]
	v_mov_b32_e32 v1, v13
	s_waitcnt lgkmcnt(0)
	s_add_u32 s2, s4, s16
	s_addc_u32 s3, s5, s17
	v_cmp_lt_i64_e64 s4, s[8:9], 1
	s_load_b64 s[2:3], s[2:3], 0x0
	v_dual_mov_b32 v2, v12 :: v_dual_mov_b32 v3, v13
	s_lshl_b32 s18, s13, 5
	s_lshl_b32 s19, s14, 5
	s_delay_alu instid0(VALU_DEP_2)
	s_and_b32 vcc_lo, exec_lo, s4
	s_cbranch_vccnz .LBB1637_3
; %bb.1:
	s_clause 0x1
	s_load_b128 s[12:15], s[0:1], 0x28
	s_load_b64 s[4:5], s[0:1], 0x18
	v_lshl_add_u32 v2, v21, 4, v20
	v_dual_mov_b32 v1, 0 :: v_dual_and_b32 v0, 7, v20
	s_add_u32 s10, s10, s16
	s_addc_u32 s11, s11, s17
	s_delay_alu instid0(VALU_DEP_2)
	v_lshrrev_b32_e32 v8, 3, v2
	v_and_b32_e32 v9, 31, v2
	v_lshrrev_b32_e32 v2, 5, v2
	v_mov_b32_e32 v3, v1
	s_load_b64 s[10:11], s[10:11], 0x0
	v_add_nc_u32_e32 v10, s19, v8
	v_add_nc_u32_e32 v6, s18, v9
	v_lshl_add_u32 v23, v21, 7, 0x1000
	s_delay_alu instid0(VALU_DEP_3) | instskip(NEXT) | instid1(VALU_DEP_3)
	v_ashrrev_i32_e32 v4, 31, v10
	v_ashrrev_i32_e32 v5, 31, v6
	s_waitcnt lgkmcnt(0)
	s_add_u32 s12, s12, s16
	s_addc_u32 s13, s13, s17
	v_mul_lo_u32 v11, v4, s14
	v_mul_lo_u32 v12, s4, v5
	v_mad_u64_u32 v[4:5], null, s4, v6, v[2:3]
	v_mul_lo_u32 v3, s5, v6
	s_load_b64 s[4:5], s[12:13], 0x0
	v_mul_lo_u32 v13, v10, s15
	v_mad_u64_u32 v[6:7], null, v10, s14, v[0:1]
	v_lshlrev_b32_e32 v0, 4, v0
	s_delay_alu instid0(VALU_DEP_4) | instskip(SKIP_1) | instid1(VALU_DEP_3)
	v_add3_u32 v5, v3, v5, v12
	v_lshlrev_b32_e32 v3, 4, v9
	v_lshl_or_b32 v8, v8, 7, v0
	v_add3_u32 v7, v11, v7, v13
	s_delay_alu instid0(VALU_DEP_4) | instskip(NEXT) | instid1(VALU_DEP_4)
	v_lshlrev_b64 v[0:1], 4, v[4:5]
	v_lshl_or_b32 v24, v2, 9, v3
	s_delay_alu instid0(VALU_DEP_3) | instskip(NEXT) | instid1(VALU_DEP_3)
	v_lshlrev_b64 v[2:3], 4, v[6:7]
	v_add_co_u32 v0, vcc_lo, v0, s10
	s_delay_alu instid0(VALU_DEP_4) | instskip(SKIP_1) | instid1(VALU_DEP_3)
	v_add_co_ci_u32_e32 v1, vcc_lo, s11, v1, vcc_lo
	s_waitcnt lgkmcnt(0)
	v_add_co_u32 v4, vcc_lo, v2, s4
	s_delay_alu instid0(VALU_DEP_4)
	v_add_co_ci_u32_e32 v5, vcc_lo, s5, v3, vcc_lo
	v_mov_b32_e32 v2, 0
	v_mov_b32_e32 v3, 0
	v_add_co_u32 v16, vcc_lo, v0, 8
	v_add_co_ci_u32_e32 v17, vcc_lo, 0, v1, vcc_lo
	v_add_co_u32 v18, vcc_lo, v4, 8
	s_delay_alu instid0(VALU_DEP_4)
	v_dual_mov_b32 v7, v3 :: v_dual_lshlrev_b32 v22, 4, v20
	v_add_co_ci_u32_e32 v19, vcc_lo, 0, v5, vcc_lo
	v_dual_mov_b32 v6, v2 :: v_dual_mov_b32 v5, v3
	v_dual_mov_b32 v4, v2 :: v_dual_mov_b32 v11, v3
	v_dual_mov_b32 v0, v2 :: v_dual_add_nc_u32 v25, 0x1000, v8
	v_dual_mov_b32 v10, v2 :: v_dual_mov_b32 v9, v3
	v_dual_mov_b32 v8, v2 :: v_dual_mov_b32 v15, v3
	;; [unrolled: 1-line block ×4, first 2 shown]
	s_mov_b64 s[4:5], 0
.LBB1637_2:                             ; =>This Inner Loop Header: Depth=1
	global_load_b128 v[26:29], v[16:17], off offset:-8
	global_load_b128 v[30:33], v[18:19], off offset:-8
	s_add_u32 s4, s4, 8
	v_add_co_u32 v16, vcc_lo, 0x80, v16
	s_addc_u32 s5, s5, 0
	v_add_co_ci_u32_e32 v17, vcc_lo, 0, v17, vcc_lo
	v_cmp_ge_u64_e64 s10, s[4:5], s[8:9]
	v_add_co_u32 v18, vcc_lo, 0x80, v18
	v_add_co_ci_u32_e32 v19, vcc_lo, 0, v19, vcc_lo
	s_waitcnt vmcnt(1)
	ds_store_b128 v24, v[26:29]
	s_waitcnt vmcnt(0)
	ds_store_b128 v25, v[30:33]
	s_waitcnt lgkmcnt(0)
	s_barrier
	buffer_gl0_inv
	ds_load_b128 v[26:29], v23
	ds_load_b128 v[30:33], v22
	ds_load_b128 v[34:37], v22 offset:256
	ds_load_b128 v[38:41], v23 offset:2048
	;; [unrolled: 1-line block ×13, first 2 shown]
	s_and_b32 vcc_lo, exec_lo, s10
	s_waitcnt lgkmcnt(13)
	v_mul_f64 v[86:87], v[28:29], v[32:33]
	v_mul_f64 v[88:89], v[26:27], v[32:33]
	s_waitcnt lgkmcnt(12)
	v_mul_f64 v[90:91], v[28:29], v[36:37]
	v_mul_f64 v[92:93], v[26:27], v[36:37]
	;; [unrolled: 3-line block ×3, first 2 shown]
	v_mul_f64 v[96:97], v[40:41], v[36:37]
	v_mul_f64 v[36:37], v[38:39], v[36:37]
	s_waitcnt lgkmcnt(8)
	v_mul_f64 v[98:99], v[44:45], v[52:53]
	v_mul_f64 v[100:101], v[42:43], v[52:53]
	s_waitcnt lgkmcnt(7)
	v_mul_f64 v[102:103], v[44:45], v[56:57]
	v_mul_f64 v[104:105], v[42:43], v[56:57]
	;; [unrolled: 1-line block ×6, first 2 shown]
	s_waitcnt lgkmcnt(3)
	v_mul_f64 v[112:113], v[58:59], v[72:73]
	s_waitcnt lgkmcnt(2)
	v_mul_f64 v[114:115], v[76:77], v[68:69]
	v_mul_f64 v[116:117], v[76:77], v[72:73]
	v_fma_f64 v[86:87], v[26:27], v[30:31], -v[86:87]
	v_fma_f64 v[88:89], v[28:29], v[30:31], v[88:89]
	v_fma_f64 v[90:91], v[26:27], v[34:35], -v[90:91]
	v_fma_f64 v[92:93], v[28:29], v[34:35], v[92:93]
	;; [unrolled: 2-line block ×4, first 2 shown]
	v_mul_f64 v[36:37], v[60:61], v[68:69]
	v_mul_f64 v[40:41], v[58:59], v[68:69]
	;; [unrolled: 1-line block ×5, first 2 shown]
	v_fma_f64 v[98:99], v[42:43], v[50:51], -v[98:99]
	v_fma_f64 v[100:101], v[44:45], v[50:51], v[100:101]
	v_fma_f64 v[42:43], v[42:43], v[54:55], -v[102:103]
	v_fma_f64 v[44:45], v[44:45], v[54:55], v[104:105]
	;; [unrolled: 2-line block ×4, first 2 shown]
	ds_load_b128 v[26:29], v22 offset:1792
	ds_load_b128 v[30:33], v22 offset:2048
	s_waitcnt lgkmcnt(2)
	v_mul_f64 v[56:57], v[64:65], v[84:85]
	v_add_f64 v[12:13], v[12:13], v[86:87]
	v_add_f64 v[14:15], v[14:15], v[88:89]
	;; [unrolled: 1-line block ×8, first 2 shown]
	v_mul_f64 v[86:87], v[62:63], v[84:85]
	s_waitcnt lgkmcnt(1)
	v_mul_f64 v[88:89], v[64:65], v[28:29]
	v_mul_f64 v[90:91], v[62:63], v[28:29]
	;; [unrolled: 1-line block ×6, first 2 shown]
	v_fma_f64 v[104:105], v[58:59], v[66:67], -v[36:37]
	v_fma_f64 v[106:107], v[60:61], v[66:67], v[40:41]
	v_fma_f64 v[58:59], v[58:59], v[70:71], -v[96:97]
	v_fma_f64 v[60:61], v[60:61], v[70:71], v[112:113]
	;; [unrolled: 2-line block ×4, first 2 shown]
	ds_load_b128 v[0:3], v22 offset:2304
	ds_load_b128 v[4:7], v23 offset:64
	v_fma_f64 v[56:57], v[62:63], v[82:83], -v[56:57]
	v_add_f64 v[72:73], v[12:13], v[98:99]
	v_add_f64 v[74:75], v[14:15], v[100:101]
	;; [unrolled: 1-line block ×8, first 2 shown]
	ds_load_b128 v[8:11], v23 offset:2112
	ds_load_b128 v[12:15], v23 offset:80
	;; [unrolled: 1-line block ×4, first 2 shown]
	s_waitcnt lgkmcnt(4)
	v_mul_f64 v[54:55], v[6:7], v[32:33]
	v_mul_f64 v[76:77], v[4:5], v[32:33]
	;; [unrolled: 1-line block ×4, first 2 shown]
	v_fma_f64 v[86:87], v[64:65], v[82:83], v[86:87]
	v_fma_f64 v[62:63], v[62:63], v[26:27], -v[88:89]
	v_fma_f64 v[64:65], v[64:65], v[26:27], v[90:91]
	v_fma_f64 v[88:89], v[78:79], v[82:83], -v[92:93]
	;; [unrolled: 2-line block ×3, first 2 shown]
	v_fma_f64 v[80:81], v[80:81], v[26:27], v[28:29]
	s_waitcnt lgkmcnt(3)
	v_mul_f64 v[102:103], v[10:11], v[32:33]
	v_mul_f64 v[32:33], v[8:9], v[32:33]
	;; [unrolled: 1-line block ×4, first 2 shown]
	s_waitcnt lgkmcnt(0)
	v_mul_f64 v[90:91], v[14:15], v[40:41]
	v_mul_f64 v[92:93], v[12:13], v[40:41]
	v_add_f64 v[72:73], v[72:73], v[104:105]
	v_add_f64 v[74:75], v[74:75], v[106:107]
	v_add_f64 v[58:59], v[42:43], v[58:59]
	v_add_f64 v[60:61], v[44:45], v[60:61]
	v_add_f64 v[84:85], v[52:53], v[96:97]
	v_add_f64 v[66:67], v[50:51], v[66:67]
	v_add_f64 v[68:69], v[46:47], v[68:69]
	v_add_f64 v[70:71], v[48:49], v[70:71]
	ds_load_b128 v[26:29], v22 offset:2816
	ds_load_b128 v[42:45], v22 offset:3072
	;; [unrolled: 1-line block ×4, first 2 shown]
	v_mul_f64 v[104:105], v[36:37], v[40:41]
	v_mul_f64 v[40:41], v[34:35], v[40:41]
	v_fma_f64 v[54:55], v[4:5], v[30:31], -v[54:55]
	v_fma_f64 v[76:77], v[6:7], v[30:31], v[76:77]
	v_fma_f64 v[98:99], v[4:5], v[0:1], -v[98:99]
	v_fma_f64 v[100:101], v[6:7], v[0:1], v[100:101]
	s_waitcnt lgkmcnt(3)
	v_mul_f64 v[94:95], v[14:15], v[28:29]
	v_mul_f64 v[96:97], v[12:13], v[28:29]
	v_mul_f64 v[106:107], v[36:37], v[28:29]
	v_mul_f64 v[110:111], v[34:35], v[28:29]
	v_fma_f64 v[102:103], v[8:9], v[30:31], -v[102:103]
	v_fma_f64 v[32:33], v[10:11], v[30:31], v[32:33]
	v_fma_f64 v[108:109], v[8:9], v[0:1], -v[108:109]
	v_fma_f64 v[112:113], v[10:11], v[0:1], v[2:3]
	ds_load_b128 v[0:3], v23 offset:2144
	ds_load_b128 v[4:7], v23 offset:112
	ds_load_b128 v[8:11], v23 offset:2160
	ds_load_b128 v[28:31], v22 offset:3584
	v_add_f64 v[56:57], v[72:73], v[56:57]
	v_add_f64 v[72:73], v[74:75], v[86:87]
	;; [unrolled: 1-line block ×8, first 2 shown]
	s_waitcnt lgkmcnt(4)
	v_mul_f64 v[70:71], v[52:53], v[44:45]
	v_mul_f64 v[74:75], v[50:51], v[44:45]
	;; [unrolled: 1-line block ×4, first 2 shown]
	s_waitcnt lgkmcnt(3)
	v_mul_f64 v[82:83], v[2:3], v[44:45]
	v_mul_f64 v[44:45], v[0:1], v[44:45]
	;; [unrolled: 1-line block ×4, first 2 shown]
	v_fma_f64 v[86:87], v[12:13], v[38:39], -v[90:91]
	v_fma_f64 v[88:89], v[14:15], v[38:39], v[92:93]
	v_fma_f64 v[90:91], v[12:13], v[26:27], -v[94:95]
	v_fma_f64 v[92:93], v[14:15], v[26:27], v[96:97]
	;; [unrolled: 2-line block ×4, first 2 shown]
	ds_load_b128 v[12:15], v22 offset:3840
	s_waitcnt lgkmcnt(0)
	s_barrier
	buffer_gl0_inv
	v_add_f64 v[36:37], v[56:57], v[54:55]
	v_add_f64 v[40:41], v[72:73], v[76:77]
	v_add_f64 v[54:55], v[58:59], v[98:99]
	v_add_f64 v[56:57], v[60:61], v[100:101]
	v_add_f64 v[58:59], v[62:63], v[102:103]
	v_add_f64 v[32:33], v[64:65], v[32:33]
	v_add_f64 v[60:61], v[66:67], v[108:109]
	v_add_f64 v[62:63], v[68:69], v[112:113]
	v_mul_f64 v[64:65], v[6:7], v[30:31]
	v_mul_f64 v[66:67], v[4:5], v[30:31]
	;; [unrolled: 1-line block ×4, first 2 shown]
	v_fma_f64 v[70:71], v[50:51], v[42:43], -v[70:71]
	v_mul_f64 v[68:69], v[6:7], v[14:15]
	v_mul_f64 v[72:73], v[4:5], v[14:15]
	;; [unrolled: 1-line block ×4, first 2 shown]
	v_fma_f64 v[74:75], v[52:53], v[42:43], v[74:75]
	v_fma_f64 v[50:51], v[50:51], v[46:47], -v[78:79]
	v_fma_f64 v[52:53], v[52:53], v[46:47], v[80:81]
	v_fma_f64 v[78:79], v[0:1], v[42:43], -v[82:83]
	;; [unrolled: 2-line block ×3, first 2 shown]
	v_fma_f64 v[2:3], v[2:3], v[46:47], v[48:49]
	v_add_f64 v[36:37], v[36:37], v[86:87]
	v_add_f64 v[40:41], v[40:41], v[88:89]
	;; [unrolled: 1-line block ×8, first 2 shown]
	v_fma_f64 v[38:39], v[4:5], v[28:29], -v[64:65]
	v_fma_f64 v[54:55], v[6:7], v[28:29], v[66:67]
	v_fma_f64 v[56:57], v[8:9], v[28:29], -v[76:77]
	v_fma_f64 v[28:29], v[10:11], v[28:29], v[30:31]
	;; [unrolled: 2-line block ×4, first 2 shown]
	v_add_f64 v[8:9], v[36:37], v[70:71]
	v_add_f64 v[10:11], v[40:41], v[74:75]
	;; [unrolled: 1-line block ×16, first 2 shown]
	s_cbranch_vccz .LBB1637_2
.LBB1637_3:
	v_add_nc_u32_e32 v18, s19, v21
	s_load_b32 s4, s[0:1], 0x0
	s_delay_alu instid0(VALU_DEP_1) | instskip(SKIP_2) | instid1(VALU_DEP_3)
	v_ashrrev_i32_e32 v16, 31, v18
	v_mul_lo_u32 v17, v18, s7
	v_mad_u64_u32 v[21:22], null, v18, s6, 0
	v_mul_lo_u32 v16, v16, s6
	s_delay_alu instid0(VALU_DEP_1) | instskip(SKIP_1) | instid1(VALU_DEP_2)
	v_add3_u32 v22, v22, v17, v16
	v_add_nc_u32_e32 v16, s18, v20
	v_lshlrev_b64 v[19:20], 4, v[21:22]
	s_delay_alu instid0(VALU_DEP_2) | instskip(SKIP_2) | instid1(VALU_DEP_3)
	v_cmp_le_i32_e64 s0, v18, v16
	s_waitcnt lgkmcnt(0)
	v_cmp_gt_i32_e32 vcc_lo, s4, v16
	v_add_co_u32 v19, s1, s2, v19
	s_delay_alu instid0(VALU_DEP_1) | instskip(SKIP_1) | instid1(SALU_CYCLE_1)
	v_add_co_ci_u32_e64 v20, s1, s3, v20, s1
	s_and_b32 s0, s0, vcc_lo
	s_and_saveexec_b32 s1, s0
	s_cbranch_execz .LBB1637_5
; %bb.4:
	v_ashrrev_i32_e32 v17, 31, v16
	v_xor_b32_e32 v13, 0x80000000, v13
	v_xor_b32_e32 v15, 0x80000000, v15
	s_delay_alu instid0(VALU_DEP_3) | instskip(NEXT) | instid1(VALU_DEP_1)
	v_lshlrev_b64 v[21:22], 4, v[16:17]
	v_add_co_u32 v21, s0, v19, v21
	s_delay_alu instid0(VALU_DEP_1)
	v_add_co_ci_u32_e64 v22, s0, v20, v22, s0
	global_store_b128 v[21:22], v[12:15], off
.LBB1637_5:
	s_or_b32 exec_lo, exec_lo, s1
	v_add_nc_u32_e32 v12, 16, v16
	s_delay_alu instid0(VALU_DEP_1) | instskip(SKIP_1) | instid1(VALU_DEP_1)
	v_cmp_le_i32_e64 s1, v18, v12
	v_cmp_gt_i32_e64 s0, s4, v12
	s_and_b32 s1, s1, s0
	s_delay_alu instid0(SALU_CYCLE_1)
	s_and_saveexec_b32 s4, s1
	s_cbranch_execz .LBB1637_7
; %bb.6:
	v_ashrrev_i32_e32 v13, 31, v12
	v_xor_b32_e32 v9, 0x80000000, v9
	v_xor_b32_e32 v11, 0x80000000, v11
	s_delay_alu instid0(VALU_DEP_3) | instskip(NEXT) | instid1(VALU_DEP_1)
	v_lshlrev_b64 v[13:14], 4, v[12:13]
	v_add_co_u32 v13, s1, v19, v13
	s_delay_alu instid0(VALU_DEP_1)
	v_add_co_ci_u32_e64 v14, s1, v20, v14, s1
	global_store_b128 v[13:14], v[8:11], off
.LBB1637_7:
	s_or_b32 exec_lo, exec_lo, s4
	v_add_nc_u32_e32 v10, 16, v18
	s_delay_alu instid0(VALU_DEP_1) | instskip(SKIP_3) | instid1(VALU_DEP_4)
	v_ashrrev_i32_e32 v11, 31, v10
	v_mul_lo_u32 v13, v10, s7
	v_mad_u64_u32 v[8:9], null, v10, s6, 0
	v_cmp_le_i32_e64 s1, v10, v16
	v_mul_lo_u32 v11, v11, s6
	s_delay_alu instid0(VALU_DEP_1) | instskip(NEXT) | instid1(VALU_DEP_1)
	v_add3_u32 v9, v9, v13, v11
	v_lshlrev_b64 v[8:9], 4, v[8:9]
	s_delay_alu instid0(VALU_DEP_1) | instskip(NEXT) | instid1(VALU_DEP_1)
	v_add_co_u32 v8, s2, s2, v8
	v_add_co_ci_u32_e64 v9, s2, s3, v9, s2
	s_and_b32 s2, s1, vcc_lo
	s_delay_alu instid0(SALU_CYCLE_1)
	s_and_saveexec_b32 s1, s2
	s_cbranch_execz .LBB1637_9
; %bb.8:
	v_ashrrev_i32_e32 v17, 31, v16
	v_xor_b32_e32 v5, 0x80000000, v5
	v_xor_b32_e32 v7, 0x80000000, v7
	s_delay_alu instid0(VALU_DEP_3) | instskip(NEXT) | instid1(VALU_DEP_1)
	v_lshlrev_b64 v[13:14], 4, v[16:17]
	v_add_co_u32 v13, vcc_lo, v8, v13
	s_delay_alu instid0(VALU_DEP_2)
	v_add_co_ci_u32_e32 v14, vcc_lo, v9, v14, vcc_lo
	global_store_b128 v[13:14], v[4:7], off
.LBB1637_9:
	s_or_b32 exec_lo, exec_lo, s1
	v_cmp_le_i32_e32 vcc_lo, v10, v12
	s_and_b32 s0, vcc_lo, s0
	s_delay_alu instid0(SALU_CYCLE_1)
	s_and_saveexec_b32 s1, s0
	s_cbranch_execz .LBB1637_11
; %bb.10:
	v_ashrrev_i32_e32 v13, 31, v12
	v_xor_b32_e32 v1, 0x80000000, v1
	v_xor_b32_e32 v3, 0x80000000, v3
	s_delay_alu instid0(VALU_DEP_3) | instskip(NEXT) | instid1(VALU_DEP_1)
	v_lshlrev_b64 v[4:5], 4, v[12:13]
	v_add_co_u32 v4, vcc_lo, v8, v4
	s_delay_alu instid0(VALU_DEP_2)
	v_add_co_ci_u32_e32 v5, vcc_lo, v9, v5, vcc_lo
	global_store_b128 v[4:5], v[0:3], off
.LBB1637_11:
	s_nop 0
	s_sendmsg sendmsg(MSG_DEALLOC_VGPRS)
	s_endpgm
	.section	.rodata,"a",@progbits
	.p2align	6, 0x0
	.amdhsa_kernel _ZL37rocblas_syrkx_herkx_restricted_kernelIl19rocblas_complex_numIdELi16ELi32ELi8ELin1ELi0ELb0ELc84ELc76EKPKS1_KPS1_EviT_PT9_S7_lS9_S7_lPT10_S7_li
		.amdhsa_group_segment_fixed_size 8192
		.amdhsa_private_segment_fixed_size 0
		.amdhsa_kernarg_size 92
		.amdhsa_user_sgpr_count 13
		.amdhsa_user_sgpr_dispatch_ptr 0
		.amdhsa_user_sgpr_queue_ptr 0
		.amdhsa_user_sgpr_kernarg_segment_ptr 1
		.amdhsa_user_sgpr_dispatch_id 0
		.amdhsa_user_sgpr_private_segment_size 0
		.amdhsa_wavefront_size32 1
		.amdhsa_uses_dynamic_stack 0
		.amdhsa_enable_private_segment 0
		.amdhsa_system_sgpr_workgroup_id_x 1
		.amdhsa_system_sgpr_workgroup_id_y 1
		.amdhsa_system_sgpr_workgroup_id_z 1
		.amdhsa_system_sgpr_workgroup_info 0
		.amdhsa_system_vgpr_workitem_id 1
		.amdhsa_next_free_vgpr 118
		.amdhsa_next_free_sgpr 20
		.amdhsa_reserve_vcc 1
		.amdhsa_float_round_mode_32 0
		.amdhsa_float_round_mode_16_64 0
		.amdhsa_float_denorm_mode_32 3
		.amdhsa_float_denorm_mode_16_64 3
		.amdhsa_dx10_clamp 1
		.amdhsa_ieee_mode 1
		.amdhsa_fp16_overflow 0
		.amdhsa_workgroup_processor_mode 1
		.amdhsa_memory_ordered 1
		.amdhsa_forward_progress 0
		.amdhsa_shared_vgpr_count 0
		.amdhsa_exception_fp_ieee_invalid_op 0
		.amdhsa_exception_fp_denorm_src 0
		.amdhsa_exception_fp_ieee_div_zero 0
		.amdhsa_exception_fp_ieee_overflow 0
		.amdhsa_exception_fp_ieee_underflow 0
		.amdhsa_exception_fp_ieee_inexact 0
		.amdhsa_exception_int_div_zero 0
	.end_amdhsa_kernel
	.section	.text._ZL37rocblas_syrkx_herkx_restricted_kernelIl19rocblas_complex_numIdELi16ELi32ELi8ELin1ELi0ELb0ELc84ELc76EKPKS1_KPS1_EviT_PT9_S7_lS9_S7_lPT10_S7_li,"axG",@progbits,_ZL37rocblas_syrkx_herkx_restricted_kernelIl19rocblas_complex_numIdELi16ELi32ELi8ELin1ELi0ELb0ELc84ELc76EKPKS1_KPS1_EviT_PT9_S7_lS9_S7_lPT10_S7_li,comdat
.Lfunc_end1637:
	.size	_ZL37rocblas_syrkx_herkx_restricted_kernelIl19rocblas_complex_numIdELi16ELi32ELi8ELin1ELi0ELb0ELc84ELc76EKPKS1_KPS1_EviT_PT9_S7_lS9_S7_lPT10_S7_li, .Lfunc_end1637-_ZL37rocblas_syrkx_herkx_restricted_kernelIl19rocblas_complex_numIdELi16ELi32ELi8ELin1ELi0ELb0ELc84ELc76EKPKS1_KPS1_EviT_PT9_S7_lS9_S7_lPT10_S7_li
                                        ; -- End function
	.section	.AMDGPU.csdata,"",@progbits
; Kernel info:
; codeLenInByte = 3064
; NumSgprs: 22
; NumVgprs: 118
; ScratchSize: 0
; MemoryBound: 0
; FloatMode: 240
; IeeeMode: 1
; LDSByteSize: 8192 bytes/workgroup (compile time only)
; SGPRBlocks: 2
; VGPRBlocks: 14
; NumSGPRsForWavesPerEU: 22
; NumVGPRsForWavesPerEU: 118
; Occupancy: 12
; WaveLimiterHint : 1
; COMPUTE_PGM_RSRC2:SCRATCH_EN: 0
; COMPUTE_PGM_RSRC2:USER_SGPR: 13
; COMPUTE_PGM_RSRC2:TRAP_HANDLER: 0
; COMPUTE_PGM_RSRC2:TGID_X_EN: 1
; COMPUTE_PGM_RSRC2:TGID_Y_EN: 1
; COMPUTE_PGM_RSRC2:TGID_Z_EN: 1
; COMPUTE_PGM_RSRC2:TIDIG_COMP_CNT: 1
	.section	.text._ZL37rocblas_syrkx_herkx_restricted_kernelIl19rocblas_complex_numIdELi16ELi32ELi8ELin1ELi0ELb0ELc67ELc76EKPKS1_KPS1_EviT_PT9_S7_lS9_S7_lPT10_S7_li,"axG",@progbits,_ZL37rocblas_syrkx_herkx_restricted_kernelIl19rocblas_complex_numIdELi16ELi32ELi8ELin1ELi0ELb0ELc67ELc76EKPKS1_KPS1_EviT_PT9_S7_lS9_S7_lPT10_S7_li,comdat
	.globl	_ZL37rocblas_syrkx_herkx_restricted_kernelIl19rocblas_complex_numIdELi16ELi32ELi8ELin1ELi0ELb0ELc67ELc76EKPKS1_KPS1_EviT_PT9_S7_lS9_S7_lPT10_S7_li ; -- Begin function _ZL37rocblas_syrkx_herkx_restricted_kernelIl19rocblas_complex_numIdELi16ELi32ELi8ELin1ELi0ELb0ELc67ELc76EKPKS1_KPS1_EviT_PT9_S7_lS9_S7_lPT10_S7_li
	.p2align	8
	.type	_ZL37rocblas_syrkx_herkx_restricted_kernelIl19rocblas_complex_numIdELi16ELi32ELi8ELin1ELi0ELb0ELc67ELc76EKPKS1_KPS1_EviT_PT9_S7_lS9_S7_lPT10_S7_li,@function
_ZL37rocblas_syrkx_herkx_restricted_kernelIl19rocblas_complex_numIdELi16ELi32ELi8ELin1ELi0ELb0ELc67ELc76EKPKS1_KPS1_EviT_PT9_S7_lS9_S7_lPT10_S7_li: ; @_ZL37rocblas_syrkx_herkx_restricted_kernelIl19rocblas_complex_numIdELi16ELi32ELi8ELin1ELi0ELb0ELc67ELc76EKPKS1_KPS1_EviT_PT9_S7_lS9_S7_lPT10_S7_li
; %bb.0:
	s_clause 0x1
	s_load_b128 s[4:7], s[0:1], 0x40
	s_load_b128 s[8:11], s[0:1], 0x8
	s_mov_b32 s2, s15
	s_mov_b32 s3, 0
	v_mov_b32_e32 v12, 0
	s_lshl_b64 s[16:17], s[2:3], 3
	v_dual_mov_b32 v13, 0 :: v_dual_and_b32 v20, 0x3ff, v0
	v_bfe_u32 v21, v0, 10, 10
	s_delay_alu instid0(VALU_DEP_3) | instskip(NEXT) | instid1(VALU_DEP_3)
	v_mov_b32_e32 v8, v12
	v_dual_mov_b32 v10, v12 :: v_dual_mov_b32 v11, v13
	v_dual_mov_b32 v15, v13 :: v_dual_mov_b32 v14, v12
	;; [unrolled: 1-line block ×5, first 2 shown]
	v_mov_b32_e32 v1, v13
	s_waitcnt lgkmcnt(0)
	s_add_u32 s2, s4, s16
	s_addc_u32 s3, s5, s17
	v_cmp_lt_i64_e64 s4, s[8:9], 1
	s_load_b64 s[2:3], s[2:3], 0x0
	v_dual_mov_b32 v2, v12 :: v_dual_mov_b32 v3, v13
	s_lshl_b32 s18, s13, 5
	s_lshl_b32 s19, s14, 5
	s_delay_alu instid0(VALU_DEP_2)
	s_and_b32 vcc_lo, exec_lo, s4
	s_cbranch_vccnz .LBB1638_3
; %bb.1:
	s_clause 0x1
	s_load_b128 s[12:15], s[0:1], 0x28
	s_load_b64 s[4:5], s[0:1], 0x18
	v_lshl_add_u32 v2, v21, 4, v20
	v_dual_mov_b32 v1, 0 :: v_dual_and_b32 v0, 7, v20
	s_add_u32 s10, s10, s16
	s_addc_u32 s11, s11, s17
	s_delay_alu instid0(VALU_DEP_2)
	v_lshrrev_b32_e32 v8, 3, v2
	v_and_b32_e32 v9, 31, v2
	v_lshrrev_b32_e32 v2, 5, v2
	v_mov_b32_e32 v3, v1
	s_load_b64 s[10:11], s[10:11], 0x0
	v_add_nc_u32_e32 v10, s19, v8
	v_add_nc_u32_e32 v6, s18, v9
	v_lshl_add_u32 v23, v21, 7, 0x1000
	s_delay_alu instid0(VALU_DEP_3) | instskip(NEXT) | instid1(VALU_DEP_3)
	v_ashrrev_i32_e32 v4, 31, v10
	v_ashrrev_i32_e32 v5, 31, v6
	s_waitcnt lgkmcnt(0)
	s_add_u32 s12, s12, s16
	s_addc_u32 s13, s13, s17
	v_mul_lo_u32 v11, v4, s14
	v_mul_lo_u32 v12, s4, v5
	v_mad_u64_u32 v[4:5], null, s4, v6, v[2:3]
	v_mul_lo_u32 v3, s5, v6
	s_load_b64 s[4:5], s[12:13], 0x0
	v_mul_lo_u32 v13, v10, s15
	v_mad_u64_u32 v[6:7], null, v10, s14, v[0:1]
	v_lshlrev_b32_e32 v0, 4, v0
	s_delay_alu instid0(VALU_DEP_4) | instskip(SKIP_1) | instid1(VALU_DEP_3)
	v_add3_u32 v5, v3, v5, v12
	v_lshlrev_b32_e32 v3, 4, v9
	v_lshl_or_b32 v8, v8, 7, v0
	v_add3_u32 v7, v11, v7, v13
	s_delay_alu instid0(VALU_DEP_4) | instskip(NEXT) | instid1(VALU_DEP_4)
	v_lshlrev_b64 v[0:1], 4, v[4:5]
	v_lshl_or_b32 v24, v2, 9, v3
	s_delay_alu instid0(VALU_DEP_3) | instskip(NEXT) | instid1(VALU_DEP_3)
	v_lshlrev_b64 v[2:3], 4, v[6:7]
	v_add_co_u32 v0, vcc_lo, v0, s10
	s_delay_alu instid0(VALU_DEP_4) | instskip(SKIP_1) | instid1(VALU_DEP_3)
	v_add_co_ci_u32_e32 v1, vcc_lo, s11, v1, vcc_lo
	s_waitcnt lgkmcnt(0)
	v_add_co_u32 v4, vcc_lo, v2, s4
	s_delay_alu instid0(VALU_DEP_4)
	v_add_co_ci_u32_e32 v5, vcc_lo, s5, v3, vcc_lo
	v_mov_b32_e32 v2, 0
	v_mov_b32_e32 v3, 0
	v_add_co_u32 v16, vcc_lo, v0, 8
	v_add_co_ci_u32_e32 v17, vcc_lo, 0, v1, vcc_lo
	v_add_co_u32 v18, vcc_lo, v4, 8
	s_delay_alu instid0(VALU_DEP_4)
	v_dual_mov_b32 v7, v3 :: v_dual_lshlrev_b32 v22, 4, v20
	v_add_co_ci_u32_e32 v19, vcc_lo, 0, v5, vcc_lo
	v_dual_mov_b32 v6, v2 :: v_dual_mov_b32 v5, v3
	v_dual_mov_b32 v4, v2 :: v_dual_mov_b32 v11, v3
	v_dual_mov_b32 v0, v2 :: v_dual_add_nc_u32 v25, 0x1000, v8
	v_dual_mov_b32 v10, v2 :: v_dual_mov_b32 v9, v3
	v_dual_mov_b32 v8, v2 :: v_dual_mov_b32 v15, v3
	;; [unrolled: 1-line block ×4, first 2 shown]
	s_mov_b64 s[4:5], 0
.LBB1638_2:                             ; =>This Inner Loop Header: Depth=1
	global_load_b128 v[26:29], v[16:17], off offset:-8
	global_load_b128 v[30:33], v[18:19], off offset:-8
	s_add_u32 s4, s4, 8
	v_add_co_u32 v16, vcc_lo, 0x80, v16
	s_addc_u32 s5, s5, 0
	v_add_co_ci_u32_e32 v17, vcc_lo, 0, v17, vcc_lo
	v_cmp_ge_u64_e64 s10, s[4:5], s[8:9]
	v_add_co_u32 v18, vcc_lo, 0x80, v18
	v_add_co_ci_u32_e32 v19, vcc_lo, 0, v19, vcc_lo
	s_waitcnt vmcnt(1)
	ds_store_b128 v24, v[26:29]
	s_waitcnt vmcnt(0)
	ds_store_b128 v25, v[30:33]
	s_waitcnt lgkmcnt(0)
	s_barrier
	buffer_gl0_inv
	ds_load_b128 v[26:29], v23
	ds_load_b128 v[30:33], v22
	ds_load_b128 v[34:37], v22 offset:256
	ds_load_b128 v[38:41], v23 offset:2048
	;; [unrolled: 1-line block ×13, first 2 shown]
	s_and_b32 vcc_lo, exec_lo, s10
	s_waitcnt lgkmcnt(13)
	v_mul_f64 v[86:87], v[28:29], v[32:33]
	v_mul_f64 v[88:89], v[26:27], v[32:33]
	s_waitcnt lgkmcnt(12)
	v_mul_f64 v[90:91], v[28:29], v[36:37]
	v_mul_f64 v[92:93], v[26:27], v[36:37]
	;; [unrolled: 3-line block ×3, first 2 shown]
	v_mul_f64 v[96:97], v[40:41], v[36:37]
	v_mul_f64 v[36:37], v[38:39], v[36:37]
	s_waitcnt lgkmcnt(8)
	v_mul_f64 v[98:99], v[44:45], v[52:53]
	v_mul_f64 v[100:101], v[42:43], v[52:53]
	s_waitcnt lgkmcnt(7)
	v_mul_f64 v[102:103], v[44:45], v[56:57]
	v_mul_f64 v[104:105], v[42:43], v[56:57]
	;; [unrolled: 1-line block ×6, first 2 shown]
	s_waitcnt lgkmcnt(3)
	v_mul_f64 v[112:113], v[58:59], v[72:73]
	s_waitcnt lgkmcnt(2)
	v_mul_f64 v[114:115], v[76:77], v[68:69]
	v_mul_f64 v[116:117], v[76:77], v[72:73]
	v_fma_f64 v[86:87], v[26:27], v[30:31], -v[86:87]
	v_fma_f64 v[88:89], v[28:29], v[30:31], v[88:89]
	v_fma_f64 v[90:91], v[26:27], v[34:35], -v[90:91]
	v_fma_f64 v[92:93], v[28:29], v[34:35], v[92:93]
	v_fma_f64 v[94:95], v[38:39], v[30:31], -v[94:95]
	v_fma_f64 v[110:111], v[40:41], v[30:31], v[32:33]
	v_fma_f64 v[38:39], v[38:39], v[34:35], -v[96:97]
	v_fma_f64 v[34:35], v[40:41], v[34:35], v[36:37]
	v_mul_f64 v[36:37], v[60:61], v[68:69]
	v_mul_f64 v[40:41], v[58:59], v[68:69]
	;; [unrolled: 1-line block ×5, first 2 shown]
	v_fma_f64 v[98:99], v[42:43], v[50:51], -v[98:99]
	v_fma_f64 v[100:101], v[44:45], v[50:51], v[100:101]
	v_fma_f64 v[42:43], v[42:43], v[54:55], -v[102:103]
	v_fma_f64 v[44:45], v[44:45], v[54:55], v[104:105]
	;; [unrolled: 2-line block ×4, first 2 shown]
	ds_load_b128 v[26:29], v22 offset:1792
	ds_load_b128 v[30:33], v22 offset:2048
	s_waitcnt lgkmcnt(2)
	v_mul_f64 v[56:57], v[64:65], v[84:85]
	v_add_f64 v[12:13], v[12:13], v[86:87]
	v_add_f64 v[14:15], v[14:15], v[88:89]
	;; [unrolled: 1-line block ×8, first 2 shown]
	v_mul_f64 v[86:87], v[62:63], v[84:85]
	s_waitcnt lgkmcnt(1)
	v_mul_f64 v[88:89], v[64:65], v[28:29]
	v_mul_f64 v[90:91], v[62:63], v[28:29]
	;; [unrolled: 1-line block ×6, first 2 shown]
	v_fma_f64 v[104:105], v[58:59], v[66:67], -v[36:37]
	v_fma_f64 v[106:107], v[60:61], v[66:67], v[40:41]
	v_fma_f64 v[58:59], v[58:59], v[70:71], -v[96:97]
	v_fma_f64 v[60:61], v[60:61], v[70:71], v[112:113]
	;; [unrolled: 2-line block ×4, first 2 shown]
	ds_load_b128 v[0:3], v22 offset:2304
	ds_load_b128 v[4:7], v23 offset:64
	v_fma_f64 v[56:57], v[62:63], v[82:83], -v[56:57]
	v_add_f64 v[72:73], v[12:13], v[98:99]
	v_add_f64 v[74:75], v[14:15], v[100:101]
	;; [unrolled: 1-line block ×8, first 2 shown]
	ds_load_b128 v[8:11], v23 offset:2112
	ds_load_b128 v[12:15], v23 offset:80
	;; [unrolled: 1-line block ×4, first 2 shown]
	s_waitcnt lgkmcnt(4)
	v_mul_f64 v[54:55], v[6:7], v[32:33]
	v_mul_f64 v[76:77], v[4:5], v[32:33]
	;; [unrolled: 1-line block ×4, first 2 shown]
	v_fma_f64 v[86:87], v[64:65], v[82:83], v[86:87]
	v_fma_f64 v[62:63], v[62:63], v[26:27], -v[88:89]
	v_fma_f64 v[64:65], v[64:65], v[26:27], v[90:91]
	v_fma_f64 v[88:89], v[78:79], v[82:83], -v[92:93]
	;; [unrolled: 2-line block ×3, first 2 shown]
	v_fma_f64 v[80:81], v[80:81], v[26:27], v[28:29]
	s_waitcnt lgkmcnt(3)
	v_mul_f64 v[102:103], v[10:11], v[32:33]
	v_mul_f64 v[32:33], v[8:9], v[32:33]
	;; [unrolled: 1-line block ×4, first 2 shown]
	s_waitcnt lgkmcnt(0)
	v_mul_f64 v[90:91], v[14:15], v[40:41]
	v_mul_f64 v[92:93], v[12:13], v[40:41]
	v_add_f64 v[72:73], v[72:73], v[104:105]
	v_add_f64 v[74:75], v[74:75], v[106:107]
	;; [unrolled: 1-line block ×8, first 2 shown]
	ds_load_b128 v[26:29], v22 offset:2816
	ds_load_b128 v[42:45], v22 offset:3072
	;; [unrolled: 1-line block ×4, first 2 shown]
	v_mul_f64 v[104:105], v[36:37], v[40:41]
	v_mul_f64 v[40:41], v[34:35], v[40:41]
	v_fma_f64 v[54:55], v[4:5], v[30:31], -v[54:55]
	v_fma_f64 v[76:77], v[6:7], v[30:31], v[76:77]
	v_fma_f64 v[98:99], v[4:5], v[0:1], -v[98:99]
	v_fma_f64 v[100:101], v[6:7], v[0:1], v[100:101]
	s_waitcnt lgkmcnt(3)
	v_mul_f64 v[94:95], v[14:15], v[28:29]
	v_mul_f64 v[96:97], v[12:13], v[28:29]
	;; [unrolled: 1-line block ×4, first 2 shown]
	v_fma_f64 v[102:103], v[8:9], v[30:31], -v[102:103]
	v_fma_f64 v[32:33], v[10:11], v[30:31], v[32:33]
	v_fma_f64 v[108:109], v[8:9], v[0:1], -v[108:109]
	v_fma_f64 v[112:113], v[10:11], v[0:1], v[2:3]
	ds_load_b128 v[0:3], v23 offset:2144
	ds_load_b128 v[4:7], v23 offset:112
	;; [unrolled: 1-line block ×4, first 2 shown]
	v_add_f64 v[56:57], v[72:73], v[56:57]
	v_add_f64 v[72:73], v[74:75], v[86:87]
	;; [unrolled: 1-line block ×8, first 2 shown]
	s_waitcnt lgkmcnt(4)
	v_mul_f64 v[70:71], v[52:53], v[44:45]
	v_mul_f64 v[74:75], v[50:51], v[44:45]
	;; [unrolled: 1-line block ×4, first 2 shown]
	s_waitcnt lgkmcnt(3)
	v_mul_f64 v[82:83], v[2:3], v[44:45]
	v_mul_f64 v[44:45], v[0:1], v[44:45]
	;; [unrolled: 1-line block ×4, first 2 shown]
	v_fma_f64 v[86:87], v[12:13], v[38:39], -v[90:91]
	v_fma_f64 v[88:89], v[14:15], v[38:39], v[92:93]
	v_fma_f64 v[90:91], v[12:13], v[26:27], -v[94:95]
	v_fma_f64 v[92:93], v[14:15], v[26:27], v[96:97]
	;; [unrolled: 2-line block ×4, first 2 shown]
	ds_load_b128 v[12:15], v22 offset:3840
	s_waitcnt lgkmcnt(0)
	s_barrier
	buffer_gl0_inv
	v_add_f64 v[36:37], v[56:57], v[54:55]
	v_add_f64 v[40:41], v[72:73], v[76:77]
	;; [unrolled: 1-line block ×8, first 2 shown]
	v_mul_f64 v[64:65], v[6:7], v[30:31]
	v_mul_f64 v[66:67], v[4:5], v[30:31]
	v_mul_f64 v[76:77], v[10:11], v[30:31]
	v_mul_f64 v[30:31], v[8:9], v[30:31]
	v_fma_f64 v[70:71], v[50:51], v[42:43], -v[70:71]
	v_mul_f64 v[68:69], v[6:7], v[14:15]
	v_mul_f64 v[72:73], v[4:5], v[14:15]
	;; [unrolled: 1-line block ×4, first 2 shown]
	v_fma_f64 v[74:75], v[52:53], v[42:43], v[74:75]
	v_fma_f64 v[50:51], v[50:51], v[46:47], -v[78:79]
	v_fma_f64 v[52:53], v[52:53], v[46:47], v[80:81]
	v_fma_f64 v[78:79], v[0:1], v[42:43], -v[82:83]
	;; [unrolled: 2-line block ×3, first 2 shown]
	v_fma_f64 v[2:3], v[2:3], v[46:47], v[48:49]
	v_add_f64 v[36:37], v[36:37], v[86:87]
	v_add_f64 v[40:41], v[40:41], v[88:89]
	;; [unrolled: 1-line block ×8, first 2 shown]
	v_fma_f64 v[38:39], v[4:5], v[28:29], -v[64:65]
	v_fma_f64 v[54:55], v[6:7], v[28:29], v[66:67]
	v_fma_f64 v[56:57], v[8:9], v[28:29], -v[76:77]
	v_fma_f64 v[28:29], v[10:11], v[28:29], v[30:31]
	;; [unrolled: 2-line block ×4, first 2 shown]
	v_add_f64 v[8:9], v[36:37], v[70:71]
	v_add_f64 v[10:11], v[40:41], v[74:75]
	;; [unrolled: 1-line block ×16, first 2 shown]
	s_cbranch_vccz .LBB1638_2
.LBB1638_3:
	v_add_nc_u32_e32 v18, s19, v21
	s_load_b32 s4, s[0:1], 0x0
	s_delay_alu instid0(VALU_DEP_1) | instskip(SKIP_2) | instid1(VALU_DEP_3)
	v_ashrrev_i32_e32 v16, 31, v18
	v_mul_lo_u32 v17, v18, s7
	v_mad_u64_u32 v[21:22], null, v18, s6, 0
	v_mul_lo_u32 v16, v16, s6
	s_delay_alu instid0(VALU_DEP_1) | instskip(SKIP_1) | instid1(VALU_DEP_2)
	v_add3_u32 v22, v22, v17, v16
	v_add_nc_u32_e32 v16, s18, v20
	v_lshlrev_b64 v[19:20], 4, v[21:22]
	s_delay_alu instid0(VALU_DEP_2) | instskip(SKIP_2) | instid1(VALU_DEP_3)
	v_cmp_le_i32_e64 s0, v18, v16
	s_waitcnt lgkmcnt(0)
	v_cmp_gt_i32_e32 vcc_lo, s4, v16
	v_add_co_u32 v19, s1, s2, v19
	s_delay_alu instid0(VALU_DEP_1) | instskip(SKIP_1) | instid1(SALU_CYCLE_1)
	v_add_co_ci_u32_e64 v20, s1, s3, v20, s1
	s_and_b32 s0, s0, vcc_lo
	s_and_saveexec_b32 s1, s0
	s_cbranch_execz .LBB1638_5
; %bb.4:
	v_ashrrev_i32_e32 v17, 31, v16
	v_xor_b32_e32 v13, 0x80000000, v13
	v_xor_b32_e32 v15, 0x80000000, v15
	s_delay_alu instid0(VALU_DEP_3) | instskip(NEXT) | instid1(VALU_DEP_1)
	v_lshlrev_b64 v[21:22], 4, v[16:17]
	v_add_co_u32 v21, s0, v19, v21
	s_delay_alu instid0(VALU_DEP_1)
	v_add_co_ci_u32_e64 v22, s0, v20, v22, s0
	global_store_b128 v[21:22], v[12:15], off
.LBB1638_5:
	s_or_b32 exec_lo, exec_lo, s1
	v_add_nc_u32_e32 v12, 16, v16
	s_delay_alu instid0(VALU_DEP_1) | instskip(SKIP_1) | instid1(VALU_DEP_1)
	v_cmp_le_i32_e64 s1, v18, v12
	v_cmp_gt_i32_e64 s0, s4, v12
	s_and_b32 s1, s1, s0
	s_delay_alu instid0(SALU_CYCLE_1)
	s_and_saveexec_b32 s4, s1
	s_cbranch_execz .LBB1638_7
; %bb.6:
	v_ashrrev_i32_e32 v13, 31, v12
	v_xor_b32_e32 v9, 0x80000000, v9
	v_xor_b32_e32 v11, 0x80000000, v11
	s_delay_alu instid0(VALU_DEP_3) | instskip(NEXT) | instid1(VALU_DEP_1)
	v_lshlrev_b64 v[13:14], 4, v[12:13]
	v_add_co_u32 v13, s1, v19, v13
	s_delay_alu instid0(VALU_DEP_1)
	v_add_co_ci_u32_e64 v14, s1, v20, v14, s1
	global_store_b128 v[13:14], v[8:11], off
.LBB1638_7:
	s_or_b32 exec_lo, exec_lo, s4
	v_add_nc_u32_e32 v10, 16, v18
	s_delay_alu instid0(VALU_DEP_1) | instskip(SKIP_3) | instid1(VALU_DEP_4)
	v_ashrrev_i32_e32 v11, 31, v10
	v_mul_lo_u32 v13, v10, s7
	v_mad_u64_u32 v[8:9], null, v10, s6, 0
	v_cmp_le_i32_e64 s1, v10, v16
	v_mul_lo_u32 v11, v11, s6
	s_delay_alu instid0(VALU_DEP_1) | instskip(NEXT) | instid1(VALU_DEP_1)
	v_add3_u32 v9, v9, v13, v11
	v_lshlrev_b64 v[8:9], 4, v[8:9]
	s_delay_alu instid0(VALU_DEP_1) | instskip(NEXT) | instid1(VALU_DEP_1)
	v_add_co_u32 v8, s2, s2, v8
	v_add_co_ci_u32_e64 v9, s2, s3, v9, s2
	s_and_b32 s2, s1, vcc_lo
	s_delay_alu instid0(SALU_CYCLE_1)
	s_and_saveexec_b32 s1, s2
	s_cbranch_execz .LBB1638_9
; %bb.8:
	v_ashrrev_i32_e32 v17, 31, v16
	v_xor_b32_e32 v5, 0x80000000, v5
	v_xor_b32_e32 v7, 0x80000000, v7
	s_delay_alu instid0(VALU_DEP_3) | instskip(NEXT) | instid1(VALU_DEP_1)
	v_lshlrev_b64 v[13:14], 4, v[16:17]
	v_add_co_u32 v13, vcc_lo, v8, v13
	s_delay_alu instid0(VALU_DEP_2)
	v_add_co_ci_u32_e32 v14, vcc_lo, v9, v14, vcc_lo
	global_store_b128 v[13:14], v[4:7], off
.LBB1638_9:
	s_or_b32 exec_lo, exec_lo, s1
	v_cmp_le_i32_e32 vcc_lo, v10, v12
	s_and_b32 s0, vcc_lo, s0
	s_delay_alu instid0(SALU_CYCLE_1)
	s_and_saveexec_b32 s1, s0
	s_cbranch_execz .LBB1638_11
; %bb.10:
	v_ashrrev_i32_e32 v13, 31, v12
	v_xor_b32_e32 v1, 0x80000000, v1
	v_xor_b32_e32 v3, 0x80000000, v3
	s_delay_alu instid0(VALU_DEP_3) | instskip(NEXT) | instid1(VALU_DEP_1)
	v_lshlrev_b64 v[4:5], 4, v[12:13]
	v_add_co_u32 v4, vcc_lo, v8, v4
	s_delay_alu instid0(VALU_DEP_2)
	v_add_co_ci_u32_e32 v5, vcc_lo, v9, v5, vcc_lo
	global_store_b128 v[4:5], v[0:3], off
.LBB1638_11:
	s_nop 0
	s_sendmsg sendmsg(MSG_DEALLOC_VGPRS)
	s_endpgm
	.section	.rodata,"a",@progbits
	.p2align	6, 0x0
	.amdhsa_kernel _ZL37rocblas_syrkx_herkx_restricted_kernelIl19rocblas_complex_numIdELi16ELi32ELi8ELin1ELi0ELb0ELc67ELc76EKPKS1_KPS1_EviT_PT9_S7_lS9_S7_lPT10_S7_li
		.amdhsa_group_segment_fixed_size 8192
		.amdhsa_private_segment_fixed_size 0
		.amdhsa_kernarg_size 92
		.amdhsa_user_sgpr_count 13
		.amdhsa_user_sgpr_dispatch_ptr 0
		.amdhsa_user_sgpr_queue_ptr 0
		.amdhsa_user_sgpr_kernarg_segment_ptr 1
		.amdhsa_user_sgpr_dispatch_id 0
		.amdhsa_user_sgpr_private_segment_size 0
		.amdhsa_wavefront_size32 1
		.amdhsa_uses_dynamic_stack 0
		.amdhsa_enable_private_segment 0
		.amdhsa_system_sgpr_workgroup_id_x 1
		.amdhsa_system_sgpr_workgroup_id_y 1
		.amdhsa_system_sgpr_workgroup_id_z 1
		.amdhsa_system_sgpr_workgroup_info 0
		.amdhsa_system_vgpr_workitem_id 1
		.amdhsa_next_free_vgpr 118
		.amdhsa_next_free_sgpr 20
		.amdhsa_reserve_vcc 1
		.amdhsa_float_round_mode_32 0
		.amdhsa_float_round_mode_16_64 0
		.amdhsa_float_denorm_mode_32 3
		.amdhsa_float_denorm_mode_16_64 3
		.amdhsa_dx10_clamp 1
		.amdhsa_ieee_mode 1
		.amdhsa_fp16_overflow 0
		.amdhsa_workgroup_processor_mode 1
		.amdhsa_memory_ordered 1
		.amdhsa_forward_progress 0
		.amdhsa_shared_vgpr_count 0
		.amdhsa_exception_fp_ieee_invalid_op 0
		.amdhsa_exception_fp_denorm_src 0
		.amdhsa_exception_fp_ieee_div_zero 0
		.amdhsa_exception_fp_ieee_overflow 0
		.amdhsa_exception_fp_ieee_underflow 0
		.amdhsa_exception_fp_ieee_inexact 0
		.amdhsa_exception_int_div_zero 0
	.end_amdhsa_kernel
	.section	.text._ZL37rocblas_syrkx_herkx_restricted_kernelIl19rocblas_complex_numIdELi16ELi32ELi8ELin1ELi0ELb0ELc67ELc76EKPKS1_KPS1_EviT_PT9_S7_lS9_S7_lPT10_S7_li,"axG",@progbits,_ZL37rocblas_syrkx_herkx_restricted_kernelIl19rocblas_complex_numIdELi16ELi32ELi8ELin1ELi0ELb0ELc67ELc76EKPKS1_KPS1_EviT_PT9_S7_lS9_S7_lPT10_S7_li,comdat
.Lfunc_end1638:
	.size	_ZL37rocblas_syrkx_herkx_restricted_kernelIl19rocblas_complex_numIdELi16ELi32ELi8ELin1ELi0ELb0ELc67ELc76EKPKS1_KPS1_EviT_PT9_S7_lS9_S7_lPT10_S7_li, .Lfunc_end1638-_ZL37rocblas_syrkx_herkx_restricted_kernelIl19rocblas_complex_numIdELi16ELi32ELi8ELin1ELi0ELb0ELc67ELc76EKPKS1_KPS1_EviT_PT9_S7_lS9_S7_lPT10_S7_li
                                        ; -- End function
	.section	.AMDGPU.csdata,"",@progbits
; Kernel info:
; codeLenInByte = 3064
; NumSgprs: 22
; NumVgprs: 118
; ScratchSize: 0
; MemoryBound: 0
; FloatMode: 240
; IeeeMode: 1
; LDSByteSize: 8192 bytes/workgroup (compile time only)
; SGPRBlocks: 2
; VGPRBlocks: 14
; NumSGPRsForWavesPerEU: 22
; NumVGPRsForWavesPerEU: 118
; Occupancy: 12
; WaveLimiterHint : 1
; COMPUTE_PGM_RSRC2:SCRATCH_EN: 0
; COMPUTE_PGM_RSRC2:USER_SGPR: 13
; COMPUTE_PGM_RSRC2:TRAP_HANDLER: 0
; COMPUTE_PGM_RSRC2:TGID_X_EN: 1
; COMPUTE_PGM_RSRC2:TGID_Y_EN: 1
; COMPUTE_PGM_RSRC2:TGID_Z_EN: 1
; COMPUTE_PGM_RSRC2:TIDIG_COMP_CNT: 1
	.section	.text._ZL37rocblas_syrkx_herkx_restricted_kernelIl19rocblas_complex_numIdELi16ELi32ELi8ELin1ELi0ELb0ELc78ELc76EKPKS1_KPS1_EviT_PT9_S7_lS9_S7_lPT10_S7_li,"axG",@progbits,_ZL37rocblas_syrkx_herkx_restricted_kernelIl19rocblas_complex_numIdELi16ELi32ELi8ELin1ELi0ELb0ELc78ELc76EKPKS1_KPS1_EviT_PT9_S7_lS9_S7_lPT10_S7_li,comdat
	.globl	_ZL37rocblas_syrkx_herkx_restricted_kernelIl19rocblas_complex_numIdELi16ELi32ELi8ELin1ELi0ELb0ELc78ELc76EKPKS1_KPS1_EviT_PT9_S7_lS9_S7_lPT10_S7_li ; -- Begin function _ZL37rocblas_syrkx_herkx_restricted_kernelIl19rocblas_complex_numIdELi16ELi32ELi8ELin1ELi0ELb0ELc78ELc76EKPKS1_KPS1_EviT_PT9_S7_lS9_S7_lPT10_S7_li
	.p2align	8
	.type	_ZL37rocblas_syrkx_herkx_restricted_kernelIl19rocblas_complex_numIdELi16ELi32ELi8ELin1ELi0ELb0ELc78ELc76EKPKS1_KPS1_EviT_PT9_S7_lS9_S7_lPT10_S7_li,@function
_ZL37rocblas_syrkx_herkx_restricted_kernelIl19rocblas_complex_numIdELi16ELi32ELi8ELin1ELi0ELb0ELc78ELc76EKPKS1_KPS1_EviT_PT9_S7_lS9_S7_lPT10_S7_li: ; @_ZL37rocblas_syrkx_herkx_restricted_kernelIl19rocblas_complex_numIdELi16ELi32ELi8ELin1ELi0ELb0ELc78ELc76EKPKS1_KPS1_EviT_PT9_S7_lS9_S7_lPT10_S7_li
; %bb.0:
	s_clause 0x1
	s_load_b128 s[4:7], s[0:1], 0x40
	s_load_b128 s[8:11], s[0:1], 0x8
	s_mov_b32 s2, s15
	s_mov_b32 s3, 0
	v_mov_b32_e32 v12, 0
	s_lshl_b64 s[16:17], s[2:3], 3
	v_dual_mov_b32 v13, 0 :: v_dual_and_b32 v20, 0x3ff, v0
	v_bfe_u32 v21, v0, 10, 10
	s_delay_alu instid0(VALU_DEP_3) | instskip(NEXT) | instid1(VALU_DEP_3)
	v_mov_b32_e32 v8, v12
	v_dual_mov_b32 v10, v12 :: v_dual_mov_b32 v11, v13
	v_dual_mov_b32 v15, v13 :: v_dual_mov_b32 v14, v12
	;; [unrolled: 1-line block ×5, first 2 shown]
	v_mov_b32_e32 v1, v13
	s_waitcnt lgkmcnt(0)
	s_add_u32 s2, s4, s16
	s_addc_u32 s3, s5, s17
	v_cmp_lt_i64_e64 s4, s[8:9], 1
	s_load_b64 s[2:3], s[2:3], 0x0
	v_dual_mov_b32 v2, v12 :: v_dual_mov_b32 v3, v13
	s_lshl_b32 s18, s13, 5
	s_lshl_b32 s19, s14, 5
	s_delay_alu instid0(VALU_DEP_2)
	s_and_b32 vcc_lo, exec_lo, s4
	s_cbranch_vccnz .LBB1639_3
; %bb.1:
	v_lshl_add_u32 v1, v21, 4, v20
	s_clause 0x1
	s_load_b64 s[4:5], s[0:1], 0x18
	s_load_b128 s[12:15], s[0:1], 0x28
	v_and_b32_e32 v7, 7, v20
	s_add_u32 s10, s10, s16
	s_addc_u32 s11, s11, s17
	v_lshrrev_b32_e32 v12, 3, v1
	v_and_b32_e32 v11, 31, v1
	v_lshrrev_b32_e32 v13, 5, v1
	s_load_b64 s[10:11], s[10:11], 0x0
	v_lshlrev_b32_e32 v22, 4, v20
	v_add_nc_u32_e32 v2, s19, v12
	v_lshl_add_u32 v23, v21, 7, 0x1000
	s_delay_alu instid0(VALU_DEP_2) | instskip(SKIP_1) | instid1(VALU_DEP_1)
	v_ashrrev_i32_e32 v3, 31, v2
	s_waitcnt lgkmcnt(0)
	v_mad_u64_u32 v[8:9], null, v7, s14, v[2:3]
	v_add_nc_u32_e32 v0, s18, v11
	s_add_u32 s12, s12, s16
	s_addc_u32 s13, s13, s17
	v_mov_b32_e32 v2, 0
	s_load_b64 s[12:13], s[12:13], 0x0
	v_ashrrev_i32_e32 v1, 31, v0
	v_mov_b32_e32 v3, 0
	s_delay_alu instid0(VALU_DEP_2) | instskip(SKIP_1) | instid1(VALU_DEP_1)
	v_mad_u64_u32 v[4:5], null, v13, s4, v[0:1]
	v_mov_b32_e32 v1, v9
	v_mad_u64_u32 v[9:10], null, v7, s15, v[1:2]
	s_delay_alu instid0(VALU_DEP_3) | instskip(SKIP_2) | instid1(VALU_DEP_3)
	v_mov_b32_e32 v0, v5
	v_lshlrev_b32_e32 v10, 4, v7
	v_lshlrev_b32_e32 v14, 4, v11
	v_mad_u64_u32 v[5:6], null, v13, s5, v[0:1]
	v_dual_mov_b32 v0, v2 :: v_dual_mov_b32 v7, v3
	v_mov_b32_e32 v1, v3
	v_lshl_or_b32 v12, v12, 7, v10
	v_lshlrev_b64 v[8:9], 4, v[8:9]
	v_mov_b32_e32 v6, v2
	v_lshlrev_b64 v[10:11], 4, v[4:5]
	v_dual_mov_b32 v5, v3 :: v_dual_mov_b32 v4, v2
	v_add_nc_u32_e32 v25, 0x1000, v12
	s_lshl_b64 s[4:5], s[4:5], 7
	s_delay_alu instid0(VALU_DEP_3) | instskip(NEXT) | instid1(VALU_DEP_4)
	v_add_co_u32 v10, vcc_lo, v10, s10
	v_add_co_ci_u32_e32 v11, vcc_lo, s11, v11, vcc_lo
	s_waitcnt lgkmcnt(0)
	v_add_co_u32 v8, vcc_lo, v8, s12
	v_add_co_ci_u32_e32 v9, vcc_lo, s13, v9, vcc_lo
	v_add_co_u32 v16, vcc_lo, v10, 8
	v_add_co_ci_u32_e32 v17, vcc_lo, 0, v11, vcc_lo
	s_delay_alu instid0(VALU_DEP_4)
	v_add_co_u32 v18, vcc_lo, v8, 8
	v_mov_b32_e32 v11, v3
	v_add_co_ci_u32_e32 v19, vcc_lo, 0, v9, vcc_lo
	v_dual_mov_b32 v10, v2 :: v_dual_mov_b32 v9, v3
	v_lshl_or_b32 v24, v13, 9, v14
	v_dual_mov_b32 v8, v2 :: v_dual_mov_b32 v15, v3
	v_dual_mov_b32 v14, v2 :: v_dual_mov_b32 v13, v3
	v_mov_b32_e32 v12, v2
	s_lshl_b64 s[10:11], s[14:15], 7
	s_mov_b64 s[12:13], 0
.LBB1639_2:                             ; =>This Inner Loop Header: Depth=1
	global_load_b128 v[26:29], v[16:17], off offset:-8
	global_load_b128 v[30:33], v[18:19], off offset:-8
	s_add_u32 s12, s12, 8
	v_add_co_u32 v16, vcc_lo, v16, s4
	s_addc_u32 s13, s13, 0
	v_add_co_ci_u32_e32 v17, vcc_lo, s5, v17, vcc_lo
	v_cmp_ge_u64_e64 s14, s[12:13], s[8:9]
	v_add_co_u32 v18, vcc_lo, v18, s10
	v_add_co_ci_u32_e32 v19, vcc_lo, s11, v19, vcc_lo
	s_waitcnt vmcnt(1)
	ds_store_b128 v24, v[26:29]
	s_waitcnt vmcnt(0)
	ds_store_b128 v25, v[30:33]
	s_waitcnt lgkmcnt(0)
	s_barrier
	buffer_gl0_inv
	ds_load_b128 v[26:29], v23
	ds_load_b128 v[30:33], v22
	ds_load_b128 v[34:37], v22 offset:256
	ds_load_b128 v[38:41], v23 offset:2048
	;; [unrolled: 1-line block ×13, first 2 shown]
	s_and_b32 vcc_lo, exec_lo, s14
	s_waitcnt lgkmcnt(13)
	v_mul_f64 v[86:87], v[28:29], v[32:33]
	v_mul_f64 v[88:89], v[26:27], v[32:33]
	s_waitcnt lgkmcnt(12)
	v_mul_f64 v[90:91], v[28:29], v[36:37]
	v_mul_f64 v[92:93], v[26:27], v[36:37]
	;; [unrolled: 3-line block ×3, first 2 shown]
	v_mul_f64 v[96:97], v[40:41], v[36:37]
	v_mul_f64 v[36:37], v[38:39], v[36:37]
	s_waitcnt lgkmcnt(8)
	v_mul_f64 v[98:99], v[44:45], v[52:53]
	v_mul_f64 v[100:101], v[42:43], v[52:53]
	s_waitcnt lgkmcnt(7)
	v_mul_f64 v[102:103], v[44:45], v[56:57]
	v_mul_f64 v[104:105], v[42:43], v[56:57]
	;; [unrolled: 1-line block ×6, first 2 shown]
	s_waitcnt lgkmcnt(3)
	v_mul_f64 v[112:113], v[58:59], v[72:73]
	s_waitcnt lgkmcnt(2)
	v_mul_f64 v[114:115], v[76:77], v[68:69]
	v_mul_f64 v[116:117], v[76:77], v[72:73]
	v_fma_f64 v[86:87], v[26:27], v[30:31], -v[86:87]
	v_fma_f64 v[88:89], v[28:29], v[30:31], v[88:89]
	v_fma_f64 v[90:91], v[26:27], v[34:35], -v[90:91]
	v_fma_f64 v[92:93], v[28:29], v[34:35], v[92:93]
	;; [unrolled: 2-line block ×4, first 2 shown]
	v_mul_f64 v[36:37], v[60:61], v[68:69]
	v_mul_f64 v[40:41], v[58:59], v[68:69]
	;; [unrolled: 1-line block ×5, first 2 shown]
	v_fma_f64 v[98:99], v[42:43], v[50:51], -v[98:99]
	v_fma_f64 v[100:101], v[44:45], v[50:51], v[100:101]
	v_fma_f64 v[42:43], v[42:43], v[54:55], -v[102:103]
	v_fma_f64 v[44:45], v[44:45], v[54:55], v[104:105]
	;; [unrolled: 2-line block ×4, first 2 shown]
	ds_load_b128 v[26:29], v22 offset:1792
	ds_load_b128 v[30:33], v22 offset:2048
	s_waitcnt lgkmcnt(2)
	v_mul_f64 v[56:57], v[64:65], v[84:85]
	v_add_f64 v[12:13], v[12:13], v[86:87]
	v_add_f64 v[14:15], v[14:15], v[88:89]
	;; [unrolled: 1-line block ×8, first 2 shown]
	v_mul_f64 v[86:87], v[62:63], v[84:85]
	s_waitcnt lgkmcnt(1)
	v_mul_f64 v[88:89], v[64:65], v[28:29]
	v_mul_f64 v[90:91], v[62:63], v[28:29]
	;; [unrolled: 1-line block ×6, first 2 shown]
	v_fma_f64 v[104:105], v[58:59], v[66:67], -v[36:37]
	v_fma_f64 v[106:107], v[60:61], v[66:67], v[40:41]
	v_fma_f64 v[58:59], v[58:59], v[70:71], -v[96:97]
	v_fma_f64 v[60:61], v[60:61], v[70:71], v[112:113]
	;; [unrolled: 2-line block ×4, first 2 shown]
	ds_load_b128 v[0:3], v22 offset:2304
	ds_load_b128 v[4:7], v23 offset:64
	v_fma_f64 v[56:57], v[62:63], v[82:83], -v[56:57]
	v_add_f64 v[72:73], v[12:13], v[98:99]
	v_add_f64 v[74:75], v[14:15], v[100:101]
	;; [unrolled: 1-line block ×8, first 2 shown]
	ds_load_b128 v[8:11], v23 offset:2112
	ds_load_b128 v[12:15], v23 offset:80
	;; [unrolled: 1-line block ×4, first 2 shown]
	s_waitcnt lgkmcnt(4)
	v_mul_f64 v[54:55], v[6:7], v[32:33]
	v_mul_f64 v[76:77], v[4:5], v[32:33]
	;; [unrolled: 1-line block ×4, first 2 shown]
	v_fma_f64 v[86:87], v[64:65], v[82:83], v[86:87]
	v_fma_f64 v[62:63], v[62:63], v[26:27], -v[88:89]
	v_fma_f64 v[64:65], v[64:65], v[26:27], v[90:91]
	v_fma_f64 v[88:89], v[78:79], v[82:83], -v[92:93]
	;; [unrolled: 2-line block ×3, first 2 shown]
	v_fma_f64 v[80:81], v[80:81], v[26:27], v[28:29]
	s_waitcnt lgkmcnt(3)
	v_mul_f64 v[102:103], v[10:11], v[32:33]
	v_mul_f64 v[32:33], v[8:9], v[32:33]
	;; [unrolled: 1-line block ×4, first 2 shown]
	s_waitcnt lgkmcnt(0)
	v_mul_f64 v[90:91], v[14:15], v[40:41]
	v_mul_f64 v[92:93], v[12:13], v[40:41]
	v_add_f64 v[72:73], v[72:73], v[104:105]
	v_add_f64 v[74:75], v[74:75], v[106:107]
	;; [unrolled: 1-line block ×8, first 2 shown]
	ds_load_b128 v[26:29], v22 offset:2816
	ds_load_b128 v[42:45], v22 offset:3072
	;; [unrolled: 1-line block ×4, first 2 shown]
	v_mul_f64 v[104:105], v[36:37], v[40:41]
	v_mul_f64 v[40:41], v[34:35], v[40:41]
	v_fma_f64 v[54:55], v[4:5], v[30:31], -v[54:55]
	v_fma_f64 v[76:77], v[6:7], v[30:31], v[76:77]
	v_fma_f64 v[98:99], v[4:5], v[0:1], -v[98:99]
	v_fma_f64 v[100:101], v[6:7], v[0:1], v[100:101]
	s_waitcnt lgkmcnt(3)
	v_mul_f64 v[94:95], v[14:15], v[28:29]
	v_mul_f64 v[96:97], v[12:13], v[28:29]
	;; [unrolled: 1-line block ×4, first 2 shown]
	v_fma_f64 v[102:103], v[8:9], v[30:31], -v[102:103]
	v_fma_f64 v[32:33], v[10:11], v[30:31], v[32:33]
	v_fma_f64 v[108:109], v[8:9], v[0:1], -v[108:109]
	v_fma_f64 v[112:113], v[10:11], v[0:1], v[2:3]
	ds_load_b128 v[0:3], v23 offset:2144
	ds_load_b128 v[4:7], v23 offset:112
	;; [unrolled: 1-line block ×4, first 2 shown]
	v_add_f64 v[56:57], v[72:73], v[56:57]
	v_add_f64 v[72:73], v[74:75], v[86:87]
	;; [unrolled: 1-line block ×8, first 2 shown]
	s_waitcnt lgkmcnt(4)
	v_mul_f64 v[70:71], v[52:53], v[44:45]
	v_mul_f64 v[74:75], v[50:51], v[44:45]
	;; [unrolled: 1-line block ×4, first 2 shown]
	s_waitcnt lgkmcnt(3)
	v_mul_f64 v[82:83], v[2:3], v[44:45]
	v_mul_f64 v[44:45], v[0:1], v[44:45]
	v_mul_f64 v[84:85], v[2:3], v[48:49]
	v_mul_f64 v[48:49], v[0:1], v[48:49]
	v_fma_f64 v[86:87], v[12:13], v[38:39], -v[90:91]
	v_fma_f64 v[88:89], v[14:15], v[38:39], v[92:93]
	v_fma_f64 v[90:91], v[12:13], v[26:27], -v[94:95]
	v_fma_f64 v[92:93], v[14:15], v[26:27], v[96:97]
	;; [unrolled: 2-line block ×4, first 2 shown]
	ds_load_b128 v[12:15], v22 offset:3840
	s_waitcnt lgkmcnt(0)
	s_barrier
	buffer_gl0_inv
	v_add_f64 v[36:37], v[56:57], v[54:55]
	v_add_f64 v[40:41], v[72:73], v[76:77]
	;; [unrolled: 1-line block ×8, first 2 shown]
	v_mul_f64 v[64:65], v[6:7], v[30:31]
	v_mul_f64 v[66:67], v[4:5], v[30:31]
	;; [unrolled: 1-line block ×4, first 2 shown]
	v_fma_f64 v[70:71], v[50:51], v[42:43], -v[70:71]
	v_mul_f64 v[68:69], v[6:7], v[14:15]
	v_mul_f64 v[72:73], v[4:5], v[14:15]
	;; [unrolled: 1-line block ×4, first 2 shown]
	v_fma_f64 v[74:75], v[52:53], v[42:43], v[74:75]
	v_fma_f64 v[50:51], v[50:51], v[46:47], -v[78:79]
	v_fma_f64 v[52:53], v[52:53], v[46:47], v[80:81]
	v_fma_f64 v[78:79], v[0:1], v[42:43], -v[82:83]
	;; [unrolled: 2-line block ×3, first 2 shown]
	v_fma_f64 v[2:3], v[2:3], v[46:47], v[48:49]
	v_add_f64 v[36:37], v[36:37], v[86:87]
	v_add_f64 v[40:41], v[40:41], v[88:89]
	;; [unrolled: 1-line block ×8, first 2 shown]
	v_fma_f64 v[38:39], v[4:5], v[28:29], -v[64:65]
	v_fma_f64 v[54:55], v[6:7], v[28:29], v[66:67]
	v_fma_f64 v[56:57], v[8:9], v[28:29], -v[76:77]
	v_fma_f64 v[28:29], v[10:11], v[28:29], v[30:31]
	;; [unrolled: 2-line block ×4, first 2 shown]
	v_add_f64 v[8:9], v[36:37], v[70:71]
	v_add_f64 v[10:11], v[40:41], v[74:75]
	;; [unrolled: 1-line block ×16, first 2 shown]
	s_cbranch_vccz .LBB1639_2
.LBB1639_3:
	v_add_nc_u32_e32 v18, s19, v21
	s_load_b32 s4, s[0:1], 0x0
	s_delay_alu instid0(VALU_DEP_1) | instskip(SKIP_2) | instid1(VALU_DEP_3)
	v_ashrrev_i32_e32 v16, 31, v18
	v_mul_lo_u32 v17, v18, s7
	v_mad_u64_u32 v[21:22], null, v18, s6, 0
	v_mul_lo_u32 v16, v16, s6
	s_delay_alu instid0(VALU_DEP_1) | instskip(SKIP_1) | instid1(VALU_DEP_2)
	v_add3_u32 v22, v22, v17, v16
	v_add_nc_u32_e32 v16, s18, v20
	v_lshlrev_b64 v[19:20], 4, v[21:22]
	s_delay_alu instid0(VALU_DEP_2) | instskip(SKIP_2) | instid1(VALU_DEP_3)
	v_cmp_le_i32_e64 s0, v18, v16
	s_waitcnt lgkmcnt(0)
	v_cmp_gt_i32_e32 vcc_lo, s4, v16
	v_add_co_u32 v19, s1, s2, v19
	s_delay_alu instid0(VALU_DEP_1) | instskip(SKIP_1) | instid1(SALU_CYCLE_1)
	v_add_co_ci_u32_e64 v20, s1, s3, v20, s1
	s_and_b32 s0, s0, vcc_lo
	s_and_saveexec_b32 s1, s0
	s_cbranch_execz .LBB1639_5
; %bb.4:
	v_ashrrev_i32_e32 v17, 31, v16
	v_xor_b32_e32 v13, 0x80000000, v13
	v_xor_b32_e32 v15, 0x80000000, v15
	s_delay_alu instid0(VALU_DEP_3) | instskip(NEXT) | instid1(VALU_DEP_1)
	v_lshlrev_b64 v[21:22], 4, v[16:17]
	v_add_co_u32 v21, s0, v19, v21
	s_delay_alu instid0(VALU_DEP_1)
	v_add_co_ci_u32_e64 v22, s0, v20, v22, s0
	global_store_b128 v[21:22], v[12:15], off
.LBB1639_5:
	s_or_b32 exec_lo, exec_lo, s1
	v_add_nc_u32_e32 v12, 16, v16
	s_delay_alu instid0(VALU_DEP_1) | instskip(SKIP_1) | instid1(VALU_DEP_1)
	v_cmp_le_i32_e64 s1, v18, v12
	v_cmp_gt_i32_e64 s0, s4, v12
	s_and_b32 s1, s1, s0
	s_delay_alu instid0(SALU_CYCLE_1)
	s_and_saveexec_b32 s4, s1
	s_cbranch_execz .LBB1639_7
; %bb.6:
	v_ashrrev_i32_e32 v13, 31, v12
	v_xor_b32_e32 v9, 0x80000000, v9
	v_xor_b32_e32 v11, 0x80000000, v11
	s_delay_alu instid0(VALU_DEP_3) | instskip(NEXT) | instid1(VALU_DEP_1)
	v_lshlrev_b64 v[13:14], 4, v[12:13]
	v_add_co_u32 v13, s1, v19, v13
	s_delay_alu instid0(VALU_DEP_1)
	v_add_co_ci_u32_e64 v14, s1, v20, v14, s1
	global_store_b128 v[13:14], v[8:11], off
.LBB1639_7:
	s_or_b32 exec_lo, exec_lo, s4
	v_add_nc_u32_e32 v10, 16, v18
	s_delay_alu instid0(VALU_DEP_1) | instskip(SKIP_3) | instid1(VALU_DEP_4)
	v_ashrrev_i32_e32 v11, 31, v10
	v_mul_lo_u32 v13, v10, s7
	v_mad_u64_u32 v[8:9], null, v10, s6, 0
	v_cmp_le_i32_e64 s1, v10, v16
	v_mul_lo_u32 v11, v11, s6
	s_delay_alu instid0(VALU_DEP_1) | instskip(NEXT) | instid1(VALU_DEP_1)
	v_add3_u32 v9, v9, v13, v11
	v_lshlrev_b64 v[8:9], 4, v[8:9]
	s_delay_alu instid0(VALU_DEP_1) | instskip(NEXT) | instid1(VALU_DEP_1)
	v_add_co_u32 v8, s2, s2, v8
	v_add_co_ci_u32_e64 v9, s2, s3, v9, s2
	s_and_b32 s2, s1, vcc_lo
	s_delay_alu instid0(SALU_CYCLE_1)
	s_and_saveexec_b32 s1, s2
	s_cbranch_execz .LBB1639_9
; %bb.8:
	v_ashrrev_i32_e32 v17, 31, v16
	v_xor_b32_e32 v5, 0x80000000, v5
	v_xor_b32_e32 v7, 0x80000000, v7
	s_delay_alu instid0(VALU_DEP_3) | instskip(NEXT) | instid1(VALU_DEP_1)
	v_lshlrev_b64 v[13:14], 4, v[16:17]
	v_add_co_u32 v13, vcc_lo, v8, v13
	s_delay_alu instid0(VALU_DEP_2)
	v_add_co_ci_u32_e32 v14, vcc_lo, v9, v14, vcc_lo
	global_store_b128 v[13:14], v[4:7], off
.LBB1639_9:
	s_or_b32 exec_lo, exec_lo, s1
	v_cmp_le_i32_e32 vcc_lo, v10, v12
	s_and_b32 s0, vcc_lo, s0
	s_delay_alu instid0(SALU_CYCLE_1)
	s_and_saveexec_b32 s1, s0
	s_cbranch_execz .LBB1639_11
; %bb.10:
	v_ashrrev_i32_e32 v13, 31, v12
	v_xor_b32_e32 v1, 0x80000000, v1
	v_xor_b32_e32 v3, 0x80000000, v3
	s_delay_alu instid0(VALU_DEP_3) | instskip(NEXT) | instid1(VALU_DEP_1)
	v_lshlrev_b64 v[4:5], 4, v[12:13]
	v_add_co_u32 v4, vcc_lo, v8, v4
	s_delay_alu instid0(VALU_DEP_2)
	v_add_co_ci_u32_e32 v5, vcc_lo, v9, v5, vcc_lo
	global_store_b128 v[4:5], v[0:3], off
.LBB1639_11:
	s_nop 0
	s_sendmsg sendmsg(MSG_DEALLOC_VGPRS)
	s_endpgm
	.section	.rodata,"a",@progbits
	.p2align	6, 0x0
	.amdhsa_kernel _ZL37rocblas_syrkx_herkx_restricted_kernelIl19rocblas_complex_numIdELi16ELi32ELi8ELin1ELi0ELb0ELc78ELc76EKPKS1_KPS1_EviT_PT9_S7_lS9_S7_lPT10_S7_li
		.amdhsa_group_segment_fixed_size 8192
		.amdhsa_private_segment_fixed_size 0
		.amdhsa_kernarg_size 92
		.amdhsa_user_sgpr_count 13
		.amdhsa_user_sgpr_dispatch_ptr 0
		.amdhsa_user_sgpr_queue_ptr 0
		.amdhsa_user_sgpr_kernarg_segment_ptr 1
		.amdhsa_user_sgpr_dispatch_id 0
		.amdhsa_user_sgpr_private_segment_size 0
		.amdhsa_wavefront_size32 1
		.amdhsa_uses_dynamic_stack 0
		.amdhsa_enable_private_segment 0
		.amdhsa_system_sgpr_workgroup_id_x 1
		.amdhsa_system_sgpr_workgroup_id_y 1
		.amdhsa_system_sgpr_workgroup_id_z 1
		.amdhsa_system_sgpr_workgroup_info 0
		.amdhsa_system_vgpr_workitem_id 1
		.amdhsa_next_free_vgpr 118
		.amdhsa_next_free_sgpr 20
		.amdhsa_reserve_vcc 1
		.amdhsa_float_round_mode_32 0
		.amdhsa_float_round_mode_16_64 0
		.amdhsa_float_denorm_mode_32 3
		.amdhsa_float_denorm_mode_16_64 3
		.amdhsa_dx10_clamp 1
		.amdhsa_ieee_mode 1
		.amdhsa_fp16_overflow 0
		.amdhsa_workgroup_processor_mode 1
		.amdhsa_memory_ordered 1
		.amdhsa_forward_progress 0
		.amdhsa_shared_vgpr_count 0
		.amdhsa_exception_fp_ieee_invalid_op 0
		.amdhsa_exception_fp_denorm_src 0
		.amdhsa_exception_fp_ieee_div_zero 0
		.amdhsa_exception_fp_ieee_overflow 0
		.amdhsa_exception_fp_ieee_underflow 0
		.amdhsa_exception_fp_ieee_inexact 0
		.amdhsa_exception_int_div_zero 0
	.end_amdhsa_kernel
	.section	.text._ZL37rocblas_syrkx_herkx_restricted_kernelIl19rocblas_complex_numIdELi16ELi32ELi8ELin1ELi0ELb0ELc78ELc76EKPKS1_KPS1_EviT_PT9_S7_lS9_S7_lPT10_S7_li,"axG",@progbits,_ZL37rocblas_syrkx_herkx_restricted_kernelIl19rocblas_complex_numIdELi16ELi32ELi8ELin1ELi0ELb0ELc78ELc76EKPKS1_KPS1_EviT_PT9_S7_lS9_S7_lPT10_S7_li,comdat
.Lfunc_end1639:
	.size	_ZL37rocblas_syrkx_herkx_restricted_kernelIl19rocblas_complex_numIdELi16ELi32ELi8ELin1ELi0ELb0ELc78ELc76EKPKS1_KPS1_EviT_PT9_S7_lS9_S7_lPT10_S7_li, .Lfunc_end1639-_ZL37rocblas_syrkx_herkx_restricted_kernelIl19rocblas_complex_numIdELi16ELi32ELi8ELin1ELi0ELb0ELc78ELc76EKPKS1_KPS1_EviT_PT9_S7_lS9_S7_lPT10_S7_li
                                        ; -- End function
	.section	.AMDGPU.csdata,"",@progbits
; Kernel info:
; codeLenInByte = 3020
; NumSgprs: 22
; NumVgprs: 118
; ScratchSize: 0
; MemoryBound: 0
; FloatMode: 240
; IeeeMode: 1
; LDSByteSize: 8192 bytes/workgroup (compile time only)
; SGPRBlocks: 2
; VGPRBlocks: 14
; NumSGPRsForWavesPerEU: 22
; NumVGPRsForWavesPerEU: 118
; Occupancy: 12
; WaveLimiterHint : 1
; COMPUTE_PGM_RSRC2:SCRATCH_EN: 0
; COMPUTE_PGM_RSRC2:USER_SGPR: 13
; COMPUTE_PGM_RSRC2:TRAP_HANDLER: 0
; COMPUTE_PGM_RSRC2:TGID_X_EN: 1
; COMPUTE_PGM_RSRC2:TGID_Y_EN: 1
; COMPUTE_PGM_RSRC2:TGID_Z_EN: 1
; COMPUTE_PGM_RSRC2:TIDIG_COMP_CNT: 1
	.section	.text._ZL37rocblas_syrkx_herkx_restricted_kernelIl19rocblas_complex_numIdELi16ELi32ELi8ELin1ELi0ELb0ELc84ELc85EKPKS1_KPS1_EviT_PT9_S7_lS9_S7_lPT10_S7_li,"axG",@progbits,_ZL37rocblas_syrkx_herkx_restricted_kernelIl19rocblas_complex_numIdELi16ELi32ELi8ELin1ELi0ELb0ELc84ELc85EKPKS1_KPS1_EviT_PT9_S7_lS9_S7_lPT10_S7_li,comdat
	.globl	_ZL37rocblas_syrkx_herkx_restricted_kernelIl19rocblas_complex_numIdELi16ELi32ELi8ELin1ELi0ELb0ELc84ELc85EKPKS1_KPS1_EviT_PT9_S7_lS9_S7_lPT10_S7_li ; -- Begin function _ZL37rocblas_syrkx_herkx_restricted_kernelIl19rocblas_complex_numIdELi16ELi32ELi8ELin1ELi0ELb0ELc84ELc85EKPKS1_KPS1_EviT_PT9_S7_lS9_S7_lPT10_S7_li
	.p2align	8
	.type	_ZL37rocblas_syrkx_herkx_restricted_kernelIl19rocblas_complex_numIdELi16ELi32ELi8ELin1ELi0ELb0ELc84ELc85EKPKS1_KPS1_EviT_PT9_S7_lS9_S7_lPT10_S7_li,@function
_ZL37rocblas_syrkx_herkx_restricted_kernelIl19rocblas_complex_numIdELi16ELi32ELi8ELin1ELi0ELb0ELc84ELc85EKPKS1_KPS1_EviT_PT9_S7_lS9_S7_lPT10_S7_li: ; @_ZL37rocblas_syrkx_herkx_restricted_kernelIl19rocblas_complex_numIdELi16ELi32ELi8ELin1ELi0ELb0ELc84ELc85EKPKS1_KPS1_EviT_PT9_S7_lS9_S7_lPT10_S7_li
; %bb.0:
	s_clause 0x1
	s_load_b128 s[4:7], s[0:1], 0x40
	s_load_b128 s[8:11], s[0:1], 0x8
	s_mov_b32 s2, s15
	s_mov_b32 s3, 0
	v_mov_b32_e32 v12, 0
	s_lshl_b64 s[16:17], s[2:3], 3
	v_dual_mov_b32 v13, 0 :: v_dual_and_b32 v20, 0x3ff, v0
	v_bfe_u32 v21, v0, 10, 10
	s_delay_alu instid0(VALU_DEP_3) | instskip(NEXT) | instid1(VALU_DEP_3)
	v_mov_b32_e32 v8, v12
	v_dual_mov_b32 v10, v12 :: v_dual_mov_b32 v11, v13
	v_dual_mov_b32 v15, v13 :: v_dual_mov_b32 v14, v12
	;; [unrolled: 1-line block ×5, first 2 shown]
	v_mov_b32_e32 v1, v13
	s_waitcnt lgkmcnt(0)
	s_add_u32 s2, s4, s16
	s_addc_u32 s3, s5, s17
	v_cmp_lt_i64_e64 s4, s[8:9], 1
	s_load_b64 s[2:3], s[2:3], 0x0
	v_dual_mov_b32 v2, v12 :: v_dual_mov_b32 v3, v13
	s_lshl_b32 s18, s13, 5
	s_lshl_b32 s19, s14, 5
	s_delay_alu instid0(VALU_DEP_2)
	s_and_b32 vcc_lo, exec_lo, s4
	s_cbranch_vccnz .LBB1640_3
; %bb.1:
	s_clause 0x1
	s_load_b128 s[12:15], s[0:1], 0x28
	s_load_b64 s[4:5], s[0:1], 0x18
	v_lshl_add_u32 v2, v21, 4, v20
	v_dual_mov_b32 v1, 0 :: v_dual_and_b32 v0, 7, v20
	s_add_u32 s10, s10, s16
	s_addc_u32 s11, s11, s17
	s_delay_alu instid0(VALU_DEP_2)
	v_lshrrev_b32_e32 v8, 3, v2
	v_and_b32_e32 v9, 31, v2
	v_lshrrev_b32_e32 v2, 5, v2
	v_mov_b32_e32 v3, v1
	s_load_b64 s[10:11], s[10:11], 0x0
	v_add_nc_u32_e32 v10, s19, v8
	v_add_nc_u32_e32 v6, s18, v9
	v_lshl_add_u32 v23, v21, 7, 0x1000
	s_delay_alu instid0(VALU_DEP_3) | instskip(NEXT) | instid1(VALU_DEP_3)
	v_ashrrev_i32_e32 v4, 31, v10
	v_ashrrev_i32_e32 v5, 31, v6
	s_waitcnt lgkmcnt(0)
	s_add_u32 s12, s12, s16
	s_addc_u32 s13, s13, s17
	v_mul_lo_u32 v11, v4, s14
	v_mul_lo_u32 v12, s4, v5
	v_mad_u64_u32 v[4:5], null, s4, v6, v[2:3]
	v_mul_lo_u32 v3, s5, v6
	s_load_b64 s[4:5], s[12:13], 0x0
	v_mul_lo_u32 v13, v10, s15
	v_mad_u64_u32 v[6:7], null, v10, s14, v[0:1]
	v_lshlrev_b32_e32 v0, 4, v0
	s_delay_alu instid0(VALU_DEP_4) | instskip(SKIP_1) | instid1(VALU_DEP_3)
	v_add3_u32 v5, v3, v5, v12
	v_lshlrev_b32_e32 v3, 4, v9
	v_lshl_or_b32 v8, v8, 7, v0
	v_add3_u32 v7, v11, v7, v13
	s_delay_alu instid0(VALU_DEP_4) | instskip(NEXT) | instid1(VALU_DEP_4)
	v_lshlrev_b64 v[0:1], 4, v[4:5]
	v_lshl_or_b32 v24, v2, 9, v3
	s_delay_alu instid0(VALU_DEP_3) | instskip(NEXT) | instid1(VALU_DEP_3)
	v_lshlrev_b64 v[2:3], 4, v[6:7]
	v_add_co_u32 v0, vcc_lo, v0, s10
	s_delay_alu instid0(VALU_DEP_4) | instskip(SKIP_1) | instid1(VALU_DEP_3)
	v_add_co_ci_u32_e32 v1, vcc_lo, s11, v1, vcc_lo
	s_waitcnt lgkmcnt(0)
	v_add_co_u32 v4, vcc_lo, v2, s4
	s_delay_alu instid0(VALU_DEP_4)
	v_add_co_ci_u32_e32 v5, vcc_lo, s5, v3, vcc_lo
	v_mov_b32_e32 v2, 0
	v_mov_b32_e32 v3, 0
	v_add_co_u32 v16, vcc_lo, v0, 8
	v_add_co_ci_u32_e32 v17, vcc_lo, 0, v1, vcc_lo
	v_add_co_u32 v18, vcc_lo, v4, 8
	s_delay_alu instid0(VALU_DEP_4)
	v_dual_mov_b32 v7, v3 :: v_dual_lshlrev_b32 v22, 4, v20
	v_add_co_ci_u32_e32 v19, vcc_lo, 0, v5, vcc_lo
	v_dual_mov_b32 v6, v2 :: v_dual_mov_b32 v5, v3
	v_dual_mov_b32 v4, v2 :: v_dual_mov_b32 v11, v3
	v_dual_mov_b32 v0, v2 :: v_dual_add_nc_u32 v25, 0x1000, v8
	v_dual_mov_b32 v10, v2 :: v_dual_mov_b32 v9, v3
	v_dual_mov_b32 v8, v2 :: v_dual_mov_b32 v15, v3
	v_dual_mov_b32 v14, v2 :: v_dual_mov_b32 v13, v3
	v_dual_mov_b32 v1, v3 :: v_dual_mov_b32 v12, v2
	s_mov_b64 s[4:5], 0
.LBB1640_2:                             ; =>This Inner Loop Header: Depth=1
	global_load_b128 v[26:29], v[16:17], off offset:-8
	global_load_b128 v[30:33], v[18:19], off offset:-8
	s_add_u32 s4, s4, 8
	v_add_co_u32 v16, vcc_lo, 0x80, v16
	s_addc_u32 s5, s5, 0
	v_add_co_ci_u32_e32 v17, vcc_lo, 0, v17, vcc_lo
	v_cmp_ge_u64_e64 s10, s[4:5], s[8:9]
	v_add_co_u32 v18, vcc_lo, 0x80, v18
	v_add_co_ci_u32_e32 v19, vcc_lo, 0, v19, vcc_lo
	s_waitcnt vmcnt(1)
	ds_store_b128 v24, v[26:29]
	s_waitcnt vmcnt(0)
	ds_store_b128 v25, v[30:33]
	s_waitcnt lgkmcnt(0)
	s_barrier
	buffer_gl0_inv
	ds_load_b128 v[26:29], v23
	ds_load_b128 v[30:33], v22
	ds_load_b128 v[34:37], v22 offset:256
	ds_load_b128 v[38:41], v23 offset:2048
	;; [unrolled: 1-line block ×13, first 2 shown]
	s_and_b32 vcc_lo, exec_lo, s10
	s_waitcnt lgkmcnt(13)
	v_mul_f64 v[86:87], v[28:29], v[32:33]
	v_mul_f64 v[88:89], v[26:27], v[32:33]
	s_waitcnt lgkmcnt(12)
	v_mul_f64 v[90:91], v[28:29], v[36:37]
	v_mul_f64 v[92:93], v[26:27], v[36:37]
	;; [unrolled: 3-line block ×3, first 2 shown]
	v_mul_f64 v[96:97], v[40:41], v[36:37]
	v_mul_f64 v[36:37], v[38:39], v[36:37]
	s_waitcnt lgkmcnt(8)
	v_mul_f64 v[98:99], v[44:45], v[52:53]
	v_mul_f64 v[100:101], v[42:43], v[52:53]
	s_waitcnt lgkmcnt(7)
	v_mul_f64 v[102:103], v[44:45], v[56:57]
	v_mul_f64 v[104:105], v[42:43], v[56:57]
	;; [unrolled: 1-line block ×6, first 2 shown]
	s_waitcnt lgkmcnt(3)
	v_mul_f64 v[112:113], v[58:59], v[72:73]
	s_waitcnt lgkmcnt(2)
	v_mul_f64 v[114:115], v[76:77], v[68:69]
	v_mul_f64 v[116:117], v[76:77], v[72:73]
	v_fma_f64 v[86:87], v[26:27], v[30:31], -v[86:87]
	v_fma_f64 v[88:89], v[28:29], v[30:31], v[88:89]
	v_fma_f64 v[90:91], v[26:27], v[34:35], -v[90:91]
	v_fma_f64 v[92:93], v[28:29], v[34:35], v[92:93]
	;; [unrolled: 2-line block ×4, first 2 shown]
	v_mul_f64 v[36:37], v[60:61], v[68:69]
	v_mul_f64 v[40:41], v[58:59], v[68:69]
	;; [unrolled: 1-line block ×5, first 2 shown]
	v_fma_f64 v[98:99], v[42:43], v[50:51], -v[98:99]
	v_fma_f64 v[100:101], v[44:45], v[50:51], v[100:101]
	v_fma_f64 v[42:43], v[42:43], v[54:55], -v[102:103]
	v_fma_f64 v[44:45], v[44:45], v[54:55], v[104:105]
	;; [unrolled: 2-line block ×4, first 2 shown]
	ds_load_b128 v[26:29], v22 offset:1792
	ds_load_b128 v[30:33], v22 offset:2048
	s_waitcnt lgkmcnt(2)
	v_mul_f64 v[56:57], v[64:65], v[84:85]
	v_add_f64 v[12:13], v[12:13], v[86:87]
	v_add_f64 v[14:15], v[14:15], v[88:89]
	;; [unrolled: 1-line block ×8, first 2 shown]
	v_mul_f64 v[86:87], v[62:63], v[84:85]
	s_waitcnt lgkmcnt(1)
	v_mul_f64 v[88:89], v[64:65], v[28:29]
	v_mul_f64 v[90:91], v[62:63], v[28:29]
	;; [unrolled: 1-line block ×6, first 2 shown]
	v_fma_f64 v[104:105], v[58:59], v[66:67], -v[36:37]
	v_fma_f64 v[106:107], v[60:61], v[66:67], v[40:41]
	v_fma_f64 v[58:59], v[58:59], v[70:71], -v[96:97]
	v_fma_f64 v[60:61], v[60:61], v[70:71], v[112:113]
	;; [unrolled: 2-line block ×4, first 2 shown]
	ds_load_b128 v[0:3], v22 offset:2304
	ds_load_b128 v[4:7], v23 offset:64
	v_fma_f64 v[56:57], v[62:63], v[82:83], -v[56:57]
	v_add_f64 v[72:73], v[12:13], v[98:99]
	v_add_f64 v[74:75], v[14:15], v[100:101]
	;; [unrolled: 1-line block ×8, first 2 shown]
	ds_load_b128 v[8:11], v23 offset:2112
	ds_load_b128 v[12:15], v23 offset:80
	;; [unrolled: 1-line block ×4, first 2 shown]
	s_waitcnt lgkmcnt(4)
	v_mul_f64 v[54:55], v[6:7], v[32:33]
	v_mul_f64 v[76:77], v[4:5], v[32:33]
	;; [unrolled: 1-line block ×4, first 2 shown]
	v_fma_f64 v[86:87], v[64:65], v[82:83], v[86:87]
	v_fma_f64 v[62:63], v[62:63], v[26:27], -v[88:89]
	v_fma_f64 v[64:65], v[64:65], v[26:27], v[90:91]
	v_fma_f64 v[88:89], v[78:79], v[82:83], -v[92:93]
	;; [unrolled: 2-line block ×3, first 2 shown]
	v_fma_f64 v[80:81], v[80:81], v[26:27], v[28:29]
	s_waitcnt lgkmcnt(3)
	v_mul_f64 v[102:103], v[10:11], v[32:33]
	v_mul_f64 v[32:33], v[8:9], v[32:33]
	;; [unrolled: 1-line block ×4, first 2 shown]
	s_waitcnt lgkmcnt(0)
	v_mul_f64 v[90:91], v[14:15], v[40:41]
	v_mul_f64 v[92:93], v[12:13], v[40:41]
	v_add_f64 v[72:73], v[72:73], v[104:105]
	v_add_f64 v[74:75], v[74:75], v[106:107]
	;; [unrolled: 1-line block ×8, first 2 shown]
	ds_load_b128 v[26:29], v22 offset:2816
	ds_load_b128 v[42:45], v22 offset:3072
	;; [unrolled: 1-line block ×4, first 2 shown]
	v_mul_f64 v[104:105], v[36:37], v[40:41]
	v_mul_f64 v[40:41], v[34:35], v[40:41]
	v_fma_f64 v[54:55], v[4:5], v[30:31], -v[54:55]
	v_fma_f64 v[76:77], v[6:7], v[30:31], v[76:77]
	v_fma_f64 v[98:99], v[4:5], v[0:1], -v[98:99]
	v_fma_f64 v[100:101], v[6:7], v[0:1], v[100:101]
	s_waitcnt lgkmcnt(3)
	v_mul_f64 v[94:95], v[14:15], v[28:29]
	v_mul_f64 v[96:97], v[12:13], v[28:29]
	;; [unrolled: 1-line block ×4, first 2 shown]
	v_fma_f64 v[102:103], v[8:9], v[30:31], -v[102:103]
	v_fma_f64 v[32:33], v[10:11], v[30:31], v[32:33]
	v_fma_f64 v[108:109], v[8:9], v[0:1], -v[108:109]
	v_fma_f64 v[112:113], v[10:11], v[0:1], v[2:3]
	ds_load_b128 v[0:3], v23 offset:2144
	ds_load_b128 v[4:7], v23 offset:112
	;; [unrolled: 1-line block ×4, first 2 shown]
	v_add_f64 v[56:57], v[72:73], v[56:57]
	v_add_f64 v[72:73], v[74:75], v[86:87]
	;; [unrolled: 1-line block ×8, first 2 shown]
	s_waitcnt lgkmcnt(4)
	v_mul_f64 v[70:71], v[52:53], v[44:45]
	v_mul_f64 v[74:75], v[50:51], v[44:45]
	v_mul_f64 v[78:79], v[52:53], v[48:49]
	v_mul_f64 v[80:81], v[50:51], v[48:49]
	s_waitcnt lgkmcnt(3)
	v_mul_f64 v[82:83], v[2:3], v[44:45]
	v_mul_f64 v[44:45], v[0:1], v[44:45]
	;; [unrolled: 1-line block ×4, first 2 shown]
	v_fma_f64 v[86:87], v[12:13], v[38:39], -v[90:91]
	v_fma_f64 v[88:89], v[14:15], v[38:39], v[92:93]
	v_fma_f64 v[90:91], v[12:13], v[26:27], -v[94:95]
	v_fma_f64 v[92:93], v[14:15], v[26:27], v[96:97]
	;; [unrolled: 2-line block ×4, first 2 shown]
	ds_load_b128 v[12:15], v22 offset:3840
	s_waitcnt lgkmcnt(0)
	s_barrier
	buffer_gl0_inv
	v_add_f64 v[36:37], v[56:57], v[54:55]
	v_add_f64 v[40:41], v[72:73], v[76:77]
	;; [unrolled: 1-line block ×8, first 2 shown]
	v_mul_f64 v[64:65], v[6:7], v[30:31]
	v_mul_f64 v[66:67], v[4:5], v[30:31]
	;; [unrolled: 1-line block ×4, first 2 shown]
	v_fma_f64 v[70:71], v[50:51], v[42:43], -v[70:71]
	v_mul_f64 v[68:69], v[6:7], v[14:15]
	v_mul_f64 v[72:73], v[4:5], v[14:15]
	;; [unrolled: 1-line block ×4, first 2 shown]
	v_fma_f64 v[74:75], v[52:53], v[42:43], v[74:75]
	v_fma_f64 v[50:51], v[50:51], v[46:47], -v[78:79]
	v_fma_f64 v[52:53], v[52:53], v[46:47], v[80:81]
	v_fma_f64 v[78:79], v[0:1], v[42:43], -v[82:83]
	;; [unrolled: 2-line block ×3, first 2 shown]
	v_fma_f64 v[2:3], v[2:3], v[46:47], v[48:49]
	v_add_f64 v[36:37], v[36:37], v[86:87]
	v_add_f64 v[40:41], v[40:41], v[88:89]
	;; [unrolled: 1-line block ×8, first 2 shown]
	v_fma_f64 v[38:39], v[4:5], v[28:29], -v[64:65]
	v_fma_f64 v[54:55], v[6:7], v[28:29], v[66:67]
	v_fma_f64 v[56:57], v[8:9], v[28:29], -v[76:77]
	v_fma_f64 v[28:29], v[10:11], v[28:29], v[30:31]
	;; [unrolled: 2-line block ×4, first 2 shown]
	v_add_f64 v[8:9], v[36:37], v[70:71]
	v_add_f64 v[10:11], v[40:41], v[74:75]
	;; [unrolled: 1-line block ×16, first 2 shown]
	s_cbranch_vccz .LBB1640_2
.LBB1640_3:
	v_add_nc_u32_e32 v18, s19, v21
	s_load_b32 s4, s[0:1], 0x0
	s_delay_alu instid0(VALU_DEP_1) | instskip(SKIP_2) | instid1(VALU_DEP_3)
	v_ashrrev_i32_e32 v16, 31, v18
	v_mul_lo_u32 v17, v18, s7
	v_mad_u64_u32 v[21:22], null, v18, s6, 0
	v_mul_lo_u32 v16, v16, s6
	s_delay_alu instid0(VALU_DEP_1) | instskip(SKIP_3) | instid1(VALU_DEP_3)
	v_add3_u32 v22, v22, v17, v16
	v_add_nc_u32_e32 v16, s18, v20
	s_waitcnt lgkmcnt(0)
	v_cmp_gt_i32_e32 vcc_lo, s4, v18
	v_lshlrev_b64 v[19:20], 4, v[21:22]
	s_delay_alu instid0(VALU_DEP_3) | instskip(NEXT) | instid1(VALU_DEP_1)
	v_cmp_le_i32_e64 s0, v16, v18
	s_and_b32 s0, vcc_lo, s0
	s_delay_alu instid0(VALU_DEP_2) | instskip(NEXT) | instid1(VALU_DEP_1)
	v_add_co_u32 v19, s1, s2, v19
	v_add_co_ci_u32_e64 v20, s1, s3, v20, s1
	s_and_saveexec_b32 s1, s0
	s_cbranch_execz .LBB1640_5
; %bb.4:
	v_ashrrev_i32_e32 v17, 31, v16
	v_xor_b32_e32 v13, 0x80000000, v13
	v_xor_b32_e32 v15, 0x80000000, v15
	s_delay_alu instid0(VALU_DEP_3) | instskip(NEXT) | instid1(VALU_DEP_1)
	v_lshlrev_b64 v[21:22], 4, v[16:17]
	v_add_co_u32 v21, s0, v19, v21
	s_delay_alu instid0(VALU_DEP_1)
	v_add_co_ci_u32_e64 v22, s0, v20, v22, s0
	global_store_b128 v[21:22], v[12:15], off
.LBB1640_5:
	s_or_b32 exec_lo, exec_lo, s1
	v_add_nc_u32_e32 v12, 16, v16
	s_delay_alu instid0(VALU_DEP_1) | instskip(NEXT) | instid1(VALU_DEP_1)
	v_cmp_le_i32_e64 s0, v12, v18
	s_and_b32 s1, vcc_lo, s0
	s_delay_alu instid0(SALU_CYCLE_1)
	s_and_saveexec_b32 s0, s1
	s_cbranch_execz .LBB1640_7
; %bb.6:
	v_ashrrev_i32_e32 v13, 31, v12
	v_xor_b32_e32 v9, 0x80000000, v9
	v_xor_b32_e32 v11, 0x80000000, v11
	s_delay_alu instid0(VALU_DEP_3) | instskip(NEXT) | instid1(VALU_DEP_1)
	v_lshlrev_b64 v[13:14], 4, v[12:13]
	v_add_co_u32 v13, vcc_lo, v19, v13
	s_delay_alu instid0(VALU_DEP_2)
	v_add_co_ci_u32_e32 v14, vcc_lo, v20, v14, vcc_lo
	global_store_b128 v[13:14], v[8:11], off
.LBB1640_7:
	s_or_b32 exec_lo, exec_lo, s0
	v_add_nc_u32_e32 v10, 16, v18
	s_delay_alu instid0(VALU_DEP_1) | instskip(SKIP_3) | instid1(VALU_DEP_4)
	v_ashrrev_i32_e32 v11, 31, v10
	v_mul_lo_u32 v13, v10, s7
	v_mad_u64_u32 v[8:9], null, v10, s6, 0
	v_cmp_gt_i32_e32 vcc_lo, s4, v10
	v_mul_lo_u32 v11, v11, s6
	v_cmp_le_i32_e64 s0, v16, v10
	s_delay_alu instid0(VALU_DEP_1) | instskip(NEXT) | instid1(VALU_DEP_2)
	s_and_b32 s0, vcc_lo, s0
	v_add3_u32 v9, v9, v13, v11
	s_delay_alu instid0(VALU_DEP_1) | instskip(NEXT) | instid1(VALU_DEP_1)
	v_lshlrev_b64 v[8:9], 4, v[8:9]
	v_add_co_u32 v8, s1, s2, v8
	s_delay_alu instid0(VALU_DEP_1)
	v_add_co_ci_u32_e64 v9, s1, s3, v9, s1
	s_and_saveexec_b32 s1, s0
	s_cbranch_execz .LBB1640_9
; %bb.8:
	v_ashrrev_i32_e32 v17, 31, v16
	v_xor_b32_e32 v5, 0x80000000, v5
	v_xor_b32_e32 v7, 0x80000000, v7
	s_delay_alu instid0(VALU_DEP_3) | instskip(NEXT) | instid1(VALU_DEP_1)
	v_lshlrev_b64 v[13:14], 4, v[16:17]
	v_add_co_u32 v13, s0, v8, v13
	s_delay_alu instid0(VALU_DEP_1)
	v_add_co_ci_u32_e64 v14, s0, v9, v14, s0
	global_store_b128 v[13:14], v[4:7], off
.LBB1640_9:
	s_or_b32 exec_lo, exec_lo, s1
	v_cmp_le_i32_e64 s0, v12, v10
	s_delay_alu instid0(VALU_DEP_1) | instskip(NEXT) | instid1(SALU_CYCLE_1)
	s_and_b32 s0, vcc_lo, s0
	s_and_saveexec_b32 s1, s0
	s_cbranch_execz .LBB1640_11
; %bb.10:
	v_ashrrev_i32_e32 v13, 31, v12
	v_xor_b32_e32 v1, 0x80000000, v1
	v_xor_b32_e32 v3, 0x80000000, v3
	s_delay_alu instid0(VALU_DEP_3) | instskip(NEXT) | instid1(VALU_DEP_1)
	v_lshlrev_b64 v[4:5], 4, v[12:13]
	v_add_co_u32 v4, vcc_lo, v8, v4
	s_delay_alu instid0(VALU_DEP_2)
	v_add_co_ci_u32_e32 v5, vcc_lo, v9, v5, vcc_lo
	global_store_b128 v[4:5], v[0:3], off
.LBB1640_11:
	s_nop 0
	s_sendmsg sendmsg(MSG_DEALLOC_VGPRS)
	s_endpgm
	.section	.rodata,"a",@progbits
	.p2align	6, 0x0
	.amdhsa_kernel _ZL37rocblas_syrkx_herkx_restricted_kernelIl19rocblas_complex_numIdELi16ELi32ELi8ELin1ELi0ELb0ELc84ELc85EKPKS1_KPS1_EviT_PT9_S7_lS9_S7_lPT10_S7_li
		.amdhsa_group_segment_fixed_size 8192
		.amdhsa_private_segment_fixed_size 0
		.amdhsa_kernarg_size 92
		.amdhsa_user_sgpr_count 13
		.amdhsa_user_sgpr_dispatch_ptr 0
		.amdhsa_user_sgpr_queue_ptr 0
		.amdhsa_user_sgpr_kernarg_segment_ptr 1
		.amdhsa_user_sgpr_dispatch_id 0
		.amdhsa_user_sgpr_private_segment_size 0
		.amdhsa_wavefront_size32 1
		.amdhsa_uses_dynamic_stack 0
		.amdhsa_enable_private_segment 0
		.amdhsa_system_sgpr_workgroup_id_x 1
		.amdhsa_system_sgpr_workgroup_id_y 1
		.amdhsa_system_sgpr_workgroup_id_z 1
		.amdhsa_system_sgpr_workgroup_info 0
		.amdhsa_system_vgpr_workitem_id 1
		.amdhsa_next_free_vgpr 118
		.amdhsa_next_free_sgpr 20
		.amdhsa_reserve_vcc 1
		.amdhsa_float_round_mode_32 0
		.amdhsa_float_round_mode_16_64 0
		.amdhsa_float_denorm_mode_32 3
		.amdhsa_float_denorm_mode_16_64 3
		.amdhsa_dx10_clamp 1
		.amdhsa_ieee_mode 1
		.amdhsa_fp16_overflow 0
		.amdhsa_workgroup_processor_mode 1
		.amdhsa_memory_ordered 1
		.amdhsa_forward_progress 0
		.amdhsa_shared_vgpr_count 0
		.amdhsa_exception_fp_ieee_invalid_op 0
		.amdhsa_exception_fp_denorm_src 0
		.amdhsa_exception_fp_ieee_div_zero 0
		.amdhsa_exception_fp_ieee_overflow 0
		.amdhsa_exception_fp_ieee_underflow 0
		.amdhsa_exception_fp_ieee_inexact 0
		.amdhsa_exception_int_div_zero 0
	.end_amdhsa_kernel
	.section	.text._ZL37rocblas_syrkx_herkx_restricted_kernelIl19rocblas_complex_numIdELi16ELi32ELi8ELin1ELi0ELb0ELc84ELc85EKPKS1_KPS1_EviT_PT9_S7_lS9_S7_lPT10_S7_li,"axG",@progbits,_ZL37rocblas_syrkx_herkx_restricted_kernelIl19rocblas_complex_numIdELi16ELi32ELi8ELin1ELi0ELb0ELc84ELc85EKPKS1_KPS1_EviT_PT9_S7_lS9_S7_lPT10_S7_li,comdat
.Lfunc_end1640:
	.size	_ZL37rocblas_syrkx_herkx_restricted_kernelIl19rocblas_complex_numIdELi16ELi32ELi8ELin1ELi0ELb0ELc84ELc85EKPKS1_KPS1_EviT_PT9_S7_lS9_S7_lPT10_S7_li, .Lfunc_end1640-_ZL37rocblas_syrkx_herkx_restricted_kernelIl19rocblas_complex_numIdELi16ELi32ELi8ELin1ELi0ELb0ELc84ELc85EKPKS1_KPS1_EviT_PT9_S7_lS9_S7_lPT10_S7_li
                                        ; -- End function
	.section	.AMDGPU.csdata,"",@progbits
; Kernel info:
; codeLenInByte = 3064
; NumSgprs: 22
; NumVgprs: 118
; ScratchSize: 0
; MemoryBound: 0
; FloatMode: 240
; IeeeMode: 1
; LDSByteSize: 8192 bytes/workgroup (compile time only)
; SGPRBlocks: 2
; VGPRBlocks: 14
; NumSGPRsForWavesPerEU: 22
; NumVGPRsForWavesPerEU: 118
; Occupancy: 12
; WaveLimiterHint : 1
; COMPUTE_PGM_RSRC2:SCRATCH_EN: 0
; COMPUTE_PGM_RSRC2:USER_SGPR: 13
; COMPUTE_PGM_RSRC2:TRAP_HANDLER: 0
; COMPUTE_PGM_RSRC2:TGID_X_EN: 1
; COMPUTE_PGM_RSRC2:TGID_Y_EN: 1
; COMPUTE_PGM_RSRC2:TGID_Z_EN: 1
; COMPUTE_PGM_RSRC2:TIDIG_COMP_CNT: 1
	.section	.text._ZL37rocblas_syrkx_herkx_restricted_kernelIl19rocblas_complex_numIdELi16ELi32ELi8ELin1ELi0ELb0ELc67ELc85EKPKS1_KPS1_EviT_PT9_S7_lS9_S7_lPT10_S7_li,"axG",@progbits,_ZL37rocblas_syrkx_herkx_restricted_kernelIl19rocblas_complex_numIdELi16ELi32ELi8ELin1ELi0ELb0ELc67ELc85EKPKS1_KPS1_EviT_PT9_S7_lS9_S7_lPT10_S7_li,comdat
	.globl	_ZL37rocblas_syrkx_herkx_restricted_kernelIl19rocblas_complex_numIdELi16ELi32ELi8ELin1ELi0ELb0ELc67ELc85EKPKS1_KPS1_EviT_PT9_S7_lS9_S7_lPT10_S7_li ; -- Begin function _ZL37rocblas_syrkx_herkx_restricted_kernelIl19rocblas_complex_numIdELi16ELi32ELi8ELin1ELi0ELb0ELc67ELc85EKPKS1_KPS1_EviT_PT9_S7_lS9_S7_lPT10_S7_li
	.p2align	8
	.type	_ZL37rocblas_syrkx_herkx_restricted_kernelIl19rocblas_complex_numIdELi16ELi32ELi8ELin1ELi0ELb0ELc67ELc85EKPKS1_KPS1_EviT_PT9_S7_lS9_S7_lPT10_S7_li,@function
_ZL37rocblas_syrkx_herkx_restricted_kernelIl19rocblas_complex_numIdELi16ELi32ELi8ELin1ELi0ELb0ELc67ELc85EKPKS1_KPS1_EviT_PT9_S7_lS9_S7_lPT10_S7_li: ; @_ZL37rocblas_syrkx_herkx_restricted_kernelIl19rocblas_complex_numIdELi16ELi32ELi8ELin1ELi0ELb0ELc67ELc85EKPKS1_KPS1_EviT_PT9_S7_lS9_S7_lPT10_S7_li
; %bb.0:
	s_clause 0x1
	s_load_b128 s[4:7], s[0:1], 0x40
	s_load_b128 s[8:11], s[0:1], 0x8
	s_mov_b32 s2, s15
	s_mov_b32 s3, 0
	v_mov_b32_e32 v12, 0
	s_lshl_b64 s[16:17], s[2:3], 3
	v_dual_mov_b32 v13, 0 :: v_dual_and_b32 v20, 0x3ff, v0
	v_bfe_u32 v21, v0, 10, 10
	s_delay_alu instid0(VALU_DEP_3) | instskip(NEXT) | instid1(VALU_DEP_3)
	v_mov_b32_e32 v8, v12
	v_dual_mov_b32 v10, v12 :: v_dual_mov_b32 v11, v13
	v_dual_mov_b32 v15, v13 :: v_dual_mov_b32 v14, v12
	;; [unrolled: 1-line block ×5, first 2 shown]
	v_mov_b32_e32 v1, v13
	s_waitcnt lgkmcnt(0)
	s_add_u32 s2, s4, s16
	s_addc_u32 s3, s5, s17
	v_cmp_lt_i64_e64 s4, s[8:9], 1
	s_load_b64 s[2:3], s[2:3], 0x0
	v_dual_mov_b32 v2, v12 :: v_dual_mov_b32 v3, v13
	s_lshl_b32 s18, s13, 5
	s_lshl_b32 s19, s14, 5
	s_delay_alu instid0(VALU_DEP_2)
	s_and_b32 vcc_lo, exec_lo, s4
	s_cbranch_vccnz .LBB1641_3
; %bb.1:
	s_clause 0x1
	s_load_b128 s[12:15], s[0:1], 0x28
	s_load_b64 s[4:5], s[0:1], 0x18
	v_lshl_add_u32 v2, v21, 4, v20
	v_dual_mov_b32 v1, 0 :: v_dual_and_b32 v0, 7, v20
	s_add_u32 s10, s10, s16
	s_addc_u32 s11, s11, s17
	s_delay_alu instid0(VALU_DEP_2)
	v_lshrrev_b32_e32 v8, 3, v2
	v_and_b32_e32 v9, 31, v2
	v_lshrrev_b32_e32 v2, 5, v2
	v_mov_b32_e32 v3, v1
	s_load_b64 s[10:11], s[10:11], 0x0
	v_add_nc_u32_e32 v10, s19, v8
	v_add_nc_u32_e32 v6, s18, v9
	v_lshl_add_u32 v23, v21, 7, 0x1000
	s_delay_alu instid0(VALU_DEP_3) | instskip(NEXT) | instid1(VALU_DEP_3)
	v_ashrrev_i32_e32 v4, 31, v10
	v_ashrrev_i32_e32 v5, 31, v6
	s_waitcnt lgkmcnt(0)
	s_add_u32 s12, s12, s16
	s_addc_u32 s13, s13, s17
	v_mul_lo_u32 v11, v4, s14
	v_mul_lo_u32 v12, s4, v5
	v_mad_u64_u32 v[4:5], null, s4, v6, v[2:3]
	v_mul_lo_u32 v3, s5, v6
	s_load_b64 s[4:5], s[12:13], 0x0
	v_mul_lo_u32 v13, v10, s15
	v_mad_u64_u32 v[6:7], null, v10, s14, v[0:1]
	v_lshlrev_b32_e32 v0, 4, v0
	s_delay_alu instid0(VALU_DEP_4) | instskip(SKIP_1) | instid1(VALU_DEP_3)
	v_add3_u32 v5, v3, v5, v12
	v_lshlrev_b32_e32 v3, 4, v9
	v_lshl_or_b32 v8, v8, 7, v0
	v_add3_u32 v7, v11, v7, v13
	s_delay_alu instid0(VALU_DEP_4) | instskip(NEXT) | instid1(VALU_DEP_4)
	v_lshlrev_b64 v[0:1], 4, v[4:5]
	v_lshl_or_b32 v24, v2, 9, v3
	s_delay_alu instid0(VALU_DEP_3) | instskip(NEXT) | instid1(VALU_DEP_3)
	v_lshlrev_b64 v[2:3], 4, v[6:7]
	v_add_co_u32 v0, vcc_lo, v0, s10
	s_delay_alu instid0(VALU_DEP_4) | instskip(SKIP_1) | instid1(VALU_DEP_3)
	v_add_co_ci_u32_e32 v1, vcc_lo, s11, v1, vcc_lo
	s_waitcnt lgkmcnt(0)
	v_add_co_u32 v4, vcc_lo, v2, s4
	s_delay_alu instid0(VALU_DEP_4)
	v_add_co_ci_u32_e32 v5, vcc_lo, s5, v3, vcc_lo
	v_mov_b32_e32 v2, 0
	v_mov_b32_e32 v3, 0
	v_add_co_u32 v16, vcc_lo, v0, 8
	v_add_co_ci_u32_e32 v17, vcc_lo, 0, v1, vcc_lo
	v_add_co_u32 v18, vcc_lo, v4, 8
	s_delay_alu instid0(VALU_DEP_4)
	v_dual_mov_b32 v7, v3 :: v_dual_lshlrev_b32 v22, 4, v20
	v_add_co_ci_u32_e32 v19, vcc_lo, 0, v5, vcc_lo
	v_dual_mov_b32 v6, v2 :: v_dual_mov_b32 v5, v3
	v_dual_mov_b32 v4, v2 :: v_dual_mov_b32 v11, v3
	v_dual_mov_b32 v0, v2 :: v_dual_add_nc_u32 v25, 0x1000, v8
	v_dual_mov_b32 v10, v2 :: v_dual_mov_b32 v9, v3
	v_dual_mov_b32 v8, v2 :: v_dual_mov_b32 v15, v3
	v_dual_mov_b32 v14, v2 :: v_dual_mov_b32 v13, v3
	v_dual_mov_b32 v1, v3 :: v_dual_mov_b32 v12, v2
	s_mov_b64 s[4:5], 0
.LBB1641_2:                             ; =>This Inner Loop Header: Depth=1
	global_load_b128 v[26:29], v[16:17], off offset:-8
	global_load_b128 v[30:33], v[18:19], off offset:-8
	s_add_u32 s4, s4, 8
	v_add_co_u32 v16, vcc_lo, 0x80, v16
	s_addc_u32 s5, s5, 0
	v_add_co_ci_u32_e32 v17, vcc_lo, 0, v17, vcc_lo
	v_cmp_ge_u64_e64 s10, s[4:5], s[8:9]
	v_add_co_u32 v18, vcc_lo, 0x80, v18
	v_add_co_ci_u32_e32 v19, vcc_lo, 0, v19, vcc_lo
	s_waitcnt vmcnt(1)
	ds_store_b128 v24, v[26:29]
	s_waitcnt vmcnt(0)
	ds_store_b128 v25, v[30:33]
	s_waitcnt lgkmcnt(0)
	s_barrier
	buffer_gl0_inv
	ds_load_b128 v[26:29], v23
	ds_load_b128 v[30:33], v22
	ds_load_b128 v[34:37], v22 offset:256
	ds_load_b128 v[38:41], v23 offset:2048
	;; [unrolled: 1-line block ×13, first 2 shown]
	s_and_b32 vcc_lo, exec_lo, s10
	s_waitcnt lgkmcnt(13)
	v_mul_f64 v[86:87], v[28:29], v[32:33]
	v_mul_f64 v[88:89], v[26:27], v[32:33]
	s_waitcnt lgkmcnt(12)
	v_mul_f64 v[90:91], v[28:29], v[36:37]
	v_mul_f64 v[92:93], v[26:27], v[36:37]
	;; [unrolled: 3-line block ×3, first 2 shown]
	v_mul_f64 v[96:97], v[40:41], v[36:37]
	v_mul_f64 v[36:37], v[38:39], v[36:37]
	s_waitcnt lgkmcnt(8)
	v_mul_f64 v[98:99], v[44:45], v[52:53]
	v_mul_f64 v[100:101], v[42:43], v[52:53]
	s_waitcnt lgkmcnt(7)
	v_mul_f64 v[102:103], v[44:45], v[56:57]
	v_mul_f64 v[104:105], v[42:43], v[56:57]
	;; [unrolled: 1-line block ×6, first 2 shown]
	s_waitcnt lgkmcnt(3)
	v_mul_f64 v[112:113], v[58:59], v[72:73]
	s_waitcnt lgkmcnt(2)
	v_mul_f64 v[114:115], v[76:77], v[68:69]
	v_mul_f64 v[116:117], v[76:77], v[72:73]
	v_fma_f64 v[86:87], v[26:27], v[30:31], -v[86:87]
	v_fma_f64 v[88:89], v[28:29], v[30:31], v[88:89]
	v_fma_f64 v[90:91], v[26:27], v[34:35], -v[90:91]
	v_fma_f64 v[92:93], v[28:29], v[34:35], v[92:93]
	;; [unrolled: 2-line block ×4, first 2 shown]
	v_mul_f64 v[36:37], v[60:61], v[68:69]
	v_mul_f64 v[40:41], v[58:59], v[68:69]
	;; [unrolled: 1-line block ×5, first 2 shown]
	v_fma_f64 v[98:99], v[42:43], v[50:51], -v[98:99]
	v_fma_f64 v[100:101], v[44:45], v[50:51], v[100:101]
	v_fma_f64 v[42:43], v[42:43], v[54:55], -v[102:103]
	v_fma_f64 v[44:45], v[44:45], v[54:55], v[104:105]
	;; [unrolled: 2-line block ×4, first 2 shown]
	ds_load_b128 v[26:29], v22 offset:1792
	ds_load_b128 v[30:33], v22 offset:2048
	s_waitcnt lgkmcnt(2)
	v_mul_f64 v[56:57], v[64:65], v[84:85]
	v_add_f64 v[12:13], v[12:13], v[86:87]
	v_add_f64 v[14:15], v[14:15], v[88:89]
	;; [unrolled: 1-line block ×8, first 2 shown]
	v_mul_f64 v[86:87], v[62:63], v[84:85]
	s_waitcnt lgkmcnt(1)
	v_mul_f64 v[88:89], v[64:65], v[28:29]
	v_mul_f64 v[90:91], v[62:63], v[28:29]
	;; [unrolled: 1-line block ×6, first 2 shown]
	v_fma_f64 v[104:105], v[58:59], v[66:67], -v[36:37]
	v_fma_f64 v[106:107], v[60:61], v[66:67], v[40:41]
	v_fma_f64 v[58:59], v[58:59], v[70:71], -v[96:97]
	v_fma_f64 v[60:61], v[60:61], v[70:71], v[112:113]
	;; [unrolled: 2-line block ×4, first 2 shown]
	ds_load_b128 v[0:3], v22 offset:2304
	ds_load_b128 v[4:7], v23 offset:64
	v_fma_f64 v[56:57], v[62:63], v[82:83], -v[56:57]
	v_add_f64 v[72:73], v[12:13], v[98:99]
	v_add_f64 v[74:75], v[14:15], v[100:101]
	v_add_f64 v[42:43], v[8:9], v[42:43]
	v_add_f64 v[44:45], v[10:11], v[44:45]
	v_add_f64 v[52:53], v[52:53], v[102:103]
	v_add_f64 v[50:51], v[54:55], v[50:51]
	v_add_f64 v[46:47], v[38:39], v[46:47]
	v_add_f64 v[48:49], v[34:35], v[48:49]
	ds_load_b128 v[8:11], v23 offset:2112
	ds_load_b128 v[12:15], v23 offset:80
	;; [unrolled: 1-line block ×4, first 2 shown]
	s_waitcnt lgkmcnt(4)
	v_mul_f64 v[54:55], v[6:7], v[32:33]
	v_mul_f64 v[76:77], v[4:5], v[32:33]
	;; [unrolled: 1-line block ×4, first 2 shown]
	v_fma_f64 v[86:87], v[64:65], v[82:83], v[86:87]
	v_fma_f64 v[62:63], v[62:63], v[26:27], -v[88:89]
	v_fma_f64 v[64:65], v[64:65], v[26:27], v[90:91]
	v_fma_f64 v[88:89], v[78:79], v[82:83], -v[92:93]
	;; [unrolled: 2-line block ×3, first 2 shown]
	v_fma_f64 v[80:81], v[80:81], v[26:27], v[28:29]
	s_waitcnt lgkmcnt(3)
	v_mul_f64 v[102:103], v[10:11], v[32:33]
	v_mul_f64 v[32:33], v[8:9], v[32:33]
	;; [unrolled: 1-line block ×4, first 2 shown]
	s_waitcnt lgkmcnt(0)
	v_mul_f64 v[90:91], v[14:15], v[40:41]
	v_mul_f64 v[92:93], v[12:13], v[40:41]
	v_add_f64 v[72:73], v[72:73], v[104:105]
	v_add_f64 v[74:75], v[74:75], v[106:107]
	;; [unrolled: 1-line block ×8, first 2 shown]
	ds_load_b128 v[26:29], v22 offset:2816
	ds_load_b128 v[42:45], v22 offset:3072
	;; [unrolled: 1-line block ×4, first 2 shown]
	v_mul_f64 v[104:105], v[36:37], v[40:41]
	v_mul_f64 v[40:41], v[34:35], v[40:41]
	v_fma_f64 v[54:55], v[4:5], v[30:31], -v[54:55]
	v_fma_f64 v[76:77], v[6:7], v[30:31], v[76:77]
	v_fma_f64 v[98:99], v[4:5], v[0:1], -v[98:99]
	v_fma_f64 v[100:101], v[6:7], v[0:1], v[100:101]
	s_waitcnt lgkmcnt(3)
	v_mul_f64 v[94:95], v[14:15], v[28:29]
	v_mul_f64 v[96:97], v[12:13], v[28:29]
	;; [unrolled: 1-line block ×4, first 2 shown]
	v_fma_f64 v[102:103], v[8:9], v[30:31], -v[102:103]
	v_fma_f64 v[32:33], v[10:11], v[30:31], v[32:33]
	v_fma_f64 v[108:109], v[8:9], v[0:1], -v[108:109]
	v_fma_f64 v[112:113], v[10:11], v[0:1], v[2:3]
	ds_load_b128 v[0:3], v23 offset:2144
	ds_load_b128 v[4:7], v23 offset:112
	;; [unrolled: 1-line block ×4, first 2 shown]
	v_add_f64 v[56:57], v[72:73], v[56:57]
	v_add_f64 v[72:73], v[74:75], v[86:87]
	;; [unrolled: 1-line block ×8, first 2 shown]
	s_waitcnt lgkmcnt(4)
	v_mul_f64 v[70:71], v[52:53], v[44:45]
	v_mul_f64 v[74:75], v[50:51], v[44:45]
	;; [unrolled: 1-line block ×4, first 2 shown]
	s_waitcnt lgkmcnt(3)
	v_mul_f64 v[82:83], v[2:3], v[44:45]
	v_mul_f64 v[44:45], v[0:1], v[44:45]
	;; [unrolled: 1-line block ×4, first 2 shown]
	v_fma_f64 v[86:87], v[12:13], v[38:39], -v[90:91]
	v_fma_f64 v[88:89], v[14:15], v[38:39], v[92:93]
	v_fma_f64 v[90:91], v[12:13], v[26:27], -v[94:95]
	v_fma_f64 v[92:93], v[14:15], v[26:27], v[96:97]
	;; [unrolled: 2-line block ×4, first 2 shown]
	ds_load_b128 v[12:15], v22 offset:3840
	s_waitcnt lgkmcnt(0)
	s_barrier
	buffer_gl0_inv
	v_add_f64 v[36:37], v[56:57], v[54:55]
	v_add_f64 v[40:41], v[72:73], v[76:77]
	;; [unrolled: 1-line block ×8, first 2 shown]
	v_mul_f64 v[64:65], v[6:7], v[30:31]
	v_mul_f64 v[66:67], v[4:5], v[30:31]
	;; [unrolled: 1-line block ×4, first 2 shown]
	v_fma_f64 v[70:71], v[50:51], v[42:43], -v[70:71]
	v_mul_f64 v[68:69], v[6:7], v[14:15]
	v_mul_f64 v[72:73], v[4:5], v[14:15]
	;; [unrolled: 1-line block ×4, first 2 shown]
	v_fma_f64 v[74:75], v[52:53], v[42:43], v[74:75]
	v_fma_f64 v[50:51], v[50:51], v[46:47], -v[78:79]
	v_fma_f64 v[52:53], v[52:53], v[46:47], v[80:81]
	v_fma_f64 v[78:79], v[0:1], v[42:43], -v[82:83]
	;; [unrolled: 2-line block ×3, first 2 shown]
	v_fma_f64 v[2:3], v[2:3], v[46:47], v[48:49]
	v_add_f64 v[36:37], v[36:37], v[86:87]
	v_add_f64 v[40:41], v[40:41], v[88:89]
	;; [unrolled: 1-line block ×8, first 2 shown]
	v_fma_f64 v[38:39], v[4:5], v[28:29], -v[64:65]
	v_fma_f64 v[54:55], v[6:7], v[28:29], v[66:67]
	v_fma_f64 v[56:57], v[8:9], v[28:29], -v[76:77]
	v_fma_f64 v[28:29], v[10:11], v[28:29], v[30:31]
	v_fma_f64 v[4:5], v[4:5], v[12:13], -v[68:69]
	v_fma_f64 v[6:7], v[6:7], v[12:13], v[72:73]
	v_fma_f64 v[30:31], v[8:9], v[12:13], -v[96:97]
	v_fma_f64 v[58:59], v[10:11], v[12:13], v[14:15]
	v_add_f64 v[8:9], v[36:37], v[70:71]
	v_add_f64 v[10:11], v[40:41], v[74:75]
	;; [unrolled: 1-line block ×16, first 2 shown]
	s_cbranch_vccz .LBB1641_2
.LBB1641_3:
	v_add_nc_u32_e32 v18, s19, v21
	s_load_b32 s4, s[0:1], 0x0
	s_delay_alu instid0(VALU_DEP_1) | instskip(SKIP_2) | instid1(VALU_DEP_3)
	v_ashrrev_i32_e32 v16, 31, v18
	v_mul_lo_u32 v17, v18, s7
	v_mad_u64_u32 v[21:22], null, v18, s6, 0
	v_mul_lo_u32 v16, v16, s6
	s_delay_alu instid0(VALU_DEP_1) | instskip(SKIP_3) | instid1(VALU_DEP_3)
	v_add3_u32 v22, v22, v17, v16
	v_add_nc_u32_e32 v16, s18, v20
	s_waitcnt lgkmcnt(0)
	v_cmp_gt_i32_e32 vcc_lo, s4, v18
	v_lshlrev_b64 v[19:20], 4, v[21:22]
	s_delay_alu instid0(VALU_DEP_3) | instskip(NEXT) | instid1(VALU_DEP_1)
	v_cmp_le_i32_e64 s0, v16, v18
	s_and_b32 s0, vcc_lo, s0
	s_delay_alu instid0(VALU_DEP_2) | instskip(NEXT) | instid1(VALU_DEP_1)
	v_add_co_u32 v19, s1, s2, v19
	v_add_co_ci_u32_e64 v20, s1, s3, v20, s1
	s_and_saveexec_b32 s1, s0
	s_cbranch_execz .LBB1641_5
; %bb.4:
	v_ashrrev_i32_e32 v17, 31, v16
	v_xor_b32_e32 v13, 0x80000000, v13
	v_xor_b32_e32 v15, 0x80000000, v15
	s_delay_alu instid0(VALU_DEP_3) | instskip(NEXT) | instid1(VALU_DEP_1)
	v_lshlrev_b64 v[21:22], 4, v[16:17]
	v_add_co_u32 v21, s0, v19, v21
	s_delay_alu instid0(VALU_DEP_1)
	v_add_co_ci_u32_e64 v22, s0, v20, v22, s0
	global_store_b128 v[21:22], v[12:15], off
.LBB1641_5:
	s_or_b32 exec_lo, exec_lo, s1
	v_add_nc_u32_e32 v12, 16, v16
	s_delay_alu instid0(VALU_DEP_1) | instskip(NEXT) | instid1(VALU_DEP_1)
	v_cmp_le_i32_e64 s0, v12, v18
	s_and_b32 s1, vcc_lo, s0
	s_delay_alu instid0(SALU_CYCLE_1)
	s_and_saveexec_b32 s0, s1
	s_cbranch_execz .LBB1641_7
; %bb.6:
	v_ashrrev_i32_e32 v13, 31, v12
	v_xor_b32_e32 v9, 0x80000000, v9
	v_xor_b32_e32 v11, 0x80000000, v11
	s_delay_alu instid0(VALU_DEP_3) | instskip(NEXT) | instid1(VALU_DEP_1)
	v_lshlrev_b64 v[13:14], 4, v[12:13]
	v_add_co_u32 v13, vcc_lo, v19, v13
	s_delay_alu instid0(VALU_DEP_2)
	v_add_co_ci_u32_e32 v14, vcc_lo, v20, v14, vcc_lo
	global_store_b128 v[13:14], v[8:11], off
.LBB1641_7:
	s_or_b32 exec_lo, exec_lo, s0
	v_add_nc_u32_e32 v10, 16, v18
	s_delay_alu instid0(VALU_DEP_1) | instskip(SKIP_3) | instid1(VALU_DEP_4)
	v_ashrrev_i32_e32 v11, 31, v10
	v_mul_lo_u32 v13, v10, s7
	v_mad_u64_u32 v[8:9], null, v10, s6, 0
	v_cmp_gt_i32_e32 vcc_lo, s4, v10
	v_mul_lo_u32 v11, v11, s6
	v_cmp_le_i32_e64 s0, v16, v10
	s_delay_alu instid0(VALU_DEP_1) | instskip(NEXT) | instid1(VALU_DEP_2)
	s_and_b32 s0, vcc_lo, s0
	v_add3_u32 v9, v9, v13, v11
	s_delay_alu instid0(VALU_DEP_1) | instskip(NEXT) | instid1(VALU_DEP_1)
	v_lshlrev_b64 v[8:9], 4, v[8:9]
	v_add_co_u32 v8, s1, s2, v8
	s_delay_alu instid0(VALU_DEP_1)
	v_add_co_ci_u32_e64 v9, s1, s3, v9, s1
	s_and_saveexec_b32 s1, s0
	s_cbranch_execz .LBB1641_9
; %bb.8:
	v_ashrrev_i32_e32 v17, 31, v16
	v_xor_b32_e32 v5, 0x80000000, v5
	v_xor_b32_e32 v7, 0x80000000, v7
	s_delay_alu instid0(VALU_DEP_3) | instskip(NEXT) | instid1(VALU_DEP_1)
	v_lshlrev_b64 v[13:14], 4, v[16:17]
	v_add_co_u32 v13, s0, v8, v13
	s_delay_alu instid0(VALU_DEP_1)
	v_add_co_ci_u32_e64 v14, s0, v9, v14, s0
	global_store_b128 v[13:14], v[4:7], off
.LBB1641_9:
	s_or_b32 exec_lo, exec_lo, s1
	v_cmp_le_i32_e64 s0, v12, v10
	s_delay_alu instid0(VALU_DEP_1) | instskip(NEXT) | instid1(SALU_CYCLE_1)
	s_and_b32 s0, vcc_lo, s0
	s_and_saveexec_b32 s1, s0
	s_cbranch_execz .LBB1641_11
; %bb.10:
	v_ashrrev_i32_e32 v13, 31, v12
	v_xor_b32_e32 v1, 0x80000000, v1
	v_xor_b32_e32 v3, 0x80000000, v3
	s_delay_alu instid0(VALU_DEP_3) | instskip(NEXT) | instid1(VALU_DEP_1)
	v_lshlrev_b64 v[4:5], 4, v[12:13]
	v_add_co_u32 v4, vcc_lo, v8, v4
	s_delay_alu instid0(VALU_DEP_2)
	v_add_co_ci_u32_e32 v5, vcc_lo, v9, v5, vcc_lo
	global_store_b128 v[4:5], v[0:3], off
.LBB1641_11:
	s_nop 0
	s_sendmsg sendmsg(MSG_DEALLOC_VGPRS)
	s_endpgm
	.section	.rodata,"a",@progbits
	.p2align	6, 0x0
	.amdhsa_kernel _ZL37rocblas_syrkx_herkx_restricted_kernelIl19rocblas_complex_numIdELi16ELi32ELi8ELin1ELi0ELb0ELc67ELc85EKPKS1_KPS1_EviT_PT9_S7_lS9_S7_lPT10_S7_li
		.amdhsa_group_segment_fixed_size 8192
		.amdhsa_private_segment_fixed_size 0
		.amdhsa_kernarg_size 92
		.amdhsa_user_sgpr_count 13
		.amdhsa_user_sgpr_dispatch_ptr 0
		.amdhsa_user_sgpr_queue_ptr 0
		.amdhsa_user_sgpr_kernarg_segment_ptr 1
		.amdhsa_user_sgpr_dispatch_id 0
		.amdhsa_user_sgpr_private_segment_size 0
		.amdhsa_wavefront_size32 1
		.amdhsa_uses_dynamic_stack 0
		.amdhsa_enable_private_segment 0
		.amdhsa_system_sgpr_workgroup_id_x 1
		.amdhsa_system_sgpr_workgroup_id_y 1
		.amdhsa_system_sgpr_workgroup_id_z 1
		.amdhsa_system_sgpr_workgroup_info 0
		.amdhsa_system_vgpr_workitem_id 1
		.amdhsa_next_free_vgpr 118
		.amdhsa_next_free_sgpr 20
		.amdhsa_reserve_vcc 1
		.amdhsa_float_round_mode_32 0
		.amdhsa_float_round_mode_16_64 0
		.amdhsa_float_denorm_mode_32 3
		.amdhsa_float_denorm_mode_16_64 3
		.amdhsa_dx10_clamp 1
		.amdhsa_ieee_mode 1
		.amdhsa_fp16_overflow 0
		.amdhsa_workgroup_processor_mode 1
		.amdhsa_memory_ordered 1
		.amdhsa_forward_progress 0
		.amdhsa_shared_vgpr_count 0
		.amdhsa_exception_fp_ieee_invalid_op 0
		.amdhsa_exception_fp_denorm_src 0
		.amdhsa_exception_fp_ieee_div_zero 0
		.amdhsa_exception_fp_ieee_overflow 0
		.amdhsa_exception_fp_ieee_underflow 0
		.amdhsa_exception_fp_ieee_inexact 0
		.amdhsa_exception_int_div_zero 0
	.end_amdhsa_kernel
	.section	.text._ZL37rocblas_syrkx_herkx_restricted_kernelIl19rocblas_complex_numIdELi16ELi32ELi8ELin1ELi0ELb0ELc67ELc85EKPKS1_KPS1_EviT_PT9_S7_lS9_S7_lPT10_S7_li,"axG",@progbits,_ZL37rocblas_syrkx_herkx_restricted_kernelIl19rocblas_complex_numIdELi16ELi32ELi8ELin1ELi0ELb0ELc67ELc85EKPKS1_KPS1_EviT_PT9_S7_lS9_S7_lPT10_S7_li,comdat
.Lfunc_end1641:
	.size	_ZL37rocblas_syrkx_herkx_restricted_kernelIl19rocblas_complex_numIdELi16ELi32ELi8ELin1ELi0ELb0ELc67ELc85EKPKS1_KPS1_EviT_PT9_S7_lS9_S7_lPT10_S7_li, .Lfunc_end1641-_ZL37rocblas_syrkx_herkx_restricted_kernelIl19rocblas_complex_numIdELi16ELi32ELi8ELin1ELi0ELb0ELc67ELc85EKPKS1_KPS1_EviT_PT9_S7_lS9_S7_lPT10_S7_li
                                        ; -- End function
	.section	.AMDGPU.csdata,"",@progbits
; Kernel info:
; codeLenInByte = 3064
; NumSgprs: 22
; NumVgprs: 118
; ScratchSize: 0
; MemoryBound: 0
; FloatMode: 240
; IeeeMode: 1
; LDSByteSize: 8192 bytes/workgroup (compile time only)
; SGPRBlocks: 2
; VGPRBlocks: 14
; NumSGPRsForWavesPerEU: 22
; NumVGPRsForWavesPerEU: 118
; Occupancy: 12
; WaveLimiterHint : 1
; COMPUTE_PGM_RSRC2:SCRATCH_EN: 0
; COMPUTE_PGM_RSRC2:USER_SGPR: 13
; COMPUTE_PGM_RSRC2:TRAP_HANDLER: 0
; COMPUTE_PGM_RSRC2:TGID_X_EN: 1
; COMPUTE_PGM_RSRC2:TGID_Y_EN: 1
; COMPUTE_PGM_RSRC2:TGID_Z_EN: 1
; COMPUTE_PGM_RSRC2:TIDIG_COMP_CNT: 1
	.section	.text._ZL37rocblas_syrkx_herkx_restricted_kernelIl19rocblas_complex_numIdELi16ELi32ELi8ELin1ELi0ELb0ELc78ELc85EKPKS1_KPS1_EviT_PT9_S7_lS9_S7_lPT10_S7_li,"axG",@progbits,_ZL37rocblas_syrkx_herkx_restricted_kernelIl19rocblas_complex_numIdELi16ELi32ELi8ELin1ELi0ELb0ELc78ELc85EKPKS1_KPS1_EviT_PT9_S7_lS9_S7_lPT10_S7_li,comdat
	.globl	_ZL37rocblas_syrkx_herkx_restricted_kernelIl19rocblas_complex_numIdELi16ELi32ELi8ELin1ELi0ELb0ELc78ELc85EKPKS1_KPS1_EviT_PT9_S7_lS9_S7_lPT10_S7_li ; -- Begin function _ZL37rocblas_syrkx_herkx_restricted_kernelIl19rocblas_complex_numIdELi16ELi32ELi8ELin1ELi0ELb0ELc78ELc85EKPKS1_KPS1_EviT_PT9_S7_lS9_S7_lPT10_S7_li
	.p2align	8
	.type	_ZL37rocblas_syrkx_herkx_restricted_kernelIl19rocblas_complex_numIdELi16ELi32ELi8ELin1ELi0ELb0ELc78ELc85EKPKS1_KPS1_EviT_PT9_S7_lS9_S7_lPT10_S7_li,@function
_ZL37rocblas_syrkx_herkx_restricted_kernelIl19rocblas_complex_numIdELi16ELi32ELi8ELin1ELi0ELb0ELc78ELc85EKPKS1_KPS1_EviT_PT9_S7_lS9_S7_lPT10_S7_li: ; @_ZL37rocblas_syrkx_herkx_restricted_kernelIl19rocblas_complex_numIdELi16ELi32ELi8ELin1ELi0ELb0ELc78ELc85EKPKS1_KPS1_EviT_PT9_S7_lS9_S7_lPT10_S7_li
; %bb.0:
	s_clause 0x1
	s_load_b128 s[4:7], s[0:1], 0x40
	s_load_b128 s[8:11], s[0:1], 0x8
	s_mov_b32 s2, s15
	s_mov_b32 s3, 0
	v_mov_b32_e32 v12, 0
	s_lshl_b64 s[16:17], s[2:3], 3
	v_dual_mov_b32 v13, 0 :: v_dual_and_b32 v20, 0x3ff, v0
	v_bfe_u32 v21, v0, 10, 10
	s_delay_alu instid0(VALU_DEP_3) | instskip(NEXT) | instid1(VALU_DEP_3)
	v_mov_b32_e32 v8, v12
	v_dual_mov_b32 v10, v12 :: v_dual_mov_b32 v11, v13
	v_dual_mov_b32 v15, v13 :: v_dual_mov_b32 v14, v12
	;; [unrolled: 1-line block ×5, first 2 shown]
	v_mov_b32_e32 v1, v13
	s_waitcnt lgkmcnt(0)
	s_add_u32 s2, s4, s16
	s_addc_u32 s3, s5, s17
	v_cmp_lt_i64_e64 s4, s[8:9], 1
	s_load_b64 s[2:3], s[2:3], 0x0
	v_dual_mov_b32 v2, v12 :: v_dual_mov_b32 v3, v13
	s_lshl_b32 s18, s13, 5
	s_lshl_b32 s19, s14, 5
	s_delay_alu instid0(VALU_DEP_2)
	s_and_b32 vcc_lo, exec_lo, s4
	s_cbranch_vccnz .LBB1642_3
; %bb.1:
	v_lshl_add_u32 v1, v21, 4, v20
	s_clause 0x1
	s_load_b64 s[4:5], s[0:1], 0x18
	s_load_b128 s[12:15], s[0:1], 0x28
	v_and_b32_e32 v7, 7, v20
	s_add_u32 s10, s10, s16
	s_addc_u32 s11, s11, s17
	v_lshrrev_b32_e32 v12, 3, v1
	v_and_b32_e32 v11, 31, v1
	v_lshrrev_b32_e32 v13, 5, v1
	s_load_b64 s[10:11], s[10:11], 0x0
	v_lshlrev_b32_e32 v22, 4, v20
	v_add_nc_u32_e32 v2, s19, v12
	v_lshl_add_u32 v23, v21, 7, 0x1000
	s_delay_alu instid0(VALU_DEP_2) | instskip(SKIP_1) | instid1(VALU_DEP_1)
	v_ashrrev_i32_e32 v3, 31, v2
	s_waitcnt lgkmcnt(0)
	v_mad_u64_u32 v[8:9], null, v7, s14, v[2:3]
	v_add_nc_u32_e32 v0, s18, v11
	s_add_u32 s12, s12, s16
	s_addc_u32 s13, s13, s17
	v_mov_b32_e32 v2, 0
	s_load_b64 s[12:13], s[12:13], 0x0
	v_ashrrev_i32_e32 v1, 31, v0
	v_mov_b32_e32 v3, 0
	s_delay_alu instid0(VALU_DEP_2) | instskip(SKIP_1) | instid1(VALU_DEP_1)
	v_mad_u64_u32 v[4:5], null, v13, s4, v[0:1]
	v_mov_b32_e32 v1, v9
	v_mad_u64_u32 v[9:10], null, v7, s15, v[1:2]
	s_delay_alu instid0(VALU_DEP_3) | instskip(SKIP_2) | instid1(VALU_DEP_3)
	v_mov_b32_e32 v0, v5
	v_lshlrev_b32_e32 v10, 4, v7
	v_lshlrev_b32_e32 v14, 4, v11
	v_mad_u64_u32 v[5:6], null, v13, s5, v[0:1]
	v_dual_mov_b32 v0, v2 :: v_dual_mov_b32 v7, v3
	v_mov_b32_e32 v1, v3
	v_lshl_or_b32 v12, v12, 7, v10
	v_lshlrev_b64 v[8:9], 4, v[8:9]
	v_mov_b32_e32 v6, v2
	v_lshlrev_b64 v[10:11], 4, v[4:5]
	v_dual_mov_b32 v5, v3 :: v_dual_mov_b32 v4, v2
	v_add_nc_u32_e32 v25, 0x1000, v12
	s_lshl_b64 s[4:5], s[4:5], 7
	s_delay_alu instid0(VALU_DEP_3) | instskip(NEXT) | instid1(VALU_DEP_4)
	v_add_co_u32 v10, vcc_lo, v10, s10
	v_add_co_ci_u32_e32 v11, vcc_lo, s11, v11, vcc_lo
	s_waitcnt lgkmcnt(0)
	v_add_co_u32 v8, vcc_lo, v8, s12
	v_add_co_ci_u32_e32 v9, vcc_lo, s13, v9, vcc_lo
	v_add_co_u32 v16, vcc_lo, v10, 8
	v_add_co_ci_u32_e32 v17, vcc_lo, 0, v11, vcc_lo
	s_delay_alu instid0(VALU_DEP_4)
	v_add_co_u32 v18, vcc_lo, v8, 8
	v_mov_b32_e32 v11, v3
	v_add_co_ci_u32_e32 v19, vcc_lo, 0, v9, vcc_lo
	v_dual_mov_b32 v10, v2 :: v_dual_mov_b32 v9, v3
	v_lshl_or_b32 v24, v13, 9, v14
	v_dual_mov_b32 v8, v2 :: v_dual_mov_b32 v15, v3
	v_dual_mov_b32 v14, v2 :: v_dual_mov_b32 v13, v3
	v_mov_b32_e32 v12, v2
	s_lshl_b64 s[10:11], s[14:15], 7
	s_mov_b64 s[12:13], 0
.LBB1642_2:                             ; =>This Inner Loop Header: Depth=1
	global_load_b128 v[26:29], v[16:17], off offset:-8
	global_load_b128 v[30:33], v[18:19], off offset:-8
	s_add_u32 s12, s12, 8
	v_add_co_u32 v16, vcc_lo, v16, s4
	s_addc_u32 s13, s13, 0
	v_add_co_ci_u32_e32 v17, vcc_lo, s5, v17, vcc_lo
	v_cmp_ge_u64_e64 s14, s[12:13], s[8:9]
	v_add_co_u32 v18, vcc_lo, v18, s10
	v_add_co_ci_u32_e32 v19, vcc_lo, s11, v19, vcc_lo
	s_waitcnt vmcnt(1)
	ds_store_b128 v24, v[26:29]
	s_waitcnt vmcnt(0)
	ds_store_b128 v25, v[30:33]
	s_waitcnt lgkmcnt(0)
	s_barrier
	buffer_gl0_inv
	ds_load_b128 v[26:29], v23
	ds_load_b128 v[30:33], v22
	ds_load_b128 v[34:37], v22 offset:256
	ds_load_b128 v[38:41], v23 offset:2048
	;; [unrolled: 1-line block ×13, first 2 shown]
	s_and_b32 vcc_lo, exec_lo, s14
	s_waitcnt lgkmcnt(13)
	v_mul_f64 v[86:87], v[28:29], v[32:33]
	v_mul_f64 v[88:89], v[26:27], v[32:33]
	s_waitcnt lgkmcnt(12)
	v_mul_f64 v[90:91], v[28:29], v[36:37]
	v_mul_f64 v[92:93], v[26:27], v[36:37]
	s_waitcnt lgkmcnt(11)
	v_mul_f64 v[94:95], v[40:41], v[32:33]
	v_mul_f64 v[32:33], v[38:39], v[32:33]
	v_mul_f64 v[96:97], v[40:41], v[36:37]
	v_mul_f64 v[36:37], v[38:39], v[36:37]
	s_waitcnt lgkmcnt(8)
	v_mul_f64 v[98:99], v[44:45], v[52:53]
	v_mul_f64 v[100:101], v[42:43], v[52:53]
	s_waitcnt lgkmcnt(7)
	v_mul_f64 v[102:103], v[44:45], v[56:57]
	v_mul_f64 v[104:105], v[42:43], v[56:57]
	;; [unrolled: 1-line block ×6, first 2 shown]
	s_waitcnt lgkmcnt(3)
	v_mul_f64 v[112:113], v[58:59], v[72:73]
	s_waitcnt lgkmcnt(2)
	v_mul_f64 v[114:115], v[76:77], v[68:69]
	v_mul_f64 v[116:117], v[76:77], v[72:73]
	v_fma_f64 v[86:87], v[26:27], v[30:31], -v[86:87]
	v_fma_f64 v[88:89], v[28:29], v[30:31], v[88:89]
	v_fma_f64 v[90:91], v[26:27], v[34:35], -v[90:91]
	v_fma_f64 v[92:93], v[28:29], v[34:35], v[92:93]
	v_fma_f64 v[94:95], v[38:39], v[30:31], -v[94:95]
	v_fma_f64 v[110:111], v[40:41], v[30:31], v[32:33]
	v_fma_f64 v[38:39], v[38:39], v[34:35], -v[96:97]
	v_fma_f64 v[34:35], v[40:41], v[34:35], v[36:37]
	v_mul_f64 v[36:37], v[60:61], v[68:69]
	v_mul_f64 v[40:41], v[58:59], v[68:69]
	;; [unrolled: 1-line block ×5, first 2 shown]
	v_fma_f64 v[98:99], v[42:43], v[50:51], -v[98:99]
	v_fma_f64 v[100:101], v[44:45], v[50:51], v[100:101]
	v_fma_f64 v[42:43], v[42:43], v[54:55], -v[102:103]
	v_fma_f64 v[44:45], v[44:45], v[54:55], v[104:105]
	;; [unrolled: 2-line block ×4, first 2 shown]
	ds_load_b128 v[26:29], v22 offset:1792
	ds_load_b128 v[30:33], v22 offset:2048
	s_waitcnt lgkmcnt(2)
	v_mul_f64 v[56:57], v[64:65], v[84:85]
	v_add_f64 v[12:13], v[12:13], v[86:87]
	v_add_f64 v[14:15], v[14:15], v[88:89]
	;; [unrolled: 1-line block ×8, first 2 shown]
	v_mul_f64 v[86:87], v[62:63], v[84:85]
	s_waitcnt lgkmcnt(1)
	v_mul_f64 v[88:89], v[64:65], v[28:29]
	v_mul_f64 v[90:91], v[62:63], v[28:29]
	;; [unrolled: 1-line block ×6, first 2 shown]
	v_fma_f64 v[104:105], v[58:59], v[66:67], -v[36:37]
	v_fma_f64 v[106:107], v[60:61], v[66:67], v[40:41]
	v_fma_f64 v[58:59], v[58:59], v[70:71], -v[96:97]
	v_fma_f64 v[60:61], v[60:61], v[70:71], v[112:113]
	;; [unrolled: 2-line block ×4, first 2 shown]
	ds_load_b128 v[0:3], v22 offset:2304
	ds_load_b128 v[4:7], v23 offset:64
	v_fma_f64 v[56:57], v[62:63], v[82:83], -v[56:57]
	v_add_f64 v[72:73], v[12:13], v[98:99]
	v_add_f64 v[74:75], v[14:15], v[100:101]
	;; [unrolled: 1-line block ×8, first 2 shown]
	ds_load_b128 v[8:11], v23 offset:2112
	ds_load_b128 v[12:15], v23 offset:80
	;; [unrolled: 1-line block ×4, first 2 shown]
	s_waitcnt lgkmcnt(4)
	v_mul_f64 v[54:55], v[6:7], v[32:33]
	v_mul_f64 v[76:77], v[4:5], v[32:33]
	;; [unrolled: 1-line block ×4, first 2 shown]
	v_fma_f64 v[86:87], v[64:65], v[82:83], v[86:87]
	v_fma_f64 v[62:63], v[62:63], v[26:27], -v[88:89]
	v_fma_f64 v[64:65], v[64:65], v[26:27], v[90:91]
	v_fma_f64 v[88:89], v[78:79], v[82:83], -v[92:93]
	;; [unrolled: 2-line block ×3, first 2 shown]
	v_fma_f64 v[80:81], v[80:81], v[26:27], v[28:29]
	s_waitcnt lgkmcnt(3)
	v_mul_f64 v[102:103], v[10:11], v[32:33]
	v_mul_f64 v[32:33], v[8:9], v[32:33]
	;; [unrolled: 1-line block ×4, first 2 shown]
	s_waitcnt lgkmcnt(0)
	v_mul_f64 v[90:91], v[14:15], v[40:41]
	v_mul_f64 v[92:93], v[12:13], v[40:41]
	v_add_f64 v[72:73], v[72:73], v[104:105]
	v_add_f64 v[74:75], v[74:75], v[106:107]
	;; [unrolled: 1-line block ×8, first 2 shown]
	ds_load_b128 v[26:29], v22 offset:2816
	ds_load_b128 v[42:45], v22 offset:3072
	;; [unrolled: 1-line block ×4, first 2 shown]
	v_mul_f64 v[104:105], v[36:37], v[40:41]
	v_mul_f64 v[40:41], v[34:35], v[40:41]
	v_fma_f64 v[54:55], v[4:5], v[30:31], -v[54:55]
	v_fma_f64 v[76:77], v[6:7], v[30:31], v[76:77]
	v_fma_f64 v[98:99], v[4:5], v[0:1], -v[98:99]
	v_fma_f64 v[100:101], v[6:7], v[0:1], v[100:101]
	s_waitcnt lgkmcnt(3)
	v_mul_f64 v[94:95], v[14:15], v[28:29]
	v_mul_f64 v[96:97], v[12:13], v[28:29]
	;; [unrolled: 1-line block ×4, first 2 shown]
	v_fma_f64 v[102:103], v[8:9], v[30:31], -v[102:103]
	v_fma_f64 v[32:33], v[10:11], v[30:31], v[32:33]
	v_fma_f64 v[108:109], v[8:9], v[0:1], -v[108:109]
	v_fma_f64 v[112:113], v[10:11], v[0:1], v[2:3]
	ds_load_b128 v[0:3], v23 offset:2144
	ds_load_b128 v[4:7], v23 offset:112
	;; [unrolled: 1-line block ×4, first 2 shown]
	v_add_f64 v[56:57], v[72:73], v[56:57]
	v_add_f64 v[72:73], v[74:75], v[86:87]
	;; [unrolled: 1-line block ×8, first 2 shown]
	s_waitcnt lgkmcnt(4)
	v_mul_f64 v[70:71], v[52:53], v[44:45]
	v_mul_f64 v[74:75], v[50:51], v[44:45]
	;; [unrolled: 1-line block ×4, first 2 shown]
	s_waitcnt lgkmcnt(3)
	v_mul_f64 v[82:83], v[2:3], v[44:45]
	v_mul_f64 v[44:45], v[0:1], v[44:45]
	;; [unrolled: 1-line block ×4, first 2 shown]
	v_fma_f64 v[86:87], v[12:13], v[38:39], -v[90:91]
	v_fma_f64 v[88:89], v[14:15], v[38:39], v[92:93]
	v_fma_f64 v[90:91], v[12:13], v[26:27], -v[94:95]
	v_fma_f64 v[92:93], v[14:15], v[26:27], v[96:97]
	;; [unrolled: 2-line block ×4, first 2 shown]
	ds_load_b128 v[12:15], v22 offset:3840
	s_waitcnt lgkmcnt(0)
	s_barrier
	buffer_gl0_inv
	v_add_f64 v[36:37], v[56:57], v[54:55]
	v_add_f64 v[40:41], v[72:73], v[76:77]
	v_add_f64 v[54:55], v[58:59], v[98:99]
	v_add_f64 v[56:57], v[60:61], v[100:101]
	v_add_f64 v[58:59], v[62:63], v[102:103]
	v_add_f64 v[32:33], v[64:65], v[32:33]
	v_add_f64 v[60:61], v[66:67], v[108:109]
	v_add_f64 v[62:63], v[68:69], v[112:113]
	v_mul_f64 v[64:65], v[6:7], v[30:31]
	v_mul_f64 v[66:67], v[4:5], v[30:31]
	;; [unrolled: 1-line block ×4, first 2 shown]
	v_fma_f64 v[70:71], v[50:51], v[42:43], -v[70:71]
	v_mul_f64 v[68:69], v[6:7], v[14:15]
	v_mul_f64 v[72:73], v[4:5], v[14:15]
	;; [unrolled: 1-line block ×4, first 2 shown]
	v_fma_f64 v[74:75], v[52:53], v[42:43], v[74:75]
	v_fma_f64 v[50:51], v[50:51], v[46:47], -v[78:79]
	v_fma_f64 v[52:53], v[52:53], v[46:47], v[80:81]
	v_fma_f64 v[78:79], v[0:1], v[42:43], -v[82:83]
	;; [unrolled: 2-line block ×3, first 2 shown]
	v_fma_f64 v[2:3], v[2:3], v[46:47], v[48:49]
	v_add_f64 v[36:37], v[36:37], v[86:87]
	v_add_f64 v[40:41], v[40:41], v[88:89]
	;; [unrolled: 1-line block ×8, first 2 shown]
	v_fma_f64 v[38:39], v[4:5], v[28:29], -v[64:65]
	v_fma_f64 v[54:55], v[6:7], v[28:29], v[66:67]
	v_fma_f64 v[56:57], v[8:9], v[28:29], -v[76:77]
	v_fma_f64 v[28:29], v[10:11], v[28:29], v[30:31]
	v_fma_f64 v[4:5], v[4:5], v[12:13], -v[68:69]
	v_fma_f64 v[6:7], v[6:7], v[12:13], v[72:73]
	v_fma_f64 v[30:31], v[8:9], v[12:13], -v[96:97]
	v_fma_f64 v[58:59], v[10:11], v[12:13], v[14:15]
	v_add_f64 v[8:9], v[36:37], v[70:71]
	v_add_f64 v[10:11], v[40:41], v[74:75]
	;; [unrolled: 1-line block ×16, first 2 shown]
	s_cbranch_vccz .LBB1642_2
.LBB1642_3:
	v_add_nc_u32_e32 v18, s19, v21
	s_load_b32 s4, s[0:1], 0x0
	s_delay_alu instid0(VALU_DEP_1) | instskip(SKIP_2) | instid1(VALU_DEP_3)
	v_ashrrev_i32_e32 v16, 31, v18
	v_mul_lo_u32 v17, v18, s7
	v_mad_u64_u32 v[21:22], null, v18, s6, 0
	v_mul_lo_u32 v16, v16, s6
	s_delay_alu instid0(VALU_DEP_1) | instskip(SKIP_3) | instid1(VALU_DEP_3)
	v_add3_u32 v22, v22, v17, v16
	v_add_nc_u32_e32 v16, s18, v20
	s_waitcnt lgkmcnt(0)
	v_cmp_gt_i32_e32 vcc_lo, s4, v18
	v_lshlrev_b64 v[19:20], 4, v[21:22]
	s_delay_alu instid0(VALU_DEP_3) | instskip(NEXT) | instid1(VALU_DEP_1)
	v_cmp_le_i32_e64 s0, v16, v18
	s_and_b32 s0, vcc_lo, s0
	s_delay_alu instid0(VALU_DEP_2) | instskip(NEXT) | instid1(VALU_DEP_1)
	v_add_co_u32 v19, s1, s2, v19
	v_add_co_ci_u32_e64 v20, s1, s3, v20, s1
	s_and_saveexec_b32 s1, s0
	s_cbranch_execz .LBB1642_5
; %bb.4:
	v_ashrrev_i32_e32 v17, 31, v16
	v_xor_b32_e32 v13, 0x80000000, v13
	v_xor_b32_e32 v15, 0x80000000, v15
	s_delay_alu instid0(VALU_DEP_3) | instskip(NEXT) | instid1(VALU_DEP_1)
	v_lshlrev_b64 v[21:22], 4, v[16:17]
	v_add_co_u32 v21, s0, v19, v21
	s_delay_alu instid0(VALU_DEP_1)
	v_add_co_ci_u32_e64 v22, s0, v20, v22, s0
	global_store_b128 v[21:22], v[12:15], off
.LBB1642_5:
	s_or_b32 exec_lo, exec_lo, s1
	v_add_nc_u32_e32 v12, 16, v16
	s_delay_alu instid0(VALU_DEP_1) | instskip(NEXT) | instid1(VALU_DEP_1)
	v_cmp_le_i32_e64 s0, v12, v18
	s_and_b32 s1, vcc_lo, s0
	s_delay_alu instid0(SALU_CYCLE_1)
	s_and_saveexec_b32 s0, s1
	s_cbranch_execz .LBB1642_7
; %bb.6:
	v_ashrrev_i32_e32 v13, 31, v12
	v_xor_b32_e32 v9, 0x80000000, v9
	v_xor_b32_e32 v11, 0x80000000, v11
	s_delay_alu instid0(VALU_DEP_3) | instskip(NEXT) | instid1(VALU_DEP_1)
	v_lshlrev_b64 v[13:14], 4, v[12:13]
	v_add_co_u32 v13, vcc_lo, v19, v13
	s_delay_alu instid0(VALU_DEP_2)
	v_add_co_ci_u32_e32 v14, vcc_lo, v20, v14, vcc_lo
	global_store_b128 v[13:14], v[8:11], off
.LBB1642_7:
	s_or_b32 exec_lo, exec_lo, s0
	v_add_nc_u32_e32 v10, 16, v18
	s_delay_alu instid0(VALU_DEP_1) | instskip(SKIP_3) | instid1(VALU_DEP_4)
	v_ashrrev_i32_e32 v11, 31, v10
	v_mul_lo_u32 v13, v10, s7
	v_mad_u64_u32 v[8:9], null, v10, s6, 0
	v_cmp_gt_i32_e32 vcc_lo, s4, v10
	v_mul_lo_u32 v11, v11, s6
	v_cmp_le_i32_e64 s0, v16, v10
	s_delay_alu instid0(VALU_DEP_1) | instskip(NEXT) | instid1(VALU_DEP_2)
	s_and_b32 s0, vcc_lo, s0
	v_add3_u32 v9, v9, v13, v11
	s_delay_alu instid0(VALU_DEP_1) | instskip(NEXT) | instid1(VALU_DEP_1)
	v_lshlrev_b64 v[8:9], 4, v[8:9]
	v_add_co_u32 v8, s1, s2, v8
	s_delay_alu instid0(VALU_DEP_1)
	v_add_co_ci_u32_e64 v9, s1, s3, v9, s1
	s_and_saveexec_b32 s1, s0
	s_cbranch_execz .LBB1642_9
; %bb.8:
	v_ashrrev_i32_e32 v17, 31, v16
	v_xor_b32_e32 v5, 0x80000000, v5
	v_xor_b32_e32 v7, 0x80000000, v7
	s_delay_alu instid0(VALU_DEP_3) | instskip(NEXT) | instid1(VALU_DEP_1)
	v_lshlrev_b64 v[13:14], 4, v[16:17]
	v_add_co_u32 v13, s0, v8, v13
	s_delay_alu instid0(VALU_DEP_1)
	v_add_co_ci_u32_e64 v14, s0, v9, v14, s0
	global_store_b128 v[13:14], v[4:7], off
.LBB1642_9:
	s_or_b32 exec_lo, exec_lo, s1
	v_cmp_le_i32_e64 s0, v12, v10
	s_delay_alu instid0(VALU_DEP_1) | instskip(NEXT) | instid1(SALU_CYCLE_1)
	s_and_b32 s0, vcc_lo, s0
	s_and_saveexec_b32 s1, s0
	s_cbranch_execz .LBB1642_11
; %bb.10:
	v_ashrrev_i32_e32 v13, 31, v12
	v_xor_b32_e32 v1, 0x80000000, v1
	v_xor_b32_e32 v3, 0x80000000, v3
	s_delay_alu instid0(VALU_DEP_3) | instskip(NEXT) | instid1(VALU_DEP_1)
	v_lshlrev_b64 v[4:5], 4, v[12:13]
	v_add_co_u32 v4, vcc_lo, v8, v4
	s_delay_alu instid0(VALU_DEP_2)
	v_add_co_ci_u32_e32 v5, vcc_lo, v9, v5, vcc_lo
	global_store_b128 v[4:5], v[0:3], off
.LBB1642_11:
	s_nop 0
	s_sendmsg sendmsg(MSG_DEALLOC_VGPRS)
	s_endpgm
	.section	.rodata,"a",@progbits
	.p2align	6, 0x0
	.amdhsa_kernel _ZL37rocblas_syrkx_herkx_restricted_kernelIl19rocblas_complex_numIdELi16ELi32ELi8ELin1ELi0ELb0ELc78ELc85EKPKS1_KPS1_EviT_PT9_S7_lS9_S7_lPT10_S7_li
		.amdhsa_group_segment_fixed_size 8192
		.amdhsa_private_segment_fixed_size 0
		.amdhsa_kernarg_size 92
		.amdhsa_user_sgpr_count 13
		.amdhsa_user_sgpr_dispatch_ptr 0
		.amdhsa_user_sgpr_queue_ptr 0
		.amdhsa_user_sgpr_kernarg_segment_ptr 1
		.amdhsa_user_sgpr_dispatch_id 0
		.amdhsa_user_sgpr_private_segment_size 0
		.amdhsa_wavefront_size32 1
		.amdhsa_uses_dynamic_stack 0
		.amdhsa_enable_private_segment 0
		.amdhsa_system_sgpr_workgroup_id_x 1
		.amdhsa_system_sgpr_workgroup_id_y 1
		.amdhsa_system_sgpr_workgroup_id_z 1
		.amdhsa_system_sgpr_workgroup_info 0
		.amdhsa_system_vgpr_workitem_id 1
		.amdhsa_next_free_vgpr 118
		.amdhsa_next_free_sgpr 20
		.amdhsa_reserve_vcc 1
		.amdhsa_float_round_mode_32 0
		.amdhsa_float_round_mode_16_64 0
		.amdhsa_float_denorm_mode_32 3
		.amdhsa_float_denorm_mode_16_64 3
		.amdhsa_dx10_clamp 1
		.amdhsa_ieee_mode 1
		.amdhsa_fp16_overflow 0
		.amdhsa_workgroup_processor_mode 1
		.amdhsa_memory_ordered 1
		.amdhsa_forward_progress 0
		.amdhsa_shared_vgpr_count 0
		.amdhsa_exception_fp_ieee_invalid_op 0
		.amdhsa_exception_fp_denorm_src 0
		.amdhsa_exception_fp_ieee_div_zero 0
		.amdhsa_exception_fp_ieee_overflow 0
		.amdhsa_exception_fp_ieee_underflow 0
		.amdhsa_exception_fp_ieee_inexact 0
		.amdhsa_exception_int_div_zero 0
	.end_amdhsa_kernel
	.section	.text._ZL37rocblas_syrkx_herkx_restricted_kernelIl19rocblas_complex_numIdELi16ELi32ELi8ELin1ELi0ELb0ELc78ELc85EKPKS1_KPS1_EviT_PT9_S7_lS9_S7_lPT10_S7_li,"axG",@progbits,_ZL37rocblas_syrkx_herkx_restricted_kernelIl19rocblas_complex_numIdELi16ELi32ELi8ELin1ELi0ELb0ELc78ELc85EKPKS1_KPS1_EviT_PT9_S7_lS9_S7_lPT10_S7_li,comdat
.Lfunc_end1642:
	.size	_ZL37rocblas_syrkx_herkx_restricted_kernelIl19rocblas_complex_numIdELi16ELi32ELi8ELin1ELi0ELb0ELc78ELc85EKPKS1_KPS1_EviT_PT9_S7_lS9_S7_lPT10_S7_li, .Lfunc_end1642-_ZL37rocblas_syrkx_herkx_restricted_kernelIl19rocblas_complex_numIdELi16ELi32ELi8ELin1ELi0ELb0ELc78ELc85EKPKS1_KPS1_EviT_PT9_S7_lS9_S7_lPT10_S7_li
                                        ; -- End function
	.section	.AMDGPU.csdata,"",@progbits
; Kernel info:
; codeLenInByte = 3020
; NumSgprs: 22
; NumVgprs: 118
; ScratchSize: 0
; MemoryBound: 0
; FloatMode: 240
; IeeeMode: 1
; LDSByteSize: 8192 bytes/workgroup (compile time only)
; SGPRBlocks: 2
; VGPRBlocks: 14
; NumSGPRsForWavesPerEU: 22
; NumVGPRsForWavesPerEU: 118
; Occupancy: 12
; WaveLimiterHint : 1
; COMPUTE_PGM_RSRC2:SCRATCH_EN: 0
; COMPUTE_PGM_RSRC2:USER_SGPR: 13
; COMPUTE_PGM_RSRC2:TRAP_HANDLER: 0
; COMPUTE_PGM_RSRC2:TGID_X_EN: 1
; COMPUTE_PGM_RSRC2:TGID_Y_EN: 1
; COMPUTE_PGM_RSRC2:TGID_Z_EN: 1
; COMPUTE_PGM_RSRC2:TIDIG_COMP_CNT: 1
	.section	.text._ZL37rocblas_syrkx_herkx_restricted_kernelIl19rocblas_complex_numIdELi16ELi32ELi8ELb1ELb0ELc84ELc76EKPKS1_KPS1_EviT_T0_PT8_S7_lSA_S7_lS8_PT9_S7_li,"axG",@progbits,_ZL37rocblas_syrkx_herkx_restricted_kernelIl19rocblas_complex_numIdELi16ELi32ELi8ELb1ELb0ELc84ELc76EKPKS1_KPS1_EviT_T0_PT8_S7_lSA_S7_lS8_PT9_S7_li,comdat
	.globl	_ZL37rocblas_syrkx_herkx_restricted_kernelIl19rocblas_complex_numIdELi16ELi32ELi8ELb1ELb0ELc84ELc76EKPKS1_KPS1_EviT_T0_PT8_S7_lSA_S7_lS8_PT9_S7_li ; -- Begin function _ZL37rocblas_syrkx_herkx_restricted_kernelIl19rocblas_complex_numIdELi16ELi32ELi8ELb1ELb0ELc84ELc76EKPKS1_KPS1_EviT_T0_PT8_S7_lSA_S7_lS8_PT9_S7_li
	.p2align	8
	.type	_ZL37rocblas_syrkx_herkx_restricted_kernelIl19rocblas_complex_numIdELi16ELi32ELi8ELb1ELb0ELc84ELc76EKPKS1_KPS1_EviT_T0_PT8_S7_lSA_S7_lS8_PT9_S7_li,@function
_ZL37rocblas_syrkx_herkx_restricted_kernelIl19rocblas_complex_numIdELi16ELi32ELi8ELb1ELb0ELc84ELc76EKPKS1_KPS1_EviT_T0_PT8_S7_lSA_S7_lS8_PT9_S7_li: ; @_ZL37rocblas_syrkx_herkx_restricted_kernelIl19rocblas_complex_numIdELi16ELi32ELi8ELb1ELb0ELc84ELc76EKPKS1_KPS1_EviT_T0_PT8_S7_lSA_S7_lS8_PT9_S7_li
; %bb.0:
	s_clause 0x1
	s_load_b128 s[16:19], s[0:1], 0x60
	s_load_b256 s[4:11], s[0:1], 0x8
	s_mov_b32 s2, s15
	s_mov_b32 s3, 0
	v_mov_b32_e32 v16, 0
	s_lshl_b64 s[20:21], s[2:3], 3
	v_dual_mov_b32 v17, 0 :: v_dual_and_b32 v20, 0x3ff, v0
	v_bfe_u32 v21, v0, 10, 10
	s_delay_alu instid0(VALU_DEP_3) | instskip(NEXT) | instid1(VALU_DEP_3)
	v_mov_b32_e32 v12, v16
	v_dual_mov_b32 v14, v16 :: v_dual_mov_b32 v15, v17
	v_dual_mov_b32 v19, v17 :: v_dual_mov_b32 v18, v16
	;; [unrolled: 1-line block ×5, first 2 shown]
	v_mov_b32_e32 v7, v17
	s_waitcnt lgkmcnt(0)
	s_add_u32 s2, s16, s20
	s_addc_u32 s3, s17, s21
	s_load_b64 s[16:17], s[0:1], 0x28
	s_load_b64 s[2:3], s[2:3], 0x0
	v_cmp_lt_i64_e64 s12, s[4:5], 1
	v_dual_mov_b32 v4, v16 :: v_dual_mov_b32 v5, v17
	s_lshl_b32 s22, s13, 5
	s_lshl_b32 s23, s14, 5
	s_delay_alu instid0(VALU_DEP_2)
	s_and_b32 vcc_lo, exec_lo, s12
	s_cbranch_vccnz .LBB1643_3
; %bb.1:
	v_lshl_add_u32 v2, v21, 4, v20
	s_load_b128 s[12:15], s[0:1], 0x38
	v_dual_mov_b32 v1, 0 :: v_dual_and_b32 v0, 7, v20
	s_add_u32 s10, s10, s20
	s_delay_alu instid0(VALU_DEP_2)
	v_and_b32_e32 v9, 31, v2
	v_lshrrev_b32_e32 v8, 3, v2
	v_lshrrev_b32_e32 v2, 5, v2
	s_addc_u32 s11, s11, s21
	v_lshl_add_u32 v23, v21, 7, 0x1000
	v_add_nc_u32_e32 v6, s22, v9
	v_dual_mov_b32 v3, v1 :: v_dual_add_nc_u32 v10, s23, v8
	s_load_b64 s[10:11], s[10:11], 0x0
	s_delay_alu instid0(VALU_DEP_2) | instskip(NEXT) | instid1(VALU_DEP_2)
	v_ashrrev_i32_e32 v11, 31, v6
	v_ashrrev_i32_e32 v7, 31, v10
	s_waitcnt lgkmcnt(0)
	v_mad_u64_u32 v[4:5], null, s16, v6, v[2:3]
	v_mul_lo_u32 v3, s17, v6
	v_mul_lo_u32 v11, s16, v11
	s_add_u32 s12, s12, s20
	s_addc_u32 s13, s13, s21
	v_mul_lo_u32 v12, v7, s14
	s_load_b64 s[12:13], s[12:13], 0x0
	v_mul_lo_u32 v13, v10, s15
	v_mad_u64_u32 v[6:7], null, v10, s14, v[0:1]
	v_lshlrev_b32_e32 v0, 4, v0
	v_add3_u32 v5, v3, v5, v11
	s_delay_alu instid0(VALU_DEP_2) | instskip(NEXT) | instid1(VALU_DEP_2)
	v_lshl_or_b32 v8, v8, 7, v0
	v_lshlrev_b64 v[0:1], 4, v[4:5]
	v_mov_b32_e32 v4, 0
	v_add3_u32 v7, v12, v7, v13
	v_mov_b32_e32 v5, 0
	v_lshlrev_b32_e32 v3, 4, v9
	v_lshlrev_b32_e32 v22, 4, v20
	v_add_co_u32 v0, vcc_lo, v0, s10
	s_delay_alu instid0(VALU_DEP_4) | instskip(NEXT) | instid1(VALU_DEP_4)
	v_mov_b32_e32 v11, v5
	v_lshl_or_b32 v24, v2, 9, v3
	v_lshlrev_b64 v[2:3], 4, v[6:7]
	v_add_co_ci_u32_e32 v1, vcc_lo, s11, v1, vcc_lo
	v_mov_b32_e32 v7, v5
	v_dual_mov_b32 v10, v4 :: v_dual_add_nc_u32 v25, 0x1000, v8
	s_waitcnt lgkmcnt(0)
	s_delay_alu instid0(VALU_DEP_4) | instskip(SKIP_3) | instid1(VALU_DEP_4)
	v_add_co_u32 v2, vcc_lo, v2, s12
	v_add_co_ci_u32_e32 v3, vcc_lo, s13, v3, vcc_lo
	v_add_co_u32 v0, vcc_lo, v0, 8
	v_add_co_ci_u32_e32 v1, vcc_lo, 0, v1, vcc_lo
	v_add_co_u32 v2, vcc_lo, v2, 8
	s_delay_alu instid0(VALU_DEP_4)
	v_add_co_ci_u32_e32 v3, vcc_lo, 0, v3, vcc_lo
	v_dual_mov_b32 v6, v4 :: v_dual_mov_b32 v9, v5
	v_dual_mov_b32 v8, v4 :: v_dual_mov_b32 v15, v5
	;; [unrolled: 1-line block ×5, first 2 shown]
	v_mov_b32_e32 v16, v4
	s_mov_b64 s[10:11], 0
.LBB1643_2:                             ; =>This Inner Loop Header: Depth=1
	global_load_b128 v[26:29], v[0:1], off offset:-8
	global_load_b128 v[30:33], v[2:3], off offset:-8
	s_add_u32 s10, s10, 8
	v_add_co_u32 v0, vcc_lo, 0x80, v0
	s_addc_u32 s11, s11, 0
	v_add_co_ci_u32_e32 v1, vcc_lo, 0, v1, vcc_lo
	v_cmp_ge_u64_e64 s12, s[10:11], s[4:5]
	v_add_co_u32 v2, vcc_lo, 0x80, v2
	v_add_co_ci_u32_e32 v3, vcc_lo, 0, v3, vcc_lo
	s_waitcnt vmcnt(1)
	ds_store_b128 v24, v[26:29]
	s_waitcnt vmcnt(0)
	ds_store_b128 v25, v[30:33]
	s_waitcnt lgkmcnt(0)
	s_barrier
	buffer_gl0_inv
	ds_load_b128 v[26:29], v23
	ds_load_b128 v[30:33], v22
	ds_load_b128 v[34:37], v22 offset:256
	ds_load_b128 v[38:41], v23 offset:2048
	;; [unrolled: 1-line block ×13, first 2 shown]
	s_and_b32 vcc_lo, exec_lo, s12
	s_waitcnt lgkmcnt(13)
	v_mul_f64 v[86:87], v[28:29], v[32:33]
	v_mul_f64 v[88:89], v[26:27], v[32:33]
	s_waitcnt lgkmcnt(12)
	v_mul_f64 v[90:91], v[28:29], v[36:37]
	v_mul_f64 v[92:93], v[26:27], v[36:37]
	;; [unrolled: 3-line block ×3, first 2 shown]
	v_mul_f64 v[96:97], v[40:41], v[36:37]
	v_mul_f64 v[36:37], v[38:39], v[36:37]
	s_waitcnt lgkmcnt(8)
	v_mul_f64 v[98:99], v[44:45], v[52:53]
	v_mul_f64 v[100:101], v[42:43], v[52:53]
	s_waitcnt lgkmcnt(7)
	v_mul_f64 v[102:103], v[44:45], v[56:57]
	v_mul_f64 v[104:105], v[42:43], v[56:57]
	;; [unrolled: 1-line block ×6, first 2 shown]
	s_waitcnt lgkmcnt(3)
	v_mul_f64 v[112:113], v[58:59], v[72:73]
	s_waitcnt lgkmcnt(2)
	v_mul_f64 v[114:115], v[76:77], v[68:69]
	v_mul_f64 v[116:117], v[76:77], v[72:73]
	v_fma_f64 v[86:87], v[26:27], v[30:31], -v[86:87]
	v_fma_f64 v[88:89], v[28:29], v[30:31], v[88:89]
	v_fma_f64 v[90:91], v[26:27], v[34:35], -v[90:91]
	v_fma_f64 v[92:93], v[28:29], v[34:35], v[92:93]
	;; [unrolled: 2-line block ×4, first 2 shown]
	v_mul_f64 v[36:37], v[60:61], v[68:69]
	v_mul_f64 v[40:41], v[58:59], v[68:69]
	;; [unrolled: 1-line block ×5, first 2 shown]
	v_fma_f64 v[98:99], v[42:43], v[50:51], -v[98:99]
	v_fma_f64 v[100:101], v[44:45], v[50:51], v[100:101]
	v_fma_f64 v[42:43], v[42:43], v[54:55], -v[102:103]
	v_fma_f64 v[44:45], v[44:45], v[54:55], v[104:105]
	v_fma_f64 v[102:103], v[46:47], v[50:51], -v[106:107]
	v_fma_f64 v[50:51], v[48:49], v[50:51], v[52:53]
	v_fma_f64 v[46:47], v[46:47], v[54:55], -v[108:109]
	v_fma_f64 v[48:49], v[48:49], v[54:55], v[56:57]
	ds_load_b128 v[26:29], v22 offset:1792
	ds_load_b128 v[30:33], v22 offset:2048
	s_waitcnt lgkmcnt(2)
	v_mul_f64 v[56:57], v[64:65], v[84:85]
	v_add_f64 v[16:17], v[16:17], v[86:87]
	v_add_f64 v[18:19], v[18:19], v[88:89]
	;; [unrolled: 1-line block ×8, first 2 shown]
	v_mul_f64 v[86:87], v[62:63], v[84:85]
	s_waitcnt lgkmcnt(1)
	v_mul_f64 v[88:89], v[64:65], v[28:29]
	v_mul_f64 v[90:91], v[62:63], v[28:29]
	;; [unrolled: 1-line block ×6, first 2 shown]
	v_fma_f64 v[104:105], v[58:59], v[66:67], -v[36:37]
	v_fma_f64 v[106:107], v[60:61], v[66:67], v[40:41]
	v_fma_f64 v[58:59], v[58:59], v[70:71], -v[96:97]
	v_fma_f64 v[60:61], v[60:61], v[70:71], v[112:113]
	;; [unrolled: 2-line block ×4, first 2 shown]
	ds_load_b128 v[4:7], v22 offset:2304
	ds_load_b128 v[8:11], v23 offset:64
	v_fma_f64 v[56:57], v[62:63], v[82:83], -v[56:57]
	v_add_f64 v[72:73], v[16:17], v[98:99]
	v_add_f64 v[74:75], v[18:19], v[100:101]
	v_add_f64 v[42:43], v[12:13], v[42:43]
	v_add_f64 v[44:45], v[14:15], v[44:45]
	v_add_f64 v[52:53], v[52:53], v[102:103]
	v_add_f64 v[50:51], v[54:55], v[50:51]
	v_add_f64 v[46:47], v[38:39], v[46:47]
	v_add_f64 v[48:49], v[34:35], v[48:49]
	ds_load_b128 v[12:15], v23 offset:2112
	ds_load_b128 v[16:19], v23 offset:80
	;; [unrolled: 1-line block ×4, first 2 shown]
	s_waitcnt lgkmcnt(4)
	v_mul_f64 v[54:55], v[10:11], v[32:33]
	v_mul_f64 v[76:77], v[8:9], v[32:33]
	;; [unrolled: 1-line block ×4, first 2 shown]
	v_fma_f64 v[86:87], v[64:65], v[82:83], v[86:87]
	v_fma_f64 v[62:63], v[62:63], v[26:27], -v[88:89]
	v_fma_f64 v[64:65], v[64:65], v[26:27], v[90:91]
	v_fma_f64 v[88:89], v[78:79], v[82:83], -v[92:93]
	;; [unrolled: 2-line block ×3, first 2 shown]
	v_fma_f64 v[80:81], v[80:81], v[26:27], v[28:29]
	s_waitcnt lgkmcnt(3)
	v_mul_f64 v[102:103], v[14:15], v[32:33]
	v_mul_f64 v[32:33], v[12:13], v[32:33]
	;; [unrolled: 1-line block ×4, first 2 shown]
	s_waitcnt lgkmcnt(0)
	v_mul_f64 v[90:91], v[18:19], v[40:41]
	v_mul_f64 v[92:93], v[16:17], v[40:41]
	v_add_f64 v[72:73], v[72:73], v[104:105]
	v_add_f64 v[74:75], v[74:75], v[106:107]
	;; [unrolled: 1-line block ×8, first 2 shown]
	ds_load_b128 v[26:29], v22 offset:2816
	ds_load_b128 v[42:45], v22 offset:3072
	;; [unrolled: 1-line block ×4, first 2 shown]
	v_mul_f64 v[104:105], v[36:37], v[40:41]
	v_mul_f64 v[40:41], v[34:35], v[40:41]
	v_fma_f64 v[54:55], v[8:9], v[30:31], -v[54:55]
	v_fma_f64 v[76:77], v[10:11], v[30:31], v[76:77]
	v_fma_f64 v[98:99], v[8:9], v[4:5], -v[98:99]
	v_fma_f64 v[100:101], v[10:11], v[4:5], v[100:101]
	s_waitcnt lgkmcnt(3)
	v_mul_f64 v[94:95], v[18:19], v[28:29]
	v_mul_f64 v[96:97], v[16:17], v[28:29]
	;; [unrolled: 1-line block ×4, first 2 shown]
	v_fma_f64 v[102:103], v[12:13], v[30:31], -v[102:103]
	v_fma_f64 v[32:33], v[14:15], v[30:31], v[32:33]
	v_fma_f64 v[108:109], v[12:13], v[4:5], -v[108:109]
	v_fma_f64 v[112:113], v[14:15], v[4:5], v[6:7]
	ds_load_b128 v[4:7], v23 offset:2144
	ds_load_b128 v[8:11], v23 offset:112
	;; [unrolled: 1-line block ×4, first 2 shown]
	v_add_f64 v[56:57], v[72:73], v[56:57]
	v_add_f64 v[72:73], v[74:75], v[86:87]
	;; [unrolled: 1-line block ×8, first 2 shown]
	s_waitcnt lgkmcnt(4)
	v_mul_f64 v[70:71], v[52:53], v[44:45]
	v_mul_f64 v[74:75], v[50:51], v[44:45]
	;; [unrolled: 1-line block ×4, first 2 shown]
	s_waitcnt lgkmcnt(3)
	v_mul_f64 v[82:83], v[6:7], v[44:45]
	v_mul_f64 v[44:45], v[4:5], v[44:45]
	;; [unrolled: 1-line block ×4, first 2 shown]
	v_fma_f64 v[86:87], v[16:17], v[38:39], -v[90:91]
	v_fma_f64 v[88:89], v[18:19], v[38:39], v[92:93]
	v_fma_f64 v[90:91], v[16:17], v[26:27], -v[94:95]
	v_fma_f64 v[92:93], v[18:19], v[26:27], v[96:97]
	;; [unrolled: 2-line block ×4, first 2 shown]
	ds_load_b128 v[16:19], v22 offset:3840
	s_waitcnt lgkmcnt(0)
	s_barrier
	buffer_gl0_inv
	v_add_f64 v[36:37], v[56:57], v[54:55]
	v_add_f64 v[40:41], v[72:73], v[76:77]
	;; [unrolled: 1-line block ×8, first 2 shown]
	v_mul_f64 v[64:65], v[10:11], v[30:31]
	v_mul_f64 v[66:67], v[8:9], v[30:31]
	;; [unrolled: 1-line block ×4, first 2 shown]
	v_fma_f64 v[70:71], v[50:51], v[42:43], -v[70:71]
	v_mul_f64 v[68:69], v[10:11], v[18:19]
	v_mul_f64 v[72:73], v[8:9], v[18:19]
	;; [unrolled: 1-line block ×4, first 2 shown]
	v_fma_f64 v[74:75], v[52:53], v[42:43], v[74:75]
	v_fma_f64 v[50:51], v[50:51], v[46:47], -v[78:79]
	v_fma_f64 v[52:53], v[52:53], v[46:47], v[80:81]
	v_fma_f64 v[78:79], v[4:5], v[42:43], -v[82:83]
	;; [unrolled: 2-line block ×3, first 2 shown]
	v_fma_f64 v[6:7], v[6:7], v[46:47], v[48:49]
	v_add_f64 v[36:37], v[36:37], v[86:87]
	v_add_f64 v[40:41], v[40:41], v[88:89]
	;; [unrolled: 1-line block ×8, first 2 shown]
	v_fma_f64 v[38:39], v[8:9], v[28:29], -v[64:65]
	v_fma_f64 v[54:55], v[10:11], v[28:29], v[66:67]
	v_fma_f64 v[56:57], v[12:13], v[28:29], -v[76:77]
	v_fma_f64 v[28:29], v[14:15], v[28:29], v[30:31]
	;; [unrolled: 2-line block ×4, first 2 shown]
	v_add_f64 v[12:13], v[36:37], v[70:71]
	v_add_f64 v[14:15], v[40:41], v[74:75]
	;; [unrolled: 1-line block ×16, first 2 shown]
	s_cbranch_vccz .LBB1643_2
.LBB1643_3:
	v_add_nc_u32_e32 v21, s23, v21
	s_load_b32 s4, s[0:1], 0x0
	s_delay_alu instid0(VALU_DEP_1) | instskip(SKIP_2) | instid1(VALU_DEP_3)
	v_ashrrev_i32_e32 v0, 31, v21
	v_mul_lo_u32 v3, v21, s19
	v_mad_u64_u32 v[1:2], null, v21, s18, 0
	v_mul_lo_u32 v0, v0, s18
	s_delay_alu instid0(VALU_DEP_1) | instskip(SKIP_1) | instid1(VALU_DEP_2)
	v_add3_u32 v2, v2, v3, v0
	v_add_nc_u32_e32 v0, s22, v20
	v_lshlrev_b64 v[1:2], 4, v[1:2]
	s_delay_alu instid0(VALU_DEP_2) | instskip(SKIP_2) | instid1(VALU_DEP_3)
	v_cmp_le_i32_e64 s0, v21, v0
	s_waitcnt lgkmcnt(0)
	v_cmp_gt_i32_e32 vcc_lo, s4, v0
	v_add_co_u32 v20, s1, s2, v1
	s_delay_alu instid0(VALU_DEP_1) | instskip(SKIP_1) | instid1(SALU_CYCLE_1)
	v_add_co_ci_u32_e64 v22, s1, s3, v2, s1
	s_and_b32 s0, s0, vcc_lo
	s_and_saveexec_b32 s1, s0
	s_cbranch_execz .LBB1643_5
; %bb.4:
	v_mul_f64 v[1:2], s[8:9], v[18:19]
	v_mul_f64 v[18:19], s[6:7], v[18:19]
	s_delay_alu instid0(VALU_DEP_2) | instskip(NEXT) | instid1(VALU_DEP_2)
	v_fma_f64 v[23:24], s[6:7], v[16:17], -v[1:2]
	v_fma_f64 v[25:26], s[8:9], v[16:17], v[18:19]
	v_ashrrev_i32_e32 v1, 31, v0
	s_delay_alu instid0(VALU_DEP_1) | instskip(NEXT) | instid1(VALU_DEP_1)
	v_lshlrev_b64 v[1:2], 4, v[0:1]
	v_add_co_u32 v1, s0, v20, v1
	s_delay_alu instid0(VALU_DEP_1)
	v_add_co_ci_u32_e64 v2, s0, v22, v2, s0
	global_store_b128 v[1:2], v[23:26], off
.LBB1643_5:
	s_or_b32 exec_lo, exec_lo, s1
	v_add_nc_u32_e32 v2, 16, v0
	s_delay_alu instid0(VALU_DEP_1) | instskip(SKIP_1) | instid1(VALU_DEP_1)
	v_cmp_le_i32_e64 s1, v21, v2
	v_cmp_gt_i32_e64 s0, s4, v2
	s_and_b32 s1, s1, s0
	s_delay_alu instid0(SALU_CYCLE_1)
	s_and_saveexec_b32 s4, s1
	s_cbranch_execz .LBB1643_7
; %bb.6:
	v_mul_f64 v[16:17], s[8:9], v[14:15]
	v_mul_f64 v[18:19], s[6:7], v[14:15]
	v_ashrrev_i32_e32 v3, 31, v2
	s_delay_alu instid0(VALU_DEP_3) | instskip(NEXT) | instid1(VALU_DEP_3)
	v_fma_f64 v[14:15], s[6:7], v[12:13], -v[16:17]
	v_fma_f64 v[16:17], s[8:9], v[12:13], v[18:19]
	s_delay_alu instid0(VALU_DEP_3) | instskip(NEXT) | instid1(VALU_DEP_1)
	v_lshlrev_b64 v[12:13], 4, v[2:3]
	v_add_co_u32 v12, s1, v20, v12
	s_delay_alu instid0(VALU_DEP_1)
	v_add_co_ci_u32_e64 v13, s1, v22, v13, s1
	global_store_b128 v[12:13], v[14:17], off
.LBB1643_7:
	s_or_b32 exec_lo, exec_lo, s4
	v_add_nc_u32_e32 v3, 16, v21
	s_delay_alu instid0(VALU_DEP_1) | instskip(SKIP_3) | instid1(VALU_DEP_4)
	v_ashrrev_i32_e32 v1, 31, v3
	v_mul_lo_u32 v14, v3, s19
	v_mad_u64_u32 v[12:13], null, v3, s18, 0
	v_cmp_le_i32_e64 s1, v3, v0
	v_mul_lo_u32 v1, v1, s18
	s_delay_alu instid0(VALU_DEP_1) | instskip(NEXT) | instid1(VALU_DEP_1)
	v_add3_u32 v13, v13, v14, v1
	v_lshlrev_b64 v[12:13], 4, v[12:13]
	s_delay_alu instid0(VALU_DEP_1) | instskip(NEXT) | instid1(VALU_DEP_1)
	v_add_co_u32 v12, s2, s2, v12
	v_add_co_ci_u32_e64 v13, s2, s3, v13, s2
	s_and_b32 s2, s1, vcc_lo
	s_delay_alu instid0(SALU_CYCLE_1)
	s_and_saveexec_b32 s1, s2
	s_cbranch_execz .LBB1643_9
; %bb.8:
	v_mul_f64 v[14:15], s[8:9], v[10:11]
	v_mul_f64 v[10:11], s[6:7], v[10:11]
	v_ashrrev_i32_e32 v1, 31, v0
	s_delay_alu instid0(VALU_DEP_1) | instskip(NEXT) | instid1(VALU_DEP_1)
	v_lshlrev_b64 v[0:1], 4, v[0:1]
	v_add_co_u32 v0, vcc_lo, v12, v0
	s_delay_alu instid0(VALU_DEP_2)
	v_add_co_ci_u32_e32 v1, vcc_lo, v13, v1, vcc_lo
	v_fma_f64 v[14:15], s[6:7], v[8:9], -v[14:15]
	v_fma_f64 v[16:17], s[8:9], v[8:9], v[10:11]
	global_store_b128 v[0:1], v[14:17], off
.LBB1643_9:
	s_or_b32 exec_lo, exec_lo, s1
	v_cmp_le_i32_e32 vcc_lo, v3, v2
	s_and_b32 s0, vcc_lo, s0
	s_delay_alu instid0(SALU_CYCLE_1)
	s_and_saveexec_b32 s1, s0
	s_cbranch_execz .LBB1643_11
; %bb.10:
	v_mul_f64 v[0:1], s[8:9], v[4:5]
	v_mul_f64 v[8:9], s[6:7], v[4:5]
	v_ashrrev_i32_e32 v3, 31, v2
	s_delay_alu instid0(VALU_DEP_3) | instskip(NEXT) | instid1(VALU_DEP_3)
	v_fma_f64 v[4:5], s[6:7], v[6:7], -v[0:1]
	v_fma_f64 v[6:7], s[8:9], v[6:7], v[8:9]
	s_delay_alu instid0(VALU_DEP_3) | instskip(NEXT) | instid1(VALU_DEP_1)
	v_lshlrev_b64 v[0:1], 4, v[2:3]
	v_add_co_u32 v0, vcc_lo, v12, v0
	s_delay_alu instid0(VALU_DEP_2)
	v_add_co_ci_u32_e32 v1, vcc_lo, v13, v1, vcc_lo
	global_store_b128 v[0:1], v[4:7], off
.LBB1643_11:
	s_nop 0
	s_sendmsg sendmsg(MSG_DEALLOC_VGPRS)
	s_endpgm
	.section	.rodata,"a",@progbits
	.p2align	6, 0x0
	.amdhsa_kernel _ZL37rocblas_syrkx_herkx_restricted_kernelIl19rocblas_complex_numIdELi16ELi32ELi8ELb1ELb0ELc84ELc76EKPKS1_KPS1_EviT_T0_PT8_S7_lSA_S7_lS8_PT9_S7_li
		.amdhsa_group_segment_fixed_size 8192
		.amdhsa_private_segment_fixed_size 0
		.amdhsa_kernarg_size 124
		.amdhsa_user_sgpr_count 13
		.amdhsa_user_sgpr_dispatch_ptr 0
		.amdhsa_user_sgpr_queue_ptr 0
		.amdhsa_user_sgpr_kernarg_segment_ptr 1
		.amdhsa_user_sgpr_dispatch_id 0
		.amdhsa_user_sgpr_private_segment_size 0
		.amdhsa_wavefront_size32 1
		.amdhsa_uses_dynamic_stack 0
		.amdhsa_enable_private_segment 0
		.amdhsa_system_sgpr_workgroup_id_x 1
		.amdhsa_system_sgpr_workgroup_id_y 1
		.amdhsa_system_sgpr_workgroup_id_z 1
		.amdhsa_system_sgpr_workgroup_info 0
		.amdhsa_system_vgpr_workitem_id 1
		.amdhsa_next_free_vgpr 118
		.amdhsa_next_free_sgpr 24
		.amdhsa_reserve_vcc 1
		.amdhsa_float_round_mode_32 0
		.amdhsa_float_round_mode_16_64 0
		.amdhsa_float_denorm_mode_32 3
		.amdhsa_float_denorm_mode_16_64 3
		.amdhsa_dx10_clamp 1
		.amdhsa_ieee_mode 1
		.amdhsa_fp16_overflow 0
		.amdhsa_workgroup_processor_mode 1
		.amdhsa_memory_ordered 1
		.amdhsa_forward_progress 0
		.amdhsa_shared_vgpr_count 0
		.amdhsa_exception_fp_ieee_invalid_op 0
		.amdhsa_exception_fp_denorm_src 0
		.amdhsa_exception_fp_ieee_div_zero 0
		.amdhsa_exception_fp_ieee_overflow 0
		.amdhsa_exception_fp_ieee_underflow 0
		.amdhsa_exception_fp_ieee_inexact 0
		.amdhsa_exception_int_div_zero 0
	.end_amdhsa_kernel
	.section	.text._ZL37rocblas_syrkx_herkx_restricted_kernelIl19rocblas_complex_numIdELi16ELi32ELi8ELb1ELb0ELc84ELc76EKPKS1_KPS1_EviT_T0_PT8_S7_lSA_S7_lS8_PT9_S7_li,"axG",@progbits,_ZL37rocblas_syrkx_herkx_restricted_kernelIl19rocblas_complex_numIdELi16ELi32ELi8ELb1ELb0ELc84ELc76EKPKS1_KPS1_EviT_T0_PT8_S7_lSA_S7_lS8_PT9_S7_li,comdat
.Lfunc_end1643:
	.size	_ZL37rocblas_syrkx_herkx_restricted_kernelIl19rocblas_complex_numIdELi16ELi32ELi8ELb1ELb0ELc84ELc76EKPKS1_KPS1_EviT_T0_PT8_S7_lSA_S7_lS8_PT9_S7_li, .Lfunc_end1643-_ZL37rocblas_syrkx_herkx_restricted_kernelIl19rocblas_complex_numIdELi16ELi32ELi8ELb1ELb0ELc84ELc76EKPKS1_KPS1_EviT_T0_PT8_S7_lSA_S7_lS8_PT9_S7_li
                                        ; -- End function
	.section	.AMDGPU.csdata,"",@progbits
; Kernel info:
; codeLenInByte = 3128
; NumSgprs: 26
; NumVgprs: 118
; ScratchSize: 0
; MemoryBound: 0
; FloatMode: 240
; IeeeMode: 1
; LDSByteSize: 8192 bytes/workgroup (compile time only)
; SGPRBlocks: 3
; VGPRBlocks: 14
; NumSGPRsForWavesPerEU: 26
; NumVGPRsForWavesPerEU: 118
; Occupancy: 12
; WaveLimiterHint : 1
; COMPUTE_PGM_RSRC2:SCRATCH_EN: 0
; COMPUTE_PGM_RSRC2:USER_SGPR: 13
; COMPUTE_PGM_RSRC2:TRAP_HANDLER: 0
; COMPUTE_PGM_RSRC2:TGID_X_EN: 1
; COMPUTE_PGM_RSRC2:TGID_Y_EN: 1
; COMPUTE_PGM_RSRC2:TGID_Z_EN: 1
; COMPUTE_PGM_RSRC2:TIDIG_COMP_CNT: 1
	.section	.text._ZL37rocblas_syrkx_herkx_restricted_kernelIl19rocblas_complex_numIdELi16ELi32ELi8ELb1ELb0ELc67ELc76EKPKS1_KPS1_EviT_T0_PT8_S7_lSA_S7_lS8_PT9_S7_li,"axG",@progbits,_ZL37rocblas_syrkx_herkx_restricted_kernelIl19rocblas_complex_numIdELi16ELi32ELi8ELb1ELb0ELc67ELc76EKPKS1_KPS1_EviT_T0_PT8_S7_lSA_S7_lS8_PT9_S7_li,comdat
	.globl	_ZL37rocblas_syrkx_herkx_restricted_kernelIl19rocblas_complex_numIdELi16ELi32ELi8ELb1ELb0ELc67ELc76EKPKS1_KPS1_EviT_T0_PT8_S7_lSA_S7_lS8_PT9_S7_li ; -- Begin function _ZL37rocblas_syrkx_herkx_restricted_kernelIl19rocblas_complex_numIdELi16ELi32ELi8ELb1ELb0ELc67ELc76EKPKS1_KPS1_EviT_T0_PT8_S7_lSA_S7_lS8_PT9_S7_li
	.p2align	8
	.type	_ZL37rocblas_syrkx_herkx_restricted_kernelIl19rocblas_complex_numIdELi16ELi32ELi8ELb1ELb0ELc67ELc76EKPKS1_KPS1_EviT_T0_PT8_S7_lSA_S7_lS8_PT9_S7_li,@function
_ZL37rocblas_syrkx_herkx_restricted_kernelIl19rocblas_complex_numIdELi16ELi32ELi8ELb1ELb0ELc67ELc76EKPKS1_KPS1_EviT_T0_PT8_S7_lSA_S7_lS8_PT9_S7_li: ; @_ZL37rocblas_syrkx_herkx_restricted_kernelIl19rocblas_complex_numIdELi16ELi32ELi8ELb1ELb0ELc67ELc76EKPKS1_KPS1_EviT_T0_PT8_S7_lSA_S7_lS8_PT9_S7_li
; %bb.0:
	s_clause 0x1
	s_load_b128 s[16:19], s[0:1], 0x60
	s_load_b256 s[4:11], s[0:1], 0x8
	s_mov_b32 s2, s15
	s_mov_b32 s3, 0
	v_mov_b32_e32 v16, 0
	s_lshl_b64 s[20:21], s[2:3], 3
	v_dual_mov_b32 v17, 0 :: v_dual_and_b32 v20, 0x3ff, v0
	v_bfe_u32 v21, v0, 10, 10
	s_delay_alu instid0(VALU_DEP_3) | instskip(NEXT) | instid1(VALU_DEP_3)
	v_mov_b32_e32 v12, v16
	v_dual_mov_b32 v14, v16 :: v_dual_mov_b32 v15, v17
	v_dual_mov_b32 v19, v17 :: v_dual_mov_b32 v18, v16
	;; [unrolled: 1-line block ×5, first 2 shown]
	v_mov_b32_e32 v7, v17
	s_waitcnt lgkmcnt(0)
	s_add_u32 s2, s16, s20
	s_addc_u32 s3, s17, s21
	s_load_b64 s[16:17], s[0:1], 0x28
	s_load_b64 s[2:3], s[2:3], 0x0
	v_cmp_lt_i64_e64 s12, s[4:5], 1
	v_dual_mov_b32 v4, v16 :: v_dual_mov_b32 v5, v17
	s_lshl_b32 s22, s13, 5
	s_lshl_b32 s23, s14, 5
	s_delay_alu instid0(VALU_DEP_2)
	s_and_b32 vcc_lo, exec_lo, s12
	s_cbranch_vccnz .LBB1644_3
; %bb.1:
	v_lshl_add_u32 v2, v21, 4, v20
	s_load_b128 s[12:15], s[0:1], 0x38
	v_dual_mov_b32 v1, 0 :: v_dual_and_b32 v0, 7, v20
	s_add_u32 s10, s10, s20
	s_delay_alu instid0(VALU_DEP_2)
	v_and_b32_e32 v9, 31, v2
	v_lshrrev_b32_e32 v8, 3, v2
	v_lshrrev_b32_e32 v2, 5, v2
	s_addc_u32 s11, s11, s21
	v_lshl_add_u32 v23, v21, 7, 0x1000
	v_add_nc_u32_e32 v6, s22, v9
	v_dual_mov_b32 v3, v1 :: v_dual_add_nc_u32 v10, s23, v8
	s_load_b64 s[10:11], s[10:11], 0x0
	s_delay_alu instid0(VALU_DEP_2) | instskip(NEXT) | instid1(VALU_DEP_2)
	v_ashrrev_i32_e32 v11, 31, v6
	v_ashrrev_i32_e32 v7, 31, v10
	s_waitcnt lgkmcnt(0)
	v_mad_u64_u32 v[4:5], null, s16, v6, v[2:3]
	v_mul_lo_u32 v3, s17, v6
	v_mul_lo_u32 v11, s16, v11
	s_add_u32 s12, s12, s20
	s_addc_u32 s13, s13, s21
	v_mul_lo_u32 v12, v7, s14
	s_load_b64 s[12:13], s[12:13], 0x0
	v_mul_lo_u32 v13, v10, s15
	v_mad_u64_u32 v[6:7], null, v10, s14, v[0:1]
	v_lshlrev_b32_e32 v0, 4, v0
	v_add3_u32 v5, v3, v5, v11
	s_delay_alu instid0(VALU_DEP_2) | instskip(NEXT) | instid1(VALU_DEP_2)
	v_lshl_or_b32 v8, v8, 7, v0
	v_lshlrev_b64 v[0:1], 4, v[4:5]
	v_mov_b32_e32 v4, 0
	v_add3_u32 v7, v12, v7, v13
	v_mov_b32_e32 v5, 0
	v_lshlrev_b32_e32 v3, 4, v9
	v_lshlrev_b32_e32 v22, 4, v20
	v_add_co_u32 v0, vcc_lo, v0, s10
	s_delay_alu instid0(VALU_DEP_4) | instskip(NEXT) | instid1(VALU_DEP_4)
	v_mov_b32_e32 v11, v5
	v_lshl_or_b32 v24, v2, 9, v3
	v_lshlrev_b64 v[2:3], 4, v[6:7]
	v_add_co_ci_u32_e32 v1, vcc_lo, s11, v1, vcc_lo
	v_mov_b32_e32 v7, v5
	v_dual_mov_b32 v10, v4 :: v_dual_add_nc_u32 v25, 0x1000, v8
	s_waitcnt lgkmcnt(0)
	s_delay_alu instid0(VALU_DEP_4) | instskip(SKIP_3) | instid1(VALU_DEP_4)
	v_add_co_u32 v2, vcc_lo, v2, s12
	v_add_co_ci_u32_e32 v3, vcc_lo, s13, v3, vcc_lo
	v_add_co_u32 v0, vcc_lo, v0, 8
	v_add_co_ci_u32_e32 v1, vcc_lo, 0, v1, vcc_lo
	v_add_co_u32 v2, vcc_lo, v2, 8
	s_delay_alu instid0(VALU_DEP_4)
	v_add_co_ci_u32_e32 v3, vcc_lo, 0, v3, vcc_lo
	v_dual_mov_b32 v6, v4 :: v_dual_mov_b32 v9, v5
	v_dual_mov_b32 v8, v4 :: v_dual_mov_b32 v15, v5
	;; [unrolled: 1-line block ×5, first 2 shown]
	v_mov_b32_e32 v16, v4
	s_mov_b64 s[10:11], 0
.LBB1644_2:                             ; =>This Inner Loop Header: Depth=1
	global_load_b128 v[26:29], v[0:1], off offset:-8
	global_load_b128 v[30:33], v[2:3], off offset:-8
	s_add_u32 s10, s10, 8
	v_add_co_u32 v0, vcc_lo, 0x80, v0
	s_addc_u32 s11, s11, 0
	v_add_co_ci_u32_e32 v1, vcc_lo, 0, v1, vcc_lo
	v_cmp_ge_u64_e64 s12, s[10:11], s[4:5]
	v_add_co_u32 v2, vcc_lo, 0x80, v2
	v_add_co_ci_u32_e32 v3, vcc_lo, 0, v3, vcc_lo
	s_waitcnt vmcnt(1)
	ds_store_b128 v24, v[26:29]
	s_waitcnt vmcnt(0)
	ds_store_b128 v25, v[30:33]
	s_waitcnt lgkmcnt(0)
	s_barrier
	buffer_gl0_inv
	ds_load_b128 v[26:29], v23
	ds_load_b128 v[30:33], v22
	ds_load_b128 v[34:37], v22 offset:256
	ds_load_b128 v[38:41], v23 offset:2048
	;; [unrolled: 1-line block ×13, first 2 shown]
	s_and_b32 vcc_lo, exec_lo, s12
	s_waitcnt lgkmcnt(13)
	v_mul_f64 v[86:87], v[28:29], v[32:33]
	v_mul_f64 v[88:89], v[26:27], v[32:33]
	s_waitcnt lgkmcnt(12)
	v_mul_f64 v[90:91], v[28:29], v[36:37]
	v_mul_f64 v[92:93], v[26:27], v[36:37]
	;; [unrolled: 3-line block ×3, first 2 shown]
	v_mul_f64 v[96:97], v[40:41], v[36:37]
	v_mul_f64 v[36:37], v[38:39], v[36:37]
	s_waitcnt lgkmcnt(8)
	v_mul_f64 v[98:99], v[44:45], v[52:53]
	v_mul_f64 v[100:101], v[42:43], v[52:53]
	s_waitcnt lgkmcnt(7)
	v_mul_f64 v[102:103], v[44:45], v[56:57]
	v_mul_f64 v[104:105], v[42:43], v[56:57]
	;; [unrolled: 1-line block ×6, first 2 shown]
	s_waitcnt lgkmcnt(3)
	v_mul_f64 v[112:113], v[58:59], v[72:73]
	s_waitcnt lgkmcnt(2)
	v_mul_f64 v[114:115], v[76:77], v[68:69]
	v_mul_f64 v[116:117], v[76:77], v[72:73]
	v_fma_f64 v[86:87], v[26:27], v[30:31], -v[86:87]
	v_fma_f64 v[88:89], v[28:29], v[30:31], v[88:89]
	v_fma_f64 v[90:91], v[26:27], v[34:35], -v[90:91]
	v_fma_f64 v[92:93], v[28:29], v[34:35], v[92:93]
	;; [unrolled: 2-line block ×4, first 2 shown]
	v_mul_f64 v[36:37], v[60:61], v[68:69]
	v_mul_f64 v[40:41], v[58:59], v[68:69]
	;; [unrolled: 1-line block ×5, first 2 shown]
	v_fma_f64 v[98:99], v[42:43], v[50:51], -v[98:99]
	v_fma_f64 v[100:101], v[44:45], v[50:51], v[100:101]
	v_fma_f64 v[42:43], v[42:43], v[54:55], -v[102:103]
	v_fma_f64 v[44:45], v[44:45], v[54:55], v[104:105]
	;; [unrolled: 2-line block ×4, first 2 shown]
	ds_load_b128 v[26:29], v22 offset:1792
	ds_load_b128 v[30:33], v22 offset:2048
	s_waitcnt lgkmcnt(2)
	v_mul_f64 v[56:57], v[64:65], v[84:85]
	v_add_f64 v[16:17], v[16:17], v[86:87]
	v_add_f64 v[18:19], v[18:19], v[88:89]
	v_add_f64 v[12:13], v[12:13], v[90:91]
	v_add_f64 v[14:15], v[14:15], v[92:93]
	v_add_f64 v[52:53], v[8:9], v[94:95]
	v_add_f64 v[54:55], v[10:11], v[110:111]
	v_add_f64 v[38:39], v[6:7], v[38:39]
	v_add_f64 v[34:35], v[4:5], v[34:35]
	v_mul_f64 v[86:87], v[62:63], v[84:85]
	s_waitcnt lgkmcnt(1)
	v_mul_f64 v[88:89], v[64:65], v[28:29]
	v_mul_f64 v[90:91], v[62:63], v[28:29]
	;; [unrolled: 1-line block ×6, first 2 shown]
	v_fma_f64 v[104:105], v[58:59], v[66:67], -v[36:37]
	v_fma_f64 v[106:107], v[60:61], v[66:67], v[40:41]
	v_fma_f64 v[58:59], v[58:59], v[70:71], -v[96:97]
	v_fma_f64 v[60:61], v[60:61], v[70:71], v[112:113]
	v_fma_f64 v[96:97], v[74:75], v[66:67], -v[114:115]
	v_fma_f64 v[66:67], v[76:77], v[66:67], v[68:69]
	v_fma_f64 v[68:69], v[74:75], v[70:71], -v[116:117]
	v_fma_f64 v[70:71], v[76:77], v[70:71], v[72:73]
	ds_load_b128 v[4:7], v22 offset:2304
	ds_load_b128 v[8:11], v23 offset:64
	v_fma_f64 v[56:57], v[62:63], v[82:83], -v[56:57]
	v_add_f64 v[72:73], v[16:17], v[98:99]
	v_add_f64 v[74:75], v[18:19], v[100:101]
	;; [unrolled: 1-line block ×8, first 2 shown]
	ds_load_b128 v[12:15], v23 offset:2112
	ds_load_b128 v[16:19], v23 offset:80
	;; [unrolled: 1-line block ×4, first 2 shown]
	s_waitcnt lgkmcnt(4)
	v_mul_f64 v[54:55], v[10:11], v[32:33]
	v_mul_f64 v[76:77], v[8:9], v[32:33]
	;; [unrolled: 1-line block ×4, first 2 shown]
	v_fma_f64 v[86:87], v[64:65], v[82:83], v[86:87]
	v_fma_f64 v[62:63], v[62:63], v[26:27], -v[88:89]
	v_fma_f64 v[64:65], v[64:65], v[26:27], v[90:91]
	v_fma_f64 v[88:89], v[78:79], v[82:83], -v[92:93]
	;; [unrolled: 2-line block ×3, first 2 shown]
	v_fma_f64 v[80:81], v[80:81], v[26:27], v[28:29]
	s_waitcnt lgkmcnt(3)
	v_mul_f64 v[102:103], v[14:15], v[32:33]
	v_mul_f64 v[32:33], v[12:13], v[32:33]
	;; [unrolled: 1-line block ×4, first 2 shown]
	s_waitcnt lgkmcnt(0)
	v_mul_f64 v[90:91], v[18:19], v[40:41]
	v_mul_f64 v[92:93], v[16:17], v[40:41]
	v_add_f64 v[72:73], v[72:73], v[104:105]
	v_add_f64 v[74:75], v[74:75], v[106:107]
	;; [unrolled: 1-line block ×8, first 2 shown]
	ds_load_b128 v[26:29], v22 offset:2816
	ds_load_b128 v[42:45], v22 offset:3072
	;; [unrolled: 1-line block ×4, first 2 shown]
	v_mul_f64 v[104:105], v[36:37], v[40:41]
	v_mul_f64 v[40:41], v[34:35], v[40:41]
	v_fma_f64 v[54:55], v[8:9], v[30:31], -v[54:55]
	v_fma_f64 v[76:77], v[10:11], v[30:31], v[76:77]
	v_fma_f64 v[98:99], v[8:9], v[4:5], -v[98:99]
	v_fma_f64 v[100:101], v[10:11], v[4:5], v[100:101]
	s_waitcnt lgkmcnt(3)
	v_mul_f64 v[94:95], v[18:19], v[28:29]
	v_mul_f64 v[96:97], v[16:17], v[28:29]
	;; [unrolled: 1-line block ×4, first 2 shown]
	v_fma_f64 v[102:103], v[12:13], v[30:31], -v[102:103]
	v_fma_f64 v[32:33], v[14:15], v[30:31], v[32:33]
	v_fma_f64 v[108:109], v[12:13], v[4:5], -v[108:109]
	v_fma_f64 v[112:113], v[14:15], v[4:5], v[6:7]
	ds_load_b128 v[4:7], v23 offset:2144
	ds_load_b128 v[8:11], v23 offset:112
	;; [unrolled: 1-line block ×4, first 2 shown]
	v_add_f64 v[56:57], v[72:73], v[56:57]
	v_add_f64 v[72:73], v[74:75], v[86:87]
	;; [unrolled: 1-line block ×8, first 2 shown]
	s_waitcnt lgkmcnt(4)
	v_mul_f64 v[70:71], v[52:53], v[44:45]
	v_mul_f64 v[74:75], v[50:51], v[44:45]
	;; [unrolled: 1-line block ×4, first 2 shown]
	s_waitcnt lgkmcnt(3)
	v_mul_f64 v[82:83], v[6:7], v[44:45]
	v_mul_f64 v[44:45], v[4:5], v[44:45]
	;; [unrolled: 1-line block ×4, first 2 shown]
	v_fma_f64 v[86:87], v[16:17], v[38:39], -v[90:91]
	v_fma_f64 v[88:89], v[18:19], v[38:39], v[92:93]
	v_fma_f64 v[90:91], v[16:17], v[26:27], -v[94:95]
	v_fma_f64 v[92:93], v[18:19], v[26:27], v[96:97]
	;; [unrolled: 2-line block ×4, first 2 shown]
	ds_load_b128 v[16:19], v22 offset:3840
	s_waitcnt lgkmcnt(0)
	s_barrier
	buffer_gl0_inv
	v_add_f64 v[36:37], v[56:57], v[54:55]
	v_add_f64 v[40:41], v[72:73], v[76:77]
	;; [unrolled: 1-line block ×8, first 2 shown]
	v_mul_f64 v[64:65], v[10:11], v[30:31]
	v_mul_f64 v[66:67], v[8:9], v[30:31]
	;; [unrolled: 1-line block ×4, first 2 shown]
	v_fma_f64 v[70:71], v[50:51], v[42:43], -v[70:71]
	v_mul_f64 v[68:69], v[10:11], v[18:19]
	v_mul_f64 v[72:73], v[8:9], v[18:19]
	;; [unrolled: 1-line block ×4, first 2 shown]
	v_fma_f64 v[74:75], v[52:53], v[42:43], v[74:75]
	v_fma_f64 v[50:51], v[50:51], v[46:47], -v[78:79]
	v_fma_f64 v[52:53], v[52:53], v[46:47], v[80:81]
	v_fma_f64 v[78:79], v[4:5], v[42:43], -v[82:83]
	;; [unrolled: 2-line block ×3, first 2 shown]
	v_fma_f64 v[6:7], v[6:7], v[46:47], v[48:49]
	v_add_f64 v[36:37], v[36:37], v[86:87]
	v_add_f64 v[40:41], v[40:41], v[88:89]
	;; [unrolled: 1-line block ×8, first 2 shown]
	v_fma_f64 v[38:39], v[8:9], v[28:29], -v[64:65]
	v_fma_f64 v[54:55], v[10:11], v[28:29], v[66:67]
	v_fma_f64 v[56:57], v[12:13], v[28:29], -v[76:77]
	v_fma_f64 v[28:29], v[14:15], v[28:29], v[30:31]
	;; [unrolled: 2-line block ×4, first 2 shown]
	v_add_f64 v[12:13], v[36:37], v[70:71]
	v_add_f64 v[14:15], v[40:41], v[74:75]
	;; [unrolled: 1-line block ×16, first 2 shown]
	s_cbranch_vccz .LBB1644_2
.LBB1644_3:
	v_add_nc_u32_e32 v21, s23, v21
	s_load_b32 s4, s[0:1], 0x0
	s_delay_alu instid0(VALU_DEP_1) | instskip(SKIP_2) | instid1(VALU_DEP_3)
	v_ashrrev_i32_e32 v0, 31, v21
	v_mul_lo_u32 v3, v21, s19
	v_mad_u64_u32 v[1:2], null, v21, s18, 0
	v_mul_lo_u32 v0, v0, s18
	s_delay_alu instid0(VALU_DEP_1) | instskip(SKIP_1) | instid1(VALU_DEP_2)
	v_add3_u32 v2, v2, v3, v0
	v_add_nc_u32_e32 v0, s22, v20
	v_lshlrev_b64 v[1:2], 4, v[1:2]
	s_delay_alu instid0(VALU_DEP_2) | instskip(SKIP_2) | instid1(VALU_DEP_3)
	v_cmp_le_i32_e64 s0, v21, v0
	s_waitcnt lgkmcnt(0)
	v_cmp_gt_i32_e32 vcc_lo, s4, v0
	v_add_co_u32 v20, s1, s2, v1
	s_delay_alu instid0(VALU_DEP_1) | instskip(SKIP_1) | instid1(SALU_CYCLE_1)
	v_add_co_ci_u32_e64 v22, s1, s3, v2, s1
	s_and_b32 s0, s0, vcc_lo
	s_and_saveexec_b32 s1, s0
	s_cbranch_execz .LBB1644_5
; %bb.4:
	v_mul_f64 v[1:2], s[8:9], v[18:19]
	v_mul_f64 v[18:19], s[6:7], v[18:19]
	s_delay_alu instid0(VALU_DEP_2) | instskip(NEXT) | instid1(VALU_DEP_2)
	v_fma_f64 v[23:24], s[6:7], v[16:17], -v[1:2]
	v_fma_f64 v[25:26], s[8:9], v[16:17], v[18:19]
	v_ashrrev_i32_e32 v1, 31, v0
	s_delay_alu instid0(VALU_DEP_1) | instskip(NEXT) | instid1(VALU_DEP_1)
	v_lshlrev_b64 v[1:2], 4, v[0:1]
	v_add_co_u32 v1, s0, v20, v1
	s_delay_alu instid0(VALU_DEP_1)
	v_add_co_ci_u32_e64 v2, s0, v22, v2, s0
	global_store_b128 v[1:2], v[23:26], off
.LBB1644_5:
	s_or_b32 exec_lo, exec_lo, s1
	v_add_nc_u32_e32 v2, 16, v0
	s_delay_alu instid0(VALU_DEP_1) | instskip(SKIP_1) | instid1(VALU_DEP_1)
	v_cmp_le_i32_e64 s1, v21, v2
	v_cmp_gt_i32_e64 s0, s4, v2
	s_and_b32 s1, s1, s0
	s_delay_alu instid0(SALU_CYCLE_1)
	s_and_saveexec_b32 s4, s1
	s_cbranch_execz .LBB1644_7
; %bb.6:
	v_mul_f64 v[16:17], s[8:9], v[14:15]
	v_mul_f64 v[18:19], s[6:7], v[14:15]
	v_ashrrev_i32_e32 v3, 31, v2
	s_delay_alu instid0(VALU_DEP_3) | instskip(NEXT) | instid1(VALU_DEP_3)
	v_fma_f64 v[14:15], s[6:7], v[12:13], -v[16:17]
	v_fma_f64 v[16:17], s[8:9], v[12:13], v[18:19]
	s_delay_alu instid0(VALU_DEP_3) | instskip(NEXT) | instid1(VALU_DEP_1)
	v_lshlrev_b64 v[12:13], 4, v[2:3]
	v_add_co_u32 v12, s1, v20, v12
	s_delay_alu instid0(VALU_DEP_1)
	v_add_co_ci_u32_e64 v13, s1, v22, v13, s1
	global_store_b128 v[12:13], v[14:17], off
.LBB1644_7:
	s_or_b32 exec_lo, exec_lo, s4
	v_add_nc_u32_e32 v3, 16, v21
	s_delay_alu instid0(VALU_DEP_1) | instskip(SKIP_3) | instid1(VALU_DEP_4)
	v_ashrrev_i32_e32 v1, 31, v3
	v_mul_lo_u32 v14, v3, s19
	v_mad_u64_u32 v[12:13], null, v3, s18, 0
	v_cmp_le_i32_e64 s1, v3, v0
	v_mul_lo_u32 v1, v1, s18
	s_delay_alu instid0(VALU_DEP_1) | instskip(NEXT) | instid1(VALU_DEP_1)
	v_add3_u32 v13, v13, v14, v1
	v_lshlrev_b64 v[12:13], 4, v[12:13]
	s_delay_alu instid0(VALU_DEP_1) | instskip(NEXT) | instid1(VALU_DEP_1)
	v_add_co_u32 v12, s2, s2, v12
	v_add_co_ci_u32_e64 v13, s2, s3, v13, s2
	s_and_b32 s2, s1, vcc_lo
	s_delay_alu instid0(SALU_CYCLE_1)
	s_and_saveexec_b32 s1, s2
	s_cbranch_execz .LBB1644_9
; %bb.8:
	v_mul_f64 v[14:15], s[8:9], v[10:11]
	v_mul_f64 v[10:11], s[6:7], v[10:11]
	v_ashrrev_i32_e32 v1, 31, v0
	s_delay_alu instid0(VALU_DEP_1) | instskip(NEXT) | instid1(VALU_DEP_1)
	v_lshlrev_b64 v[0:1], 4, v[0:1]
	v_add_co_u32 v0, vcc_lo, v12, v0
	s_delay_alu instid0(VALU_DEP_2)
	v_add_co_ci_u32_e32 v1, vcc_lo, v13, v1, vcc_lo
	v_fma_f64 v[14:15], s[6:7], v[8:9], -v[14:15]
	v_fma_f64 v[16:17], s[8:9], v[8:9], v[10:11]
	global_store_b128 v[0:1], v[14:17], off
.LBB1644_9:
	s_or_b32 exec_lo, exec_lo, s1
	v_cmp_le_i32_e32 vcc_lo, v3, v2
	s_and_b32 s0, vcc_lo, s0
	s_delay_alu instid0(SALU_CYCLE_1)
	s_and_saveexec_b32 s1, s0
	s_cbranch_execz .LBB1644_11
; %bb.10:
	v_mul_f64 v[0:1], s[8:9], v[4:5]
	v_mul_f64 v[8:9], s[6:7], v[4:5]
	v_ashrrev_i32_e32 v3, 31, v2
	s_delay_alu instid0(VALU_DEP_3) | instskip(NEXT) | instid1(VALU_DEP_3)
	v_fma_f64 v[4:5], s[6:7], v[6:7], -v[0:1]
	v_fma_f64 v[6:7], s[8:9], v[6:7], v[8:9]
	s_delay_alu instid0(VALU_DEP_3) | instskip(NEXT) | instid1(VALU_DEP_1)
	v_lshlrev_b64 v[0:1], 4, v[2:3]
	v_add_co_u32 v0, vcc_lo, v12, v0
	s_delay_alu instid0(VALU_DEP_2)
	v_add_co_ci_u32_e32 v1, vcc_lo, v13, v1, vcc_lo
	global_store_b128 v[0:1], v[4:7], off
.LBB1644_11:
	s_nop 0
	s_sendmsg sendmsg(MSG_DEALLOC_VGPRS)
	s_endpgm
	.section	.rodata,"a",@progbits
	.p2align	6, 0x0
	.amdhsa_kernel _ZL37rocblas_syrkx_herkx_restricted_kernelIl19rocblas_complex_numIdELi16ELi32ELi8ELb1ELb0ELc67ELc76EKPKS1_KPS1_EviT_T0_PT8_S7_lSA_S7_lS8_PT9_S7_li
		.amdhsa_group_segment_fixed_size 8192
		.amdhsa_private_segment_fixed_size 0
		.amdhsa_kernarg_size 124
		.amdhsa_user_sgpr_count 13
		.amdhsa_user_sgpr_dispatch_ptr 0
		.amdhsa_user_sgpr_queue_ptr 0
		.amdhsa_user_sgpr_kernarg_segment_ptr 1
		.amdhsa_user_sgpr_dispatch_id 0
		.amdhsa_user_sgpr_private_segment_size 0
		.amdhsa_wavefront_size32 1
		.amdhsa_uses_dynamic_stack 0
		.amdhsa_enable_private_segment 0
		.amdhsa_system_sgpr_workgroup_id_x 1
		.amdhsa_system_sgpr_workgroup_id_y 1
		.amdhsa_system_sgpr_workgroup_id_z 1
		.amdhsa_system_sgpr_workgroup_info 0
		.amdhsa_system_vgpr_workitem_id 1
		.amdhsa_next_free_vgpr 118
		.amdhsa_next_free_sgpr 24
		.amdhsa_reserve_vcc 1
		.amdhsa_float_round_mode_32 0
		.amdhsa_float_round_mode_16_64 0
		.amdhsa_float_denorm_mode_32 3
		.amdhsa_float_denorm_mode_16_64 3
		.amdhsa_dx10_clamp 1
		.amdhsa_ieee_mode 1
		.amdhsa_fp16_overflow 0
		.amdhsa_workgroup_processor_mode 1
		.amdhsa_memory_ordered 1
		.amdhsa_forward_progress 0
		.amdhsa_shared_vgpr_count 0
		.amdhsa_exception_fp_ieee_invalid_op 0
		.amdhsa_exception_fp_denorm_src 0
		.amdhsa_exception_fp_ieee_div_zero 0
		.amdhsa_exception_fp_ieee_overflow 0
		.amdhsa_exception_fp_ieee_underflow 0
		.amdhsa_exception_fp_ieee_inexact 0
		.amdhsa_exception_int_div_zero 0
	.end_amdhsa_kernel
	.section	.text._ZL37rocblas_syrkx_herkx_restricted_kernelIl19rocblas_complex_numIdELi16ELi32ELi8ELb1ELb0ELc67ELc76EKPKS1_KPS1_EviT_T0_PT8_S7_lSA_S7_lS8_PT9_S7_li,"axG",@progbits,_ZL37rocblas_syrkx_herkx_restricted_kernelIl19rocblas_complex_numIdELi16ELi32ELi8ELb1ELb0ELc67ELc76EKPKS1_KPS1_EviT_T0_PT8_S7_lSA_S7_lS8_PT9_S7_li,comdat
.Lfunc_end1644:
	.size	_ZL37rocblas_syrkx_herkx_restricted_kernelIl19rocblas_complex_numIdELi16ELi32ELi8ELb1ELb0ELc67ELc76EKPKS1_KPS1_EviT_T0_PT8_S7_lSA_S7_lS8_PT9_S7_li, .Lfunc_end1644-_ZL37rocblas_syrkx_herkx_restricted_kernelIl19rocblas_complex_numIdELi16ELi32ELi8ELb1ELb0ELc67ELc76EKPKS1_KPS1_EviT_T0_PT8_S7_lSA_S7_lS8_PT9_S7_li
                                        ; -- End function
	.section	.AMDGPU.csdata,"",@progbits
; Kernel info:
; codeLenInByte = 3128
; NumSgprs: 26
; NumVgprs: 118
; ScratchSize: 0
; MemoryBound: 0
; FloatMode: 240
; IeeeMode: 1
; LDSByteSize: 8192 bytes/workgroup (compile time only)
; SGPRBlocks: 3
; VGPRBlocks: 14
; NumSGPRsForWavesPerEU: 26
; NumVGPRsForWavesPerEU: 118
; Occupancy: 12
; WaveLimiterHint : 1
; COMPUTE_PGM_RSRC2:SCRATCH_EN: 0
; COMPUTE_PGM_RSRC2:USER_SGPR: 13
; COMPUTE_PGM_RSRC2:TRAP_HANDLER: 0
; COMPUTE_PGM_RSRC2:TGID_X_EN: 1
; COMPUTE_PGM_RSRC2:TGID_Y_EN: 1
; COMPUTE_PGM_RSRC2:TGID_Z_EN: 1
; COMPUTE_PGM_RSRC2:TIDIG_COMP_CNT: 1
	.section	.text._ZL37rocblas_syrkx_herkx_restricted_kernelIl19rocblas_complex_numIdELi16ELi32ELi8ELb1ELb0ELc78ELc76EKPKS1_KPS1_EviT_T0_PT8_S7_lSA_S7_lS8_PT9_S7_li,"axG",@progbits,_ZL37rocblas_syrkx_herkx_restricted_kernelIl19rocblas_complex_numIdELi16ELi32ELi8ELb1ELb0ELc78ELc76EKPKS1_KPS1_EviT_T0_PT8_S7_lSA_S7_lS8_PT9_S7_li,comdat
	.globl	_ZL37rocblas_syrkx_herkx_restricted_kernelIl19rocblas_complex_numIdELi16ELi32ELi8ELb1ELb0ELc78ELc76EKPKS1_KPS1_EviT_T0_PT8_S7_lSA_S7_lS8_PT9_S7_li ; -- Begin function _ZL37rocblas_syrkx_herkx_restricted_kernelIl19rocblas_complex_numIdELi16ELi32ELi8ELb1ELb0ELc78ELc76EKPKS1_KPS1_EviT_T0_PT8_S7_lSA_S7_lS8_PT9_S7_li
	.p2align	8
	.type	_ZL37rocblas_syrkx_herkx_restricted_kernelIl19rocblas_complex_numIdELi16ELi32ELi8ELb1ELb0ELc78ELc76EKPKS1_KPS1_EviT_T0_PT8_S7_lSA_S7_lS8_PT9_S7_li,@function
_ZL37rocblas_syrkx_herkx_restricted_kernelIl19rocblas_complex_numIdELi16ELi32ELi8ELb1ELb0ELc78ELc76EKPKS1_KPS1_EviT_T0_PT8_S7_lSA_S7_lS8_PT9_S7_li: ; @_ZL37rocblas_syrkx_herkx_restricted_kernelIl19rocblas_complex_numIdELi16ELi32ELi8ELb1ELb0ELc78ELc76EKPKS1_KPS1_EviT_T0_PT8_S7_lSA_S7_lS8_PT9_S7_li
; %bb.0:
	s_clause 0x1
	s_load_b128 s[16:19], s[0:1], 0x60
	s_load_b256 s[4:11], s[0:1], 0x8
	s_mov_b32 s2, s15
	s_mov_b32 s3, 0
	v_mov_b32_e32 v16, 0
	s_lshl_b64 s[20:21], s[2:3], 3
	v_dual_mov_b32 v17, 0 :: v_dual_and_b32 v20, 0x3ff, v0
	v_bfe_u32 v21, v0, 10, 10
	s_delay_alu instid0(VALU_DEP_3) | instskip(NEXT) | instid1(VALU_DEP_3)
	v_mov_b32_e32 v14, v16
	v_dual_mov_b32 v12, v16 :: v_dual_mov_b32 v13, v17
	v_dual_mov_b32 v19, v17 :: v_dual_mov_b32 v18, v16
	;; [unrolled: 1-line block ×5, first 2 shown]
	v_mov_b32_e32 v7, v17
	s_waitcnt lgkmcnt(0)
	s_add_u32 s2, s16, s20
	s_addc_u32 s3, s17, s21
	s_load_b64 s[16:17], s[0:1], 0x28
	s_load_b64 s[2:3], s[2:3], 0x0
	v_cmp_lt_i64_e64 s12, s[4:5], 1
	v_dual_mov_b32 v4, v16 :: v_dual_mov_b32 v5, v17
	s_lshl_b32 s22, s13, 5
	s_lshl_b32 s23, s14, 5
	s_delay_alu instid0(VALU_DEP_2)
	s_and_b32 vcc_lo, exec_lo, s12
	s_cbranch_vccnz .LBB1645_3
; %bb.1:
	v_lshl_add_u32 v1, v21, 4, v20
	s_load_b128 s[12:15], s[0:1], 0x38
	v_and_b32_e32 v6, 7, v20
	v_mov_b32_e32 v4, 0
	s_add_u32 s10, s10, s20
	v_dual_mov_b32 v5, 0 :: v_dual_and_b32 v14, 31, v1
	v_lshrrev_b32_e32 v15, 3, v1
	v_lshrrev_b32_e32 v16, 5, v1
	s_addc_u32 s11, s11, s21
	s_delay_alu instid0(VALU_DEP_3) | instskip(NEXT) | instid1(VALU_DEP_3)
	v_dual_mov_b32 v11, v5 :: v_dual_add_nc_u32 v0, s22, v14
	v_add_nc_u32_e32 v2, s23, v15
	s_load_b64 s[10:11], s[10:11], 0x0
	v_dual_mov_b32 v19, v5 :: v_dual_lshlrev_b32 v14, 4, v14
	s_delay_alu instid0(VALU_DEP_3) | instskip(NEXT) | instid1(VALU_DEP_3)
	v_ashrrev_i32_e32 v1, 31, v0
	v_ashrrev_i32_e32 v3, 31, v2
	v_lshlrev_b32_e32 v22, 4, v20
	s_delay_alu instid0(VALU_DEP_4)
	v_lshl_or_b32 v24, v16, 9, v14
	v_mov_b32_e32 v10, v4
	s_waitcnt lgkmcnt(0)
	v_mad_u64_u32 v[12:13], null, v16, s16, v[0:1]
	v_mad_u64_u32 v[0:1], null, v6, s14, v[2:3]
	s_add_u32 s12, s12, s20
	s_addc_u32 s13, s13, s21
	v_lshl_add_u32 v23, v21, 7, 0x1000
	s_load_b64 s[12:13], s[12:13], 0x0
	s_delay_alu instid0(VALU_DEP_3) | instskip(SKIP_1) | instid1(VALU_DEP_2)
	v_mov_b32_e32 v2, v13
	v_mov_b32_e32 v18, v4
	v_mad_u64_u32 v[8:9], null, v16, s17, v[2:3]
	v_dual_mov_b32 v17, v5 :: v_dual_mov_b32 v16, v4
	s_delay_alu instid0(VALU_DEP_2) | instskip(SKIP_4) | instid1(VALU_DEP_3)
	v_mov_b32_e32 v13, v8
	v_mad_u64_u32 v[2:3], null, v6, s15, v[1:2]
	v_lshlrev_b32_e32 v1, 4, v6
	v_dual_mov_b32 v7, v5 :: v_dual_mov_b32 v6, v4
	v_dual_mov_b32 v9, v5 :: v_dual_mov_b32 v8, v4
	v_lshl_or_b32 v15, v15, 7, v1
	v_mov_b32_e32 v1, v2
	v_lshlrev_b64 v[2:3], 4, v[12:13]
	v_dual_mov_b32 v13, v5 :: v_dual_mov_b32 v12, v4
	s_delay_alu instid0(VALU_DEP_4) | instskip(NEXT) | instid1(VALU_DEP_4)
	v_add_nc_u32_e32 v25, 0x1000, v15
	v_lshlrev_b64 v[0:1], 4, v[0:1]
	s_delay_alu instid0(VALU_DEP_4) | instskip(SKIP_2) | instid1(VALU_DEP_3)
	v_add_co_u32 v2, vcc_lo, v2, s10
	v_add_co_ci_u32_e32 v3, vcc_lo, s11, v3, vcc_lo
	s_waitcnt lgkmcnt(0)
	v_add_co_u32 v14, vcc_lo, v0, s12
	s_delay_alu instid0(VALU_DEP_4) | instskip(SKIP_2) | instid1(VALU_DEP_4)
	v_add_co_ci_u32_e32 v15, vcc_lo, s13, v1, vcc_lo
	v_add_co_u32 v0, vcc_lo, v2, 8
	v_add_co_ci_u32_e32 v1, vcc_lo, 0, v3, vcc_lo
	v_add_co_u32 v2, vcc_lo, v14, 8
	s_delay_alu instid0(VALU_DEP_4)
	v_add_co_ci_u32_e32 v3, vcc_lo, 0, v15, vcc_lo
	v_dual_mov_b32 v15, v5 :: v_dual_mov_b32 v14, v4
	s_lshl_b64 s[10:11], s[16:17], 7
	s_lshl_b64 s[12:13], s[14:15], 7
	s_mov_b64 s[14:15], 0
.LBB1645_2:                             ; =>This Inner Loop Header: Depth=1
	global_load_b128 v[26:29], v[0:1], off offset:-8
	global_load_b128 v[30:33], v[2:3], off offset:-8
	s_add_u32 s14, s14, 8
	v_add_co_u32 v0, vcc_lo, v0, s10
	s_addc_u32 s15, s15, 0
	v_add_co_ci_u32_e32 v1, vcc_lo, s11, v1, vcc_lo
	v_cmp_ge_u64_e64 s16, s[14:15], s[4:5]
	v_add_co_u32 v2, vcc_lo, v2, s12
	v_add_co_ci_u32_e32 v3, vcc_lo, s13, v3, vcc_lo
	s_waitcnt vmcnt(1)
	ds_store_b128 v24, v[26:29]
	s_waitcnt vmcnt(0)
	ds_store_b128 v25, v[30:33]
	s_waitcnt lgkmcnt(0)
	s_barrier
	buffer_gl0_inv
	ds_load_b128 v[26:29], v23
	ds_load_b128 v[30:33], v22
	ds_load_b128 v[34:37], v22 offset:256
	ds_load_b128 v[38:41], v23 offset:2048
	;; [unrolled: 1-line block ×13, first 2 shown]
	s_and_b32 vcc_lo, exec_lo, s16
	s_waitcnt lgkmcnt(13)
	v_mul_f64 v[86:87], v[28:29], v[32:33]
	v_mul_f64 v[88:89], v[26:27], v[32:33]
	s_waitcnt lgkmcnt(12)
	v_mul_f64 v[90:91], v[28:29], v[36:37]
	v_mul_f64 v[92:93], v[26:27], v[36:37]
	;; [unrolled: 3-line block ×3, first 2 shown]
	v_mul_f64 v[96:97], v[40:41], v[36:37]
	v_mul_f64 v[36:37], v[38:39], v[36:37]
	s_waitcnt lgkmcnt(8)
	v_mul_f64 v[98:99], v[44:45], v[52:53]
	v_mul_f64 v[100:101], v[42:43], v[52:53]
	s_waitcnt lgkmcnt(7)
	v_mul_f64 v[102:103], v[44:45], v[56:57]
	v_mul_f64 v[104:105], v[42:43], v[56:57]
	;; [unrolled: 1-line block ×6, first 2 shown]
	s_waitcnt lgkmcnt(3)
	v_mul_f64 v[112:113], v[58:59], v[72:73]
	s_waitcnt lgkmcnt(2)
	v_mul_f64 v[114:115], v[76:77], v[68:69]
	v_mul_f64 v[116:117], v[76:77], v[72:73]
	v_fma_f64 v[86:87], v[26:27], v[30:31], -v[86:87]
	v_fma_f64 v[88:89], v[28:29], v[30:31], v[88:89]
	v_fma_f64 v[90:91], v[26:27], v[34:35], -v[90:91]
	v_fma_f64 v[92:93], v[28:29], v[34:35], v[92:93]
	v_fma_f64 v[94:95], v[38:39], v[30:31], -v[94:95]
	v_fma_f64 v[110:111], v[40:41], v[30:31], v[32:33]
	v_fma_f64 v[38:39], v[38:39], v[34:35], -v[96:97]
	v_fma_f64 v[34:35], v[40:41], v[34:35], v[36:37]
	v_mul_f64 v[36:37], v[60:61], v[68:69]
	v_mul_f64 v[40:41], v[58:59], v[68:69]
	;; [unrolled: 1-line block ×5, first 2 shown]
	v_fma_f64 v[98:99], v[42:43], v[50:51], -v[98:99]
	v_fma_f64 v[100:101], v[44:45], v[50:51], v[100:101]
	v_fma_f64 v[42:43], v[42:43], v[54:55], -v[102:103]
	v_fma_f64 v[44:45], v[44:45], v[54:55], v[104:105]
	;; [unrolled: 2-line block ×4, first 2 shown]
	ds_load_b128 v[26:29], v22 offset:1792
	ds_load_b128 v[30:33], v22 offset:2048
	s_waitcnt lgkmcnt(2)
	v_mul_f64 v[56:57], v[64:65], v[84:85]
	v_add_f64 v[16:17], v[16:17], v[86:87]
	v_add_f64 v[18:19], v[18:19], v[88:89]
	;; [unrolled: 1-line block ×8, first 2 shown]
	v_mul_f64 v[86:87], v[62:63], v[84:85]
	s_waitcnt lgkmcnt(1)
	v_mul_f64 v[88:89], v[64:65], v[28:29]
	v_mul_f64 v[90:91], v[62:63], v[28:29]
	;; [unrolled: 1-line block ×6, first 2 shown]
	v_fma_f64 v[104:105], v[58:59], v[66:67], -v[36:37]
	v_fma_f64 v[106:107], v[60:61], v[66:67], v[40:41]
	v_fma_f64 v[58:59], v[58:59], v[70:71], -v[96:97]
	v_fma_f64 v[60:61], v[60:61], v[70:71], v[112:113]
	;; [unrolled: 2-line block ×4, first 2 shown]
	ds_load_b128 v[4:7], v22 offset:2304
	ds_load_b128 v[8:11], v23 offset:64
	v_fma_f64 v[56:57], v[62:63], v[82:83], -v[56:57]
	v_add_f64 v[72:73], v[16:17], v[98:99]
	v_add_f64 v[74:75], v[18:19], v[100:101]
	;; [unrolled: 1-line block ×8, first 2 shown]
	ds_load_b128 v[12:15], v23 offset:2112
	ds_load_b128 v[16:19], v23 offset:80
	;; [unrolled: 1-line block ×4, first 2 shown]
	s_waitcnt lgkmcnt(4)
	v_mul_f64 v[54:55], v[10:11], v[32:33]
	v_mul_f64 v[76:77], v[8:9], v[32:33]
	;; [unrolled: 1-line block ×4, first 2 shown]
	v_fma_f64 v[86:87], v[64:65], v[82:83], v[86:87]
	v_fma_f64 v[62:63], v[62:63], v[26:27], -v[88:89]
	v_fma_f64 v[64:65], v[64:65], v[26:27], v[90:91]
	v_fma_f64 v[88:89], v[78:79], v[82:83], -v[92:93]
	;; [unrolled: 2-line block ×3, first 2 shown]
	v_fma_f64 v[80:81], v[80:81], v[26:27], v[28:29]
	s_waitcnt lgkmcnt(3)
	v_mul_f64 v[102:103], v[14:15], v[32:33]
	v_mul_f64 v[32:33], v[12:13], v[32:33]
	;; [unrolled: 1-line block ×4, first 2 shown]
	s_waitcnt lgkmcnt(0)
	v_mul_f64 v[90:91], v[18:19], v[40:41]
	v_mul_f64 v[92:93], v[16:17], v[40:41]
	v_add_f64 v[72:73], v[72:73], v[104:105]
	v_add_f64 v[74:75], v[74:75], v[106:107]
	;; [unrolled: 1-line block ×8, first 2 shown]
	ds_load_b128 v[26:29], v22 offset:2816
	ds_load_b128 v[42:45], v22 offset:3072
	;; [unrolled: 1-line block ×4, first 2 shown]
	v_mul_f64 v[104:105], v[36:37], v[40:41]
	v_mul_f64 v[40:41], v[34:35], v[40:41]
	v_fma_f64 v[54:55], v[8:9], v[30:31], -v[54:55]
	v_fma_f64 v[76:77], v[10:11], v[30:31], v[76:77]
	v_fma_f64 v[98:99], v[8:9], v[4:5], -v[98:99]
	v_fma_f64 v[100:101], v[10:11], v[4:5], v[100:101]
	s_waitcnt lgkmcnt(3)
	v_mul_f64 v[94:95], v[18:19], v[28:29]
	v_mul_f64 v[96:97], v[16:17], v[28:29]
	;; [unrolled: 1-line block ×4, first 2 shown]
	v_fma_f64 v[102:103], v[12:13], v[30:31], -v[102:103]
	v_fma_f64 v[32:33], v[14:15], v[30:31], v[32:33]
	v_fma_f64 v[108:109], v[12:13], v[4:5], -v[108:109]
	v_fma_f64 v[112:113], v[14:15], v[4:5], v[6:7]
	ds_load_b128 v[4:7], v23 offset:2144
	ds_load_b128 v[8:11], v23 offset:112
	ds_load_b128 v[12:15], v23 offset:2160
	ds_load_b128 v[28:31], v22 offset:3584
	v_add_f64 v[56:57], v[72:73], v[56:57]
	v_add_f64 v[72:73], v[74:75], v[86:87]
	;; [unrolled: 1-line block ×8, first 2 shown]
	s_waitcnt lgkmcnt(4)
	v_mul_f64 v[70:71], v[52:53], v[44:45]
	v_mul_f64 v[74:75], v[50:51], v[44:45]
	;; [unrolled: 1-line block ×4, first 2 shown]
	s_waitcnt lgkmcnt(3)
	v_mul_f64 v[82:83], v[6:7], v[44:45]
	v_mul_f64 v[44:45], v[4:5], v[44:45]
	;; [unrolled: 1-line block ×4, first 2 shown]
	v_fma_f64 v[86:87], v[16:17], v[38:39], -v[90:91]
	v_fma_f64 v[88:89], v[18:19], v[38:39], v[92:93]
	v_fma_f64 v[90:91], v[16:17], v[26:27], -v[94:95]
	v_fma_f64 v[92:93], v[18:19], v[26:27], v[96:97]
	;; [unrolled: 2-line block ×4, first 2 shown]
	ds_load_b128 v[16:19], v22 offset:3840
	s_waitcnt lgkmcnt(0)
	s_barrier
	buffer_gl0_inv
	v_add_f64 v[36:37], v[56:57], v[54:55]
	v_add_f64 v[40:41], v[72:73], v[76:77]
	;; [unrolled: 1-line block ×8, first 2 shown]
	v_mul_f64 v[64:65], v[10:11], v[30:31]
	v_mul_f64 v[66:67], v[8:9], v[30:31]
	;; [unrolled: 1-line block ×4, first 2 shown]
	v_fma_f64 v[70:71], v[50:51], v[42:43], -v[70:71]
	v_mul_f64 v[68:69], v[10:11], v[18:19]
	v_mul_f64 v[72:73], v[8:9], v[18:19]
	;; [unrolled: 1-line block ×4, first 2 shown]
	v_fma_f64 v[74:75], v[52:53], v[42:43], v[74:75]
	v_fma_f64 v[50:51], v[50:51], v[46:47], -v[78:79]
	v_fma_f64 v[52:53], v[52:53], v[46:47], v[80:81]
	v_fma_f64 v[78:79], v[4:5], v[42:43], -v[82:83]
	v_fma_f64 v[42:43], v[6:7], v[42:43], v[44:45]
	v_fma_f64 v[4:5], v[4:5], v[46:47], -v[84:85]
	v_fma_f64 v[6:7], v[6:7], v[46:47], v[48:49]
	v_add_f64 v[36:37], v[36:37], v[86:87]
	v_add_f64 v[40:41], v[40:41], v[88:89]
	;; [unrolled: 1-line block ×8, first 2 shown]
	v_fma_f64 v[38:39], v[8:9], v[28:29], -v[64:65]
	v_fma_f64 v[54:55], v[10:11], v[28:29], v[66:67]
	v_fma_f64 v[56:57], v[12:13], v[28:29], -v[76:77]
	v_fma_f64 v[28:29], v[14:15], v[28:29], v[30:31]
	;; [unrolled: 2-line block ×4, first 2 shown]
	v_add_f64 v[12:13], v[36:37], v[70:71]
	v_add_f64 v[14:15], v[40:41], v[74:75]
	v_add_f64 v[36:37], v[44:45], v[50:51]
	v_add_f64 v[40:41], v[46:47], v[52:53]
	v_add_f64 v[44:45], v[48:49], v[78:79]
	v_add_f64 v[32:33], v[32:33], v[42:43]
	v_add_f64 v[4:5], v[34:35], v[4:5]
	v_add_f64 v[26:27], v[26:27], v[6:7]
	v_add_f64 v[16:17], v[12:13], v[38:39]
	v_add_f64 v[18:19], v[14:15], v[54:55]
	v_add_f64 v[14:15], v[36:37], v[8:9]
	v_add_f64 v[12:13], v[40:41], v[10:11]
	v_add_f64 v[8:9], v[44:45], v[56:57]
	v_add_f64 v[10:11], v[32:33], v[28:29]
	v_add_f64 v[6:7], v[4:5], v[30:31]
	v_add_f64 v[4:5], v[26:27], v[58:59]
	s_cbranch_vccz .LBB1645_2
.LBB1645_3:
	v_add_nc_u32_e32 v21, s23, v21
	s_load_b32 s4, s[0:1], 0x0
	s_delay_alu instid0(VALU_DEP_1) | instskip(SKIP_2) | instid1(VALU_DEP_3)
	v_ashrrev_i32_e32 v0, 31, v21
	v_mul_lo_u32 v3, v21, s19
	v_mad_u64_u32 v[1:2], null, v21, s18, 0
	v_mul_lo_u32 v0, v0, s18
	s_delay_alu instid0(VALU_DEP_1) | instskip(SKIP_1) | instid1(VALU_DEP_2)
	v_add3_u32 v2, v2, v3, v0
	v_add_nc_u32_e32 v0, s22, v20
	v_lshlrev_b64 v[1:2], 4, v[1:2]
	s_delay_alu instid0(VALU_DEP_2) | instskip(SKIP_2) | instid1(VALU_DEP_3)
	v_cmp_le_i32_e64 s0, v21, v0
	s_waitcnt lgkmcnt(0)
	v_cmp_gt_i32_e32 vcc_lo, s4, v0
	v_add_co_u32 v20, s1, s2, v1
	s_delay_alu instid0(VALU_DEP_1) | instskip(SKIP_1) | instid1(SALU_CYCLE_1)
	v_add_co_ci_u32_e64 v22, s1, s3, v2, s1
	s_and_b32 s0, s0, vcc_lo
	s_and_saveexec_b32 s1, s0
	s_cbranch_execz .LBB1645_5
; %bb.4:
	v_mul_f64 v[1:2], s[8:9], v[18:19]
	v_mul_f64 v[18:19], s[6:7], v[18:19]
	s_delay_alu instid0(VALU_DEP_2) | instskip(NEXT) | instid1(VALU_DEP_2)
	v_fma_f64 v[23:24], s[6:7], v[16:17], -v[1:2]
	v_fma_f64 v[25:26], s[8:9], v[16:17], v[18:19]
	v_ashrrev_i32_e32 v1, 31, v0
	s_delay_alu instid0(VALU_DEP_1) | instskip(NEXT) | instid1(VALU_DEP_1)
	v_lshlrev_b64 v[1:2], 4, v[0:1]
	v_add_co_u32 v1, s0, v20, v1
	s_delay_alu instid0(VALU_DEP_1)
	v_add_co_ci_u32_e64 v2, s0, v22, v2, s0
	global_store_b128 v[1:2], v[23:26], off
.LBB1645_5:
	s_or_b32 exec_lo, exec_lo, s1
	v_add_nc_u32_e32 v2, 16, v0
	s_delay_alu instid0(VALU_DEP_1) | instskip(SKIP_1) | instid1(VALU_DEP_1)
	v_cmp_le_i32_e64 s1, v21, v2
	v_cmp_gt_i32_e64 s0, s4, v2
	s_and_b32 s1, s1, s0
	s_delay_alu instid0(SALU_CYCLE_1)
	s_and_saveexec_b32 s4, s1
	s_cbranch_execz .LBB1645_7
; %bb.6:
	v_mul_f64 v[16:17], s[8:9], v[12:13]
	v_mul_f64 v[18:19], s[6:7], v[12:13]
	v_ashrrev_i32_e32 v3, 31, v2
	s_delay_alu instid0(VALU_DEP_3) | instskip(NEXT) | instid1(VALU_DEP_3)
	v_fma_f64 v[12:13], s[6:7], v[14:15], -v[16:17]
	v_fma_f64 v[14:15], s[8:9], v[14:15], v[18:19]
	s_delay_alu instid0(VALU_DEP_3) | instskip(NEXT) | instid1(VALU_DEP_1)
	v_lshlrev_b64 v[16:17], 4, v[2:3]
	v_add_co_u32 v16, s1, v20, v16
	s_delay_alu instid0(VALU_DEP_1)
	v_add_co_ci_u32_e64 v17, s1, v22, v17, s1
	global_store_b128 v[16:17], v[12:15], off
.LBB1645_7:
	s_or_b32 exec_lo, exec_lo, s4
	v_add_nc_u32_e32 v3, 16, v21
	s_delay_alu instid0(VALU_DEP_1) | instskip(SKIP_3) | instid1(VALU_DEP_4)
	v_ashrrev_i32_e32 v1, 31, v3
	v_mul_lo_u32 v14, v3, s19
	v_mad_u64_u32 v[12:13], null, v3, s18, 0
	v_cmp_le_i32_e64 s1, v3, v0
	v_mul_lo_u32 v1, v1, s18
	s_delay_alu instid0(VALU_DEP_1) | instskip(NEXT) | instid1(VALU_DEP_1)
	v_add3_u32 v13, v13, v14, v1
	v_lshlrev_b64 v[12:13], 4, v[12:13]
	s_delay_alu instid0(VALU_DEP_1) | instskip(NEXT) | instid1(VALU_DEP_1)
	v_add_co_u32 v12, s2, s2, v12
	v_add_co_ci_u32_e64 v13, s2, s3, v13, s2
	s_and_b32 s2, s1, vcc_lo
	s_delay_alu instid0(SALU_CYCLE_1)
	s_and_saveexec_b32 s1, s2
	s_cbranch_execz .LBB1645_9
; %bb.8:
	v_mul_f64 v[14:15], s[8:9], v[10:11]
	v_mul_f64 v[10:11], s[6:7], v[10:11]
	v_ashrrev_i32_e32 v1, 31, v0
	s_delay_alu instid0(VALU_DEP_1) | instskip(NEXT) | instid1(VALU_DEP_1)
	v_lshlrev_b64 v[0:1], 4, v[0:1]
	v_add_co_u32 v0, vcc_lo, v12, v0
	s_delay_alu instid0(VALU_DEP_2)
	v_add_co_ci_u32_e32 v1, vcc_lo, v13, v1, vcc_lo
	v_fma_f64 v[14:15], s[6:7], v[8:9], -v[14:15]
	v_fma_f64 v[16:17], s[8:9], v[8:9], v[10:11]
	global_store_b128 v[0:1], v[14:17], off
.LBB1645_9:
	s_or_b32 exec_lo, exec_lo, s1
	v_cmp_le_i32_e32 vcc_lo, v3, v2
	s_and_b32 s0, vcc_lo, s0
	s_delay_alu instid0(SALU_CYCLE_1)
	s_and_saveexec_b32 s1, s0
	s_cbranch_execz .LBB1645_11
; %bb.10:
	v_mul_f64 v[0:1], s[8:9], v[4:5]
	v_mul_f64 v[8:9], s[6:7], v[4:5]
	v_ashrrev_i32_e32 v3, 31, v2
	s_delay_alu instid0(VALU_DEP_3) | instskip(NEXT) | instid1(VALU_DEP_3)
	v_fma_f64 v[4:5], s[6:7], v[6:7], -v[0:1]
	v_fma_f64 v[6:7], s[8:9], v[6:7], v[8:9]
	s_delay_alu instid0(VALU_DEP_3) | instskip(NEXT) | instid1(VALU_DEP_1)
	v_lshlrev_b64 v[0:1], 4, v[2:3]
	v_add_co_u32 v0, vcc_lo, v12, v0
	s_delay_alu instid0(VALU_DEP_2)
	v_add_co_ci_u32_e32 v1, vcc_lo, v13, v1, vcc_lo
	global_store_b128 v[0:1], v[4:7], off
.LBB1645_11:
	s_nop 0
	s_sendmsg sendmsg(MSG_DEALLOC_VGPRS)
	s_endpgm
	.section	.rodata,"a",@progbits
	.p2align	6, 0x0
	.amdhsa_kernel _ZL37rocblas_syrkx_herkx_restricted_kernelIl19rocblas_complex_numIdELi16ELi32ELi8ELb1ELb0ELc78ELc76EKPKS1_KPS1_EviT_T0_PT8_S7_lSA_S7_lS8_PT9_S7_li
		.amdhsa_group_segment_fixed_size 8192
		.amdhsa_private_segment_fixed_size 0
		.amdhsa_kernarg_size 124
		.amdhsa_user_sgpr_count 13
		.amdhsa_user_sgpr_dispatch_ptr 0
		.amdhsa_user_sgpr_queue_ptr 0
		.amdhsa_user_sgpr_kernarg_segment_ptr 1
		.amdhsa_user_sgpr_dispatch_id 0
		.amdhsa_user_sgpr_private_segment_size 0
		.amdhsa_wavefront_size32 1
		.amdhsa_uses_dynamic_stack 0
		.amdhsa_enable_private_segment 0
		.amdhsa_system_sgpr_workgroup_id_x 1
		.amdhsa_system_sgpr_workgroup_id_y 1
		.amdhsa_system_sgpr_workgroup_id_z 1
		.amdhsa_system_sgpr_workgroup_info 0
		.amdhsa_system_vgpr_workitem_id 1
		.amdhsa_next_free_vgpr 118
		.amdhsa_next_free_sgpr 24
		.amdhsa_reserve_vcc 1
		.amdhsa_float_round_mode_32 0
		.amdhsa_float_round_mode_16_64 0
		.amdhsa_float_denorm_mode_32 3
		.amdhsa_float_denorm_mode_16_64 3
		.amdhsa_dx10_clamp 1
		.amdhsa_ieee_mode 1
		.amdhsa_fp16_overflow 0
		.amdhsa_workgroup_processor_mode 1
		.amdhsa_memory_ordered 1
		.amdhsa_forward_progress 0
		.amdhsa_shared_vgpr_count 0
		.amdhsa_exception_fp_ieee_invalid_op 0
		.amdhsa_exception_fp_denorm_src 0
		.amdhsa_exception_fp_ieee_div_zero 0
		.amdhsa_exception_fp_ieee_overflow 0
		.amdhsa_exception_fp_ieee_underflow 0
		.amdhsa_exception_fp_ieee_inexact 0
		.amdhsa_exception_int_div_zero 0
	.end_amdhsa_kernel
	.section	.text._ZL37rocblas_syrkx_herkx_restricted_kernelIl19rocblas_complex_numIdELi16ELi32ELi8ELb1ELb0ELc78ELc76EKPKS1_KPS1_EviT_T0_PT8_S7_lSA_S7_lS8_PT9_S7_li,"axG",@progbits,_ZL37rocblas_syrkx_herkx_restricted_kernelIl19rocblas_complex_numIdELi16ELi32ELi8ELb1ELb0ELc78ELc76EKPKS1_KPS1_EviT_T0_PT8_S7_lSA_S7_lS8_PT9_S7_li,comdat
.Lfunc_end1645:
	.size	_ZL37rocblas_syrkx_herkx_restricted_kernelIl19rocblas_complex_numIdELi16ELi32ELi8ELb1ELb0ELc78ELc76EKPKS1_KPS1_EviT_T0_PT8_S7_lSA_S7_lS8_PT9_S7_li, .Lfunc_end1645-_ZL37rocblas_syrkx_herkx_restricted_kernelIl19rocblas_complex_numIdELi16ELi32ELi8ELb1ELb0ELc78ELc76EKPKS1_KPS1_EviT_T0_PT8_S7_lSA_S7_lS8_PT9_S7_li
                                        ; -- End function
	.section	.AMDGPU.csdata,"",@progbits
; Kernel info:
; codeLenInByte = 3112
; NumSgprs: 26
; NumVgprs: 118
; ScratchSize: 0
; MemoryBound: 0
; FloatMode: 240
; IeeeMode: 1
; LDSByteSize: 8192 bytes/workgroup (compile time only)
; SGPRBlocks: 3
; VGPRBlocks: 14
; NumSGPRsForWavesPerEU: 26
; NumVGPRsForWavesPerEU: 118
; Occupancy: 12
; WaveLimiterHint : 1
; COMPUTE_PGM_RSRC2:SCRATCH_EN: 0
; COMPUTE_PGM_RSRC2:USER_SGPR: 13
; COMPUTE_PGM_RSRC2:TRAP_HANDLER: 0
; COMPUTE_PGM_RSRC2:TGID_X_EN: 1
; COMPUTE_PGM_RSRC2:TGID_Y_EN: 1
; COMPUTE_PGM_RSRC2:TGID_Z_EN: 1
; COMPUTE_PGM_RSRC2:TIDIG_COMP_CNT: 1
	.section	.text._ZL37rocblas_syrkx_herkx_restricted_kernelIl19rocblas_complex_numIdELi16ELi32ELi8ELb1ELb0ELc84ELc85EKPKS1_KPS1_EviT_T0_PT8_S7_lSA_S7_lS8_PT9_S7_li,"axG",@progbits,_ZL37rocblas_syrkx_herkx_restricted_kernelIl19rocblas_complex_numIdELi16ELi32ELi8ELb1ELb0ELc84ELc85EKPKS1_KPS1_EviT_T0_PT8_S7_lSA_S7_lS8_PT9_S7_li,comdat
	.globl	_ZL37rocblas_syrkx_herkx_restricted_kernelIl19rocblas_complex_numIdELi16ELi32ELi8ELb1ELb0ELc84ELc85EKPKS1_KPS1_EviT_T0_PT8_S7_lSA_S7_lS8_PT9_S7_li ; -- Begin function _ZL37rocblas_syrkx_herkx_restricted_kernelIl19rocblas_complex_numIdELi16ELi32ELi8ELb1ELb0ELc84ELc85EKPKS1_KPS1_EviT_T0_PT8_S7_lSA_S7_lS8_PT9_S7_li
	.p2align	8
	.type	_ZL37rocblas_syrkx_herkx_restricted_kernelIl19rocblas_complex_numIdELi16ELi32ELi8ELb1ELb0ELc84ELc85EKPKS1_KPS1_EviT_T0_PT8_S7_lSA_S7_lS8_PT9_S7_li,@function
_ZL37rocblas_syrkx_herkx_restricted_kernelIl19rocblas_complex_numIdELi16ELi32ELi8ELb1ELb0ELc84ELc85EKPKS1_KPS1_EviT_T0_PT8_S7_lSA_S7_lS8_PT9_S7_li: ; @_ZL37rocblas_syrkx_herkx_restricted_kernelIl19rocblas_complex_numIdELi16ELi32ELi8ELb1ELb0ELc84ELc85EKPKS1_KPS1_EviT_T0_PT8_S7_lSA_S7_lS8_PT9_S7_li
; %bb.0:
	s_clause 0x1
	s_load_b128 s[16:19], s[0:1], 0x60
	s_load_b256 s[4:11], s[0:1], 0x8
	s_mov_b32 s2, s15
	s_mov_b32 s3, 0
	v_mov_b32_e32 v16, 0
	s_lshl_b64 s[20:21], s[2:3], 3
	v_dual_mov_b32 v17, 0 :: v_dual_and_b32 v20, 0x3ff, v0
	v_bfe_u32 v21, v0, 10, 10
	s_delay_alu instid0(VALU_DEP_3) | instskip(NEXT) | instid1(VALU_DEP_3)
	v_mov_b32_e32 v12, v16
	v_dual_mov_b32 v14, v16 :: v_dual_mov_b32 v15, v17
	v_dual_mov_b32 v19, v17 :: v_dual_mov_b32 v18, v16
	;; [unrolled: 1-line block ×5, first 2 shown]
	v_mov_b32_e32 v7, v17
	s_waitcnt lgkmcnt(0)
	s_add_u32 s2, s16, s20
	s_addc_u32 s3, s17, s21
	s_load_b64 s[16:17], s[0:1], 0x28
	s_load_b64 s[2:3], s[2:3], 0x0
	v_cmp_lt_i64_e64 s12, s[4:5], 1
	v_dual_mov_b32 v4, v16 :: v_dual_mov_b32 v5, v17
	s_lshl_b32 s22, s13, 5
	s_lshl_b32 s23, s14, 5
	s_delay_alu instid0(VALU_DEP_2)
	s_and_b32 vcc_lo, exec_lo, s12
	s_cbranch_vccnz .LBB1646_3
; %bb.1:
	v_lshl_add_u32 v2, v21, 4, v20
	s_load_b128 s[12:15], s[0:1], 0x38
	v_dual_mov_b32 v1, 0 :: v_dual_and_b32 v0, 7, v20
	s_add_u32 s10, s10, s20
	s_delay_alu instid0(VALU_DEP_2)
	v_and_b32_e32 v9, 31, v2
	v_lshrrev_b32_e32 v8, 3, v2
	v_lshrrev_b32_e32 v2, 5, v2
	s_addc_u32 s11, s11, s21
	v_lshl_add_u32 v23, v21, 7, 0x1000
	v_add_nc_u32_e32 v6, s22, v9
	v_dual_mov_b32 v3, v1 :: v_dual_add_nc_u32 v10, s23, v8
	s_load_b64 s[10:11], s[10:11], 0x0
	s_delay_alu instid0(VALU_DEP_2) | instskip(NEXT) | instid1(VALU_DEP_2)
	v_ashrrev_i32_e32 v11, 31, v6
	v_ashrrev_i32_e32 v7, 31, v10
	s_waitcnt lgkmcnt(0)
	v_mad_u64_u32 v[4:5], null, s16, v6, v[2:3]
	v_mul_lo_u32 v3, s17, v6
	v_mul_lo_u32 v11, s16, v11
	s_add_u32 s12, s12, s20
	s_addc_u32 s13, s13, s21
	v_mul_lo_u32 v12, v7, s14
	s_load_b64 s[12:13], s[12:13], 0x0
	v_mul_lo_u32 v13, v10, s15
	v_mad_u64_u32 v[6:7], null, v10, s14, v[0:1]
	v_lshlrev_b32_e32 v0, 4, v0
	v_add3_u32 v5, v3, v5, v11
	s_delay_alu instid0(VALU_DEP_2) | instskip(NEXT) | instid1(VALU_DEP_2)
	v_lshl_or_b32 v8, v8, 7, v0
	v_lshlrev_b64 v[0:1], 4, v[4:5]
	v_mov_b32_e32 v4, 0
	v_add3_u32 v7, v12, v7, v13
	v_mov_b32_e32 v5, 0
	v_lshlrev_b32_e32 v3, 4, v9
	v_lshlrev_b32_e32 v22, 4, v20
	v_add_co_u32 v0, vcc_lo, v0, s10
	s_delay_alu instid0(VALU_DEP_4) | instskip(NEXT) | instid1(VALU_DEP_4)
	v_mov_b32_e32 v11, v5
	v_lshl_or_b32 v24, v2, 9, v3
	v_lshlrev_b64 v[2:3], 4, v[6:7]
	v_add_co_ci_u32_e32 v1, vcc_lo, s11, v1, vcc_lo
	v_mov_b32_e32 v7, v5
	v_dual_mov_b32 v10, v4 :: v_dual_add_nc_u32 v25, 0x1000, v8
	s_waitcnt lgkmcnt(0)
	s_delay_alu instid0(VALU_DEP_4) | instskip(SKIP_3) | instid1(VALU_DEP_4)
	v_add_co_u32 v2, vcc_lo, v2, s12
	v_add_co_ci_u32_e32 v3, vcc_lo, s13, v3, vcc_lo
	v_add_co_u32 v0, vcc_lo, v0, 8
	v_add_co_ci_u32_e32 v1, vcc_lo, 0, v1, vcc_lo
	v_add_co_u32 v2, vcc_lo, v2, 8
	s_delay_alu instid0(VALU_DEP_4)
	v_add_co_ci_u32_e32 v3, vcc_lo, 0, v3, vcc_lo
	v_dual_mov_b32 v6, v4 :: v_dual_mov_b32 v9, v5
	v_dual_mov_b32 v8, v4 :: v_dual_mov_b32 v15, v5
	;; [unrolled: 1-line block ×5, first 2 shown]
	v_mov_b32_e32 v16, v4
	s_mov_b64 s[10:11], 0
.LBB1646_2:                             ; =>This Inner Loop Header: Depth=1
	global_load_b128 v[26:29], v[0:1], off offset:-8
	global_load_b128 v[30:33], v[2:3], off offset:-8
	s_add_u32 s10, s10, 8
	v_add_co_u32 v0, vcc_lo, 0x80, v0
	s_addc_u32 s11, s11, 0
	v_add_co_ci_u32_e32 v1, vcc_lo, 0, v1, vcc_lo
	v_cmp_ge_u64_e64 s12, s[10:11], s[4:5]
	v_add_co_u32 v2, vcc_lo, 0x80, v2
	v_add_co_ci_u32_e32 v3, vcc_lo, 0, v3, vcc_lo
	s_waitcnt vmcnt(1)
	ds_store_b128 v24, v[26:29]
	s_waitcnt vmcnt(0)
	ds_store_b128 v25, v[30:33]
	s_waitcnt lgkmcnt(0)
	s_barrier
	buffer_gl0_inv
	ds_load_b128 v[26:29], v23
	ds_load_b128 v[30:33], v22
	ds_load_b128 v[34:37], v22 offset:256
	ds_load_b128 v[38:41], v23 offset:2048
	;; [unrolled: 1-line block ×13, first 2 shown]
	s_and_b32 vcc_lo, exec_lo, s12
	s_waitcnt lgkmcnt(13)
	v_mul_f64 v[86:87], v[28:29], v[32:33]
	v_mul_f64 v[88:89], v[26:27], v[32:33]
	s_waitcnt lgkmcnt(12)
	v_mul_f64 v[90:91], v[28:29], v[36:37]
	v_mul_f64 v[92:93], v[26:27], v[36:37]
	;; [unrolled: 3-line block ×3, first 2 shown]
	v_mul_f64 v[96:97], v[40:41], v[36:37]
	v_mul_f64 v[36:37], v[38:39], v[36:37]
	s_waitcnt lgkmcnt(8)
	v_mul_f64 v[98:99], v[44:45], v[52:53]
	v_mul_f64 v[100:101], v[42:43], v[52:53]
	s_waitcnt lgkmcnt(7)
	v_mul_f64 v[102:103], v[44:45], v[56:57]
	v_mul_f64 v[104:105], v[42:43], v[56:57]
	;; [unrolled: 1-line block ×6, first 2 shown]
	s_waitcnt lgkmcnt(3)
	v_mul_f64 v[112:113], v[58:59], v[72:73]
	s_waitcnt lgkmcnt(2)
	v_mul_f64 v[114:115], v[76:77], v[68:69]
	v_mul_f64 v[116:117], v[76:77], v[72:73]
	v_fma_f64 v[86:87], v[26:27], v[30:31], -v[86:87]
	v_fma_f64 v[88:89], v[28:29], v[30:31], v[88:89]
	v_fma_f64 v[90:91], v[26:27], v[34:35], -v[90:91]
	v_fma_f64 v[92:93], v[28:29], v[34:35], v[92:93]
	;; [unrolled: 2-line block ×4, first 2 shown]
	v_mul_f64 v[36:37], v[60:61], v[68:69]
	v_mul_f64 v[40:41], v[58:59], v[68:69]
	;; [unrolled: 1-line block ×5, first 2 shown]
	v_fma_f64 v[98:99], v[42:43], v[50:51], -v[98:99]
	v_fma_f64 v[100:101], v[44:45], v[50:51], v[100:101]
	v_fma_f64 v[42:43], v[42:43], v[54:55], -v[102:103]
	v_fma_f64 v[44:45], v[44:45], v[54:55], v[104:105]
	;; [unrolled: 2-line block ×4, first 2 shown]
	ds_load_b128 v[26:29], v22 offset:1792
	ds_load_b128 v[30:33], v22 offset:2048
	s_waitcnt lgkmcnt(2)
	v_mul_f64 v[56:57], v[64:65], v[84:85]
	v_add_f64 v[16:17], v[16:17], v[86:87]
	v_add_f64 v[18:19], v[18:19], v[88:89]
	;; [unrolled: 1-line block ×8, first 2 shown]
	v_mul_f64 v[86:87], v[62:63], v[84:85]
	s_waitcnt lgkmcnt(1)
	v_mul_f64 v[88:89], v[64:65], v[28:29]
	v_mul_f64 v[90:91], v[62:63], v[28:29]
	;; [unrolled: 1-line block ×6, first 2 shown]
	v_fma_f64 v[104:105], v[58:59], v[66:67], -v[36:37]
	v_fma_f64 v[106:107], v[60:61], v[66:67], v[40:41]
	v_fma_f64 v[58:59], v[58:59], v[70:71], -v[96:97]
	v_fma_f64 v[60:61], v[60:61], v[70:71], v[112:113]
	;; [unrolled: 2-line block ×4, first 2 shown]
	ds_load_b128 v[4:7], v22 offset:2304
	ds_load_b128 v[8:11], v23 offset:64
	v_fma_f64 v[56:57], v[62:63], v[82:83], -v[56:57]
	v_add_f64 v[72:73], v[16:17], v[98:99]
	v_add_f64 v[74:75], v[18:19], v[100:101]
	;; [unrolled: 1-line block ×8, first 2 shown]
	ds_load_b128 v[12:15], v23 offset:2112
	ds_load_b128 v[16:19], v23 offset:80
	;; [unrolled: 1-line block ×4, first 2 shown]
	s_waitcnt lgkmcnt(4)
	v_mul_f64 v[54:55], v[10:11], v[32:33]
	v_mul_f64 v[76:77], v[8:9], v[32:33]
	;; [unrolled: 1-line block ×4, first 2 shown]
	v_fma_f64 v[86:87], v[64:65], v[82:83], v[86:87]
	v_fma_f64 v[62:63], v[62:63], v[26:27], -v[88:89]
	v_fma_f64 v[64:65], v[64:65], v[26:27], v[90:91]
	v_fma_f64 v[88:89], v[78:79], v[82:83], -v[92:93]
	;; [unrolled: 2-line block ×3, first 2 shown]
	v_fma_f64 v[80:81], v[80:81], v[26:27], v[28:29]
	s_waitcnt lgkmcnt(3)
	v_mul_f64 v[102:103], v[14:15], v[32:33]
	v_mul_f64 v[32:33], v[12:13], v[32:33]
	;; [unrolled: 1-line block ×4, first 2 shown]
	s_waitcnt lgkmcnt(0)
	v_mul_f64 v[90:91], v[18:19], v[40:41]
	v_mul_f64 v[92:93], v[16:17], v[40:41]
	v_add_f64 v[72:73], v[72:73], v[104:105]
	v_add_f64 v[74:75], v[74:75], v[106:107]
	;; [unrolled: 1-line block ×8, first 2 shown]
	ds_load_b128 v[26:29], v22 offset:2816
	ds_load_b128 v[42:45], v22 offset:3072
	;; [unrolled: 1-line block ×4, first 2 shown]
	v_mul_f64 v[104:105], v[36:37], v[40:41]
	v_mul_f64 v[40:41], v[34:35], v[40:41]
	v_fma_f64 v[54:55], v[8:9], v[30:31], -v[54:55]
	v_fma_f64 v[76:77], v[10:11], v[30:31], v[76:77]
	v_fma_f64 v[98:99], v[8:9], v[4:5], -v[98:99]
	v_fma_f64 v[100:101], v[10:11], v[4:5], v[100:101]
	s_waitcnt lgkmcnt(3)
	v_mul_f64 v[94:95], v[18:19], v[28:29]
	v_mul_f64 v[96:97], v[16:17], v[28:29]
	;; [unrolled: 1-line block ×4, first 2 shown]
	v_fma_f64 v[102:103], v[12:13], v[30:31], -v[102:103]
	v_fma_f64 v[32:33], v[14:15], v[30:31], v[32:33]
	v_fma_f64 v[108:109], v[12:13], v[4:5], -v[108:109]
	v_fma_f64 v[112:113], v[14:15], v[4:5], v[6:7]
	ds_load_b128 v[4:7], v23 offset:2144
	ds_load_b128 v[8:11], v23 offset:112
	;; [unrolled: 1-line block ×4, first 2 shown]
	v_add_f64 v[56:57], v[72:73], v[56:57]
	v_add_f64 v[72:73], v[74:75], v[86:87]
	;; [unrolled: 1-line block ×8, first 2 shown]
	s_waitcnt lgkmcnt(4)
	v_mul_f64 v[70:71], v[52:53], v[44:45]
	v_mul_f64 v[74:75], v[50:51], v[44:45]
	;; [unrolled: 1-line block ×4, first 2 shown]
	s_waitcnt lgkmcnt(3)
	v_mul_f64 v[82:83], v[6:7], v[44:45]
	v_mul_f64 v[44:45], v[4:5], v[44:45]
	v_mul_f64 v[84:85], v[6:7], v[48:49]
	v_mul_f64 v[48:49], v[4:5], v[48:49]
	v_fma_f64 v[86:87], v[16:17], v[38:39], -v[90:91]
	v_fma_f64 v[88:89], v[18:19], v[38:39], v[92:93]
	v_fma_f64 v[90:91], v[16:17], v[26:27], -v[94:95]
	v_fma_f64 v[92:93], v[18:19], v[26:27], v[96:97]
	;; [unrolled: 2-line block ×4, first 2 shown]
	ds_load_b128 v[16:19], v22 offset:3840
	s_waitcnt lgkmcnt(0)
	s_barrier
	buffer_gl0_inv
	v_add_f64 v[36:37], v[56:57], v[54:55]
	v_add_f64 v[40:41], v[72:73], v[76:77]
	;; [unrolled: 1-line block ×8, first 2 shown]
	v_mul_f64 v[64:65], v[10:11], v[30:31]
	v_mul_f64 v[66:67], v[8:9], v[30:31]
	;; [unrolled: 1-line block ×4, first 2 shown]
	v_fma_f64 v[70:71], v[50:51], v[42:43], -v[70:71]
	v_mul_f64 v[68:69], v[10:11], v[18:19]
	v_mul_f64 v[72:73], v[8:9], v[18:19]
	;; [unrolled: 1-line block ×4, first 2 shown]
	v_fma_f64 v[74:75], v[52:53], v[42:43], v[74:75]
	v_fma_f64 v[50:51], v[50:51], v[46:47], -v[78:79]
	v_fma_f64 v[52:53], v[52:53], v[46:47], v[80:81]
	v_fma_f64 v[78:79], v[4:5], v[42:43], -v[82:83]
	;; [unrolled: 2-line block ×3, first 2 shown]
	v_fma_f64 v[6:7], v[6:7], v[46:47], v[48:49]
	v_add_f64 v[36:37], v[36:37], v[86:87]
	v_add_f64 v[40:41], v[40:41], v[88:89]
	;; [unrolled: 1-line block ×8, first 2 shown]
	v_fma_f64 v[38:39], v[8:9], v[28:29], -v[64:65]
	v_fma_f64 v[54:55], v[10:11], v[28:29], v[66:67]
	v_fma_f64 v[56:57], v[12:13], v[28:29], -v[76:77]
	v_fma_f64 v[28:29], v[14:15], v[28:29], v[30:31]
	;; [unrolled: 2-line block ×4, first 2 shown]
	v_add_f64 v[12:13], v[36:37], v[70:71]
	v_add_f64 v[14:15], v[40:41], v[74:75]
	;; [unrolled: 1-line block ×16, first 2 shown]
	s_cbranch_vccz .LBB1646_2
.LBB1646_3:
	v_add_nc_u32_e32 v21, s23, v21
	s_load_b32 s4, s[0:1], 0x0
	s_delay_alu instid0(VALU_DEP_1) | instskip(SKIP_2) | instid1(VALU_DEP_3)
	v_ashrrev_i32_e32 v0, 31, v21
	v_mul_lo_u32 v3, v21, s19
	v_mad_u64_u32 v[1:2], null, v21, s18, 0
	v_mul_lo_u32 v0, v0, s18
	s_delay_alu instid0(VALU_DEP_1) | instskip(SKIP_3) | instid1(VALU_DEP_3)
	v_add3_u32 v2, v2, v3, v0
	v_add_nc_u32_e32 v0, s22, v20
	s_waitcnt lgkmcnt(0)
	v_cmp_gt_i32_e32 vcc_lo, s4, v21
	v_lshlrev_b64 v[1:2], 4, v[1:2]
	s_delay_alu instid0(VALU_DEP_3) | instskip(NEXT) | instid1(VALU_DEP_1)
	v_cmp_le_i32_e64 s0, v0, v21
	s_and_b32 s0, vcc_lo, s0
	s_delay_alu instid0(VALU_DEP_2) | instskip(NEXT) | instid1(VALU_DEP_1)
	v_add_co_u32 v20, s1, s2, v1
	v_add_co_ci_u32_e64 v22, s1, s3, v2, s1
	s_and_saveexec_b32 s1, s0
	s_cbranch_execz .LBB1646_5
; %bb.4:
	v_mul_f64 v[1:2], s[8:9], v[18:19]
	v_mul_f64 v[18:19], s[6:7], v[18:19]
	s_delay_alu instid0(VALU_DEP_2) | instskip(NEXT) | instid1(VALU_DEP_2)
	v_fma_f64 v[23:24], s[6:7], v[16:17], -v[1:2]
	v_fma_f64 v[25:26], s[8:9], v[16:17], v[18:19]
	v_ashrrev_i32_e32 v1, 31, v0
	s_delay_alu instid0(VALU_DEP_1) | instskip(NEXT) | instid1(VALU_DEP_1)
	v_lshlrev_b64 v[1:2], 4, v[0:1]
	v_add_co_u32 v1, s0, v20, v1
	s_delay_alu instid0(VALU_DEP_1)
	v_add_co_ci_u32_e64 v2, s0, v22, v2, s0
	global_store_b128 v[1:2], v[23:26], off
.LBB1646_5:
	s_or_b32 exec_lo, exec_lo, s1
	v_add_nc_u32_e32 v2, 16, v0
	s_delay_alu instid0(VALU_DEP_1) | instskip(NEXT) | instid1(VALU_DEP_1)
	v_cmp_le_i32_e64 s0, v2, v21
	s_and_b32 s1, vcc_lo, s0
	s_delay_alu instid0(SALU_CYCLE_1)
	s_and_saveexec_b32 s0, s1
	s_cbranch_execz .LBB1646_7
; %bb.6:
	v_mul_f64 v[16:17], s[8:9], v[14:15]
	v_mul_f64 v[18:19], s[6:7], v[14:15]
	v_ashrrev_i32_e32 v3, 31, v2
	s_delay_alu instid0(VALU_DEP_3) | instskip(NEXT) | instid1(VALU_DEP_3)
	v_fma_f64 v[14:15], s[6:7], v[12:13], -v[16:17]
	v_fma_f64 v[16:17], s[8:9], v[12:13], v[18:19]
	s_delay_alu instid0(VALU_DEP_3) | instskip(NEXT) | instid1(VALU_DEP_1)
	v_lshlrev_b64 v[12:13], 4, v[2:3]
	v_add_co_u32 v12, vcc_lo, v20, v12
	s_delay_alu instid0(VALU_DEP_2)
	v_add_co_ci_u32_e32 v13, vcc_lo, v22, v13, vcc_lo
	global_store_b128 v[12:13], v[14:17], off
.LBB1646_7:
	s_or_b32 exec_lo, exec_lo, s0
	v_add_nc_u32_e32 v3, 16, v21
	s_delay_alu instid0(VALU_DEP_1) | instskip(SKIP_3) | instid1(VALU_DEP_4)
	v_ashrrev_i32_e32 v1, 31, v3
	v_mul_lo_u32 v14, v3, s19
	v_mad_u64_u32 v[12:13], null, v3, s18, 0
	v_cmp_gt_i32_e32 vcc_lo, s4, v3
	v_mul_lo_u32 v1, v1, s18
	v_cmp_le_i32_e64 s0, v0, v3
	s_delay_alu instid0(VALU_DEP_1) | instskip(NEXT) | instid1(VALU_DEP_2)
	s_and_b32 s0, vcc_lo, s0
	v_add3_u32 v13, v13, v14, v1
	s_delay_alu instid0(VALU_DEP_1) | instskip(NEXT) | instid1(VALU_DEP_1)
	v_lshlrev_b64 v[12:13], 4, v[12:13]
	v_add_co_u32 v12, s1, s2, v12
	s_delay_alu instid0(VALU_DEP_1)
	v_add_co_ci_u32_e64 v13, s1, s3, v13, s1
	s_and_saveexec_b32 s1, s0
	s_cbranch_execz .LBB1646_9
; %bb.8:
	v_mul_f64 v[14:15], s[8:9], v[10:11]
	v_mul_f64 v[10:11], s[6:7], v[10:11]
	v_ashrrev_i32_e32 v1, 31, v0
	s_delay_alu instid0(VALU_DEP_1) | instskip(NEXT) | instid1(VALU_DEP_1)
	v_lshlrev_b64 v[0:1], 4, v[0:1]
	v_add_co_u32 v0, s0, v12, v0
	s_delay_alu instid0(VALU_DEP_1)
	v_add_co_ci_u32_e64 v1, s0, v13, v1, s0
	v_fma_f64 v[14:15], s[6:7], v[8:9], -v[14:15]
	v_fma_f64 v[16:17], s[8:9], v[8:9], v[10:11]
	global_store_b128 v[0:1], v[14:17], off
.LBB1646_9:
	s_or_b32 exec_lo, exec_lo, s1
	v_cmp_le_i32_e64 s0, v2, v3
	s_delay_alu instid0(VALU_DEP_1) | instskip(NEXT) | instid1(SALU_CYCLE_1)
	s_and_b32 s0, vcc_lo, s0
	s_and_saveexec_b32 s1, s0
	s_cbranch_execz .LBB1646_11
; %bb.10:
	v_mul_f64 v[0:1], s[8:9], v[4:5]
	v_mul_f64 v[8:9], s[6:7], v[4:5]
	v_ashrrev_i32_e32 v3, 31, v2
	s_delay_alu instid0(VALU_DEP_3) | instskip(NEXT) | instid1(VALU_DEP_3)
	v_fma_f64 v[4:5], s[6:7], v[6:7], -v[0:1]
	v_fma_f64 v[6:7], s[8:9], v[6:7], v[8:9]
	s_delay_alu instid0(VALU_DEP_3) | instskip(NEXT) | instid1(VALU_DEP_1)
	v_lshlrev_b64 v[0:1], 4, v[2:3]
	v_add_co_u32 v0, vcc_lo, v12, v0
	s_delay_alu instid0(VALU_DEP_2)
	v_add_co_ci_u32_e32 v1, vcc_lo, v13, v1, vcc_lo
	global_store_b128 v[0:1], v[4:7], off
.LBB1646_11:
	s_nop 0
	s_sendmsg sendmsg(MSG_DEALLOC_VGPRS)
	s_endpgm
	.section	.rodata,"a",@progbits
	.p2align	6, 0x0
	.amdhsa_kernel _ZL37rocblas_syrkx_herkx_restricted_kernelIl19rocblas_complex_numIdELi16ELi32ELi8ELb1ELb0ELc84ELc85EKPKS1_KPS1_EviT_T0_PT8_S7_lSA_S7_lS8_PT9_S7_li
		.amdhsa_group_segment_fixed_size 8192
		.amdhsa_private_segment_fixed_size 0
		.amdhsa_kernarg_size 124
		.amdhsa_user_sgpr_count 13
		.amdhsa_user_sgpr_dispatch_ptr 0
		.amdhsa_user_sgpr_queue_ptr 0
		.amdhsa_user_sgpr_kernarg_segment_ptr 1
		.amdhsa_user_sgpr_dispatch_id 0
		.amdhsa_user_sgpr_private_segment_size 0
		.amdhsa_wavefront_size32 1
		.amdhsa_uses_dynamic_stack 0
		.amdhsa_enable_private_segment 0
		.amdhsa_system_sgpr_workgroup_id_x 1
		.amdhsa_system_sgpr_workgroup_id_y 1
		.amdhsa_system_sgpr_workgroup_id_z 1
		.amdhsa_system_sgpr_workgroup_info 0
		.amdhsa_system_vgpr_workitem_id 1
		.amdhsa_next_free_vgpr 118
		.amdhsa_next_free_sgpr 24
		.amdhsa_reserve_vcc 1
		.amdhsa_float_round_mode_32 0
		.amdhsa_float_round_mode_16_64 0
		.amdhsa_float_denorm_mode_32 3
		.amdhsa_float_denorm_mode_16_64 3
		.amdhsa_dx10_clamp 1
		.amdhsa_ieee_mode 1
		.amdhsa_fp16_overflow 0
		.amdhsa_workgroup_processor_mode 1
		.amdhsa_memory_ordered 1
		.amdhsa_forward_progress 0
		.amdhsa_shared_vgpr_count 0
		.amdhsa_exception_fp_ieee_invalid_op 0
		.amdhsa_exception_fp_denorm_src 0
		.amdhsa_exception_fp_ieee_div_zero 0
		.amdhsa_exception_fp_ieee_overflow 0
		.amdhsa_exception_fp_ieee_underflow 0
		.amdhsa_exception_fp_ieee_inexact 0
		.amdhsa_exception_int_div_zero 0
	.end_amdhsa_kernel
	.section	.text._ZL37rocblas_syrkx_herkx_restricted_kernelIl19rocblas_complex_numIdELi16ELi32ELi8ELb1ELb0ELc84ELc85EKPKS1_KPS1_EviT_T0_PT8_S7_lSA_S7_lS8_PT9_S7_li,"axG",@progbits,_ZL37rocblas_syrkx_herkx_restricted_kernelIl19rocblas_complex_numIdELi16ELi32ELi8ELb1ELb0ELc84ELc85EKPKS1_KPS1_EviT_T0_PT8_S7_lSA_S7_lS8_PT9_S7_li,comdat
.Lfunc_end1646:
	.size	_ZL37rocblas_syrkx_herkx_restricted_kernelIl19rocblas_complex_numIdELi16ELi32ELi8ELb1ELb0ELc84ELc85EKPKS1_KPS1_EviT_T0_PT8_S7_lSA_S7_lS8_PT9_S7_li, .Lfunc_end1646-_ZL37rocblas_syrkx_herkx_restricted_kernelIl19rocblas_complex_numIdELi16ELi32ELi8ELb1ELb0ELc84ELc85EKPKS1_KPS1_EviT_T0_PT8_S7_lSA_S7_lS8_PT9_S7_li
                                        ; -- End function
	.section	.AMDGPU.csdata,"",@progbits
; Kernel info:
; codeLenInByte = 3128
; NumSgprs: 26
; NumVgprs: 118
; ScratchSize: 0
; MemoryBound: 0
; FloatMode: 240
; IeeeMode: 1
; LDSByteSize: 8192 bytes/workgroup (compile time only)
; SGPRBlocks: 3
; VGPRBlocks: 14
; NumSGPRsForWavesPerEU: 26
; NumVGPRsForWavesPerEU: 118
; Occupancy: 12
; WaveLimiterHint : 1
; COMPUTE_PGM_RSRC2:SCRATCH_EN: 0
; COMPUTE_PGM_RSRC2:USER_SGPR: 13
; COMPUTE_PGM_RSRC2:TRAP_HANDLER: 0
; COMPUTE_PGM_RSRC2:TGID_X_EN: 1
; COMPUTE_PGM_RSRC2:TGID_Y_EN: 1
; COMPUTE_PGM_RSRC2:TGID_Z_EN: 1
; COMPUTE_PGM_RSRC2:TIDIG_COMP_CNT: 1
	.section	.text._ZL37rocblas_syrkx_herkx_restricted_kernelIl19rocblas_complex_numIdELi16ELi32ELi8ELb1ELb0ELc67ELc85EKPKS1_KPS1_EviT_T0_PT8_S7_lSA_S7_lS8_PT9_S7_li,"axG",@progbits,_ZL37rocblas_syrkx_herkx_restricted_kernelIl19rocblas_complex_numIdELi16ELi32ELi8ELb1ELb0ELc67ELc85EKPKS1_KPS1_EviT_T0_PT8_S7_lSA_S7_lS8_PT9_S7_li,comdat
	.globl	_ZL37rocblas_syrkx_herkx_restricted_kernelIl19rocblas_complex_numIdELi16ELi32ELi8ELb1ELb0ELc67ELc85EKPKS1_KPS1_EviT_T0_PT8_S7_lSA_S7_lS8_PT9_S7_li ; -- Begin function _ZL37rocblas_syrkx_herkx_restricted_kernelIl19rocblas_complex_numIdELi16ELi32ELi8ELb1ELb0ELc67ELc85EKPKS1_KPS1_EviT_T0_PT8_S7_lSA_S7_lS8_PT9_S7_li
	.p2align	8
	.type	_ZL37rocblas_syrkx_herkx_restricted_kernelIl19rocblas_complex_numIdELi16ELi32ELi8ELb1ELb0ELc67ELc85EKPKS1_KPS1_EviT_T0_PT8_S7_lSA_S7_lS8_PT9_S7_li,@function
_ZL37rocblas_syrkx_herkx_restricted_kernelIl19rocblas_complex_numIdELi16ELi32ELi8ELb1ELb0ELc67ELc85EKPKS1_KPS1_EviT_T0_PT8_S7_lSA_S7_lS8_PT9_S7_li: ; @_ZL37rocblas_syrkx_herkx_restricted_kernelIl19rocblas_complex_numIdELi16ELi32ELi8ELb1ELb0ELc67ELc85EKPKS1_KPS1_EviT_T0_PT8_S7_lSA_S7_lS8_PT9_S7_li
; %bb.0:
	s_clause 0x1
	s_load_b128 s[16:19], s[0:1], 0x60
	s_load_b256 s[4:11], s[0:1], 0x8
	s_mov_b32 s2, s15
	s_mov_b32 s3, 0
	v_mov_b32_e32 v16, 0
	s_lshl_b64 s[20:21], s[2:3], 3
	v_dual_mov_b32 v17, 0 :: v_dual_and_b32 v20, 0x3ff, v0
	v_bfe_u32 v21, v0, 10, 10
	s_delay_alu instid0(VALU_DEP_3) | instskip(NEXT) | instid1(VALU_DEP_3)
	v_mov_b32_e32 v12, v16
	v_dual_mov_b32 v14, v16 :: v_dual_mov_b32 v15, v17
	v_dual_mov_b32 v19, v17 :: v_dual_mov_b32 v18, v16
	;; [unrolled: 1-line block ×5, first 2 shown]
	v_mov_b32_e32 v7, v17
	s_waitcnt lgkmcnt(0)
	s_add_u32 s2, s16, s20
	s_addc_u32 s3, s17, s21
	s_load_b64 s[16:17], s[0:1], 0x28
	s_load_b64 s[2:3], s[2:3], 0x0
	v_cmp_lt_i64_e64 s12, s[4:5], 1
	v_dual_mov_b32 v4, v16 :: v_dual_mov_b32 v5, v17
	s_lshl_b32 s22, s13, 5
	s_lshl_b32 s23, s14, 5
	s_delay_alu instid0(VALU_DEP_2)
	s_and_b32 vcc_lo, exec_lo, s12
	s_cbranch_vccnz .LBB1647_3
; %bb.1:
	v_lshl_add_u32 v2, v21, 4, v20
	s_load_b128 s[12:15], s[0:1], 0x38
	v_dual_mov_b32 v1, 0 :: v_dual_and_b32 v0, 7, v20
	s_add_u32 s10, s10, s20
	s_delay_alu instid0(VALU_DEP_2)
	v_and_b32_e32 v9, 31, v2
	v_lshrrev_b32_e32 v8, 3, v2
	v_lshrrev_b32_e32 v2, 5, v2
	s_addc_u32 s11, s11, s21
	v_lshl_add_u32 v23, v21, 7, 0x1000
	v_add_nc_u32_e32 v6, s22, v9
	v_dual_mov_b32 v3, v1 :: v_dual_add_nc_u32 v10, s23, v8
	s_load_b64 s[10:11], s[10:11], 0x0
	s_delay_alu instid0(VALU_DEP_2) | instskip(NEXT) | instid1(VALU_DEP_2)
	v_ashrrev_i32_e32 v11, 31, v6
	v_ashrrev_i32_e32 v7, 31, v10
	s_waitcnt lgkmcnt(0)
	v_mad_u64_u32 v[4:5], null, s16, v6, v[2:3]
	v_mul_lo_u32 v3, s17, v6
	v_mul_lo_u32 v11, s16, v11
	s_add_u32 s12, s12, s20
	s_addc_u32 s13, s13, s21
	v_mul_lo_u32 v12, v7, s14
	s_load_b64 s[12:13], s[12:13], 0x0
	v_mul_lo_u32 v13, v10, s15
	v_mad_u64_u32 v[6:7], null, v10, s14, v[0:1]
	v_lshlrev_b32_e32 v0, 4, v0
	v_add3_u32 v5, v3, v5, v11
	s_delay_alu instid0(VALU_DEP_2) | instskip(NEXT) | instid1(VALU_DEP_2)
	v_lshl_or_b32 v8, v8, 7, v0
	v_lshlrev_b64 v[0:1], 4, v[4:5]
	v_mov_b32_e32 v4, 0
	v_add3_u32 v7, v12, v7, v13
	v_mov_b32_e32 v5, 0
	v_lshlrev_b32_e32 v3, 4, v9
	v_lshlrev_b32_e32 v22, 4, v20
	v_add_co_u32 v0, vcc_lo, v0, s10
	s_delay_alu instid0(VALU_DEP_4) | instskip(NEXT) | instid1(VALU_DEP_4)
	v_mov_b32_e32 v11, v5
	v_lshl_or_b32 v24, v2, 9, v3
	v_lshlrev_b64 v[2:3], 4, v[6:7]
	v_add_co_ci_u32_e32 v1, vcc_lo, s11, v1, vcc_lo
	v_mov_b32_e32 v7, v5
	v_dual_mov_b32 v10, v4 :: v_dual_add_nc_u32 v25, 0x1000, v8
	s_waitcnt lgkmcnt(0)
	s_delay_alu instid0(VALU_DEP_4) | instskip(SKIP_3) | instid1(VALU_DEP_4)
	v_add_co_u32 v2, vcc_lo, v2, s12
	v_add_co_ci_u32_e32 v3, vcc_lo, s13, v3, vcc_lo
	v_add_co_u32 v0, vcc_lo, v0, 8
	v_add_co_ci_u32_e32 v1, vcc_lo, 0, v1, vcc_lo
	v_add_co_u32 v2, vcc_lo, v2, 8
	s_delay_alu instid0(VALU_DEP_4)
	v_add_co_ci_u32_e32 v3, vcc_lo, 0, v3, vcc_lo
	v_dual_mov_b32 v6, v4 :: v_dual_mov_b32 v9, v5
	v_dual_mov_b32 v8, v4 :: v_dual_mov_b32 v15, v5
	;; [unrolled: 1-line block ×5, first 2 shown]
	v_mov_b32_e32 v16, v4
	s_mov_b64 s[10:11], 0
.LBB1647_2:                             ; =>This Inner Loop Header: Depth=1
	global_load_b128 v[26:29], v[0:1], off offset:-8
	global_load_b128 v[30:33], v[2:3], off offset:-8
	s_add_u32 s10, s10, 8
	v_add_co_u32 v0, vcc_lo, 0x80, v0
	s_addc_u32 s11, s11, 0
	v_add_co_ci_u32_e32 v1, vcc_lo, 0, v1, vcc_lo
	v_cmp_ge_u64_e64 s12, s[10:11], s[4:5]
	v_add_co_u32 v2, vcc_lo, 0x80, v2
	v_add_co_ci_u32_e32 v3, vcc_lo, 0, v3, vcc_lo
	s_waitcnt vmcnt(1)
	ds_store_b128 v24, v[26:29]
	s_waitcnt vmcnt(0)
	ds_store_b128 v25, v[30:33]
	s_waitcnt lgkmcnt(0)
	s_barrier
	buffer_gl0_inv
	ds_load_b128 v[26:29], v23
	ds_load_b128 v[30:33], v22
	ds_load_b128 v[34:37], v22 offset:256
	ds_load_b128 v[38:41], v23 offset:2048
	;; [unrolled: 1-line block ×13, first 2 shown]
	s_and_b32 vcc_lo, exec_lo, s12
	s_waitcnt lgkmcnt(13)
	v_mul_f64 v[86:87], v[28:29], v[32:33]
	v_mul_f64 v[88:89], v[26:27], v[32:33]
	s_waitcnt lgkmcnt(12)
	v_mul_f64 v[90:91], v[28:29], v[36:37]
	v_mul_f64 v[92:93], v[26:27], v[36:37]
	;; [unrolled: 3-line block ×3, first 2 shown]
	v_mul_f64 v[96:97], v[40:41], v[36:37]
	v_mul_f64 v[36:37], v[38:39], v[36:37]
	s_waitcnt lgkmcnt(8)
	v_mul_f64 v[98:99], v[44:45], v[52:53]
	v_mul_f64 v[100:101], v[42:43], v[52:53]
	s_waitcnt lgkmcnt(7)
	v_mul_f64 v[102:103], v[44:45], v[56:57]
	v_mul_f64 v[104:105], v[42:43], v[56:57]
	v_mul_f64 v[106:107], v[48:49], v[52:53]
	v_mul_f64 v[52:53], v[46:47], v[52:53]
	v_mul_f64 v[108:109], v[48:49], v[56:57]
	v_mul_f64 v[56:57], v[46:47], v[56:57]
	s_waitcnt lgkmcnt(3)
	v_mul_f64 v[112:113], v[58:59], v[72:73]
	s_waitcnt lgkmcnt(2)
	v_mul_f64 v[114:115], v[76:77], v[68:69]
	v_mul_f64 v[116:117], v[76:77], v[72:73]
	v_fma_f64 v[86:87], v[26:27], v[30:31], -v[86:87]
	v_fma_f64 v[88:89], v[28:29], v[30:31], v[88:89]
	v_fma_f64 v[90:91], v[26:27], v[34:35], -v[90:91]
	v_fma_f64 v[92:93], v[28:29], v[34:35], v[92:93]
	;; [unrolled: 2-line block ×4, first 2 shown]
	v_mul_f64 v[36:37], v[60:61], v[68:69]
	v_mul_f64 v[40:41], v[58:59], v[68:69]
	;; [unrolled: 1-line block ×5, first 2 shown]
	v_fma_f64 v[98:99], v[42:43], v[50:51], -v[98:99]
	v_fma_f64 v[100:101], v[44:45], v[50:51], v[100:101]
	v_fma_f64 v[42:43], v[42:43], v[54:55], -v[102:103]
	v_fma_f64 v[44:45], v[44:45], v[54:55], v[104:105]
	;; [unrolled: 2-line block ×4, first 2 shown]
	ds_load_b128 v[26:29], v22 offset:1792
	ds_load_b128 v[30:33], v22 offset:2048
	s_waitcnt lgkmcnt(2)
	v_mul_f64 v[56:57], v[64:65], v[84:85]
	v_add_f64 v[16:17], v[16:17], v[86:87]
	v_add_f64 v[18:19], v[18:19], v[88:89]
	;; [unrolled: 1-line block ×8, first 2 shown]
	v_mul_f64 v[86:87], v[62:63], v[84:85]
	s_waitcnt lgkmcnt(1)
	v_mul_f64 v[88:89], v[64:65], v[28:29]
	v_mul_f64 v[90:91], v[62:63], v[28:29]
	;; [unrolled: 1-line block ×6, first 2 shown]
	v_fma_f64 v[104:105], v[58:59], v[66:67], -v[36:37]
	v_fma_f64 v[106:107], v[60:61], v[66:67], v[40:41]
	v_fma_f64 v[58:59], v[58:59], v[70:71], -v[96:97]
	v_fma_f64 v[60:61], v[60:61], v[70:71], v[112:113]
	;; [unrolled: 2-line block ×4, first 2 shown]
	ds_load_b128 v[4:7], v22 offset:2304
	ds_load_b128 v[8:11], v23 offset:64
	v_fma_f64 v[56:57], v[62:63], v[82:83], -v[56:57]
	v_add_f64 v[72:73], v[16:17], v[98:99]
	v_add_f64 v[74:75], v[18:19], v[100:101]
	;; [unrolled: 1-line block ×8, first 2 shown]
	ds_load_b128 v[12:15], v23 offset:2112
	ds_load_b128 v[16:19], v23 offset:80
	;; [unrolled: 1-line block ×4, first 2 shown]
	s_waitcnt lgkmcnt(4)
	v_mul_f64 v[54:55], v[10:11], v[32:33]
	v_mul_f64 v[76:77], v[8:9], v[32:33]
	;; [unrolled: 1-line block ×4, first 2 shown]
	v_fma_f64 v[86:87], v[64:65], v[82:83], v[86:87]
	v_fma_f64 v[62:63], v[62:63], v[26:27], -v[88:89]
	v_fma_f64 v[64:65], v[64:65], v[26:27], v[90:91]
	v_fma_f64 v[88:89], v[78:79], v[82:83], -v[92:93]
	;; [unrolled: 2-line block ×3, first 2 shown]
	v_fma_f64 v[80:81], v[80:81], v[26:27], v[28:29]
	s_waitcnt lgkmcnt(3)
	v_mul_f64 v[102:103], v[14:15], v[32:33]
	v_mul_f64 v[32:33], v[12:13], v[32:33]
	;; [unrolled: 1-line block ×4, first 2 shown]
	s_waitcnt lgkmcnt(0)
	v_mul_f64 v[90:91], v[18:19], v[40:41]
	v_mul_f64 v[92:93], v[16:17], v[40:41]
	v_add_f64 v[72:73], v[72:73], v[104:105]
	v_add_f64 v[74:75], v[74:75], v[106:107]
	;; [unrolled: 1-line block ×8, first 2 shown]
	ds_load_b128 v[26:29], v22 offset:2816
	ds_load_b128 v[42:45], v22 offset:3072
	;; [unrolled: 1-line block ×4, first 2 shown]
	v_mul_f64 v[104:105], v[36:37], v[40:41]
	v_mul_f64 v[40:41], v[34:35], v[40:41]
	v_fma_f64 v[54:55], v[8:9], v[30:31], -v[54:55]
	v_fma_f64 v[76:77], v[10:11], v[30:31], v[76:77]
	v_fma_f64 v[98:99], v[8:9], v[4:5], -v[98:99]
	v_fma_f64 v[100:101], v[10:11], v[4:5], v[100:101]
	s_waitcnt lgkmcnt(3)
	v_mul_f64 v[94:95], v[18:19], v[28:29]
	v_mul_f64 v[96:97], v[16:17], v[28:29]
	;; [unrolled: 1-line block ×4, first 2 shown]
	v_fma_f64 v[102:103], v[12:13], v[30:31], -v[102:103]
	v_fma_f64 v[32:33], v[14:15], v[30:31], v[32:33]
	v_fma_f64 v[108:109], v[12:13], v[4:5], -v[108:109]
	v_fma_f64 v[112:113], v[14:15], v[4:5], v[6:7]
	ds_load_b128 v[4:7], v23 offset:2144
	ds_load_b128 v[8:11], v23 offset:112
	;; [unrolled: 1-line block ×4, first 2 shown]
	v_add_f64 v[56:57], v[72:73], v[56:57]
	v_add_f64 v[72:73], v[74:75], v[86:87]
	;; [unrolled: 1-line block ×8, first 2 shown]
	s_waitcnt lgkmcnt(4)
	v_mul_f64 v[70:71], v[52:53], v[44:45]
	v_mul_f64 v[74:75], v[50:51], v[44:45]
	v_mul_f64 v[78:79], v[52:53], v[48:49]
	v_mul_f64 v[80:81], v[50:51], v[48:49]
	s_waitcnt lgkmcnt(3)
	v_mul_f64 v[82:83], v[6:7], v[44:45]
	v_mul_f64 v[44:45], v[4:5], v[44:45]
	;; [unrolled: 1-line block ×4, first 2 shown]
	v_fma_f64 v[86:87], v[16:17], v[38:39], -v[90:91]
	v_fma_f64 v[88:89], v[18:19], v[38:39], v[92:93]
	v_fma_f64 v[90:91], v[16:17], v[26:27], -v[94:95]
	v_fma_f64 v[92:93], v[18:19], v[26:27], v[96:97]
	;; [unrolled: 2-line block ×4, first 2 shown]
	ds_load_b128 v[16:19], v22 offset:3840
	s_waitcnt lgkmcnt(0)
	s_barrier
	buffer_gl0_inv
	v_add_f64 v[36:37], v[56:57], v[54:55]
	v_add_f64 v[40:41], v[72:73], v[76:77]
	;; [unrolled: 1-line block ×8, first 2 shown]
	v_mul_f64 v[64:65], v[10:11], v[30:31]
	v_mul_f64 v[66:67], v[8:9], v[30:31]
	;; [unrolled: 1-line block ×4, first 2 shown]
	v_fma_f64 v[70:71], v[50:51], v[42:43], -v[70:71]
	v_mul_f64 v[68:69], v[10:11], v[18:19]
	v_mul_f64 v[72:73], v[8:9], v[18:19]
	;; [unrolled: 1-line block ×4, first 2 shown]
	v_fma_f64 v[74:75], v[52:53], v[42:43], v[74:75]
	v_fma_f64 v[50:51], v[50:51], v[46:47], -v[78:79]
	v_fma_f64 v[52:53], v[52:53], v[46:47], v[80:81]
	v_fma_f64 v[78:79], v[4:5], v[42:43], -v[82:83]
	;; [unrolled: 2-line block ×3, first 2 shown]
	v_fma_f64 v[6:7], v[6:7], v[46:47], v[48:49]
	v_add_f64 v[36:37], v[36:37], v[86:87]
	v_add_f64 v[40:41], v[40:41], v[88:89]
	;; [unrolled: 1-line block ×8, first 2 shown]
	v_fma_f64 v[38:39], v[8:9], v[28:29], -v[64:65]
	v_fma_f64 v[54:55], v[10:11], v[28:29], v[66:67]
	v_fma_f64 v[56:57], v[12:13], v[28:29], -v[76:77]
	v_fma_f64 v[28:29], v[14:15], v[28:29], v[30:31]
	;; [unrolled: 2-line block ×4, first 2 shown]
	v_add_f64 v[12:13], v[36:37], v[70:71]
	v_add_f64 v[14:15], v[40:41], v[74:75]
	;; [unrolled: 1-line block ×16, first 2 shown]
	s_cbranch_vccz .LBB1647_2
.LBB1647_3:
	v_add_nc_u32_e32 v21, s23, v21
	s_load_b32 s4, s[0:1], 0x0
	s_delay_alu instid0(VALU_DEP_1) | instskip(SKIP_2) | instid1(VALU_DEP_3)
	v_ashrrev_i32_e32 v0, 31, v21
	v_mul_lo_u32 v3, v21, s19
	v_mad_u64_u32 v[1:2], null, v21, s18, 0
	v_mul_lo_u32 v0, v0, s18
	s_delay_alu instid0(VALU_DEP_1) | instskip(SKIP_3) | instid1(VALU_DEP_3)
	v_add3_u32 v2, v2, v3, v0
	v_add_nc_u32_e32 v0, s22, v20
	s_waitcnt lgkmcnt(0)
	v_cmp_gt_i32_e32 vcc_lo, s4, v21
	v_lshlrev_b64 v[1:2], 4, v[1:2]
	s_delay_alu instid0(VALU_DEP_3) | instskip(NEXT) | instid1(VALU_DEP_1)
	v_cmp_le_i32_e64 s0, v0, v21
	s_and_b32 s0, vcc_lo, s0
	s_delay_alu instid0(VALU_DEP_2) | instskip(NEXT) | instid1(VALU_DEP_1)
	v_add_co_u32 v20, s1, s2, v1
	v_add_co_ci_u32_e64 v22, s1, s3, v2, s1
	s_and_saveexec_b32 s1, s0
	s_cbranch_execz .LBB1647_5
; %bb.4:
	v_mul_f64 v[1:2], s[8:9], v[18:19]
	v_mul_f64 v[18:19], s[6:7], v[18:19]
	s_delay_alu instid0(VALU_DEP_2) | instskip(NEXT) | instid1(VALU_DEP_2)
	v_fma_f64 v[23:24], s[6:7], v[16:17], -v[1:2]
	v_fma_f64 v[25:26], s[8:9], v[16:17], v[18:19]
	v_ashrrev_i32_e32 v1, 31, v0
	s_delay_alu instid0(VALU_DEP_1) | instskip(NEXT) | instid1(VALU_DEP_1)
	v_lshlrev_b64 v[1:2], 4, v[0:1]
	v_add_co_u32 v1, s0, v20, v1
	s_delay_alu instid0(VALU_DEP_1)
	v_add_co_ci_u32_e64 v2, s0, v22, v2, s0
	global_store_b128 v[1:2], v[23:26], off
.LBB1647_5:
	s_or_b32 exec_lo, exec_lo, s1
	v_add_nc_u32_e32 v2, 16, v0
	s_delay_alu instid0(VALU_DEP_1) | instskip(NEXT) | instid1(VALU_DEP_1)
	v_cmp_le_i32_e64 s0, v2, v21
	s_and_b32 s1, vcc_lo, s0
	s_delay_alu instid0(SALU_CYCLE_1)
	s_and_saveexec_b32 s0, s1
	s_cbranch_execz .LBB1647_7
; %bb.6:
	v_mul_f64 v[16:17], s[8:9], v[14:15]
	v_mul_f64 v[18:19], s[6:7], v[14:15]
	v_ashrrev_i32_e32 v3, 31, v2
	s_delay_alu instid0(VALU_DEP_3) | instskip(NEXT) | instid1(VALU_DEP_3)
	v_fma_f64 v[14:15], s[6:7], v[12:13], -v[16:17]
	v_fma_f64 v[16:17], s[8:9], v[12:13], v[18:19]
	s_delay_alu instid0(VALU_DEP_3) | instskip(NEXT) | instid1(VALU_DEP_1)
	v_lshlrev_b64 v[12:13], 4, v[2:3]
	v_add_co_u32 v12, vcc_lo, v20, v12
	s_delay_alu instid0(VALU_DEP_2)
	v_add_co_ci_u32_e32 v13, vcc_lo, v22, v13, vcc_lo
	global_store_b128 v[12:13], v[14:17], off
.LBB1647_7:
	s_or_b32 exec_lo, exec_lo, s0
	v_add_nc_u32_e32 v3, 16, v21
	s_delay_alu instid0(VALU_DEP_1) | instskip(SKIP_3) | instid1(VALU_DEP_4)
	v_ashrrev_i32_e32 v1, 31, v3
	v_mul_lo_u32 v14, v3, s19
	v_mad_u64_u32 v[12:13], null, v3, s18, 0
	v_cmp_gt_i32_e32 vcc_lo, s4, v3
	v_mul_lo_u32 v1, v1, s18
	v_cmp_le_i32_e64 s0, v0, v3
	s_delay_alu instid0(VALU_DEP_1) | instskip(NEXT) | instid1(VALU_DEP_2)
	s_and_b32 s0, vcc_lo, s0
	v_add3_u32 v13, v13, v14, v1
	s_delay_alu instid0(VALU_DEP_1) | instskip(NEXT) | instid1(VALU_DEP_1)
	v_lshlrev_b64 v[12:13], 4, v[12:13]
	v_add_co_u32 v12, s1, s2, v12
	s_delay_alu instid0(VALU_DEP_1)
	v_add_co_ci_u32_e64 v13, s1, s3, v13, s1
	s_and_saveexec_b32 s1, s0
	s_cbranch_execz .LBB1647_9
; %bb.8:
	v_mul_f64 v[14:15], s[8:9], v[10:11]
	v_mul_f64 v[10:11], s[6:7], v[10:11]
	v_ashrrev_i32_e32 v1, 31, v0
	s_delay_alu instid0(VALU_DEP_1) | instskip(NEXT) | instid1(VALU_DEP_1)
	v_lshlrev_b64 v[0:1], 4, v[0:1]
	v_add_co_u32 v0, s0, v12, v0
	s_delay_alu instid0(VALU_DEP_1)
	v_add_co_ci_u32_e64 v1, s0, v13, v1, s0
	v_fma_f64 v[14:15], s[6:7], v[8:9], -v[14:15]
	v_fma_f64 v[16:17], s[8:9], v[8:9], v[10:11]
	global_store_b128 v[0:1], v[14:17], off
.LBB1647_9:
	s_or_b32 exec_lo, exec_lo, s1
	v_cmp_le_i32_e64 s0, v2, v3
	s_delay_alu instid0(VALU_DEP_1) | instskip(NEXT) | instid1(SALU_CYCLE_1)
	s_and_b32 s0, vcc_lo, s0
	s_and_saveexec_b32 s1, s0
	s_cbranch_execz .LBB1647_11
; %bb.10:
	v_mul_f64 v[0:1], s[8:9], v[4:5]
	v_mul_f64 v[8:9], s[6:7], v[4:5]
	v_ashrrev_i32_e32 v3, 31, v2
	s_delay_alu instid0(VALU_DEP_3) | instskip(NEXT) | instid1(VALU_DEP_3)
	v_fma_f64 v[4:5], s[6:7], v[6:7], -v[0:1]
	v_fma_f64 v[6:7], s[8:9], v[6:7], v[8:9]
	s_delay_alu instid0(VALU_DEP_3) | instskip(NEXT) | instid1(VALU_DEP_1)
	v_lshlrev_b64 v[0:1], 4, v[2:3]
	v_add_co_u32 v0, vcc_lo, v12, v0
	s_delay_alu instid0(VALU_DEP_2)
	v_add_co_ci_u32_e32 v1, vcc_lo, v13, v1, vcc_lo
	global_store_b128 v[0:1], v[4:7], off
.LBB1647_11:
	s_nop 0
	s_sendmsg sendmsg(MSG_DEALLOC_VGPRS)
	s_endpgm
	.section	.rodata,"a",@progbits
	.p2align	6, 0x0
	.amdhsa_kernel _ZL37rocblas_syrkx_herkx_restricted_kernelIl19rocblas_complex_numIdELi16ELi32ELi8ELb1ELb0ELc67ELc85EKPKS1_KPS1_EviT_T0_PT8_S7_lSA_S7_lS8_PT9_S7_li
		.amdhsa_group_segment_fixed_size 8192
		.amdhsa_private_segment_fixed_size 0
		.amdhsa_kernarg_size 124
		.amdhsa_user_sgpr_count 13
		.amdhsa_user_sgpr_dispatch_ptr 0
		.amdhsa_user_sgpr_queue_ptr 0
		.amdhsa_user_sgpr_kernarg_segment_ptr 1
		.amdhsa_user_sgpr_dispatch_id 0
		.amdhsa_user_sgpr_private_segment_size 0
		.amdhsa_wavefront_size32 1
		.amdhsa_uses_dynamic_stack 0
		.amdhsa_enable_private_segment 0
		.amdhsa_system_sgpr_workgroup_id_x 1
		.amdhsa_system_sgpr_workgroup_id_y 1
		.amdhsa_system_sgpr_workgroup_id_z 1
		.amdhsa_system_sgpr_workgroup_info 0
		.amdhsa_system_vgpr_workitem_id 1
		.amdhsa_next_free_vgpr 118
		.amdhsa_next_free_sgpr 24
		.amdhsa_reserve_vcc 1
		.amdhsa_float_round_mode_32 0
		.amdhsa_float_round_mode_16_64 0
		.amdhsa_float_denorm_mode_32 3
		.amdhsa_float_denorm_mode_16_64 3
		.amdhsa_dx10_clamp 1
		.amdhsa_ieee_mode 1
		.amdhsa_fp16_overflow 0
		.amdhsa_workgroup_processor_mode 1
		.amdhsa_memory_ordered 1
		.amdhsa_forward_progress 0
		.amdhsa_shared_vgpr_count 0
		.amdhsa_exception_fp_ieee_invalid_op 0
		.amdhsa_exception_fp_denorm_src 0
		.amdhsa_exception_fp_ieee_div_zero 0
		.amdhsa_exception_fp_ieee_overflow 0
		.amdhsa_exception_fp_ieee_underflow 0
		.amdhsa_exception_fp_ieee_inexact 0
		.amdhsa_exception_int_div_zero 0
	.end_amdhsa_kernel
	.section	.text._ZL37rocblas_syrkx_herkx_restricted_kernelIl19rocblas_complex_numIdELi16ELi32ELi8ELb1ELb0ELc67ELc85EKPKS1_KPS1_EviT_T0_PT8_S7_lSA_S7_lS8_PT9_S7_li,"axG",@progbits,_ZL37rocblas_syrkx_herkx_restricted_kernelIl19rocblas_complex_numIdELi16ELi32ELi8ELb1ELb0ELc67ELc85EKPKS1_KPS1_EviT_T0_PT8_S7_lSA_S7_lS8_PT9_S7_li,comdat
.Lfunc_end1647:
	.size	_ZL37rocblas_syrkx_herkx_restricted_kernelIl19rocblas_complex_numIdELi16ELi32ELi8ELb1ELb0ELc67ELc85EKPKS1_KPS1_EviT_T0_PT8_S7_lSA_S7_lS8_PT9_S7_li, .Lfunc_end1647-_ZL37rocblas_syrkx_herkx_restricted_kernelIl19rocblas_complex_numIdELi16ELi32ELi8ELb1ELb0ELc67ELc85EKPKS1_KPS1_EviT_T0_PT8_S7_lSA_S7_lS8_PT9_S7_li
                                        ; -- End function
	.section	.AMDGPU.csdata,"",@progbits
; Kernel info:
; codeLenInByte = 3128
; NumSgprs: 26
; NumVgprs: 118
; ScratchSize: 0
; MemoryBound: 0
; FloatMode: 240
; IeeeMode: 1
; LDSByteSize: 8192 bytes/workgroup (compile time only)
; SGPRBlocks: 3
; VGPRBlocks: 14
; NumSGPRsForWavesPerEU: 26
; NumVGPRsForWavesPerEU: 118
; Occupancy: 12
; WaveLimiterHint : 1
; COMPUTE_PGM_RSRC2:SCRATCH_EN: 0
; COMPUTE_PGM_RSRC2:USER_SGPR: 13
; COMPUTE_PGM_RSRC2:TRAP_HANDLER: 0
; COMPUTE_PGM_RSRC2:TGID_X_EN: 1
; COMPUTE_PGM_RSRC2:TGID_Y_EN: 1
; COMPUTE_PGM_RSRC2:TGID_Z_EN: 1
; COMPUTE_PGM_RSRC2:TIDIG_COMP_CNT: 1
	.section	.text._ZL37rocblas_syrkx_herkx_restricted_kernelIl19rocblas_complex_numIdELi16ELi32ELi8ELb1ELb0ELc78ELc85EKPKS1_KPS1_EviT_T0_PT8_S7_lSA_S7_lS8_PT9_S7_li,"axG",@progbits,_ZL37rocblas_syrkx_herkx_restricted_kernelIl19rocblas_complex_numIdELi16ELi32ELi8ELb1ELb0ELc78ELc85EKPKS1_KPS1_EviT_T0_PT8_S7_lSA_S7_lS8_PT9_S7_li,comdat
	.globl	_ZL37rocblas_syrkx_herkx_restricted_kernelIl19rocblas_complex_numIdELi16ELi32ELi8ELb1ELb0ELc78ELc85EKPKS1_KPS1_EviT_T0_PT8_S7_lSA_S7_lS8_PT9_S7_li ; -- Begin function _ZL37rocblas_syrkx_herkx_restricted_kernelIl19rocblas_complex_numIdELi16ELi32ELi8ELb1ELb0ELc78ELc85EKPKS1_KPS1_EviT_T0_PT8_S7_lSA_S7_lS8_PT9_S7_li
	.p2align	8
	.type	_ZL37rocblas_syrkx_herkx_restricted_kernelIl19rocblas_complex_numIdELi16ELi32ELi8ELb1ELb0ELc78ELc85EKPKS1_KPS1_EviT_T0_PT8_S7_lSA_S7_lS8_PT9_S7_li,@function
_ZL37rocblas_syrkx_herkx_restricted_kernelIl19rocblas_complex_numIdELi16ELi32ELi8ELb1ELb0ELc78ELc85EKPKS1_KPS1_EviT_T0_PT8_S7_lSA_S7_lS8_PT9_S7_li: ; @_ZL37rocblas_syrkx_herkx_restricted_kernelIl19rocblas_complex_numIdELi16ELi32ELi8ELb1ELb0ELc78ELc85EKPKS1_KPS1_EviT_T0_PT8_S7_lSA_S7_lS8_PT9_S7_li
; %bb.0:
	s_clause 0x1
	s_load_b128 s[16:19], s[0:1], 0x60
	s_load_b256 s[4:11], s[0:1], 0x8
	s_mov_b32 s2, s15
	s_mov_b32 s3, 0
	v_mov_b32_e32 v16, 0
	s_lshl_b64 s[20:21], s[2:3], 3
	v_dual_mov_b32 v17, 0 :: v_dual_and_b32 v20, 0x3ff, v0
	v_bfe_u32 v21, v0, 10, 10
	s_delay_alu instid0(VALU_DEP_3) | instskip(NEXT) | instid1(VALU_DEP_3)
	v_mov_b32_e32 v14, v16
	v_dual_mov_b32 v12, v16 :: v_dual_mov_b32 v13, v17
	v_dual_mov_b32 v19, v17 :: v_dual_mov_b32 v18, v16
	;; [unrolled: 1-line block ×5, first 2 shown]
	v_mov_b32_e32 v7, v17
	s_waitcnt lgkmcnt(0)
	s_add_u32 s2, s16, s20
	s_addc_u32 s3, s17, s21
	s_load_b64 s[16:17], s[0:1], 0x28
	s_load_b64 s[2:3], s[2:3], 0x0
	v_cmp_lt_i64_e64 s12, s[4:5], 1
	v_dual_mov_b32 v4, v16 :: v_dual_mov_b32 v5, v17
	s_lshl_b32 s22, s13, 5
	s_lshl_b32 s23, s14, 5
	s_delay_alu instid0(VALU_DEP_2)
	s_and_b32 vcc_lo, exec_lo, s12
	s_cbranch_vccnz .LBB1648_3
; %bb.1:
	v_lshl_add_u32 v1, v21, 4, v20
	s_load_b128 s[12:15], s[0:1], 0x38
	v_and_b32_e32 v6, 7, v20
	v_mov_b32_e32 v4, 0
	s_add_u32 s10, s10, s20
	v_dual_mov_b32 v5, 0 :: v_dual_and_b32 v14, 31, v1
	v_lshrrev_b32_e32 v15, 3, v1
	v_lshrrev_b32_e32 v16, 5, v1
	s_addc_u32 s11, s11, s21
	s_delay_alu instid0(VALU_DEP_3) | instskip(NEXT) | instid1(VALU_DEP_3)
	v_dual_mov_b32 v11, v5 :: v_dual_add_nc_u32 v0, s22, v14
	v_add_nc_u32_e32 v2, s23, v15
	s_load_b64 s[10:11], s[10:11], 0x0
	v_dual_mov_b32 v19, v5 :: v_dual_lshlrev_b32 v14, 4, v14
	s_delay_alu instid0(VALU_DEP_3) | instskip(NEXT) | instid1(VALU_DEP_3)
	v_ashrrev_i32_e32 v1, 31, v0
	v_ashrrev_i32_e32 v3, 31, v2
	v_lshlrev_b32_e32 v22, 4, v20
	s_delay_alu instid0(VALU_DEP_4)
	v_lshl_or_b32 v24, v16, 9, v14
	v_mov_b32_e32 v10, v4
	s_waitcnt lgkmcnt(0)
	v_mad_u64_u32 v[12:13], null, v16, s16, v[0:1]
	v_mad_u64_u32 v[0:1], null, v6, s14, v[2:3]
	s_add_u32 s12, s12, s20
	s_addc_u32 s13, s13, s21
	v_lshl_add_u32 v23, v21, 7, 0x1000
	s_load_b64 s[12:13], s[12:13], 0x0
	s_delay_alu instid0(VALU_DEP_3) | instskip(SKIP_1) | instid1(VALU_DEP_2)
	v_mov_b32_e32 v2, v13
	v_mov_b32_e32 v18, v4
	v_mad_u64_u32 v[8:9], null, v16, s17, v[2:3]
	v_dual_mov_b32 v17, v5 :: v_dual_mov_b32 v16, v4
	s_delay_alu instid0(VALU_DEP_2) | instskip(SKIP_4) | instid1(VALU_DEP_3)
	v_mov_b32_e32 v13, v8
	v_mad_u64_u32 v[2:3], null, v6, s15, v[1:2]
	v_lshlrev_b32_e32 v1, 4, v6
	v_dual_mov_b32 v7, v5 :: v_dual_mov_b32 v6, v4
	v_dual_mov_b32 v9, v5 :: v_dual_mov_b32 v8, v4
	v_lshl_or_b32 v15, v15, 7, v1
	v_mov_b32_e32 v1, v2
	v_lshlrev_b64 v[2:3], 4, v[12:13]
	v_dual_mov_b32 v13, v5 :: v_dual_mov_b32 v12, v4
	s_delay_alu instid0(VALU_DEP_4) | instskip(NEXT) | instid1(VALU_DEP_4)
	v_add_nc_u32_e32 v25, 0x1000, v15
	v_lshlrev_b64 v[0:1], 4, v[0:1]
	s_delay_alu instid0(VALU_DEP_4) | instskip(SKIP_2) | instid1(VALU_DEP_3)
	v_add_co_u32 v2, vcc_lo, v2, s10
	v_add_co_ci_u32_e32 v3, vcc_lo, s11, v3, vcc_lo
	s_waitcnt lgkmcnt(0)
	v_add_co_u32 v14, vcc_lo, v0, s12
	s_delay_alu instid0(VALU_DEP_4) | instskip(SKIP_2) | instid1(VALU_DEP_4)
	v_add_co_ci_u32_e32 v15, vcc_lo, s13, v1, vcc_lo
	v_add_co_u32 v0, vcc_lo, v2, 8
	v_add_co_ci_u32_e32 v1, vcc_lo, 0, v3, vcc_lo
	v_add_co_u32 v2, vcc_lo, v14, 8
	s_delay_alu instid0(VALU_DEP_4)
	v_add_co_ci_u32_e32 v3, vcc_lo, 0, v15, vcc_lo
	v_dual_mov_b32 v15, v5 :: v_dual_mov_b32 v14, v4
	s_lshl_b64 s[10:11], s[16:17], 7
	s_lshl_b64 s[12:13], s[14:15], 7
	s_mov_b64 s[14:15], 0
.LBB1648_2:                             ; =>This Inner Loop Header: Depth=1
	global_load_b128 v[26:29], v[0:1], off offset:-8
	global_load_b128 v[30:33], v[2:3], off offset:-8
	s_add_u32 s14, s14, 8
	v_add_co_u32 v0, vcc_lo, v0, s10
	s_addc_u32 s15, s15, 0
	v_add_co_ci_u32_e32 v1, vcc_lo, s11, v1, vcc_lo
	v_cmp_ge_u64_e64 s16, s[14:15], s[4:5]
	v_add_co_u32 v2, vcc_lo, v2, s12
	v_add_co_ci_u32_e32 v3, vcc_lo, s13, v3, vcc_lo
	s_waitcnt vmcnt(1)
	ds_store_b128 v24, v[26:29]
	s_waitcnt vmcnt(0)
	ds_store_b128 v25, v[30:33]
	s_waitcnt lgkmcnt(0)
	s_barrier
	buffer_gl0_inv
	ds_load_b128 v[26:29], v23
	ds_load_b128 v[30:33], v22
	ds_load_b128 v[34:37], v22 offset:256
	ds_load_b128 v[38:41], v23 offset:2048
	;; [unrolled: 1-line block ×13, first 2 shown]
	s_and_b32 vcc_lo, exec_lo, s16
	s_waitcnt lgkmcnt(13)
	v_mul_f64 v[86:87], v[28:29], v[32:33]
	v_mul_f64 v[88:89], v[26:27], v[32:33]
	s_waitcnt lgkmcnt(12)
	v_mul_f64 v[90:91], v[28:29], v[36:37]
	v_mul_f64 v[92:93], v[26:27], v[36:37]
	;; [unrolled: 3-line block ×3, first 2 shown]
	v_mul_f64 v[96:97], v[40:41], v[36:37]
	v_mul_f64 v[36:37], v[38:39], v[36:37]
	s_waitcnt lgkmcnt(8)
	v_mul_f64 v[98:99], v[44:45], v[52:53]
	v_mul_f64 v[100:101], v[42:43], v[52:53]
	s_waitcnt lgkmcnt(7)
	v_mul_f64 v[102:103], v[44:45], v[56:57]
	v_mul_f64 v[104:105], v[42:43], v[56:57]
	;; [unrolled: 1-line block ×6, first 2 shown]
	s_waitcnt lgkmcnt(3)
	v_mul_f64 v[112:113], v[58:59], v[72:73]
	s_waitcnt lgkmcnt(2)
	v_mul_f64 v[114:115], v[76:77], v[68:69]
	v_mul_f64 v[116:117], v[76:77], v[72:73]
	v_fma_f64 v[86:87], v[26:27], v[30:31], -v[86:87]
	v_fma_f64 v[88:89], v[28:29], v[30:31], v[88:89]
	v_fma_f64 v[90:91], v[26:27], v[34:35], -v[90:91]
	v_fma_f64 v[92:93], v[28:29], v[34:35], v[92:93]
	;; [unrolled: 2-line block ×4, first 2 shown]
	v_mul_f64 v[36:37], v[60:61], v[68:69]
	v_mul_f64 v[40:41], v[58:59], v[68:69]
	;; [unrolled: 1-line block ×5, first 2 shown]
	v_fma_f64 v[98:99], v[42:43], v[50:51], -v[98:99]
	v_fma_f64 v[100:101], v[44:45], v[50:51], v[100:101]
	v_fma_f64 v[42:43], v[42:43], v[54:55], -v[102:103]
	v_fma_f64 v[44:45], v[44:45], v[54:55], v[104:105]
	;; [unrolled: 2-line block ×4, first 2 shown]
	ds_load_b128 v[26:29], v22 offset:1792
	ds_load_b128 v[30:33], v22 offset:2048
	s_waitcnt lgkmcnt(2)
	v_mul_f64 v[56:57], v[64:65], v[84:85]
	v_add_f64 v[16:17], v[16:17], v[86:87]
	v_add_f64 v[18:19], v[18:19], v[88:89]
	;; [unrolled: 1-line block ×8, first 2 shown]
	v_mul_f64 v[86:87], v[62:63], v[84:85]
	s_waitcnt lgkmcnt(1)
	v_mul_f64 v[88:89], v[64:65], v[28:29]
	v_mul_f64 v[90:91], v[62:63], v[28:29]
	;; [unrolled: 1-line block ×6, first 2 shown]
	v_fma_f64 v[104:105], v[58:59], v[66:67], -v[36:37]
	v_fma_f64 v[106:107], v[60:61], v[66:67], v[40:41]
	v_fma_f64 v[58:59], v[58:59], v[70:71], -v[96:97]
	v_fma_f64 v[60:61], v[60:61], v[70:71], v[112:113]
	;; [unrolled: 2-line block ×4, first 2 shown]
	ds_load_b128 v[4:7], v22 offset:2304
	ds_load_b128 v[8:11], v23 offset:64
	v_fma_f64 v[56:57], v[62:63], v[82:83], -v[56:57]
	v_add_f64 v[72:73], v[16:17], v[98:99]
	v_add_f64 v[74:75], v[18:19], v[100:101]
	;; [unrolled: 1-line block ×8, first 2 shown]
	ds_load_b128 v[12:15], v23 offset:2112
	ds_load_b128 v[16:19], v23 offset:80
	;; [unrolled: 1-line block ×4, first 2 shown]
	s_waitcnt lgkmcnt(4)
	v_mul_f64 v[54:55], v[10:11], v[32:33]
	v_mul_f64 v[76:77], v[8:9], v[32:33]
	;; [unrolled: 1-line block ×4, first 2 shown]
	v_fma_f64 v[86:87], v[64:65], v[82:83], v[86:87]
	v_fma_f64 v[62:63], v[62:63], v[26:27], -v[88:89]
	v_fma_f64 v[64:65], v[64:65], v[26:27], v[90:91]
	v_fma_f64 v[88:89], v[78:79], v[82:83], -v[92:93]
	;; [unrolled: 2-line block ×3, first 2 shown]
	v_fma_f64 v[80:81], v[80:81], v[26:27], v[28:29]
	s_waitcnt lgkmcnt(3)
	v_mul_f64 v[102:103], v[14:15], v[32:33]
	v_mul_f64 v[32:33], v[12:13], v[32:33]
	v_mul_f64 v[108:109], v[14:15], v[6:7]
	v_mul_f64 v[6:7], v[12:13], v[6:7]
	s_waitcnt lgkmcnt(0)
	v_mul_f64 v[90:91], v[18:19], v[40:41]
	v_mul_f64 v[92:93], v[16:17], v[40:41]
	v_add_f64 v[72:73], v[72:73], v[104:105]
	v_add_f64 v[74:75], v[74:75], v[106:107]
	;; [unrolled: 1-line block ×8, first 2 shown]
	ds_load_b128 v[26:29], v22 offset:2816
	ds_load_b128 v[42:45], v22 offset:3072
	;; [unrolled: 1-line block ×4, first 2 shown]
	v_mul_f64 v[104:105], v[36:37], v[40:41]
	v_mul_f64 v[40:41], v[34:35], v[40:41]
	v_fma_f64 v[54:55], v[8:9], v[30:31], -v[54:55]
	v_fma_f64 v[76:77], v[10:11], v[30:31], v[76:77]
	v_fma_f64 v[98:99], v[8:9], v[4:5], -v[98:99]
	v_fma_f64 v[100:101], v[10:11], v[4:5], v[100:101]
	s_waitcnt lgkmcnt(3)
	v_mul_f64 v[94:95], v[18:19], v[28:29]
	v_mul_f64 v[96:97], v[16:17], v[28:29]
	;; [unrolled: 1-line block ×4, first 2 shown]
	v_fma_f64 v[102:103], v[12:13], v[30:31], -v[102:103]
	v_fma_f64 v[32:33], v[14:15], v[30:31], v[32:33]
	v_fma_f64 v[108:109], v[12:13], v[4:5], -v[108:109]
	v_fma_f64 v[112:113], v[14:15], v[4:5], v[6:7]
	ds_load_b128 v[4:7], v23 offset:2144
	ds_load_b128 v[8:11], v23 offset:112
	ds_load_b128 v[12:15], v23 offset:2160
	ds_load_b128 v[28:31], v22 offset:3584
	v_add_f64 v[56:57], v[72:73], v[56:57]
	v_add_f64 v[72:73], v[74:75], v[86:87]
	;; [unrolled: 1-line block ×8, first 2 shown]
	s_waitcnt lgkmcnt(4)
	v_mul_f64 v[70:71], v[52:53], v[44:45]
	v_mul_f64 v[74:75], v[50:51], v[44:45]
	;; [unrolled: 1-line block ×4, first 2 shown]
	s_waitcnt lgkmcnt(3)
	v_mul_f64 v[82:83], v[6:7], v[44:45]
	v_mul_f64 v[44:45], v[4:5], v[44:45]
	;; [unrolled: 1-line block ×4, first 2 shown]
	v_fma_f64 v[86:87], v[16:17], v[38:39], -v[90:91]
	v_fma_f64 v[88:89], v[18:19], v[38:39], v[92:93]
	v_fma_f64 v[90:91], v[16:17], v[26:27], -v[94:95]
	v_fma_f64 v[92:93], v[18:19], v[26:27], v[96:97]
	;; [unrolled: 2-line block ×4, first 2 shown]
	ds_load_b128 v[16:19], v22 offset:3840
	s_waitcnt lgkmcnt(0)
	s_barrier
	buffer_gl0_inv
	v_add_f64 v[36:37], v[56:57], v[54:55]
	v_add_f64 v[40:41], v[72:73], v[76:77]
	;; [unrolled: 1-line block ×8, first 2 shown]
	v_mul_f64 v[64:65], v[10:11], v[30:31]
	v_mul_f64 v[66:67], v[8:9], v[30:31]
	;; [unrolled: 1-line block ×4, first 2 shown]
	v_fma_f64 v[70:71], v[50:51], v[42:43], -v[70:71]
	v_mul_f64 v[68:69], v[10:11], v[18:19]
	v_mul_f64 v[72:73], v[8:9], v[18:19]
	;; [unrolled: 1-line block ×4, first 2 shown]
	v_fma_f64 v[74:75], v[52:53], v[42:43], v[74:75]
	v_fma_f64 v[50:51], v[50:51], v[46:47], -v[78:79]
	v_fma_f64 v[52:53], v[52:53], v[46:47], v[80:81]
	v_fma_f64 v[78:79], v[4:5], v[42:43], -v[82:83]
	;; [unrolled: 2-line block ×3, first 2 shown]
	v_fma_f64 v[6:7], v[6:7], v[46:47], v[48:49]
	v_add_f64 v[36:37], v[36:37], v[86:87]
	v_add_f64 v[40:41], v[40:41], v[88:89]
	;; [unrolled: 1-line block ×8, first 2 shown]
	v_fma_f64 v[38:39], v[8:9], v[28:29], -v[64:65]
	v_fma_f64 v[54:55], v[10:11], v[28:29], v[66:67]
	v_fma_f64 v[56:57], v[12:13], v[28:29], -v[76:77]
	v_fma_f64 v[28:29], v[14:15], v[28:29], v[30:31]
	;; [unrolled: 2-line block ×4, first 2 shown]
	v_add_f64 v[12:13], v[36:37], v[70:71]
	v_add_f64 v[14:15], v[40:41], v[74:75]
	;; [unrolled: 1-line block ×16, first 2 shown]
	s_cbranch_vccz .LBB1648_2
.LBB1648_3:
	v_add_nc_u32_e32 v21, s23, v21
	s_load_b32 s4, s[0:1], 0x0
	s_delay_alu instid0(VALU_DEP_1) | instskip(SKIP_2) | instid1(VALU_DEP_3)
	v_ashrrev_i32_e32 v0, 31, v21
	v_mul_lo_u32 v3, v21, s19
	v_mad_u64_u32 v[1:2], null, v21, s18, 0
	v_mul_lo_u32 v0, v0, s18
	s_delay_alu instid0(VALU_DEP_1) | instskip(SKIP_3) | instid1(VALU_DEP_3)
	v_add3_u32 v2, v2, v3, v0
	v_add_nc_u32_e32 v0, s22, v20
	s_waitcnt lgkmcnt(0)
	v_cmp_gt_i32_e32 vcc_lo, s4, v21
	v_lshlrev_b64 v[1:2], 4, v[1:2]
	s_delay_alu instid0(VALU_DEP_3) | instskip(NEXT) | instid1(VALU_DEP_1)
	v_cmp_le_i32_e64 s0, v0, v21
	s_and_b32 s0, vcc_lo, s0
	s_delay_alu instid0(VALU_DEP_2) | instskip(NEXT) | instid1(VALU_DEP_1)
	v_add_co_u32 v20, s1, s2, v1
	v_add_co_ci_u32_e64 v22, s1, s3, v2, s1
	s_and_saveexec_b32 s1, s0
	s_cbranch_execz .LBB1648_5
; %bb.4:
	v_mul_f64 v[1:2], s[8:9], v[18:19]
	v_mul_f64 v[18:19], s[6:7], v[18:19]
	s_delay_alu instid0(VALU_DEP_2) | instskip(NEXT) | instid1(VALU_DEP_2)
	v_fma_f64 v[23:24], s[6:7], v[16:17], -v[1:2]
	v_fma_f64 v[25:26], s[8:9], v[16:17], v[18:19]
	v_ashrrev_i32_e32 v1, 31, v0
	s_delay_alu instid0(VALU_DEP_1) | instskip(NEXT) | instid1(VALU_DEP_1)
	v_lshlrev_b64 v[1:2], 4, v[0:1]
	v_add_co_u32 v1, s0, v20, v1
	s_delay_alu instid0(VALU_DEP_1)
	v_add_co_ci_u32_e64 v2, s0, v22, v2, s0
	global_store_b128 v[1:2], v[23:26], off
.LBB1648_5:
	s_or_b32 exec_lo, exec_lo, s1
	v_add_nc_u32_e32 v2, 16, v0
	s_delay_alu instid0(VALU_DEP_1) | instskip(NEXT) | instid1(VALU_DEP_1)
	v_cmp_le_i32_e64 s0, v2, v21
	s_and_b32 s1, vcc_lo, s0
	s_delay_alu instid0(SALU_CYCLE_1)
	s_and_saveexec_b32 s0, s1
	s_cbranch_execz .LBB1648_7
; %bb.6:
	v_mul_f64 v[16:17], s[8:9], v[12:13]
	v_mul_f64 v[18:19], s[6:7], v[12:13]
	v_ashrrev_i32_e32 v3, 31, v2
	s_delay_alu instid0(VALU_DEP_3) | instskip(NEXT) | instid1(VALU_DEP_3)
	v_fma_f64 v[12:13], s[6:7], v[14:15], -v[16:17]
	v_fma_f64 v[14:15], s[8:9], v[14:15], v[18:19]
	s_delay_alu instid0(VALU_DEP_3) | instskip(NEXT) | instid1(VALU_DEP_1)
	v_lshlrev_b64 v[16:17], 4, v[2:3]
	v_add_co_u32 v16, vcc_lo, v20, v16
	s_delay_alu instid0(VALU_DEP_2)
	v_add_co_ci_u32_e32 v17, vcc_lo, v22, v17, vcc_lo
	global_store_b128 v[16:17], v[12:15], off
.LBB1648_7:
	s_or_b32 exec_lo, exec_lo, s0
	v_add_nc_u32_e32 v3, 16, v21
	s_delay_alu instid0(VALU_DEP_1) | instskip(SKIP_3) | instid1(VALU_DEP_4)
	v_ashrrev_i32_e32 v1, 31, v3
	v_mul_lo_u32 v14, v3, s19
	v_mad_u64_u32 v[12:13], null, v3, s18, 0
	v_cmp_gt_i32_e32 vcc_lo, s4, v3
	v_mul_lo_u32 v1, v1, s18
	v_cmp_le_i32_e64 s0, v0, v3
	s_delay_alu instid0(VALU_DEP_1) | instskip(NEXT) | instid1(VALU_DEP_2)
	s_and_b32 s0, vcc_lo, s0
	v_add3_u32 v13, v13, v14, v1
	s_delay_alu instid0(VALU_DEP_1) | instskip(NEXT) | instid1(VALU_DEP_1)
	v_lshlrev_b64 v[12:13], 4, v[12:13]
	v_add_co_u32 v12, s1, s2, v12
	s_delay_alu instid0(VALU_DEP_1)
	v_add_co_ci_u32_e64 v13, s1, s3, v13, s1
	s_and_saveexec_b32 s1, s0
	s_cbranch_execz .LBB1648_9
; %bb.8:
	v_mul_f64 v[14:15], s[8:9], v[10:11]
	v_mul_f64 v[10:11], s[6:7], v[10:11]
	v_ashrrev_i32_e32 v1, 31, v0
	s_delay_alu instid0(VALU_DEP_1) | instskip(NEXT) | instid1(VALU_DEP_1)
	v_lshlrev_b64 v[0:1], 4, v[0:1]
	v_add_co_u32 v0, s0, v12, v0
	s_delay_alu instid0(VALU_DEP_1)
	v_add_co_ci_u32_e64 v1, s0, v13, v1, s0
	v_fma_f64 v[14:15], s[6:7], v[8:9], -v[14:15]
	v_fma_f64 v[16:17], s[8:9], v[8:9], v[10:11]
	global_store_b128 v[0:1], v[14:17], off
.LBB1648_9:
	s_or_b32 exec_lo, exec_lo, s1
	v_cmp_le_i32_e64 s0, v2, v3
	s_delay_alu instid0(VALU_DEP_1) | instskip(NEXT) | instid1(SALU_CYCLE_1)
	s_and_b32 s0, vcc_lo, s0
	s_and_saveexec_b32 s1, s0
	s_cbranch_execz .LBB1648_11
; %bb.10:
	v_mul_f64 v[0:1], s[8:9], v[4:5]
	v_mul_f64 v[8:9], s[6:7], v[4:5]
	v_ashrrev_i32_e32 v3, 31, v2
	s_delay_alu instid0(VALU_DEP_3) | instskip(NEXT) | instid1(VALU_DEP_3)
	v_fma_f64 v[4:5], s[6:7], v[6:7], -v[0:1]
	v_fma_f64 v[6:7], s[8:9], v[6:7], v[8:9]
	s_delay_alu instid0(VALU_DEP_3) | instskip(NEXT) | instid1(VALU_DEP_1)
	v_lshlrev_b64 v[0:1], 4, v[2:3]
	v_add_co_u32 v0, vcc_lo, v12, v0
	s_delay_alu instid0(VALU_DEP_2)
	v_add_co_ci_u32_e32 v1, vcc_lo, v13, v1, vcc_lo
	global_store_b128 v[0:1], v[4:7], off
.LBB1648_11:
	s_nop 0
	s_sendmsg sendmsg(MSG_DEALLOC_VGPRS)
	s_endpgm
	.section	.rodata,"a",@progbits
	.p2align	6, 0x0
	.amdhsa_kernel _ZL37rocblas_syrkx_herkx_restricted_kernelIl19rocblas_complex_numIdELi16ELi32ELi8ELb1ELb0ELc78ELc85EKPKS1_KPS1_EviT_T0_PT8_S7_lSA_S7_lS8_PT9_S7_li
		.amdhsa_group_segment_fixed_size 8192
		.amdhsa_private_segment_fixed_size 0
		.amdhsa_kernarg_size 124
		.amdhsa_user_sgpr_count 13
		.amdhsa_user_sgpr_dispatch_ptr 0
		.amdhsa_user_sgpr_queue_ptr 0
		.amdhsa_user_sgpr_kernarg_segment_ptr 1
		.amdhsa_user_sgpr_dispatch_id 0
		.amdhsa_user_sgpr_private_segment_size 0
		.amdhsa_wavefront_size32 1
		.amdhsa_uses_dynamic_stack 0
		.amdhsa_enable_private_segment 0
		.amdhsa_system_sgpr_workgroup_id_x 1
		.amdhsa_system_sgpr_workgroup_id_y 1
		.amdhsa_system_sgpr_workgroup_id_z 1
		.amdhsa_system_sgpr_workgroup_info 0
		.amdhsa_system_vgpr_workitem_id 1
		.amdhsa_next_free_vgpr 118
		.amdhsa_next_free_sgpr 24
		.amdhsa_reserve_vcc 1
		.amdhsa_float_round_mode_32 0
		.amdhsa_float_round_mode_16_64 0
		.amdhsa_float_denorm_mode_32 3
		.amdhsa_float_denorm_mode_16_64 3
		.amdhsa_dx10_clamp 1
		.amdhsa_ieee_mode 1
		.amdhsa_fp16_overflow 0
		.amdhsa_workgroup_processor_mode 1
		.amdhsa_memory_ordered 1
		.amdhsa_forward_progress 0
		.amdhsa_shared_vgpr_count 0
		.amdhsa_exception_fp_ieee_invalid_op 0
		.amdhsa_exception_fp_denorm_src 0
		.amdhsa_exception_fp_ieee_div_zero 0
		.amdhsa_exception_fp_ieee_overflow 0
		.amdhsa_exception_fp_ieee_underflow 0
		.amdhsa_exception_fp_ieee_inexact 0
		.amdhsa_exception_int_div_zero 0
	.end_amdhsa_kernel
	.section	.text._ZL37rocblas_syrkx_herkx_restricted_kernelIl19rocblas_complex_numIdELi16ELi32ELi8ELb1ELb0ELc78ELc85EKPKS1_KPS1_EviT_T0_PT8_S7_lSA_S7_lS8_PT9_S7_li,"axG",@progbits,_ZL37rocblas_syrkx_herkx_restricted_kernelIl19rocblas_complex_numIdELi16ELi32ELi8ELb1ELb0ELc78ELc85EKPKS1_KPS1_EviT_T0_PT8_S7_lSA_S7_lS8_PT9_S7_li,comdat
.Lfunc_end1648:
	.size	_ZL37rocblas_syrkx_herkx_restricted_kernelIl19rocblas_complex_numIdELi16ELi32ELi8ELb1ELb0ELc78ELc85EKPKS1_KPS1_EviT_T0_PT8_S7_lSA_S7_lS8_PT9_S7_li, .Lfunc_end1648-_ZL37rocblas_syrkx_herkx_restricted_kernelIl19rocblas_complex_numIdELi16ELi32ELi8ELb1ELb0ELc78ELc85EKPKS1_KPS1_EviT_T0_PT8_S7_lSA_S7_lS8_PT9_S7_li
                                        ; -- End function
	.section	.AMDGPU.csdata,"",@progbits
; Kernel info:
; codeLenInByte = 3112
; NumSgprs: 26
; NumVgprs: 118
; ScratchSize: 0
; MemoryBound: 0
; FloatMode: 240
; IeeeMode: 1
; LDSByteSize: 8192 bytes/workgroup (compile time only)
; SGPRBlocks: 3
; VGPRBlocks: 14
; NumSGPRsForWavesPerEU: 26
; NumVGPRsForWavesPerEU: 118
; Occupancy: 12
; WaveLimiterHint : 1
; COMPUTE_PGM_RSRC2:SCRATCH_EN: 0
; COMPUTE_PGM_RSRC2:USER_SGPR: 13
; COMPUTE_PGM_RSRC2:TRAP_HANDLER: 0
; COMPUTE_PGM_RSRC2:TGID_X_EN: 1
; COMPUTE_PGM_RSRC2:TGID_Y_EN: 1
; COMPUTE_PGM_RSRC2:TGID_Z_EN: 1
; COMPUTE_PGM_RSRC2:TIDIG_COMP_CNT: 1
	.section	.text._ZL37rocblas_syrkx_herkx_restricted_kernelIl19rocblas_complex_numIdELi16ELi32ELi8ELb0ELb0ELc84ELc76EKPKS1_KPS1_EviT_T0_PT8_S7_lSA_S7_lS8_PT9_S7_li,"axG",@progbits,_ZL37rocblas_syrkx_herkx_restricted_kernelIl19rocblas_complex_numIdELi16ELi32ELi8ELb0ELb0ELc84ELc76EKPKS1_KPS1_EviT_T0_PT8_S7_lSA_S7_lS8_PT9_S7_li,comdat
	.globl	_ZL37rocblas_syrkx_herkx_restricted_kernelIl19rocblas_complex_numIdELi16ELi32ELi8ELb0ELb0ELc84ELc76EKPKS1_KPS1_EviT_T0_PT8_S7_lSA_S7_lS8_PT9_S7_li ; -- Begin function _ZL37rocblas_syrkx_herkx_restricted_kernelIl19rocblas_complex_numIdELi16ELi32ELi8ELb0ELb0ELc84ELc76EKPKS1_KPS1_EviT_T0_PT8_S7_lSA_S7_lS8_PT9_S7_li
	.p2align	8
	.type	_ZL37rocblas_syrkx_herkx_restricted_kernelIl19rocblas_complex_numIdELi16ELi32ELi8ELb0ELb0ELc84ELc76EKPKS1_KPS1_EviT_T0_PT8_S7_lSA_S7_lS8_PT9_S7_li,@function
_ZL37rocblas_syrkx_herkx_restricted_kernelIl19rocblas_complex_numIdELi16ELi32ELi8ELb0ELb0ELc84ELc76EKPKS1_KPS1_EviT_T0_PT8_S7_lSA_S7_lS8_PT9_S7_li: ; @_ZL37rocblas_syrkx_herkx_restricted_kernelIl19rocblas_complex_numIdELi16ELi32ELi8ELb0ELb0ELc84ELc76EKPKS1_KPS1_EviT_T0_PT8_S7_lSA_S7_lS8_PT9_S7_li
; %bb.0:
	s_clause 0x1
	s_load_b256 s[4:11], s[0:1], 0x50
	s_load_b256 s[16:23], s[0:1], 0x8
	s_mov_b32 s2, s15
	s_mov_b32 s3, 0
	v_mov_b32_e32 v16, 0
	s_lshl_b64 s[24:25], s[2:3], 3
	v_dual_mov_b32 v17, 0 :: v_dual_and_b32 v20, 0x3ff, v0
	v_bfe_u32 v21, v0, 10, 10
	s_delay_alu instid0(VALU_DEP_3) | instskip(NEXT) | instid1(VALU_DEP_3)
	v_mov_b32_e32 v12, v16
	v_dual_mov_b32 v14, v16 :: v_dual_mov_b32 v15, v17
	v_dual_mov_b32 v19, v17 :: v_dual_mov_b32 v18, v16
	;; [unrolled: 1-line block ×5, first 2 shown]
	v_mov_b32_e32 v5, v17
	s_waitcnt lgkmcnt(0)
	s_add_u32 s2, s8, s24
	s_addc_u32 s3, s9, s25
	s_load_b64 s[8:9], s[0:1], 0x28
	s_load_b64 s[2:3], s[2:3], 0x0
	v_cmp_lt_i64_e64 s12, s[16:17], 1
	v_dual_mov_b32 v6, v16 :: v_dual_mov_b32 v7, v17
	s_lshl_b32 s26, s13, 5
	s_lshl_b32 s27, s14, 5
	s_delay_alu instid0(VALU_DEP_2)
	s_and_b32 vcc_lo, exec_lo, s12
	s_cbranch_vccnz .LBB1649_3
; %bb.1:
	s_load_b128 s[12:15], s[0:1], 0x38
	v_lshl_add_u32 v2, v21, 4, v20
	v_dual_mov_b32 v1, 0 :: v_dual_and_b32 v0, 7, v20
	s_add_u32 s22, s22, s24
	s_addc_u32 s23, s23, s25
	s_delay_alu instid0(VALU_DEP_2) | instskip(SKIP_3) | instid1(VALU_DEP_3)
	v_lshrrev_b32_e32 v8, 3, v2
	v_and_b32_e32 v9, 31, v2
	v_lshrrev_b32_e32 v2, 5, v2
	s_load_b64 s[22:23], s[22:23], 0x0
	v_dual_mov_b32 v3, v1 :: v_dual_add_nc_u32 v10, s27, v8
	s_delay_alu instid0(VALU_DEP_3) | instskip(SKIP_1) | instid1(VALU_DEP_3)
	v_add_nc_u32_e32 v6, s26, v9
	v_lshl_add_u32 v23, v21, 7, 0x1000
	v_ashrrev_i32_e32 v7, 31, v10
	s_delay_alu instid0(VALU_DEP_3)
	v_ashrrev_i32_e32 v11, 31, v6
	s_waitcnt lgkmcnt(0)
	v_mad_u64_u32 v[4:5], null, s8, v6, v[2:3]
	v_mul_lo_u32 v3, s9, v6
	s_add_u32 s12, s12, s24
	v_mul_lo_u32 v12, v7, s14
	v_mul_lo_u32 v11, s8, v11
	;; [unrolled: 1-line block ×3, first 2 shown]
	v_mad_u64_u32 v[6:7], null, v10, s14, v[0:1]
	s_addc_u32 s13, s13, s25
	v_lshlrev_b32_e32 v0, 4, v0
	s_load_b64 s[8:9], s[12:13], 0x0
	s_delay_alu instid0(VALU_DEP_4) | instskip(SKIP_1) | instid1(VALU_DEP_4)
	v_add3_u32 v5, v3, v5, v11
	v_lshlrev_b32_e32 v3, 4, v9
	v_add3_u32 v7, v12, v7, v13
	s_delay_alu instid0(VALU_DEP_2) | instskip(NEXT) | instid1(VALU_DEP_2)
	v_lshl_or_b32 v24, v2, 9, v3
	v_lshlrev_b64 v[2:3], 4, v[6:7]
	v_mov_b32_e32 v6, 0
	v_mov_b32_e32 v7, 0
	v_lshl_or_b32 v8, v8, 7, v0
	v_lshlrev_b64 v[0:1], 4, v[4:5]
	s_delay_alu instid0(VALU_DEP_4) | instskip(NEXT) | instid1(VALU_DEP_4)
	v_mov_b32_e32 v4, v6
	v_dual_mov_b32 v5, v7 :: v_dual_lshlrev_b32 v22, 4, v20
	s_delay_alu instid0(VALU_DEP_4)
	v_add_nc_u32_e32 v25, 0x1000, v8
	v_mov_b32_e32 v11, v7
	v_add_co_u32 v0, vcc_lo, v0, s22
	v_add_co_ci_u32_e32 v1, vcc_lo, s23, v1, vcc_lo
	s_waitcnt lgkmcnt(0)
	v_add_co_u32 v2, vcc_lo, v2, s8
	v_add_co_ci_u32_e32 v3, vcc_lo, s9, v3, vcc_lo
	v_add_co_u32 v0, vcc_lo, v0, 8
	v_add_co_ci_u32_e32 v1, vcc_lo, 0, v1, vcc_lo
	s_delay_alu instid0(VALU_DEP_4)
	v_add_co_u32 v2, vcc_lo, v2, 8
	v_mov_b32_e32 v9, v7
	v_mov_b32_e32 v15, v7
	;; [unrolled: 1-line block ×4, first 2 shown]
	v_dual_mov_b32 v17, v7 :: v_dual_mov_b32 v16, v6
	v_add_co_ci_u32_e32 v3, vcc_lo, 0, v3, vcc_lo
	v_mov_b32_e32 v10, v6
	v_mov_b32_e32 v8, v6
	;; [unrolled: 1-line block ×5, first 2 shown]
	s_mov_b64 s[8:9], 0
.LBB1649_2:                             ; =>This Inner Loop Header: Depth=1
	global_load_b128 v[26:29], v[0:1], off offset:-8
	global_load_b128 v[30:33], v[2:3], off offset:-8
	s_add_u32 s8, s8, 8
	v_add_co_u32 v0, vcc_lo, 0x80, v0
	s_addc_u32 s9, s9, 0
	v_add_co_ci_u32_e32 v1, vcc_lo, 0, v1, vcc_lo
	v_cmp_ge_u64_e64 s12, s[8:9], s[16:17]
	v_add_co_u32 v2, vcc_lo, 0x80, v2
	v_add_co_ci_u32_e32 v3, vcc_lo, 0, v3, vcc_lo
	s_waitcnt vmcnt(1)
	ds_store_b128 v24, v[26:29]
	s_waitcnt vmcnt(0)
	ds_store_b128 v25, v[30:33]
	s_waitcnt lgkmcnt(0)
	s_barrier
	buffer_gl0_inv
	ds_load_b128 v[26:29], v23
	ds_load_b128 v[30:33], v22
	ds_load_b128 v[34:37], v22 offset:256
	ds_load_b128 v[38:41], v23 offset:2048
	ds_load_b128 v[42:45], v23 offset:16
	ds_load_b128 v[46:49], v23 offset:2064
	ds_load_b128 v[50:53], v22 offset:512
	ds_load_b128 v[54:57], v22 offset:768
	ds_load_b128 v[58:61], v23 offset:32
	ds_load_b128 v[62:65], v23 offset:48
	ds_load_b128 v[66:69], v22 offset:1024
	ds_load_b128 v[70:73], v22 offset:1280
	ds_load_b128 v[74:77], v23 offset:2080
	ds_load_b128 v[78:81], v23 offset:2096
	ds_load_b128 v[82:85], v22 offset:1536
	s_and_b32 vcc_lo, exec_lo, s12
	s_waitcnt lgkmcnt(13)
	v_mul_f64 v[86:87], v[28:29], v[32:33]
	v_mul_f64 v[88:89], v[26:27], v[32:33]
	s_waitcnt lgkmcnt(12)
	v_mul_f64 v[90:91], v[28:29], v[36:37]
	v_mul_f64 v[92:93], v[26:27], v[36:37]
	;; [unrolled: 3-line block ×3, first 2 shown]
	v_mul_f64 v[96:97], v[40:41], v[36:37]
	v_mul_f64 v[36:37], v[38:39], v[36:37]
	s_waitcnt lgkmcnt(8)
	v_mul_f64 v[98:99], v[44:45], v[52:53]
	v_mul_f64 v[100:101], v[42:43], v[52:53]
	s_waitcnt lgkmcnt(7)
	v_mul_f64 v[102:103], v[44:45], v[56:57]
	v_mul_f64 v[104:105], v[42:43], v[56:57]
	;; [unrolled: 1-line block ×6, first 2 shown]
	s_waitcnt lgkmcnt(3)
	v_mul_f64 v[112:113], v[58:59], v[72:73]
	s_waitcnt lgkmcnt(2)
	v_mul_f64 v[114:115], v[76:77], v[68:69]
	v_mul_f64 v[116:117], v[76:77], v[72:73]
	v_fma_f64 v[86:87], v[26:27], v[30:31], -v[86:87]
	v_fma_f64 v[88:89], v[28:29], v[30:31], v[88:89]
	v_fma_f64 v[90:91], v[26:27], v[34:35], -v[90:91]
	v_fma_f64 v[92:93], v[28:29], v[34:35], v[92:93]
	;; [unrolled: 2-line block ×4, first 2 shown]
	v_mul_f64 v[36:37], v[60:61], v[68:69]
	v_mul_f64 v[40:41], v[58:59], v[68:69]
	;; [unrolled: 1-line block ×5, first 2 shown]
	v_fma_f64 v[98:99], v[42:43], v[50:51], -v[98:99]
	v_fma_f64 v[100:101], v[44:45], v[50:51], v[100:101]
	v_fma_f64 v[42:43], v[42:43], v[54:55], -v[102:103]
	v_fma_f64 v[44:45], v[44:45], v[54:55], v[104:105]
	;; [unrolled: 2-line block ×4, first 2 shown]
	ds_load_b128 v[26:29], v22 offset:1792
	ds_load_b128 v[30:33], v22 offset:2048
	s_waitcnt lgkmcnt(2)
	v_mul_f64 v[56:57], v[64:65], v[84:85]
	v_add_f64 v[16:17], v[16:17], v[86:87]
	v_add_f64 v[18:19], v[18:19], v[88:89]
	;; [unrolled: 1-line block ×8, first 2 shown]
	v_mul_f64 v[86:87], v[62:63], v[84:85]
	s_waitcnt lgkmcnt(1)
	v_mul_f64 v[88:89], v[64:65], v[28:29]
	v_mul_f64 v[90:91], v[62:63], v[28:29]
	;; [unrolled: 1-line block ×6, first 2 shown]
	v_fma_f64 v[104:105], v[58:59], v[66:67], -v[36:37]
	v_fma_f64 v[106:107], v[60:61], v[66:67], v[40:41]
	v_fma_f64 v[58:59], v[58:59], v[70:71], -v[96:97]
	v_fma_f64 v[60:61], v[60:61], v[70:71], v[112:113]
	;; [unrolled: 2-line block ×4, first 2 shown]
	ds_load_b128 v[4:7], v22 offset:2304
	ds_load_b128 v[8:11], v23 offset:64
	v_fma_f64 v[56:57], v[62:63], v[82:83], -v[56:57]
	v_add_f64 v[72:73], v[16:17], v[98:99]
	v_add_f64 v[74:75], v[18:19], v[100:101]
	;; [unrolled: 1-line block ×8, first 2 shown]
	ds_load_b128 v[12:15], v23 offset:2112
	ds_load_b128 v[16:19], v23 offset:80
	;; [unrolled: 1-line block ×4, first 2 shown]
	s_waitcnt lgkmcnt(4)
	v_mul_f64 v[54:55], v[10:11], v[32:33]
	v_mul_f64 v[76:77], v[8:9], v[32:33]
	v_mul_f64 v[98:99], v[10:11], v[6:7]
	v_mul_f64 v[100:101], v[8:9], v[6:7]
	v_fma_f64 v[86:87], v[64:65], v[82:83], v[86:87]
	v_fma_f64 v[62:63], v[62:63], v[26:27], -v[88:89]
	v_fma_f64 v[64:65], v[64:65], v[26:27], v[90:91]
	v_fma_f64 v[88:89], v[78:79], v[82:83], -v[92:93]
	;; [unrolled: 2-line block ×3, first 2 shown]
	v_fma_f64 v[80:81], v[80:81], v[26:27], v[28:29]
	s_waitcnt lgkmcnt(3)
	v_mul_f64 v[102:103], v[14:15], v[32:33]
	v_mul_f64 v[32:33], v[12:13], v[32:33]
	;; [unrolled: 1-line block ×4, first 2 shown]
	s_waitcnt lgkmcnt(0)
	v_mul_f64 v[90:91], v[18:19], v[40:41]
	v_mul_f64 v[92:93], v[16:17], v[40:41]
	v_add_f64 v[72:73], v[72:73], v[104:105]
	v_add_f64 v[74:75], v[74:75], v[106:107]
	;; [unrolled: 1-line block ×8, first 2 shown]
	ds_load_b128 v[26:29], v22 offset:2816
	ds_load_b128 v[42:45], v22 offset:3072
	;; [unrolled: 1-line block ×4, first 2 shown]
	v_mul_f64 v[104:105], v[36:37], v[40:41]
	v_mul_f64 v[40:41], v[34:35], v[40:41]
	v_fma_f64 v[54:55], v[8:9], v[30:31], -v[54:55]
	v_fma_f64 v[76:77], v[10:11], v[30:31], v[76:77]
	v_fma_f64 v[98:99], v[8:9], v[4:5], -v[98:99]
	v_fma_f64 v[100:101], v[10:11], v[4:5], v[100:101]
	s_waitcnt lgkmcnt(3)
	v_mul_f64 v[94:95], v[18:19], v[28:29]
	v_mul_f64 v[96:97], v[16:17], v[28:29]
	;; [unrolled: 1-line block ×4, first 2 shown]
	v_fma_f64 v[102:103], v[12:13], v[30:31], -v[102:103]
	v_fma_f64 v[32:33], v[14:15], v[30:31], v[32:33]
	v_fma_f64 v[108:109], v[12:13], v[4:5], -v[108:109]
	v_fma_f64 v[112:113], v[14:15], v[4:5], v[6:7]
	ds_load_b128 v[4:7], v23 offset:2144
	ds_load_b128 v[8:11], v23 offset:112
	;; [unrolled: 1-line block ×4, first 2 shown]
	v_add_f64 v[56:57], v[72:73], v[56:57]
	v_add_f64 v[72:73], v[74:75], v[86:87]
	;; [unrolled: 1-line block ×8, first 2 shown]
	s_waitcnt lgkmcnt(4)
	v_mul_f64 v[70:71], v[52:53], v[44:45]
	v_mul_f64 v[74:75], v[50:51], v[44:45]
	v_mul_f64 v[78:79], v[52:53], v[48:49]
	v_mul_f64 v[80:81], v[50:51], v[48:49]
	s_waitcnt lgkmcnt(3)
	v_mul_f64 v[82:83], v[6:7], v[44:45]
	v_mul_f64 v[44:45], v[4:5], v[44:45]
	;; [unrolled: 1-line block ×4, first 2 shown]
	v_fma_f64 v[86:87], v[16:17], v[38:39], -v[90:91]
	v_fma_f64 v[88:89], v[18:19], v[38:39], v[92:93]
	v_fma_f64 v[90:91], v[16:17], v[26:27], -v[94:95]
	v_fma_f64 v[92:93], v[18:19], v[26:27], v[96:97]
	v_fma_f64 v[94:95], v[34:35], v[38:39], -v[104:105]
	v_fma_f64 v[38:39], v[36:37], v[38:39], v[40:41]
	v_fma_f64 v[34:35], v[34:35], v[26:27], -v[106:107]
	v_fma_f64 v[26:27], v[36:37], v[26:27], v[110:111]
	ds_load_b128 v[16:19], v22 offset:3840
	s_waitcnt lgkmcnt(0)
	s_barrier
	buffer_gl0_inv
	v_add_f64 v[36:37], v[56:57], v[54:55]
	v_add_f64 v[40:41], v[72:73], v[76:77]
	;; [unrolled: 1-line block ×8, first 2 shown]
	v_mul_f64 v[64:65], v[10:11], v[30:31]
	v_mul_f64 v[66:67], v[8:9], v[30:31]
	;; [unrolled: 1-line block ×4, first 2 shown]
	v_fma_f64 v[70:71], v[50:51], v[42:43], -v[70:71]
	v_mul_f64 v[68:69], v[10:11], v[18:19]
	v_mul_f64 v[72:73], v[8:9], v[18:19]
	;; [unrolled: 1-line block ×4, first 2 shown]
	v_fma_f64 v[74:75], v[52:53], v[42:43], v[74:75]
	v_fma_f64 v[50:51], v[50:51], v[46:47], -v[78:79]
	v_fma_f64 v[52:53], v[52:53], v[46:47], v[80:81]
	v_fma_f64 v[78:79], v[4:5], v[42:43], -v[82:83]
	;; [unrolled: 2-line block ×3, first 2 shown]
	v_fma_f64 v[6:7], v[6:7], v[46:47], v[48:49]
	v_add_f64 v[36:37], v[36:37], v[86:87]
	v_add_f64 v[40:41], v[40:41], v[88:89]
	;; [unrolled: 1-line block ×8, first 2 shown]
	v_fma_f64 v[38:39], v[8:9], v[28:29], -v[64:65]
	v_fma_f64 v[54:55], v[10:11], v[28:29], v[66:67]
	v_fma_f64 v[56:57], v[12:13], v[28:29], -v[76:77]
	v_fma_f64 v[28:29], v[14:15], v[28:29], v[30:31]
	;; [unrolled: 2-line block ×4, first 2 shown]
	v_add_f64 v[12:13], v[36:37], v[70:71]
	v_add_f64 v[14:15], v[40:41], v[74:75]
	;; [unrolled: 1-line block ×16, first 2 shown]
	s_cbranch_vccz .LBB1649_2
.LBB1649_3:
	v_add_nc_u32_e32 v21, s27, v21
	s_waitcnt lgkmcnt(0)
	s_load_b32 s8, s[0:1], 0x0
	s_delay_alu instid0(VALU_DEP_1) | instskip(SKIP_2) | instid1(VALU_DEP_3)
	v_ashrrev_i32_e32 v0, 31, v21
	v_mul_lo_u32 v3, v21, s11
	v_mad_u64_u32 v[1:2], null, v21, s10, 0
	v_mul_lo_u32 v0, v0, s10
	s_delay_alu instid0(VALU_DEP_1) | instskip(SKIP_1) | instid1(VALU_DEP_2)
	v_add3_u32 v2, v2, v3, v0
	v_add_nc_u32_e32 v0, s26, v20
	v_lshlrev_b64 v[1:2], 4, v[1:2]
	s_delay_alu instid0(VALU_DEP_2) | instskip(SKIP_2) | instid1(VALU_DEP_3)
	v_cmp_le_i32_e64 s0, v21, v0
	s_waitcnt lgkmcnt(0)
	v_cmp_gt_i32_e32 vcc_lo, s8, v0
	v_add_co_u32 v20, s1, s2, v1
	s_delay_alu instid0(VALU_DEP_1) | instskip(SKIP_1) | instid1(SALU_CYCLE_1)
	v_add_co_ci_u32_e64 v22, s1, s3, v2, s1
	s_and_b32 s0, s0, vcc_lo
	s_and_saveexec_b32 s1, s0
	s_cbranch_execz .LBB1649_5
; %bb.4:
	v_ashrrev_i32_e32 v1, 31, v0
	v_mul_f64 v[27:28], s[20:21], v[18:19]
	v_mul_f64 v[18:19], s[18:19], v[18:19]
	s_delay_alu instid0(VALU_DEP_3) | instskip(NEXT) | instid1(VALU_DEP_1)
	v_lshlrev_b64 v[1:2], 4, v[0:1]
	v_add_co_u32 v1, s0, v20, v1
	s_delay_alu instid0(VALU_DEP_1)
	v_add_co_ci_u32_e64 v2, s0, v22, v2, s0
	global_load_b128 v[23:26], v[1:2], off
	v_fma_f64 v[27:28], s[18:19], v[16:17], -v[27:28]
	v_fma_f64 v[18:19], s[20:21], v[16:17], v[18:19]
	s_waitcnt vmcnt(0)
	v_mul_f64 v[29:30], s[6:7], v[25:26]
	v_mul_f64 v[25:26], s[4:5], v[25:26]
	s_delay_alu instid0(VALU_DEP_2) | instskip(NEXT) | instid1(VALU_DEP_2)
	v_fma_f64 v[16:17], s[4:5], v[23:24], -v[29:30]
	v_fma_f64 v[23:24], s[6:7], v[23:24], v[25:26]
	s_delay_alu instid0(VALU_DEP_2) | instskip(NEXT) | instid1(VALU_DEP_2)
	v_add_f64 v[16:17], v[27:28], v[16:17]
	v_add_f64 v[18:19], v[18:19], v[23:24]
	global_store_b128 v[1:2], v[16:19], off
.LBB1649_5:
	s_or_b32 exec_lo, exec_lo, s1
	v_add_nc_u32_e32 v2, 16, v0
	s_delay_alu instid0(VALU_DEP_1) | instskip(SKIP_1) | instid1(VALU_DEP_1)
	v_cmp_le_i32_e64 s1, v21, v2
	v_cmp_gt_i32_e64 s0, s8, v2
	s_and_b32 s1, s1, s0
	s_delay_alu instid0(SALU_CYCLE_1)
	s_and_saveexec_b32 s8, s1
	s_cbranch_execz .LBB1649_7
; %bb.6:
	v_ashrrev_i32_e32 v3, 31, v2
	v_mul_f64 v[25:26], s[20:21], v[14:15]
	v_mul_f64 v[14:15], s[18:19], v[14:15]
	s_delay_alu instid0(VALU_DEP_3) | instskip(NEXT) | instid1(VALU_DEP_1)
	v_lshlrev_b64 v[16:17], 4, v[2:3]
	v_add_co_u32 v23, s1, v20, v16
	s_delay_alu instid0(VALU_DEP_1)
	v_add_co_ci_u32_e64 v24, s1, v22, v17, s1
	global_load_b128 v[16:19], v[23:24], off
	v_fma_f64 v[25:26], s[18:19], v[12:13], -v[25:26]
	v_fma_f64 v[14:15], s[20:21], v[12:13], v[14:15]
	s_waitcnt vmcnt(0)
	v_mul_f64 v[27:28], s[6:7], v[18:19]
	v_mul_f64 v[18:19], s[4:5], v[18:19]
	s_delay_alu instid0(VALU_DEP_2) | instskip(NEXT) | instid1(VALU_DEP_2)
	v_fma_f64 v[12:13], s[4:5], v[16:17], -v[27:28]
	v_fma_f64 v[16:17], s[6:7], v[16:17], v[18:19]
	s_delay_alu instid0(VALU_DEP_2) | instskip(NEXT) | instid1(VALU_DEP_2)
	v_add_f64 v[12:13], v[25:26], v[12:13]
	v_add_f64 v[14:15], v[14:15], v[16:17]
	global_store_b128 v[23:24], v[12:15], off
.LBB1649_7:
	s_or_b32 exec_lo, exec_lo, s8
	v_add_nc_u32_e32 v3, 16, v21
	s_delay_alu instid0(VALU_DEP_1) | instskip(SKIP_3) | instid1(VALU_DEP_4)
	v_ashrrev_i32_e32 v1, 31, v3
	v_mul_lo_u32 v14, v3, s11
	v_mad_u64_u32 v[12:13], null, v3, s10, 0
	v_cmp_le_i32_e64 s1, v3, v0
	v_mul_lo_u32 v1, v1, s10
	s_delay_alu instid0(VALU_DEP_1) | instskip(NEXT) | instid1(VALU_DEP_1)
	v_add3_u32 v13, v13, v14, v1
	v_lshlrev_b64 v[12:13], 4, v[12:13]
	s_delay_alu instid0(VALU_DEP_1) | instskip(NEXT) | instid1(VALU_DEP_1)
	v_add_co_u32 v12, s2, s2, v12
	v_add_co_ci_u32_e64 v13, s2, s3, v13, s2
	s_and_b32 s2, s1, vcc_lo
	s_delay_alu instid0(SALU_CYCLE_1)
	s_and_saveexec_b32 s1, s2
	s_cbranch_execz .LBB1649_9
; %bb.8:
	v_ashrrev_i32_e32 v1, 31, v0
	v_mul_f64 v[18:19], s[20:21], v[10:11]
	v_mul_f64 v[10:11], s[18:19], v[10:11]
	s_delay_alu instid0(VALU_DEP_3) | instskip(NEXT) | instid1(VALU_DEP_1)
	v_lshlrev_b64 v[0:1], 4, v[0:1]
	v_add_co_u32 v0, vcc_lo, v12, v0
	s_delay_alu instid0(VALU_DEP_2)
	v_add_co_ci_u32_e32 v1, vcc_lo, v13, v1, vcc_lo
	global_load_b128 v[14:17], v[0:1], off
	v_fma_f64 v[18:19], s[18:19], v[8:9], -v[18:19]
	v_fma_f64 v[10:11], s[20:21], v[8:9], v[10:11]
	s_waitcnt vmcnt(0)
	v_mul_f64 v[20:21], s[6:7], v[16:17]
	v_mul_f64 v[16:17], s[4:5], v[16:17]
	s_delay_alu instid0(VALU_DEP_2) | instskip(NEXT) | instid1(VALU_DEP_2)
	v_fma_f64 v[8:9], s[4:5], v[14:15], -v[20:21]
	v_fma_f64 v[14:15], s[6:7], v[14:15], v[16:17]
	s_delay_alu instid0(VALU_DEP_2) | instskip(NEXT) | instid1(VALU_DEP_2)
	v_add_f64 v[8:9], v[18:19], v[8:9]
	v_add_f64 v[10:11], v[10:11], v[14:15]
	global_store_b128 v[0:1], v[8:11], off
.LBB1649_9:
	s_or_b32 exec_lo, exec_lo, s1
	v_cmp_le_i32_e32 vcc_lo, v3, v2
	s_and_b32 s0, vcc_lo, s0
	s_delay_alu instid0(SALU_CYCLE_1)
	s_and_saveexec_b32 s1, s0
	s_cbranch_execz .LBB1649_11
; %bb.10:
	v_ashrrev_i32_e32 v3, 31, v2
	v_mul_f64 v[10:11], s[20:21], v[6:7]
	v_mul_f64 v[6:7], s[18:19], v[6:7]
	s_delay_alu instid0(VALU_DEP_3) | instskip(NEXT) | instid1(VALU_DEP_1)
	v_lshlrev_b64 v[0:1], 4, v[2:3]
	v_add_co_u32 v8, vcc_lo, v12, v0
	s_delay_alu instid0(VALU_DEP_2)
	v_add_co_ci_u32_e32 v9, vcc_lo, v13, v1, vcc_lo
	global_load_b128 v[0:3], v[8:9], off
	v_fma_f64 v[10:11], s[18:19], v[4:5], -v[10:11]
	v_fma_f64 v[4:5], s[20:21], v[4:5], v[6:7]
	s_waitcnt vmcnt(0)
	v_mul_f64 v[12:13], s[6:7], v[2:3]
	v_mul_f64 v[2:3], s[4:5], v[2:3]
	s_delay_alu instid0(VALU_DEP_2) | instskip(NEXT) | instid1(VALU_DEP_2)
	v_fma_f64 v[6:7], s[4:5], v[0:1], -v[12:13]
	v_fma_f64 v[2:3], s[6:7], v[0:1], v[2:3]
	s_delay_alu instid0(VALU_DEP_2) | instskip(NEXT) | instid1(VALU_DEP_2)
	v_add_f64 v[0:1], v[10:11], v[6:7]
	v_add_f64 v[2:3], v[4:5], v[2:3]
	global_store_b128 v[8:9], v[0:3], off
.LBB1649_11:
	s_nop 0
	s_sendmsg sendmsg(MSG_DEALLOC_VGPRS)
	s_endpgm
	.section	.rodata,"a",@progbits
	.p2align	6, 0x0
	.amdhsa_kernel _ZL37rocblas_syrkx_herkx_restricted_kernelIl19rocblas_complex_numIdELi16ELi32ELi8ELb0ELb0ELc84ELc76EKPKS1_KPS1_EviT_T0_PT8_S7_lSA_S7_lS8_PT9_S7_li
		.amdhsa_group_segment_fixed_size 8192
		.amdhsa_private_segment_fixed_size 0
		.amdhsa_kernarg_size 124
		.amdhsa_user_sgpr_count 13
		.amdhsa_user_sgpr_dispatch_ptr 0
		.amdhsa_user_sgpr_queue_ptr 0
		.amdhsa_user_sgpr_kernarg_segment_ptr 1
		.amdhsa_user_sgpr_dispatch_id 0
		.amdhsa_user_sgpr_private_segment_size 0
		.amdhsa_wavefront_size32 1
		.amdhsa_uses_dynamic_stack 0
		.amdhsa_enable_private_segment 0
		.amdhsa_system_sgpr_workgroup_id_x 1
		.amdhsa_system_sgpr_workgroup_id_y 1
		.amdhsa_system_sgpr_workgroup_id_z 1
		.amdhsa_system_sgpr_workgroup_info 0
		.amdhsa_system_vgpr_workitem_id 1
		.amdhsa_next_free_vgpr 118
		.amdhsa_next_free_sgpr 28
		.amdhsa_reserve_vcc 1
		.amdhsa_float_round_mode_32 0
		.amdhsa_float_round_mode_16_64 0
		.amdhsa_float_denorm_mode_32 3
		.amdhsa_float_denorm_mode_16_64 3
		.amdhsa_dx10_clamp 1
		.amdhsa_ieee_mode 1
		.amdhsa_fp16_overflow 0
		.amdhsa_workgroup_processor_mode 1
		.amdhsa_memory_ordered 1
		.amdhsa_forward_progress 0
		.amdhsa_shared_vgpr_count 0
		.amdhsa_exception_fp_ieee_invalid_op 0
		.amdhsa_exception_fp_denorm_src 0
		.amdhsa_exception_fp_ieee_div_zero 0
		.amdhsa_exception_fp_ieee_overflow 0
		.amdhsa_exception_fp_ieee_underflow 0
		.amdhsa_exception_fp_ieee_inexact 0
		.amdhsa_exception_int_div_zero 0
	.end_amdhsa_kernel
	.section	.text._ZL37rocblas_syrkx_herkx_restricted_kernelIl19rocblas_complex_numIdELi16ELi32ELi8ELb0ELb0ELc84ELc76EKPKS1_KPS1_EviT_T0_PT8_S7_lSA_S7_lS8_PT9_S7_li,"axG",@progbits,_ZL37rocblas_syrkx_herkx_restricted_kernelIl19rocblas_complex_numIdELi16ELi32ELi8ELb0ELb0ELc84ELc76EKPKS1_KPS1_EviT_T0_PT8_S7_lSA_S7_lS8_PT9_S7_li,comdat
.Lfunc_end1649:
	.size	_ZL37rocblas_syrkx_herkx_restricted_kernelIl19rocblas_complex_numIdELi16ELi32ELi8ELb0ELb0ELc84ELc76EKPKS1_KPS1_EviT_T0_PT8_S7_lSA_S7_lS8_PT9_S7_li, .Lfunc_end1649-_ZL37rocblas_syrkx_herkx_restricted_kernelIl19rocblas_complex_numIdELi16ELi32ELi8ELb0ELb0ELc84ELc76EKPKS1_KPS1_EviT_T0_PT8_S7_lSA_S7_lS8_PT9_S7_li
                                        ; -- End function
	.section	.AMDGPU.csdata,"",@progbits
; Kernel info:
; codeLenInByte = 3400
; NumSgprs: 30
; NumVgprs: 118
; ScratchSize: 0
; MemoryBound: 0
; FloatMode: 240
; IeeeMode: 1
; LDSByteSize: 8192 bytes/workgroup (compile time only)
; SGPRBlocks: 3
; VGPRBlocks: 14
; NumSGPRsForWavesPerEU: 30
; NumVGPRsForWavesPerEU: 118
; Occupancy: 12
; WaveLimiterHint : 1
; COMPUTE_PGM_RSRC2:SCRATCH_EN: 0
; COMPUTE_PGM_RSRC2:USER_SGPR: 13
; COMPUTE_PGM_RSRC2:TRAP_HANDLER: 0
; COMPUTE_PGM_RSRC2:TGID_X_EN: 1
; COMPUTE_PGM_RSRC2:TGID_Y_EN: 1
; COMPUTE_PGM_RSRC2:TGID_Z_EN: 1
; COMPUTE_PGM_RSRC2:TIDIG_COMP_CNT: 1
	.section	.text._ZL37rocblas_syrkx_herkx_restricted_kernelIl19rocblas_complex_numIdELi16ELi32ELi8ELb0ELb0ELc67ELc76EKPKS1_KPS1_EviT_T0_PT8_S7_lSA_S7_lS8_PT9_S7_li,"axG",@progbits,_ZL37rocblas_syrkx_herkx_restricted_kernelIl19rocblas_complex_numIdELi16ELi32ELi8ELb0ELb0ELc67ELc76EKPKS1_KPS1_EviT_T0_PT8_S7_lSA_S7_lS8_PT9_S7_li,comdat
	.globl	_ZL37rocblas_syrkx_herkx_restricted_kernelIl19rocblas_complex_numIdELi16ELi32ELi8ELb0ELb0ELc67ELc76EKPKS1_KPS1_EviT_T0_PT8_S7_lSA_S7_lS8_PT9_S7_li ; -- Begin function _ZL37rocblas_syrkx_herkx_restricted_kernelIl19rocblas_complex_numIdELi16ELi32ELi8ELb0ELb0ELc67ELc76EKPKS1_KPS1_EviT_T0_PT8_S7_lSA_S7_lS8_PT9_S7_li
	.p2align	8
	.type	_ZL37rocblas_syrkx_herkx_restricted_kernelIl19rocblas_complex_numIdELi16ELi32ELi8ELb0ELb0ELc67ELc76EKPKS1_KPS1_EviT_T0_PT8_S7_lSA_S7_lS8_PT9_S7_li,@function
_ZL37rocblas_syrkx_herkx_restricted_kernelIl19rocblas_complex_numIdELi16ELi32ELi8ELb0ELb0ELc67ELc76EKPKS1_KPS1_EviT_T0_PT8_S7_lSA_S7_lS8_PT9_S7_li: ; @_ZL37rocblas_syrkx_herkx_restricted_kernelIl19rocblas_complex_numIdELi16ELi32ELi8ELb0ELb0ELc67ELc76EKPKS1_KPS1_EviT_T0_PT8_S7_lSA_S7_lS8_PT9_S7_li
; %bb.0:
	s_clause 0x1
	s_load_b256 s[4:11], s[0:1], 0x50
	s_load_b256 s[16:23], s[0:1], 0x8
	s_mov_b32 s2, s15
	s_mov_b32 s3, 0
	v_mov_b32_e32 v16, 0
	s_lshl_b64 s[24:25], s[2:3], 3
	v_dual_mov_b32 v17, 0 :: v_dual_and_b32 v20, 0x3ff, v0
	v_bfe_u32 v21, v0, 10, 10
	s_delay_alu instid0(VALU_DEP_3) | instskip(NEXT) | instid1(VALU_DEP_3)
	v_mov_b32_e32 v12, v16
	v_dual_mov_b32 v14, v16 :: v_dual_mov_b32 v15, v17
	v_dual_mov_b32 v19, v17 :: v_dual_mov_b32 v18, v16
	;; [unrolled: 1-line block ×5, first 2 shown]
	v_mov_b32_e32 v5, v17
	s_waitcnt lgkmcnt(0)
	s_add_u32 s2, s8, s24
	s_addc_u32 s3, s9, s25
	s_load_b64 s[8:9], s[0:1], 0x28
	s_load_b64 s[2:3], s[2:3], 0x0
	v_cmp_lt_i64_e64 s12, s[16:17], 1
	v_dual_mov_b32 v6, v16 :: v_dual_mov_b32 v7, v17
	s_lshl_b32 s26, s13, 5
	s_lshl_b32 s27, s14, 5
	s_delay_alu instid0(VALU_DEP_2)
	s_and_b32 vcc_lo, exec_lo, s12
	s_cbranch_vccnz .LBB1650_3
; %bb.1:
	s_load_b128 s[12:15], s[0:1], 0x38
	v_lshl_add_u32 v2, v21, 4, v20
	v_dual_mov_b32 v1, 0 :: v_dual_and_b32 v0, 7, v20
	s_add_u32 s22, s22, s24
	s_addc_u32 s23, s23, s25
	s_delay_alu instid0(VALU_DEP_2) | instskip(SKIP_3) | instid1(VALU_DEP_3)
	v_lshrrev_b32_e32 v8, 3, v2
	v_and_b32_e32 v9, 31, v2
	v_lshrrev_b32_e32 v2, 5, v2
	s_load_b64 s[22:23], s[22:23], 0x0
	v_dual_mov_b32 v3, v1 :: v_dual_add_nc_u32 v10, s27, v8
	s_delay_alu instid0(VALU_DEP_3) | instskip(SKIP_1) | instid1(VALU_DEP_3)
	v_add_nc_u32_e32 v6, s26, v9
	v_lshl_add_u32 v23, v21, 7, 0x1000
	v_ashrrev_i32_e32 v7, 31, v10
	s_delay_alu instid0(VALU_DEP_3)
	v_ashrrev_i32_e32 v11, 31, v6
	s_waitcnt lgkmcnt(0)
	v_mad_u64_u32 v[4:5], null, s8, v6, v[2:3]
	v_mul_lo_u32 v3, s9, v6
	s_add_u32 s12, s12, s24
	v_mul_lo_u32 v12, v7, s14
	v_mul_lo_u32 v11, s8, v11
	;; [unrolled: 1-line block ×3, first 2 shown]
	v_mad_u64_u32 v[6:7], null, v10, s14, v[0:1]
	s_addc_u32 s13, s13, s25
	v_lshlrev_b32_e32 v0, 4, v0
	s_load_b64 s[8:9], s[12:13], 0x0
	s_delay_alu instid0(VALU_DEP_4) | instskip(SKIP_1) | instid1(VALU_DEP_4)
	v_add3_u32 v5, v3, v5, v11
	v_lshlrev_b32_e32 v3, 4, v9
	v_add3_u32 v7, v12, v7, v13
	s_delay_alu instid0(VALU_DEP_2) | instskip(NEXT) | instid1(VALU_DEP_2)
	v_lshl_or_b32 v24, v2, 9, v3
	v_lshlrev_b64 v[2:3], 4, v[6:7]
	v_mov_b32_e32 v6, 0
	v_mov_b32_e32 v7, 0
	v_lshl_or_b32 v8, v8, 7, v0
	v_lshlrev_b64 v[0:1], 4, v[4:5]
	s_delay_alu instid0(VALU_DEP_4) | instskip(NEXT) | instid1(VALU_DEP_4)
	v_mov_b32_e32 v4, v6
	v_dual_mov_b32 v5, v7 :: v_dual_lshlrev_b32 v22, 4, v20
	s_delay_alu instid0(VALU_DEP_4)
	v_add_nc_u32_e32 v25, 0x1000, v8
	v_mov_b32_e32 v11, v7
	v_add_co_u32 v0, vcc_lo, v0, s22
	v_add_co_ci_u32_e32 v1, vcc_lo, s23, v1, vcc_lo
	s_waitcnt lgkmcnt(0)
	v_add_co_u32 v2, vcc_lo, v2, s8
	v_add_co_ci_u32_e32 v3, vcc_lo, s9, v3, vcc_lo
	v_add_co_u32 v0, vcc_lo, v0, 8
	v_add_co_ci_u32_e32 v1, vcc_lo, 0, v1, vcc_lo
	s_delay_alu instid0(VALU_DEP_4)
	v_add_co_u32 v2, vcc_lo, v2, 8
	v_mov_b32_e32 v9, v7
	v_mov_b32_e32 v15, v7
	;; [unrolled: 1-line block ×4, first 2 shown]
	v_dual_mov_b32 v17, v7 :: v_dual_mov_b32 v16, v6
	v_add_co_ci_u32_e32 v3, vcc_lo, 0, v3, vcc_lo
	v_mov_b32_e32 v10, v6
	v_mov_b32_e32 v8, v6
	;; [unrolled: 1-line block ×5, first 2 shown]
	s_mov_b64 s[8:9], 0
.LBB1650_2:                             ; =>This Inner Loop Header: Depth=1
	global_load_b128 v[26:29], v[0:1], off offset:-8
	global_load_b128 v[30:33], v[2:3], off offset:-8
	s_add_u32 s8, s8, 8
	v_add_co_u32 v0, vcc_lo, 0x80, v0
	s_addc_u32 s9, s9, 0
	v_add_co_ci_u32_e32 v1, vcc_lo, 0, v1, vcc_lo
	v_cmp_ge_u64_e64 s12, s[8:9], s[16:17]
	v_add_co_u32 v2, vcc_lo, 0x80, v2
	v_add_co_ci_u32_e32 v3, vcc_lo, 0, v3, vcc_lo
	s_waitcnt vmcnt(1)
	ds_store_b128 v24, v[26:29]
	s_waitcnt vmcnt(0)
	ds_store_b128 v25, v[30:33]
	s_waitcnt lgkmcnt(0)
	s_barrier
	buffer_gl0_inv
	ds_load_b128 v[26:29], v23
	ds_load_b128 v[30:33], v22
	ds_load_b128 v[34:37], v22 offset:256
	ds_load_b128 v[38:41], v23 offset:2048
	;; [unrolled: 1-line block ×13, first 2 shown]
	s_and_b32 vcc_lo, exec_lo, s12
	s_waitcnt lgkmcnt(13)
	v_mul_f64 v[86:87], v[28:29], v[32:33]
	v_mul_f64 v[88:89], v[26:27], v[32:33]
	s_waitcnt lgkmcnt(12)
	v_mul_f64 v[90:91], v[28:29], v[36:37]
	v_mul_f64 v[92:93], v[26:27], v[36:37]
	;; [unrolled: 3-line block ×3, first 2 shown]
	v_mul_f64 v[96:97], v[40:41], v[36:37]
	v_mul_f64 v[36:37], v[38:39], v[36:37]
	s_waitcnt lgkmcnt(8)
	v_mul_f64 v[98:99], v[44:45], v[52:53]
	v_mul_f64 v[100:101], v[42:43], v[52:53]
	s_waitcnt lgkmcnt(7)
	v_mul_f64 v[102:103], v[44:45], v[56:57]
	v_mul_f64 v[104:105], v[42:43], v[56:57]
	;; [unrolled: 1-line block ×6, first 2 shown]
	s_waitcnt lgkmcnt(3)
	v_mul_f64 v[112:113], v[58:59], v[72:73]
	s_waitcnt lgkmcnt(2)
	v_mul_f64 v[114:115], v[76:77], v[68:69]
	v_mul_f64 v[116:117], v[76:77], v[72:73]
	v_fma_f64 v[86:87], v[26:27], v[30:31], -v[86:87]
	v_fma_f64 v[88:89], v[28:29], v[30:31], v[88:89]
	v_fma_f64 v[90:91], v[26:27], v[34:35], -v[90:91]
	v_fma_f64 v[92:93], v[28:29], v[34:35], v[92:93]
	;; [unrolled: 2-line block ×4, first 2 shown]
	v_mul_f64 v[36:37], v[60:61], v[68:69]
	v_mul_f64 v[40:41], v[58:59], v[68:69]
	;; [unrolled: 1-line block ×5, first 2 shown]
	v_fma_f64 v[98:99], v[42:43], v[50:51], -v[98:99]
	v_fma_f64 v[100:101], v[44:45], v[50:51], v[100:101]
	v_fma_f64 v[42:43], v[42:43], v[54:55], -v[102:103]
	v_fma_f64 v[44:45], v[44:45], v[54:55], v[104:105]
	;; [unrolled: 2-line block ×4, first 2 shown]
	ds_load_b128 v[26:29], v22 offset:1792
	ds_load_b128 v[30:33], v22 offset:2048
	s_waitcnt lgkmcnt(2)
	v_mul_f64 v[56:57], v[64:65], v[84:85]
	v_add_f64 v[16:17], v[16:17], v[86:87]
	v_add_f64 v[18:19], v[18:19], v[88:89]
	v_add_f64 v[12:13], v[12:13], v[90:91]
	v_add_f64 v[14:15], v[14:15], v[92:93]
	v_add_f64 v[52:53], v[8:9], v[94:95]
	v_add_f64 v[54:55], v[10:11], v[110:111]
	v_add_f64 v[38:39], v[4:5], v[38:39]
	v_add_f64 v[34:35], v[6:7], v[34:35]
	v_mul_f64 v[86:87], v[62:63], v[84:85]
	s_waitcnt lgkmcnt(1)
	v_mul_f64 v[88:89], v[64:65], v[28:29]
	v_mul_f64 v[90:91], v[62:63], v[28:29]
	;; [unrolled: 1-line block ×6, first 2 shown]
	v_fma_f64 v[104:105], v[58:59], v[66:67], -v[36:37]
	v_fma_f64 v[106:107], v[60:61], v[66:67], v[40:41]
	v_fma_f64 v[58:59], v[58:59], v[70:71], -v[96:97]
	v_fma_f64 v[60:61], v[60:61], v[70:71], v[112:113]
	;; [unrolled: 2-line block ×4, first 2 shown]
	ds_load_b128 v[4:7], v22 offset:2304
	ds_load_b128 v[8:11], v23 offset:64
	v_fma_f64 v[56:57], v[62:63], v[82:83], -v[56:57]
	v_add_f64 v[72:73], v[16:17], v[98:99]
	v_add_f64 v[74:75], v[18:19], v[100:101]
	;; [unrolled: 1-line block ×8, first 2 shown]
	ds_load_b128 v[12:15], v23 offset:2112
	ds_load_b128 v[16:19], v23 offset:80
	;; [unrolled: 1-line block ×4, first 2 shown]
	s_waitcnt lgkmcnt(4)
	v_mul_f64 v[54:55], v[10:11], v[32:33]
	v_mul_f64 v[76:77], v[8:9], v[32:33]
	;; [unrolled: 1-line block ×4, first 2 shown]
	v_fma_f64 v[86:87], v[64:65], v[82:83], v[86:87]
	v_fma_f64 v[62:63], v[62:63], v[26:27], -v[88:89]
	v_fma_f64 v[64:65], v[64:65], v[26:27], v[90:91]
	v_fma_f64 v[88:89], v[78:79], v[82:83], -v[92:93]
	;; [unrolled: 2-line block ×3, first 2 shown]
	v_fma_f64 v[80:81], v[80:81], v[26:27], v[28:29]
	s_waitcnt lgkmcnt(3)
	v_mul_f64 v[102:103], v[14:15], v[32:33]
	v_mul_f64 v[32:33], v[12:13], v[32:33]
	;; [unrolled: 1-line block ×4, first 2 shown]
	s_waitcnt lgkmcnt(0)
	v_mul_f64 v[90:91], v[18:19], v[40:41]
	v_mul_f64 v[92:93], v[16:17], v[40:41]
	v_add_f64 v[72:73], v[72:73], v[104:105]
	v_add_f64 v[74:75], v[74:75], v[106:107]
	;; [unrolled: 1-line block ×8, first 2 shown]
	ds_load_b128 v[26:29], v22 offset:2816
	ds_load_b128 v[42:45], v22 offset:3072
	;; [unrolled: 1-line block ×4, first 2 shown]
	v_mul_f64 v[104:105], v[36:37], v[40:41]
	v_mul_f64 v[40:41], v[34:35], v[40:41]
	v_fma_f64 v[54:55], v[8:9], v[30:31], -v[54:55]
	v_fma_f64 v[76:77], v[10:11], v[30:31], v[76:77]
	v_fma_f64 v[98:99], v[8:9], v[4:5], -v[98:99]
	v_fma_f64 v[100:101], v[10:11], v[4:5], v[100:101]
	s_waitcnt lgkmcnt(3)
	v_mul_f64 v[94:95], v[18:19], v[28:29]
	v_mul_f64 v[96:97], v[16:17], v[28:29]
	;; [unrolled: 1-line block ×4, first 2 shown]
	v_fma_f64 v[102:103], v[12:13], v[30:31], -v[102:103]
	v_fma_f64 v[32:33], v[14:15], v[30:31], v[32:33]
	v_fma_f64 v[108:109], v[12:13], v[4:5], -v[108:109]
	v_fma_f64 v[112:113], v[14:15], v[4:5], v[6:7]
	ds_load_b128 v[4:7], v23 offset:2144
	ds_load_b128 v[8:11], v23 offset:112
	;; [unrolled: 1-line block ×4, first 2 shown]
	v_add_f64 v[56:57], v[72:73], v[56:57]
	v_add_f64 v[72:73], v[74:75], v[86:87]
	;; [unrolled: 1-line block ×8, first 2 shown]
	s_waitcnt lgkmcnt(4)
	v_mul_f64 v[70:71], v[52:53], v[44:45]
	v_mul_f64 v[74:75], v[50:51], v[44:45]
	;; [unrolled: 1-line block ×4, first 2 shown]
	s_waitcnt lgkmcnt(3)
	v_mul_f64 v[82:83], v[6:7], v[44:45]
	v_mul_f64 v[44:45], v[4:5], v[44:45]
	;; [unrolled: 1-line block ×4, first 2 shown]
	v_fma_f64 v[86:87], v[16:17], v[38:39], -v[90:91]
	v_fma_f64 v[88:89], v[18:19], v[38:39], v[92:93]
	v_fma_f64 v[90:91], v[16:17], v[26:27], -v[94:95]
	v_fma_f64 v[92:93], v[18:19], v[26:27], v[96:97]
	;; [unrolled: 2-line block ×4, first 2 shown]
	ds_load_b128 v[16:19], v22 offset:3840
	s_waitcnt lgkmcnt(0)
	s_barrier
	buffer_gl0_inv
	v_add_f64 v[36:37], v[56:57], v[54:55]
	v_add_f64 v[40:41], v[72:73], v[76:77]
	;; [unrolled: 1-line block ×8, first 2 shown]
	v_mul_f64 v[64:65], v[10:11], v[30:31]
	v_mul_f64 v[66:67], v[8:9], v[30:31]
	;; [unrolled: 1-line block ×4, first 2 shown]
	v_fma_f64 v[70:71], v[50:51], v[42:43], -v[70:71]
	v_mul_f64 v[68:69], v[10:11], v[18:19]
	v_mul_f64 v[72:73], v[8:9], v[18:19]
	;; [unrolled: 1-line block ×4, first 2 shown]
	v_fma_f64 v[74:75], v[52:53], v[42:43], v[74:75]
	v_fma_f64 v[50:51], v[50:51], v[46:47], -v[78:79]
	v_fma_f64 v[52:53], v[52:53], v[46:47], v[80:81]
	v_fma_f64 v[78:79], v[4:5], v[42:43], -v[82:83]
	;; [unrolled: 2-line block ×3, first 2 shown]
	v_fma_f64 v[6:7], v[6:7], v[46:47], v[48:49]
	v_add_f64 v[36:37], v[36:37], v[86:87]
	v_add_f64 v[40:41], v[40:41], v[88:89]
	;; [unrolled: 1-line block ×8, first 2 shown]
	v_fma_f64 v[38:39], v[8:9], v[28:29], -v[64:65]
	v_fma_f64 v[54:55], v[10:11], v[28:29], v[66:67]
	v_fma_f64 v[56:57], v[12:13], v[28:29], -v[76:77]
	v_fma_f64 v[28:29], v[14:15], v[28:29], v[30:31]
	;; [unrolled: 2-line block ×4, first 2 shown]
	v_add_f64 v[12:13], v[36:37], v[70:71]
	v_add_f64 v[14:15], v[40:41], v[74:75]
	;; [unrolled: 1-line block ×16, first 2 shown]
	s_cbranch_vccz .LBB1650_2
.LBB1650_3:
	v_add_nc_u32_e32 v21, s27, v21
	s_waitcnt lgkmcnt(0)
	s_load_b32 s8, s[0:1], 0x0
	s_delay_alu instid0(VALU_DEP_1) | instskip(SKIP_2) | instid1(VALU_DEP_3)
	v_ashrrev_i32_e32 v0, 31, v21
	v_mul_lo_u32 v3, v21, s11
	v_mad_u64_u32 v[1:2], null, v21, s10, 0
	v_mul_lo_u32 v0, v0, s10
	s_delay_alu instid0(VALU_DEP_1) | instskip(SKIP_1) | instid1(VALU_DEP_2)
	v_add3_u32 v2, v2, v3, v0
	v_add_nc_u32_e32 v0, s26, v20
	v_lshlrev_b64 v[1:2], 4, v[1:2]
	s_delay_alu instid0(VALU_DEP_2) | instskip(SKIP_2) | instid1(VALU_DEP_3)
	v_cmp_le_i32_e64 s0, v21, v0
	s_waitcnt lgkmcnt(0)
	v_cmp_gt_i32_e32 vcc_lo, s8, v0
	v_add_co_u32 v20, s1, s2, v1
	s_delay_alu instid0(VALU_DEP_1) | instskip(SKIP_1) | instid1(SALU_CYCLE_1)
	v_add_co_ci_u32_e64 v22, s1, s3, v2, s1
	s_and_b32 s0, s0, vcc_lo
	s_and_saveexec_b32 s1, s0
	s_cbranch_execz .LBB1650_5
; %bb.4:
	v_ashrrev_i32_e32 v1, 31, v0
	v_mul_f64 v[27:28], s[20:21], v[18:19]
	v_mul_f64 v[18:19], s[18:19], v[18:19]
	s_delay_alu instid0(VALU_DEP_3) | instskip(NEXT) | instid1(VALU_DEP_1)
	v_lshlrev_b64 v[1:2], 4, v[0:1]
	v_add_co_u32 v1, s0, v20, v1
	s_delay_alu instid0(VALU_DEP_1)
	v_add_co_ci_u32_e64 v2, s0, v22, v2, s0
	global_load_b128 v[23:26], v[1:2], off
	v_fma_f64 v[27:28], s[18:19], v[16:17], -v[27:28]
	v_fma_f64 v[18:19], s[20:21], v[16:17], v[18:19]
	s_waitcnt vmcnt(0)
	v_mul_f64 v[29:30], s[6:7], v[25:26]
	v_mul_f64 v[25:26], s[4:5], v[25:26]
	s_delay_alu instid0(VALU_DEP_2) | instskip(NEXT) | instid1(VALU_DEP_2)
	v_fma_f64 v[16:17], s[4:5], v[23:24], -v[29:30]
	v_fma_f64 v[23:24], s[6:7], v[23:24], v[25:26]
	s_delay_alu instid0(VALU_DEP_2) | instskip(NEXT) | instid1(VALU_DEP_2)
	v_add_f64 v[16:17], v[27:28], v[16:17]
	v_add_f64 v[18:19], v[18:19], v[23:24]
	global_store_b128 v[1:2], v[16:19], off
.LBB1650_5:
	s_or_b32 exec_lo, exec_lo, s1
	v_add_nc_u32_e32 v2, 16, v0
	s_delay_alu instid0(VALU_DEP_1) | instskip(SKIP_1) | instid1(VALU_DEP_1)
	v_cmp_le_i32_e64 s1, v21, v2
	v_cmp_gt_i32_e64 s0, s8, v2
	s_and_b32 s1, s1, s0
	s_delay_alu instid0(SALU_CYCLE_1)
	s_and_saveexec_b32 s8, s1
	s_cbranch_execz .LBB1650_7
; %bb.6:
	v_ashrrev_i32_e32 v3, 31, v2
	v_mul_f64 v[25:26], s[20:21], v[14:15]
	v_mul_f64 v[14:15], s[18:19], v[14:15]
	s_delay_alu instid0(VALU_DEP_3) | instskip(NEXT) | instid1(VALU_DEP_1)
	v_lshlrev_b64 v[16:17], 4, v[2:3]
	v_add_co_u32 v23, s1, v20, v16
	s_delay_alu instid0(VALU_DEP_1)
	v_add_co_ci_u32_e64 v24, s1, v22, v17, s1
	global_load_b128 v[16:19], v[23:24], off
	v_fma_f64 v[25:26], s[18:19], v[12:13], -v[25:26]
	v_fma_f64 v[14:15], s[20:21], v[12:13], v[14:15]
	s_waitcnt vmcnt(0)
	v_mul_f64 v[27:28], s[6:7], v[18:19]
	v_mul_f64 v[18:19], s[4:5], v[18:19]
	s_delay_alu instid0(VALU_DEP_2) | instskip(NEXT) | instid1(VALU_DEP_2)
	v_fma_f64 v[12:13], s[4:5], v[16:17], -v[27:28]
	v_fma_f64 v[16:17], s[6:7], v[16:17], v[18:19]
	s_delay_alu instid0(VALU_DEP_2) | instskip(NEXT) | instid1(VALU_DEP_2)
	v_add_f64 v[12:13], v[25:26], v[12:13]
	v_add_f64 v[14:15], v[14:15], v[16:17]
	global_store_b128 v[23:24], v[12:15], off
.LBB1650_7:
	s_or_b32 exec_lo, exec_lo, s8
	v_add_nc_u32_e32 v3, 16, v21
	s_delay_alu instid0(VALU_DEP_1) | instskip(SKIP_3) | instid1(VALU_DEP_4)
	v_ashrrev_i32_e32 v1, 31, v3
	v_mul_lo_u32 v14, v3, s11
	v_mad_u64_u32 v[12:13], null, v3, s10, 0
	v_cmp_le_i32_e64 s1, v3, v0
	v_mul_lo_u32 v1, v1, s10
	s_delay_alu instid0(VALU_DEP_1) | instskip(NEXT) | instid1(VALU_DEP_1)
	v_add3_u32 v13, v13, v14, v1
	v_lshlrev_b64 v[12:13], 4, v[12:13]
	s_delay_alu instid0(VALU_DEP_1) | instskip(NEXT) | instid1(VALU_DEP_1)
	v_add_co_u32 v12, s2, s2, v12
	v_add_co_ci_u32_e64 v13, s2, s3, v13, s2
	s_and_b32 s2, s1, vcc_lo
	s_delay_alu instid0(SALU_CYCLE_1)
	s_and_saveexec_b32 s1, s2
	s_cbranch_execz .LBB1650_9
; %bb.8:
	v_ashrrev_i32_e32 v1, 31, v0
	v_mul_f64 v[18:19], s[20:21], v[10:11]
	v_mul_f64 v[10:11], s[18:19], v[10:11]
	s_delay_alu instid0(VALU_DEP_3) | instskip(NEXT) | instid1(VALU_DEP_1)
	v_lshlrev_b64 v[0:1], 4, v[0:1]
	v_add_co_u32 v0, vcc_lo, v12, v0
	s_delay_alu instid0(VALU_DEP_2)
	v_add_co_ci_u32_e32 v1, vcc_lo, v13, v1, vcc_lo
	global_load_b128 v[14:17], v[0:1], off
	v_fma_f64 v[18:19], s[18:19], v[8:9], -v[18:19]
	v_fma_f64 v[10:11], s[20:21], v[8:9], v[10:11]
	s_waitcnt vmcnt(0)
	v_mul_f64 v[20:21], s[6:7], v[16:17]
	v_mul_f64 v[16:17], s[4:5], v[16:17]
	s_delay_alu instid0(VALU_DEP_2) | instskip(NEXT) | instid1(VALU_DEP_2)
	v_fma_f64 v[8:9], s[4:5], v[14:15], -v[20:21]
	v_fma_f64 v[14:15], s[6:7], v[14:15], v[16:17]
	s_delay_alu instid0(VALU_DEP_2) | instskip(NEXT) | instid1(VALU_DEP_2)
	v_add_f64 v[8:9], v[18:19], v[8:9]
	v_add_f64 v[10:11], v[10:11], v[14:15]
	global_store_b128 v[0:1], v[8:11], off
.LBB1650_9:
	s_or_b32 exec_lo, exec_lo, s1
	v_cmp_le_i32_e32 vcc_lo, v3, v2
	s_and_b32 s0, vcc_lo, s0
	s_delay_alu instid0(SALU_CYCLE_1)
	s_and_saveexec_b32 s1, s0
	s_cbranch_execz .LBB1650_11
; %bb.10:
	v_ashrrev_i32_e32 v3, 31, v2
	v_mul_f64 v[10:11], s[20:21], v[6:7]
	v_mul_f64 v[6:7], s[18:19], v[6:7]
	s_delay_alu instid0(VALU_DEP_3) | instskip(NEXT) | instid1(VALU_DEP_1)
	v_lshlrev_b64 v[0:1], 4, v[2:3]
	v_add_co_u32 v8, vcc_lo, v12, v0
	s_delay_alu instid0(VALU_DEP_2)
	v_add_co_ci_u32_e32 v9, vcc_lo, v13, v1, vcc_lo
	global_load_b128 v[0:3], v[8:9], off
	v_fma_f64 v[10:11], s[18:19], v[4:5], -v[10:11]
	v_fma_f64 v[4:5], s[20:21], v[4:5], v[6:7]
	s_waitcnt vmcnt(0)
	v_mul_f64 v[12:13], s[6:7], v[2:3]
	v_mul_f64 v[2:3], s[4:5], v[2:3]
	s_delay_alu instid0(VALU_DEP_2) | instskip(NEXT) | instid1(VALU_DEP_2)
	v_fma_f64 v[6:7], s[4:5], v[0:1], -v[12:13]
	v_fma_f64 v[2:3], s[6:7], v[0:1], v[2:3]
	s_delay_alu instid0(VALU_DEP_2) | instskip(NEXT) | instid1(VALU_DEP_2)
	v_add_f64 v[0:1], v[10:11], v[6:7]
	v_add_f64 v[2:3], v[4:5], v[2:3]
	global_store_b128 v[8:9], v[0:3], off
.LBB1650_11:
	s_nop 0
	s_sendmsg sendmsg(MSG_DEALLOC_VGPRS)
	s_endpgm
	.section	.rodata,"a",@progbits
	.p2align	6, 0x0
	.amdhsa_kernel _ZL37rocblas_syrkx_herkx_restricted_kernelIl19rocblas_complex_numIdELi16ELi32ELi8ELb0ELb0ELc67ELc76EKPKS1_KPS1_EviT_T0_PT8_S7_lSA_S7_lS8_PT9_S7_li
		.amdhsa_group_segment_fixed_size 8192
		.amdhsa_private_segment_fixed_size 0
		.amdhsa_kernarg_size 124
		.amdhsa_user_sgpr_count 13
		.amdhsa_user_sgpr_dispatch_ptr 0
		.amdhsa_user_sgpr_queue_ptr 0
		.amdhsa_user_sgpr_kernarg_segment_ptr 1
		.amdhsa_user_sgpr_dispatch_id 0
		.amdhsa_user_sgpr_private_segment_size 0
		.amdhsa_wavefront_size32 1
		.amdhsa_uses_dynamic_stack 0
		.amdhsa_enable_private_segment 0
		.amdhsa_system_sgpr_workgroup_id_x 1
		.amdhsa_system_sgpr_workgroup_id_y 1
		.amdhsa_system_sgpr_workgroup_id_z 1
		.amdhsa_system_sgpr_workgroup_info 0
		.amdhsa_system_vgpr_workitem_id 1
		.amdhsa_next_free_vgpr 118
		.amdhsa_next_free_sgpr 28
		.amdhsa_reserve_vcc 1
		.amdhsa_float_round_mode_32 0
		.amdhsa_float_round_mode_16_64 0
		.amdhsa_float_denorm_mode_32 3
		.amdhsa_float_denorm_mode_16_64 3
		.amdhsa_dx10_clamp 1
		.amdhsa_ieee_mode 1
		.amdhsa_fp16_overflow 0
		.amdhsa_workgroup_processor_mode 1
		.amdhsa_memory_ordered 1
		.amdhsa_forward_progress 0
		.amdhsa_shared_vgpr_count 0
		.amdhsa_exception_fp_ieee_invalid_op 0
		.amdhsa_exception_fp_denorm_src 0
		.amdhsa_exception_fp_ieee_div_zero 0
		.amdhsa_exception_fp_ieee_overflow 0
		.amdhsa_exception_fp_ieee_underflow 0
		.amdhsa_exception_fp_ieee_inexact 0
		.amdhsa_exception_int_div_zero 0
	.end_amdhsa_kernel
	.section	.text._ZL37rocblas_syrkx_herkx_restricted_kernelIl19rocblas_complex_numIdELi16ELi32ELi8ELb0ELb0ELc67ELc76EKPKS1_KPS1_EviT_T0_PT8_S7_lSA_S7_lS8_PT9_S7_li,"axG",@progbits,_ZL37rocblas_syrkx_herkx_restricted_kernelIl19rocblas_complex_numIdELi16ELi32ELi8ELb0ELb0ELc67ELc76EKPKS1_KPS1_EviT_T0_PT8_S7_lSA_S7_lS8_PT9_S7_li,comdat
.Lfunc_end1650:
	.size	_ZL37rocblas_syrkx_herkx_restricted_kernelIl19rocblas_complex_numIdELi16ELi32ELi8ELb0ELb0ELc67ELc76EKPKS1_KPS1_EviT_T0_PT8_S7_lSA_S7_lS8_PT9_S7_li, .Lfunc_end1650-_ZL37rocblas_syrkx_herkx_restricted_kernelIl19rocblas_complex_numIdELi16ELi32ELi8ELb0ELb0ELc67ELc76EKPKS1_KPS1_EviT_T0_PT8_S7_lSA_S7_lS8_PT9_S7_li
                                        ; -- End function
	.section	.AMDGPU.csdata,"",@progbits
; Kernel info:
; codeLenInByte = 3400
; NumSgprs: 30
; NumVgprs: 118
; ScratchSize: 0
; MemoryBound: 0
; FloatMode: 240
; IeeeMode: 1
; LDSByteSize: 8192 bytes/workgroup (compile time only)
; SGPRBlocks: 3
; VGPRBlocks: 14
; NumSGPRsForWavesPerEU: 30
; NumVGPRsForWavesPerEU: 118
; Occupancy: 12
; WaveLimiterHint : 1
; COMPUTE_PGM_RSRC2:SCRATCH_EN: 0
; COMPUTE_PGM_RSRC2:USER_SGPR: 13
; COMPUTE_PGM_RSRC2:TRAP_HANDLER: 0
; COMPUTE_PGM_RSRC2:TGID_X_EN: 1
; COMPUTE_PGM_RSRC2:TGID_Y_EN: 1
; COMPUTE_PGM_RSRC2:TGID_Z_EN: 1
; COMPUTE_PGM_RSRC2:TIDIG_COMP_CNT: 1
	.section	.text._ZL37rocblas_syrkx_herkx_restricted_kernelIl19rocblas_complex_numIdELi16ELi32ELi8ELb0ELb0ELc78ELc76EKPKS1_KPS1_EviT_T0_PT8_S7_lSA_S7_lS8_PT9_S7_li,"axG",@progbits,_ZL37rocblas_syrkx_herkx_restricted_kernelIl19rocblas_complex_numIdELi16ELi32ELi8ELb0ELb0ELc78ELc76EKPKS1_KPS1_EviT_T0_PT8_S7_lSA_S7_lS8_PT9_S7_li,comdat
	.globl	_ZL37rocblas_syrkx_herkx_restricted_kernelIl19rocblas_complex_numIdELi16ELi32ELi8ELb0ELb0ELc78ELc76EKPKS1_KPS1_EviT_T0_PT8_S7_lSA_S7_lS8_PT9_S7_li ; -- Begin function _ZL37rocblas_syrkx_herkx_restricted_kernelIl19rocblas_complex_numIdELi16ELi32ELi8ELb0ELb0ELc78ELc76EKPKS1_KPS1_EviT_T0_PT8_S7_lSA_S7_lS8_PT9_S7_li
	.p2align	8
	.type	_ZL37rocblas_syrkx_herkx_restricted_kernelIl19rocblas_complex_numIdELi16ELi32ELi8ELb0ELb0ELc78ELc76EKPKS1_KPS1_EviT_T0_PT8_S7_lSA_S7_lS8_PT9_S7_li,@function
_ZL37rocblas_syrkx_herkx_restricted_kernelIl19rocblas_complex_numIdELi16ELi32ELi8ELb0ELb0ELc78ELc76EKPKS1_KPS1_EviT_T0_PT8_S7_lSA_S7_lS8_PT9_S7_li: ; @_ZL37rocblas_syrkx_herkx_restricted_kernelIl19rocblas_complex_numIdELi16ELi32ELi8ELb0ELb0ELc78ELc76EKPKS1_KPS1_EviT_T0_PT8_S7_lSA_S7_lS8_PT9_S7_li
; %bb.0:
	s_clause 0x1
	s_load_b256 s[4:11], s[0:1], 0x50
	s_load_b256 s[16:23], s[0:1], 0x8
	s_mov_b32 s2, s15
	s_mov_b32 s3, 0
	v_mov_b32_e32 v16, 0
	s_lshl_b64 s[24:25], s[2:3], 3
	v_dual_mov_b32 v17, 0 :: v_dual_and_b32 v20, 0x3ff, v0
	v_bfe_u32 v21, v0, 10, 10
	s_delay_alu instid0(VALU_DEP_3) | instskip(NEXT) | instid1(VALU_DEP_3)
	v_mov_b32_e32 v12, v16
	v_dual_mov_b32 v14, v16 :: v_dual_mov_b32 v15, v17
	v_dual_mov_b32 v19, v17 :: v_dual_mov_b32 v18, v16
	;; [unrolled: 1-line block ×5, first 2 shown]
	v_mov_b32_e32 v7, v17
	s_waitcnt lgkmcnt(0)
	s_add_u32 s2, s8, s24
	s_addc_u32 s3, s9, s25
	s_load_b64 s[8:9], s[0:1], 0x28
	s_load_b64 s[2:3], s[2:3], 0x0
	v_cmp_lt_i64_e64 s12, s[16:17], 1
	v_dual_mov_b32 v4, v16 :: v_dual_mov_b32 v5, v17
	s_lshl_b32 s26, s13, 5
	s_lshl_b32 s27, s14, 5
	s_delay_alu instid0(VALU_DEP_2)
	s_and_b32 vcc_lo, exec_lo, s12
	s_cbranch_vccnz .LBB1651_3
; %bb.1:
	v_lshl_add_u32 v1, v21, 4, v20
	s_load_b128 s[12:15], s[0:1], 0x38
	v_and_b32_e32 v6, 7, v20
	v_mov_b32_e32 v4, 0
	s_add_u32 s22, s22, s24
	v_dual_mov_b32 v5, 0 :: v_dual_and_b32 v14, 31, v1
	v_lshrrev_b32_e32 v15, 3, v1
	v_lshrrev_b32_e32 v16, 5, v1
	s_addc_u32 s23, s23, s25
	s_delay_alu instid0(VALU_DEP_3) | instskip(NEXT) | instid1(VALU_DEP_3)
	v_dual_mov_b32 v11, v5 :: v_dual_add_nc_u32 v0, s26, v14
	v_add_nc_u32_e32 v2, s27, v15
	s_load_b64 s[22:23], s[22:23], 0x0
	v_mov_b32_e32 v10, v4
	s_delay_alu instid0(VALU_DEP_3)
	v_ashrrev_i32_e32 v1, 31, v0
	v_lshlrev_b32_e32 v22, 4, v20
	v_ashrrev_i32_e32 v3, 31, v2
	v_lshl_add_u32 v23, v21, 7, 0x1000
	v_lshlrev_b32_e32 v17, 4, v14
	s_waitcnt lgkmcnt(0)
	v_mad_u64_u32 v[12:13], null, v16, s8, v[0:1]
	v_mad_u64_u32 v[0:1], null, v6, s14, v[2:3]
	s_add_u32 s12, s12, s24
	s_addc_u32 s13, s13, s25
	v_lshl_or_b32 v24, v16, 9, v17
	s_load_b64 s[12:13], s[12:13], 0x0
	s_delay_alu instid0(VALU_DEP_3) | instskip(NEXT) | instid1(VALU_DEP_1)
	v_mov_b32_e32 v2, v13
	v_mad_u64_u32 v[8:9], null, v16, s9, v[2:3]
	s_lshl_b64 s[8:9], s[8:9], 7
	v_dual_mov_b32 v17, v5 :: v_dual_mov_b32 v16, v4
	s_delay_alu instid0(VALU_DEP_2) | instskip(SKIP_4) | instid1(VALU_DEP_3)
	v_mov_b32_e32 v13, v8
	v_mad_u64_u32 v[2:3], null, v6, s15, v[1:2]
	v_lshlrev_b32_e32 v1, 4, v6
	v_dual_mov_b32 v7, v5 :: v_dual_mov_b32 v6, v4
	v_mov_b32_e32 v9, v5
	v_lshl_or_b32 v18, v15, 7, v1
	v_mov_b32_e32 v1, v2
	v_lshlrev_b64 v[2:3], 4, v[12:13]
	v_dual_mov_b32 v15, v5 :: v_dual_mov_b32 v14, v4
	s_delay_alu instid0(VALU_DEP_4) | instskip(NEXT) | instid1(VALU_DEP_4)
	v_dual_mov_b32 v8, v4 :: v_dual_add_nc_u32 v25, 0x1000, v18
	v_lshlrev_b64 v[0:1], 4, v[0:1]
	s_delay_alu instid0(VALU_DEP_4) | instskip(SKIP_3) | instid1(VALU_DEP_4)
	v_add_co_u32 v2, vcc_lo, v2, s22
	v_add_co_ci_u32_e32 v3, vcc_lo, s23, v3, vcc_lo
	v_mov_b32_e32 v19, v5
	s_waitcnt lgkmcnt(0)
	v_add_co_u32 v12, vcc_lo, v0, s12
	v_add_co_ci_u32_e32 v13, vcc_lo, s13, v1, vcc_lo
	v_add_co_u32 v0, vcc_lo, v2, 8
	v_add_co_ci_u32_e32 v1, vcc_lo, 0, v3, vcc_lo
	s_delay_alu instid0(VALU_DEP_4) | instskip(NEXT) | instid1(VALU_DEP_4)
	v_add_co_u32 v2, vcc_lo, v12, 8
	v_add_co_ci_u32_e32 v3, vcc_lo, 0, v13, vcc_lo
	v_dual_mov_b32 v13, v5 :: v_dual_mov_b32 v12, v4
	v_mov_b32_e32 v18, v4
	s_lshl_b64 s[12:13], s[14:15], 7
	s_mov_b64 s[14:15], 0
.LBB1651_2:                             ; =>This Inner Loop Header: Depth=1
	global_load_b128 v[26:29], v[0:1], off offset:-8
	global_load_b128 v[30:33], v[2:3], off offset:-8
	s_add_u32 s14, s14, 8
	v_add_co_u32 v0, vcc_lo, v0, s8
	s_addc_u32 s15, s15, 0
	v_add_co_ci_u32_e32 v1, vcc_lo, s9, v1, vcc_lo
	v_cmp_ge_u64_e64 s22, s[14:15], s[16:17]
	v_add_co_u32 v2, vcc_lo, v2, s12
	v_add_co_ci_u32_e32 v3, vcc_lo, s13, v3, vcc_lo
	s_waitcnt vmcnt(1)
	ds_store_b128 v24, v[26:29]
	s_waitcnt vmcnt(0)
	ds_store_b128 v25, v[30:33]
	s_waitcnt lgkmcnt(0)
	s_barrier
	buffer_gl0_inv
	ds_load_b128 v[26:29], v23
	ds_load_b128 v[30:33], v22
	ds_load_b128 v[34:37], v22 offset:256
	ds_load_b128 v[38:41], v23 offset:2048
	;; [unrolled: 1-line block ×13, first 2 shown]
	s_and_b32 vcc_lo, exec_lo, s22
	s_waitcnt lgkmcnt(13)
	v_mul_f64 v[86:87], v[28:29], v[32:33]
	v_mul_f64 v[88:89], v[26:27], v[32:33]
	s_waitcnt lgkmcnt(12)
	v_mul_f64 v[90:91], v[28:29], v[36:37]
	v_mul_f64 v[92:93], v[26:27], v[36:37]
	s_waitcnt lgkmcnt(11)
	v_mul_f64 v[94:95], v[40:41], v[32:33]
	v_mul_f64 v[32:33], v[38:39], v[32:33]
	v_mul_f64 v[96:97], v[40:41], v[36:37]
	v_mul_f64 v[36:37], v[38:39], v[36:37]
	s_waitcnt lgkmcnt(8)
	v_mul_f64 v[98:99], v[44:45], v[52:53]
	v_mul_f64 v[100:101], v[42:43], v[52:53]
	s_waitcnt lgkmcnt(7)
	v_mul_f64 v[102:103], v[44:45], v[56:57]
	v_mul_f64 v[104:105], v[42:43], v[56:57]
	;; [unrolled: 1-line block ×6, first 2 shown]
	s_waitcnt lgkmcnt(3)
	v_mul_f64 v[112:113], v[58:59], v[72:73]
	s_waitcnt lgkmcnt(2)
	v_mul_f64 v[114:115], v[76:77], v[68:69]
	v_mul_f64 v[116:117], v[76:77], v[72:73]
	v_fma_f64 v[86:87], v[26:27], v[30:31], -v[86:87]
	v_fma_f64 v[88:89], v[28:29], v[30:31], v[88:89]
	v_fma_f64 v[90:91], v[26:27], v[34:35], -v[90:91]
	v_fma_f64 v[92:93], v[28:29], v[34:35], v[92:93]
	;; [unrolled: 2-line block ×4, first 2 shown]
	v_mul_f64 v[36:37], v[60:61], v[68:69]
	v_mul_f64 v[40:41], v[58:59], v[68:69]
	;; [unrolled: 1-line block ×5, first 2 shown]
	v_fma_f64 v[98:99], v[42:43], v[50:51], -v[98:99]
	v_fma_f64 v[100:101], v[44:45], v[50:51], v[100:101]
	v_fma_f64 v[42:43], v[42:43], v[54:55], -v[102:103]
	v_fma_f64 v[44:45], v[44:45], v[54:55], v[104:105]
	;; [unrolled: 2-line block ×4, first 2 shown]
	ds_load_b128 v[26:29], v22 offset:1792
	ds_load_b128 v[30:33], v22 offset:2048
	s_waitcnt lgkmcnt(2)
	v_mul_f64 v[56:57], v[64:65], v[84:85]
	v_add_f64 v[16:17], v[16:17], v[86:87]
	v_add_f64 v[18:19], v[18:19], v[88:89]
	;; [unrolled: 1-line block ×8, first 2 shown]
	v_mul_f64 v[86:87], v[62:63], v[84:85]
	s_waitcnt lgkmcnt(1)
	v_mul_f64 v[88:89], v[64:65], v[28:29]
	v_mul_f64 v[90:91], v[62:63], v[28:29]
	v_mul_f64 v[92:93], v[80:81], v[84:85]
	v_mul_f64 v[84:85], v[78:79], v[84:85]
	v_mul_f64 v[94:95], v[80:81], v[28:29]
	v_mul_f64 v[28:29], v[78:79], v[28:29]
	v_fma_f64 v[104:105], v[58:59], v[66:67], -v[36:37]
	v_fma_f64 v[106:107], v[60:61], v[66:67], v[40:41]
	v_fma_f64 v[58:59], v[58:59], v[70:71], -v[96:97]
	v_fma_f64 v[60:61], v[60:61], v[70:71], v[112:113]
	;; [unrolled: 2-line block ×4, first 2 shown]
	ds_load_b128 v[4:7], v22 offset:2304
	ds_load_b128 v[8:11], v23 offset:64
	v_fma_f64 v[56:57], v[62:63], v[82:83], -v[56:57]
	v_add_f64 v[72:73], v[16:17], v[98:99]
	v_add_f64 v[74:75], v[18:19], v[100:101]
	;; [unrolled: 1-line block ×8, first 2 shown]
	ds_load_b128 v[12:15], v23 offset:2112
	ds_load_b128 v[16:19], v23 offset:80
	;; [unrolled: 1-line block ×4, first 2 shown]
	s_waitcnt lgkmcnt(4)
	v_mul_f64 v[54:55], v[10:11], v[32:33]
	v_mul_f64 v[76:77], v[8:9], v[32:33]
	;; [unrolled: 1-line block ×4, first 2 shown]
	v_fma_f64 v[86:87], v[64:65], v[82:83], v[86:87]
	v_fma_f64 v[62:63], v[62:63], v[26:27], -v[88:89]
	v_fma_f64 v[64:65], v[64:65], v[26:27], v[90:91]
	v_fma_f64 v[88:89], v[78:79], v[82:83], -v[92:93]
	;; [unrolled: 2-line block ×3, first 2 shown]
	v_fma_f64 v[80:81], v[80:81], v[26:27], v[28:29]
	s_waitcnt lgkmcnt(3)
	v_mul_f64 v[102:103], v[14:15], v[32:33]
	v_mul_f64 v[32:33], v[12:13], v[32:33]
	;; [unrolled: 1-line block ×4, first 2 shown]
	s_waitcnt lgkmcnt(0)
	v_mul_f64 v[90:91], v[18:19], v[40:41]
	v_mul_f64 v[92:93], v[16:17], v[40:41]
	v_add_f64 v[72:73], v[72:73], v[104:105]
	v_add_f64 v[74:75], v[74:75], v[106:107]
	;; [unrolled: 1-line block ×8, first 2 shown]
	ds_load_b128 v[26:29], v22 offset:2816
	ds_load_b128 v[42:45], v22 offset:3072
	;; [unrolled: 1-line block ×4, first 2 shown]
	v_mul_f64 v[104:105], v[36:37], v[40:41]
	v_mul_f64 v[40:41], v[34:35], v[40:41]
	v_fma_f64 v[54:55], v[8:9], v[30:31], -v[54:55]
	v_fma_f64 v[76:77], v[10:11], v[30:31], v[76:77]
	v_fma_f64 v[98:99], v[8:9], v[4:5], -v[98:99]
	v_fma_f64 v[100:101], v[10:11], v[4:5], v[100:101]
	s_waitcnt lgkmcnt(3)
	v_mul_f64 v[94:95], v[18:19], v[28:29]
	v_mul_f64 v[96:97], v[16:17], v[28:29]
	;; [unrolled: 1-line block ×4, first 2 shown]
	v_fma_f64 v[102:103], v[12:13], v[30:31], -v[102:103]
	v_fma_f64 v[32:33], v[14:15], v[30:31], v[32:33]
	v_fma_f64 v[108:109], v[12:13], v[4:5], -v[108:109]
	v_fma_f64 v[112:113], v[14:15], v[4:5], v[6:7]
	ds_load_b128 v[4:7], v23 offset:2144
	ds_load_b128 v[8:11], v23 offset:112
	;; [unrolled: 1-line block ×4, first 2 shown]
	v_add_f64 v[56:57], v[72:73], v[56:57]
	v_add_f64 v[72:73], v[74:75], v[86:87]
	;; [unrolled: 1-line block ×8, first 2 shown]
	s_waitcnt lgkmcnt(4)
	v_mul_f64 v[70:71], v[52:53], v[44:45]
	v_mul_f64 v[74:75], v[50:51], v[44:45]
	;; [unrolled: 1-line block ×4, first 2 shown]
	s_waitcnt lgkmcnt(3)
	v_mul_f64 v[82:83], v[6:7], v[44:45]
	v_mul_f64 v[44:45], v[4:5], v[44:45]
	;; [unrolled: 1-line block ×4, first 2 shown]
	v_fma_f64 v[86:87], v[16:17], v[38:39], -v[90:91]
	v_fma_f64 v[88:89], v[18:19], v[38:39], v[92:93]
	v_fma_f64 v[90:91], v[16:17], v[26:27], -v[94:95]
	v_fma_f64 v[92:93], v[18:19], v[26:27], v[96:97]
	;; [unrolled: 2-line block ×4, first 2 shown]
	ds_load_b128 v[16:19], v22 offset:3840
	s_waitcnt lgkmcnt(0)
	s_barrier
	buffer_gl0_inv
	v_add_f64 v[36:37], v[56:57], v[54:55]
	v_add_f64 v[40:41], v[72:73], v[76:77]
	;; [unrolled: 1-line block ×8, first 2 shown]
	v_mul_f64 v[64:65], v[10:11], v[30:31]
	v_mul_f64 v[66:67], v[8:9], v[30:31]
	;; [unrolled: 1-line block ×4, first 2 shown]
	v_fma_f64 v[70:71], v[50:51], v[42:43], -v[70:71]
	v_mul_f64 v[68:69], v[10:11], v[18:19]
	v_mul_f64 v[72:73], v[8:9], v[18:19]
	;; [unrolled: 1-line block ×4, first 2 shown]
	v_fma_f64 v[74:75], v[52:53], v[42:43], v[74:75]
	v_fma_f64 v[50:51], v[50:51], v[46:47], -v[78:79]
	v_fma_f64 v[52:53], v[52:53], v[46:47], v[80:81]
	v_fma_f64 v[78:79], v[4:5], v[42:43], -v[82:83]
	;; [unrolled: 2-line block ×3, first 2 shown]
	v_fma_f64 v[6:7], v[6:7], v[46:47], v[48:49]
	v_add_f64 v[36:37], v[36:37], v[86:87]
	v_add_f64 v[40:41], v[40:41], v[88:89]
	;; [unrolled: 1-line block ×8, first 2 shown]
	v_fma_f64 v[38:39], v[8:9], v[28:29], -v[64:65]
	v_fma_f64 v[54:55], v[10:11], v[28:29], v[66:67]
	v_fma_f64 v[56:57], v[12:13], v[28:29], -v[76:77]
	v_fma_f64 v[28:29], v[14:15], v[28:29], v[30:31]
	v_fma_f64 v[8:9], v[8:9], v[16:17], -v[68:69]
	v_fma_f64 v[10:11], v[10:11], v[16:17], v[72:73]
	v_fma_f64 v[30:31], v[12:13], v[16:17], -v[96:97]
	v_fma_f64 v[58:59], v[14:15], v[16:17], v[18:19]
	v_add_f64 v[12:13], v[36:37], v[70:71]
	v_add_f64 v[14:15], v[40:41], v[74:75]
	;; [unrolled: 1-line block ×16, first 2 shown]
	s_cbranch_vccz .LBB1651_2
.LBB1651_3:
	v_add_nc_u32_e32 v21, s27, v21
	s_waitcnt lgkmcnt(0)
	s_load_b32 s8, s[0:1], 0x0
	s_delay_alu instid0(VALU_DEP_1) | instskip(SKIP_2) | instid1(VALU_DEP_3)
	v_ashrrev_i32_e32 v0, 31, v21
	v_mul_lo_u32 v3, v21, s11
	v_mad_u64_u32 v[1:2], null, v21, s10, 0
	v_mul_lo_u32 v0, v0, s10
	s_delay_alu instid0(VALU_DEP_1) | instskip(SKIP_1) | instid1(VALU_DEP_2)
	v_add3_u32 v2, v2, v3, v0
	v_add_nc_u32_e32 v0, s26, v20
	v_lshlrev_b64 v[1:2], 4, v[1:2]
	s_delay_alu instid0(VALU_DEP_2) | instskip(SKIP_2) | instid1(VALU_DEP_3)
	v_cmp_le_i32_e64 s0, v21, v0
	s_waitcnt lgkmcnt(0)
	v_cmp_gt_i32_e32 vcc_lo, s8, v0
	v_add_co_u32 v20, s1, s2, v1
	s_delay_alu instid0(VALU_DEP_1) | instskip(SKIP_1) | instid1(SALU_CYCLE_1)
	v_add_co_ci_u32_e64 v22, s1, s3, v2, s1
	s_and_b32 s0, s0, vcc_lo
	s_and_saveexec_b32 s1, s0
	s_cbranch_execz .LBB1651_5
; %bb.4:
	v_ashrrev_i32_e32 v1, 31, v0
	v_mul_f64 v[27:28], s[20:21], v[18:19]
	v_mul_f64 v[18:19], s[18:19], v[18:19]
	s_delay_alu instid0(VALU_DEP_3) | instskip(NEXT) | instid1(VALU_DEP_1)
	v_lshlrev_b64 v[1:2], 4, v[0:1]
	v_add_co_u32 v1, s0, v20, v1
	s_delay_alu instid0(VALU_DEP_1)
	v_add_co_ci_u32_e64 v2, s0, v22, v2, s0
	global_load_b128 v[23:26], v[1:2], off
	v_fma_f64 v[27:28], s[18:19], v[16:17], -v[27:28]
	v_fma_f64 v[18:19], s[20:21], v[16:17], v[18:19]
	s_waitcnt vmcnt(0)
	v_mul_f64 v[29:30], s[6:7], v[25:26]
	v_mul_f64 v[25:26], s[4:5], v[25:26]
	s_delay_alu instid0(VALU_DEP_2) | instskip(NEXT) | instid1(VALU_DEP_2)
	v_fma_f64 v[16:17], s[4:5], v[23:24], -v[29:30]
	v_fma_f64 v[23:24], s[6:7], v[23:24], v[25:26]
	s_delay_alu instid0(VALU_DEP_2) | instskip(NEXT) | instid1(VALU_DEP_2)
	v_add_f64 v[16:17], v[27:28], v[16:17]
	v_add_f64 v[18:19], v[18:19], v[23:24]
	global_store_b128 v[1:2], v[16:19], off
.LBB1651_5:
	s_or_b32 exec_lo, exec_lo, s1
	v_add_nc_u32_e32 v2, 16, v0
	s_delay_alu instid0(VALU_DEP_1) | instskip(SKIP_1) | instid1(VALU_DEP_1)
	v_cmp_le_i32_e64 s1, v21, v2
	v_cmp_gt_i32_e64 s0, s8, v2
	s_and_b32 s1, s1, s0
	s_delay_alu instid0(SALU_CYCLE_1)
	s_and_saveexec_b32 s8, s1
	s_cbranch_execz .LBB1651_7
; %bb.6:
	v_ashrrev_i32_e32 v3, 31, v2
	v_mul_f64 v[25:26], s[20:21], v[14:15]
	v_mul_f64 v[14:15], s[18:19], v[14:15]
	s_delay_alu instid0(VALU_DEP_3) | instskip(NEXT) | instid1(VALU_DEP_1)
	v_lshlrev_b64 v[16:17], 4, v[2:3]
	v_add_co_u32 v23, s1, v20, v16
	s_delay_alu instid0(VALU_DEP_1)
	v_add_co_ci_u32_e64 v24, s1, v22, v17, s1
	global_load_b128 v[16:19], v[23:24], off
	v_fma_f64 v[25:26], s[18:19], v[12:13], -v[25:26]
	v_fma_f64 v[14:15], s[20:21], v[12:13], v[14:15]
	s_waitcnt vmcnt(0)
	v_mul_f64 v[27:28], s[6:7], v[18:19]
	v_mul_f64 v[18:19], s[4:5], v[18:19]
	s_delay_alu instid0(VALU_DEP_2) | instskip(NEXT) | instid1(VALU_DEP_2)
	v_fma_f64 v[12:13], s[4:5], v[16:17], -v[27:28]
	v_fma_f64 v[16:17], s[6:7], v[16:17], v[18:19]
	s_delay_alu instid0(VALU_DEP_2) | instskip(NEXT) | instid1(VALU_DEP_2)
	v_add_f64 v[12:13], v[25:26], v[12:13]
	v_add_f64 v[14:15], v[14:15], v[16:17]
	global_store_b128 v[23:24], v[12:15], off
.LBB1651_7:
	s_or_b32 exec_lo, exec_lo, s8
	v_add_nc_u32_e32 v3, 16, v21
	s_delay_alu instid0(VALU_DEP_1) | instskip(SKIP_3) | instid1(VALU_DEP_4)
	v_ashrrev_i32_e32 v1, 31, v3
	v_mul_lo_u32 v14, v3, s11
	v_mad_u64_u32 v[12:13], null, v3, s10, 0
	v_cmp_le_i32_e64 s1, v3, v0
	v_mul_lo_u32 v1, v1, s10
	s_delay_alu instid0(VALU_DEP_1) | instskip(NEXT) | instid1(VALU_DEP_1)
	v_add3_u32 v13, v13, v14, v1
	v_lshlrev_b64 v[12:13], 4, v[12:13]
	s_delay_alu instid0(VALU_DEP_1) | instskip(NEXT) | instid1(VALU_DEP_1)
	v_add_co_u32 v12, s2, s2, v12
	v_add_co_ci_u32_e64 v13, s2, s3, v13, s2
	s_and_b32 s2, s1, vcc_lo
	s_delay_alu instid0(SALU_CYCLE_1)
	s_and_saveexec_b32 s1, s2
	s_cbranch_execz .LBB1651_9
; %bb.8:
	v_ashrrev_i32_e32 v1, 31, v0
	v_mul_f64 v[18:19], s[20:21], v[10:11]
	v_mul_f64 v[10:11], s[18:19], v[10:11]
	s_delay_alu instid0(VALU_DEP_3) | instskip(NEXT) | instid1(VALU_DEP_1)
	v_lshlrev_b64 v[0:1], 4, v[0:1]
	v_add_co_u32 v0, vcc_lo, v12, v0
	s_delay_alu instid0(VALU_DEP_2)
	v_add_co_ci_u32_e32 v1, vcc_lo, v13, v1, vcc_lo
	global_load_b128 v[14:17], v[0:1], off
	v_fma_f64 v[18:19], s[18:19], v[8:9], -v[18:19]
	v_fma_f64 v[10:11], s[20:21], v[8:9], v[10:11]
	s_waitcnt vmcnt(0)
	v_mul_f64 v[20:21], s[6:7], v[16:17]
	v_mul_f64 v[16:17], s[4:5], v[16:17]
	s_delay_alu instid0(VALU_DEP_2) | instskip(NEXT) | instid1(VALU_DEP_2)
	v_fma_f64 v[8:9], s[4:5], v[14:15], -v[20:21]
	v_fma_f64 v[14:15], s[6:7], v[14:15], v[16:17]
	s_delay_alu instid0(VALU_DEP_2) | instskip(NEXT) | instid1(VALU_DEP_2)
	v_add_f64 v[8:9], v[18:19], v[8:9]
	v_add_f64 v[10:11], v[10:11], v[14:15]
	global_store_b128 v[0:1], v[8:11], off
.LBB1651_9:
	s_or_b32 exec_lo, exec_lo, s1
	v_cmp_le_i32_e32 vcc_lo, v3, v2
	s_and_b32 s0, vcc_lo, s0
	s_delay_alu instid0(SALU_CYCLE_1)
	s_and_saveexec_b32 s1, s0
	s_cbranch_execz .LBB1651_11
; %bb.10:
	v_ashrrev_i32_e32 v3, 31, v2
	v_mul_f64 v[10:11], s[20:21], v[4:5]
	v_mul_f64 v[4:5], s[18:19], v[4:5]
	s_delay_alu instid0(VALU_DEP_3) | instskip(NEXT) | instid1(VALU_DEP_1)
	v_lshlrev_b64 v[0:1], 4, v[2:3]
	v_add_co_u32 v8, vcc_lo, v12, v0
	s_delay_alu instid0(VALU_DEP_2)
	v_add_co_ci_u32_e32 v9, vcc_lo, v13, v1, vcc_lo
	global_load_b128 v[0:3], v[8:9], off
	v_fma_f64 v[10:11], s[18:19], v[6:7], -v[10:11]
	v_fma_f64 v[4:5], s[20:21], v[6:7], v[4:5]
	s_waitcnt vmcnt(0)
	v_mul_f64 v[12:13], s[6:7], v[2:3]
	v_mul_f64 v[2:3], s[4:5], v[2:3]
	s_delay_alu instid0(VALU_DEP_2) | instskip(NEXT) | instid1(VALU_DEP_2)
	v_fma_f64 v[6:7], s[4:5], v[0:1], -v[12:13]
	v_fma_f64 v[2:3], s[6:7], v[0:1], v[2:3]
	s_delay_alu instid0(VALU_DEP_2) | instskip(NEXT) | instid1(VALU_DEP_2)
	v_add_f64 v[0:1], v[10:11], v[6:7]
	v_add_f64 v[2:3], v[4:5], v[2:3]
	global_store_b128 v[8:9], v[0:3], off
.LBB1651_11:
	s_nop 0
	s_sendmsg sendmsg(MSG_DEALLOC_VGPRS)
	s_endpgm
	.section	.rodata,"a",@progbits
	.p2align	6, 0x0
	.amdhsa_kernel _ZL37rocblas_syrkx_herkx_restricted_kernelIl19rocblas_complex_numIdELi16ELi32ELi8ELb0ELb0ELc78ELc76EKPKS1_KPS1_EviT_T0_PT8_S7_lSA_S7_lS8_PT9_S7_li
		.amdhsa_group_segment_fixed_size 8192
		.amdhsa_private_segment_fixed_size 0
		.amdhsa_kernarg_size 124
		.amdhsa_user_sgpr_count 13
		.amdhsa_user_sgpr_dispatch_ptr 0
		.amdhsa_user_sgpr_queue_ptr 0
		.amdhsa_user_sgpr_kernarg_segment_ptr 1
		.amdhsa_user_sgpr_dispatch_id 0
		.amdhsa_user_sgpr_private_segment_size 0
		.amdhsa_wavefront_size32 1
		.amdhsa_uses_dynamic_stack 0
		.amdhsa_enable_private_segment 0
		.amdhsa_system_sgpr_workgroup_id_x 1
		.amdhsa_system_sgpr_workgroup_id_y 1
		.amdhsa_system_sgpr_workgroup_id_z 1
		.amdhsa_system_sgpr_workgroup_info 0
		.amdhsa_system_vgpr_workitem_id 1
		.amdhsa_next_free_vgpr 118
		.amdhsa_next_free_sgpr 28
		.amdhsa_reserve_vcc 1
		.amdhsa_float_round_mode_32 0
		.amdhsa_float_round_mode_16_64 0
		.amdhsa_float_denorm_mode_32 3
		.amdhsa_float_denorm_mode_16_64 3
		.amdhsa_dx10_clamp 1
		.amdhsa_ieee_mode 1
		.amdhsa_fp16_overflow 0
		.amdhsa_workgroup_processor_mode 1
		.amdhsa_memory_ordered 1
		.amdhsa_forward_progress 0
		.amdhsa_shared_vgpr_count 0
		.amdhsa_exception_fp_ieee_invalid_op 0
		.amdhsa_exception_fp_denorm_src 0
		.amdhsa_exception_fp_ieee_div_zero 0
		.amdhsa_exception_fp_ieee_overflow 0
		.amdhsa_exception_fp_ieee_underflow 0
		.amdhsa_exception_fp_ieee_inexact 0
		.amdhsa_exception_int_div_zero 0
	.end_amdhsa_kernel
	.section	.text._ZL37rocblas_syrkx_herkx_restricted_kernelIl19rocblas_complex_numIdELi16ELi32ELi8ELb0ELb0ELc78ELc76EKPKS1_KPS1_EviT_T0_PT8_S7_lSA_S7_lS8_PT9_S7_li,"axG",@progbits,_ZL37rocblas_syrkx_herkx_restricted_kernelIl19rocblas_complex_numIdELi16ELi32ELi8ELb0ELb0ELc78ELc76EKPKS1_KPS1_EviT_T0_PT8_S7_lSA_S7_lS8_PT9_S7_li,comdat
.Lfunc_end1651:
	.size	_ZL37rocblas_syrkx_herkx_restricted_kernelIl19rocblas_complex_numIdELi16ELi32ELi8ELb0ELb0ELc78ELc76EKPKS1_KPS1_EviT_T0_PT8_S7_lSA_S7_lS8_PT9_S7_li, .Lfunc_end1651-_ZL37rocblas_syrkx_herkx_restricted_kernelIl19rocblas_complex_numIdELi16ELi32ELi8ELb0ELb0ELc78ELc76EKPKS1_KPS1_EviT_T0_PT8_S7_lSA_S7_lS8_PT9_S7_li
                                        ; -- End function
	.section	.AMDGPU.csdata,"",@progbits
; Kernel info:
; codeLenInByte = 3368
; NumSgprs: 30
; NumVgprs: 118
; ScratchSize: 0
; MemoryBound: 0
; FloatMode: 240
; IeeeMode: 1
; LDSByteSize: 8192 bytes/workgroup (compile time only)
; SGPRBlocks: 3
; VGPRBlocks: 14
; NumSGPRsForWavesPerEU: 30
; NumVGPRsForWavesPerEU: 118
; Occupancy: 12
; WaveLimiterHint : 1
; COMPUTE_PGM_RSRC2:SCRATCH_EN: 0
; COMPUTE_PGM_RSRC2:USER_SGPR: 13
; COMPUTE_PGM_RSRC2:TRAP_HANDLER: 0
; COMPUTE_PGM_RSRC2:TGID_X_EN: 1
; COMPUTE_PGM_RSRC2:TGID_Y_EN: 1
; COMPUTE_PGM_RSRC2:TGID_Z_EN: 1
; COMPUTE_PGM_RSRC2:TIDIG_COMP_CNT: 1
	.section	.text._ZL37rocblas_syrkx_herkx_restricted_kernelIl19rocblas_complex_numIdELi16ELi32ELi8ELb0ELb0ELc84ELc85EKPKS1_KPS1_EviT_T0_PT8_S7_lSA_S7_lS8_PT9_S7_li,"axG",@progbits,_ZL37rocblas_syrkx_herkx_restricted_kernelIl19rocblas_complex_numIdELi16ELi32ELi8ELb0ELb0ELc84ELc85EKPKS1_KPS1_EviT_T0_PT8_S7_lSA_S7_lS8_PT9_S7_li,comdat
	.globl	_ZL37rocblas_syrkx_herkx_restricted_kernelIl19rocblas_complex_numIdELi16ELi32ELi8ELb0ELb0ELc84ELc85EKPKS1_KPS1_EviT_T0_PT8_S7_lSA_S7_lS8_PT9_S7_li ; -- Begin function _ZL37rocblas_syrkx_herkx_restricted_kernelIl19rocblas_complex_numIdELi16ELi32ELi8ELb0ELb0ELc84ELc85EKPKS1_KPS1_EviT_T0_PT8_S7_lSA_S7_lS8_PT9_S7_li
	.p2align	8
	.type	_ZL37rocblas_syrkx_herkx_restricted_kernelIl19rocblas_complex_numIdELi16ELi32ELi8ELb0ELb0ELc84ELc85EKPKS1_KPS1_EviT_T0_PT8_S7_lSA_S7_lS8_PT9_S7_li,@function
_ZL37rocblas_syrkx_herkx_restricted_kernelIl19rocblas_complex_numIdELi16ELi32ELi8ELb0ELb0ELc84ELc85EKPKS1_KPS1_EviT_T0_PT8_S7_lSA_S7_lS8_PT9_S7_li: ; @_ZL37rocblas_syrkx_herkx_restricted_kernelIl19rocblas_complex_numIdELi16ELi32ELi8ELb0ELb0ELc84ELc85EKPKS1_KPS1_EviT_T0_PT8_S7_lSA_S7_lS8_PT9_S7_li
; %bb.0:
	s_clause 0x1
	s_load_b256 s[4:11], s[0:1], 0x50
	s_load_b256 s[16:23], s[0:1], 0x8
	s_mov_b32 s2, s15
	s_mov_b32 s3, 0
	v_mov_b32_e32 v16, 0
	s_lshl_b64 s[24:25], s[2:3], 3
	v_dual_mov_b32 v17, 0 :: v_dual_and_b32 v20, 0x3ff, v0
	v_bfe_u32 v21, v0, 10, 10
	s_delay_alu instid0(VALU_DEP_3) | instskip(NEXT) | instid1(VALU_DEP_3)
	v_mov_b32_e32 v12, v16
	v_dual_mov_b32 v14, v16 :: v_dual_mov_b32 v15, v17
	v_dual_mov_b32 v19, v17 :: v_dual_mov_b32 v18, v16
	;; [unrolled: 1-line block ×5, first 2 shown]
	v_mov_b32_e32 v5, v17
	s_waitcnt lgkmcnt(0)
	s_add_u32 s2, s8, s24
	s_addc_u32 s3, s9, s25
	s_load_b64 s[8:9], s[0:1], 0x28
	s_load_b64 s[2:3], s[2:3], 0x0
	v_cmp_lt_i64_e64 s12, s[16:17], 1
	v_dual_mov_b32 v6, v16 :: v_dual_mov_b32 v7, v17
	s_lshl_b32 s26, s13, 5
	s_lshl_b32 s27, s14, 5
	s_delay_alu instid0(VALU_DEP_2)
	s_and_b32 vcc_lo, exec_lo, s12
	s_cbranch_vccnz .LBB1652_3
; %bb.1:
	s_load_b128 s[12:15], s[0:1], 0x38
	v_lshl_add_u32 v2, v21, 4, v20
	v_dual_mov_b32 v1, 0 :: v_dual_and_b32 v0, 7, v20
	s_add_u32 s22, s22, s24
	s_addc_u32 s23, s23, s25
	s_delay_alu instid0(VALU_DEP_2) | instskip(SKIP_3) | instid1(VALU_DEP_3)
	v_lshrrev_b32_e32 v8, 3, v2
	v_and_b32_e32 v9, 31, v2
	v_lshrrev_b32_e32 v2, 5, v2
	s_load_b64 s[22:23], s[22:23], 0x0
	v_dual_mov_b32 v3, v1 :: v_dual_add_nc_u32 v10, s27, v8
	s_delay_alu instid0(VALU_DEP_3) | instskip(SKIP_1) | instid1(VALU_DEP_3)
	v_add_nc_u32_e32 v6, s26, v9
	v_lshl_add_u32 v23, v21, 7, 0x1000
	v_ashrrev_i32_e32 v7, 31, v10
	s_delay_alu instid0(VALU_DEP_3)
	v_ashrrev_i32_e32 v11, 31, v6
	s_waitcnt lgkmcnt(0)
	v_mad_u64_u32 v[4:5], null, s8, v6, v[2:3]
	v_mul_lo_u32 v3, s9, v6
	s_add_u32 s12, s12, s24
	v_mul_lo_u32 v12, v7, s14
	v_mul_lo_u32 v11, s8, v11
	;; [unrolled: 1-line block ×3, first 2 shown]
	v_mad_u64_u32 v[6:7], null, v10, s14, v[0:1]
	s_addc_u32 s13, s13, s25
	v_lshlrev_b32_e32 v0, 4, v0
	s_load_b64 s[8:9], s[12:13], 0x0
	s_delay_alu instid0(VALU_DEP_4) | instskip(SKIP_1) | instid1(VALU_DEP_4)
	v_add3_u32 v5, v3, v5, v11
	v_lshlrev_b32_e32 v3, 4, v9
	v_add3_u32 v7, v12, v7, v13
	s_delay_alu instid0(VALU_DEP_2) | instskip(NEXT) | instid1(VALU_DEP_2)
	v_lshl_or_b32 v24, v2, 9, v3
	v_lshlrev_b64 v[2:3], 4, v[6:7]
	v_mov_b32_e32 v6, 0
	v_mov_b32_e32 v7, 0
	v_lshl_or_b32 v8, v8, 7, v0
	v_lshlrev_b64 v[0:1], 4, v[4:5]
	s_delay_alu instid0(VALU_DEP_4) | instskip(NEXT) | instid1(VALU_DEP_4)
	v_mov_b32_e32 v4, v6
	v_dual_mov_b32 v5, v7 :: v_dual_lshlrev_b32 v22, 4, v20
	s_delay_alu instid0(VALU_DEP_4)
	v_add_nc_u32_e32 v25, 0x1000, v8
	v_mov_b32_e32 v11, v7
	v_add_co_u32 v0, vcc_lo, v0, s22
	v_add_co_ci_u32_e32 v1, vcc_lo, s23, v1, vcc_lo
	s_waitcnt lgkmcnt(0)
	v_add_co_u32 v2, vcc_lo, v2, s8
	v_add_co_ci_u32_e32 v3, vcc_lo, s9, v3, vcc_lo
	v_add_co_u32 v0, vcc_lo, v0, 8
	v_add_co_ci_u32_e32 v1, vcc_lo, 0, v1, vcc_lo
	s_delay_alu instid0(VALU_DEP_4)
	v_add_co_u32 v2, vcc_lo, v2, 8
	v_mov_b32_e32 v9, v7
	v_mov_b32_e32 v15, v7
	;; [unrolled: 1-line block ×4, first 2 shown]
	v_dual_mov_b32 v17, v7 :: v_dual_mov_b32 v16, v6
	v_add_co_ci_u32_e32 v3, vcc_lo, 0, v3, vcc_lo
	v_mov_b32_e32 v10, v6
	v_mov_b32_e32 v8, v6
	;; [unrolled: 1-line block ×5, first 2 shown]
	s_mov_b64 s[8:9], 0
.LBB1652_2:                             ; =>This Inner Loop Header: Depth=1
	global_load_b128 v[26:29], v[0:1], off offset:-8
	global_load_b128 v[30:33], v[2:3], off offset:-8
	s_add_u32 s8, s8, 8
	v_add_co_u32 v0, vcc_lo, 0x80, v0
	s_addc_u32 s9, s9, 0
	v_add_co_ci_u32_e32 v1, vcc_lo, 0, v1, vcc_lo
	v_cmp_ge_u64_e64 s12, s[8:9], s[16:17]
	v_add_co_u32 v2, vcc_lo, 0x80, v2
	v_add_co_ci_u32_e32 v3, vcc_lo, 0, v3, vcc_lo
	s_waitcnt vmcnt(1)
	ds_store_b128 v24, v[26:29]
	s_waitcnt vmcnt(0)
	ds_store_b128 v25, v[30:33]
	s_waitcnt lgkmcnt(0)
	s_barrier
	buffer_gl0_inv
	ds_load_b128 v[26:29], v23
	ds_load_b128 v[30:33], v22
	ds_load_b128 v[34:37], v22 offset:256
	ds_load_b128 v[38:41], v23 offset:2048
	;; [unrolled: 1-line block ×13, first 2 shown]
	s_and_b32 vcc_lo, exec_lo, s12
	s_waitcnt lgkmcnt(13)
	v_mul_f64 v[86:87], v[28:29], v[32:33]
	v_mul_f64 v[88:89], v[26:27], v[32:33]
	s_waitcnt lgkmcnt(12)
	v_mul_f64 v[90:91], v[28:29], v[36:37]
	v_mul_f64 v[92:93], v[26:27], v[36:37]
	;; [unrolled: 3-line block ×3, first 2 shown]
	v_mul_f64 v[96:97], v[40:41], v[36:37]
	v_mul_f64 v[36:37], v[38:39], v[36:37]
	s_waitcnt lgkmcnt(8)
	v_mul_f64 v[98:99], v[44:45], v[52:53]
	v_mul_f64 v[100:101], v[42:43], v[52:53]
	s_waitcnt lgkmcnt(7)
	v_mul_f64 v[102:103], v[44:45], v[56:57]
	v_mul_f64 v[104:105], v[42:43], v[56:57]
	;; [unrolled: 1-line block ×6, first 2 shown]
	s_waitcnt lgkmcnt(3)
	v_mul_f64 v[112:113], v[58:59], v[72:73]
	s_waitcnt lgkmcnt(2)
	v_mul_f64 v[114:115], v[76:77], v[68:69]
	v_mul_f64 v[116:117], v[76:77], v[72:73]
	v_fma_f64 v[86:87], v[26:27], v[30:31], -v[86:87]
	v_fma_f64 v[88:89], v[28:29], v[30:31], v[88:89]
	v_fma_f64 v[90:91], v[26:27], v[34:35], -v[90:91]
	v_fma_f64 v[92:93], v[28:29], v[34:35], v[92:93]
	;; [unrolled: 2-line block ×4, first 2 shown]
	v_mul_f64 v[36:37], v[60:61], v[68:69]
	v_mul_f64 v[40:41], v[58:59], v[68:69]
	;; [unrolled: 1-line block ×5, first 2 shown]
	v_fma_f64 v[98:99], v[42:43], v[50:51], -v[98:99]
	v_fma_f64 v[100:101], v[44:45], v[50:51], v[100:101]
	v_fma_f64 v[42:43], v[42:43], v[54:55], -v[102:103]
	v_fma_f64 v[44:45], v[44:45], v[54:55], v[104:105]
	;; [unrolled: 2-line block ×4, first 2 shown]
	ds_load_b128 v[26:29], v22 offset:1792
	ds_load_b128 v[30:33], v22 offset:2048
	s_waitcnt lgkmcnt(2)
	v_mul_f64 v[56:57], v[64:65], v[84:85]
	v_add_f64 v[16:17], v[16:17], v[86:87]
	v_add_f64 v[18:19], v[18:19], v[88:89]
	;; [unrolled: 1-line block ×8, first 2 shown]
	v_mul_f64 v[86:87], v[62:63], v[84:85]
	s_waitcnt lgkmcnt(1)
	v_mul_f64 v[88:89], v[64:65], v[28:29]
	v_mul_f64 v[90:91], v[62:63], v[28:29]
	;; [unrolled: 1-line block ×6, first 2 shown]
	v_fma_f64 v[104:105], v[58:59], v[66:67], -v[36:37]
	v_fma_f64 v[106:107], v[60:61], v[66:67], v[40:41]
	v_fma_f64 v[58:59], v[58:59], v[70:71], -v[96:97]
	v_fma_f64 v[60:61], v[60:61], v[70:71], v[112:113]
	;; [unrolled: 2-line block ×4, first 2 shown]
	ds_load_b128 v[4:7], v22 offset:2304
	ds_load_b128 v[8:11], v23 offset:64
	v_fma_f64 v[56:57], v[62:63], v[82:83], -v[56:57]
	v_add_f64 v[72:73], v[16:17], v[98:99]
	v_add_f64 v[74:75], v[18:19], v[100:101]
	;; [unrolled: 1-line block ×8, first 2 shown]
	ds_load_b128 v[12:15], v23 offset:2112
	ds_load_b128 v[16:19], v23 offset:80
	;; [unrolled: 1-line block ×4, first 2 shown]
	s_waitcnt lgkmcnt(4)
	v_mul_f64 v[54:55], v[10:11], v[32:33]
	v_mul_f64 v[76:77], v[8:9], v[32:33]
	;; [unrolled: 1-line block ×4, first 2 shown]
	v_fma_f64 v[86:87], v[64:65], v[82:83], v[86:87]
	v_fma_f64 v[62:63], v[62:63], v[26:27], -v[88:89]
	v_fma_f64 v[64:65], v[64:65], v[26:27], v[90:91]
	v_fma_f64 v[88:89], v[78:79], v[82:83], -v[92:93]
	v_fma_f64 v[82:83], v[80:81], v[82:83], v[84:85]
	v_fma_f64 v[78:79], v[78:79], v[26:27], -v[94:95]
	v_fma_f64 v[80:81], v[80:81], v[26:27], v[28:29]
	s_waitcnt lgkmcnt(3)
	v_mul_f64 v[102:103], v[14:15], v[32:33]
	v_mul_f64 v[32:33], v[12:13], v[32:33]
	;; [unrolled: 1-line block ×4, first 2 shown]
	s_waitcnt lgkmcnt(0)
	v_mul_f64 v[90:91], v[18:19], v[40:41]
	v_mul_f64 v[92:93], v[16:17], v[40:41]
	v_add_f64 v[72:73], v[72:73], v[104:105]
	v_add_f64 v[74:75], v[74:75], v[106:107]
	v_add_f64 v[58:59], v[42:43], v[58:59]
	v_add_f64 v[60:61], v[44:45], v[60:61]
	v_add_f64 v[84:85], v[52:53], v[96:97]
	v_add_f64 v[66:67], v[50:51], v[66:67]
	v_add_f64 v[68:69], v[46:47], v[68:69]
	v_add_f64 v[70:71], v[48:49], v[70:71]
	ds_load_b128 v[26:29], v22 offset:2816
	ds_load_b128 v[42:45], v22 offset:3072
	ds_load_b128 v[46:49], v22 offset:3328
	ds_load_b128 v[50:53], v23 offset:96
	v_mul_f64 v[104:105], v[36:37], v[40:41]
	v_mul_f64 v[40:41], v[34:35], v[40:41]
	v_fma_f64 v[54:55], v[8:9], v[30:31], -v[54:55]
	v_fma_f64 v[76:77], v[10:11], v[30:31], v[76:77]
	v_fma_f64 v[98:99], v[8:9], v[4:5], -v[98:99]
	v_fma_f64 v[100:101], v[10:11], v[4:5], v[100:101]
	s_waitcnt lgkmcnt(3)
	v_mul_f64 v[94:95], v[18:19], v[28:29]
	v_mul_f64 v[96:97], v[16:17], v[28:29]
	;; [unrolled: 1-line block ×4, first 2 shown]
	v_fma_f64 v[102:103], v[12:13], v[30:31], -v[102:103]
	v_fma_f64 v[32:33], v[14:15], v[30:31], v[32:33]
	v_fma_f64 v[108:109], v[12:13], v[4:5], -v[108:109]
	v_fma_f64 v[112:113], v[14:15], v[4:5], v[6:7]
	ds_load_b128 v[4:7], v23 offset:2144
	ds_load_b128 v[8:11], v23 offset:112
	;; [unrolled: 1-line block ×4, first 2 shown]
	v_add_f64 v[56:57], v[72:73], v[56:57]
	v_add_f64 v[72:73], v[74:75], v[86:87]
	v_add_f64 v[58:59], v[58:59], v[62:63]
	v_add_f64 v[60:61], v[60:61], v[64:65]
	v_add_f64 v[62:63], v[84:85], v[88:89]
	v_add_f64 v[64:65], v[66:67], v[82:83]
	v_add_f64 v[66:67], v[68:69], v[78:79]
	v_add_f64 v[68:69], v[70:71], v[80:81]
	s_waitcnt lgkmcnt(4)
	v_mul_f64 v[70:71], v[52:53], v[44:45]
	v_mul_f64 v[74:75], v[50:51], v[44:45]
	;; [unrolled: 1-line block ×4, first 2 shown]
	s_waitcnt lgkmcnt(3)
	v_mul_f64 v[82:83], v[6:7], v[44:45]
	v_mul_f64 v[44:45], v[4:5], v[44:45]
	;; [unrolled: 1-line block ×4, first 2 shown]
	v_fma_f64 v[86:87], v[16:17], v[38:39], -v[90:91]
	v_fma_f64 v[88:89], v[18:19], v[38:39], v[92:93]
	v_fma_f64 v[90:91], v[16:17], v[26:27], -v[94:95]
	v_fma_f64 v[92:93], v[18:19], v[26:27], v[96:97]
	;; [unrolled: 2-line block ×4, first 2 shown]
	ds_load_b128 v[16:19], v22 offset:3840
	s_waitcnt lgkmcnt(0)
	s_barrier
	buffer_gl0_inv
	v_add_f64 v[36:37], v[56:57], v[54:55]
	v_add_f64 v[40:41], v[72:73], v[76:77]
	;; [unrolled: 1-line block ×8, first 2 shown]
	v_mul_f64 v[64:65], v[10:11], v[30:31]
	v_mul_f64 v[66:67], v[8:9], v[30:31]
	;; [unrolled: 1-line block ×4, first 2 shown]
	v_fma_f64 v[70:71], v[50:51], v[42:43], -v[70:71]
	v_mul_f64 v[68:69], v[10:11], v[18:19]
	v_mul_f64 v[72:73], v[8:9], v[18:19]
	;; [unrolled: 1-line block ×4, first 2 shown]
	v_fma_f64 v[74:75], v[52:53], v[42:43], v[74:75]
	v_fma_f64 v[50:51], v[50:51], v[46:47], -v[78:79]
	v_fma_f64 v[52:53], v[52:53], v[46:47], v[80:81]
	v_fma_f64 v[78:79], v[4:5], v[42:43], -v[82:83]
	;; [unrolled: 2-line block ×3, first 2 shown]
	v_fma_f64 v[6:7], v[6:7], v[46:47], v[48:49]
	v_add_f64 v[36:37], v[36:37], v[86:87]
	v_add_f64 v[40:41], v[40:41], v[88:89]
	v_add_f64 v[44:45], v[54:55], v[90:91]
	v_add_f64 v[46:47], v[56:57], v[92:93]
	v_add_f64 v[48:49], v[58:59], v[94:95]
	v_add_f64 v[32:33], v[32:33], v[38:39]
	v_add_f64 v[34:35], v[60:61], v[34:35]
	v_add_f64 v[26:27], v[62:63], v[26:27]
	v_fma_f64 v[38:39], v[8:9], v[28:29], -v[64:65]
	v_fma_f64 v[54:55], v[10:11], v[28:29], v[66:67]
	v_fma_f64 v[56:57], v[12:13], v[28:29], -v[76:77]
	v_fma_f64 v[28:29], v[14:15], v[28:29], v[30:31]
	;; [unrolled: 2-line block ×4, first 2 shown]
	v_add_f64 v[12:13], v[36:37], v[70:71]
	v_add_f64 v[14:15], v[40:41], v[74:75]
	v_add_f64 v[36:37], v[44:45], v[50:51]
	v_add_f64 v[40:41], v[46:47], v[52:53]
	v_add_f64 v[44:45], v[48:49], v[78:79]
	v_add_f64 v[32:33], v[32:33], v[42:43]
	v_add_f64 v[4:5], v[34:35], v[4:5]
	v_add_f64 v[6:7], v[26:27], v[6:7]
	v_add_f64 v[16:17], v[12:13], v[38:39]
	v_add_f64 v[18:19], v[14:15], v[54:55]
	v_add_f64 v[12:13], v[36:37], v[8:9]
	v_add_f64 v[14:15], v[40:41], v[10:11]
	v_add_f64 v[8:9], v[44:45], v[56:57]
	v_add_f64 v[10:11], v[32:33], v[28:29]
	v_add_f64 v[4:5], v[4:5], v[30:31]
	v_add_f64 v[6:7], v[6:7], v[58:59]
	s_cbranch_vccz .LBB1652_2
.LBB1652_3:
	v_add_nc_u32_e32 v21, s27, v21
	s_waitcnt lgkmcnt(0)
	s_load_b32 s8, s[0:1], 0x0
	s_delay_alu instid0(VALU_DEP_1) | instskip(SKIP_2) | instid1(VALU_DEP_3)
	v_ashrrev_i32_e32 v0, 31, v21
	v_mul_lo_u32 v3, v21, s11
	v_mad_u64_u32 v[1:2], null, v21, s10, 0
	v_mul_lo_u32 v0, v0, s10
	s_delay_alu instid0(VALU_DEP_1) | instskip(SKIP_3) | instid1(VALU_DEP_3)
	v_add3_u32 v2, v2, v3, v0
	v_add_nc_u32_e32 v0, s26, v20
	s_waitcnt lgkmcnt(0)
	v_cmp_gt_i32_e32 vcc_lo, s8, v21
	v_lshlrev_b64 v[1:2], 4, v[1:2]
	s_delay_alu instid0(VALU_DEP_3) | instskip(NEXT) | instid1(VALU_DEP_1)
	v_cmp_le_i32_e64 s0, v0, v21
	s_and_b32 s0, vcc_lo, s0
	s_delay_alu instid0(VALU_DEP_2) | instskip(NEXT) | instid1(VALU_DEP_1)
	v_add_co_u32 v20, s1, s2, v1
	v_add_co_ci_u32_e64 v22, s1, s3, v2, s1
	s_and_saveexec_b32 s1, s0
	s_cbranch_execz .LBB1652_5
; %bb.4:
	v_ashrrev_i32_e32 v1, 31, v0
	v_mul_f64 v[27:28], s[20:21], v[18:19]
	v_mul_f64 v[18:19], s[18:19], v[18:19]
	s_delay_alu instid0(VALU_DEP_3) | instskip(NEXT) | instid1(VALU_DEP_1)
	v_lshlrev_b64 v[1:2], 4, v[0:1]
	v_add_co_u32 v1, s0, v20, v1
	s_delay_alu instid0(VALU_DEP_1)
	v_add_co_ci_u32_e64 v2, s0, v22, v2, s0
	global_load_b128 v[23:26], v[1:2], off
	v_fma_f64 v[27:28], s[18:19], v[16:17], -v[27:28]
	v_fma_f64 v[18:19], s[20:21], v[16:17], v[18:19]
	s_waitcnt vmcnt(0)
	v_mul_f64 v[29:30], s[6:7], v[25:26]
	v_mul_f64 v[25:26], s[4:5], v[25:26]
	s_delay_alu instid0(VALU_DEP_2) | instskip(NEXT) | instid1(VALU_DEP_2)
	v_fma_f64 v[16:17], s[4:5], v[23:24], -v[29:30]
	v_fma_f64 v[23:24], s[6:7], v[23:24], v[25:26]
	s_delay_alu instid0(VALU_DEP_2) | instskip(NEXT) | instid1(VALU_DEP_2)
	v_add_f64 v[16:17], v[27:28], v[16:17]
	v_add_f64 v[18:19], v[18:19], v[23:24]
	global_store_b128 v[1:2], v[16:19], off
.LBB1652_5:
	s_or_b32 exec_lo, exec_lo, s1
	v_add_nc_u32_e32 v2, 16, v0
	s_delay_alu instid0(VALU_DEP_1) | instskip(NEXT) | instid1(VALU_DEP_1)
	v_cmp_le_i32_e64 s0, v2, v21
	s_and_b32 s1, vcc_lo, s0
	s_delay_alu instid0(SALU_CYCLE_1)
	s_and_saveexec_b32 s0, s1
	s_cbranch_execz .LBB1652_7
; %bb.6:
	v_ashrrev_i32_e32 v3, 31, v2
	v_mul_f64 v[25:26], s[20:21], v[14:15]
	v_mul_f64 v[14:15], s[18:19], v[14:15]
	s_delay_alu instid0(VALU_DEP_3) | instskip(NEXT) | instid1(VALU_DEP_1)
	v_lshlrev_b64 v[16:17], 4, v[2:3]
	v_add_co_u32 v23, vcc_lo, v20, v16
	s_delay_alu instid0(VALU_DEP_2)
	v_add_co_ci_u32_e32 v24, vcc_lo, v22, v17, vcc_lo
	global_load_b128 v[16:19], v[23:24], off
	v_fma_f64 v[25:26], s[18:19], v[12:13], -v[25:26]
	v_fma_f64 v[14:15], s[20:21], v[12:13], v[14:15]
	s_waitcnt vmcnt(0)
	v_mul_f64 v[27:28], s[6:7], v[18:19]
	v_mul_f64 v[18:19], s[4:5], v[18:19]
	s_delay_alu instid0(VALU_DEP_2) | instskip(NEXT) | instid1(VALU_DEP_2)
	v_fma_f64 v[12:13], s[4:5], v[16:17], -v[27:28]
	v_fma_f64 v[16:17], s[6:7], v[16:17], v[18:19]
	s_delay_alu instid0(VALU_DEP_2) | instskip(NEXT) | instid1(VALU_DEP_2)
	v_add_f64 v[12:13], v[25:26], v[12:13]
	v_add_f64 v[14:15], v[14:15], v[16:17]
	global_store_b128 v[23:24], v[12:15], off
.LBB1652_7:
	s_or_b32 exec_lo, exec_lo, s0
	v_add_nc_u32_e32 v3, 16, v21
	s_delay_alu instid0(VALU_DEP_1) | instskip(SKIP_3) | instid1(VALU_DEP_4)
	v_ashrrev_i32_e32 v1, 31, v3
	v_mul_lo_u32 v14, v3, s11
	v_mad_u64_u32 v[12:13], null, v3, s10, 0
	v_cmp_gt_i32_e32 vcc_lo, s8, v3
	v_mul_lo_u32 v1, v1, s10
	v_cmp_le_i32_e64 s0, v0, v3
	s_delay_alu instid0(VALU_DEP_1) | instskip(NEXT) | instid1(VALU_DEP_2)
	s_and_b32 s0, vcc_lo, s0
	v_add3_u32 v13, v13, v14, v1
	s_delay_alu instid0(VALU_DEP_1) | instskip(NEXT) | instid1(VALU_DEP_1)
	v_lshlrev_b64 v[12:13], 4, v[12:13]
	v_add_co_u32 v12, s1, s2, v12
	s_delay_alu instid0(VALU_DEP_1)
	v_add_co_ci_u32_e64 v13, s1, s3, v13, s1
	s_and_saveexec_b32 s1, s0
	s_cbranch_execz .LBB1652_9
; %bb.8:
	v_ashrrev_i32_e32 v1, 31, v0
	v_mul_f64 v[18:19], s[20:21], v[10:11]
	v_mul_f64 v[10:11], s[18:19], v[10:11]
	s_delay_alu instid0(VALU_DEP_3) | instskip(NEXT) | instid1(VALU_DEP_1)
	v_lshlrev_b64 v[0:1], 4, v[0:1]
	v_add_co_u32 v0, s0, v12, v0
	s_delay_alu instid0(VALU_DEP_1)
	v_add_co_ci_u32_e64 v1, s0, v13, v1, s0
	global_load_b128 v[14:17], v[0:1], off
	v_fma_f64 v[18:19], s[18:19], v[8:9], -v[18:19]
	v_fma_f64 v[10:11], s[20:21], v[8:9], v[10:11]
	s_waitcnt vmcnt(0)
	v_mul_f64 v[20:21], s[6:7], v[16:17]
	v_mul_f64 v[16:17], s[4:5], v[16:17]
	s_delay_alu instid0(VALU_DEP_2) | instskip(NEXT) | instid1(VALU_DEP_2)
	v_fma_f64 v[8:9], s[4:5], v[14:15], -v[20:21]
	v_fma_f64 v[14:15], s[6:7], v[14:15], v[16:17]
	s_delay_alu instid0(VALU_DEP_2) | instskip(NEXT) | instid1(VALU_DEP_2)
	v_add_f64 v[8:9], v[18:19], v[8:9]
	v_add_f64 v[10:11], v[10:11], v[14:15]
	global_store_b128 v[0:1], v[8:11], off
.LBB1652_9:
	s_or_b32 exec_lo, exec_lo, s1
	v_cmp_le_i32_e64 s0, v2, v3
	s_delay_alu instid0(VALU_DEP_1) | instskip(NEXT) | instid1(SALU_CYCLE_1)
	s_and_b32 s0, vcc_lo, s0
	s_and_saveexec_b32 s1, s0
	s_cbranch_execz .LBB1652_11
; %bb.10:
	v_ashrrev_i32_e32 v3, 31, v2
	v_mul_f64 v[10:11], s[20:21], v[6:7]
	v_mul_f64 v[6:7], s[18:19], v[6:7]
	s_delay_alu instid0(VALU_DEP_3) | instskip(NEXT) | instid1(VALU_DEP_1)
	v_lshlrev_b64 v[0:1], 4, v[2:3]
	v_add_co_u32 v8, vcc_lo, v12, v0
	s_delay_alu instid0(VALU_DEP_2)
	v_add_co_ci_u32_e32 v9, vcc_lo, v13, v1, vcc_lo
	global_load_b128 v[0:3], v[8:9], off
	v_fma_f64 v[10:11], s[18:19], v[4:5], -v[10:11]
	v_fma_f64 v[4:5], s[20:21], v[4:5], v[6:7]
	s_waitcnt vmcnt(0)
	v_mul_f64 v[12:13], s[6:7], v[2:3]
	v_mul_f64 v[2:3], s[4:5], v[2:3]
	s_delay_alu instid0(VALU_DEP_2) | instskip(NEXT) | instid1(VALU_DEP_2)
	v_fma_f64 v[6:7], s[4:5], v[0:1], -v[12:13]
	v_fma_f64 v[2:3], s[6:7], v[0:1], v[2:3]
	s_delay_alu instid0(VALU_DEP_2) | instskip(NEXT) | instid1(VALU_DEP_2)
	v_add_f64 v[0:1], v[10:11], v[6:7]
	v_add_f64 v[2:3], v[4:5], v[2:3]
	global_store_b128 v[8:9], v[0:3], off
.LBB1652_11:
	s_nop 0
	s_sendmsg sendmsg(MSG_DEALLOC_VGPRS)
	s_endpgm
	.section	.rodata,"a",@progbits
	.p2align	6, 0x0
	.amdhsa_kernel _ZL37rocblas_syrkx_herkx_restricted_kernelIl19rocblas_complex_numIdELi16ELi32ELi8ELb0ELb0ELc84ELc85EKPKS1_KPS1_EviT_T0_PT8_S7_lSA_S7_lS8_PT9_S7_li
		.amdhsa_group_segment_fixed_size 8192
		.amdhsa_private_segment_fixed_size 0
		.amdhsa_kernarg_size 124
		.amdhsa_user_sgpr_count 13
		.amdhsa_user_sgpr_dispatch_ptr 0
		.amdhsa_user_sgpr_queue_ptr 0
		.amdhsa_user_sgpr_kernarg_segment_ptr 1
		.amdhsa_user_sgpr_dispatch_id 0
		.amdhsa_user_sgpr_private_segment_size 0
		.amdhsa_wavefront_size32 1
		.amdhsa_uses_dynamic_stack 0
		.amdhsa_enable_private_segment 0
		.amdhsa_system_sgpr_workgroup_id_x 1
		.amdhsa_system_sgpr_workgroup_id_y 1
		.amdhsa_system_sgpr_workgroup_id_z 1
		.amdhsa_system_sgpr_workgroup_info 0
		.amdhsa_system_vgpr_workitem_id 1
		.amdhsa_next_free_vgpr 118
		.amdhsa_next_free_sgpr 28
		.amdhsa_reserve_vcc 1
		.amdhsa_float_round_mode_32 0
		.amdhsa_float_round_mode_16_64 0
		.amdhsa_float_denorm_mode_32 3
		.amdhsa_float_denorm_mode_16_64 3
		.amdhsa_dx10_clamp 1
		.amdhsa_ieee_mode 1
		.amdhsa_fp16_overflow 0
		.amdhsa_workgroup_processor_mode 1
		.amdhsa_memory_ordered 1
		.amdhsa_forward_progress 0
		.amdhsa_shared_vgpr_count 0
		.amdhsa_exception_fp_ieee_invalid_op 0
		.amdhsa_exception_fp_denorm_src 0
		.amdhsa_exception_fp_ieee_div_zero 0
		.amdhsa_exception_fp_ieee_overflow 0
		.amdhsa_exception_fp_ieee_underflow 0
		.amdhsa_exception_fp_ieee_inexact 0
		.amdhsa_exception_int_div_zero 0
	.end_amdhsa_kernel
	.section	.text._ZL37rocblas_syrkx_herkx_restricted_kernelIl19rocblas_complex_numIdELi16ELi32ELi8ELb0ELb0ELc84ELc85EKPKS1_KPS1_EviT_T0_PT8_S7_lSA_S7_lS8_PT9_S7_li,"axG",@progbits,_ZL37rocblas_syrkx_herkx_restricted_kernelIl19rocblas_complex_numIdELi16ELi32ELi8ELb0ELb0ELc84ELc85EKPKS1_KPS1_EviT_T0_PT8_S7_lSA_S7_lS8_PT9_S7_li,comdat
.Lfunc_end1652:
	.size	_ZL37rocblas_syrkx_herkx_restricted_kernelIl19rocblas_complex_numIdELi16ELi32ELi8ELb0ELb0ELc84ELc85EKPKS1_KPS1_EviT_T0_PT8_S7_lSA_S7_lS8_PT9_S7_li, .Lfunc_end1652-_ZL37rocblas_syrkx_herkx_restricted_kernelIl19rocblas_complex_numIdELi16ELi32ELi8ELb0ELb0ELc84ELc85EKPKS1_KPS1_EviT_T0_PT8_S7_lSA_S7_lS8_PT9_S7_li
                                        ; -- End function
	.section	.AMDGPU.csdata,"",@progbits
; Kernel info:
; codeLenInByte = 3400
; NumSgprs: 30
; NumVgprs: 118
; ScratchSize: 0
; MemoryBound: 0
; FloatMode: 240
; IeeeMode: 1
; LDSByteSize: 8192 bytes/workgroup (compile time only)
; SGPRBlocks: 3
; VGPRBlocks: 14
; NumSGPRsForWavesPerEU: 30
; NumVGPRsForWavesPerEU: 118
; Occupancy: 12
; WaveLimiterHint : 1
; COMPUTE_PGM_RSRC2:SCRATCH_EN: 0
; COMPUTE_PGM_RSRC2:USER_SGPR: 13
; COMPUTE_PGM_RSRC2:TRAP_HANDLER: 0
; COMPUTE_PGM_RSRC2:TGID_X_EN: 1
; COMPUTE_PGM_RSRC2:TGID_Y_EN: 1
; COMPUTE_PGM_RSRC2:TGID_Z_EN: 1
; COMPUTE_PGM_RSRC2:TIDIG_COMP_CNT: 1
	.section	.text._ZL37rocblas_syrkx_herkx_restricted_kernelIl19rocblas_complex_numIdELi16ELi32ELi8ELb0ELb0ELc67ELc85EKPKS1_KPS1_EviT_T0_PT8_S7_lSA_S7_lS8_PT9_S7_li,"axG",@progbits,_ZL37rocblas_syrkx_herkx_restricted_kernelIl19rocblas_complex_numIdELi16ELi32ELi8ELb0ELb0ELc67ELc85EKPKS1_KPS1_EviT_T0_PT8_S7_lSA_S7_lS8_PT9_S7_li,comdat
	.globl	_ZL37rocblas_syrkx_herkx_restricted_kernelIl19rocblas_complex_numIdELi16ELi32ELi8ELb0ELb0ELc67ELc85EKPKS1_KPS1_EviT_T0_PT8_S7_lSA_S7_lS8_PT9_S7_li ; -- Begin function _ZL37rocblas_syrkx_herkx_restricted_kernelIl19rocblas_complex_numIdELi16ELi32ELi8ELb0ELb0ELc67ELc85EKPKS1_KPS1_EviT_T0_PT8_S7_lSA_S7_lS8_PT9_S7_li
	.p2align	8
	.type	_ZL37rocblas_syrkx_herkx_restricted_kernelIl19rocblas_complex_numIdELi16ELi32ELi8ELb0ELb0ELc67ELc85EKPKS1_KPS1_EviT_T0_PT8_S7_lSA_S7_lS8_PT9_S7_li,@function
_ZL37rocblas_syrkx_herkx_restricted_kernelIl19rocblas_complex_numIdELi16ELi32ELi8ELb0ELb0ELc67ELc85EKPKS1_KPS1_EviT_T0_PT8_S7_lSA_S7_lS8_PT9_S7_li: ; @_ZL37rocblas_syrkx_herkx_restricted_kernelIl19rocblas_complex_numIdELi16ELi32ELi8ELb0ELb0ELc67ELc85EKPKS1_KPS1_EviT_T0_PT8_S7_lSA_S7_lS8_PT9_S7_li
; %bb.0:
	s_clause 0x1
	s_load_b256 s[4:11], s[0:1], 0x50
	s_load_b256 s[16:23], s[0:1], 0x8
	s_mov_b32 s2, s15
	s_mov_b32 s3, 0
	v_mov_b32_e32 v16, 0
	s_lshl_b64 s[24:25], s[2:3], 3
	v_dual_mov_b32 v17, 0 :: v_dual_and_b32 v20, 0x3ff, v0
	v_bfe_u32 v21, v0, 10, 10
	s_delay_alu instid0(VALU_DEP_3) | instskip(NEXT) | instid1(VALU_DEP_3)
	v_mov_b32_e32 v12, v16
	v_dual_mov_b32 v14, v16 :: v_dual_mov_b32 v15, v17
	v_dual_mov_b32 v19, v17 :: v_dual_mov_b32 v18, v16
	;; [unrolled: 1-line block ×5, first 2 shown]
	v_mov_b32_e32 v5, v17
	s_waitcnt lgkmcnt(0)
	s_add_u32 s2, s8, s24
	s_addc_u32 s3, s9, s25
	s_load_b64 s[8:9], s[0:1], 0x28
	s_load_b64 s[2:3], s[2:3], 0x0
	v_cmp_lt_i64_e64 s12, s[16:17], 1
	v_dual_mov_b32 v6, v16 :: v_dual_mov_b32 v7, v17
	s_lshl_b32 s26, s13, 5
	s_lshl_b32 s27, s14, 5
	s_delay_alu instid0(VALU_DEP_2)
	s_and_b32 vcc_lo, exec_lo, s12
	s_cbranch_vccnz .LBB1653_3
; %bb.1:
	s_load_b128 s[12:15], s[0:1], 0x38
	v_lshl_add_u32 v2, v21, 4, v20
	v_dual_mov_b32 v1, 0 :: v_dual_and_b32 v0, 7, v20
	s_add_u32 s22, s22, s24
	s_addc_u32 s23, s23, s25
	s_delay_alu instid0(VALU_DEP_2) | instskip(SKIP_3) | instid1(VALU_DEP_3)
	v_lshrrev_b32_e32 v8, 3, v2
	v_and_b32_e32 v9, 31, v2
	v_lshrrev_b32_e32 v2, 5, v2
	s_load_b64 s[22:23], s[22:23], 0x0
	v_dual_mov_b32 v3, v1 :: v_dual_add_nc_u32 v10, s27, v8
	s_delay_alu instid0(VALU_DEP_3) | instskip(SKIP_1) | instid1(VALU_DEP_3)
	v_add_nc_u32_e32 v6, s26, v9
	v_lshl_add_u32 v23, v21, 7, 0x1000
	v_ashrrev_i32_e32 v7, 31, v10
	s_delay_alu instid0(VALU_DEP_3)
	v_ashrrev_i32_e32 v11, 31, v6
	s_waitcnt lgkmcnt(0)
	v_mad_u64_u32 v[4:5], null, s8, v6, v[2:3]
	v_mul_lo_u32 v3, s9, v6
	s_add_u32 s12, s12, s24
	v_mul_lo_u32 v12, v7, s14
	v_mul_lo_u32 v11, s8, v11
	v_mul_lo_u32 v13, v10, s15
	v_mad_u64_u32 v[6:7], null, v10, s14, v[0:1]
	s_addc_u32 s13, s13, s25
	v_lshlrev_b32_e32 v0, 4, v0
	s_load_b64 s[8:9], s[12:13], 0x0
	s_delay_alu instid0(VALU_DEP_4) | instskip(SKIP_1) | instid1(VALU_DEP_4)
	v_add3_u32 v5, v3, v5, v11
	v_lshlrev_b32_e32 v3, 4, v9
	v_add3_u32 v7, v12, v7, v13
	s_delay_alu instid0(VALU_DEP_2) | instskip(NEXT) | instid1(VALU_DEP_2)
	v_lshl_or_b32 v24, v2, 9, v3
	v_lshlrev_b64 v[2:3], 4, v[6:7]
	v_mov_b32_e32 v6, 0
	v_mov_b32_e32 v7, 0
	v_lshl_or_b32 v8, v8, 7, v0
	v_lshlrev_b64 v[0:1], 4, v[4:5]
	s_delay_alu instid0(VALU_DEP_4) | instskip(NEXT) | instid1(VALU_DEP_4)
	v_mov_b32_e32 v4, v6
	v_dual_mov_b32 v5, v7 :: v_dual_lshlrev_b32 v22, 4, v20
	s_delay_alu instid0(VALU_DEP_4)
	v_add_nc_u32_e32 v25, 0x1000, v8
	v_mov_b32_e32 v11, v7
	v_add_co_u32 v0, vcc_lo, v0, s22
	v_add_co_ci_u32_e32 v1, vcc_lo, s23, v1, vcc_lo
	s_waitcnt lgkmcnt(0)
	v_add_co_u32 v2, vcc_lo, v2, s8
	v_add_co_ci_u32_e32 v3, vcc_lo, s9, v3, vcc_lo
	v_add_co_u32 v0, vcc_lo, v0, 8
	v_add_co_ci_u32_e32 v1, vcc_lo, 0, v1, vcc_lo
	s_delay_alu instid0(VALU_DEP_4)
	v_add_co_u32 v2, vcc_lo, v2, 8
	v_mov_b32_e32 v9, v7
	v_mov_b32_e32 v15, v7
	;; [unrolled: 1-line block ×4, first 2 shown]
	v_dual_mov_b32 v17, v7 :: v_dual_mov_b32 v16, v6
	v_add_co_ci_u32_e32 v3, vcc_lo, 0, v3, vcc_lo
	v_mov_b32_e32 v10, v6
	v_mov_b32_e32 v8, v6
	;; [unrolled: 1-line block ×5, first 2 shown]
	s_mov_b64 s[8:9], 0
.LBB1653_2:                             ; =>This Inner Loop Header: Depth=1
	global_load_b128 v[26:29], v[0:1], off offset:-8
	global_load_b128 v[30:33], v[2:3], off offset:-8
	s_add_u32 s8, s8, 8
	v_add_co_u32 v0, vcc_lo, 0x80, v0
	s_addc_u32 s9, s9, 0
	v_add_co_ci_u32_e32 v1, vcc_lo, 0, v1, vcc_lo
	v_cmp_ge_u64_e64 s12, s[8:9], s[16:17]
	v_add_co_u32 v2, vcc_lo, 0x80, v2
	v_add_co_ci_u32_e32 v3, vcc_lo, 0, v3, vcc_lo
	s_waitcnt vmcnt(1)
	ds_store_b128 v24, v[26:29]
	s_waitcnt vmcnt(0)
	ds_store_b128 v25, v[30:33]
	s_waitcnt lgkmcnt(0)
	s_barrier
	buffer_gl0_inv
	ds_load_b128 v[26:29], v23
	ds_load_b128 v[30:33], v22
	ds_load_b128 v[34:37], v22 offset:256
	ds_load_b128 v[38:41], v23 offset:2048
	;; [unrolled: 1-line block ×13, first 2 shown]
	s_and_b32 vcc_lo, exec_lo, s12
	s_waitcnt lgkmcnt(13)
	v_mul_f64 v[86:87], v[28:29], v[32:33]
	v_mul_f64 v[88:89], v[26:27], v[32:33]
	s_waitcnt lgkmcnt(12)
	v_mul_f64 v[90:91], v[28:29], v[36:37]
	v_mul_f64 v[92:93], v[26:27], v[36:37]
	;; [unrolled: 3-line block ×3, first 2 shown]
	v_mul_f64 v[96:97], v[40:41], v[36:37]
	v_mul_f64 v[36:37], v[38:39], v[36:37]
	s_waitcnt lgkmcnt(8)
	v_mul_f64 v[98:99], v[44:45], v[52:53]
	v_mul_f64 v[100:101], v[42:43], v[52:53]
	s_waitcnt lgkmcnt(7)
	v_mul_f64 v[102:103], v[44:45], v[56:57]
	v_mul_f64 v[104:105], v[42:43], v[56:57]
	;; [unrolled: 1-line block ×6, first 2 shown]
	s_waitcnt lgkmcnt(3)
	v_mul_f64 v[112:113], v[58:59], v[72:73]
	s_waitcnt lgkmcnt(2)
	v_mul_f64 v[114:115], v[76:77], v[68:69]
	v_mul_f64 v[116:117], v[76:77], v[72:73]
	v_fma_f64 v[86:87], v[26:27], v[30:31], -v[86:87]
	v_fma_f64 v[88:89], v[28:29], v[30:31], v[88:89]
	v_fma_f64 v[90:91], v[26:27], v[34:35], -v[90:91]
	v_fma_f64 v[92:93], v[28:29], v[34:35], v[92:93]
	v_fma_f64 v[94:95], v[38:39], v[30:31], -v[94:95]
	v_fma_f64 v[110:111], v[40:41], v[30:31], v[32:33]
	v_fma_f64 v[38:39], v[38:39], v[34:35], -v[96:97]
	v_fma_f64 v[34:35], v[40:41], v[34:35], v[36:37]
	v_mul_f64 v[36:37], v[60:61], v[68:69]
	v_mul_f64 v[40:41], v[58:59], v[68:69]
	;; [unrolled: 1-line block ×5, first 2 shown]
	v_fma_f64 v[98:99], v[42:43], v[50:51], -v[98:99]
	v_fma_f64 v[100:101], v[44:45], v[50:51], v[100:101]
	v_fma_f64 v[42:43], v[42:43], v[54:55], -v[102:103]
	v_fma_f64 v[44:45], v[44:45], v[54:55], v[104:105]
	;; [unrolled: 2-line block ×4, first 2 shown]
	ds_load_b128 v[26:29], v22 offset:1792
	ds_load_b128 v[30:33], v22 offset:2048
	s_waitcnt lgkmcnt(2)
	v_mul_f64 v[56:57], v[64:65], v[84:85]
	v_add_f64 v[16:17], v[16:17], v[86:87]
	v_add_f64 v[18:19], v[18:19], v[88:89]
	;; [unrolled: 1-line block ×8, first 2 shown]
	v_mul_f64 v[86:87], v[62:63], v[84:85]
	s_waitcnt lgkmcnt(1)
	v_mul_f64 v[88:89], v[64:65], v[28:29]
	v_mul_f64 v[90:91], v[62:63], v[28:29]
	v_mul_f64 v[92:93], v[80:81], v[84:85]
	v_mul_f64 v[84:85], v[78:79], v[84:85]
	v_mul_f64 v[94:95], v[80:81], v[28:29]
	v_mul_f64 v[28:29], v[78:79], v[28:29]
	v_fma_f64 v[104:105], v[58:59], v[66:67], -v[36:37]
	v_fma_f64 v[106:107], v[60:61], v[66:67], v[40:41]
	v_fma_f64 v[58:59], v[58:59], v[70:71], -v[96:97]
	v_fma_f64 v[60:61], v[60:61], v[70:71], v[112:113]
	;; [unrolled: 2-line block ×4, first 2 shown]
	ds_load_b128 v[4:7], v22 offset:2304
	ds_load_b128 v[8:11], v23 offset:64
	v_fma_f64 v[56:57], v[62:63], v[82:83], -v[56:57]
	v_add_f64 v[72:73], v[16:17], v[98:99]
	v_add_f64 v[74:75], v[18:19], v[100:101]
	;; [unrolled: 1-line block ×8, first 2 shown]
	ds_load_b128 v[12:15], v23 offset:2112
	ds_load_b128 v[16:19], v23 offset:80
	;; [unrolled: 1-line block ×4, first 2 shown]
	s_waitcnt lgkmcnt(4)
	v_mul_f64 v[54:55], v[10:11], v[32:33]
	v_mul_f64 v[76:77], v[8:9], v[32:33]
	;; [unrolled: 1-line block ×4, first 2 shown]
	v_fma_f64 v[86:87], v[64:65], v[82:83], v[86:87]
	v_fma_f64 v[62:63], v[62:63], v[26:27], -v[88:89]
	v_fma_f64 v[64:65], v[64:65], v[26:27], v[90:91]
	v_fma_f64 v[88:89], v[78:79], v[82:83], -v[92:93]
	;; [unrolled: 2-line block ×3, first 2 shown]
	v_fma_f64 v[80:81], v[80:81], v[26:27], v[28:29]
	s_waitcnt lgkmcnt(3)
	v_mul_f64 v[102:103], v[14:15], v[32:33]
	v_mul_f64 v[32:33], v[12:13], v[32:33]
	;; [unrolled: 1-line block ×4, first 2 shown]
	s_waitcnt lgkmcnt(0)
	v_mul_f64 v[90:91], v[18:19], v[40:41]
	v_mul_f64 v[92:93], v[16:17], v[40:41]
	v_add_f64 v[72:73], v[72:73], v[104:105]
	v_add_f64 v[74:75], v[74:75], v[106:107]
	;; [unrolled: 1-line block ×8, first 2 shown]
	ds_load_b128 v[26:29], v22 offset:2816
	ds_load_b128 v[42:45], v22 offset:3072
	;; [unrolled: 1-line block ×4, first 2 shown]
	v_mul_f64 v[104:105], v[36:37], v[40:41]
	v_mul_f64 v[40:41], v[34:35], v[40:41]
	v_fma_f64 v[54:55], v[8:9], v[30:31], -v[54:55]
	v_fma_f64 v[76:77], v[10:11], v[30:31], v[76:77]
	v_fma_f64 v[98:99], v[8:9], v[4:5], -v[98:99]
	v_fma_f64 v[100:101], v[10:11], v[4:5], v[100:101]
	s_waitcnt lgkmcnt(3)
	v_mul_f64 v[94:95], v[18:19], v[28:29]
	v_mul_f64 v[96:97], v[16:17], v[28:29]
	;; [unrolled: 1-line block ×4, first 2 shown]
	v_fma_f64 v[102:103], v[12:13], v[30:31], -v[102:103]
	v_fma_f64 v[32:33], v[14:15], v[30:31], v[32:33]
	v_fma_f64 v[108:109], v[12:13], v[4:5], -v[108:109]
	v_fma_f64 v[112:113], v[14:15], v[4:5], v[6:7]
	ds_load_b128 v[4:7], v23 offset:2144
	ds_load_b128 v[8:11], v23 offset:112
	;; [unrolled: 1-line block ×4, first 2 shown]
	v_add_f64 v[56:57], v[72:73], v[56:57]
	v_add_f64 v[72:73], v[74:75], v[86:87]
	;; [unrolled: 1-line block ×8, first 2 shown]
	s_waitcnt lgkmcnt(4)
	v_mul_f64 v[70:71], v[52:53], v[44:45]
	v_mul_f64 v[74:75], v[50:51], v[44:45]
	;; [unrolled: 1-line block ×4, first 2 shown]
	s_waitcnt lgkmcnt(3)
	v_mul_f64 v[82:83], v[6:7], v[44:45]
	v_mul_f64 v[44:45], v[4:5], v[44:45]
	;; [unrolled: 1-line block ×4, first 2 shown]
	v_fma_f64 v[86:87], v[16:17], v[38:39], -v[90:91]
	v_fma_f64 v[88:89], v[18:19], v[38:39], v[92:93]
	v_fma_f64 v[90:91], v[16:17], v[26:27], -v[94:95]
	v_fma_f64 v[92:93], v[18:19], v[26:27], v[96:97]
	;; [unrolled: 2-line block ×4, first 2 shown]
	ds_load_b128 v[16:19], v22 offset:3840
	s_waitcnt lgkmcnt(0)
	s_barrier
	buffer_gl0_inv
	v_add_f64 v[36:37], v[56:57], v[54:55]
	v_add_f64 v[40:41], v[72:73], v[76:77]
	v_add_f64 v[54:55], v[58:59], v[98:99]
	v_add_f64 v[56:57], v[60:61], v[100:101]
	v_add_f64 v[58:59], v[62:63], v[102:103]
	v_add_f64 v[32:33], v[64:65], v[32:33]
	v_add_f64 v[60:61], v[66:67], v[108:109]
	v_add_f64 v[62:63], v[68:69], v[112:113]
	v_mul_f64 v[64:65], v[10:11], v[30:31]
	v_mul_f64 v[66:67], v[8:9], v[30:31]
	v_mul_f64 v[76:77], v[14:15], v[30:31]
	v_mul_f64 v[30:31], v[12:13], v[30:31]
	v_fma_f64 v[70:71], v[50:51], v[42:43], -v[70:71]
	v_mul_f64 v[68:69], v[10:11], v[18:19]
	v_mul_f64 v[72:73], v[8:9], v[18:19]
	;; [unrolled: 1-line block ×4, first 2 shown]
	v_fma_f64 v[74:75], v[52:53], v[42:43], v[74:75]
	v_fma_f64 v[50:51], v[50:51], v[46:47], -v[78:79]
	v_fma_f64 v[52:53], v[52:53], v[46:47], v[80:81]
	v_fma_f64 v[78:79], v[4:5], v[42:43], -v[82:83]
	;; [unrolled: 2-line block ×3, first 2 shown]
	v_fma_f64 v[6:7], v[6:7], v[46:47], v[48:49]
	v_add_f64 v[36:37], v[36:37], v[86:87]
	v_add_f64 v[40:41], v[40:41], v[88:89]
	;; [unrolled: 1-line block ×8, first 2 shown]
	v_fma_f64 v[38:39], v[8:9], v[28:29], -v[64:65]
	v_fma_f64 v[54:55], v[10:11], v[28:29], v[66:67]
	v_fma_f64 v[56:57], v[12:13], v[28:29], -v[76:77]
	v_fma_f64 v[28:29], v[14:15], v[28:29], v[30:31]
	;; [unrolled: 2-line block ×4, first 2 shown]
	v_add_f64 v[12:13], v[36:37], v[70:71]
	v_add_f64 v[14:15], v[40:41], v[74:75]
	;; [unrolled: 1-line block ×16, first 2 shown]
	s_cbranch_vccz .LBB1653_2
.LBB1653_3:
	v_add_nc_u32_e32 v21, s27, v21
	s_waitcnt lgkmcnt(0)
	s_load_b32 s8, s[0:1], 0x0
	s_delay_alu instid0(VALU_DEP_1) | instskip(SKIP_2) | instid1(VALU_DEP_3)
	v_ashrrev_i32_e32 v0, 31, v21
	v_mul_lo_u32 v3, v21, s11
	v_mad_u64_u32 v[1:2], null, v21, s10, 0
	v_mul_lo_u32 v0, v0, s10
	s_delay_alu instid0(VALU_DEP_1) | instskip(SKIP_3) | instid1(VALU_DEP_3)
	v_add3_u32 v2, v2, v3, v0
	v_add_nc_u32_e32 v0, s26, v20
	s_waitcnt lgkmcnt(0)
	v_cmp_gt_i32_e32 vcc_lo, s8, v21
	v_lshlrev_b64 v[1:2], 4, v[1:2]
	s_delay_alu instid0(VALU_DEP_3) | instskip(NEXT) | instid1(VALU_DEP_1)
	v_cmp_le_i32_e64 s0, v0, v21
	s_and_b32 s0, vcc_lo, s0
	s_delay_alu instid0(VALU_DEP_2) | instskip(NEXT) | instid1(VALU_DEP_1)
	v_add_co_u32 v20, s1, s2, v1
	v_add_co_ci_u32_e64 v22, s1, s3, v2, s1
	s_and_saveexec_b32 s1, s0
	s_cbranch_execz .LBB1653_5
; %bb.4:
	v_ashrrev_i32_e32 v1, 31, v0
	v_mul_f64 v[27:28], s[20:21], v[18:19]
	v_mul_f64 v[18:19], s[18:19], v[18:19]
	s_delay_alu instid0(VALU_DEP_3) | instskip(NEXT) | instid1(VALU_DEP_1)
	v_lshlrev_b64 v[1:2], 4, v[0:1]
	v_add_co_u32 v1, s0, v20, v1
	s_delay_alu instid0(VALU_DEP_1)
	v_add_co_ci_u32_e64 v2, s0, v22, v2, s0
	global_load_b128 v[23:26], v[1:2], off
	v_fma_f64 v[27:28], s[18:19], v[16:17], -v[27:28]
	v_fma_f64 v[18:19], s[20:21], v[16:17], v[18:19]
	s_waitcnt vmcnt(0)
	v_mul_f64 v[29:30], s[6:7], v[25:26]
	v_mul_f64 v[25:26], s[4:5], v[25:26]
	s_delay_alu instid0(VALU_DEP_2) | instskip(NEXT) | instid1(VALU_DEP_2)
	v_fma_f64 v[16:17], s[4:5], v[23:24], -v[29:30]
	v_fma_f64 v[23:24], s[6:7], v[23:24], v[25:26]
	s_delay_alu instid0(VALU_DEP_2) | instskip(NEXT) | instid1(VALU_DEP_2)
	v_add_f64 v[16:17], v[27:28], v[16:17]
	v_add_f64 v[18:19], v[18:19], v[23:24]
	global_store_b128 v[1:2], v[16:19], off
.LBB1653_5:
	s_or_b32 exec_lo, exec_lo, s1
	v_add_nc_u32_e32 v2, 16, v0
	s_delay_alu instid0(VALU_DEP_1) | instskip(NEXT) | instid1(VALU_DEP_1)
	v_cmp_le_i32_e64 s0, v2, v21
	s_and_b32 s1, vcc_lo, s0
	s_delay_alu instid0(SALU_CYCLE_1)
	s_and_saveexec_b32 s0, s1
	s_cbranch_execz .LBB1653_7
; %bb.6:
	v_ashrrev_i32_e32 v3, 31, v2
	v_mul_f64 v[25:26], s[20:21], v[14:15]
	v_mul_f64 v[14:15], s[18:19], v[14:15]
	s_delay_alu instid0(VALU_DEP_3) | instskip(NEXT) | instid1(VALU_DEP_1)
	v_lshlrev_b64 v[16:17], 4, v[2:3]
	v_add_co_u32 v23, vcc_lo, v20, v16
	s_delay_alu instid0(VALU_DEP_2)
	v_add_co_ci_u32_e32 v24, vcc_lo, v22, v17, vcc_lo
	global_load_b128 v[16:19], v[23:24], off
	v_fma_f64 v[25:26], s[18:19], v[12:13], -v[25:26]
	v_fma_f64 v[14:15], s[20:21], v[12:13], v[14:15]
	s_waitcnt vmcnt(0)
	v_mul_f64 v[27:28], s[6:7], v[18:19]
	v_mul_f64 v[18:19], s[4:5], v[18:19]
	s_delay_alu instid0(VALU_DEP_2) | instskip(NEXT) | instid1(VALU_DEP_2)
	v_fma_f64 v[12:13], s[4:5], v[16:17], -v[27:28]
	v_fma_f64 v[16:17], s[6:7], v[16:17], v[18:19]
	s_delay_alu instid0(VALU_DEP_2) | instskip(NEXT) | instid1(VALU_DEP_2)
	v_add_f64 v[12:13], v[25:26], v[12:13]
	v_add_f64 v[14:15], v[14:15], v[16:17]
	global_store_b128 v[23:24], v[12:15], off
.LBB1653_7:
	s_or_b32 exec_lo, exec_lo, s0
	v_add_nc_u32_e32 v3, 16, v21
	s_delay_alu instid0(VALU_DEP_1) | instskip(SKIP_3) | instid1(VALU_DEP_4)
	v_ashrrev_i32_e32 v1, 31, v3
	v_mul_lo_u32 v14, v3, s11
	v_mad_u64_u32 v[12:13], null, v3, s10, 0
	v_cmp_gt_i32_e32 vcc_lo, s8, v3
	v_mul_lo_u32 v1, v1, s10
	v_cmp_le_i32_e64 s0, v0, v3
	s_delay_alu instid0(VALU_DEP_1) | instskip(NEXT) | instid1(VALU_DEP_2)
	s_and_b32 s0, vcc_lo, s0
	v_add3_u32 v13, v13, v14, v1
	s_delay_alu instid0(VALU_DEP_1) | instskip(NEXT) | instid1(VALU_DEP_1)
	v_lshlrev_b64 v[12:13], 4, v[12:13]
	v_add_co_u32 v12, s1, s2, v12
	s_delay_alu instid0(VALU_DEP_1)
	v_add_co_ci_u32_e64 v13, s1, s3, v13, s1
	s_and_saveexec_b32 s1, s0
	s_cbranch_execz .LBB1653_9
; %bb.8:
	v_ashrrev_i32_e32 v1, 31, v0
	v_mul_f64 v[18:19], s[20:21], v[10:11]
	v_mul_f64 v[10:11], s[18:19], v[10:11]
	s_delay_alu instid0(VALU_DEP_3) | instskip(NEXT) | instid1(VALU_DEP_1)
	v_lshlrev_b64 v[0:1], 4, v[0:1]
	v_add_co_u32 v0, s0, v12, v0
	s_delay_alu instid0(VALU_DEP_1)
	v_add_co_ci_u32_e64 v1, s0, v13, v1, s0
	global_load_b128 v[14:17], v[0:1], off
	v_fma_f64 v[18:19], s[18:19], v[8:9], -v[18:19]
	v_fma_f64 v[10:11], s[20:21], v[8:9], v[10:11]
	s_waitcnt vmcnt(0)
	v_mul_f64 v[20:21], s[6:7], v[16:17]
	v_mul_f64 v[16:17], s[4:5], v[16:17]
	s_delay_alu instid0(VALU_DEP_2) | instskip(NEXT) | instid1(VALU_DEP_2)
	v_fma_f64 v[8:9], s[4:5], v[14:15], -v[20:21]
	v_fma_f64 v[14:15], s[6:7], v[14:15], v[16:17]
	s_delay_alu instid0(VALU_DEP_2) | instskip(NEXT) | instid1(VALU_DEP_2)
	v_add_f64 v[8:9], v[18:19], v[8:9]
	v_add_f64 v[10:11], v[10:11], v[14:15]
	global_store_b128 v[0:1], v[8:11], off
.LBB1653_9:
	s_or_b32 exec_lo, exec_lo, s1
	v_cmp_le_i32_e64 s0, v2, v3
	s_delay_alu instid0(VALU_DEP_1) | instskip(NEXT) | instid1(SALU_CYCLE_1)
	s_and_b32 s0, vcc_lo, s0
	s_and_saveexec_b32 s1, s0
	s_cbranch_execz .LBB1653_11
; %bb.10:
	v_ashrrev_i32_e32 v3, 31, v2
	v_mul_f64 v[10:11], s[20:21], v[6:7]
	v_mul_f64 v[6:7], s[18:19], v[6:7]
	s_delay_alu instid0(VALU_DEP_3) | instskip(NEXT) | instid1(VALU_DEP_1)
	v_lshlrev_b64 v[0:1], 4, v[2:3]
	v_add_co_u32 v8, vcc_lo, v12, v0
	s_delay_alu instid0(VALU_DEP_2)
	v_add_co_ci_u32_e32 v9, vcc_lo, v13, v1, vcc_lo
	global_load_b128 v[0:3], v[8:9], off
	v_fma_f64 v[10:11], s[18:19], v[4:5], -v[10:11]
	v_fma_f64 v[4:5], s[20:21], v[4:5], v[6:7]
	s_waitcnt vmcnt(0)
	v_mul_f64 v[12:13], s[6:7], v[2:3]
	v_mul_f64 v[2:3], s[4:5], v[2:3]
	s_delay_alu instid0(VALU_DEP_2) | instskip(NEXT) | instid1(VALU_DEP_2)
	v_fma_f64 v[6:7], s[4:5], v[0:1], -v[12:13]
	v_fma_f64 v[2:3], s[6:7], v[0:1], v[2:3]
	s_delay_alu instid0(VALU_DEP_2) | instskip(NEXT) | instid1(VALU_DEP_2)
	v_add_f64 v[0:1], v[10:11], v[6:7]
	v_add_f64 v[2:3], v[4:5], v[2:3]
	global_store_b128 v[8:9], v[0:3], off
.LBB1653_11:
	s_nop 0
	s_sendmsg sendmsg(MSG_DEALLOC_VGPRS)
	s_endpgm
	.section	.rodata,"a",@progbits
	.p2align	6, 0x0
	.amdhsa_kernel _ZL37rocblas_syrkx_herkx_restricted_kernelIl19rocblas_complex_numIdELi16ELi32ELi8ELb0ELb0ELc67ELc85EKPKS1_KPS1_EviT_T0_PT8_S7_lSA_S7_lS8_PT9_S7_li
		.amdhsa_group_segment_fixed_size 8192
		.amdhsa_private_segment_fixed_size 0
		.amdhsa_kernarg_size 124
		.amdhsa_user_sgpr_count 13
		.amdhsa_user_sgpr_dispatch_ptr 0
		.amdhsa_user_sgpr_queue_ptr 0
		.amdhsa_user_sgpr_kernarg_segment_ptr 1
		.amdhsa_user_sgpr_dispatch_id 0
		.amdhsa_user_sgpr_private_segment_size 0
		.amdhsa_wavefront_size32 1
		.amdhsa_uses_dynamic_stack 0
		.amdhsa_enable_private_segment 0
		.amdhsa_system_sgpr_workgroup_id_x 1
		.amdhsa_system_sgpr_workgroup_id_y 1
		.amdhsa_system_sgpr_workgroup_id_z 1
		.amdhsa_system_sgpr_workgroup_info 0
		.amdhsa_system_vgpr_workitem_id 1
		.amdhsa_next_free_vgpr 118
		.amdhsa_next_free_sgpr 28
		.amdhsa_reserve_vcc 1
		.amdhsa_float_round_mode_32 0
		.amdhsa_float_round_mode_16_64 0
		.amdhsa_float_denorm_mode_32 3
		.amdhsa_float_denorm_mode_16_64 3
		.amdhsa_dx10_clamp 1
		.amdhsa_ieee_mode 1
		.amdhsa_fp16_overflow 0
		.amdhsa_workgroup_processor_mode 1
		.amdhsa_memory_ordered 1
		.amdhsa_forward_progress 0
		.amdhsa_shared_vgpr_count 0
		.amdhsa_exception_fp_ieee_invalid_op 0
		.amdhsa_exception_fp_denorm_src 0
		.amdhsa_exception_fp_ieee_div_zero 0
		.amdhsa_exception_fp_ieee_overflow 0
		.amdhsa_exception_fp_ieee_underflow 0
		.amdhsa_exception_fp_ieee_inexact 0
		.amdhsa_exception_int_div_zero 0
	.end_amdhsa_kernel
	.section	.text._ZL37rocblas_syrkx_herkx_restricted_kernelIl19rocblas_complex_numIdELi16ELi32ELi8ELb0ELb0ELc67ELc85EKPKS1_KPS1_EviT_T0_PT8_S7_lSA_S7_lS8_PT9_S7_li,"axG",@progbits,_ZL37rocblas_syrkx_herkx_restricted_kernelIl19rocblas_complex_numIdELi16ELi32ELi8ELb0ELb0ELc67ELc85EKPKS1_KPS1_EviT_T0_PT8_S7_lSA_S7_lS8_PT9_S7_li,comdat
.Lfunc_end1653:
	.size	_ZL37rocblas_syrkx_herkx_restricted_kernelIl19rocblas_complex_numIdELi16ELi32ELi8ELb0ELb0ELc67ELc85EKPKS1_KPS1_EviT_T0_PT8_S7_lSA_S7_lS8_PT9_S7_li, .Lfunc_end1653-_ZL37rocblas_syrkx_herkx_restricted_kernelIl19rocblas_complex_numIdELi16ELi32ELi8ELb0ELb0ELc67ELc85EKPKS1_KPS1_EviT_T0_PT8_S7_lSA_S7_lS8_PT9_S7_li
                                        ; -- End function
	.section	.AMDGPU.csdata,"",@progbits
; Kernel info:
; codeLenInByte = 3400
; NumSgprs: 30
; NumVgprs: 118
; ScratchSize: 0
; MemoryBound: 0
; FloatMode: 240
; IeeeMode: 1
; LDSByteSize: 8192 bytes/workgroup (compile time only)
; SGPRBlocks: 3
; VGPRBlocks: 14
; NumSGPRsForWavesPerEU: 30
; NumVGPRsForWavesPerEU: 118
; Occupancy: 12
; WaveLimiterHint : 1
; COMPUTE_PGM_RSRC2:SCRATCH_EN: 0
; COMPUTE_PGM_RSRC2:USER_SGPR: 13
; COMPUTE_PGM_RSRC2:TRAP_HANDLER: 0
; COMPUTE_PGM_RSRC2:TGID_X_EN: 1
; COMPUTE_PGM_RSRC2:TGID_Y_EN: 1
; COMPUTE_PGM_RSRC2:TGID_Z_EN: 1
; COMPUTE_PGM_RSRC2:TIDIG_COMP_CNT: 1
	.section	.text._ZL37rocblas_syrkx_herkx_restricted_kernelIl19rocblas_complex_numIdELi16ELi32ELi8ELb0ELb0ELc78ELc85EKPKS1_KPS1_EviT_T0_PT8_S7_lSA_S7_lS8_PT9_S7_li,"axG",@progbits,_ZL37rocblas_syrkx_herkx_restricted_kernelIl19rocblas_complex_numIdELi16ELi32ELi8ELb0ELb0ELc78ELc85EKPKS1_KPS1_EviT_T0_PT8_S7_lSA_S7_lS8_PT9_S7_li,comdat
	.globl	_ZL37rocblas_syrkx_herkx_restricted_kernelIl19rocblas_complex_numIdELi16ELi32ELi8ELb0ELb0ELc78ELc85EKPKS1_KPS1_EviT_T0_PT8_S7_lSA_S7_lS8_PT9_S7_li ; -- Begin function _ZL37rocblas_syrkx_herkx_restricted_kernelIl19rocblas_complex_numIdELi16ELi32ELi8ELb0ELb0ELc78ELc85EKPKS1_KPS1_EviT_T0_PT8_S7_lSA_S7_lS8_PT9_S7_li
	.p2align	8
	.type	_ZL37rocblas_syrkx_herkx_restricted_kernelIl19rocblas_complex_numIdELi16ELi32ELi8ELb0ELb0ELc78ELc85EKPKS1_KPS1_EviT_T0_PT8_S7_lSA_S7_lS8_PT9_S7_li,@function
_ZL37rocblas_syrkx_herkx_restricted_kernelIl19rocblas_complex_numIdELi16ELi32ELi8ELb0ELb0ELc78ELc85EKPKS1_KPS1_EviT_T0_PT8_S7_lSA_S7_lS8_PT9_S7_li: ; @_ZL37rocblas_syrkx_herkx_restricted_kernelIl19rocblas_complex_numIdELi16ELi32ELi8ELb0ELb0ELc78ELc85EKPKS1_KPS1_EviT_T0_PT8_S7_lSA_S7_lS8_PT9_S7_li
; %bb.0:
	s_clause 0x1
	s_load_b256 s[4:11], s[0:1], 0x50
	s_load_b256 s[16:23], s[0:1], 0x8
	s_mov_b32 s2, s15
	s_mov_b32 s3, 0
	v_mov_b32_e32 v16, 0
	s_lshl_b64 s[24:25], s[2:3], 3
	v_dual_mov_b32 v17, 0 :: v_dual_and_b32 v20, 0x3ff, v0
	v_bfe_u32 v21, v0, 10, 10
	s_delay_alu instid0(VALU_DEP_3) | instskip(NEXT) | instid1(VALU_DEP_3)
	v_mov_b32_e32 v12, v16
	v_dual_mov_b32 v14, v16 :: v_dual_mov_b32 v15, v17
	v_dual_mov_b32 v19, v17 :: v_dual_mov_b32 v18, v16
	;; [unrolled: 1-line block ×5, first 2 shown]
	v_mov_b32_e32 v7, v17
	s_waitcnt lgkmcnt(0)
	s_add_u32 s2, s8, s24
	s_addc_u32 s3, s9, s25
	s_load_b64 s[8:9], s[0:1], 0x28
	s_load_b64 s[2:3], s[2:3], 0x0
	v_cmp_lt_i64_e64 s12, s[16:17], 1
	v_dual_mov_b32 v4, v16 :: v_dual_mov_b32 v5, v17
	s_lshl_b32 s26, s13, 5
	s_lshl_b32 s27, s14, 5
	s_delay_alu instid0(VALU_DEP_2)
	s_and_b32 vcc_lo, exec_lo, s12
	s_cbranch_vccnz .LBB1654_3
; %bb.1:
	v_lshl_add_u32 v1, v21, 4, v20
	s_load_b128 s[12:15], s[0:1], 0x38
	v_and_b32_e32 v6, 7, v20
	v_mov_b32_e32 v4, 0
	s_add_u32 s22, s22, s24
	v_dual_mov_b32 v5, 0 :: v_dual_and_b32 v14, 31, v1
	v_lshrrev_b32_e32 v15, 3, v1
	v_lshrrev_b32_e32 v16, 5, v1
	s_addc_u32 s23, s23, s25
	s_delay_alu instid0(VALU_DEP_3) | instskip(NEXT) | instid1(VALU_DEP_3)
	v_dual_mov_b32 v11, v5 :: v_dual_add_nc_u32 v0, s26, v14
	v_add_nc_u32_e32 v2, s27, v15
	s_load_b64 s[22:23], s[22:23], 0x0
	v_mov_b32_e32 v10, v4
	s_delay_alu instid0(VALU_DEP_3)
	v_ashrrev_i32_e32 v1, 31, v0
	v_lshlrev_b32_e32 v22, 4, v20
	v_ashrrev_i32_e32 v3, 31, v2
	v_lshl_add_u32 v23, v21, 7, 0x1000
	v_lshlrev_b32_e32 v17, 4, v14
	s_waitcnt lgkmcnt(0)
	v_mad_u64_u32 v[12:13], null, v16, s8, v[0:1]
	v_mad_u64_u32 v[0:1], null, v6, s14, v[2:3]
	s_add_u32 s12, s12, s24
	s_addc_u32 s13, s13, s25
	v_lshl_or_b32 v24, v16, 9, v17
	s_load_b64 s[12:13], s[12:13], 0x0
	s_delay_alu instid0(VALU_DEP_3) | instskip(NEXT) | instid1(VALU_DEP_1)
	v_mov_b32_e32 v2, v13
	v_mad_u64_u32 v[8:9], null, v16, s9, v[2:3]
	s_lshl_b64 s[8:9], s[8:9], 7
	v_dual_mov_b32 v17, v5 :: v_dual_mov_b32 v16, v4
	s_delay_alu instid0(VALU_DEP_2) | instskip(SKIP_4) | instid1(VALU_DEP_3)
	v_mov_b32_e32 v13, v8
	v_mad_u64_u32 v[2:3], null, v6, s15, v[1:2]
	v_lshlrev_b32_e32 v1, 4, v6
	v_dual_mov_b32 v7, v5 :: v_dual_mov_b32 v6, v4
	v_mov_b32_e32 v9, v5
	v_lshl_or_b32 v18, v15, 7, v1
	v_mov_b32_e32 v1, v2
	v_lshlrev_b64 v[2:3], 4, v[12:13]
	v_dual_mov_b32 v15, v5 :: v_dual_mov_b32 v14, v4
	s_delay_alu instid0(VALU_DEP_4) | instskip(NEXT) | instid1(VALU_DEP_4)
	v_dual_mov_b32 v8, v4 :: v_dual_add_nc_u32 v25, 0x1000, v18
	v_lshlrev_b64 v[0:1], 4, v[0:1]
	s_delay_alu instid0(VALU_DEP_4) | instskip(SKIP_3) | instid1(VALU_DEP_4)
	v_add_co_u32 v2, vcc_lo, v2, s22
	v_add_co_ci_u32_e32 v3, vcc_lo, s23, v3, vcc_lo
	v_mov_b32_e32 v19, v5
	s_waitcnt lgkmcnt(0)
	v_add_co_u32 v12, vcc_lo, v0, s12
	v_add_co_ci_u32_e32 v13, vcc_lo, s13, v1, vcc_lo
	v_add_co_u32 v0, vcc_lo, v2, 8
	v_add_co_ci_u32_e32 v1, vcc_lo, 0, v3, vcc_lo
	s_delay_alu instid0(VALU_DEP_4) | instskip(NEXT) | instid1(VALU_DEP_4)
	v_add_co_u32 v2, vcc_lo, v12, 8
	v_add_co_ci_u32_e32 v3, vcc_lo, 0, v13, vcc_lo
	v_dual_mov_b32 v13, v5 :: v_dual_mov_b32 v12, v4
	v_mov_b32_e32 v18, v4
	s_lshl_b64 s[12:13], s[14:15], 7
	s_mov_b64 s[14:15], 0
.LBB1654_2:                             ; =>This Inner Loop Header: Depth=1
	global_load_b128 v[26:29], v[0:1], off offset:-8
	global_load_b128 v[30:33], v[2:3], off offset:-8
	s_add_u32 s14, s14, 8
	v_add_co_u32 v0, vcc_lo, v0, s8
	s_addc_u32 s15, s15, 0
	v_add_co_ci_u32_e32 v1, vcc_lo, s9, v1, vcc_lo
	v_cmp_ge_u64_e64 s22, s[14:15], s[16:17]
	v_add_co_u32 v2, vcc_lo, v2, s12
	v_add_co_ci_u32_e32 v3, vcc_lo, s13, v3, vcc_lo
	s_waitcnt vmcnt(1)
	ds_store_b128 v24, v[26:29]
	s_waitcnt vmcnt(0)
	ds_store_b128 v25, v[30:33]
	s_waitcnt lgkmcnt(0)
	s_barrier
	buffer_gl0_inv
	ds_load_b128 v[26:29], v23
	ds_load_b128 v[30:33], v22
	ds_load_b128 v[34:37], v22 offset:256
	ds_load_b128 v[38:41], v23 offset:2048
	;; [unrolled: 1-line block ×13, first 2 shown]
	s_and_b32 vcc_lo, exec_lo, s22
	s_waitcnt lgkmcnt(13)
	v_mul_f64 v[86:87], v[28:29], v[32:33]
	v_mul_f64 v[88:89], v[26:27], v[32:33]
	s_waitcnt lgkmcnt(12)
	v_mul_f64 v[90:91], v[28:29], v[36:37]
	v_mul_f64 v[92:93], v[26:27], v[36:37]
	;; [unrolled: 3-line block ×3, first 2 shown]
	v_mul_f64 v[96:97], v[40:41], v[36:37]
	v_mul_f64 v[36:37], v[38:39], v[36:37]
	s_waitcnt lgkmcnt(8)
	v_mul_f64 v[98:99], v[44:45], v[52:53]
	v_mul_f64 v[100:101], v[42:43], v[52:53]
	s_waitcnt lgkmcnt(7)
	v_mul_f64 v[102:103], v[44:45], v[56:57]
	v_mul_f64 v[104:105], v[42:43], v[56:57]
	;; [unrolled: 1-line block ×6, first 2 shown]
	s_waitcnt lgkmcnt(3)
	v_mul_f64 v[112:113], v[58:59], v[72:73]
	s_waitcnt lgkmcnt(2)
	v_mul_f64 v[114:115], v[76:77], v[68:69]
	v_mul_f64 v[116:117], v[76:77], v[72:73]
	v_fma_f64 v[86:87], v[26:27], v[30:31], -v[86:87]
	v_fma_f64 v[88:89], v[28:29], v[30:31], v[88:89]
	v_fma_f64 v[90:91], v[26:27], v[34:35], -v[90:91]
	v_fma_f64 v[92:93], v[28:29], v[34:35], v[92:93]
	;; [unrolled: 2-line block ×4, first 2 shown]
	v_mul_f64 v[36:37], v[60:61], v[68:69]
	v_mul_f64 v[40:41], v[58:59], v[68:69]
	v_mul_f64 v[96:97], v[60:61], v[72:73]
	v_mul_f64 v[68:69], v[74:75], v[68:69]
	v_mul_f64 v[72:73], v[74:75], v[72:73]
	v_fma_f64 v[98:99], v[42:43], v[50:51], -v[98:99]
	v_fma_f64 v[100:101], v[44:45], v[50:51], v[100:101]
	v_fma_f64 v[42:43], v[42:43], v[54:55], -v[102:103]
	v_fma_f64 v[44:45], v[44:45], v[54:55], v[104:105]
	;; [unrolled: 2-line block ×4, first 2 shown]
	ds_load_b128 v[26:29], v22 offset:1792
	ds_load_b128 v[30:33], v22 offset:2048
	s_waitcnt lgkmcnt(2)
	v_mul_f64 v[56:57], v[64:65], v[84:85]
	v_add_f64 v[16:17], v[16:17], v[86:87]
	v_add_f64 v[18:19], v[18:19], v[88:89]
	v_add_f64 v[12:13], v[12:13], v[90:91]
	v_add_f64 v[14:15], v[14:15], v[92:93]
	v_add_f64 v[52:53], v[8:9], v[94:95]
	v_add_f64 v[54:55], v[10:11], v[110:111]
	v_add_f64 v[38:39], v[6:7], v[38:39]
	v_add_f64 v[34:35], v[4:5], v[34:35]
	v_mul_f64 v[86:87], v[62:63], v[84:85]
	s_waitcnt lgkmcnt(1)
	v_mul_f64 v[88:89], v[64:65], v[28:29]
	v_mul_f64 v[90:91], v[62:63], v[28:29]
	;; [unrolled: 1-line block ×6, first 2 shown]
	v_fma_f64 v[104:105], v[58:59], v[66:67], -v[36:37]
	v_fma_f64 v[106:107], v[60:61], v[66:67], v[40:41]
	v_fma_f64 v[58:59], v[58:59], v[70:71], -v[96:97]
	v_fma_f64 v[60:61], v[60:61], v[70:71], v[112:113]
	;; [unrolled: 2-line block ×4, first 2 shown]
	ds_load_b128 v[4:7], v22 offset:2304
	ds_load_b128 v[8:11], v23 offset:64
	v_fma_f64 v[56:57], v[62:63], v[82:83], -v[56:57]
	v_add_f64 v[72:73], v[16:17], v[98:99]
	v_add_f64 v[74:75], v[18:19], v[100:101]
	;; [unrolled: 1-line block ×8, first 2 shown]
	ds_load_b128 v[12:15], v23 offset:2112
	ds_load_b128 v[16:19], v23 offset:80
	;; [unrolled: 1-line block ×4, first 2 shown]
	s_waitcnt lgkmcnt(4)
	v_mul_f64 v[54:55], v[10:11], v[32:33]
	v_mul_f64 v[76:77], v[8:9], v[32:33]
	;; [unrolled: 1-line block ×4, first 2 shown]
	v_fma_f64 v[86:87], v[64:65], v[82:83], v[86:87]
	v_fma_f64 v[62:63], v[62:63], v[26:27], -v[88:89]
	v_fma_f64 v[64:65], v[64:65], v[26:27], v[90:91]
	v_fma_f64 v[88:89], v[78:79], v[82:83], -v[92:93]
	v_fma_f64 v[82:83], v[80:81], v[82:83], v[84:85]
	v_fma_f64 v[78:79], v[78:79], v[26:27], -v[94:95]
	v_fma_f64 v[80:81], v[80:81], v[26:27], v[28:29]
	s_waitcnt lgkmcnt(3)
	v_mul_f64 v[102:103], v[14:15], v[32:33]
	v_mul_f64 v[32:33], v[12:13], v[32:33]
	;; [unrolled: 1-line block ×4, first 2 shown]
	s_waitcnt lgkmcnt(0)
	v_mul_f64 v[90:91], v[18:19], v[40:41]
	v_mul_f64 v[92:93], v[16:17], v[40:41]
	v_add_f64 v[72:73], v[72:73], v[104:105]
	v_add_f64 v[74:75], v[74:75], v[106:107]
	;; [unrolled: 1-line block ×8, first 2 shown]
	ds_load_b128 v[26:29], v22 offset:2816
	ds_load_b128 v[42:45], v22 offset:3072
	ds_load_b128 v[46:49], v22 offset:3328
	ds_load_b128 v[50:53], v23 offset:96
	v_mul_f64 v[104:105], v[36:37], v[40:41]
	v_mul_f64 v[40:41], v[34:35], v[40:41]
	v_fma_f64 v[54:55], v[8:9], v[30:31], -v[54:55]
	v_fma_f64 v[76:77], v[10:11], v[30:31], v[76:77]
	v_fma_f64 v[98:99], v[8:9], v[4:5], -v[98:99]
	v_fma_f64 v[100:101], v[10:11], v[4:5], v[100:101]
	s_waitcnt lgkmcnt(3)
	v_mul_f64 v[94:95], v[18:19], v[28:29]
	v_mul_f64 v[96:97], v[16:17], v[28:29]
	;; [unrolled: 1-line block ×4, first 2 shown]
	v_fma_f64 v[102:103], v[12:13], v[30:31], -v[102:103]
	v_fma_f64 v[32:33], v[14:15], v[30:31], v[32:33]
	v_fma_f64 v[108:109], v[12:13], v[4:5], -v[108:109]
	v_fma_f64 v[112:113], v[14:15], v[4:5], v[6:7]
	ds_load_b128 v[4:7], v23 offset:2144
	ds_load_b128 v[8:11], v23 offset:112
	;; [unrolled: 1-line block ×4, first 2 shown]
	v_add_f64 v[56:57], v[72:73], v[56:57]
	v_add_f64 v[72:73], v[74:75], v[86:87]
	;; [unrolled: 1-line block ×8, first 2 shown]
	s_waitcnt lgkmcnt(4)
	v_mul_f64 v[70:71], v[52:53], v[44:45]
	v_mul_f64 v[74:75], v[50:51], v[44:45]
	;; [unrolled: 1-line block ×4, first 2 shown]
	s_waitcnt lgkmcnt(3)
	v_mul_f64 v[82:83], v[6:7], v[44:45]
	v_mul_f64 v[44:45], v[4:5], v[44:45]
	;; [unrolled: 1-line block ×4, first 2 shown]
	v_fma_f64 v[86:87], v[16:17], v[38:39], -v[90:91]
	v_fma_f64 v[88:89], v[18:19], v[38:39], v[92:93]
	v_fma_f64 v[90:91], v[16:17], v[26:27], -v[94:95]
	v_fma_f64 v[92:93], v[18:19], v[26:27], v[96:97]
	;; [unrolled: 2-line block ×4, first 2 shown]
	ds_load_b128 v[16:19], v22 offset:3840
	s_waitcnt lgkmcnt(0)
	s_barrier
	buffer_gl0_inv
	v_add_f64 v[36:37], v[56:57], v[54:55]
	v_add_f64 v[40:41], v[72:73], v[76:77]
	;; [unrolled: 1-line block ×8, first 2 shown]
	v_mul_f64 v[64:65], v[10:11], v[30:31]
	v_mul_f64 v[66:67], v[8:9], v[30:31]
	;; [unrolled: 1-line block ×4, first 2 shown]
	v_fma_f64 v[70:71], v[50:51], v[42:43], -v[70:71]
	v_mul_f64 v[68:69], v[10:11], v[18:19]
	v_mul_f64 v[72:73], v[8:9], v[18:19]
	;; [unrolled: 1-line block ×4, first 2 shown]
	v_fma_f64 v[74:75], v[52:53], v[42:43], v[74:75]
	v_fma_f64 v[50:51], v[50:51], v[46:47], -v[78:79]
	v_fma_f64 v[52:53], v[52:53], v[46:47], v[80:81]
	v_fma_f64 v[78:79], v[4:5], v[42:43], -v[82:83]
	;; [unrolled: 2-line block ×3, first 2 shown]
	v_fma_f64 v[6:7], v[6:7], v[46:47], v[48:49]
	v_add_f64 v[36:37], v[36:37], v[86:87]
	v_add_f64 v[40:41], v[40:41], v[88:89]
	;; [unrolled: 1-line block ×8, first 2 shown]
	v_fma_f64 v[38:39], v[8:9], v[28:29], -v[64:65]
	v_fma_f64 v[54:55], v[10:11], v[28:29], v[66:67]
	v_fma_f64 v[56:57], v[12:13], v[28:29], -v[76:77]
	v_fma_f64 v[28:29], v[14:15], v[28:29], v[30:31]
	;; [unrolled: 2-line block ×4, first 2 shown]
	v_add_f64 v[12:13], v[36:37], v[70:71]
	v_add_f64 v[14:15], v[40:41], v[74:75]
	;; [unrolled: 1-line block ×16, first 2 shown]
	s_cbranch_vccz .LBB1654_2
.LBB1654_3:
	v_add_nc_u32_e32 v21, s27, v21
	s_waitcnt lgkmcnt(0)
	s_load_b32 s8, s[0:1], 0x0
	s_delay_alu instid0(VALU_DEP_1) | instskip(SKIP_2) | instid1(VALU_DEP_3)
	v_ashrrev_i32_e32 v0, 31, v21
	v_mul_lo_u32 v3, v21, s11
	v_mad_u64_u32 v[1:2], null, v21, s10, 0
	v_mul_lo_u32 v0, v0, s10
	s_delay_alu instid0(VALU_DEP_1) | instskip(SKIP_3) | instid1(VALU_DEP_3)
	v_add3_u32 v2, v2, v3, v0
	v_add_nc_u32_e32 v0, s26, v20
	s_waitcnt lgkmcnt(0)
	v_cmp_gt_i32_e32 vcc_lo, s8, v21
	v_lshlrev_b64 v[1:2], 4, v[1:2]
	s_delay_alu instid0(VALU_DEP_3) | instskip(NEXT) | instid1(VALU_DEP_1)
	v_cmp_le_i32_e64 s0, v0, v21
	s_and_b32 s0, vcc_lo, s0
	s_delay_alu instid0(VALU_DEP_2) | instskip(NEXT) | instid1(VALU_DEP_1)
	v_add_co_u32 v20, s1, s2, v1
	v_add_co_ci_u32_e64 v22, s1, s3, v2, s1
	s_and_saveexec_b32 s1, s0
	s_cbranch_execz .LBB1654_5
; %bb.4:
	v_ashrrev_i32_e32 v1, 31, v0
	v_mul_f64 v[27:28], s[20:21], v[18:19]
	v_mul_f64 v[18:19], s[18:19], v[18:19]
	s_delay_alu instid0(VALU_DEP_3) | instskip(NEXT) | instid1(VALU_DEP_1)
	v_lshlrev_b64 v[1:2], 4, v[0:1]
	v_add_co_u32 v1, s0, v20, v1
	s_delay_alu instid0(VALU_DEP_1)
	v_add_co_ci_u32_e64 v2, s0, v22, v2, s0
	global_load_b128 v[23:26], v[1:2], off
	v_fma_f64 v[27:28], s[18:19], v[16:17], -v[27:28]
	v_fma_f64 v[18:19], s[20:21], v[16:17], v[18:19]
	s_waitcnt vmcnt(0)
	v_mul_f64 v[29:30], s[6:7], v[25:26]
	v_mul_f64 v[25:26], s[4:5], v[25:26]
	s_delay_alu instid0(VALU_DEP_2) | instskip(NEXT) | instid1(VALU_DEP_2)
	v_fma_f64 v[16:17], s[4:5], v[23:24], -v[29:30]
	v_fma_f64 v[23:24], s[6:7], v[23:24], v[25:26]
	s_delay_alu instid0(VALU_DEP_2) | instskip(NEXT) | instid1(VALU_DEP_2)
	v_add_f64 v[16:17], v[27:28], v[16:17]
	v_add_f64 v[18:19], v[18:19], v[23:24]
	global_store_b128 v[1:2], v[16:19], off
.LBB1654_5:
	s_or_b32 exec_lo, exec_lo, s1
	v_add_nc_u32_e32 v2, 16, v0
	s_delay_alu instid0(VALU_DEP_1) | instskip(NEXT) | instid1(VALU_DEP_1)
	v_cmp_le_i32_e64 s0, v2, v21
	s_and_b32 s1, vcc_lo, s0
	s_delay_alu instid0(SALU_CYCLE_1)
	s_and_saveexec_b32 s0, s1
	s_cbranch_execz .LBB1654_7
; %bb.6:
	v_ashrrev_i32_e32 v3, 31, v2
	v_mul_f64 v[25:26], s[20:21], v[14:15]
	v_mul_f64 v[14:15], s[18:19], v[14:15]
	s_delay_alu instid0(VALU_DEP_3) | instskip(NEXT) | instid1(VALU_DEP_1)
	v_lshlrev_b64 v[16:17], 4, v[2:3]
	v_add_co_u32 v23, vcc_lo, v20, v16
	s_delay_alu instid0(VALU_DEP_2)
	v_add_co_ci_u32_e32 v24, vcc_lo, v22, v17, vcc_lo
	global_load_b128 v[16:19], v[23:24], off
	v_fma_f64 v[25:26], s[18:19], v[12:13], -v[25:26]
	v_fma_f64 v[14:15], s[20:21], v[12:13], v[14:15]
	s_waitcnt vmcnt(0)
	v_mul_f64 v[27:28], s[6:7], v[18:19]
	v_mul_f64 v[18:19], s[4:5], v[18:19]
	s_delay_alu instid0(VALU_DEP_2) | instskip(NEXT) | instid1(VALU_DEP_2)
	v_fma_f64 v[12:13], s[4:5], v[16:17], -v[27:28]
	v_fma_f64 v[16:17], s[6:7], v[16:17], v[18:19]
	s_delay_alu instid0(VALU_DEP_2) | instskip(NEXT) | instid1(VALU_DEP_2)
	v_add_f64 v[12:13], v[25:26], v[12:13]
	v_add_f64 v[14:15], v[14:15], v[16:17]
	global_store_b128 v[23:24], v[12:15], off
.LBB1654_7:
	s_or_b32 exec_lo, exec_lo, s0
	v_add_nc_u32_e32 v3, 16, v21
	s_delay_alu instid0(VALU_DEP_1) | instskip(SKIP_3) | instid1(VALU_DEP_4)
	v_ashrrev_i32_e32 v1, 31, v3
	v_mul_lo_u32 v14, v3, s11
	v_mad_u64_u32 v[12:13], null, v3, s10, 0
	v_cmp_gt_i32_e32 vcc_lo, s8, v3
	v_mul_lo_u32 v1, v1, s10
	v_cmp_le_i32_e64 s0, v0, v3
	s_delay_alu instid0(VALU_DEP_1) | instskip(NEXT) | instid1(VALU_DEP_2)
	s_and_b32 s0, vcc_lo, s0
	v_add3_u32 v13, v13, v14, v1
	s_delay_alu instid0(VALU_DEP_1) | instskip(NEXT) | instid1(VALU_DEP_1)
	v_lshlrev_b64 v[12:13], 4, v[12:13]
	v_add_co_u32 v12, s1, s2, v12
	s_delay_alu instid0(VALU_DEP_1)
	v_add_co_ci_u32_e64 v13, s1, s3, v13, s1
	s_and_saveexec_b32 s1, s0
	s_cbranch_execz .LBB1654_9
; %bb.8:
	v_ashrrev_i32_e32 v1, 31, v0
	v_mul_f64 v[18:19], s[20:21], v[10:11]
	v_mul_f64 v[10:11], s[18:19], v[10:11]
	s_delay_alu instid0(VALU_DEP_3) | instskip(NEXT) | instid1(VALU_DEP_1)
	v_lshlrev_b64 v[0:1], 4, v[0:1]
	v_add_co_u32 v0, s0, v12, v0
	s_delay_alu instid0(VALU_DEP_1)
	v_add_co_ci_u32_e64 v1, s0, v13, v1, s0
	global_load_b128 v[14:17], v[0:1], off
	v_fma_f64 v[18:19], s[18:19], v[8:9], -v[18:19]
	v_fma_f64 v[10:11], s[20:21], v[8:9], v[10:11]
	s_waitcnt vmcnt(0)
	v_mul_f64 v[20:21], s[6:7], v[16:17]
	v_mul_f64 v[16:17], s[4:5], v[16:17]
	s_delay_alu instid0(VALU_DEP_2) | instskip(NEXT) | instid1(VALU_DEP_2)
	v_fma_f64 v[8:9], s[4:5], v[14:15], -v[20:21]
	v_fma_f64 v[14:15], s[6:7], v[14:15], v[16:17]
	s_delay_alu instid0(VALU_DEP_2) | instskip(NEXT) | instid1(VALU_DEP_2)
	v_add_f64 v[8:9], v[18:19], v[8:9]
	v_add_f64 v[10:11], v[10:11], v[14:15]
	global_store_b128 v[0:1], v[8:11], off
.LBB1654_9:
	s_or_b32 exec_lo, exec_lo, s1
	v_cmp_le_i32_e64 s0, v2, v3
	s_delay_alu instid0(VALU_DEP_1) | instskip(NEXT) | instid1(SALU_CYCLE_1)
	s_and_b32 s0, vcc_lo, s0
	s_and_saveexec_b32 s1, s0
	s_cbranch_execz .LBB1654_11
; %bb.10:
	v_ashrrev_i32_e32 v3, 31, v2
	v_mul_f64 v[10:11], s[20:21], v[4:5]
	v_mul_f64 v[4:5], s[18:19], v[4:5]
	s_delay_alu instid0(VALU_DEP_3) | instskip(NEXT) | instid1(VALU_DEP_1)
	v_lshlrev_b64 v[0:1], 4, v[2:3]
	v_add_co_u32 v8, vcc_lo, v12, v0
	s_delay_alu instid0(VALU_DEP_2)
	v_add_co_ci_u32_e32 v9, vcc_lo, v13, v1, vcc_lo
	global_load_b128 v[0:3], v[8:9], off
	v_fma_f64 v[10:11], s[18:19], v[6:7], -v[10:11]
	v_fma_f64 v[4:5], s[20:21], v[6:7], v[4:5]
	s_waitcnt vmcnt(0)
	v_mul_f64 v[12:13], s[6:7], v[2:3]
	v_mul_f64 v[2:3], s[4:5], v[2:3]
	s_delay_alu instid0(VALU_DEP_2) | instskip(NEXT) | instid1(VALU_DEP_2)
	v_fma_f64 v[6:7], s[4:5], v[0:1], -v[12:13]
	v_fma_f64 v[2:3], s[6:7], v[0:1], v[2:3]
	s_delay_alu instid0(VALU_DEP_2) | instskip(NEXT) | instid1(VALU_DEP_2)
	v_add_f64 v[0:1], v[10:11], v[6:7]
	v_add_f64 v[2:3], v[4:5], v[2:3]
	global_store_b128 v[8:9], v[0:3], off
.LBB1654_11:
	s_nop 0
	s_sendmsg sendmsg(MSG_DEALLOC_VGPRS)
	s_endpgm
	.section	.rodata,"a",@progbits
	.p2align	6, 0x0
	.amdhsa_kernel _ZL37rocblas_syrkx_herkx_restricted_kernelIl19rocblas_complex_numIdELi16ELi32ELi8ELb0ELb0ELc78ELc85EKPKS1_KPS1_EviT_T0_PT8_S7_lSA_S7_lS8_PT9_S7_li
		.amdhsa_group_segment_fixed_size 8192
		.amdhsa_private_segment_fixed_size 0
		.amdhsa_kernarg_size 124
		.amdhsa_user_sgpr_count 13
		.amdhsa_user_sgpr_dispatch_ptr 0
		.amdhsa_user_sgpr_queue_ptr 0
		.amdhsa_user_sgpr_kernarg_segment_ptr 1
		.amdhsa_user_sgpr_dispatch_id 0
		.amdhsa_user_sgpr_private_segment_size 0
		.amdhsa_wavefront_size32 1
		.amdhsa_uses_dynamic_stack 0
		.amdhsa_enable_private_segment 0
		.amdhsa_system_sgpr_workgroup_id_x 1
		.amdhsa_system_sgpr_workgroup_id_y 1
		.amdhsa_system_sgpr_workgroup_id_z 1
		.amdhsa_system_sgpr_workgroup_info 0
		.amdhsa_system_vgpr_workitem_id 1
		.amdhsa_next_free_vgpr 118
		.amdhsa_next_free_sgpr 28
		.amdhsa_reserve_vcc 1
		.amdhsa_float_round_mode_32 0
		.amdhsa_float_round_mode_16_64 0
		.amdhsa_float_denorm_mode_32 3
		.amdhsa_float_denorm_mode_16_64 3
		.amdhsa_dx10_clamp 1
		.amdhsa_ieee_mode 1
		.amdhsa_fp16_overflow 0
		.amdhsa_workgroup_processor_mode 1
		.amdhsa_memory_ordered 1
		.amdhsa_forward_progress 0
		.amdhsa_shared_vgpr_count 0
		.amdhsa_exception_fp_ieee_invalid_op 0
		.amdhsa_exception_fp_denorm_src 0
		.amdhsa_exception_fp_ieee_div_zero 0
		.amdhsa_exception_fp_ieee_overflow 0
		.amdhsa_exception_fp_ieee_underflow 0
		.amdhsa_exception_fp_ieee_inexact 0
		.amdhsa_exception_int_div_zero 0
	.end_amdhsa_kernel
	.section	.text._ZL37rocblas_syrkx_herkx_restricted_kernelIl19rocblas_complex_numIdELi16ELi32ELi8ELb0ELb0ELc78ELc85EKPKS1_KPS1_EviT_T0_PT8_S7_lSA_S7_lS8_PT9_S7_li,"axG",@progbits,_ZL37rocblas_syrkx_herkx_restricted_kernelIl19rocblas_complex_numIdELi16ELi32ELi8ELb0ELb0ELc78ELc85EKPKS1_KPS1_EviT_T0_PT8_S7_lSA_S7_lS8_PT9_S7_li,comdat
.Lfunc_end1654:
	.size	_ZL37rocblas_syrkx_herkx_restricted_kernelIl19rocblas_complex_numIdELi16ELi32ELi8ELb0ELb0ELc78ELc85EKPKS1_KPS1_EviT_T0_PT8_S7_lSA_S7_lS8_PT9_S7_li, .Lfunc_end1654-_ZL37rocblas_syrkx_herkx_restricted_kernelIl19rocblas_complex_numIdELi16ELi32ELi8ELb0ELb0ELc78ELc85EKPKS1_KPS1_EviT_T0_PT8_S7_lSA_S7_lS8_PT9_S7_li
                                        ; -- End function
	.section	.AMDGPU.csdata,"",@progbits
; Kernel info:
; codeLenInByte = 3368
; NumSgprs: 30
; NumVgprs: 118
; ScratchSize: 0
; MemoryBound: 0
; FloatMode: 240
; IeeeMode: 1
; LDSByteSize: 8192 bytes/workgroup (compile time only)
; SGPRBlocks: 3
; VGPRBlocks: 14
; NumSGPRsForWavesPerEU: 30
; NumVGPRsForWavesPerEU: 118
; Occupancy: 12
; WaveLimiterHint : 1
; COMPUTE_PGM_RSRC2:SCRATCH_EN: 0
; COMPUTE_PGM_RSRC2:USER_SGPR: 13
; COMPUTE_PGM_RSRC2:TRAP_HANDLER: 0
; COMPUTE_PGM_RSRC2:TGID_X_EN: 1
; COMPUTE_PGM_RSRC2:TGID_Y_EN: 1
; COMPUTE_PGM_RSRC2:TGID_Z_EN: 1
; COMPUTE_PGM_RSRC2:TIDIG_COMP_CNT: 1
	.section	.text._ZL41rocblas_syrkx_herkx_small_restrict_kernelIl19rocblas_complex_numIdELi16ELb1ELb0ELc84ELc76EKPKS1_KPS1_EviT_T0_PT6_S7_lSA_S7_lS8_PT7_S7_li,"axG",@progbits,_ZL41rocblas_syrkx_herkx_small_restrict_kernelIl19rocblas_complex_numIdELi16ELb1ELb0ELc84ELc76EKPKS1_KPS1_EviT_T0_PT6_S7_lSA_S7_lS8_PT7_S7_li,comdat
	.globl	_ZL41rocblas_syrkx_herkx_small_restrict_kernelIl19rocblas_complex_numIdELi16ELb1ELb0ELc84ELc76EKPKS1_KPS1_EviT_T0_PT6_S7_lSA_S7_lS8_PT7_S7_li ; -- Begin function _ZL41rocblas_syrkx_herkx_small_restrict_kernelIl19rocblas_complex_numIdELi16ELb1ELb0ELc84ELc76EKPKS1_KPS1_EviT_T0_PT6_S7_lSA_S7_lS8_PT7_S7_li
	.p2align	8
	.type	_ZL41rocblas_syrkx_herkx_small_restrict_kernelIl19rocblas_complex_numIdELi16ELb1ELb0ELc84ELc76EKPKS1_KPS1_EviT_T0_PT6_S7_lSA_S7_lS8_PT7_S7_li,@function
_ZL41rocblas_syrkx_herkx_small_restrict_kernelIl19rocblas_complex_numIdELi16ELb1ELb0ELc84ELc76EKPKS1_KPS1_EviT_T0_PT6_S7_lSA_S7_lS8_PT7_S7_li: ; @_ZL41rocblas_syrkx_herkx_small_restrict_kernelIl19rocblas_complex_numIdELi16ELb1ELb0ELc84ELc76EKPKS1_KPS1_EviT_T0_PT6_S7_lSA_S7_lS8_PT7_S7_li
; %bb.0:
	s_clause 0x1
	s_load_b128 s[16:19], s[0:1], 0x60
	s_load_b256 s[4:11], s[0:1], 0x8
	s_mov_b32 s2, s15
	s_mov_b32 s3, 0
	v_and_b32_e32 v2, 0x3ff, v0
	s_lshl_b64 s[20:21], s[2:3], 3
	v_bfe_u32 v3, v0, 10, 10
	v_mov_b32_e32 v6, 0
	v_mov_b32_e32 v7, 0
	v_lshl_add_u32 v0, s13, 4, v2
	s_delay_alu instid0(VALU_DEP_4) | instskip(NEXT) | instid1(VALU_DEP_3)
	v_lshl_add_u32 v10, s14, 4, v3
	v_dual_mov_b32 v9, v7 :: v_dual_mov_b32 v8, v6
	s_delay_alu instid0(VALU_DEP_3) | instskip(NEXT) | instid1(VALU_DEP_3)
	v_ashrrev_i32_e32 v1, 31, v0
	v_ashrrev_i32_e32 v11, 31, v10
	s_waitcnt lgkmcnt(0)
	s_add_u32 s2, s16, s20
	s_addc_u32 s3, s17, s21
	s_load_b64 s[16:17], s[0:1], 0x28
	s_load_b64 s[2:3], s[2:3], 0x0
	v_cmp_lt_i64_e64 s12, s[4:5], 1
	s_delay_alu instid0(VALU_DEP_1)
	s_and_b32 vcc_lo, exec_lo, s12
	s_cbranch_vccnz .LBB1655_3
; %bb.1:
	s_load_b128 s[12:15], s[0:1], 0x38
	s_waitcnt lgkmcnt(0)
	v_mul_lo_u32 v6, v0, s17
	v_mul_lo_u32 v7, v1, s16
	v_mad_u64_u32 v[4:5], null, v0, s16, 0
	v_lshlrev_b32_e32 v17, 4, v3
	v_lshlrev_b32_e32 v16, 8, v3
	s_delay_alu instid0(VALU_DEP_3) | instskip(SKIP_2) | instid1(VALU_DEP_4)
	v_add3_u32 v5, v5, v6, v7
	v_mov_b32_e32 v6, 0
	v_dual_mov_b32 v7, 0 :: v_dual_lshlrev_b32 v12, 4, v2
	v_add_nc_u32_e32 v13, 0x1000, v16
	s_delay_alu instid0(VALU_DEP_4)
	v_lshlrev_b64 v[4:5], 4, v[4:5]
	s_add_u32 s0, s12, s20
	s_addc_u32 s1, s13, s21
	s_add_u32 s10, s10, s20
	s_load_b64 s[0:1], s[0:1], 0x0
	s_addc_u32 s11, s11, s21
	v_mul_lo_u32 v14, v10, s15
	v_mul_lo_u32 v15, v11, s14
	v_mad_u64_u32 v[8:9], null, v10, s14, 0
	s_load_b64 s[10:11], s[10:11], 0x0
	s_delay_alu instid0(VALU_DEP_1) | instskip(NEXT) | instid1(VALU_DEP_1)
	v_add3_u32 v9, v9, v14, v15
	v_lshlrev_b64 v[2:3], 4, v[8:9]
	s_waitcnt lgkmcnt(0)
	v_add_co_u32 v8, s0, s0, v12
	s_delay_alu instid0(VALU_DEP_1) | instskip(NEXT) | instid1(VALU_DEP_2)
	v_add_co_ci_u32_e64 v9, null, s1, 0, s0
	v_add_co_u32 v2, vcc_lo, v8, v2
	s_delay_alu instid0(VALU_DEP_2) | instskip(SKIP_3) | instid1(VALU_DEP_1)
	v_add_co_ci_u32_e32 v3, vcc_lo, v9, v3, vcc_lo
	v_dual_mov_b32 v9, v7 :: v_dual_mov_b32 v8, v6
	v_add_nc_u32_e32 v14, v12, v16
	v_add_co_u32 v16, s0, s10, v17
	v_add_co_ci_u32_e64 v17, null, s11, 0, s0
	v_add_nc_u32_e32 v15, v13, v12
	s_delay_alu instid0(VALU_DEP_3) | instskip(NEXT) | instid1(VALU_DEP_3)
	v_add_co_u32 v4, vcc_lo, v16, v4
	v_add_co_ci_u32_e32 v5, vcc_lo, v17, v5, vcc_lo
	s_mov_b64 s[0:1], 0
.LBB1655_2:                             ; =>This Inner Loop Header: Depth=1
	global_load_b128 v[16:19], v[4:5], off
	global_load_b128 v[20:23], v[2:3], off
	s_add_u32 s0, s0, 16
	v_add_co_u32 v2, vcc_lo, 0x100, v2
	s_addc_u32 s1, s1, 0
	v_add_co_ci_u32_e32 v3, vcc_lo, 0, v3, vcc_lo
	v_cmp_lt_i64_e64 s10, s[0:1], s[4:5]
	v_add_co_u32 v4, vcc_lo, 0x100, v4
	v_add_co_ci_u32_e32 v5, vcc_lo, 0, v5, vcc_lo
	s_waitcnt vmcnt(1)
	ds_store_2addr_b64 v14, v[16:17], v[18:19] offset1:1
	s_waitcnt vmcnt(0)
	ds_store_2addr_b64 v15, v[20:21], v[22:23] offset1:1
	s_waitcnt lgkmcnt(0)
	s_barrier
	buffer_gl0_inv
	ds_load_b128 v[16:19], v12
	ds_load_b128 v[20:23], v13
	ds_load_b128 v[24:27], v13 offset:16
	ds_load_b128 v[28:31], v12 offset:256
	s_and_b32 vcc_lo, exec_lo, s10
	s_waitcnt lgkmcnt(2)
	v_mul_f64 v[32:33], v[22:23], v[18:19]
	v_mul_f64 v[18:19], v[20:21], v[18:19]
	s_waitcnt lgkmcnt(0)
	v_mul_f64 v[38:39], v[26:27], v[30:31]
	v_mul_f64 v[40:41], v[24:25], v[30:31]
	s_delay_alu instid0(VALU_DEP_4) | instskip(NEXT) | instid1(VALU_DEP_4)
	v_fma_f64 v[42:43], v[20:21], v[16:17], -v[32:33]
	v_fma_f64 v[44:45], v[22:23], v[16:17], v[18:19]
	ds_load_b128 v[16:19], v12 offset:512
	ds_load_b128 v[20:23], v13 offset:32
	;; [unrolled: 1-line block ×4, first 2 shown]
	v_fma_f64 v[24:25], v[24:25], v[28:29], -v[38:39]
	v_fma_f64 v[26:27], v[26:27], v[28:29], v[40:41]
	s_waitcnt lgkmcnt(2)
	v_mul_f64 v[46:47], v[22:23], v[18:19]
	v_mul_f64 v[18:19], v[20:21], v[18:19]
	s_waitcnt lgkmcnt(0)
	v_mul_f64 v[28:29], v[32:33], v[36:37]
	v_mul_f64 v[36:37], v[30:31], v[36:37]
	v_add_f64 v[8:9], v[8:9], v[42:43]
	v_add_f64 v[6:7], v[6:7], v[44:45]
	v_fma_f64 v[38:39], v[20:21], v[16:17], -v[46:47]
	v_fma_f64 v[40:41], v[22:23], v[16:17], v[18:19]
	v_fma_f64 v[28:29], v[30:31], v[34:35], -v[28:29]
	v_fma_f64 v[30:31], v[32:33], v[34:35], v[36:37]
	v_add_f64 v[42:43], v[8:9], v[24:25]
	v_add_f64 v[44:45], v[6:7], v[26:27]
	ds_load_b128 v[6:9], v12 offset:1024
	ds_load_b128 v[16:19], v13 offset:64
	;; [unrolled: 1-line block ×4, first 2 shown]
	s_waitcnt lgkmcnt(2)
	v_mul_f64 v[46:47], v[18:19], v[8:9]
	v_mul_f64 v[8:9], v[16:17], v[8:9]
	s_waitcnt lgkmcnt(0)
	v_mul_f64 v[36:37], v[22:23], v[26:27]
	v_add_f64 v[32:33], v[42:43], v[38:39]
	v_add_f64 v[34:35], v[44:45], v[40:41]
	v_mul_f64 v[38:39], v[20:21], v[26:27]
	v_fma_f64 v[40:41], v[16:17], v[6:7], -v[46:47]
	v_fma_f64 v[42:43], v[18:19], v[6:7], v[8:9]
	v_fma_f64 v[20:21], v[20:21], v[24:25], -v[36:37]
	v_add_f64 v[44:45], v[32:33], v[28:29]
	v_add_f64 v[34:35], v[34:35], v[30:31]
	ds_load_b128 v[6:9], v12 offset:1536
	ds_load_b128 v[16:19], v13 offset:96
	;; [unrolled: 1-line block ×4, first 2 shown]
	v_fma_f64 v[22:23], v[22:23], v[24:25], v[38:39]
	s_waitcnt lgkmcnt(2)
	v_mul_f64 v[46:47], v[18:19], v[8:9]
	v_mul_f64 v[8:9], v[16:17], v[8:9]
	s_waitcnt lgkmcnt(0)
	v_mul_f64 v[36:37], v[28:29], v[32:33]
	v_mul_f64 v[38:39], v[26:27], v[32:33]
	v_add_f64 v[24:25], v[44:45], v[40:41]
	v_add_f64 v[34:35], v[34:35], v[42:43]
	v_fma_f64 v[40:41], v[16:17], v[6:7], -v[46:47]
	v_fma_f64 v[42:43], v[18:19], v[6:7], v[8:9]
	v_fma_f64 v[26:27], v[26:27], v[30:31], -v[36:37]
	v_fma_f64 v[28:29], v[28:29], v[30:31], v[38:39]
	v_add_f64 v[24:25], v[24:25], v[20:21]
	v_add_f64 v[44:45], v[34:35], v[22:23]
	ds_load_b128 v[6:9], v12 offset:2048
	ds_load_b128 v[16:19], v13 offset:128
	ds_load_b128 v[20:23], v13 offset:144
	ds_load_b128 v[32:35], v12 offset:2304
	s_waitcnt lgkmcnt(2)
	v_mul_f64 v[46:47], v[18:19], v[8:9]
	v_mul_f64 v[8:9], v[16:17], v[8:9]
	s_waitcnt lgkmcnt(0)
	v_mul_f64 v[36:37], v[22:23], v[34:35]
	v_mul_f64 v[34:35], v[20:21], v[34:35]
	v_add_f64 v[24:25], v[24:25], v[40:41]
	v_add_f64 v[30:31], v[44:45], v[42:43]
	v_fma_f64 v[38:39], v[16:17], v[6:7], -v[46:47]
	v_fma_f64 v[40:41], v[18:19], v[6:7], v[8:9]
	v_fma_f64 v[20:21], v[20:21], v[32:33], -v[36:37]
	v_fma_f64 v[22:23], v[22:23], v[32:33], v[34:35]
	v_add_f64 v[42:43], v[24:25], v[26:27]
	v_add_f64 v[44:45], v[30:31], v[28:29]
	ds_load_b128 v[6:9], v12 offset:2560
	ds_load_b128 v[16:19], v13 offset:160
	;; [unrolled: 1-line block ×4, first 2 shown]
	s_waitcnt lgkmcnt(2)
	v_mul_f64 v[46:47], v[18:19], v[8:9]
	v_mul_f64 v[8:9], v[16:17], v[8:9]
	s_waitcnt lgkmcnt(0)
	v_mul_f64 v[36:37], v[26:27], v[30:31]
	v_add_f64 v[32:33], v[42:43], v[38:39]
	v_add_f64 v[34:35], v[44:45], v[40:41]
	v_mul_f64 v[38:39], v[24:25], v[30:31]
	v_fma_f64 v[40:41], v[16:17], v[6:7], -v[46:47]
	v_fma_f64 v[42:43], v[18:19], v[6:7], v[8:9]
	v_fma_f64 v[24:25], v[24:25], v[28:29], -v[36:37]
	v_add_f64 v[44:45], v[32:33], v[20:21]
	v_add_f64 v[34:35], v[34:35], v[22:23]
	ds_load_b128 v[6:9], v12 offset:3072
	ds_load_b128 v[16:19], v13 offset:192
	;; [unrolled: 1-line block ×4, first 2 shown]
	v_fma_f64 v[26:27], v[26:27], v[28:29], v[38:39]
	s_waitcnt lgkmcnt(2)
	v_mul_f64 v[46:47], v[18:19], v[8:9]
	v_mul_f64 v[8:9], v[16:17], v[8:9]
	s_waitcnt lgkmcnt(0)
	v_mul_f64 v[36:37], v[22:23], v[32:33]
	v_mul_f64 v[38:39], v[20:21], v[32:33]
	v_add_f64 v[28:29], v[44:45], v[40:41]
	v_add_f64 v[34:35], v[34:35], v[42:43]
	v_fma_f64 v[40:41], v[16:17], v[6:7], -v[46:47]
	v_fma_f64 v[42:43], v[18:19], v[6:7], v[8:9]
	v_fma_f64 v[20:21], v[20:21], v[30:31], -v[36:37]
	v_fma_f64 v[22:23], v[22:23], v[30:31], v[38:39]
	v_add_f64 v[28:29], v[28:29], v[24:25]
	v_add_f64 v[44:45], v[34:35], v[26:27]
	ds_load_b128 v[6:9], v12 offset:3584
	ds_load_b128 v[16:19], v13 offset:224
	ds_load_b128 v[24:27], v13 offset:240
	ds_load_b128 v[32:35], v12 offset:3840
	s_waitcnt lgkmcnt(0)
	s_barrier
	buffer_gl0_inv
	v_mul_f64 v[46:47], v[18:19], v[8:9]
	v_mul_f64 v[8:9], v[16:17], v[8:9]
	;; [unrolled: 1-line block ×4, first 2 shown]
	v_add_f64 v[28:29], v[28:29], v[40:41]
	v_add_f64 v[30:31], v[44:45], v[42:43]
	v_fma_f64 v[16:17], v[16:17], v[6:7], -v[46:47]
	v_fma_f64 v[6:7], v[18:19], v[6:7], v[8:9]
	s_delay_alu instid0(VALU_DEP_4) | instskip(NEXT) | instid1(VALU_DEP_4)
	v_add_f64 v[8:9], v[28:29], v[20:21]
	v_add_f64 v[18:19], v[30:31], v[22:23]
	v_fma_f64 v[20:21], v[24:25], v[32:33], -v[36:37]
	v_fma_f64 v[22:23], v[26:27], v[32:33], v[34:35]
	s_delay_alu instid0(VALU_DEP_4) | instskip(NEXT) | instid1(VALU_DEP_4)
	v_add_f64 v[8:9], v[8:9], v[16:17]
	v_add_f64 v[6:7], v[18:19], v[6:7]
	s_delay_alu instid0(VALU_DEP_2) | instskip(NEXT) | instid1(VALU_DEP_2)
	v_add_f64 v[8:9], v[8:9], v[20:21]
	v_add_f64 v[6:7], v[6:7], v[22:23]
	s_cbranch_vccnz .LBB1655_2
.LBB1655_3:
	s_mov_b32 s0, exec_lo
	v_cmpx_le_i32_e64 v10, v0
	s_cbranch_execz .LBB1655_5
; %bb.4:
	s_delay_alu instid0(VALU_DEP_2) | instskip(SKIP_3) | instid1(VALU_DEP_4)
	v_mul_f64 v[2:3], s[8:9], v[6:7]
	v_mul_f64 v[4:5], s[6:7], v[6:7]
	v_mad_u64_u32 v[6:7], null, v10, s18, 0
	v_lshlrev_b64 v[0:1], 4, v[0:1]
	v_fma_f64 v[2:3], s[6:7], v[8:9], -v[2:3]
	s_delay_alu instid0(VALU_DEP_4) | instskip(SKIP_2) | instid1(VALU_DEP_1)
	v_fma_f64 v[4:5], s[8:9], v[8:9], v[4:5]
	v_mul_lo_u32 v8, v10, s19
	v_mul_lo_u32 v9, v11, s18
	v_add3_u32 v7, v7, v8, v9
	s_delay_alu instid0(VALU_DEP_1) | instskip(SKIP_1) | instid1(VALU_DEP_1)
	v_lshlrev_b64 v[6:7], 4, v[6:7]
	s_waitcnt lgkmcnt(0)
	v_add_co_u32 v6, vcc_lo, s2, v6
	s_delay_alu instid0(VALU_DEP_2) | instskip(NEXT) | instid1(VALU_DEP_2)
	v_add_co_ci_u32_e32 v7, vcc_lo, s3, v7, vcc_lo
	v_add_co_u32 v0, vcc_lo, v6, v0
	s_delay_alu instid0(VALU_DEP_2)
	v_add_co_ci_u32_e32 v1, vcc_lo, v7, v1, vcc_lo
	global_store_b128 v[0:1], v[2:5], off
.LBB1655_5:
	s_nop 0
	s_sendmsg sendmsg(MSG_DEALLOC_VGPRS)
	s_endpgm
	.section	.rodata,"a",@progbits
	.p2align	6, 0x0
	.amdhsa_kernel _ZL41rocblas_syrkx_herkx_small_restrict_kernelIl19rocblas_complex_numIdELi16ELb1ELb0ELc84ELc76EKPKS1_KPS1_EviT_T0_PT6_S7_lSA_S7_lS8_PT7_S7_li
		.amdhsa_group_segment_fixed_size 8192
		.amdhsa_private_segment_fixed_size 0
		.amdhsa_kernarg_size 124
		.amdhsa_user_sgpr_count 13
		.amdhsa_user_sgpr_dispatch_ptr 0
		.amdhsa_user_sgpr_queue_ptr 0
		.amdhsa_user_sgpr_kernarg_segment_ptr 1
		.amdhsa_user_sgpr_dispatch_id 0
		.amdhsa_user_sgpr_private_segment_size 0
		.amdhsa_wavefront_size32 1
		.amdhsa_uses_dynamic_stack 0
		.amdhsa_enable_private_segment 0
		.amdhsa_system_sgpr_workgroup_id_x 1
		.amdhsa_system_sgpr_workgroup_id_y 1
		.amdhsa_system_sgpr_workgroup_id_z 1
		.amdhsa_system_sgpr_workgroup_info 0
		.amdhsa_system_vgpr_workitem_id 1
		.amdhsa_next_free_vgpr 48
		.amdhsa_next_free_sgpr 22
		.amdhsa_reserve_vcc 1
		.amdhsa_float_round_mode_32 0
		.amdhsa_float_round_mode_16_64 0
		.amdhsa_float_denorm_mode_32 3
		.amdhsa_float_denorm_mode_16_64 3
		.amdhsa_dx10_clamp 1
		.amdhsa_ieee_mode 1
		.amdhsa_fp16_overflow 0
		.amdhsa_workgroup_processor_mode 1
		.amdhsa_memory_ordered 1
		.amdhsa_forward_progress 0
		.amdhsa_shared_vgpr_count 0
		.amdhsa_exception_fp_ieee_invalid_op 0
		.amdhsa_exception_fp_denorm_src 0
		.amdhsa_exception_fp_ieee_div_zero 0
		.amdhsa_exception_fp_ieee_overflow 0
		.amdhsa_exception_fp_ieee_underflow 0
		.amdhsa_exception_fp_ieee_inexact 0
		.amdhsa_exception_int_div_zero 0
	.end_amdhsa_kernel
	.section	.text._ZL41rocblas_syrkx_herkx_small_restrict_kernelIl19rocblas_complex_numIdELi16ELb1ELb0ELc84ELc76EKPKS1_KPS1_EviT_T0_PT6_S7_lSA_S7_lS8_PT7_S7_li,"axG",@progbits,_ZL41rocblas_syrkx_herkx_small_restrict_kernelIl19rocblas_complex_numIdELi16ELb1ELb0ELc84ELc76EKPKS1_KPS1_EviT_T0_PT6_S7_lSA_S7_lS8_PT7_S7_li,comdat
.Lfunc_end1655:
	.size	_ZL41rocblas_syrkx_herkx_small_restrict_kernelIl19rocblas_complex_numIdELi16ELb1ELb0ELc84ELc76EKPKS1_KPS1_EviT_T0_PT6_S7_lSA_S7_lS8_PT7_S7_li, .Lfunc_end1655-_ZL41rocblas_syrkx_herkx_small_restrict_kernelIl19rocblas_complex_numIdELi16ELb1ELb0ELc84ELc76EKPKS1_KPS1_EviT_T0_PT6_S7_lSA_S7_lS8_PT7_S7_li
                                        ; -- End function
	.section	.AMDGPU.csdata,"",@progbits
; Kernel info:
; codeLenInByte = 1788
; NumSgprs: 24
; NumVgprs: 48
; ScratchSize: 0
; MemoryBound: 0
; FloatMode: 240
; IeeeMode: 1
; LDSByteSize: 8192 bytes/workgroup (compile time only)
; SGPRBlocks: 2
; VGPRBlocks: 5
; NumSGPRsForWavesPerEU: 24
; NumVGPRsForWavesPerEU: 48
; Occupancy: 16
; WaveLimiterHint : 1
; COMPUTE_PGM_RSRC2:SCRATCH_EN: 0
; COMPUTE_PGM_RSRC2:USER_SGPR: 13
; COMPUTE_PGM_RSRC2:TRAP_HANDLER: 0
; COMPUTE_PGM_RSRC2:TGID_X_EN: 1
; COMPUTE_PGM_RSRC2:TGID_Y_EN: 1
; COMPUTE_PGM_RSRC2:TGID_Z_EN: 1
; COMPUTE_PGM_RSRC2:TIDIG_COMP_CNT: 1
	.section	.text._ZL41rocblas_syrkx_herkx_small_restrict_kernelIl19rocblas_complex_numIdELi16ELb1ELb0ELc67ELc76EKPKS1_KPS1_EviT_T0_PT6_S7_lSA_S7_lS8_PT7_S7_li,"axG",@progbits,_ZL41rocblas_syrkx_herkx_small_restrict_kernelIl19rocblas_complex_numIdELi16ELb1ELb0ELc67ELc76EKPKS1_KPS1_EviT_T0_PT6_S7_lSA_S7_lS8_PT7_S7_li,comdat
	.globl	_ZL41rocblas_syrkx_herkx_small_restrict_kernelIl19rocblas_complex_numIdELi16ELb1ELb0ELc67ELc76EKPKS1_KPS1_EviT_T0_PT6_S7_lSA_S7_lS8_PT7_S7_li ; -- Begin function _ZL41rocblas_syrkx_herkx_small_restrict_kernelIl19rocblas_complex_numIdELi16ELb1ELb0ELc67ELc76EKPKS1_KPS1_EviT_T0_PT6_S7_lSA_S7_lS8_PT7_S7_li
	.p2align	8
	.type	_ZL41rocblas_syrkx_herkx_small_restrict_kernelIl19rocblas_complex_numIdELi16ELb1ELb0ELc67ELc76EKPKS1_KPS1_EviT_T0_PT6_S7_lSA_S7_lS8_PT7_S7_li,@function
_ZL41rocblas_syrkx_herkx_small_restrict_kernelIl19rocblas_complex_numIdELi16ELb1ELb0ELc67ELc76EKPKS1_KPS1_EviT_T0_PT6_S7_lSA_S7_lS8_PT7_S7_li: ; @_ZL41rocblas_syrkx_herkx_small_restrict_kernelIl19rocblas_complex_numIdELi16ELb1ELb0ELc67ELc76EKPKS1_KPS1_EviT_T0_PT6_S7_lSA_S7_lS8_PT7_S7_li
; %bb.0:
	s_clause 0x1
	s_load_b128 s[16:19], s[0:1], 0x60
	s_load_b256 s[4:11], s[0:1], 0x8
	s_mov_b32 s2, s15
	s_mov_b32 s3, 0
	v_dual_mov_b32 v6, 0 :: v_dual_and_b32 v3, 0x3ff, v0
	s_lshl_b64 s[20:21], s[2:3], 3
	v_bfe_u32 v2, v0, 10, 10
	v_mov_b32_e32 v7, 0
	s_delay_alu instid0(VALU_DEP_3) | instskip(NEXT) | instid1(VALU_DEP_3)
	v_lshl_add_u32 v0, s13, 4, v3
	v_lshl_add_u32 v10, s14, 4, v2
	s_delay_alu instid0(VALU_DEP_3) | instskip(NEXT) | instid1(VALU_DEP_3)
	v_dual_mov_b32 v9, v7 :: v_dual_mov_b32 v8, v6
	v_ashrrev_i32_e32 v1, 31, v0
	s_delay_alu instid0(VALU_DEP_3)
	v_ashrrev_i32_e32 v11, 31, v10
	s_waitcnt lgkmcnt(0)
	s_add_u32 s2, s16, s20
	s_addc_u32 s3, s17, s21
	s_load_b64 s[16:17], s[0:1], 0x28
	s_load_b64 s[2:3], s[2:3], 0x0
	v_cmp_lt_i64_e64 s12, s[4:5], 1
	s_delay_alu instid0(VALU_DEP_1)
	s_and_b32 vcc_lo, exec_lo, s12
	s_cbranch_vccnz .LBB1656_3
; %bb.1:
	s_load_b128 s[12:15], s[0:1], 0x38
	s_waitcnt lgkmcnt(0)
	v_mul_lo_u32 v6, s17, v0
	v_mul_lo_u32 v7, s16, v1
	v_mad_u64_u32 v[4:5], null, s16, v0, 0
	v_lshlrev_b32_e32 v14, 8, v2
	v_lshlrev_b32_e32 v18, 4, v2
	s_delay_alu instid0(VALU_DEP_3) | instskip(SKIP_3) | instid1(VALU_DEP_4)
	v_add3_u32 v5, v5, v7, v6
	v_mov_b32_e32 v6, 0
	v_dual_mov_b32 v7, 0 :: v_dual_lshlrev_b32 v12, 4, v3
	v_add_nc_u32_e32 v13, 0x1000, v14
	v_lshlrev_b64 v[2:3], 4, v[4:5]
	s_add_u32 s0, s12, s20
	s_addc_u32 s1, s13, s21
	s_add_u32 s10, s10, s20
	s_load_b64 s[0:1], s[0:1], 0x0
	s_addc_u32 s11, s11, s21
	v_mul_lo_u32 v16, v10, s15
	s_load_b64 s[10:11], s[10:11], 0x0
	v_mul_lo_u32 v17, v11, s14
	v_mad_u64_u32 v[8:9], null, v10, s14, 0
	v_add_co_u32 v4, vcc_lo, v2, v18
	v_add_co_ci_u32_e32 v5, vcc_lo, 0, v3, vcc_lo
	s_delay_alu instid0(VALU_DEP_3) | instskip(NEXT) | instid1(VALU_DEP_1)
	v_add3_u32 v9, v9, v16, v17
	v_lshlrev_b64 v[2:3], 4, v[8:9]
	s_waitcnt lgkmcnt(0)
	v_add_co_u32 v8, s0, s0, v12
	s_delay_alu instid0(VALU_DEP_1) | instskip(SKIP_2) | instid1(VALU_DEP_4)
	v_add_co_ci_u32_e64 v9, null, s1, 0, s0
	v_add_co_u32 v4, vcc_lo, v4, s10
	v_add_co_ci_u32_e32 v5, vcc_lo, s11, v5, vcc_lo
	v_add_co_u32 v2, vcc_lo, v8, v2
	s_delay_alu instid0(VALU_DEP_4) | instskip(NEXT) | instid1(VALU_DEP_4)
	v_add_co_ci_u32_e32 v3, vcc_lo, v9, v3, vcc_lo
	v_add_co_u32 v4, vcc_lo, v4, 8
	v_dual_mov_b32 v9, v7 :: v_dual_mov_b32 v8, v6
	v_add_nc_u32_e32 v14, v12, v14
	v_add_nc_u32_e32 v15, v13, v12
	v_add_co_ci_u32_e32 v5, vcc_lo, 0, v5, vcc_lo
	s_mov_b64 s[0:1], 0
.LBB1656_2:                             ; =>This Inner Loop Header: Depth=1
	global_load_b128 v[16:19], v[4:5], off offset:-8
	global_load_b128 v[20:23], v[2:3], off
	s_add_u32 s0, s0, 16
	v_add_co_u32 v2, vcc_lo, 0x100, v2
	s_addc_u32 s1, s1, 0
	v_add_co_ci_u32_e32 v3, vcc_lo, 0, v3, vcc_lo
	v_cmp_lt_i64_e64 s10, s[0:1], s[4:5]
	v_add_co_u32 v4, vcc_lo, 0x100, v4
	v_add_co_ci_u32_e32 v5, vcc_lo, 0, v5, vcc_lo
	s_waitcnt vmcnt(1)
	ds_store_b128 v14, v[16:19]
	s_waitcnt vmcnt(0)
	ds_store_2addr_b64 v15, v[20:21], v[22:23] offset1:1
	s_waitcnt lgkmcnt(0)
	s_barrier
	buffer_gl0_inv
	ds_load_b128 v[16:19], v12
	ds_load_b128 v[20:23], v13
	ds_load_b128 v[24:27], v13 offset:16
	ds_load_b128 v[28:31], v12 offset:256
	s_and_b32 vcc_lo, exec_lo, s10
	s_waitcnt lgkmcnt(2)
	v_mul_f64 v[32:33], v[22:23], v[18:19]
	v_mul_f64 v[18:19], v[20:21], v[18:19]
	s_waitcnt lgkmcnt(0)
	v_mul_f64 v[38:39], v[26:27], v[30:31]
	v_mul_f64 v[40:41], v[24:25], v[30:31]
	s_delay_alu instid0(VALU_DEP_4) | instskip(NEXT) | instid1(VALU_DEP_4)
	v_fma_f64 v[42:43], v[20:21], v[16:17], -v[32:33]
	v_fma_f64 v[44:45], v[22:23], v[16:17], v[18:19]
	ds_load_b128 v[16:19], v12 offset:512
	ds_load_b128 v[20:23], v13 offset:32
	;; [unrolled: 1-line block ×4, first 2 shown]
	v_fma_f64 v[24:25], v[24:25], v[28:29], -v[38:39]
	v_fma_f64 v[26:27], v[26:27], v[28:29], v[40:41]
	s_waitcnt lgkmcnt(2)
	v_mul_f64 v[46:47], v[22:23], v[18:19]
	v_mul_f64 v[18:19], v[20:21], v[18:19]
	s_waitcnt lgkmcnt(0)
	v_mul_f64 v[28:29], v[32:33], v[36:37]
	v_mul_f64 v[36:37], v[30:31], v[36:37]
	v_add_f64 v[8:9], v[8:9], v[42:43]
	v_add_f64 v[6:7], v[6:7], v[44:45]
	v_fma_f64 v[38:39], v[20:21], v[16:17], -v[46:47]
	v_fma_f64 v[40:41], v[22:23], v[16:17], v[18:19]
	v_fma_f64 v[28:29], v[30:31], v[34:35], -v[28:29]
	v_fma_f64 v[30:31], v[32:33], v[34:35], v[36:37]
	v_add_f64 v[42:43], v[8:9], v[24:25]
	v_add_f64 v[44:45], v[6:7], v[26:27]
	ds_load_b128 v[6:9], v12 offset:1024
	ds_load_b128 v[16:19], v13 offset:64
	;; [unrolled: 1-line block ×4, first 2 shown]
	s_waitcnt lgkmcnt(2)
	v_mul_f64 v[46:47], v[18:19], v[8:9]
	v_mul_f64 v[8:9], v[16:17], v[8:9]
	s_waitcnt lgkmcnt(0)
	v_mul_f64 v[36:37], v[22:23], v[26:27]
	v_add_f64 v[32:33], v[42:43], v[38:39]
	v_add_f64 v[34:35], v[44:45], v[40:41]
	v_mul_f64 v[38:39], v[20:21], v[26:27]
	v_fma_f64 v[40:41], v[16:17], v[6:7], -v[46:47]
	v_fma_f64 v[42:43], v[18:19], v[6:7], v[8:9]
	v_fma_f64 v[20:21], v[20:21], v[24:25], -v[36:37]
	v_add_f64 v[44:45], v[32:33], v[28:29]
	v_add_f64 v[34:35], v[34:35], v[30:31]
	ds_load_b128 v[6:9], v12 offset:1536
	ds_load_b128 v[16:19], v13 offset:96
	;; [unrolled: 1-line block ×4, first 2 shown]
	v_fma_f64 v[22:23], v[22:23], v[24:25], v[38:39]
	s_waitcnt lgkmcnt(2)
	v_mul_f64 v[46:47], v[18:19], v[8:9]
	v_mul_f64 v[8:9], v[16:17], v[8:9]
	s_waitcnt lgkmcnt(0)
	v_mul_f64 v[36:37], v[28:29], v[32:33]
	v_mul_f64 v[38:39], v[26:27], v[32:33]
	v_add_f64 v[24:25], v[44:45], v[40:41]
	v_add_f64 v[34:35], v[34:35], v[42:43]
	v_fma_f64 v[40:41], v[16:17], v[6:7], -v[46:47]
	v_fma_f64 v[42:43], v[18:19], v[6:7], v[8:9]
	v_fma_f64 v[26:27], v[26:27], v[30:31], -v[36:37]
	v_fma_f64 v[28:29], v[28:29], v[30:31], v[38:39]
	v_add_f64 v[24:25], v[24:25], v[20:21]
	v_add_f64 v[44:45], v[34:35], v[22:23]
	ds_load_b128 v[6:9], v12 offset:2048
	ds_load_b128 v[16:19], v13 offset:128
	;; [unrolled: 1-line block ×4, first 2 shown]
	s_waitcnt lgkmcnt(2)
	v_mul_f64 v[46:47], v[18:19], v[8:9]
	v_mul_f64 v[8:9], v[16:17], v[8:9]
	s_waitcnt lgkmcnt(0)
	v_mul_f64 v[36:37], v[22:23], v[34:35]
	v_mul_f64 v[34:35], v[20:21], v[34:35]
	v_add_f64 v[24:25], v[24:25], v[40:41]
	v_add_f64 v[30:31], v[44:45], v[42:43]
	v_fma_f64 v[38:39], v[16:17], v[6:7], -v[46:47]
	v_fma_f64 v[40:41], v[18:19], v[6:7], v[8:9]
	v_fma_f64 v[20:21], v[20:21], v[32:33], -v[36:37]
	v_fma_f64 v[22:23], v[22:23], v[32:33], v[34:35]
	v_add_f64 v[42:43], v[24:25], v[26:27]
	v_add_f64 v[44:45], v[30:31], v[28:29]
	ds_load_b128 v[6:9], v12 offset:2560
	ds_load_b128 v[16:19], v13 offset:160
	ds_load_b128 v[24:27], v13 offset:176
	ds_load_b128 v[28:31], v12 offset:2816
	s_waitcnt lgkmcnt(2)
	v_mul_f64 v[46:47], v[18:19], v[8:9]
	v_mul_f64 v[8:9], v[16:17], v[8:9]
	s_waitcnt lgkmcnt(0)
	v_mul_f64 v[36:37], v[26:27], v[30:31]
	v_add_f64 v[32:33], v[42:43], v[38:39]
	v_add_f64 v[34:35], v[44:45], v[40:41]
	v_mul_f64 v[38:39], v[24:25], v[30:31]
	v_fma_f64 v[40:41], v[16:17], v[6:7], -v[46:47]
	v_fma_f64 v[42:43], v[18:19], v[6:7], v[8:9]
	v_fma_f64 v[24:25], v[24:25], v[28:29], -v[36:37]
	v_add_f64 v[44:45], v[32:33], v[20:21]
	v_add_f64 v[34:35], v[34:35], v[22:23]
	ds_load_b128 v[6:9], v12 offset:3072
	ds_load_b128 v[16:19], v13 offset:192
	;; [unrolled: 1-line block ×4, first 2 shown]
	v_fma_f64 v[26:27], v[26:27], v[28:29], v[38:39]
	s_waitcnt lgkmcnt(2)
	v_mul_f64 v[46:47], v[18:19], v[8:9]
	v_mul_f64 v[8:9], v[16:17], v[8:9]
	s_waitcnt lgkmcnt(0)
	v_mul_f64 v[36:37], v[22:23], v[32:33]
	v_mul_f64 v[38:39], v[20:21], v[32:33]
	v_add_f64 v[28:29], v[44:45], v[40:41]
	v_add_f64 v[34:35], v[34:35], v[42:43]
	v_fma_f64 v[40:41], v[16:17], v[6:7], -v[46:47]
	v_fma_f64 v[42:43], v[18:19], v[6:7], v[8:9]
	v_fma_f64 v[20:21], v[20:21], v[30:31], -v[36:37]
	v_fma_f64 v[22:23], v[22:23], v[30:31], v[38:39]
	v_add_f64 v[28:29], v[28:29], v[24:25]
	v_add_f64 v[44:45], v[34:35], v[26:27]
	ds_load_b128 v[6:9], v12 offset:3584
	ds_load_b128 v[16:19], v13 offset:224
	;; [unrolled: 1-line block ×4, first 2 shown]
	s_waitcnt lgkmcnt(0)
	s_barrier
	buffer_gl0_inv
	v_mul_f64 v[46:47], v[18:19], v[8:9]
	v_mul_f64 v[8:9], v[16:17], v[8:9]
	;; [unrolled: 1-line block ×4, first 2 shown]
	v_add_f64 v[28:29], v[28:29], v[40:41]
	v_add_f64 v[30:31], v[44:45], v[42:43]
	v_fma_f64 v[16:17], v[16:17], v[6:7], -v[46:47]
	v_fma_f64 v[6:7], v[18:19], v[6:7], v[8:9]
	s_delay_alu instid0(VALU_DEP_4) | instskip(NEXT) | instid1(VALU_DEP_4)
	v_add_f64 v[8:9], v[28:29], v[20:21]
	v_add_f64 v[18:19], v[30:31], v[22:23]
	v_fma_f64 v[20:21], v[24:25], v[32:33], -v[36:37]
	v_fma_f64 v[22:23], v[26:27], v[32:33], v[34:35]
	s_delay_alu instid0(VALU_DEP_4) | instskip(NEXT) | instid1(VALU_DEP_4)
	v_add_f64 v[8:9], v[8:9], v[16:17]
	v_add_f64 v[6:7], v[18:19], v[6:7]
	s_delay_alu instid0(VALU_DEP_2) | instskip(NEXT) | instid1(VALU_DEP_2)
	v_add_f64 v[8:9], v[8:9], v[20:21]
	v_add_f64 v[6:7], v[6:7], v[22:23]
	s_cbranch_vccnz .LBB1656_2
.LBB1656_3:
	s_mov_b32 s0, exec_lo
	v_cmpx_le_i32_e64 v10, v0
	s_cbranch_execz .LBB1656_5
; %bb.4:
	s_delay_alu instid0(VALU_DEP_2) | instskip(SKIP_3) | instid1(VALU_DEP_4)
	v_mul_f64 v[2:3], s[8:9], v[6:7]
	v_mul_f64 v[4:5], s[6:7], v[6:7]
	v_mad_u64_u32 v[6:7], null, v10, s18, 0
	v_lshlrev_b64 v[0:1], 4, v[0:1]
	v_fma_f64 v[2:3], s[6:7], v[8:9], -v[2:3]
	s_delay_alu instid0(VALU_DEP_4) | instskip(SKIP_2) | instid1(VALU_DEP_1)
	v_fma_f64 v[4:5], s[8:9], v[8:9], v[4:5]
	v_mul_lo_u32 v8, v10, s19
	v_mul_lo_u32 v9, v11, s18
	v_add3_u32 v7, v7, v8, v9
	s_delay_alu instid0(VALU_DEP_1) | instskip(SKIP_1) | instid1(VALU_DEP_1)
	v_lshlrev_b64 v[6:7], 4, v[6:7]
	s_waitcnt lgkmcnt(0)
	v_add_co_u32 v6, vcc_lo, s2, v6
	s_delay_alu instid0(VALU_DEP_2) | instskip(NEXT) | instid1(VALU_DEP_2)
	v_add_co_ci_u32_e32 v7, vcc_lo, s3, v7, vcc_lo
	v_add_co_u32 v0, vcc_lo, v6, v0
	s_delay_alu instid0(VALU_DEP_2)
	v_add_co_ci_u32_e32 v1, vcc_lo, v7, v1, vcc_lo
	global_store_b128 v[0:1], v[2:5], off
.LBB1656_5:
	s_nop 0
	s_sendmsg sendmsg(MSG_DEALLOC_VGPRS)
	s_endpgm
	.section	.rodata,"a",@progbits
	.p2align	6, 0x0
	.amdhsa_kernel _ZL41rocblas_syrkx_herkx_small_restrict_kernelIl19rocblas_complex_numIdELi16ELb1ELb0ELc67ELc76EKPKS1_KPS1_EviT_T0_PT6_S7_lSA_S7_lS8_PT7_S7_li
		.amdhsa_group_segment_fixed_size 8192
		.amdhsa_private_segment_fixed_size 0
		.amdhsa_kernarg_size 124
		.amdhsa_user_sgpr_count 13
		.amdhsa_user_sgpr_dispatch_ptr 0
		.amdhsa_user_sgpr_queue_ptr 0
		.amdhsa_user_sgpr_kernarg_segment_ptr 1
		.amdhsa_user_sgpr_dispatch_id 0
		.amdhsa_user_sgpr_private_segment_size 0
		.amdhsa_wavefront_size32 1
		.amdhsa_uses_dynamic_stack 0
		.amdhsa_enable_private_segment 0
		.amdhsa_system_sgpr_workgroup_id_x 1
		.amdhsa_system_sgpr_workgroup_id_y 1
		.amdhsa_system_sgpr_workgroup_id_z 1
		.amdhsa_system_sgpr_workgroup_info 0
		.amdhsa_system_vgpr_workitem_id 1
		.amdhsa_next_free_vgpr 48
		.amdhsa_next_free_sgpr 22
		.amdhsa_reserve_vcc 1
		.amdhsa_float_round_mode_32 0
		.amdhsa_float_round_mode_16_64 0
		.amdhsa_float_denorm_mode_32 3
		.amdhsa_float_denorm_mode_16_64 3
		.amdhsa_dx10_clamp 1
		.amdhsa_ieee_mode 1
		.amdhsa_fp16_overflow 0
		.amdhsa_workgroup_processor_mode 1
		.amdhsa_memory_ordered 1
		.amdhsa_forward_progress 0
		.amdhsa_shared_vgpr_count 0
		.amdhsa_exception_fp_ieee_invalid_op 0
		.amdhsa_exception_fp_denorm_src 0
		.amdhsa_exception_fp_ieee_div_zero 0
		.amdhsa_exception_fp_ieee_overflow 0
		.amdhsa_exception_fp_ieee_underflow 0
		.amdhsa_exception_fp_ieee_inexact 0
		.amdhsa_exception_int_div_zero 0
	.end_amdhsa_kernel
	.section	.text._ZL41rocblas_syrkx_herkx_small_restrict_kernelIl19rocblas_complex_numIdELi16ELb1ELb0ELc67ELc76EKPKS1_KPS1_EviT_T0_PT6_S7_lSA_S7_lS8_PT7_S7_li,"axG",@progbits,_ZL41rocblas_syrkx_herkx_small_restrict_kernelIl19rocblas_complex_numIdELi16ELb1ELb0ELc67ELc76EKPKS1_KPS1_EviT_T0_PT6_S7_lSA_S7_lS8_PT7_S7_li,comdat
.Lfunc_end1656:
	.size	_ZL41rocblas_syrkx_herkx_small_restrict_kernelIl19rocblas_complex_numIdELi16ELb1ELb0ELc67ELc76EKPKS1_KPS1_EviT_T0_PT6_S7_lSA_S7_lS8_PT7_S7_li, .Lfunc_end1656-_ZL41rocblas_syrkx_herkx_small_restrict_kernelIl19rocblas_complex_numIdELi16ELb1ELb0ELc67ELc76EKPKS1_KPS1_EviT_T0_PT6_S7_lSA_S7_lS8_PT7_S7_li
                                        ; -- End function
	.section	.AMDGPU.csdata,"",@progbits
; Kernel info:
; codeLenInByte = 1792
; NumSgprs: 24
; NumVgprs: 48
; ScratchSize: 0
; MemoryBound: 0
; FloatMode: 240
; IeeeMode: 1
; LDSByteSize: 8192 bytes/workgroup (compile time only)
; SGPRBlocks: 2
; VGPRBlocks: 5
; NumSGPRsForWavesPerEU: 24
; NumVGPRsForWavesPerEU: 48
; Occupancy: 16
; WaveLimiterHint : 1
; COMPUTE_PGM_RSRC2:SCRATCH_EN: 0
; COMPUTE_PGM_RSRC2:USER_SGPR: 13
; COMPUTE_PGM_RSRC2:TRAP_HANDLER: 0
; COMPUTE_PGM_RSRC2:TGID_X_EN: 1
; COMPUTE_PGM_RSRC2:TGID_Y_EN: 1
; COMPUTE_PGM_RSRC2:TGID_Z_EN: 1
; COMPUTE_PGM_RSRC2:TIDIG_COMP_CNT: 1
	.section	.text._ZL41rocblas_syrkx_herkx_small_restrict_kernelIl19rocblas_complex_numIdELi16ELb1ELb0ELc78ELc76EKPKS1_KPS1_EviT_T0_PT6_S7_lSA_S7_lS8_PT7_S7_li,"axG",@progbits,_ZL41rocblas_syrkx_herkx_small_restrict_kernelIl19rocblas_complex_numIdELi16ELb1ELb0ELc78ELc76EKPKS1_KPS1_EviT_T0_PT6_S7_lSA_S7_lS8_PT7_S7_li,comdat
	.globl	_ZL41rocblas_syrkx_herkx_small_restrict_kernelIl19rocblas_complex_numIdELi16ELb1ELb0ELc78ELc76EKPKS1_KPS1_EviT_T0_PT6_S7_lSA_S7_lS8_PT7_S7_li ; -- Begin function _ZL41rocblas_syrkx_herkx_small_restrict_kernelIl19rocblas_complex_numIdELi16ELb1ELb0ELc78ELc76EKPKS1_KPS1_EviT_T0_PT6_S7_lSA_S7_lS8_PT7_S7_li
	.p2align	8
	.type	_ZL41rocblas_syrkx_herkx_small_restrict_kernelIl19rocblas_complex_numIdELi16ELb1ELb0ELc78ELc76EKPKS1_KPS1_EviT_T0_PT6_S7_lSA_S7_lS8_PT7_S7_li,@function
_ZL41rocblas_syrkx_herkx_small_restrict_kernelIl19rocblas_complex_numIdELi16ELb1ELb0ELc78ELc76EKPKS1_KPS1_EviT_T0_PT6_S7_lSA_S7_lS8_PT7_S7_li: ; @_ZL41rocblas_syrkx_herkx_small_restrict_kernelIl19rocblas_complex_numIdELi16ELb1ELb0ELc78ELc76EKPKS1_KPS1_EviT_T0_PT6_S7_lSA_S7_lS8_PT7_S7_li
; %bb.0:
	s_clause 0x1
	s_load_b128 s[16:19], s[0:1], 0x60
	s_load_b256 s[4:11], s[0:1], 0x8
	s_mov_b32 s2, s15
	s_mov_b32 s3, 0
	v_dual_mov_b32 v8, 0 :: v_dual_and_b32 v5, 0x3ff, v0
	s_lshl_b64 s[22:23], s[2:3], 3
	v_bfe_u32 v4, v0, 10, 10
	v_mov_b32_e32 v9, 0
	s_delay_alu instid0(VALU_DEP_3) | instskip(NEXT) | instid1(VALU_DEP_3)
	v_lshl_add_u32 v0, s13, 4, v5
	v_lshl_add_u32 v2, s14, 4, v4
	s_delay_alu instid0(VALU_DEP_3) | instskip(NEXT) | instid1(VALU_DEP_3)
	v_dual_mov_b32 v11, v9 :: v_dual_mov_b32 v10, v8
	v_ashrrev_i32_e32 v1, 31, v0
	s_delay_alu instid0(VALU_DEP_3)
	v_ashrrev_i32_e32 v3, 31, v2
	s_waitcnt lgkmcnt(0)
	s_add_u32 s2, s16, s22
	s_addc_u32 s3, s17, s23
	s_load_b64 s[20:21], s[0:1], 0x28
	s_load_b64 s[16:17], s[2:3], 0x0
	v_cmp_lt_i64_e64 s2, s[4:5], 1
	s_delay_alu instid0(VALU_DEP_1)
	s_and_b32 vcc_lo, exec_lo, s2
	s_cbranch_vccnz .LBB1657_3
; %bb.1:
	s_load_b128 s[0:3], s[0:1], 0x38
	s_waitcnt lgkmcnt(0)
	v_mad_u64_u32 v[10:11], null, s20, v4, 0
	v_lshlrev_b64 v[16:17], 4, v[2:3]
	v_lshlrev_b64 v[18:19], 4, v[0:1]
	s_delay_alu instid0(VALU_DEP_3)
	v_mov_b32_e32 v8, v11
	v_mad_u64_u32 v[6:7], null, s2, v5, 0
	s_add_u32 s0, s0, s22
	s_addc_u32 s1, s1, s23
	s_add_u32 s10, s10, s22
	s_load_b64 s[0:1], s[0:1], 0x0
	s_addc_u32 s11, s11, s23
	s_load_b64 s[10:11], s[10:11], 0x0
	s_delay_alu instid0(VALU_DEP_1) | instskip(NEXT) | instid1(VALU_DEP_1)
	v_mad_u64_u32 v[13:14], null, s3, v5, v[7:8]
	v_dual_mov_b32 v7, v13 :: v_dual_lshlrev_b32 v20, 8, v4
	s_delay_alu instid0(VALU_DEP_1) | instskip(SKIP_2) | instid1(VALU_DEP_4)
	v_add_nc_u32_e32 v13, 0x1000, v20
	v_mad_u64_u32 v[14:15], null, s21, v4, v[8:9]
	v_lshlrev_b32_e32 v12, 4, v5
	v_lshlrev_b64 v[4:5], 4, v[6:7]
	s_delay_alu instid0(VALU_DEP_3) | instskip(NEXT) | instid1(VALU_DEP_2)
	v_mov_b32_e32 v11, v14
	v_add_co_u32 v4, vcc_lo, v4, v16
	s_delay_alu instid0(VALU_DEP_3) | instskip(NEXT) | instid1(VALU_DEP_3)
	v_add_co_ci_u32_e32 v5, vcc_lo, v5, v17, vcc_lo
	v_lshlrev_b64 v[6:7], 4, v[10:11]
	v_dual_mov_b32 v8, 0 :: v_dual_add_nc_u32 v15, v13, v12
	v_dual_mov_b32 v9, 0 :: v_dual_add_nc_u32 v14, v12, v20
	s_delay_alu instid0(VALU_DEP_3) | instskip(NEXT) | instid1(VALU_DEP_4)
	v_add_co_u32 v6, vcc_lo, v6, v18
	v_add_co_ci_u32_e32 v7, vcc_lo, v7, v19, vcc_lo
	s_waitcnt lgkmcnt(0)
	v_add_co_u32 v10, vcc_lo, v4, s0
	v_add_co_ci_u32_e32 v11, vcc_lo, s1, v5, vcc_lo
	v_add_co_u32 v4, vcc_lo, s10, v6
	v_add_co_ci_u32_e32 v5, vcc_lo, s11, v7, vcc_lo
	s_delay_alu instid0(VALU_DEP_4) | instskip(NEXT) | instid1(VALU_DEP_4)
	v_add_co_u32 v6, vcc_lo, v10, 8
	v_add_co_ci_u32_e32 v7, vcc_lo, 0, v11, vcc_lo
	v_dual_mov_b32 v11, v9 :: v_dual_mov_b32 v10, v8
	s_lshl_b64 s[0:1], s[2:3], 8
	s_lshl_b64 s[2:3], s[20:21], 8
	s_mov_b64 s[10:11], 0
.LBB1657_2:                             ; =>This Inner Loop Header: Depth=1
	global_load_b128 v[16:19], v[4:5], off
	global_load_b128 v[20:23], v[6:7], off offset:-8
	s_add_u32 s10, s10, 16
	v_add_co_u32 v6, vcc_lo, v6, s0
	s_addc_u32 s11, s11, 0
	v_add_co_ci_u32_e32 v7, vcc_lo, s1, v7, vcc_lo
	v_cmp_lt_i64_e64 s12, s[10:11], s[4:5]
	v_add_co_u32 v4, vcc_lo, v4, s2
	v_add_co_ci_u32_e32 v5, vcc_lo, s3, v5, vcc_lo
	s_waitcnt vmcnt(1)
	ds_store_2addr_b64 v14, v[16:17], v[18:19] offset1:1
	s_waitcnt vmcnt(0)
	ds_store_b128 v15, v[20:23]
	s_waitcnt lgkmcnt(0)
	s_barrier
	buffer_gl0_inv
	ds_load_b128 v[16:19], v12
	ds_load_b128 v[20:23], v13
	ds_load_b128 v[24:27], v13 offset:16
	ds_load_b128 v[28:31], v12 offset:256
	s_and_b32 vcc_lo, exec_lo, s12
	s_waitcnt lgkmcnt(2)
	v_mul_f64 v[32:33], v[22:23], v[18:19]
	v_mul_f64 v[18:19], v[20:21], v[18:19]
	s_waitcnt lgkmcnt(0)
	v_mul_f64 v[38:39], v[26:27], v[30:31]
	v_mul_f64 v[40:41], v[24:25], v[30:31]
	s_delay_alu instid0(VALU_DEP_4) | instskip(NEXT) | instid1(VALU_DEP_4)
	v_fma_f64 v[42:43], v[20:21], v[16:17], -v[32:33]
	v_fma_f64 v[44:45], v[22:23], v[16:17], v[18:19]
	ds_load_b128 v[16:19], v12 offset:512
	ds_load_b128 v[20:23], v13 offset:32
	;; [unrolled: 1-line block ×4, first 2 shown]
	v_fma_f64 v[24:25], v[24:25], v[28:29], -v[38:39]
	v_fma_f64 v[26:27], v[26:27], v[28:29], v[40:41]
	s_waitcnt lgkmcnt(2)
	v_mul_f64 v[46:47], v[22:23], v[18:19]
	v_mul_f64 v[18:19], v[20:21], v[18:19]
	s_waitcnt lgkmcnt(0)
	v_mul_f64 v[28:29], v[32:33], v[36:37]
	v_mul_f64 v[36:37], v[30:31], v[36:37]
	v_add_f64 v[10:11], v[10:11], v[42:43]
	v_add_f64 v[8:9], v[8:9], v[44:45]
	v_fma_f64 v[38:39], v[20:21], v[16:17], -v[46:47]
	v_fma_f64 v[40:41], v[22:23], v[16:17], v[18:19]
	v_fma_f64 v[28:29], v[30:31], v[34:35], -v[28:29]
	v_fma_f64 v[30:31], v[32:33], v[34:35], v[36:37]
	v_add_f64 v[42:43], v[10:11], v[24:25]
	v_add_f64 v[44:45], v[8:9], v[26:27]
	ds_load_b128 v[8:11], v12 offset:1024
	ds_load_b128 v[16:19], v13 offset:64
	;; [unrolled: 1-line block ×4, first 2 shown]
	s_waitcnt lgkmcnt(2)
	v_mul_f64 v[46:47], v[18:19], v[10:11]
	v_mul_f64 v[10:11], v[16:17], v[10:11]
	s_waitcnt lgkmcnt(0)
	v_mul_f64 v[36:37], v[22:23], v[26:27]
	v_add_f64 v[32:33], v[42:43], v[38:39]
	v_add_f64 v[34:35], v[44:45], v[40:41]
	v_mul_f64 v[38:39], v[20:21], v[26:27]
	v_fma_f64 v[40:41], v[16:17], v[8:9], -v[46:47]
	v_fma_f64 v[42:43], v[18:19], v[8:9], v[10:11]
	v_fma_f64 v[20:21], v[20:21], v[24:25], -v[36:37]
	v_add_f64 v[44:45], v[32:33], v[28:29]
	v_add_f64 v[34:35], v[34:35], v[30:31]
	ds_load_b128 v[8:11], v12 offset:1536
	ds_load_b128 v[16:19], v13 offset:96
	;; [unrolled: 1-line block ×4, first 2 shown]
	v_fma_f64 v[22:23], v[22:23], v[24:25], v[38:39]
	s_waitcnt lgkmcnt(2)
	v_mul_f64 v[46:47], v[18:19], v[10:11]
	v_mul_f64 v[10:11], v[16:17], v[10:11]
	s_waitcnt lgkmcnt(0)
	v_mul_f64 v[36:37], v[28:29], v[32:33]
	v_mul_f64 v[38:39], v[26:27], v[32:33]
	v_add_f64 v[24:25], v[44:45], v[40:41]
	v_add_f64 v[34:35], v[34:35], v[42:43]
	v_fma_f64 v[40:41], v[16:17], v[8:9], -v[46:47]
	v_fma_f64 v[42:43], v[18:19], v[8:9], v[10:11]
	v_fma_f64 v[26:27], v[26:27], v[30:31], -v[36:37]
	v_fma_f64 v[28:29], v[28:29], v[30:31], v[38:39]
	v_add_f64 v[24:25], v[24:25], v[20:21]
	v_add_f64 v[44:45], v[34:35], v[22:23]
	ds_load_b128 v[8:11], v12 offset:2048
	ds_load_b128 v[16:19], v13 offset:128
	;; [unrolled: 1-line block ×4, first 2 shown]
	s_waitcnt lgkmcnt(2)
	v_mul_f64 v[46:47], v[18:19], v[10:11]
	v_mul_f64 v[10:11], v[16:17], v[10:11]
	s_waitcnt lgkmcnt(0)
	v_mul_f64 v[36:37], v[22:23], v[34:35]
	v_mul_f64 v[34:35], v[20:21], v[34:35]
	v_add_f64 v[24:25], v[24:25], v[40:41]
	v_add_f64 v[30:31], v[44:45], v[42:43]
	v_fma_f64 v[38:39], v[16:17], v[8:9], -v[46:47]
	v_fma_f64 v[40:41], v[18:19], v[8:9], v[10:11]
	v_fma_f64 v[20:21], v[20:21], v[32:33], -v[36:37]
	v_fma_f64 v[22:23], v[22:23], v[32:33], v[34:35]
	v_add_f64 v[42:43], v[24:25], v[26:27]
	v_add_f64 v[44:45], v[30:31], v[28:29]
	ds_load_b128 v[8:11], v12 offset:2560
	ds_load_b128 v[16:19], v13 offset:160
	;; [unrolled: 1-line block ×4, first 2 shown]
	s_waitcnt lgkmcnt(2)
	v_mul_f64 v[46:47], v[18:19], v[10:11]
	v_mul_f64 v[10:11], v[16:17], v[10:11]
	s_waitcnt lgkmcnt(0)
	v_mul_f64 v[36:37], v[26:27], v[30:31]
	v_add_f64 v[32:33], v[42:43], v[38:39]
	v_add_f64 v[34:35], v[44:45], v[40:41]
	v_mul_f64 v[38:39], v[24:25], v[30:31]
	v_fma_f64 v[40:41], v[16:17], v[8:9], -v[46:47]
	v_fma_f64 v[42:43], v[18:19], v[8:9], v[10:11]
	v_fma_f64 v[24:25], v[24:25], v[28:29], -v[36:37]
	v_add_f64 v[44:45], v[32:33], v[20:21]
	v_add_f64 v[34:35], v[34:35], v[22:23]
	ds_load_b128 v[8:11], v12 offset:3072
	ds_load_b128 v[16:19], v13 offset:192
	;; [unrolled: 1-line block ×4, first 2 shown]
	v_fma_f64 v[26:27], v[26:27], v[28:29], v[38:39]
	s_waitcnt lgkmcnt(2)
	v_mul_f64 v[46:47], v[18:19], v[10:11]
	v_mul_f64 v[10:11], v[16:17], v[10:11]
	s_waitcnt lgkmcnt(0)
	v_mul_f64 v[36:37], v[22:23], v[32:33]
	v_mul_f64 v[38:39], v[20:21], v[32:33]
	v_add_f64 v[28:29], v[44:45], v[40:41]
	v_add_f64 v[34:35], v[34:35], v[42:43]
	v_fma_f64 v[40:41], v[16:17], v[8:9], -v[46:47]
	v_fma_f64 v[42:43], v[18:19], v[8:9], v[10:11]
	v_fma_f64 v[20:21], v[20:21], v[30:31], -v[36:37]
	v_fma_f64 v[22:23], v[22:23], v[30:31], v[38:39]
	v_add_f64 v[28:29], v[28:29], v[24:25]
	v_add_f64 v[44:45], v[34:35], v[26:27]
	ds_load_b128 v[8:11], v12 offset:3584
	ds_load_b128 v[16:19], v13 offset:224
	;; [unrolled: 1-line block ×4, first 2 shown]
	s_waitcnt lgkmcnt(0)
	s_barrier
	buffer_gl0_inv
	v_mul_f64 v[46:47], v[18:19], v[10:11]
	v_mul_f64 v[10:11], v[16:17], v[10:11]
	;; [unrolled: 1-line block ×4, first 2 shown]
	v_add_f64 v[28:29], v[28:29], v[40:41]
	v_add_f64 v[30:31], v[44:45], v[42:43]
	v_fma_f64 v[16:17], v[16:17], v[8:9], -v[46:47]
	v_fma_f64 v[8:9], v[18:19], v[8:9], v[10:11]
	s_delay_alu instid0(VALU_DEP_4) | instskip(NEXT) | instid1(VALU_DEP_4)
	v_add_f64 v[10:11], v[28:29], v[20:21]
	v_add_f64 v[18:19], v[30:31], v[22:23]
	v_fma_f64 v[20:21], v[24:25], v[32:33], -v[36:37]
	v_fma_f64 v[22:23], v[26:27], v[32:33], v[34:35]
	s_delay_alu instid0(VALU_DEP_4) | instskip(NEXT) | instid1(VALU_DEP_4)
	v_add_f64 v[10:11], v[10:11], v[16:17]
	v_add_f64 v[8:9], v[18:19], v[8:9]
	s_delay_alu instid0(VALU_DEP_2) | instskip(NEXT) | instid1(VALU_DEP_2)
	v_add_f64 v[10:11], v[10:11], v[20:21]
	v_add_f64 v[8:9], v[8:9], v[22:23]
	s_cbranch_vccnz .LBB1657_2
.LBB1657_3:
	s_mov_b32 s0, exec_lo
	v_cmpx_le_i32_e64 v2, v0
	s_cbranch_execz .LBB1657_5
; %bb.4:
	s_delay_alu instid0(VALU_DEP_2)
	v_mul_f64 v[4:5], s[8:9], v[8:9]
	v_mul_f64 v[6:7], s[6:7], v[8:9]
	v_mul_lo_u32 v3, v3, s18
	v_mad_u64_u32 v[8:9], null, v2, s18, 0
	v_lshlrev_b64 v[0:1], 4, v[0:1]
	v_fma_f64 v[4:5], s[6:7], v[10:11], -v[4:5]
	v_fma_f64 v[6:7], s[8:9], v[10:11], v[6:7]
	v_mul_lo_u32 v10, v2, s19
	s_delay_alu instid0(VALU_DEP_1) | instskip(NEXT) | instid1(VALU_DEP_1)
	v_add3_u32 v9, v9, v10, v3
	v_lshlrev_b64 v[2:3], 4, v[8:9]
	s_waitcnt lgkmcnt(0)
	s_delay_alu instid0(VALU_DEP_1) | instskip(NEXT) | instid1(VALU_DEP_2)
	v_add_co_u32 v2, vcc_lo, s16, v2
	v_add_co_ci_u32_e32 v3, vcc_lo, s17, v3, vcc_lo
	s_delay_alu instid0(VALU_DEP_2) | instskip(NEXT) | instid1(VALU_DEP_2)
	v_add_co_u32 v0, vcc_lo, v2, v0
	v_add_co_ci_u32_e32 v1, vcc_lo, v3, v1, vcc_lo
	global_store_b128 v[0:1], v[4:7], off
.LBB1657_5:
	s_nop 0
	s_sendmsg sendmsg(MSG_DEALLOC_VGPRS)
	s_endpgm
	.section	.rodata,"a",@progbits
	.p2align	6, 0x0
	.amdhsa_kernel _ZL41rocblas_syrkx_herkx_small_restrict_kernelIl19rocblas_complex_numIdELi16ELb1ELb0ELc78ELc76EKPKS1_KPS1_EviT_T0_PT6_S7_lSA_S7_lS8_PT7_S7_li
		.amdhsa_group_segment_fixed_size 8192
		.amdhsa_private_segment_fixed_size 0
		.amdhsa_kernarg_size 124
		.amdhsa_user_sgpr_count 13
		.amdhsa_user_sgpr_dispatch_ptr 0
		.amdhsa_user_sgpr_queue_ptr 0
		.amdhsa_user_sgpr_kernarg_segment_ptr 1
		.amdhsa_user_sgpr_dispatch_id 0
		.amdhsa_user_sgpr_private_segment_size 0
		.amdhsa_wavefront_size32 1
		.amdhsa_uses_dynamic_stack 0
		.amdhsa_enable_private_segment 0
		.amdhsa_system_sgpr_workgroup_id_x 1
		.amdhsa_system_sgpr_workgroup_id_y 1
		.amdhsa_system_sgpr_workgroup_id_z 1
		.amdhsa_system_sgpr_workgroup_info 0
		.amdhsa_system_vgpr_workitem_id 1
		.amdhsa_next_free_vgpr 48
		.amdhsa_next_free_sgpr 24
		.amdhsa_reserve_vcc 1
		.amdhsa_float_round_mode_32 0
		.amdhsa_float_round_mode_16_64 0
		.amdhsa_float_denorm_mode_32 3
		.amdhsa_float_denorm_mode_16_64 3
		.amdhsa_dx10_clamp 1
		.amdhsa_ieee_mode 1
		.amdhsa_fp16_overflow 0
		.amdhsa_workgroup_processor_mode 1
		.amdhsa_memory_ordered 1
		.amdhsa_forward_progress 0
		.amdhsa_shared_vgpr_count 0
		.amdhsa_exception_fp_ieee_invalid_op 0
		.amdhsa_exception_fp_denorm_src 0
		.amdhsa_exception_fp_ieee_div_zero 0
		.amdhsa_exception_fp_ieee_overflow 0
		.amdhsa_exception_fp_ieee_underflow 0
		.amdhsa_exception_fp_ieee_inexact 0
		.amdhsa_exception_int_div_zero 0
	.end_amdhsa_kernel
	.section	.text._ZL41rocblas_syrkx_herkx_small_restrict_kernelIl19rocblas_complex_numIdELi16ELb1ELb0ELc78ELc76EKPKS1_KPS1_EviT_T0_PT6_S7_lSA_S7_lS8_PT7_S7_li,"axG",@progbits,_ZL41rocblas_syrkx_herkx_small_restrict_kernelIl19rocblas_complex_numIdELi16ELb1ELb0ELc78ELc76EKPKS1_KPS1_EviT_T0_PT6_S7_lSA_S7_lS8_PT7_S7_li,comdat
.Lfunc_end1657:
	.size	_ZL41rocblas_syrkx_herkx_small_restrict_kernelIl19rocblas_complex_numIdELi16ELb1ELb0ELc78ELc76EKPKS1_KPS1_EviT_T0_PT6_S7_lSA_S7_lS8_PT7_S7_li, .Lfunc_end1657-_ZL41rocblas_syrkx_herkx_small_restrict_kernelIl19rocblas_complex_numIdELi16ELb1ELb0ELc78ELc76EKPKS1_KPS1_EviT_T0_PT6_S7_lSA_S7_lS8_PT7_S7_li
                                        ; -- End function
	.section	.AMDGPU.csdata,"",@progbits
; Kernel info:
; codeLenInByte = 1788
; NumSgprs: 26
; NumVgprs: 48
; ScratchSize: 0
; MemoryBound: 0
; FloatMode: 240
; IeeeMode: 1
; LDSByteSize: 8192 bytes/workgroup (compile time only)
; SGPRBlocks: 3
; VGPRBlocks: 5
; NumSGPRsForWavesPerEU: 26
; NumVGPRsForWavesPerEU: 48
; Occupancy: 16
; WaveLimiterHint : 1
; COMPUTE_PGM_RSRC2:SCRATCH_EN: 0
; COMPUTE_PGM_RSRC2:USER_SGPR: 13
; COMPUTE_PGM_RSRC2:TRAP_HANDLER: 0
; COMPUTE_PGM_RSRC2:TGID_X_EN: 1
; COMPUTE_PGM_RSRC2:TGID_Y_EN: 1
; COMPUTE_PGM_RSRC2:TGID_Z_EN: 1
; COMPUTE_PGM_RSRC2:TIDIG_COMP_CNT: 1
	.section	.text._ZL41rocblas_syrkx_herkx_small_restrict_kernelIl19rocblas_complex_numIdELi16ELb1ELb0ELc84ELc85EKPKS1_KPS1_EviT_T0_PT6_S7_lSA_S7_lS8_PT7_S7_li,"axG",@progbits,_ZL41rocblas_syrkx_herkx_small_restrict_kernelIl19rocblas_complex_numIdELi16ELb1ELb0ELc84ELc85EKPKS1_KPS1_EviT_T0_PT6_S7_lSA_S7_lS8_PT7_S7_li,comdat
	.globl	_ZL41rocblas_syrkx_herkx_small_restrict_kernelIl19rocblas_complex_numIdELi16ELb1ELb0ELc84ELc85EKPKS1_KPS1_EviT_T0_PT6_S7_lSA_S7_lS8_PT7_S7_li ; -- Begin function _ZL41rocblas_syrkx_herkx_small_restrict_kernelIl19rocblas_complex_numIdELi16ELb1ELb0ELc84ELc85EKPKS1_KPS1_EviT_T0_PT6_S7_lSA_S7_lS8_PT7_S7_li
	.p2align	8
	.type	_ZL41rocblas_syrkx_herkx_small_restrict_kernelIl19rocblas_complex_numIdELi16ELb1ELb0ELc84ELc85EKPKS1_KPS1_EviT_T0_PT6_S7_lSA_S7_lS8_PT7_S7_li,@function
_ZL41rocblas_syrkx_herkx_small_restrict_kernelIl19rocblas_complex_numIdELi16ELb1ELb0ELc84ELc85EKPKS1_KPS1_EviT_T0_PT6_S7_lSA_S7_lS8_PT7_S7_li: ; @_ZL41rocblas_syrkx_herkx_small_restrict_kernelIl19rocblas_complex_numIdELi16ELb1ELb0ELc84ELc85EKPKS1_KPS1_EviT_T0_PT6_S7_lSA_S7_lS8_PT7_S7_li
; %bb.0:
	s_clause 0x1
	s_load_b128 s[16:19], s[0:1], 0x60
	s_load_b256 s[4:11], s[0:1], 0x8
	s_mov_b32 s2, s15
	s_mov_b32 s3, 0
	v_and_b32_e32 v2, 0x3ff, v0
	s_lshl_b64 s[20:21], s[2:3], 3
	v_bfe_u32 v3, v0, 10, 10
	v_mov_b32_e32 v6, 0
	v_mov_b32_e32 v7, 0
	v_lshl_add_u32 v0, s13, 4, v2
	s_delay_alu instid0(VALU_DEP_4) | instskip(NEXT) | instid1(VALU_DEP_3)
	v_lshl_add_u32 v10, s14, 4, v3
	v_dual_mov_b32 v9, v7 :: v_dual_mov_b32 v8, v6
	s_delay_alu instid0(VALU_DEP_3) | instskip(NEXT) | instid1(VALU_DEP_3)
	v_ashrrev_i32_e32 v1, 31, v0
	v_ashrrev_i32_e32 v11, 31, v10
	s_waitcnt lgkmcnt(0)
	s_add_u32 s2, s16, s20
	s_addc_u32 s3, s17, s21
	s_load_b64 s[16:17], s[0:1], 0x28
	s_load_b64 s[2:3], s[2:3], 0x0
	v_cmp_lt_i64_e64 s12, s[4:5], 1
	s_delay_alu instid0(VALU_DEP_1)
	s_and_b32 vcc_lo, exec_lo, s12
	s_cbranch_vccnz .LBB1658_3
; %bb.1:
	s_load_b128 s[12:15], s[0:1], 0x38
	s_waitcnt lgkmcnt(0)
	v_mul_lo_u32 v6, v0, s17
	v_mul_lo_u32 v7, v1, s16
	v_mad_u64_u32 v[4:5], null, v0, s16, 0
	v_lshlrev_b32_e32 v17, 4, v3
	v_lshlrev_b32_e32 v16, 8, v3
	s_delay_alu instid0(VALU_DEP_3) | instskip(SKIP_2) | instid1(VALU_DEP_4)
	v_add3_u32 v5, v5, v6, v7
	v_mov_b32_e32 v6, 0
	v_dual_mov_b32 v7, 0 :: v_dual_lshlrev_b32 v12, 4, v2
	v_add_nc_u32_e32 v13, 0x1000, v16
	s_delay_alu instid0(VALU_DEP_4)
	v_lshlrev_b64 v[4:5], 4, v[4:5]
	s_add_u32 s0, s12, s20
	s_addc_u32 s1, s13, s21
	s_add_u32 s10, s10, s20
	s_load_b64 s[0:1], s[0:1], 0x0
	s_addc_u32 s11, s11, s21
	v_mul_lo_u32 v14, v10, s15
	v_mul_lo_u32 v15, v11, s14
	v_mad_u64_u32 v[8:9], null, v10, s14, 0
	s_load_b64 s[10:11], s[10:11], 0x0
	s_delay_alu instid0(VALU_DEP_1) | instskip(NEXT) | instid1(VALU_DEP_1)
	v_add3_u32 v9, v9, v14, v15
	v_lshlrev_b64 v[2:3], 4, v[8:9]
	s_waitcnt lgkmcnt(0)
	v_add_co_u32 v8, s0, s0, v12
	s_delay_alu instid0(VALU_DEP_1) | instskip(NEXT) | instid1(VALU_DEP_2)
	v_add_co_ci_u32_e64 v9, null, s1, 0, s0
	v_add_co_u32 v2, vcc_lo, v8, v2
	s_delay_alu instid0(VALU_DEP_2) | instskip(SKIP_3) | instid1(VALU_DEP_1)
	v_add_co_ci_u32_e32 v3, vcc_lo, v9, v3, vcc_lo
	v_dual_mov_b32 v9, v7 :: v_dual_mov_b32 v8, v6
	v_add_nc_u32_e32 v14, v12, v16
	v_add_co_u32 v16, s0, s10, v17
	v_add_co_ci_u32_e64 v17, null, s11, 0, s0
	v_add_nc_u32_e32 v15, v13, v12
	s_delay_alu instid0(VALU_DEP_3) | instskip(NEXT) | instid1(VALU_DEP_3)
	v_add_co_u32 v4, vcc_lo, v16, v4
	v_add_co_ci_u32_e32 v5, vcc_lo, v17, v5, vcc_lo
	s_mov_b64 s[0:1], 0
.LBB1658_2:                             ; =>This Inner Loop Header: Depth=1
	global_load_b128 v[16:19], v[4:5], off
	global_load_b128 v[20:23], v[2:3], off
	s_add_u32 s0, s0, 16
	v_add_co_u32 v2, vcc_lo, 0x100, v2
	s_addc_u32 s1, s1, 0
	v_add_co_ci_u32_e32 v3, vcc_lo, 0, v3, vcc_lo
	v_cmp_lt_i64_e64 s10, s[0:1], s[4:5]
	v_add_co_u32 v4, vcc_lo, 0x100, v4
	v_add_co_ci_u32_e32 v5, vcc_lo, 0, v5, vcc_lo
	s_waitcnt vmcnt(1)
	ds_store_2addr_b64 v14, v[16:17], v[18:19] offset1:1
	s_waitcnt vmcnt(0)
	ds_store_2addr_b64 v15, v[20:21], v[22:23] offset1:1
	s_waitcnt lgkmcnt(0)
	s_barrier
	buffer_gl0_inv
	ds_load_b128 v[16:19], v12
	ds_load_b128 v[20:23], v13
	ds_load_b128 v[24:27], v13 offset:16
	ds_load_b128 v[28:31], v12 offset:256
	s_and_b32 vcc_lo, exec_lo, s10
	s_waitcnt lgkmcnt(2)
	v_mul_f64 v[32:33], v[22:23], v[18:19]
	v_mul_f64 v[18:19], v[20:21], v[18:19]
	s_waitcnt lgkmcnt(0)
	v_mul_f64 v[38:39], v[26:27], v[30:31]
	v_mul_f64 v[40:41], v[24:25], v[30:31]
	s_delay_alu instid0(VALU_DEP_4) | instskip(NEXT) | instid1(VALU_DEP_4)
	v_fma_f64 v[42:43], v[20:21], v[16:17], -v[32:33]
	v_fma_f64 v[44:45], v[22:23], v[16:17], v[18:19]
	ds_load_b128 v[16:19], v12 offset:512
	ds_load_b128 v[20:23], v13 offset:32
	ds_load_b128 v[30:33], v13 offset:48
	ds_load_b128 v[34:37], v12 offset:768
	v_fma_f64 v[24:25], v[24:25], v[28:29], -v[38:39]
	v_fma_f64 v[26:27], v[26:27], v[28:29], v[40:41]
	s_waitcnt lgkmcnt(2)
	v_mul_f64 v[46:47], v[22:23], v[18:19]
	v_mul_f64 v[18:19], v[20:21], v[18:19]
	s_waitcnt lgkmcnt(0)
	v_mul_f64 v[28:29], v[32:33], v[36:37]
	v_mul_f64 v[36:37], v[30:31], v[36:37]
	v_add_f64 v[8:9], v[8:9], v[42:43]
	v_add_f64 v[6:7], v[6:7], v[44:45]
	v_fma_f64 v[38:39], v[20:21], v[16:17], -v[46:47]
	v_fma_f64 v[40:41], v[22:23], v[16:17], v[18:19]
	v_fma_f64 v[28:29], v[30:31], v[34:35], -v[28:29]
	v_fma_f64 v[30:31], v[32:33], v[34:35], v[36:37]
	v_add_f64 v[42:43], v[8:9], v[24:25]
	v_add_f64 v[44:45], v[6:7], v[26:27]
	ds_load_b128 v[6:9], v12 offset:1024
	ds_load_b128 v[16:19], v13 offset:64
	;; [unrolled: 1-line block ×4, first 2 shown]
	s_waitcnt lgkmcnt(2)
	v_mul_f64 v[46:47], v[18:19], v[8:9]
	v_mul_f64 v[8:9], v[16:17], v[8:9]
	s_waitcnt lgkmcnt(0)
	v_mul_f64 v[36:37], v[22:23], v[26:27]
	v_add_f64 v[32:33], v[42:43], v[38:39]
	v_add_f64 v[34:35], v[44:45], v[40:41]
	v_mul_f64 v[38:39], v[20:21], v[26:27]
	v_fma_f64 v[40:41], v[16:17], v[6:7], -v[46:47]
	v_fma_f64 v[42:43], v[18:19], v[6:7], v[8:9]
	v_fma_f64 v[20:21], v[20:21], v[24:25], -v[36:37]
	v_add_f64 v[44:45], v[32:33], v[28:29]
	v_add_f64 v[34:35], v[34:35], v[30:31]
	ds_load_b128 v[6:9], v12 offset:1536
	ds_load_b128 v[16:19], v13 offset:96
	;; [unrolled: 1-line block ×4, first 2 shown]
	v_fma_f64 v[22:23], v[22:23], v[24:25], v[38:39]
	s_waitcnt lgkmcnt(2)
	v_mul_f64 v[46:47], v[18:19], v[8:9]
	v_mul_f64 v[8:9], v[16:17], v[8:9]
	s_waitcnt lgkmcnt(0)
	v_mul_f64 v[36:37], v[28:29], v[32:33]
	v_mul_f64 v[38:39], v[26:27], v[32:33]
	v_add_f64 v[24:25], v[44:45], v[40:41]
	v_add_f64 v[34:35], v[34:35], v[42:43]
	v_fma_f64 v[40:41], v[16:17], v[6:7], -v[46:47]
	v_fma_f64 v[42:43], v[18:19], v[6:7], v[8:9]
	v_fma_f64 v[26:27], v[26:27], v[30:31], -v[36:37]
	v_fma_f64 v[28:29], v[28:29], v[30:31], v[38:39]
	v_add_f64 v[24:25], v[24:25], v[20:21]
	v_add_f64 v[44:45], v[34:35], v[22:23]
	ds_load_b128 v[6:9], v12 offset:2048
	ds_load_b128 v[16:19], v13 offset:128
	;; [unrolled: 1-line block ×4, first 2 shown]
	s_waitcnt lgkmcnt(2)
	v_mul_f64 v[46:47], v[18:19], v[8:9]
	v_mul_f64 v[8:9], v[16:17], v[8:9]
	s_waitcnt lgkmcnt(0)
	v_mul_f64 v[36:37], v[22:23], v[34:35]
	v_mul_f64 v[34:35], v[20:21], v[34:35]
	v_add_f64 v[24:25], v[24:25], v[40:41]
	v_add_f64 v[30:31], v[44:45], v[42:43]
	v_fma_f64 v[38:39], v[16:17], v[6:7], -v[46:47]
	v_fma_f64 v[40:41], v[18:19], v[6:7], v[8:9]
	v_fma_f64 v[20:21], v[20:21], v[32:33], -v[36:37]
	v_fma_f64 v[22:23], v[22:23], v[32:33], v[34:35]
	v_add_f64 v[42:43], v[24:25], v[26:27]
	v_add_f64 v[44:45], v[30:31], v[28:29]
	ds_load_b128 v[6:9], v12 offset:2560
	ds_load_b128 v[16:19], v13 offset:160
	;; [unrolled: 1-line block ×4, first 2 shown]
	s_waitcnt lgkmcnt(2)
	v_mul_f64 v[46:47], v[18:19], v[8:9]
	v_mul_f64 v[8:9], v[16:17], v[8:9]
	s_waitcnt lgkmcnt(0)
	v_mul_f64 v[36:37], v[26:27], v[30:31]
	v_add_f64 v[32:33], v[42:43], v[38:39]
	v_add_f64 v[34:35], v[44:45], v[40:41]
	v_mul_f64 v[38:39], v[24:25], v[30:31]
	v_fma_f64 v[40:41], v[16:17], v[6:7], -v[46:47]
	v_fma_f64 v[42:43], v[18:19], v[6:7], v[8:9]
	v_fma_f64 v[24:25], v[24:25], v[28:29], -v[36:37]
	v_add_f64 v[44:45], v[32:33], v[20:21]
	v_add_f64 v[34:35], v[34:35], v[22:23]
	ds_load_b128 v[6:9], v12 offset:3072
	ds_load_b128 v[16:19], v13 offset:192
	;; [unrolled: 1-line block ×4, first 2 shown]
	v_fma_f64 v[26:27], v[26:27], v[28:29], v[38:39]
	s_waitcnt lgkmcnt(2)
	v_mul_f64 v[46:47], v[18:19], v[8:9]
	v_mul_f64 v[8:9], v[16:17], v[8:9]
	s_waitcnt lgkmcnt(0)
	v_mul_f64 v[36:37], v[22:23], v[32:33]
	v_mul_f64 v[38:39], v[20:21], v[32:33]
	v_add_f64 v[28:29], v[44:45], v[40:41]
	v_add_f64 v[34:35], v[34:35], v[42:43]
	v_fma_f64 v[40:41], v[16:17], v[6:7], -v[46:47]
	v_fma_f64 v[42:43], v[18:19], v[6:7], v[8:9]
	v_fma_f64 v[20:21], v[20:21], v[30:31], -v[36:37]
	v_fma_f64 v[22:23], v[22:23], v[30:31], v[38:39]
	v_add_f64 v[28:29], v[28:29], v[24:25]
	v_add_f64 v[44:45], v[34:35], v[26:27]
	ds_load_b128 v[6:9], v12 offset:3584
	ds_load_b128 v[16:19], v13 offset:224
	;; [unrolled: 1-line block ×4, first 2 shown]
	s_waitcnt lgkmcnt(0)
	s_barrier
	buffer_gl0_inv
	v_mul_f64 v[46:47], v[18:19], v[8:9]
	v_mul_f64 v[8:9], v[16:17], v[8:9]
	;; [unrolled: 1-line block ×4, first 2 shown]
	v_add_f64 v[28:29], v[28:29], v[40:41]
	v_add_f64 v[30:31], v[44:45], v[42:43]
	v_fma_f64 v[16:17], v[16:17], v[6:7], -v[46:47]
	v_fma_f64 v[6:7], v[18:19], v[6:7], v[8:9]
	s_delay_alu instid0(VALU_DEP_4) | instskip(NEXT) | instid1(VALU_DEP_4)
	v_add_f64 v[8:9], v[28:29], v[20:21]
	v_add_f64 v[18:19], v[30:31], v[22:23]
	v_fma_f64 v[20:21], v[24:25], v[32:33], -v[36:37]
	v_fma_f64 v[22:23], v[26:27], v[32:33], v[34:35]
	s_delay_alu instid0(VALU_DEP_4) | instskip(NEXT) | instid1(VALU_DEP_4)
	v_add_f64 v[8:9], v[8:9], v[16:17]
	v_add_f64 v[6:7], v[18:19], v[6:7]
	s_delay_alu instid0(VALU_DEP_2) | instskip(NEXT) | instid1(VALU_DEP_2)
	v_add_f64 v[8:9], v[8:9], v[20:21]
	v_add_f64 v[6:7], v[6:7], v[22:23]
	s_cbranch_vccnz .LBB1658_2
.LBB1658_3:
	s_mov_b32 s0, exec_lo
	v_cmpx_le_i32_e64 v0, v10
	s_cbranch_execz .LBB1658_5
; %bb.4:
	s_delay_alu instid0(VALU_DEP_2) | instskip(SKIP_3) | instid1(VALU_DEP_4)
	v_mul_f64 v[2:3], s[8:9], v[6:7]
	v_mul_f64 v[4:5], s[6:7], v[6:7]
	v_mad_u64_u32 v[6:7], null, v10, s18, 0
	v_lshlrev_b64 v[0:1], 4, v[0:1]
	v_fma_f64 v[2:3], s[6:7], v[8:9], -v[2:3]
	s_delay_alu instid0(VALU_DEP_4) | instskip(SKIP_2) | instid1(VALU_DEP_1)
	v_fma_f64 v[4:5], s[8:9], v[8:9], v[4:5]
	v_mul_lo_u32 v8, v10, s19
	v_mul_lo_u32 v9, v11, s18
	v_add3_u32 v7, v7, v8, v9
	s_delay_alu instid0(VALU_DEP_1) | instskip(SKIP_1) | instid1(VALU_DEP_1)
	v_lshlrev_b64 v[6:7], 4, v[6:7]
	s_waitcnt lgkmcnt(0)
	v_add_co_u32 v6, vcc_lo, s2, v6
	s_delay_alu instid0(VALU_DEP_2) | instskip(NEXT) | instid1(VALU_DEP_2)
	v_add_co_ci_u32_e32 v7, vcc_lo, s3, v7, vcc_lo
	v_add_co_u32 v0, vcc_lo, v6, v0
	s_delay_alu instid0(VALU_DEP_2)
	v_add_co_ci_u32_e32 v1, vcc_lo, v7, v1, vcc_lo
	global_store_b128 v[0:1], v[2:5], off
.LBB1658_5:
	s_nop 0
	s_sendmsg sendmsg(MSG_DEALLOC_VGPRS)
	s_endpgm
	.section	.rodata,"a",@progbits
	.p2align	6, 0x0
	.amdhsa_kernel _ZL41rocblas_syrkx_herkx_small_restrict_kernelIl19rocblas_complex_numIdELi16ELb1ELb0ELc84ELc85EKPKS1_KPS1_EviT_T0_PT6_S7_lSA_S7_lS8_PT7_S7_li
		.amdhsa_group_segment_fixed_size 8192
		.amdhsa_private_segment_fixed_size 0
		.amdhsa_kernarg_size 124
		.amdhsa_user_sgpr_count 13
		.amdhsa_user_sgpr_dispatch_ptr 0
		.amdhsa_user_sgpr_queue_ptr 0
		.amdhsa_user_sgpr_kernarg_segment_ptr 1
		.amdhsa_user_sgpr_dispatch_id 0
		.amdhsa_user_sgpr_private_segment_size 0
		.amdhsa_wavefront_size32 1
		.amdhsa_uses_dynamic_stack 0
		.amdhsa_enable_private_segment 0
		.amdhsa_system_sgpr_workgroup_id_x 1
		.amdhsa_system_sgpr_workgroup_id_y 1
		.amdhsa_system_sgpr_workgroup_id_z 1
		.amdhsa_system_sgpr_workgroup_info 0
		.amdhsa_system_vgpr_workitem_id 1
		.amdhsa_next_free_vgpr 48
		.amdhsa_next_free_sgpr 22
		.amdhsa_reserve_vcc 1
		.amdhsa_float_round_mode_32 0
		.amdhsa_float_round_mode_16_64 0
		.amdhsa_float_denorm_mode_32 3
		.amdhsa_float_denorm_mode_16_64 3
		.amdhsa_dx10_clamp 1
		.amdhsa_ieee_mode 1
		.amdhsa_fp16_overflow 0
		.amdhsa_workgroup_processor_mode 1
		.amdhsa_memory_ordered 1
		.amdhsa_forward_progress 0
		.amdhsa_shared_vgpr_count 0
		.amdhsa_exception_fp_ieee_invalid_op 0
		.amdhsa_exception_fp_denorm_src 0
		.amdhsa_exception_fp_ieee_div_zero 0
		.amdhsa_exception_fp_ieee_overflow 0
		.amdhsa_exception_fp_ieee_underflow 0
		.amdhsa_exception_fp_ieee_inexact 0
		.amdhsa_exception_int_div_zero 0
	.end_amdhsa_kernel
	.section	.text._ZL41rocblas_syrkx_herkx_small_restrict_kernelIl19rocblas_complex_numIdELi16ELb1ELb0ELc84ELc85EKPKS1_KPS1_EviT_T0_PT6_S7_lSA_S7_lS8_PT7_S7_li,"axG",@progbits,_ZL41rocblas_syrkx_herkx_small_restrict_kernelIl19rocblas_complex_numIdELi16ELb1ELb0ELc84ELc85EKPKS1_KPS1_EviT_T0_PT6_S7_lSA_S7_lS8_PT7_S7_li,comdat
.Lfunc_end1658:
	.size	_ZL41rocblas_syrkx_herkx_small_restrict_kernelIl19rocblas_complex_numIdELi16ELb1ELb0ELc84ELc85EKPKS1_KPS1_EviT_T0_PT6_S7_lSA_S7_lS8_PT7_S7_li, .Lfunc_end1658-_ZL41rocblas_syrkx_herkx_small_restrict_kernelIl19rocblas_complex_numIdELi16ELb1ELb0ELc84ELc85EKPKS1_KPS1_EviT_T0_PT6_S7_lSA_S7_lS8_PT7_S7_li
                                        ; -- End function
	.section	.AMDGPU.csdata,"",@progbits
; Kernel info:
; codeLenInByte = 1788
; NumSgprs: 24
; NumVgprs: 48
; ScratchSize: 0
; MemoryBound: 0
; FloatMode: 240
; IeeeMode: 1
; LDSByteSize: 8192 bytes/workgroup (compile time only)
; SGPRBlocks: 2
; VGPRBlocks: 5
; NumSGPRsForWavesPerEU: 24
; NumVGPRsForWavesPerEU: 48
; Occupancy: 16
; WaveLimiterHint : 1
; COMPUTE_PGM_RSRC2:SCRATCH_EN: 0
; COMPUTE_PGM_RSRC2:USER_SGPR: 13
; COMPUTE_PGM_RSRC2:TRAP_HANDLER: 0
; COMPUTE_PGM_RSRC2:TGID_X_EN: 1
; COMPUTE_PGM_RSRC2:TGID_Y_EN: 1
; COMPUTE_PGM_RSRC2:TGID_Z_EN: 1
; COMPUTE_PGM_RSRC2:TIDIG_COMP_CNT: 1
	.section	.text._ZL41rocblas_syrkx_herkx_small_restrict_kernelIl19rocblas_complex_numIdELi16ELb1ELb0ELc67ELc85EKPKS1_KPS1_EviT_T0_PT6_S7_lSA_S7_lS8_PT7_S7_li,"axG",@progbits,_ZL41rocblas_syrkx_herkx_small_restrict_kernelIl19rocblas_complex_numIdELi16ELb1ELb0ELc67ELc85EKPKS1_KPS1_EviT_T0_PT6_S7_lSA_S7_lS8_PT7_S7_li,comdat
	.globl	_ZL41rocblas_syrkx_herkx_small_restrict_kernelIl19rocblas_complex_numIdELi16ELb1ELb0ELc67ELc85EKPKS1_KPS1_EviT_T0_PT6_S7_lSA_S7_lS8_PT7_S7_li ; -- Begin function _ZL41rocblas_syrkx_herkx_small_restrict_kernelIl19rocblas_complex_numIdELi16ELb1ELb0ELc67ELc85EKPKS1_KPS1_EviT_T0_PT6_S7_lSA_S7_lS8_PT7_S7_li
	.p2align	8
	.type	_ZL41rocblas_syrkx_herkx_small_restrict_kernelIl19rocblas_complex_numIdELi16ELb1ELb0ELc67ELc85EKPKS1_KPS1_EviT_T0_PT6_S7_lSA_S7_lS8_PT7_S7_li,@function
_ZL41rocblas_syrkx_herkx_small_restrict_kernelIl19rocblas_complex_numIdELi16ELb1ELb0ELc67ELc85EKPKS1_KPS1_EviT_T0_PT6_S7_lSA_S7_lS8_PT7_S7_li: ; @_ZL41rocblas_syrkx_herkx_small_restrict_kernelIl19rocblas_complex_numIdELi16ELb1ELb0ELc67ELc85EKPKS1_KPS1_EviT_T0_PT6_S7_lSA_S7_lS8_PT7_S7_li
; %bb.0:
	s_clause 0x1
	s_load_b128 s[16:19], s[0:1], 0x60
	s_load_b256 s[4:11], s[0:1], 0x8
	s_mov_b32 s2, s15
	s_mov_b32 s3, 0
	v_dual_mov_b32 v6, 0 :: v_dual_and_b32 v3, 0x3ff, v0
	s_lshl_b64 s[20:21], s[2:3], 3
	v_bfe_u32 v2, v0, 10, 10
	v_mov_b32_e32 v7, 0
	s_delay_alu instid0(VALU_DEP_3) | instskip(NEXT) | instid1(VALU_DEP_3)
	v_lshl_add_u32 v0, s13, 4, v3
	v_lshl_add_u32 v10, s14, 4, v2
	s_delay_alu instid0(VALU_DEP_3) | instskip(NEXT) | instid1(VALU_DEP_3)
	v_dual_mov_b32 v9, v7 :: v_dual_mov_b32 v8, v6
	v_ashrrev_i32_e32 v1, 31, v0
	s_delay_alu instid0(VALU_DEP_3)
	v_ashrrev_i32_e32 v11, 31, v10
	s_waitcnt lgkmcnt(0)
	s_add_u32 s2, s16, s20
	s_addc_u32 s3, s17, s21
	s_load_b64 s[16:17], s[0:1], 0x28
	s_load_b64 s[2:3], s[2:3], 0x0
	v_cmp_lt_i64_e64 s12, s[4:5], 1
	s_delay_alu instid0(VALU_DEP_1)
	s_and_b32 vcc_lo, exec_lo, s12
	s_cbranch_vccnz .LBB1659_3
; %bb.1:
	s_load_b128 s[12:15], s[0:1], 0x38
	s_waitcnt lgkmcnt(0)
	v_mul_lo_u32 v6, s17, v0
	v_mul_lo_u32 v7, s16, v1
	v_mad_u64_u32 v[4:5], null, s16, v0, 0
	v_lshlrev_b32_e32 v14, 8, v2
	v_lshlrev_b32_e32 v18, 4, v2
	s_delay_alu instid0(VALU_DEP_3) | instskip(SKIP_3) | instid1(VALU_DEP_4)
	v_add3_u32 v5, v5, v7, v6
	v_mov_b32_e32 v6, 0
	v_dual_mov_b32 v7, 0 :: v_dual_lshlrev_b32 v12, 4, v3
	v_add_nc_u32_e32 v13, 0x1000, v14
	v_lshlrev_b64 v[2:3], 4, v[4:5]
	s_add_u32 s0, s12, s20
	s_addc_u32 s1, s13, s21
	s_add_u32 s10, s10, s20
	s_load_b64 s[0:1], s[0:1], 0x0
	s_addc_u32 s11, s11, s21
	v_mul_lo_u32 v16, v10, s15
	s_load_b64 s[10:11], s[10:11], 0x0
	v_mul_lo_u32 v17, v11, s14
	v_mad_u64_u32 v[8:9], null, v10, s14, 0
	v_add_co_u32 v4, vcc_lo, v2, v18
	v_add_co_ci_u32_e32 v5, vcc_lo, 0, v3, vcc_lo
	s_delay_alu instid0(VALU_DEP_3) | instskip(NEXT) | instid1(VALU_DEP_1)
	v_add3_u32 v9, v9, v16, v17
	v_lshlrev_b64 v[2:3], 4, v[8:9]
	s_waitcnt lgkmcnt(0)
	v_add_co_u32 v8, s0, s0, v12
	s_delay_alu instid0(VALU_DEP_1) | instskip(SKIP_2) | instid1(VALU_DEP_4)
	v_add_co_ci_u32_e64 v9, null, s1, 0, s0
	v_add_co_u32 v4, vcc_lo, v4, s10
	v_add_co_ci_u32_e32 v5, vcc_lo, s11, v5, vcc_lo
	v_add_co_u32 v2, vcc_lo, v8, v2
	s_delay_alu instid0(VALU_DEP_4) | instskip(NEXT) | instid1(VALU_DEP_4)
	v_add_co_ci_u32_e32 v3, vcc_lo, v9, v3, vcc_lo
	v_add_co_u32 v4, vcc_lo, v4, 8
	v_dual_mov_b32 v9, v7 :: v_dual_mov_b32 v8, v6
	v_add_nc_u32_e32 v14, v12, v14
	v_add_nc_u32_e32 v15, v13, v12
	v_add_co_ci_u32_e32 v5, vcc_lo, 0, v5, vcc_lo
	s_mov_b64 s[0:1], 0
.LBB1659_2:                             ; =>This Inner Loop Header: Depth=1
	global_load_b128 v[16:19], v[4:5], off offset:-8
	global_load_b128 v[20:23], v[2:3], off
	s_add_u32 s0, s0, 16
	v_add_co_u32 v2, vcc_lo, 0x100, v2
	s_addc_u32 s1, s1, 0
	v_add_co_ci_u32_e32 v3, vcc_lo, 0, v3, vcc_lo
	v_cmp_lt_i64_e64 s10, s[0:1], s[4:5]
	v_add_co_u32 v4, vcc_lo, 0x100, v4
	v_add_co_ci_u32_e32 v5, vcc_lo, 0, v5, vcc_lo
	s_waitcnt vmcnt(1)
	ds_store_b128 v14, v[16:19]
	s_waitcnt vmcnt(0)
	ds_store_2addr_b64 v15, v[20:21], v[22:23] offset1:1
	s_waitcnt lgkmcnt(0)
	s_barrier
	buffer_gl0_inv
	ds_load_b128 v[16:19], v12
	ds_load_b128 v[20:23], v13
	ds_load_b128 v[24:27], v13 offset:16
	ds_load_b128 v[28:31], v12 offset:256
	s_and_b32 vcc_lo, exec_lo, s10
	s_waitcnt lgkmcnt(2)
	v_mul_f64 v[32:33], v[22:23], v[18:19]
	v_mul_f64 v[18:19], v[20:21], v[18:19]
	s_waitcnt lgkmcnt(0)
	v_mul_f64 v[38:39], v[26:27], v[30:31]
	v_mul_f64 v[40:41], v[24:25], v[30:31]
	s_delay_alu instid0(VALU_DEP_4) | instskip(NEXT) | instid1(VALU_DEP_4)
	v_fma_f64 v[42:43], v[20:21], v[16:17], -v[32:33]
	v_fma_f64 v[44:45], v[22:23], v[16:17], v[18:19]
	ds_load_b128 v[16:19], v12 offset:512
	ds_load_b128 v[20:23], v13 offset:32
	;; [unrolled: 1-line block ×4, first 2 shown]
	v_fma_f64 v[24:25], v[24:25], v[28:29], -v[38:39]
	v_fma_f64 v[26:27], v[26:27], v[28:29], v[40:41]
	s_waitcnt lgkmcnt(2)
	v_mul_f64 v[46:47], v[22:23], v[18:19]
	v_mul_f64 v[18:19], v[20:21], v[18:19]
	s_waitcnt lgkmcnt(0)
	v_mul_f64 v[28:29], v[32:33], v[36:37]
	v_mul_f64 v[36:37], v[30:31], v[36:37]
	v_add_f64 v[8:9], v[8:9], v[42:43]
	v_add_f64 v[6:7], v[6:7], v[44:45]
	v_fma_f64 v[38:39], v[20:21], v[16:17], -v[46:47]
	v_fma_f64 v[40:41], v[22:23], v[16:17], v[18:19]
	v_fma_f64 v[28:29], v[30:31], v[34:35], -v[28:29]
	v_fma_f64 v[30:31], v[32:33], v[34:35], v[36:37]
	v_add_f64 v[42:43], v[8:9], v[24:25]
	v_add_f64 v[44:45], v[6:7], v[26:27]
	ds_load_b128 v[6:9], v12 offset:1024
	ds_load_b128 v[16:19], v13 offset:64
	ds_load_b128 v[20:23], v13 offset:80
	ds_load_b128 v[24:27], v12 offset:1280
	s_waitcnt lgkmcnt(2)
	v_mul_f64 v[46:47], v[18:19], v[8:9]
	v_mul_f64 v[8:9], v[16:17], v[8:9]
	s_waitcnt lgkmcnt(0)
	v_mul_f64 v[36:37], v[22:23], v[26:27]
	v_add_f64 v[32:33], v[42:43], v[38:39]
	v_add_f64 v[34:35], v[44:45], v[40:41]
	v_mul_f64 v[38:39], v[20:21], v[26:27]
	v_fma_f64 v[40:41], v[16:17], v[6:7], -v[46:47]
	v_fma_f64 v[42:43], v[18:19], v[6:7], v[8:9]
	v_fma_f64 v[20:21], v[20:21], v[24:25], -v[36:37]
	v_add_f64 v[44:45], v[32:33], v[28:29]
	v_add_f64 v[34:35], v[34:35], v[30:31]
	ds_load_b128 v[6:9], v12 offset:1536
	ds_load_b128 v[16:19], v13 offset:96
	;; [unrolled: 1-line block ×4, first 2 shown]
	v_fma_f64 v[22:23], v[22:23], v[24:25], v[38:39]
	s_waitcnt lgkmcnt(2)
	v_mul_f64 v[46:47], v[18:19], v[8:9]
	v_mul_f64 v[8:9], v[16:17], v[8:9]
	s_waitcnt lgkmcnt(0)
	v_mul_f64 v[36:37], v[28:29], v[32:33]
	v_mul_f64 v[38:39], v[26:27], v[32:33]
	v_add_f64 v[24:25], v[44:45], v[40:41]
	v_add_f64 v[34:35], v[34:35], v[42:43]
	v_fma_f64 v[40:41], v[16:17], v[6:7], -v[46:47]
	v_fma_f64 v[42:43], v[18:19], v[6:7], v[8:9]
	v_fma_f64 v[26:27], v[26:27], v[30:31], -v[36:37]
	v_fma_f64 v[28:29], v[28:29], v[30:31], v[38:39]
	v_add_f64 v[24:25], v[24:25], v[20:21]
	v_add_f64 v[44:45], v[34:35], v[22:23]
	ds_load_b128 v[6:9], v12 offset:2048
	ds_load_b128 v[16:19], v13 offset:128
	;; [unrolled: 1-line block ×4, first 2 shown]
	s_waitcnt lgkmcnt(2)
	v_mul_f64 v[46:47], v[18:19], v[8:9]
	v_mul_f64 v[8:9], v[16:17], v[8:9]
	s_waitcnt lgkmcnt(0)
	v_mul_f64 v[36:37], v[22:23], v[34:35]
	v_mul_f64 v[34:35], v[20:21], v[34:35]
	v_add_f64 v[24:25], v[24:25], v[40:41]
	v_add_f64 v[30:31], v[44:45], v[42:43]
	v_fma_f64 v[38:39], v[16:17], v[6:7], -v[46:47]
	v_fma_f64 v[40:41], v[18:19], v[6:7], v[8:9]
	v_fma_f64 v[20:21], v[20:21], v[32:33], -v[36:37]
	v_fma_f64 v[22:23], v[22:23], v[32:33], v[34:35]
	v_add_f64 v[42:43], v[24:25], v[26:27]
	v_add_f64 v[44:45], v[30:31], v[28:29]
	ds_load_b128 v[6:9], v12 offset:2560
	ds_load_b128 v[16:19], v13 offset:160
	;; [unrolled: 1-line block ×4, first 2 shown]
	s_waitcnt lgkmcnt(2)
	v_mul_f64 v[46:47], v[18:19], v[8:9]
	v_mul_f64 v[8:9], v[16:17], v[8:9]
	s_waitcnt lgkmcnt(0)
	v_mul_f64 v[36:37], v[26:27], v[30:31]
	v_add_f64 v[32:33], v[42:43], v[38:39]
	v_add_f64 v[34:35], v[44:45], v[40:41]
	v_mul_f64 v[38:39], v[24:25], v[30:31]
	v_fma_f64 v[40:41], v[16:17], v[6:7], -v[46:47]
	v_fma_f64 v[42:43], v[18:19], v[6:7], v[8:9]
	v_fma_f64 v[24:25], v[24:25], v[28:29], -v[36:37]
	v_add_f64 v[44:45], v[32:33], v[20:21]
	v_add_f64 v[34:35], v[34:35], v[22:23]
	ds_load_b128 v[6:9], v12 offset:3072
	ds_load_b128 v[16:19], v13 offset:192
	;; [unrolled: 1-line block ×4, first 2 shown]
	v_fma_f64 v[26:27], v[26:27], v[28:29], v[38:39]
	s_waitcnt lgkmcnt(2)
	v_mul_f64 v[46:47], v[18:19], v[8:9]
	v_mul_f64 v[8:9], v[16:17], v[8:9]
	s_waitcnt lgkmcnt(0)
	v_mul_f64 v[36:37], v[22:23], v[32:33]
	v_mul_f64 v[38:39], v[20:21], v[32:33]
	v_add_f64 v[28:29], v[44:45], v[40:41]
	v_add_f64 v[34:35], v[34:35], v[42:43]
	v_fma_f64 v[40:41], v[16:17], v[6:7], -v[46:47]
	v_fma_f64 v[42:43], v[18:19], v[6:7], v[8:9]
	v_fma_f64 v[20:21], v[20:21], v[30:31], -v[36:37]
	v_fma_f64 v[22:23], v[22:23], v[30:31], v[38:39]
	v_add_f64 v[28:29], v[28:29], v[24:25]
	v_add_f64 v[44:45], v[34:35], v[26:27]
	ds_load_b128 v[6:9], v12 offset:3584
	ds_load_b128 v[16:19], v13 offset:224
	;; [unrolled: 1-line block ×4, first 2 shown]
	s_waitcnt lgkmcnt(0)
	s_barrier
	buffer_gl0_inv
	v_mul_f64 v[46:47], v[18:19], v[8:9]
	v_mul_f64 v[8:9], v[16:17], v[8:9]
	;; [unrolled: 1-line block ×4, first 2 shown]
	v_add_f64 v[28:29], v[28:29], v[40:41]
	v_add_f64 v[30:31], v[44:45], v[42:43]
	v_fma_f64 v[16:17], v[16:17], v[6:7], -v[46:47]
	v_fma_f64 v[6:7], v[18:19], v[6:7], v[8:9]
	s_delay_alu instid0(VALU_DEP_4) | instskip(NEXT) | instid1(VALU_DEP_4)
	v_add_f64 v[8:9], v[28:29], v[20:21]
	v_add_f64 v[18:19], v[30:31], v[22:23]
	v_fma_f64 v[20:21], v[24:25], v[32:33], -v[36:37]
	v_fma_f64 v[22:23], v[26:27], v[32:33], v[34:35]
	s_delay_alu instid0(VALU_DEP_4) | instskip(NEXT) | instid1(VALU_DEP_4)
	v_add_f64 v[8:9], v[8:9], v[16:17]
	v_add_f64 v[6:7], v[18:19], v[6:7]
	s_delay_alu instid0(VALU_DEP_2) | instskip(NEXT) | instid1(VALU_DEP_2)
	v_add_f64 v[8:9], v[8:9], v[20:21]
	v_add_f64 v[6:7], v[6:7], v[22:23]
	s_cbranch_vccnz .LBB1659_2
.LBB1659_3:
	s_mov_b32 s0, exec_lo
	v_cmpx_le_i32_e64 v0, v10
	s_cbranch_execz .LBB1659_5
; %bb.4:
	s_delay_alu instid0(VALU_DEP_2) | instskip(SKIP_3) | instid1(VALU_DEP_4)
	v_mul_f64 v[2:3], s[8:9], v[6:7]
	v_mul_f64 v[4:5], s[6:7], v[6:7]
	v_mad_u64_u32 v[6:7], null, v10, s18, 0
	v_lshlrev_b64 v[0:1], 4, v[0:1]
	v_fma_f64 v[2:3], s[6:7], v[8:9], -v[2:3]
	s_delay_alu instid0(VALU_DEP_4) | instskip(SKIP_2) | instid1(VALU_DEP_1)
	v_fma_f64 v[4:5], s[8:9], v[8:9], v[4:5]
	v_mul_lo_u32 v8, v10, s19
	v_mul_lo_u32 v9, v11, s18
	v_add3_u32 v7, v7, v8, v9
	s_delay_alu instid0(VALU_DEP_1) | instskip(SKIP_1) | instid1(VALU_DEP_1)
	v_lshlrev_b64 v[6:7], 4, v[6:7]
	s_waitcnt lgkmcnt(0)
	v_add_co_u32 v6, vcc_lo, s2, v6
	s_delay_alu instid0(VALU_DEP_2) | instskip(NEXT) | instid1(VALU_DEP_2)
	v_add_co_ci_u32_e32 v7, vcc_lo, s3, v7, vcc_lo
	v_add_co_u32 v0, vcc_lo, v6, v0
	s_delay_alu instid0(VALU_DEP_2)
	v_add_co_ci_u32_e32 v1, vcc_lo, v7, v1, vcc_lo
	global_store_b128 v[0:1], v[2:5], off
.LBB1659_5:
	s_nop 0
	s_sendmsg sendmsg(MSG_DEALLOC_VGPRS)
	s_endpgm
	.section	.rodata,"a",@progbits
	.p2align	6, 0x0
	.amdhsa_kernel _ZL41rocblas_syrkx_herkx_small_restrict_kernelIl19rocblas_complex_numIdELi16ELb1ELb0ELc67ELc85EKPKS1_KPS1_EviT_T0_PT6_S7_lSA_S7_lS8_PT7_S7_li
		.amdhsa_group_segment_fixed_size 8192
		.amdhsa_private_segment_fixed_size 0
		.amdhsa_kernarg_size 124
		.amdhsa_user_sgpr_count 13
		.amdhsa_user_sgpr_dispatch_ptr 0
		.amdhsa_user_sgpr_queue_ptr 0
		.amdhsa_user_sgpr_kernarg_segment_ptr 1
		.amdhsa_user_sgpr_dispatch_id 0
		.amdhsa_user_sgpr_private_segment_size 0
		.amdhsa_wavefront_size32 1
		.amdhsa_uses_dynamic_stack 0
		.amdhsa_enable_private_segment 0
		.amdhsa_system_sgpr_workgroup_id_x 1
		.amdhsa_system_sgpr_workgroup_id_y 1
		.amdhsa_system_sgpr_workgroup_id_z 1
		.amdhsa_system_sgpr_workgroup_info 0
		.amdhsa_system_vgpr_workitem_id 1
		.amdhsa_next_free_vgpr 48
		.amdhsa_next_free_sgpr 22
		.amdhsa_reserve_vcc 1
		.amdhsa_float_round_mode_32 0
		.amdhsa_float_round_mode_16_64 0
		.amdhsa_float_denorm_mode_32 3
		.amdhsa_float_denorm_mode_16_64 3
		.amdhsa_dx10_clamp 1
		.amdhsa_ieee_mode 1
		.amdhsa_fp16_overflow 0
		.amdhsa_workgroup_processor_mode 1
		.amdhsa_memory_ordered 1
		.amdhsa_forward_progress 0
		.amdhsa_shared_vgpr_count 0
		.amdhsa_exception_fp_ieee_invalid_op 0
		.amdhsa_exception_fp_denorm_src 0
		.amdhsa_exception_fp_ieee_div_zero 0
		.amdhsa_exception_fp_ieee_overflow 0
		.amdhsa_exception_fp_ieee_underflow 0
		.amdhsa_exception_fp_ieee_inexact 0
		.amdhsa_exception_int_div_zero 0
	.end_amdhsa_kernel
	.section	.text._ZL41rocblas_syrkx_herkx_small_restrict_kernelIl19rocblas_complex_numIdELi16ELb1ELb0ELc67ELc85EKPKS1_KPS1_EviT_T0_PT6_S7_lSA_S7_lS8_PT7_S7_li,"axG",@progbits,_ZL41rocblas_syrkx_herkx_small_restrict_kernelIl19rocblas_complex_numIdELi16ELb1ELb0ELc67ELc85EKPKS1_KPS1_EviT_T0_PT6_S7_lSA_S7_lS8_PT7_S7_li,comdat
.Lfunc_end1659:
	.size	_ZL41rocblas_syrkx_herkx_small_restrict_kernelIl19rocblas_complex_numIdELi16ELb1ELb0ELc67ELc85EKPKS1_KPS1_EviT_T0_PT6_S7_lSA_S7_lS8_PT7_S7_li, .Lfunc_end1659-_ZL41rocblas_syrkx_herkx_small_restrict_kernelIl19rocblas_complex_numIdELi16ELb1ELb0ELc67ELc85EKPKS1_KPS1_EviT_T0_PT6_S7_lSA_S7_lS8_PT7_S7_li
                                        ; -- End function
	.section	.AMDGPU.csdata,"",@progbits
; Kernel info:
; codeLenInByte = 1792
; NumSgprs: 24
; NumVgprs: 48
; ScratchSize: 0
; MemoryBound: 0
; FloatMode: 240
; IeeeMode: 1
; LDSByteSize: 8192 bytes/workgroup (compile time only)
; SGPRBlocks: 2
; VGPRBlocks: 5
; NumSGPRsForWavesPerEU: 24
; NumVGPRsForWavesPerEU: 48
; Occupancy: 16
; WaveLimiterHint : 1
; COMPUTE_PGM_RSRC2:SCRATCH_EN: 0
; COMPUTE_PGM_RSRC2:USER_SGPR: 13
; COMPUTE_PGM_RSRC2:TRAP_HANDLER: 0
; COMPUTE_PGM_RSRC2:TGID_X_EN: 1
; COMPUTE_PGM_RSRC2:TGID_Y_EN: 1
; COMPUTE_PGM_RSRC2:TGID_Z_EN: 1
; COMPUTE_PGM_RSRC2:TIDIG_COMP_CNT: 1
	.section	.text._ZL41rocblas_syrkx_herkx_small_restrict_kernelIl19rocblas_complex_numIdELi16ELb1ELb0ELc78ELc85EKPKS1_KPS1_EviT_T0_PT6_S7_lSA_S7_lS8_PT7_S7_li,"axG",@progbits,_ZL41rocblas_syrkx_herkx_small_restrict_kernelIl19rocblas_complex_numIdELi16ELb1ELb0ELc78ELc85EKPKS1_KPS1_EviT_T0_PT6_S7_lSA_S7_lS8_PT7_S7_li,comdat
	.globl	_ZL41rocblas_syrkx_herkx_small_restrict_kernelIl19rocblas_complex_numIdELi16ELb1ELb0ELc78ELc85EKPKS1_KPS1_EviT_T0_PT6_S7_lSA_S7_lS8_PT7_S7_li ; -- Begin function _ZL41rocblas_syrkx_herkx_small_restrict_kernelIl19rocblas_complex_numIdELi16ELb1ELb0ELc78ELc85EKPKS1_KPS1_EviT_T0_PT6_S7_lSA_S7_lS8_PT7_S7_li
	.p2align	8
	.type	_ZL41rocblas_syrkx_herkx_small_restrict_kernelIl19rocblas_complex_numIdELi16ELb1ELb0ELc78ELc85EKPKS1_KPS1_EviT_T0_PT6_S7_lSA_S7_lS8_PT7_S7_li,@function
_ZL41rocblas_syrkx_herkx_small_restrict_kernelIl19rocblas_complex_numIdELi16ELb1ELb0ELc78ELc85EKPKS1_KPS1_EviT_T0_PT6_S7_lSA_S7_lS8_PT7_S7_li: ; @_ZL41rocblas_syrkx_herkx_small_restrict_kernelIl19rocblas_complex_numIdELi16ELb1ELb0ELc78ELc85EKPKS1_KPS1_EviT_T0_PT6_S7_lSA_S7_lS8_PT7_S7_li
; %bb.0:
	s_clause 0x1
	s_load_b128 s[16:19], s[0:1], 0x60
	s_load_b256 s[4:11], s[0:1], 0x8
	s_mov_b32 s2, s15
	s_mov_b32 s3, 0
	v_dual_mov_b32 v8, 0 :: v_dual_and_b32 v5, 0x3ff, v0
	s_lshl_b64 s[22:23], s[2:3], 3
	v_bfe_u32 v4, v0, 10, 10
	v_mov_b32_e32 v9, 0
	s_delay_alu instid0(VALU_DEP_3) | instskip(NEXT) | instid1(VALU_DEP_3)
	v_lshl_add_u32 v0, s13, 4, v5
	v_lshl_add_u32 v2, s14, 4, v4
	s_delay_alu instid0(VALU_DEP_3) | instskip(NEXT) | instid1(VALU_DEP_3)
	v_dual_mov_b32 v11, v9 :: v_dual_mov_b32 v10, v8
	v_ashrrev_i32_e32 v1, 31, v0
	s_delay_alu instid0(VALU_DEP_3)
	v_ashrrev_i32_e32 v3, 31, v2
	s_waitcnt lgkmcnt(0)
	s_add_u32 s2, s16, s22
	s_addc_u32 s3, s17, s23
	s_load_b64 s[20:21], s[0:1], 0x28
	s_load_b64 s[16:17], s[2:3], 0x0
	v_cmp_lt_i64_e64 s2, s[4:5], 1
	s_delay_alu instid0(VALU_DEP_1)
	s_and_b32 vcc_lo, exec_lo, s2
	s_cbranch_vccnz .LBB1660_3
; %bb.1:
	s_load_b128 s[0:3], s[0:1], 0x38
	s_waitcnt lgkmcnt(0)
	v_mad_u64_u32 v[10:11], null, s20, v4, 0
	v_lshlrev_b64 v[16:17], 4, v[2:3]
	v_lshlrev_b64 v[18:19], 4, v[0:1]
	s_delay_alu instid0(VALU_DEP_3)
	v_mov_b32_e32 v8, v11
	v_mad_u64_u32 v[6:7], null, s2, v5, 0
	s_add_u32 s0, s0, s22
	s_addc_u32 s1, s1, s23
	s_add_u32 s10, s10, s22
	s_load_b64 s[0:1], s[0:1], 0x0
	s_addc_u32 s11, s11, s23
	s_load_b64 s[10:11], s[10:11], 0x0
	s_delay_alu instid0(VALU_DEP_1) | instskip(NEXT) | instid1(VALU_DEP_1)
	v_mad_u64_u32 v[13:14], null, s3, v5, v[7:8]
	v_dual_mov_b32 v7, v13 :: v_dual_lshlrev_b32 v20, 8, v4
	s_delay_alu instid0(VALU_DEP_1) | instskip(SKIP_2) | instid1(VALU_DEP_4)
	v_add_nc_u32_e32 v13, 0x1000, v20
	v_mad_u64_u32 v[14:15], null, s21, v4, v[8:9]
	v_lshlrev_b32_e32 v12, 4, v5
	v_lshlrev_b64 v[4:5], 4, v[6:7]
	s_delay_alu instid0(VALU_DEP_3) | instskip(NEXT) | instid1(VALU_DEP_2)
	v_mov_b32_e32 v11, v14
	v_add_co_u32 v4, vcc_lo, v4, v16
	s_delay_alu instid0(VALU_DEP_3) | instskip(NEXT) | instid1(VALU_DEP_3)
	v_add_co_ci_u32_e32 v5, vcc_lo, v5, v17, vcc_lo
	v_lshlrev_b64 v[6:7], 4, v[10:11]
	v_dual_mov_b32 v8, 0 :: v_dual_add_nc_u32 v15, v13, v12
	v_dual_mov_b32 v9, 0 :: v_dual_add_nc_u32 v14, v12, v20
	s_delay_alu instid0(VALU_DEP_3) | instskip(NEXT) | instid1(VALU_DEP_4)
	v_add_co_u32 v6, vcc_lo, v6, v18
	v_add_co_ci_u32_e32 v7, vcc_lo, v7, v19, vcc_lo
	s_waitcnt lgkmcnt(0)
	v_add_co_u32 v10, vcc_lo, v4, s0
	v_add_co_ci_u32_e32 v11, vcc_lo, s1, v5, vcc_lo
	v_add_co_u32 v4, vcc_lo, s10, v6
	v_add_co_ci_u32_e32 v5, vcc_lo, s11, v7, vcc_lo
	s_delay_alu instid0(VALU_DEP_4) | instskip(NEXT) | instid1(VALU_DEP_4)
	v_add_co_u32 v6, vcc_lo, v10, 8
	v_add_co_ci_u32_e32 v7, vcc_lo, 0, v11, vcc_lo
	v_dual_mov_b32 v11, v9 :: v_dual_mov_b32 v10, v8
	s_lshl_b64 s[0:1], s[2:3], 8
	s_lshl_b64 s[2:3], s[20:21], 8
	s_mov_b64 s[10:11], 0
.LBB1660_2:                             ; =>This Inner Loop Header: Depth=1
	global_load_b128 v[16:19], v[4:5], off
	global_load_b128 v[20:23], v[6:7], off offset:-8
	s_add_u32 s10, s10, 16
	v_add_co_u32 v6, vcc_lo, v6, s0
	s_addc_u32 s11, s11, 0
	v_add_co_ci_u32_e32 v7, vcc_lo, s1, v7, vcc_lo
	v_cmp_lt_i64_e64 s12, s[10:11], s[4:5]
	v_add_co_u32 v4, vcc_lo, v4, s2
	v_add_co_ci_u32_e32 v5, vcc_lo, s3, v5, vcc_lo
	s_waitcnt vmcnt(1)
	ds_store_2addr_b64 v14, v[16:17], v[18:19] offset1:1
	s_waitcnt vmcnt(0)
	ds_store_b128 v15, v[20:23]
	s_waitcnt lgkmcnt(0)
	s_barrier
	buffer_gl0_inv
	ds_load_b128 v[16:19], v12
	ds_load_b128 v[20:23], v13
	ds_load_b128 v[24:27], v13 offset:16
	ds_load_b128 v[28:31], v12 offset:256
	s_and_b32 vcc_lo, exec_lo, s12
	s_waitcnt lgkmcnt(2)
	v_mul_f64 v[32:33], v[22:23], v[18:19]
	v_mul_f64 v[18:19], v[20:21], v[18:19]
	s_waitcnt lgkmcnt(0)
	v_mul_f64 v[38:39], v[26:27], v[30:31]
	v_mul_f64 v[40:41], v[24:25], v[30:31]
	s_delay_alu instid0(VALU_DEP_4) | instskip(NEXT) | instid1(VALU_DEP_4)
	v_fma_f64 v[42:43], v[20:21], v[16:17], -v[32:33]
	v_fma_f64 v[44:45], v[22:23], v[16:17], v[18:19]
	ds_load_b128 v[16:19], v12 offset:512
	ds_load_b128 v[20:23], v13 offset:32
	;; [unrolled: 1-line block ×4, first 2 shown]
	v_fma_f64 v[24:25], v[24:25], v[28:29], -v[38:39]
	v_fma_f64 v[26:27], v[26:27], v[28:29], v[40:41]
	s_waitcnt lgkmcnt(2)
	v_mul_f64 v[46:47], v[22:23], v[18:19]
	v_mul_f64 v[18:19], v[20:21], v[18:19]
	s_waitcnt lgkmcnt(0)
	v_mul_f64 v[28:29], v[32:33], v[36:37]
	v_mul_f64 v[36:37], v[30:31], v[36:37]
	v_add_f64 v[10:11], v[10:11], v[42:43]
	v_add_f64 v[8:9], v[8:9], v[44:45]
	v_fma_f64 v[38:39], v[20:21], v[16:17], -v[46:47]
	v_fma_f64 v[40:41], v[22:23], v[16:17], v[18:19]
	v_fma_f64 v[28:29], v[30:31], v[34:35], -v[28:29]
	v_fma_f64 v[30:31], v[32:33], v[34:35], v[36:37]
	v_add_f64 v[42:43], v[10:11], v[24:25]
	v_add_f64 v[44:45], v[8:9], v[26:27]
	ds_load_b128 v[8:11], v12 offset:1024
	ds_load_b128 v[16:19], v13 offset:64
	;; [unrolled: 1-line block ×4, first 2 shown]
	s_waitcnt lgkmcnt(2)
	v_mul_f64 v[46:47], v[18:19], v[10:11]
	v_mul_f64 v[10:11], v[16:17], v[10:11]
	s_waitcnt lgkmcnt(0)
	v_mul_f64 v[36:37], v[22:23], v[26:27]
	v_add_f64 v[32:33], v[42:43], v[38:39]
	v_add_f64 v[34:35], v[44:45], v[40:41]
	v_mul_f64 v[38:39], v[20:21], v[26:27]
	v_fma_f64 v[40:41], v[16:17], v[8:9], -v[46:47]
	v_fma_f64 v[42:43], v[18:19], v[8:9], v[10:11]
	v_fma_f64 v[20:21], v[20:21], v[24:25], -v[36:37]
	v_add_f64 v[44:45], v[32:33], v[28:29]
	v_add_f64 v[34:35], v[34:35], v[30:31]
	ds_load_b128 v[8:11], v12 offset:1536
	ds_load_b128 v[16:19], v13 offset:96
	;; [unrolled: 1-line block ×4, first 2 shown]
	v_fma_f64 v[22:23], v[22:23], v[24:25], v[38:39]
	s_waitcnt lgkmcnt(2)
	v_mul_f64 v[46:47], v[18:19], v[10:11]
	v_mul_f64 v[10:11], v[16:17], v[10:11]
	s_waitcnt lgkmcnt(0)
	v_mul_f64 v[36:37], v[28:29], v[32:33]
	v_mul_f64 v[38:39], v[26:27], v[32:33]
	v_add_f64 v[24:25], v[44:45], v[40:41]
	v_add_f64 v[34:35], v[34:35], v[42:43]
	v_fma_f64 v[40:41], v[16:17], v[8:9], -v[46:47]
	v_fma_f64 v[42:43], v[18:19], v[8:9], v[10:11]
	v_fma_f64 v[26:27], v[26:27], v[30:31], -v[36:37]
	v_fma_f64 v[28:29], v[28:29], v[30:31], v[38:39]
	v_add_f64 v[24:25], v[24:25], v[20:21]
	v_add_f64 v[44:45], v[34:35], v[22:23]
	ds_load_b128 v[8:11], v12 offset:2048
	ds_load_b128 v[16:19], v13 offset:128
	;; [unrolled: 1-line block ×4, first 2 shown]
	s_waitcnt lgkmcnt(2)
	v_mul_f64 v[46:47], v[18:19], v[10:11]
	v_mul_f64 v[10:11], v[16:17], v[10:11]
	s_waitcnt lgkmcnt(0)
	v_mul_f64 v[36:37], v[22:23], v[34:35]
	v_mul_f64 v[34:35], v[20:21], v[34:35]
	v_add_f64 v[24:25], v[24:25], v[40:41]
	v_add_f64 v[30:31], v[44:45], v[42:43]
	v_fma_f64 v[38:39], v[16:17], v[8:9], -v[46:47]
	v_fma_f64 v[40:41], v[18:19], v[8:9], v[10:11]
	v_fma_f64 v[20:21], v[20:21], v[32:33], -v[36:37]
	v_fma_f64 v[22:23], v[22:23], v[32:33], v[34:35]
	v_add_f64 v[42:43], v[24:25], v[26:27]
	v_add_f64 v[44:45], v[30:31], v[28:29]
	ds_load_b128 v[8:11], v12 offset:2560
	ds_load_b128 v[16:19], v13 offset:160
	ds_load_b128 v[24:27], v13 offset:176
	ds_load_b128 v[28:31], v12 offset:2816
	s_waitcnt lgkmcnt(2)
	v_mul_f64 v[46:47], v[18:19], v[10:11]
	v_mul_f64 v[10:11], v[16:17], v[10:11]
	s_waitcnt lgkmcnt(0)
	v_mul_f64 v[36:37], v[26:27], v[30:31]
	v_add_f64 v[32:33], v[42:43], v[38:39]
	v_add_f64 v[34:35], v[44:45], v[40:41]
	v_mul_f64 v[38:39], v[24:25], v[30:31]
	v_fma_f64 v[40:41], v[16:17], v[8:9], -v[46:47]
	v_fma_f64 v[42:43], v[18:19], v[8:9], v[10:11]
	v_fma_f64 v[24:25], v[24:25], v[28:29], -v[36:37]
	v_add_f64 v[44:45], v[32:33], v[20:21]
	v_add_f64 v[34:35], v[34:35], v[22:23]
	ds_load_b128 v[8:11], v12 offset:3072
	ds_load_b128 v[16:19], v13 offset:192
	;; [unrolled: 1-line block ×4, first 2 shown]
	v_fma_f64 v[26:27], v[26:27], v[28:29], v[38:39]
	s_waitcnt lgkmcnt(2)
	v_mul_f64 v[46:47], v[18:19], v[10:11]
	v_mul_f64 v[10:11], v[16:17], v[10:11]
	s_waitcnt lgkmcnt(0)
	v_mul_f64 v[36:37], v[22:23], v[32:33]
	v_mul_f64 v[38:39], v[20:21], v[32:33]
	v_add_f64 v[28:29], v[44:45], v[40:41]
	v_add_f64 v[34:35], v[34:35], v[42:43]
	v_fma_f64 v[40:41], v[16:17], v[8:9], -v[46:47]
	v_fma_f64 v[42:43], v[18:19], v[8:9], v[10:11]
	v_fma_f64 v[20:21], v[20:21], v[30:31], -v[36:37]
	v_fma_f64 v[22:23], v[22:23], v[30:31], v[38:39]
	v_add_f64 v[28:29], v[28:29], v[24:25]
	v_add_f64 v[44:45], v[34:35], v[26:27]
	ds_load_b128 v[8:11], v12 offset:3584
	ds_load_b128 v[16:19], v13 offset:224
	ds_load_b128 v[24:27], v13 offset:240
	ds_load_b128 v[32:35], v12 offset:3840
	s_waitcnt lgkmcnt(0)
	s_barrier
	buffer_gl0_inv
	v_mul_f64 v[46:47], v[18:19], v[10:11]
	v_mul_f64 v[10:11], v[16:17], v[10:11]
	;; [unrolled: 1-line block ×4, first 2 shown]
	v_add_f64 v[28:29], v[28:29], v[40:41]
	v_add_f64 v[30:31], v[44:45], v[42:43]
	v_fma_f64 v[16:17], v[16:17], v[8:9], -v[46:47]
	v_fma_f64 v[8:9], v[18:19], v[8:9], v[10:11]
	s_delay_alu instid0(VALU_DEP_4) | instskip(NEXT) | instid1(VALU_DEP_4)
	v_add_f64 v[10:11], v[28:29], v[20:21]
	v_add_f64 v[18:19], v[30:31], v[22:23]
	v_fma_f64 v[20:21], v[24:25], v[32:33], -v[36:37]
	v_fma_f64 v[22:23], v[26:27], v[32:33], v[34:35]
	s_delay_alu instid0(VALU_DEP_4) | instskip(NEXT) | instid1(VALU_DEP_4)
	v_add_f64 v[10:11], v[10:11], v[16:17]
	v_add_f64 v[8:9], v[18:19], v[8:9]
	s_delay_alu instid0(VALU_DEP_2) | instskip(NEXT) | instid1(VALU_DEP_2)
	v_add_f64 v[10:11], v[10:11], v[20:21]
	v_add_f64 v[8:9], v[8:9], v[22:23]
	s_cbranch_vccnz .LBB1660_2
.LBB1660_3:
	s_mov_b32 s0, exec_lo
	v_cmpx_le_i32_e64 v0, v2
	s_cbranch_execz .LBB1660_5
; %bb.4:
	s_delay_alu instid0(VALU_DEP_2)
	v_mul_f64 v[4:5], s[8:9], v[8:9]
	v_mul_f64 v[6:7], s[6:7], v[8:9]
	v_mul_lo_u32 v3, v3, s18
	v_mad_u64_u32 v[8:9], null, v2, s18, 0
	v_lshlrev_b64 v[0:1], 4, v[0:1]
	v_fma_f64 v[4:5], s[6:7], v[10:11], -v[4:5]
	v_fma_f64 v[6:7], s[8:9], v[10:11], v[6:7]
	v_mul_lo_u32 v10, v2, s19
	s_delay_alu instid0(VALU_DEP_1) | instskip(NEXT) | instid1(VALU_DEP_1)
	v_add3_u32 v9, v9, v10, v3
	v_lshlrev_b64 v[2:3], 4, v[8:9]
	s_waitcnt lgkmcnt(0)
	s_delay_alu instid0(VALU_DEP_1) | instskip(NEXT) | instid1(VALU_DEP_2)
	v_add_co_u32 v2, vcc_lo, s16, v2
	v_add_co_ci_u32_e32 v3, vcc_lo, s17, v3, vcc_lo
	s_delay_alu instid0(VALU_DEP_2) | instskip(NEXT) | instid1(VALU_DEP_2)
	v_add_co_u32 v0, vcc_lo, v2, v0
	v_add_co_ci_u32_e32 v1, vcc_lo, v3, v1, vcc_lo
	global_store_b128 v[0:1], v[4:7], off
.LBB1660_5:
	s_nop 0
	s_sendmsg sendmsg(MSG_DEALLOC_VGPRS)
	s_endpgm
	.section	.rodata,"a",@progbits
	.p2align	6, 0x0
	.amdhsa_kernel _ZL41rocblas_syrkx_herkx_small_restrict_kernelIl19rocblas_complex_numIdELi16ELb1ELb0ELc78ELc85EKPKS1_KPS1_EviT_T0_PT6_S7_lSA_S7_lS8_PT7_S7_li
		.amdhsa_group_segment_fixed_size 8192
		.amdhsa_private_segment_fixed_size 0
		.amdhsa_kernarg_size 124
		.amdhsa_user_sgpr_count 13
		.amdhsa_user_sgpr_dispatch_ptr 0
		.amdhsa_user_sgpr_queue_ptr 0
		.amdhsa_user_sgpr_kernarg_segment_ptr 1
		.amdhsa_user_sgpr_dispatch_id 0
		.amdhsa_user_sgpr_private_segment_size 0
		.amdhsa_wavefront_size32 1
		.amdhsa_uses_dynamic_stack 0
		.amdhsa_enable_private_segment 0
		.amdhsa_system_sgpr_workgroup_id_x 1
		.amdhsa_system_sgpr_workgroup_id_y 1
		.amdhsa_system_sgpr_workgroup_id_z 1
		.amdhsa_system_sgpr_workgroup_info 0
		.amdhsa_system_vgpr_workitem_id 1
		.amdhsa_next_free_vgpr 48
		.amdhsa_next_free_sgpr 24
		.amdhsa_reserve_vcc 1
		.amdhsa_float_round_mode_32 0
		.amdhsa_float_round_mode_16_64 0
		.amdhsa_float_denorm_mode_32 3
		.amdhsa_float_denorm_mode_16_64 3
		.amdhsa_dx10_clamp 1
		.amdhsa_ieee_mode 1
		.amdhsa_fp16_overflow 0
		.amdhsa_workgroup_processor_mode 1
		.amdhsa_memory_ordered 1
		.amdhsa_forward_progress 0
		.amdhsa_shared_vgpr_count 0
		.amdhsa_exception_fp_ieee_invalid_op 0
		.amdhsa_exception_fp_denorm_src 0
		.amdhsa_exception_fp_ieee_div_zero 0
		.amdhsa_exception_fp_ieee_overflow 0
		.amdhsa_exception_fp_ieee_underflow 0
		.amdhsa_exception_fp_ieee_inexact 0
		.amdhsa_exception_int_div_zero 0
	.end_amdhsa_kernel
	.section	.text._ZL41rocblas_syrkx_herkx_small_restrict_kernelIl19rocblas_complex_numIdELi16ELb1ELb0ELc78ELc85EKPKS1_KPS1_EviT_T0_PT6_S7_lSA_S7_lS8_PT7_S7_li,"axG",@progbits,_ZL41rocblas_syrkx_herkx_small_restrict_kernelIl19rocblas_complex_numIdELi16ELb1ELb0ELc78ELc85EKPKS1_KPS1_EviT_T0_PT6_S7_lSA_S7_lS8_PT7_S7_li,comdat
.Lfunc_end1660:
	.size	_ZL41rocblas_syrkx_herkx_small_restrict_kernelIl19rocblas_complex_numIdELi16ELb1ELb0ELc78ELc85EKPKS1_KPS1_EviT_T0_PT6_S7_lSA_S7_lS8_PT7_S7_li, .Lfunc_end1660-_ZL41rocblas_syrkx_herkx_small_restrict_kernelIl19rocblas_complex_numIdELi16ELb1ELb0ELc78ELc85EKPKS1_KPS1_EviT_T0_PT6_S7_lSA_S7_lS8_PT7_S7_li
                                        ; -- End function
	.section	.AMDGPU.csdata,"",@progbits
; Kernel info:
; codeLenInByte = 1788
; NumSgprs: 26
; NumVgprs: 48
; ScratchSize: 0
; MemoryBound: 0
; FloatMode: 240
; IeeeMode: 1
; LDSByteSize: 8192 bytes/workgroup (compile time only)
; SGPRBlocks: 3
; VGPRBlocks: 5
; NumSGPRsForWavesPerEU: 26
; NumVGPRsForWavesPerEU: 48
; Occupancy: 16
; WaveLimiterHint : 1
; COMPUTE_PGM_RSRC2:SCRATCH_EN: 0
; COMPUTE_PGM_RSRC2:USER_SGPR: 13
; COMPUTE_PGM_RSRC2:TRAP_HANDLER: 0
; COMPUTE_PGM_RSRC2:TGID_X_EN: 1
; COMPUTE_PGM_RSRC2:TGID_Y_EN: 1
; COMPUTE_PGM_RSRC2:TGID_Z_EN: 1
; COMPUTE_PGM_RSRC2:TIDIG_COMP_CNT: 1
	.section	.text._ZL41rocblas_syrkx_herkx_small_restrict_kernelIl19rocblas_complex_numIdELi16ELb0ELb0ELc84ELc76EKPKS1_KPS1_EviT_T0_PT6_S7_lSA_S7_lS8_PT7_S7_li,"axG",@progbits,_ZL41rocblas_syrkx_herkx_small_restrict_kernelIl19rocblas_complex_numIdELi16ELb0ELb0ELc84ELc76EKPKS1_KPS1_EviT_T0_PT6_S7_lSA_S7_lS8_PT7_S7_li,comdat
	.globl	_ZL41rocblas_syrkx_herkx_small_restrict_kernelIl19rocblas_complex_numIdELi16ELb0ELb0ELc84ELc76EKPKS1_KPS1_EviT_T0_PT6_S7_lSA_S7_lS8_PT7_S7_li ; -- Begin function _ZL41rocblas_syrkx_herkx_small_restrict_kernelIl19rocblas_complex_numIdELi16ELb0ELb0ELc84ELc76EKPKS1_KPS1_EviT_T0_PT6_S7_lSA_S7_lS8_PT7_S7_li
	.p2align	8
	.type	_ZL41rocblas_syrkx_herkx_small_restrict_kernelIl19rocblas_complex_numIdELi16ELb0ELb0ELc84ELc76EKPKS1_KPS1_EviT_T0_PT6_S7_lSA_S7_lS8_PT7_S7_li,@function
_ZL41rocblas_syrkx_herkx_small_restrict_kernelIl19rocblas_complex_numIdELi16ELb0ELb0ELc84ELc76EKPKS1_KPS1_EviT_T0_PT6_S7_lSA_S7_lS8_PT7_S7_li: ; @_ZL41rocblas_syrkx_herkx_small_restrict_kernelIl19rocblas_complex_numIdELi16ELb0ELb0ELc84ELc76EKPKS1_KPS1_EviT_T0_PT6_S7_lSA_S7_lS8_PT7_S7_li
; %bb.0:
	s_clause 0x1
	s_load_b256 s[4:11], s[0:1], 0x50
	s_load_b256 s[16:23], s[0:1], 0x8
	s_mov_b32 s2, s15
	s_mov_b32 s3, 0
	v_and_b32_e32 v2, 0x3ff, v0
	s_lshl_b64 s[24:25], s[2:3], 3
	v_bfe_u32 v3, v0, 10, 10
	v_mov_b32_e32 v6, 0
	v_mov_b32_e32 v7, 0
	v_lshl_add_u32 v0, s13, 4, v2
	s_delay_alu instid0(VALU_DEP_4) | instskip(NEXT) | instid1(VALU_DEP_3)
	v_lshl_add_u32 v10, s14, 4, v3
	v_dual_mov_b32 v9, v7 :: v_dual_mov_b32 v8, v6
	s_delay_alu instid0(VALU_DEP_3) | instskip(NEXT) | instid1(VALU_DEP_3)
	v_ashrrev_i32_e32 v1, 31, v0
	v_ashrrev_i32_e32 v11, 31, v10
	s_waitcnt lgkmcnt(0)
	s_add_u32 s2, s8, s24
	s_addc_u32 s3, s9, s25
	s_load_b64 s[8:9], s[0:1], 0x28
	s_load_b64 s[2:3], s[2:3], 0x0
	v_cmp_lt_i64_e64 s12, s[16:17], 1
	s_delay_alu instid0(VALU_DEP_1)
	s_and_b32 vcc_lo, exec_lo, s12
	s_cbranch_vccnz .LBB1661_3
; %bb.1:
	s_load_b128 s[12:15], s[0:1], 0x38
	s_waitcnt lgkmcnt(0)
	v_mul_lo_u32 v7, v1, s8
	v_mad_u64_u32 v[4:5], null, v0, s8, 0
	v_mul_lo_u32 v6, v0, s9
	v_lshlrev_b32_e32 v17, 4, v3
	v_lshlrev_b32_e32 v16, 8, v3
	s_delay_alu instid0(VALU_DEP_3) | instskip(SKIP_2) | instid1(VALU_DEP_4)
	v_add3_u32 v5, v5, v6, v7
	v_mov_b32_e32 v6, 0
	v_dual_mov_b32 v7, 0 :: v_dual_lshlrev_b32 v12, 4, v2
	v_add_nc_u32_e32 v13, 0x1000, v16
	s_delay_alu instid0(VALU_DEP_4)
	v_lshlrev_b64 v[4:5], 4, v[4:5]
	s_add_u32 s0, s12, s24
	s_addc_u32 s1, s13, s25
	s_add_u32 s8, s22, s24
	s_load_b64 s[0:1], s[0:1], 0x0
	s_addc_u32 s9, s23, s25
	v_mul_lo_u32 v14, v10, s15
	v_mul_lo_u32 v15, v11, s14
	v_mad_u64_u32 v[8:9], null, v10, s14, 0
	s_load_b64 s[8:9], s[8:9], 0x0
	s_delay_alu instid0(VALU_DEP_1) | instskip(NEXT) | instid1(VALU_DEP_1)
	v_add3_u32 v9, v9, v14, v15
	v_lshlrev_b64 v[2:3], 4, v[8:9]
	s_waitcnt lgkmcnt(0)
	v_add_co_u32 v8, s0, s0, v12
	s_delay_alu instid0(VALU_DEP_1) | instskip(NEXT) | instid1(VALU_DEP_2)
	v_add_co_ci_u32_e64 v9, null, s1, 0, s0
	v_add_co_u32 v2, vcc_lo, v8, v2
	s_delay_alu instid0(VALU_DEP_2) | instskip(SKIP_3) | instid1(VALU_DEP_1)
	v_add_co_ci_u32_e32 v3, vcc_lo, v9, v3, vcc_lo
	v_dual_mov_b32 v9, v7 :: v_dual_mov_b32 v8, v6
	v_add_nc_u32_e32 v14, v12, v16
	v_add_co_u32 v16, s0, s8, v17
	v_add_co_ci_u32_e64 v17, null, s9, 0, s0
	v_add_nc_u32_e32 v15, v13, v12
	s_delay_alu instid0(VALU_DEP_3) | instskip(NEXT) | instid1(VALU_DEP_3)
	v_add_co_u32 v4, vcc_lo, v16, v4
	v_add_co_ci_u32_e32 v5, vcc_lo, v17, v5, vcc_lo
	s_mov_b64 s[0:1], 0
.LBB1661_2:                             ; =>This Inner Loop Header: Depth=1
	global_load_b128 v[16:19], v[4:5], off
	global_load_b128 v[20:23], v[2:3], off
	s_add_u32 s0, s0, 16
	v_add_co_u32 v2, vcc_lo, 0x100, v2
	s_addc_u32 s1, s1, 0
	v_add_co_ci_u32_e32 v3, vcc_lo, 0, v3, vcc_lo
	v_cmp_lt_i64_e64 s8, s[0:1], s[16:17]
	v_add_co_u32 v4, vcc_lo, 0x100, v4
	v_add_co_ci_u32_e32 v5, vcc_lo, 0, v5, vcc_lo
	s_waitcnt vmcnt(1)
	ds_store_2addr_b64 v14, v[16:17], v[18:19] offset1:1
	s_waitcnt vmcnt(0)
	ds_store_2addr_b64 v15, v[20:21], v[22:23] offset1:1
	s_waitcnt lgkmcnt(0)
	s_barrier
	buffer_gl0_inv
	ds_load_b128 v[16:19], v12
	ds_load_b128 v[20:23], v13
	ds_load_b128 v[24:27], v13 offset:16
	ds_load_b128 v[28:31], v12 offset:256
	s_and_b32 vcc_lo, exec_lo, s8
	s_waitcnt lgkmcnt(2)
	v_mul_f64 v[32:33], v[22:23], v[18:19]
	v_mul_f64 v[18:19], v[20:21], v[18:19]
	s_waitcnt lgkmcnt(0)
	v_mul_f64 v[38:39], v[26:27], v[30:31]
	v_mul_f64 v[40:41], v[24:25], v[30:31]
	s_delay_alu instid0(VALU_DEP_4) | instskip(NEXT) | instid1(VALU_DEP_4)
	v_fma_f64 v[42:43], v[20:21], v[16:17], -v[32:33]
	v_fma_f64 v[44:45], v[22:23], v[16:17], v[18:19]
	ds_load_b128 v[16:19], v12 offset:512
	ds_load_b128 v[20:23], v13 offset:32
	;; [unrolled: 1-line block ×4, first 2 shown]
	v_fma_f64 v[24:25], v[24:25], v[28:29], -v[38:39]
	v_fma_f64 v[26:27], v[26:27], v[28:29], v[40:41]
	s_waitcnt lgkmcnt(2)
	v_mul_f64 v[46:47], v[22:23], v[18:19]
	v_mul_f64 v[18:19], v[20:21], v[18:19]
	s_waitcnt lgkmcnt(0)
	v_mul_f64 v[28:29], v[32:33], v[36:37]
	v_mul_f64 v[36:37], v[30:31], v[36:37]
	v_add_f64 v[8:9], v[8:9], v[42:43]
	v_add_f64 v[6:7], v[6:7], v[44:45]
	v_fma_f64 v[38:39], v[20:21], v[16:17], -v[46:47]
	v_fma_f64 v[40:41], v[22:23], v[16:17], v[18:19]
	v_fma_f64 v[28:29], v[30:31], v[34:35], -v[28:29]
	v_fma_f64 v[30:31], v[32:33], v[34:35], v[36:37]
	v_add_f64 v[42:43], v[8:9], v[24:25]
	v_add_f64 v[44:45], v[6:7], v[26:27]
	ds_load_b128 v[6:9], v12 offset:1024
	ds_load_b128 v[16:19], v13 offset:64
	;; [unrolled: 1-line block ×4, first 2 shown]
	s_waitcnt lgkmcnt(2)
	v_mul_f64 v[46:47], v[18:19], v[8:9]
	v_mul_f64 v[8:9], v[16:17], v[8:9]
	s_waitcnt lgkmcnt(0)
	v_mul_f64 v[36:37], v[22:23], v[26:27]
	v_add_f64 v[32:33], v[42:43], v[38:39]
	v_add_f64 v[34:35], v[44:45], v[40:41]
	v_mul_f64 v[38:39], v[20:21], v[26:27]
	v_fma_f64 v[40:41], v[16:17], v[6:7], -v[46:47]
	v_fma_f64 v[42:43], v[18:19], v[6:7], v[8:9]
	v_fma_f64 v[20:21], v[20:21], v[24:25], -v[36:37]
	v_add_f64 v[44:45], v[32:33], v[28:29]
	v_add_f64 v[34:35], v[34:35], v[30:31]
	ds_load_b128 v[6:9], v12 offset:1536
	ds_load_b128 v[16:19], v13 offset:96
	;; [unrolled: 1-line block ×4, first 2 shown]
	v_fma_f64 v[22:23], v[22:23], v[24:25], v[38:39]
	s_waitcnt lgkmcnt(2)
	v_mul_f64 v[46:47], v[18:19], v[8:9]
	v_mul_f64 v[8:9], v[16:17], v[8:9]
	s_waitcnt lgkmcnt(0)
	v_mul_f64 v[36:37], v[28:29], v[32:33]
	v_mul_f64 v[38:39], v[26:27], v[32:33]
	v_add_f64 v[24:25], v[44:45], v[40:41]
	v_add_f64 v[34:35], v[34:35], v[42:43]
	v_fma_f64 v[40:41], v[16:17], v[6:7], -v[46:47]
	v_fma_f64 v[42:43], v[18:19], v[6:7], v[8:9]
	v_fma_f64 v[26:27], v[26:27], v[30:31], -v[36:37]
	v_fma_f64 v[28:29], v[28:29], v[30:31], v[38:39]
	v_add_f64 v[24:25], v[24:25], v[20:21]
	v_add_f64 v[44:45], v[34:35], v[22:23]
	ds_load_b128 v[6:9], v12 offset:2048
	ds_load_b128 v[16:19], v13 offset:128
	;; [unrolled: 1-line block ×4, first 2 shown]
	s_waitcnt lgkmcnt(2)
	v_mul_f64 v[46:47], v[18:19], v[8:9]
	v_mul_f64 v[8:9], v[16:17], v[8:9]
	s_waitcnt lgkmcnt(0)
	v_mul_f64 v[36:37], v[22:23], v[34:35]
	v_mul_f64 v[34:35], v[20:21], v[34:35]
	v_add_f64 v[24:25], v[24:25], v[40:41]
	v_add_f64 v[30:31], v[44:45], v[42:43]
	v_fma_f64 v[38:39], v[16:17], v[6:7], -v[46:47]
	v_fma_f64 v[40:41], v[18:19], v[6:7], v[8:9]
	v_fma_f64 v[20:21], v[20:21], v[32:33], -v[36:37]
	v_fma_f64 v[22:23], v[22:23], v[32:33], v[34:35]
	v_add_f64 v[42:43], v[24:25], v[26:27]
	v_add_f64 v[44:45], v[30:31], v[28:29]
	ds_load_b128 v[6:9], v12 offset:2560
	ds_load_b128 v[16:19], v13 offset:160
	;; [unrolled: 1-line block ×4, first 2 shown]
	s_waitcnt lgkmcnt(2)
	v_mul_f64 v[46:47], v[18:19], v[8:9]
	v_mul_f64 v[8:9], v[16:17], v[8:9]
	s_waitcnt lgkmcnt(0)
	v_mul_f64 v[36:37], v[26:27], v[30:31]
	v_add_f64 v[32:33], v[42:43], v[38:39]
	v_add_f64 v[34:35], v[44:45], v[40:41]
	v_mul_f64 v[38:39], v[24:25], v[30:31]
	v_fma_f64 v[40:41], v[16:17], v[6:7], -v[46:47]
	v_fma_f64 v[42:43], v[18:19], v[6:7], v[8:9]
	v_fma_f64 v[24:25], v[24:25], v[28:29], -v[36:37]
	v_add_f64 v[44:45], v[32:33], v[20:21]
	v_add_f64 v[34:35], v[34:35], v[22:23]
	ds_load_b128 v[6:9], v12 offset:3072
	ds_load_b128 v[16:19], v13 offset:192
	;; [unrolled: 1-line block ×4, first 2 shown]
	v_fma_f64 v[26:27], v[26:27], v[28:29], v[38:39]
	s_waitcnt lgkmcnt(2)
	v_mul_f64 v[46:47], v[18:19], v[8:9]
	v_mul_f64 v[8:9], v[16:17], v[8:9]
	s_waitcnt lgkmcnt(0)
	v_mul_f64 v[36:37], v[22:23], v[32:33]
	v_mul_f64 v[38:39], v[20:21], v[32:33]
	v_add_f64 v[28:29], v[44:45], v[40:41]
	v_add_f64 v[34:35], v[34:35], v[42:43]
	v_fma_f64 v[40:41], v[16:17], v[6:7], -v[46:47]
	v_fma_f64 v[42:43], v[18:19], v[6:7], v[8:9]
	v_fma_f64 v[20:21], v[20:21], v[30:31], -v[36:37]
	v_fma_f64 v[22:23], v[22:23], v[30:31], v[38:39]
	v_add_f64 v[28:29], v[28:29], v[24:25]
	v_add_f64 v[44:45], v[34:35], v[26:27]
	ds_load_b128 v[6:9], v12 offset:3584
	ds_load_b128 v[16:19], v13 offset:224
	;; [unrolled: 1-line block ×4, first 2 shown]
	s_waitcnt lgkmcnt(0)
	s_barrier
	buffer_gl0_inv
	v_mul_f64 v[46:47], v[18:19], v[8:9]
	v_mul_f64 v[8:9], v[16:17], v[8:9]
	v_mul_f64 v[36:37], v[26:27], v[34:35]
	v_mul_f64 v[34:35], v[24:25], v[34:35]
	v_add_f64 v[28:29], v[28:29], v[40:41]
	v_add_f64 v[30:31], v[44:45], v[42:43]
	v_fma_f64 v[16:17], v[16:17], v[6:7], -v[46:47]
	v_fma_f64 v[6:7], v[18:19], v[6:7], v[8:9]
	s_delay_alu instid0(VALU_DEP_4) | instskip(NEXT) | instid1(VALU_DEP_4)
	v_add_f64 v[8:9], v[28:29], v[20:21]
	v_add_f64 v[18:19], v[30:31], v[22:23]
	v_fma_f64 v[20:21], v[24:25], v[32:33], -v[36:37]
	v_fma_f64 v[22:23], v[26:27], v[32:33], v[34:35]
	s_delay_alu instid0(VALU_DEP_4) | instskip(NEXT) | instid1(VALU_DEP_4)
	v_add_f64 v[8:9], v[8:9], v[16:17]
	v_add_f64 v[6:7], v[18:19], v[6:7]
	s_delay_alu instid0(VALU_DEP_2) | instskip(NEXT) | instid1(VALU_DEP_2)
	v_add_f64 v[8:9], v[8:9], v[20:21]
	v_add_f64 v[6:7], v[6:7], v[22:23]
	s_cbranch_vccnz .LBB1661_2
.LBB1661_3:
	s_mov_b32 s0, exec_lo
	v_cmpx_le_i32_e64 v10, v0
	s_cbranch_execz .LBB1661_5
; %bb.4:
	v_mul_lo_u32 v4, v10, s11
	v_mul_lo_u32 v5, v11, s10
	v_mad_u64_u32 v[2:3], null, v10, s10, 0
	v_lshlrev_b64 v[0:1], 4, v[0:1]
	v_mul_f64 v[10:11], s[20:21], v[6:7]
	v_mul_f64 v[6:7], s[18:19], v[6:7]
	s_delay_alu instid0(VALU_DEP_4) | instskip(NEXT) | instid1(VALU_DEP_1)
	v_add3_u32 v3, v3, v4, v5
	v_lshlrev_b64 v[2:3], 4, v[2:3]
	s_waitcnt lgkmcnt(0)
	s_delay_alu instid0(VALU_DEP_1) | instskip(NEXT) | instid1(VALU_DEP_2)
	v_add_co_u32 v2, vcc_lo, s2, v2
	v_add_co_ci_u32_e32 v3, vcc_lo, s3, v3, vcc_lo
	s_delay_alu instid0(VALU_DEP_2) | instskip(NEXT) | instid1(VALU_DEP_2)
	v_add_co_u32 v4, vcc_lo, v2, v0
	v_add_co_ci_u32_e32 v5, vcc_lo, v3, v1, vcc_lo
	global_load_b128 v[0:3], v[4:5], off
	v_fma_f64 v[10:11], s[18:19], v[8:9], -v[10:11]
	v_fma_f64 v[6:7], s[20:21], v[8:9], v[6:7]
	s_waitcnt vmcnt(0)
	v_mul_f64 v[12:13], s[6:7], v[2:3]
	v_mul_f64 v[2:3], s[4:5], v[2:3]
	s_delay_alu instid0(VALU_DEP_2) | instskip(NEXT) | instid1(VALU_DEP_2)
	v_fma_f64 v[8:9], s[4:5], v[0:1], -v[12:13]
	v_fma_f64 v[2:3], s[6:7], v[0:1], v[2:3]
	s_delay_alu instid0(VALU_DEP_2) | instskip(NEXT) | instid1(VALU_DEP_2)
	v_add_f64 v[0:1], v[10:11], v[8:9]
	v_add_f64 v[2:3], v[6:7], v[2:3]
	global_store_b128 v[4:5], v[0:3], off
.LBB1661_5:
	s_nop 0
	s_sendmsg sendmsg(MSG_DEALLOC_VGPRS)
	s_endpgm
	.section	.rodata,"a",@progbits
	.p2align	6, 0x0
	.amdhsa_kernel _ZL41rocblas_syrkx_herkx_small_restrict_kernelIl19rocblas_complex_numIdELi16ELb0ELb0ELc84ELc76EKPKS1_KPS1_EviT_T0_PT6_S7_lSA_S7_lS8_PT7_S7_li
		.amdhsa_group_segment_fixed_size 8192
		.amdhsa_private_segment_fixed_size 0
		.amdhsa_kernarg_size 124
		.amdhsa_user_sgpr_count 13
		.amdhsa_user_sgpr_dispatch_ptr 0
		.amdhsa_user_sgpr_queue_ptr 0
		.amdhsa_user_sgpr_kernarg_segment_ptr 1
		.amdhsa_user_sgpr_dispatch_id 0
		.amdhsa_user_sgpr_private_segment_size 0
		.amdhsa_wavefront_size32 1
		.amdhsa_uses_dynamic_stack 0
		.amdhsa_enable_private_segment 0
		.amdhsa_system_sgpr_workgroup_id_x 1
		.amdhsa_system_sgpr_workgroup_id_y 1
		.amdhsa_system_sgpr_workgroup_id_z 1
		.amdhsa_system_sgpr_workgroup_info 0
		.amdhsa_system_vgpr_workitem_id 1
		.amdhsa_next_free_vgpr 48
		.amdhsa_next_free_sgpr 26
		.amdhsa_reserve_vcc 1
		.amdhsa_float_round_mode_32 0
		.amdhsa_float_round_mode_16_64 0
		.amdhsa_float_denorm_mode_32 3
		.amdhsa_float_denorm_mode_16_64 3
		.amdhsa_dx10_clamp 1
		.amdhsa_ieee_mode 1
		.amdhsa_fp16_overflow 0
		.amdhsa_workgroup_processor_mode 1
		.amdhsa_memory_ordered 1
		.amdhsa_forward_progress 0
		.amdhsa_shared_vgpr_count 0
		.amdhsa_exception_fp_ieee_invalid_op 0
		.amdhsa_exception_fp_denorm_src 0
		.amdhsa_exception_fp_ieee_div_zero 0
		.amdhsa_exception_fp_ieee_overflow 0
		.amdhsa_exception_fp_ieee_underflow 0
		.amdhsa_exception_fp_ieee_inexact 0
		.amdhsa_exception_int_div_zero 0
	.end_amdhsa_kernel
	.section	.text._ZL41rocblas_syrkx_herkx_small_restrict_kernelIl19rocblas_complex_numIdELi16ELb0ELb0ELc84ELc76EKPKS1_KPS1_EviT_T0_PT6_S7_lSA_S7_lS8_PT7_S7_li,"axG",@progbits,_ZL41rocblas_syrkx_herkx_small_restrict_kernelIl19rocblas_complex_numIdELi16ELb0ELb0ELc84ELc76EKPKS1_KPS1_EviT_T0_PT6_S7_lSA_S7_lS8_PT7_S7_li,comdat
.Lfunc_end1661:
	.size	_ZL41rocblas_syrkx_herkx_small_restrict_kernelIl19rocblas_complex_numIdELi16ELb0ELb0ELc84ELc76EKPKS1_KPS1_EviT_T0_PT6_S7_lSA_S7_lS8_PT7_S7_li, .Lfunc_end1661-_ZL41rocblas_syrkx_herkx_small_restrict_kernelIl19rocblas_complex_numIdELi16ELb0ELb0ELc84ELc76EKPKS1_KPS1_EviT_T0_PT6_S7_lSA_S7_lS8_PT7_S7_li
                                        ; -- End function
	.section	.AMDGPU.csdata,"",@progbits
; Kernel info:
; codeLenInByte = 1848
; NumSgprs: 28
; NumVgprs: 48
; ScratchSize: 0
; MemoryBound: 0
; FloatMode: 240
; IeeeMode: 1
; LDSByteSize: 8192 bytes/workgroup (compile time only)
; SGPRBlocks: 3
; VGPRBlocks: 5
; NumSGPRsForWavesPerEU: 28
; NumVGPRsForWavesPerEU: 48
; Occupancy: 16
; WaveLimiterHint : 1
; COMPUTE_PGM_RSRC2:SCRATCH_EN: 0
; COMPUTE_PGM_RSRC2:USER_SGPR: 13
; COMPUTE_PGM_RSRC2:TRAP_HANDLER: 0
; COMPUTE_PGM_RSRC2:TGID_X_EN: 1
; COMPUTE_PGM_RSRC2:TGID_Y_EN: 1
; COMPUTE_PGM_RSRC2:TGID_Z_EN: 1
; COMPUTE_PGM_RSRC2:TIDIG_COMP_CNT: 1
	.section	.text._ZL41rocblas_syrkx_herkx_small_restrict_kernelIl19rocblas_complex_numIdELi16ELb0ELb0ELc67ELc76EKPKS1_KPS1_EviT_T0_PT6_S7_lSA_S7_lS8_PT7_S7_li,"axG",@progbits,_ZL41rocblas_syrkx_herkx_small_restrict_kernelIl19rocblas_complex_numIdELi16ELb0ELb0ELc67ELc76EKPKS1_KPS1_EviT_T0_PT6_S7_lSA_S7_lS8_PT7_S7_li,comdat
	.globl	_ZL41rocblas_syrkx_herkx_small_restrict_kernelIl19rocblas_complex_numIdELi16ELb0ELb0ELc67ELc76EKPKS1_KPS1_EviT_T0_PT6_S7_lSA_S7_lS8_PT7_S7_li ; -- Begin function _ZL41rocblas_syrkx_herkx_small_restrict_kernelIl19rocblas_complex_numIdELi16ELb0ELb0ELc67ELc76EKPKS1_KPS1_EviT_T0_PT6_S7_lSA_S7_lS8_PT7_S7_li
	.p2align	8
	.type	_ZL41rocblas_syrkx_herkx_small_restrict_kernelIl19rocblas_complex_numIdELi16ELb0ELb0ELc67ELc76EKPKS1_KPS1_EviT_T0_PT6_S7_lSA_S7_lS8_PT7_S7_li,@function
_ZL41rocblas_syrkx_herkx_small_restrict_kernelIl19rocblas_complex_numIdELi16ELb0ELb0ELc67ELc76EKPKS1_KPS1_EviT_T0_PT6_S7_lSA_S7_lS8_PT7_S7_li: ; @_ZL41rocblas_syrkx_herkx_small_restrict_kernelIl19rocblas_complex_numIdELi16ELb0ELb0ELc67ELc76EKPKS1_KPS1_EviT_T0_PT6_S7_lSA_S7_lS8_PT7_S7_li
; %bb.0:
	s_clause 0x1
	s_load_b256 s[4:11], s[0:1], 0x50
	s_load_b256 s[16:23], s[0:1], 0x8
	s_mov_b32 s2, s15
	s_mov_b32 s3, 0
	v_dual_mov_b32 v6, 0 :: v_dual_and_b32 v3, 0x3ff, v0
	s_lshl_b64 s[24:25], s[2:3], 3
	v_bfe_u32 v2, v0, 10, 10
	v_mov_b32_e32 v7, 0
	s_delay_alu instid0(VALU_DEP_3) | instskip(NEXT) | instid1(VALU_DEP_3)
	v_lshl_add_u32 v0, s13, 4, v3
	v_lshl_add_u32 v10, s14, 4, v2
	s_delay_alu instid0(VALU_DEP_3) | instskip(NEXT) | instid1(VALU_DEP_3)
	v_dual_mov_b32 v9, v7 :: v_dual_mov_b32 v8, v6
	v_ashrrev_i32_e32 v1, 31, v0
	s_delay_alu instid0(VALU_DEP_3)
	v_ashrrev_i32_e32 v11, 31, v10
	s_waitcnt lgkmcnt(0)
	s_add_u32 s2, s8, s24
	s_addc_u32 s3, s9, s25
	s_load_b64 s[8:9], s[0:1], 0x28
	s_load_b64 s[2:3], s[2:3], 0x0
	v_cmp_lt_i64_e64 s12, s[16:17], 1
	s_delay_alu instid0(VALU_DEP_1)
	s_and_b32 vcc_lo, exec_lo, s12
	s_cbranch_vccnz .LBB1662_3
; %bb.1:
	s_load_b128 s[12:15], s[0:1], 0x38
	s_waitcnt lgkmcnt(0)
	v_mul_lo_u32 v6, s9, v0
	v_mul_lo_u32 v7, s8, v1
	v_mad_u64_u32 v[4:5], null, s8, v0, 0
	v_lshlrev_b32_e32 v14, 8, v2
	v_lshlrev_b32_e32 v18, 4, v2
	s_delay_alu instid0(VALU_DEP_3) | instskip(SKIP_3) | instid1(VALU_DEP_4)
	v_add3_u32 v5, v5, v7, v6
	v_mov_b32_e32 v6, 0
	v_dual_mov_b32 v7, 0 :: v_dual_lshlrev_b32 v12, 4, v3
	v_add_nc_u32_e32 v13, 0x1000, v14
	v_lshlrev_b64 v[2:3], 4, v[4:5]
	s_add_u32 s0, s12, s24
	s_addc_u32 s1, s13, s25
	s_add_u32 s8, s22, s24
	s_load_b64 s[0:1], s[0:1], 0x0
	s_addc_u32 s9, s23, s25
	v_mul_lo_u32 v16, v10, s15
	s_load_b64 s[8:9], s[8:9], 0x0
	v_mul_lo_u32 v17, v11, s14
	v_mad_u64_u32 v[8:9], null, v10, s14, 0
	v_add_co_u32 v4, vcc_lo, v2, v18
	v_add_co_ci_u32_e32 v5, vcc_lo, 0, v3, vcc_lo
	s_delay_alu instid0(VALU_DEP_3) | instskip(NEXT) | instid1(VALU_DEP_1)
	v_add3_u32 v9, v9, v16, v17
	v_lshlrev_b64 v[2:3], 4, v[8:9]
	s_waitcnt lgkmcnt(0)
	v_add_co_u32 v8, s0, s0, v12
	s_delay_alu instid0(VALU_DEP_1) | instskip(SKIP_2) | instid1(VALU_DEP_4)
	v_add_co_ci_u32_e64 v9, null, s1, 0, s0
	v_add_co_u32 v4, vcc_lo, v4, s8
	v_add_co_ci_u32_e32 v5, vcc_lo, s9, v5, vcc_lo
	v_add_co_u32 v2, vcc_lo, v8, v2
	s_delay_alu instid0(VALU_DEP_4) | instskip(NEXT) | instid1(VALU_DEP_4)
	v_add_co_ci_u32_e32 v3, vcc_lo, v9, v3, vcc_lo
	v_add_co_u32 v4, vcc_lo, v4, 8
	v_dual_mov_b32 v9, v7 :: v_dual_mov_b32 v8, v6
	v_add_nc_u32_e32 v14, v12, v14
	v_add_nc_u32_e32 v15, v13, v12
	v_add_co_ci_u32_e32 v5, vcc_lo, 0, v5, vcc_lo
	s_mov_b64 s[0:1], 0
.LBB1662_2:                             ; =>This Inner Loop Header: Depth=1
	global_load_b128 v[16:19], v[4:5], off offset:-8
	global_load_b128 v[20:23], v[2:3], off
	s_add_u32 s0, s0, 16
	v_add_co_u32 v2, vcc_lo, 0x100, v2
	s_addc_u32 s1, s1, 0
	v_add_co_ci_u32_e32 v3, vcc_lo, 0, v3, vcc_lo
	v_cmp_lt_i64_e64 s8, s[0:1], s[16:17]
	v_add_co_u32 v4, vcc_lo, 0x100, v4
	v_add_co_ci_u32_e32 v5, vcc_lo, 0, v5, vcc_lo
	s_waitcnt vmcnt(1)
	ds_store_b128 v14, v[16:19]
	s_waitcnt vmcnt(0)
	ds_store_2addr_b64 v15, v[20:21], v[22:23] offset1:1
	s_waitcnt lgkmcnt(0)
	s_barrier
	buffer_gl0_inv
	ds_load_b128 v[16:19], v12
	ds_load_b128 v[20:23], v13
	ds_load_b128 v[24:27], v13 offset:16
	ds_load_b128 v[28:31], v12 offset:256
	s_and_b32 vcc_lo, exec_lo, s8
	s_waitcnt lgkmcnt(2)
	v_mul_f64 v[32:33], v[22:23], v[18:19]
	v_mul_f64 v[18:19], v[20:21], v[18:19]
	s_waitcnt lgkmcnt(0)
	v_mul_f64 v[38:39], v[26:27], v[30:31]
	v_mul_f64 v[40:41], v[24:25], v[30:31]
	s_delay_alu instid0(VALU_DEP_4) | instskip(NEXT) | instid1(VALU_DEP_4)
	v_fma_f64 v[42:43], v[20:21], v[16:17], -v[32:33]
	v_fma_f64 v[44:45], v[22:23], v[16:17], v[18:19]
	ds_load_b128 v[16:19], v12 offset:512
	ds_load_b128 v[20:23], v13 offset:32
	;; [unrolled: 1-line block ×4, first 2 shown]
	v_fma_f64 v[24:25], v[24:25], v[28:29], -v[38:39]
	v_fma_f64 v[26:27], v[26:27], v[28:29], v[40:41]
	s_waitcnt lgkmcnt(2)
	v_mul_f64 v[46:47], v[22:23], v[18:19]
	v_mul_f64 v[18:19], v[20:21], v[18:19]
	s_waitcnt lgkmcnt(0)
	v_mul_f64 v[28:29], v[32:33], v[36:37]
	v_mul_f64 v[36:37], v[30:31], v[36:37]
	v_add_f64 v[8:9], v[8:9], v[42:43]
	v_add_f64 v[6:7], v[6:7], v[44:45]
	v_fma_f64 v[38:39], v[20:21], v[16:17], -v[46:47]
	v_fma_f64 v[40:41], v[22:23], v[16:17], v[18:19]
	v_fma_f64 v[28:29], v[30:31], v[34:35], -v[28:29]
	v_fma_f64 v[30:31], v[32:33], v[34:35], v[36:37]
	v_add_f64 v[42:43], v[8:9], v[24:25]
	v_add_f64 v[44:45], v[6:7], v[26:27]
	ds_load_b128 v[6:9], v12 offset:1024
	ds_load_b128 v[16:19], v13 offset:64
	;; [unrolled: 1-line block ×4, first 2 shown]
	s_waitcnt lgkmcnt(2)
	v_mul_f64 v[46:47], v[18:19], v[8:9]
	v_mul_f64 v[8:9], v[16:17], v[8:9]
	s_waitcnt lgkmcnt(0)
	v_mul_f64 v[36:37], v[22:23], v[26:27]
	v_add_f64 v[32:33], v[42:43], v[38:39]
	v_add_f64 v[34:35], v[44:45], v[40:41]
	v_mul_f64 v[38:39], v[20:21], v[26:27]
	v_fma_f64 v[40:41], v[16:17], v[6:7], -v[46:47]
	v_fma_f64 v[42:43], v[18:19], v[6:7], v[8:9]
	v_fma_f64 v[20:21], v[20:21], v[24:25], -v[36:37]
	v_add_f64 v[44:45], v[32:33], v[28:29]
	v_add_f64 v[34:35], v[34:35], v[30:31]
	ds_load_b128 v[6:9], v12 offset:1536
	ds_load_b128 v[16:19], v13 offset:96
	;; [unrolled: 1-line block ×4, first 2 shown]
	v_fma_f64 v[22:23], v[22:23], v[24:25], v[38:39]
	s_waitcnt lgkmcnt(2)
	v_mul_f64 v[46:47], v[18:19], v[8:9]
	v_mul_f64 v[8:9], v[16:17], v[8:9]
	s_waitcnt lgkmcnt(0)
	v_mul_f64 v[36:37], v[28:29], v[32:33]
	v_mul_f64 v[38:39], v[26:27], v[32:33]
	v_add_f64 v[24:25], v[44:45], v[40:41]
	v_add_f64 v[34:35], v[34:35], v[42:43]
	v_fma_f64 v[40:41], v[16:17], v[6:7], -v[46:47]
	v_fma_f64 v[42:43], v[18:19], v[6:7], v[8:9]
	v_fma_f64 v[26:27], v[26:27], v[30:31], -v[36:37]
	v_fma_f64 v[28:29], v[28:29], v[30:31], v[38:39]
	v_add_f64 v[24:25], v[24:25], v[20:21]
	v_add_f64 v[44:45], v[34:35], v[22:23]
	ds_load_b128 v[6:9], v12 offset:2048
	ds_load_b128 v[16:19], v13 offset:128
	;; [unrolled: 1-line block ×4, first 2 shown]
	s_waitcnt lgkmcnt(2)
	v_mul_f64 v[46:47], v[18:19], v[8:9]
	v_mul_f64 v[8:9], v[16:17], v[8:9]
	s_waitcnt lgkmcnt(0)
	v_mul_f64 v[36:37], v[22:23], v[34:35]
	v_mul_f64 v[34:35], v[20:21], v[34:35]
	v_add_f64 v[24:25], v[24:25], v[40:41]
	v_add_f64 v[30:31], v[44:45], v[42:43]
	v_fma_f64 v[38:39], v[16:17], v[6:7], -v[46:47]
	v_fma_f64 v[40:41], v[18:19], v[6:7], v[8:9]
	v_fma_f64 v[20:21], v[20:21], v[32:33], -v[36:37]
	v_fma_f64 v[22:23], v[22:23], v[32:33], v[34:35]
	v_add_f64 v[42:43], v[24:25], v[26:27]
	v_add_f64 v[44:45], v[30:31], v[28:29]
	ds_load_b128 v[6:9], v12 offset:2560
	ds_load_b128 v[16:19], v13 offset:160
	;; [unrolled: 1-line block ×4, first 2 shown]
	s_waitcnt lgkmcnt(2)
	v_mul_f64 v[46:47], v[18:19], v[8:9]
	v_mul_f64 v[8:9], v[16:17], v[8:9]
	s_waitcnt lgkmcnt(0)
	v_mul_f64 v[36:37], v[26:27], v[30:31]
	v_add_f64 v[32:33], v[42:43], v[38:39]
	v_add_f64 v[34:35], v[44:45], v[40:41]
	v_mul_f64 v[38:39], v[24:25], v[30:31]
	v_fma_f64 v[40:41], v[16:17], v[6:7], -v[46:47]
	v_fma_f64 v[42:43], v[18:19], v[6:7], v[8:9]
	v_fma_f64 v[24:25], v[24:25], v[28:29], -v[36:37]
	v_add_f64 v[44:45], v[32:33], v[20:21]
	v_add_f64 v[34:35], v[34:35], v[22:23]
	ds_load_b128 v[6:9], v12 offset:3072
	ds_load_b128 v[16:19], v13 offset:192
	;; [unrolled: 1-line block ×4, first 2 shown]
	v_fma_f64 v[26:27], v[26:27], v[28:29], v[38:39]
	s_waitcnt lgkmcnt(2)
	v_mul_f64 v[46:47], v[18:19], v[8:9]
	v_mul_f64 v[8:9], v[16:17], v[8:9]
	s_waitcnt lgkmcnt(0)
	v_mul_f64 v[36:37], v[22:23], v[32:33]
	v_mul_f64 v[38:39], v[20:21], v[32:33]
	v_add_f64 v[28:29], v[44:45], v[40:41]
	v_add_f64 v[34:35], v[34:35], v[42:43]
	v_fma_f64 v[40:41], v[16:17], v[6:7], -v[46:47]
	v_fma_f64 v[42:43], v[18:19], v[6:7], v[8:9]
	v_fma_f64 v[20:21], v[20:21], v[30:31], -v[36:37]
	v_fma_f64 v[22:23], v[22:23], v[30:31], v[38:39]
	v_add_f64 v[28:29], v[28:29], v[24:25]
	v_add_f64 v[44:45], v[34:35], v[26:27]
	ds_load_b128 v[6:9], v12 offset:3584
	ds_load_b128 v[16:19], v13 offset:224
	;; [unrolled: 1-line block ×4, first 2 shown]
	s_waitcnt lgkmcnt(0)
	s_barrier
	buffer_gl0_inv
	v_mul_f64 v[46:47], v[18:19], v[8:9]
	v_mul_f64 v[8:9], v[16:17], v[8:9]
	;; [unrolled: 1-line block ×4, first 2 shown]
	v_add_f64 v[28:29], v[28:29], v[40:41]
	v_add_f64 v[30:31], v[44:45], v[42:43]
	v_fma_f64 v[16:17], v[16:17], v[6:7], -v[46:47]
	v_fma_f64 v[6:7], v[18:19], v[6:7], v[8:9]
	s_delay_alu instid0(VALU_DEP_4) | instskip(NEXT) | instid1(VALU_DEP_4)
	v_add_f64 v[8:9], v[28:29], v[20:21]
	v_add_f64 v[18:19], v[30:31], v[22:23]
	v_fma_f64 v[20:21], v[24:25], v[32:33], -v[36:37]
	v_fma_f64 v[22:23], v[26:27], v[32:33], v[34:35]
	s_delay_alu instid0(VALU_DEP_4) | instskip(NEXT) | instid1(VALU_DEP_4)
	v_add_f64 v[8:9], v[8:9], v[16:17]
	v_add_f64 v[6:7], v[18:19], v[6:7]
	s_delay_alu instid0(VALU_DEP_2) | instskip(NEXT) | instid1(VALU_DEP_2)
	v_add_f64 v[8:9], v[8:9], v[20:21]
	v_add_f64 v[6:7], v[6:7], v[22:23]
	s_cbranch_vccnz .LBB1662_2
.LBB1662_3:
	s_mov_b32 s0, exec_lo
	v_cmpx_le_i32_e64 v10, v0
	s_cbranch_execz .LBB1662_5
; %bb.4:
	v_mul_lo_u32 v4, v10, s11
	v_mul_lo_u32 v5, v11, s10
	v_mad_u64_u32 v[2:3], null, v10, s10, 0
	v_lshlrev_b64 v[0:1], 4, v[0:1]
	v_mul_f64 v[10:11], s[20:21], v[6:7]
	v_mul_f64 v[6:7], s[18:19], v[6:7]
	s_delay_alu instid0(VALU_DEP_4) | instskip(NEXT) | instid1(VALU_DEP_1)
	v_add3_u32 v3, v3, v4, v5
	v_lshlrev_b64 v[2:3], 4, v[2:3]
	s_waitcnt lgkmcnt(0)
	s_delay_alu instid0(VALU_DEP_1) | instskip(NEXT) | instid1(VALU_DEP_2)
	v_add_co_u32 v2, vcc_lo, s2, v2
	v_add_co_ci_u32_e32 v3, vcc_lo, s3, v3, vcc_lo
	s_delay_alu instid0(VALU_DEP_2) | instskip(NEXT) | instid1(VALU_DEP_2)
	v_add_co_u32 v4, vcc_lo, v2, v0
	v_add_co_ci_u32_e32 v5, vcc_lo, v3, v1, vcc_lo
	global_load_b128 v[0:3], v[4:5], off
	v_fma_f64 v[10:11], s[18:19], v[8:9], -v[10:11]
	v_fma_f64 v[6:7], s[20:21], v[8:9], v[6:7]
	s_waitcnt vmcnt(0)
	v_mul_f64 v[12:13], s[6:7], v[2:3]
	v_mul_f64 v[2:3], s[4:5], v[2:3]
	s_delay_alu instid0(VALU_DEP_2) | instskip(NEXT) | instid1(VALU_DEP_2)
	v_fma_f64 v[8:9], s[4:5], v[0:1], -v[12:13]
	v_fma_f64 v[2:3], s[6:7], v[0:1], v[2:3]
	s_delay_alu instid0(VALU_DEP_2) | instskip(NEXT) | instid1(VALU_DEP_2)
	v_add_f64 v[0:1], v[10:11], v[8:9]
	v_add_f64 v[2:3], v[6:7], v[2:3]
	global_store_b128 v[4:5], v[0:3], off
.LBB1662_5:
	s_nop 0
	s_sendmsg sendmsg(MSG_DEALLOC_VGPRS)
	s_endpgm
	.section	.rodata,"a",@progbits
	.p2align	6, 0x0
	.amdhsa_kernel _ZL41rocblas_syrkx_herkx_small_restrict_kernelIl19rocblas_complex_numIdELi16ELb0ELb0ELc67ELc76EKPKS1_KPS1_EviT_T0_PT6_S7_lSA_S7_lS8_PT7_S7_li
		.amdhsa_group_segment_fixed_size 8192
		.amdhsa_private_segment_fixed_size 0
		.amdhsa_kernarg_size 124
		.amdhsa_user_sgpr_count 13
		.amdhsa_user_sgpr_dispatch_ptr 0
		.amdhsa_user_sgpr_queue_ptr 0
		.amdhsa_user_sgpr_kernarg_segment_ptr 1
		.amdhsa_user_sgpr_dispatch_id 0
		.amdhsa_user_sgpr_private_segment_size 0
		.amdhsa_wavefront_size32 1
		.amdhsa_uses_dynamic_stack 0
		.amdhsa_enable_private_segment 0
		.amdhsa_system_sgpr_workgroup_id_x 1
		.amdhsa_system_sgpr_workgroup_id_y 1
		.amdhsa_system_sgpr_workgroup_id_z 1
		.amdhsa_system_sgpr_workgroup_info 0
		.amdhsa_system_vgpr_workitem_id 1
		.amdhsa_next_free_vgpr 48
		.amdhsa_next_free_sgpr 26
		.amdhsa_reserve_vcc 1
		.amdhsa_float_round_mode_32 0
		.amdhsa_float_round_mode_16_64 0
		.amdhsa_float_denorm_mode_32 3
		.amdhsa_float_denorm_mode_16_64 3
		.amdhsa_dx10_clamp 1
		.amdhsa_ieee_mode 1
		.amdhsa_fp16_overflow 0
		.amdhsa_workgroup_processor_mode 1
		.amdhsa_memory_ordered 1
		.amdhsa_forward_progress 0
		.amdhsa_shared_vgpr_count 0
		.amdhsa_exception_fp_ieee_invalid_op 0
		.amdhsa_exception_fp_denorm_src 0
		.amdhsa_exception_fp_ieee_div_zero 0
		.amdhsa_exception_fp_ieee_overflow 0
		.amdhsa_exception_fp_ieee_underflow 0
		.amdhsa_exception_fp_ieee_inexact 0
		.amdhsa_exception_int_div_zero 0
	.end_amdhsa_kernel
	.section	.text._ZL41rocblas_syrkx_herkx_small_restrict_kernelIl19rocblas_complex_numIdELi16ELb0ELb0ELc67ELc76EKPKS1_KPS1_EviT_T0_PT6_S7_lSA_S7_lS8_PT7_S7_li,"axG",@progbits,_ZL41rocblas_syrkx_herkx_small_restrict_kernelIl19rocblas_complex_numIdELi16ELb0ELb0ELc67ELc76EKPKS1_KPS1_EviT_T0_PT6_S7_lSA_S7_lS8_PT7_S7_li,comdat
.Lfunc_end1662:
	.size	_ZL41rocblas_syrkx_herkx_small_restrict_kernelIl19rocblas_complex_numIdELi16ELb0ELb0ELc67ELc76EKPKS1_KPS1_EviT_T0_PT6_S7_lSA_S7_lS8_PT7_S7_li, .Lfunc_end1662-_ZL41rocblas_syrkx_herkx_small_restrict_kernelIl19rocblas_complex_numIdELi16ELb0ELb0ELc67ELc76EKPKS1_KPS1_EviT_T0_PT6_S7_lSA_S7_lS8_PT7_S7_li
                                        ; -- End function
	.section	.AMDGPU.csdata,"",@progbits
; Kernel info:
; codeLenInByte = 1852
; NumSgprs: 28
; NumVgprs: 48
; ScratchSize: 0
; MemoryBound: 0
; FloatMode: 240
; IeeeMode: 1
; LDSByteSize: 8192 bytes/workgroup (compile time only)
; SGPRBlocks: 3
; VGPRBlocks: 5
; NumSGPRsForWavesPerEU: 28
; NumVGPRsForWavesPerEU: 48
; Occupancy: 16
; WaveLimiterHint : 1
; COMPUTE_PGM_RSRC2:SCRATCH_EN: 0
; COMPUTE_PGM_RSRC2:USER_SGPR: 13
; COMPUTE_PGM_RSRC2:TRAP_HANDLER: 0
; COMPUTE_PGM_RSRC2:TGID_X_EN: 1
; COMPUTE_PGM_RSRC2:TGID_Y_EN: 1
; COMPUTE_PGM_RSRC2:TGID_Z_EN: 1
; COMPUTE_PGM_RSRC2:TIDIG_COMP_CNT: 1
	.section	.text._ZL41rocblas_syrkx_herkx_small_restrict_kernelIl19rocblas_complex_numIdELi16ELb0ELb0ELc78ELc76EKPKS1_KPS1_EviT_T0_PT6_S7_lSA_S7_lS8_PT7_S7_li,"axG",@progbits,_ZL41rocblas_syrkx_herkx_small_restrict_kernelIl19rocblas_complex_numIdELi16ELb0ELb0ELc78ELc76EKPKS1_KPS1_EviT_T0_PT6_S7_lSA_S7_lS8_PT7_S7_li,comdat
	.globl	_ZL41rocblas_syrkx_herkx_small_restrict_kernelIl19rocblas_complex_numIdELi16ELb0ELb0ELc78ELc76EKPKS1_KPS1_EviT_T0_PT6_S7_lSA_S7_lS8_PT7_S7_li ; -- Begin function _ZL41rocblas_syrkx_herkx_small_restrict_kernelIl19rocblas_complex_numIdELi16ELb0ELb0ELc78ELc76EKPKS1_KPS1_EviT_T0_PT6_S7_lSA_S7_lS8_PT7_S7_li
	.p2align	8
	.type	_ZL41rocblas_syrkx_herkx_small_restrict_kernelIl19rocblas_complex_numIdELi16ELb0ELb0ELc78ELc76EKPKS1_KPS1_EviT_T0_PT6_S7_lSA_S7_lS8_PT7_S7_li,@function
_ZL41rocblas_syrkx_herkx_small_restrict_kernelIl19rocblas_complex_numIdELi16ELb0ELb0ELc78ELc76EKPKS1_KPS1_EviT_T0_PT6_S7_lSA_S7_lS8_PT7_S7_li: ; @_ZL41rocblas_syrkx_herkx_small_restrict_kernelIl19rocblas_complex_numIdELi16ELb0ELb0ELc78ELc76EKPKS1_KPS1_EviT_T0_PT6_S7_lSA_S7_lS8_PT7_S7_li
; %bb.0:
	s_clause 0x1
	s_load_b256 s[4:11], s[0:1], 0x50
	s_load_b256 s[16:23], s[0:1], 0x8
	s_mov_b32 s2, s15
	s_mov_b32 s3, 0
	v_dual_mov_b32 v8, 0 :: v_dual_and_b32 v5, 0x3ff, v0
	s_lshl_b64 s[26:27], s[2:3], 3
	v_bfe_u32 v4, v0, 10, 10
	v_mov_b32_e32 v9, 0
	s_delay_alu instid0(VALU_DEP_3) | instskip(NEXT) | instid1(VALU_DEP_3)
	v_lshl_add_u32 v0, s13, 4, v5
	v_lshl_add_u32 v2, s14, 4, v4
	s_delay_alu instid0(VALU_DEP_3) | instskip(NEXT) | instid1(VALU_DEP_3)
	v_dual_mov_b32 v11, v9 :: v_dual_mov_b32 v10, v8
	v_ashrrev_i32_e32 v1, 31, v0
	s_delay_alu instid0(VALU_DEP_3)
	v_ashrrev_i32_e32 v3, 31, v2
	s_waitcnt lgkmcnt(0)
	s_add_u32 s2, s8, s26
	s_addc_u32 s3, s9, s27
	s_load_b64 s[24:25], s[0:1], 0x28
	s_load_b64 s[8:9], s[2:3], 0x0
	v_cmp_lt_i64_e64 s2, s[16:17], 1
	s_delay_alu instid0(VALU_DEP_1)
	s_and_b32 vcc_lo, exec_lo, s2
	s_cbranch_vccnz .LBB1663_3
; %bb.1:
	s_load_b128 s[0:3], s[0:1], 0x38
	s_waitcnt lgkmcnt(0)
	v_mad_u64_u32 v[10:11], null, s24, v4, 0
	v_lshlrev_b64 v[16:17], 4, v[2:3]
	v_lshlrev_b64 v[18:19], 4, v[0:1]
	s_delay_alu instid0(VALU_DEP_3)
	v_mov_b32_e32 v8, v11
	v_mad_u64_u32 v[6:7], null, s2, v5, 0
	s_add_u32 s0, s0, s26
	s_addc_u32 s1, s1, s27
	s_add_u32 s12, s22, s26
	s_load_b64 s[0:1], s[0:1], 0x0
	s_addc_u32 s13, s23, s27
	s_load_b64 s[12:13], s[12:13], 0x0
	s_delay_alu instid0(VALU_DEP_1) | instskip(NEXT) | instid1(VALU_DEP_1)
	v_mad_u64_u32 v[13:14], null, s3, v5, v[7:8]
	v_dual_mov_b32 v7, v13 :: v_dual_lshlrev_b32 v20, 8, v4
	s_delay_alu instid0(VALU_DEP_1) | instskip(SKIP_2) | instid1(VALU_DEP_4)
	v_add_nc_u32_e32 v13, 0x1000, v20
	v_mad_u64_u32 v[14:15], null, s25, v4, v[8:9]
	v_lshlrev_b32_e32 v12, 4, v5
	v_lshlrev_b64 v[4:5], 4, v[6:7]
	s_delay_alu instid0(VALU_DEP_3) | instskip(NEXT) | instid1(VALU_DEP_2)
	v_mov_b32_e32 v11, v14
	v_add_co_u32 v4, vcc_lo, v4, v16
	s_delay_alu instid0(VALU_DEP_3) | instskip(NEXT) | instid1(VALU_DEP_3)
	v_add_co_ci_u32_e32 v5, vcc_lo, v5, v17, vcc_lo
	v_lshlrev_b64 v[6:7], 4, v[10:11]
	v_dual_mov_b32 v8, 0 :: v_dual_add_nc_u32 v15, v13, v12
	v_dual_mov_b32 v9, 0 :: v_dual_add_nc_u32 v14, v12, v20
	s_delay_alu instid0(VALU_DEP_3) | instskip(NEXT) | instid1(VALU_DEP_4)
	v_add_co_u32 v6, vcc_lo, v6, v18
	v_add_co_ci_u32_e32 v7, vcc_lo, v7, v19, vcc_lo
	s_waitcnt lgkmcnt(0)
	v_add_co_u32 v10, vcc_lo, v4, s0
	v_add_co_ci_u32_e32 v11, vcc_lo, s1, v5, vcc_lo
	v_add_co_u32 v4, vcc_lo, s12, v6
	v_add_co_ci_u32_e32 v5, vcc_lo, s13, v7, vcc_lo
	s_delay_alu instid0(VALU_DEP_4) | instskip(NEXT) | instid1(VALU_DEP_4)
	v_add_co_u32 v6, vcc_lo, v10, 8
	v_add_co_ci_u32_e32 v7, vcc_lo, 0, v11, vcc_lo
	v_dual_mov_b32 v11, v9 :: v_dual_mov_b32 v10, v8
	s_lshl_b64 s[0:1], s[2:3], 8
	s_lshl_b64 s[2:3], s[24:25], 8
	s_mov_b64 s[12:13], 0
.LBB1663_2:                             ; =>This Inner Loop Header: Depth=1
	global_load_b128 v[16:19], v[4:5], off
	global_load_b128 v[20:23], v[6:7], off offset:-8
	s_add_u32 s12, s12, 16
	v_add_co_u32 v6, vcc_lo, v6, s0
	s_addc_u32 s13, s13, 0
	v_add_co_ci_u32_e32 v7, vcc_lo, s1, v7, vcc_lo
	v_cmp_lt_i64_e64 s14, s[12:13], s[16:17]
	v_add_co_u32 v4, vcc_lo, v4, s2
	v_add_co_ci_u32_e32 v5, vcc_lo, s3, v5, vcc_lo
	s_waitcnt vmcnt(1)
	ds_store_2addr_b64 v14, v[16:17], v[18:19] offset1:1
	s_waitcnt vmcnt(0)
	ds_store_b128 v15, v[20:23]
	s_waitcnt lgkmcnt(0)
	s_barrier
	buffer_gl0_inv
	ds_load_b128 v[16:19], v12
	ds_load_b128 v[20:23], v13
	ds_load_b128 v[24:27], v13 offset:16
	ds_load_b128 v[28:31], v12 offset:256
	s_and_b32 vcc_lo, exec_lo, s14
	s_waitcnt lgkmcnt(2)
	v_mul_f64 v[32:33], v[22:23], v[18:19]
	v_mul_f64 v[18:19], v[20:21], v[18:19]
	s_waitcnt lgkmcnt(0)
	v_mul_f64 v[38:39], v[26:27], v[30:31]
	v_mul_f64 v[40:41], v[24:25], v[30:31]
	s_delay_alu instid0(VALU_DEP_4) | instskip(NEXT) | instid1(VALU_DEP_4)
	v_fma_f64 v[42:43], v[20:21], v[16:17], -v[32:33]
	v_fma_f64 v[44:45], v[22:23], v[16:17], v[18:19]
	ds_load_b128 v[16:19], v12 offset:512
	ds_load_b128 v[20:23], v13 offset:32
	;; [unrolled: 1-line block ×4, first 2 shown]
	v_fma_f64 v[24:25], v[24:25], v[28:29], -v[38:39]
	v_fma_f64 v[26:27], v[26:27], v[28:29], v[40:41]
	s_waitcnt lgkmcnt(2)
	v_mul_f64 v[46:47], v[22:23], v[18:19]
	v_mul_f64 v[18:19], v[20:21], v[18:19]
	s_waitcnt lgkmcnt(0)
	v_mul_f64 v[28:29], v[32:33], v[36:37]
	v_mul_f64 v[36:37], v[30:31], v[36:37]
	v_add_f64 v[10:11], v[10:11], v[42:43]
	v_add_f64 v[8:9], v[8:9], v[44:45]
	v_fma_f64 v[38:39], v[20:21], v[16:17], -v[46:47]
	v_fma_f64 v[40:41], v[22:23], v[16:17], v[18:19]
	v_fma_f64 v[28:29], v[30:31], v[34:35], -v[28:29]
	v_fma_f64 v[30:31], v[32:33], v[34:35], v[36:37]
	v_add_f64 v[42:43], v[10:11], v[24:25]
	v_add_f64 v[44:45], v[8:9], v[26:27]
	ds_load_b128 v[8:11], v12 offset:1024
	ds_load_b128 v[16:19], v13 offset:64
	;; [unrolled: 1-line block ×4, first 2 shown]
	s_waitcnt lgkmcnt(2)
	v_mul_f64 v[46:47], v[18:19], v[10:11]
	v_mul_f64 v[10:11], v[16:17], v[10:11]
	s_waitcnt lgkmcnt(0)
	v_mul_f64 v[36:37], v[22:23], v[26:27]
	v_add_f64 v[32:33], v[42:43], v[38:39]
	v_add_f64 v[34:35], v[44:45], v[40:41]
	v_mul_f64 v[38:39], v[20:21], v[26:27]
	v_fma_f64 v[40:41], v[16:17], v[8:9], -v[46:47]
	v_fma_f64 v[42:43], v[18:19], v[8:9], v[10:11]
	v_fma_f64 v[20:21], v[20:21], v[24:25], -v[36:37]
	v_add_f64 v[44:45], v[32:33], v[28:29]
	v_add_f64 v[34:35], v[34:35], v[30:31]
	ds_load_b128 v[8:11], v12 offset:1536
	ds_load_b128 v[16:19], v13 offset:96
	;; [unrolled: 1-line block ×4, first 2 shown]
	v_fma_f64 v[22:23], v[22:23], v[24:25], v[38:39]
	s_waitcnt lgkmcnt(2)
	v_mul_f64 v[46:47], v[18:19], v[10:11]
	v_mul_f64 v[10:11], v[16:17], v[10:11]
	s_waitcnt lgkmcnt(0)
	v_mul_f64 v[36:37], v[28:29], v[32:33]
	v_mul_f64 v[38:39], v[26:27], v[32:33]
	v_add_f64 v[24:25], v[44:45], v[40:41]
	v_add_f64 v[34:35], v[34:35], v[42:43]
	v_fma_f64 v[40:41], v[16:17], v[8:9], -v[46:47]
	v_fma_f64 v[42:43], v[18:19], v[8:9], v[10:11]
	v_fma_f64 v[26:27], v[26:27], v[30:31], -v[36:37]
	v_fma_f64 v[28:29], v[28:29], v[30:31], v[38:39]
	v_add_f64 v[24:25], v[24:25], v[20:21]
	v_add_f64 v[44:45], v[34:35], v[22:23]
	ds_load_b128 v[8:11], v12 offset:2048
	ds_load_b128 v[16:19], v13 offset:128
	;; [unrolled: 1-line block ×4, first 2 shown]
	s_waitcnt lgkmcnt(2)
	v_mul_f64 v[46:47], v[18:19], v[10:11]
	v_mul_f64 v[10:11], v[16:17], v[10:11]
	s_waitcnt lgkmcnt(0)
	v_mul_f64 v[36:37], v[22:23], v[34:35]
	v_mul_f64 v[34:35], v[20:21], v[34:35]
	v_add_f64 v[24:25], v[24:25], v[40:41]
	v_add_f64 v[30:31], v[44:45], v[42:43]
	v_fma_f64 v[38:39], v[16:17], v[8:9], -v[46:47]
	v_fma_f64 v[40:41], v[18:19], v[8:9], v[10:11]
	v_fma_f64 v[20:21], v[20:21], v[32:33], -v[36:37]
	v_fma_f64 v[22:23], v[22:23], v[32:33], v[34:35]
	v_add_f64 v[42:43], v[24:25], v[26:27]
	v_add_f64 v[44:45], v[30:31], v[28:29]
	ds_load_b128 v[8:11], v12 offset:2560
	ds_load_b128 v[16:19], v13 offset:160
	;; [unrolled: 1-line block ×4, first 2 shown]
	s_waitcnt lgkmcnt(2)
	v_mul_f64 v[46:47], v[18:19], v[10:11]
	v_mul_f64 v[10:11], v[16:17], v[10:11]
	s_waitcnt lgkmcnt(0)
	v_mul_f64 v[36:37], v[26:27], v[30:31]
	v_add_f64 v[32:33], v[42:43], v[38:39]
	v_add_f64 v[34:35], v[44:45], v[40:41]
	v_mul_f64 v[38:39], v[24:25], v[30:31]
	v_fma_f64 v[40:41], v[16:17], v[8:9], -v[46:47]
	v_fma_f64 v[42:43], v[18:19], v[8:9], v[10:11]
	v_fma_f64 v[24:25], v[24:25], v[28:29], -v[36:37]
	v_add_f64 v[44:45], v[32:33], v[20:21]
	v_add_f64 v[34:35], v[34:35], v[22:23]
	ds_load_b128 v[8:11], v12 offset:3072
	ds_load_b128 v[16:19], v13 offset:192
	;; [unrolled: 1-line block ×4, first 2 shown]
	v_fma_f64 v[26:27], v[26:27], v[28:29], v[38:39]
	s_waitcnt lgkmcnt(2)
	v_mul_f64 v[46:47], v[18:19], v[10:11]
	v_mul_f64 v[10:11], v[16:17], v[10:11]
	s_waitcnt lgkmcnt(0)
	v_mul_f64 v[36:37], v[22:23], v[32:33]
	v_mul_f64 v[38:39], v[20:21], v[32:33]
	v_add_f64 v[28:29], v[44:45], v[40:41]
	v_add_f64 v[34:35], v[34:35], v[42:43]
	v_fma_f64 v[40:41], v[16:17], v[8:9], -v[46:47]
	v_fma_f64 v[42:43], v[18:19], v[8:9], v[10:11]
	v_fma_f64 v[20:21], v[20:21], v[30:31], -v[36:37]
	v_fma_f64 v[22:23], v[22:23], v[30:31], v[38:39]
	v_add_f64 v[28:29], v[28:29], v[24:25]
	v_add_f64 v[44:45], v[34:35], v[26:27]
	ds_load_b128 v[8:11], v12 offset:3584
	ds_load_b128 v[16:19], v13 offset:224
	;; [unrolled: 1-line block ×4, first 2 shown]
	s_waitcnt lgkmcnt(0)
	s_barrier
	buffer_gl0_inv
	v_mul_f64 v[46:47], v[18:19], v[10:11]
	v_mul_f64 v[10:11], v[16:17], v[10:11]
	;; [unrolled: 1-line block ×4, first 2 shown]
	v_add_f64 v[28:29], v[28:29], v[40:41]
	v_add_f64 v[30:31], v[44:45], v[42:43]
	v_fma_f64 v[16:17], v[16:17], v[8:9], -v[46:47]
	v_fma_f64 v[8:9], v[18:19], v[8:9], v[10:11]
	s_delay_alu instid0(VALU_DEP_4) | instskip(NEXT) | instid1(VALU_DEP_4)
	v_add_f64 v[10:11], v[28:29], v[20:21]
	v_add_f64 v[18:19], v[30:31], v[22:23]
	v_fma_f64 v[20:21], v[24:25], v[32:33], -v[36:37]
	v_fma_f64 v[22:23], v[26:27], v[32:33], v[34:35]
	s_delay_alu instid0(VALU_DEP_4) | instskip(NEXT) | instid1(VALU_DEP_4)
	v_add_f64 v[10:11], v[10:11], v[16:17]
	v_add_f64 v[8:9], v[18:19], v[8:9]
	s_delay_alu instid0(VALU_DEP_2) | instskip(NEXT) | instid1(VALU_DEP_2)
	v_add_f64 v[10:11], v[10:11], v[20:21]
	v_add_f64 v[8:9], v[8:9], v[22:23]
	s_cbranch_vccnz .LBB1663_2
.LBB1663_3:
	s_mov_b32 s0, exec_lo
	v_cmpx_le_i32_e64 v2, v0
	s_cbranch_execz .LBB1663_5
; %bb.4:
	v_mul_lo_u32 v5, v2, s11
	v_mul_lo_u32 v6, v3, s10
	v_mad_u64_u32 v[3:4], null, v2, s10, 0
	v_lshlrev_b64 v[0:1], 4, v[0:1]
	s_delay_alu instid0(VALU_DEP_2) | instskip(SKIP_2) | instid1(VALU_DEP_3)
	v_add3_u32 v4, v4, v5, v6
	v_mul_f64 v[6:7], s[20:21], v[8:9]
	v_mul_f64 v[8:9], s[18:19], v[8:9]
	v_lshlrev_b64 v[2:3], 4, v[3:4]
	s_waitcnt lgkmcnt(0)
	s_delay_alu instid0(VALU_DEP_1) | instskip(NEXT) | instid1(VALU_DEP_2)
	v_add_co_u32 v2, vcc_lo, s8, v2
	v_add_co_ci_u32_e32 v3, vcc_lo, s9, v3, vcc_lo
	s_delay_alu instid0(VALU_DEP_2) | instskip(NEXT) | instid1(VALU_DEP_2)
	v_add_co_u32 v4, vcc_lo, v2, v0
	v_add_co_ci_u32_e32 v5, vcc_lo, v3, v1, vcc_lo
	global_load_b128 v[0:3], v[4:5], off
	v_fma_f64 v[6:7], s[18:19], v[10:11], -v[6:7]
	v_fma_f64 v[8:9], s[20:21], v[10:11], v[8:9]
	s_waitcnt vmcnt(0)
	v_mul_f64 v[12:13], s[6:7], v[2:3]
	v_mul_f64 v[2:3], s[4:5], v[2:3]
	s_delay_alu instid0(VALU_DEP_2) | instskip(NEXT) | instid1(VALU_DEP_2)
	v_fma_f64 v[10:11], s[4:5], v[0:1], -v[12:13]
	v_fma_f64 v[2:3], s[6:7], v[0:1], v[2:3]
	s_delay_alu instid0(VALU_DEP_2) | instskip(NEXT) | instid1(VALU_DEP_2)
	v_add_f64 v[0:1], v[6:7], v[10:11]
	v_add_f64 v[2:3], v[8:9], v[2:3]
	global_store_b128 v[4:5], v[0:3], off
.LBB1663_5:
	s_nop 0
	s_sendmsg sendmsg(MSG_DEALLOC_VGPRS)
	s_endpgm
	.section	.rodata,"a",@progbits
	.p2align	6, 0x0
	.amdhsa_kernel _ZL41rocblas_syrkx_herkx_small_restrict_kernelIl19rocblas_complex_numIdELi16ELb0ELb0ELc78ELc76EKPKS1_KPS1_EviT_T0_PT6_S7_lSA_S7_lS8_PT7_S7_li
		.amdhsa_group_segment_fixed_size 8192
		.amdhsa_private_segment_fixed_size 0
		.amdhsa_kernarg_size 124
		.amdhsa_user_sgpr_count 13
		.amdhsa_user_sgpr_dispatch_ptr 0
		.amdhsa_user_sgpr_queue_ptr 0
		.amdhsa_user_sgpr_kernarg_segment_ptr 1
		.amdhsa_user_sgpr_dispatch_id 0
		.amdhsa_user_sgpr_private_segment_size 0
		.amdhsa_wavefront_size32 1
		.amdhsa_uses_dynamic_stack 0
		.amdhsa_enable_private_segment 0
		.amdhsa_system_sgpr_workgroup_id_x 1
		.amdhsa_system_sgpr_workgroup_id_y 1
		.amdhsa_system_sgpr_workgroup_id_z 1
		.amdhsa_system_sgpr_workgroup_info 0
		.amdhsa_system_vgpr_workitem_id 1
		.amdhsa_next_free_vgpr 48
		.amdhsa_next_free_sgpr 28
		.amdhsa_reserve_vcc 1
		.amdhsa_float_round_mode_32 0
		.amdhsa_float_round_mode_16_64 0
		.amdhsa_float_denorm_mode_32 3
		.amdhsa_float_denorm_mode_16_64 3
		.amdhsa_dx10_clamp 1
		.amdhsa_ieee_mode 1
		.amdhsa_fp16_overflow 0
		.amdhsa_workgroup_processor_mode 1
		.amdhsa_memory_ordered 1
		.amdhsa_forward_progress 0
		.amdhsa_shared_vgpr_count 0
		.amdhsa_exception_fp_ieee_invalid_op 0
		.amdhsa_exception_fp_denorm_src 0
		.amdhsa_exception_fp_ieee_div_zero 0
		.amdhsa_exception_fp_ieee_overflow 0
		.amdhsa_exception_fp_ieee_underflow 0
		.amdhsa_exception_fp_ieee_inexact 0
		.amdhsa_exception_int_div_zero 0
	.end_amdhsa_kernel
	.section	.text._ZL41rocblas_syrkx_herkx_small_restrict_kernelIl19rocblas_complex_numIdELi16ELb0ELb0ELc78ELc76EKPKS1_KPS1_EviT_T0_PT6_S7_lSA_S7_lS8_PT7_S7_li,"axG",@progbits,_ZL41rocblas_syrkx_herkx_small_restrict_kernelIl19rocblas_complex_numIdELi16ELb0ELb0ELc78ELc76EKPKS1_KPS1_EviT_T0_PT6_S7_lSA_S7_lS8_PT7_S7_li,comdat
.Lfunc_end1663:
	.size	_ZL41rocblas_syrkx_herkx_small_restrict_kernelIl19rocblas_complex_numIdELi16ELb0ELb0ELc78ELc76EKPKS1_KPS1_EviT_T0_PT6_S7_lSA_S7_lS8_PT7_S7_li, .Lfunc_end1663-_ZL41rocblas_syrkx_herkx_small_restrict_kernelIl19rocblas_complex_numIdELi16ELb0ELb0ELc78ELc76EKPKS1_KPS1_EviT_T0_PT6_S7_lSA_S7_lS8_PT7_S7_li
                                        ; -- End function
	.section	.AMDGPU.csdata,"",@progbits
; Kernel info:
; codeLenInByte = 1852
; NumSgprs: 30
; NumVgprs: 48
; ScratchSize: 0
; MemoryBound: 0
; FloatMode: 240
; IeeeMode: 1
; LDSByteSize: 8192 bytes/workgroup (compile time only)
; SGPRBlocks: 3
; VGPRBlocks: 5
; NumSGPRsForWavesPerEU: 30
; NumVGPRsForWavesPerEU: 48
; Occupancy: 16
; WaveLimiterHint : 1
; COMPUTE_PGM_RSRC2:SCRATCH_EN: 0
; COMPUTE_PGM_RSRC2:USER_SGPR: 13
; COMPUTE_PGM_RSRC2:TRAP_HANDLER: 0
; COMPUTE_PGM_RSRC2:TGID_X_EN: 1
; COMPUTE_PGM_RSRC2:TGID_Y_EN: 1
; COMPUTE_PGM_RSRC2:TGID_Z_EN: 1
; COMPUTE_PGM_RSRC2:TIDIG_COMP_CNT: 1
	.section	.text._ZL41rocblas_syrkx_herkx_small_restrict_kernelIl19rocblas_complex_numIdELi16ELb0ELb0ELc84ELc85EKPKS1_KPS1_EviT_T0_PT6_S7_lSA_S7_lS8_PT7_S7_li,"axG",@progbits,_ZL41rocblas_syrkx_herkx_small_restrict_kernelIl19rocblas_complex_numIdELi16ELb0ELb0ELc84ELc85EKPKS1_KPS1_EviT_T0_PT6_S7_lSA_S7_lS8_PT7_S7_li,comdat
	.globl	_ZL41rocblas_syrkx_herkx_small_restrict_kernelIl19rocblas_complex_numIdELi16ELb0ELb0ELc84ELc85EKPKS1_KPS1_EviT_T0_PT6_S7_lSA_S7_lS8_PT7_S7_li ; -- Begin function _ZL41rocblas_syrkx_herkx_small_restrict_kernelIl19rocblas_complex_numIdELi16ELb0ELb0ELc84ELc85EKPKS1_KPS1_EviT_T0_PT6_S7_lSA_S7_lS8_PT7_S7_li
	.p2align	8
	.type	_ZL41rocblas_syrkx_herkx_small_restrict_kernelIl19rocblas_complex_numIdELi16ELb0ELb0ELc84ELc85EKPKS1_KPS1_EviT_T0_PT6_S7_lSA_S7_lS8_PT7_S7_li,@function
_ZL41rocblas_syrkx_herkx_small_restrict_kernelIl19rocblas_complex_numIdELi16ELb0ELb0ELc84ELc85EKPKS1_KPS1_EviT_T0_PT6_S7_lSA_S7_lS8_PT7_S7_li: ; @_ZL41rocblas_syrkx_herkx_small_restrict_kernelIl19rocblas_complex_numIdELi16ELb0ELb0ELc84ELc85EKPKS1_KPS1_EviT_T0_PT6_S7_lSA_S7_lS8_PT7_S7_li
; %bb.0:
	s_clause 0x1
	s_load_b256 s[4:11], s[0:1], 0x50
	s_load_b256 s[16:23], s[0:1], 0x8
	s_mov_b32 s2, s15
	s_mov_b32 s3, 0
	v_and_b32_e32 v2, 0x3ff, v0
	s_lshl_b64 s[24:25], s[2:3], 3
	v_bfe_u32 v3, v0, 10, 10
	v_mov_b32_e32 v6, 0
	v_mov_b32_e32 v7, 0
	v_lshl_add_u32 v0, s13, 4, v2
	s_delay_alu instid0(VALU_DEP_4) | instskip(NEXT) | instid1(VALU_DEP_3)
	v_lshl_add_u32 v10, s14, 4, v3
	v_dual_mov_b32 v9, v7 :: v_dual_mov_b32 v8, v6
	s_delay_alu instid0(VALU_DEP_3) | instskip(NEXT) | instid1(VALU_DEP_3)
	v_ashrrev_i32_e32 v1, 31, v0
	v_ashrrev_i32_e32 v11, 31, v10
	s_waitcnt lgkmcnt(0)
	s_add_u32 s2, s8, s24
	s_addc_u32 s3, s9, s25
	s_load_b64 s[8:9], s[0:1], 0x28
	s_load_b64 s[2:3], s[2:3], 0x0
	v_cmp_lt_i64_e64 s12, s[16:17], 1
	s_delay_alu instid0(VALU_DEP_1)
	s_and_b32 vcc_lo, exec_lo, s12
	s_cbranch_vccnz .LBB1664_3
; %bb.1:
	s_load_b128 s[12:15], s[0:1], 0x38
	s_waitcnt lgkmcnt(0)
	v_mul_lo_u32 v7, v1, s8
	v_mad_u64_u32 v[4:5], null, v0, s8, 0
	v_mul_lo_u32 v6, v0, s9
	v_lshlrev_b32_e32 v17, 4, v3
	v_lshlrev_b32_e32 v16, 8, v3
	s_delay_alu instid0(VALU_DEP_3) | instskip(SKIP_2) | instid1(VALU_DEP_4)
	v_add3_u32 v5, v5, v6, v7
	v_mov_b32_e32 v6, 0
	v_dual_mov_b32 v7, 0 :: v_dual_lshlrev_b32 v12, 4, v2
	v_add_nc_u32_e32 v13, 0x1000, v16
	s_delay_alu instid0(VALU_DEP_4)
	v_lshlrev_b64 v[4:5], 4, v[4:5]
	s_add_u32 s0, s12, s24
	s_addc_u32 s1, s13, s25
	s_add_u32 s8, s22, s24
	s_load_b64 s[0:1], s[0:1], 0x0
	s_addc_u32 s9, s23, s25
	v_mul_lo_u32 v14, v10, s15
	v_mul_lo_u32 v15, v11, s14
	v_mad_u64_u32 v[8:9], null, v10, s14, 0
	s_load_b64 s[8:9], s[8:9], 0x0
	s_delay_alu instid0(VALU_DEP_1) | instskip(NEXT) | instid1(VALU_DEP_1)
	v_add3_u32 v9, v9, v14, v15
	v_lshlrev_b64 v[2:3], 4, v[8:9]
	s_waitcnt lgkmcnt(0)
	v_add_co_u32 v8, s0, s0, v12
	s_delay_alu instid0(VALU_DEP_1) | instskip(NEXT) | instid1(VALU_DEP_2)
	v_add_co_ci_u32_e64 v9, null, s1, 0, s0
	v_add_co_u32 v2, vcc_lo, v8, v2
	s_delay_alu instid0(VALU_DEP_2) | instskip(SKIP_3) | instid1(VALU_DEP_1)
	v_add_co_ci_u32_e32 v3, vcc_lo, v9, v3, vcc_lo
	v_dual_mov_b32 v9, v7 :: v_dual_mov_b32 v8, v6
	v_add_nc_u32_e32 v14, v12, v16
	v_add_co_u32 v16, s0, s8, v17
	v_add_co_ci_u32_e64 v17, null, s9, 0, s0
	v_add_nc_u32_e32 v15, v13, v12
	s_delay_alu instid0(VALU_DEP_3) | instskip(NEXT) | instid1(VALU_DEP_3)
	v_add_co_u32 v4, vcc_lo, v16, v4
	v_add_co_ci_u32_e32 v5, vcc_lo, v17, v5, vcc_lo
	s_mov_b64 s[0:1], 0
.LBB1664_2:                             ; =>This Inner Loop Header: Depth=1
	global_load_b128 v[16:19], v[4:5], off
	global_load_b128 v[20:23], v[2:3], off
	s_add_u32 s0, s0, 16
	v_add_co_u32 v2, vcc_lo, 0x100, v2
	s_addc_u32 s1, s1, 0
	v_add_co_ci_u32_e32 v3, vcc_lo, 0, v3, vcc_lo
	v_cmp_lt_i64_e64 s8, s[0:1], s[16:17]
	v_add_co_u32 v4, vcc_lo, 0x100, v4
	v_add_co_ci_u32_e32 v5, vcc_lo, 0, v5, vcc_lo
	s_waitcnt vmcnt(1)
	ds_store_2addr_b64 v14, v[16:17], v[18:19] offset1:1
	s_waitcnt vmcnt(0)
	ds_store_2addr_b64 v15, v[20:21], v[22:23] offset1:1
	s_waitcnt lgkmcnt(0)
	s_barrier
	buffer_gl0_inv
	ds_load_b128 v[16:19], v12
	ds_load_b128 v[20:23], v13
	ds_load_b128 v[24:27], v13 offset:16
	ds_load_b128 v[28:31], v12 offset:256
	s_and_b32 vcc_lo, exec_lo, s8
	s_waitcnt lgkmcnt(2)
	v_mul_f64 v[32:33], v[22:23], v[18:19]
	v_mul_f64 v[18:19], v[20:21], v[18:19]
	s_waitcnt lgkmcnt(0)
	v_mul_f64 v[38:39], v[26:27], v[30:31]
	v_mul_f64 v[40:41], v[24:25], v[30:31]
	s_delay_alu instid0(VALU_DEP_4) | instskip(NEXT) | instid1(VALU_DEP_4)
	v_fma_f64 v[42:43], v[20:21], v[16:17], -v[32:33]
	v_fma_f64 v[44:45], v[22:23], v[16:17], v[18:19]
	ds_load_b128 v[16:19], v12 offset:512
	ds_load_b128 v[20:23], v13 offset:32
	;; [unrolled: 1-line block ×4, first 2 shown]
	v_fma_f64 v[24:25], v[24:25], v[28:29], -v[38:39]
	v_fma_f64 v[26:27], v[26:27], v[28:29], v[40:41]
	s_waitcnt lgkmcnt(2)
	v_mul_f64 v[46:47], v[22:23], v[18:19]
	v_mul_f64 v[18:19], v[20:21], v[18:19]
	s_waitcnt lgkmcnt(0)
	v_mul_f64 v[28:29], v[32:33], v[36:37]
	v_mul_f64 v[36:37], v[30:31], v[36:37]
	v_add_f64 v[8:9], v[8:9], v[42:43]
	v_add_f64 v[6:7], v[6:7], v[44:45]
	v_fma_f64 v[38:39], v[20:21], v[16:17], -v[46:47]
	v_fma_f64 v[40:41], v[22:23], v[16:17], v[18:19]
	v_fma_f64 v[28:29], v[30:31], v[34:35], -v[28:29]
	v_fma_f64 v[30:31], v[32:33], v[34:35], v[36:37]
	v_add_f64 v[42:43], v[8:9], v[24:25]
	v_add_f64 v[44:45], v[6:7], v[26:27]
	ds_load_b128 v[6:9], v12 offset:1024
	ds_load_b128 v[16:19], v13 offset:64
	;; [unrolled: 1-line block ×4, first 2 shown]
	s_waitcnt lgkmcnt(2)
	v_mul_f64 v[46:47], v[18:19], v[8:9]
	v_mul_f64 v[8:9], v[16:17], v[8:9]
	s_waitcnt lgkmcnt(0)
	v_mul_f64 v[36:37], v[22:23], v[26:27]
	v_add_f64 v[32:33], v[42:43], v[38:39]
	v_add_f64 v[34:35], v[44:45], v[40:41]
	v_mul_f64 v[38:39], v[20:21], v[26:27]
	v_fma_f64 v[40:41], v[16:17], v[6:7], -v[46:47]
	v_fma_f64 v[42:43], v[18:19], v[6:7], v[8:9]
	v_fma_f64 v[20:21], v[20:21], v[24:25], -v[36:37]
	v_add_f64 v[44:45], v[32:33], v[28:29]
	v_add_f64 v[34:35], v[34:35], v[30:31]
	ds_load_b128 v[6:9], v12 offset:1536
	ds_load_b128 v[16:19], v13 offset:96
	;; [unrolled: 1-line block ×4, first 2 shown]
	v_fma_f64 v[22:23], v[22:23], v[24:25], v[38:39]
	s_waitcnt lgkmcnt(2)
	v_mul_f64 v[46:47], v[18:19], v[8:9]
	v_mul_f64 v[8:9], v[16:17], v[8:9]
	s_waitcnt lgkmcnt(0)
	v_mul_f64 v[36:37], v[28:29], v[32:33]
	v_mul_f64 v[38:39], v[26:27], v[32:33]
	v_add_f64 v[24:25], v[44:45], v[40:41]
	v_add_f64 v[34:35], v[34:35], v[42:43]
	v_fma_f64 v[40:41], v[16:17], v[6:7], -v[46:47]
	v_fma_f64 v[42:43], v[18:19], v[6:7], v[8:9]
	v_fma_f64 v[26:27], v[26:27], v[30:31], -v[36:37]
	v_fma_f64 v[28:29], v[28:29], v[30:31], v[38:39]
	v_add_f64 v[24:25], v[24:25], v[20:21]
	v_add_f64 v[44:45], v[34:35], v[22:23]
	ds_load_b128 v[6:9], v12 offset:2048
	ds_load_b128 v[16:19], v13 offset:128
	;; [unrolled: 1-line block ×4, first 2 shown]
	s_waitcnt lgkmcnt(2)
	v_mul_f64 v[46:47], v[18:19], v[8:9]
	v_mul_f64 v[8:9], v[16:17], v[8:9]
	s_waitcnt lgkmcnt(0)
	v_mul_f64 v[36:37], v[22:23], v[34:35]
	v_mul_f64 v[34:35], v[20:21], v[34:35]
	v_add_f64 v[24:25], v[24:25], v[40:41]
	v_add_f64 v[30:31], v[44:45], v[42:43]
	v_fma_f64 v[38:39], v[16:17], v[6:7], -v[46:47]
	v_fma_f64 v[40:41], v[18:19], v[6:7], v[8:9]
	v_fma_f64 v[20:21], v[20:21], v[32:33], -v[36:37]
	v_fma_f64 v[22:23], v[22:23], v[32:33], v[34:35]
	v_add_f64 v[42:43], v[24:25], v[26:27]
	v_add_f64 v[44:45], v[30:31], v[28:29]
	ds_load_b128 v[6:9], v12 offset:2560
	ds_load_b128 v[16:19], v13 offset:160
	;; [unrolled: 1-line block ×4, first 2 shown]
	s_waitcnt lgkmcnt(2)
	v_mul_f64 v[46:47], v[18:19], v[8:9]
	v_mul_f64 v[8:9], v[16:17], v[8:9]
	s_waitcnt lgkmcnt(0)
	v_mul_f64 v[36:37], v[26:27], v[30:31]
	v_add_f64 v[32:33], v[42:43], v[38:39]
	v_add_f64 v[34:35], v[44:45], v[40:41]
	v_mul_f64 v[38:39], v[24:25], v[30:31]
	v_fma_f64 v[40:41], v[16:17], v[6:7], -v[46:47]
	v_fma_f64 v[42:43], v[18:19], v[6:7], v[8:9]
	v_fma_f64 v[24:25], v[24:25], v[28:29], -v[36:37]
	v_add_f64 v[44:45], v[32:33], v[20:21]
	v_add_f64 v[34:35], v[34:35], v[22:23]
	ds_load_b128 v[6:9], v12 offset:3072
	ds_load_b128 v[16:19], v13 offset:192
	;; [unrolled: 1-line block ×4, first 2 shown]
	v_fma_f64 v[26:27], v[26:27], v[28:29], v[38:39]
	s_waitcnt lgkmcnt(2)
	v_mul_f64 v[46:47], v[18:19], v[8:9]
	v_mul_f64 v[8:9], v[16:17], v[8:9]
	s_waitcnt lgkmcnt(0)
	v_mul_f64 v[36:37], v[22:23], v[32:33]
	v_mul_f64 v[38:39], v[20:21], v[32:33]
	v_add_f64 v[28:29], v[44:45], v[40:41]
	v_add_f64 v[34:35], v[34:35], v[42:43]
	v_fma_f64 v[40:41], v[16:17], v[6:7], -v[46:47]
	v_fma_f64 v[42:43], v[18:19], v[6:7], v[8:9]
	v_fma_f64 v[20:21], v[20:21], v[30:31], -v[36:37]
	v_fma_f64 v[22:23], v[22:23], v[30:31], v[38:39]
	v_add_f64 v[28:29], v[28:29], v[24:25]
	v_add_f64 v[44:45], v[34:35], v[26:27]
	ds_load_b128 v[6:9], v12 offset:3584
	ds_load_b128 v[16:19], v13 offset:224
	;; [unrolled: 1-line block ×4, first 2 shown]
	s_waitcnt lgkmcnt(0)
	s_barrier
	buffer_gl0_inv
	v_mul_f64 v[46:47], v[18:19], v[8:9]
	v_mul_f64 v[8:9], v[16:17], v[8:9]
	;; [unrolled: 1-line block ×4, first 2 shown]
	v_add_f64 v[28:29], v[28:29], v[40:41]
	v_add_f64 v[30:31], v[44:45], v[42:43]
	v_fma_f64 v[16:17], v[16:17], v[6:7], -v[46:47]
	v_fma_f64 v[6:7], v[18:19], v[6:7], v[8:9]
	s_delay_alu instid0(VALU_DEP_4) | instskip(NEXT) | instid1(VALU_DEP_4)
	v_add_f64 v[8:9], v[28:29], v[20:21]
	v_add_f64 v[18:19], v[30:31], v[22:23]
	v_fma_f64 v[20:21], v[24:25], v[32:33], -v[36:37]
	v_fma_f64 v[22:23], v[26:27], v[32:33], v[34:35]
	s_delay_alu instid0(VALU_DEP_4) | instskip(NEXT) | instid1(VALU_DEP_4)
	v_add_f64 v[8:9], v[8:9], v[16:17]
	v_add_f64 v[6:7], v[18:19], v[6:7]
	s_delay_alu instid0(VALU_DEP_2) | instskip(NEXT) | instid1(VALU_DEP_2)
	v_add_f64 v[8:9], v[8:9], v[20:21]
	v_add_f64 v[6:7], v[6:7], v[22:23]
	s_cbranch_vccnz .LBB1664_2
.LBB1664_3:
	s_mov_b32 s0, exec_lo
	v_cmpx_le_i32_e64 v0, v10
	s_cbranch_execz .LBB1664_5
; %bb.4:
	v_mul_lo_u32 v4, v10, s11
	v_mul_lo_u32 v5, v11, s10
	v_mad_u64_u32 v[2:3], null, v10, s10, 0
	v_lshlrev_b64 v[0:1], 4, v[0:1]
	v_mul_f64 v[10:11], s[20:21], v[6:7]
	v_mul_f64 v[6:7], s[18:19], v[6:7]
	s_delay_alu instid0(VALU_DEP_4) | instskip(NEXT) | instid1(VALU_DEP_1)
	v_add3_u32 v3, v3, v4, v5
	v_lshlrev_b64 v[2:3], 4, v[2:3]
	s_waitcnt lgkmcnt(0)
	s_delay_alu instid0(VALU_DEP_1) | instskip(NEXT) | instid1(VALU_DEP_2)
	v_add_co_u32 v2, vcc_lo, s2, v2
	v_add_co_ci_u32_e32 v3, vcc_lo, s3, v3, vcc_lo
	s_delay_alu instid0(VALU_DEP_2) | instskip(NEXT) | instid1(VALU_DEP_2)
	v_add_co_u32 v4, vcc_lo, v2, v0
	v_add_co_ci_u32_e32 v5, vcc_lo, v3, v1, vcc_lo
	global_load_b128 v[0:3], v[4:5], off
	v_fma_f64 v[10:11], s[18:19], v[8:9], -v[10:11]
	v_fma_f64 v[6:7], s[20:21], v[8:9], v[6:7]
	s_waitcnt vmcnt(0)
	v_mul_f64 v[12:13], s[6:7], v[2:3]
	v_mul_f64 v[2:3], s[4:5], v[2:3]
	s_delay_alu instid0(VALU_DEP_2) | instskip(NEXT) | instid1(VALU_DEP_2)
	v_fma_f64 v[8:9], s[4:5], v[0:1], -v[12:13]
	v_fma_f64 v[2:3], s[6:7], v[0:1], v[2:3]
	s_delay_alu instid0(VALU_DEP_2) | instskip(NEXT) | instid1(VALU_DEP_2)
	v_add_f64 v[0:1], v[10:11], v[8:9]
	v_add_f64 v[2:3], v[6:7], v[2:3]
	global_store_b128 v[4:5], v[0:3], off
.LBB1664_5:
	s_nop 0
	s_sendmsg sendmsg(MSG_DEALLOC_VGPRS)
	s_endpgm
	.section	.rodata,"a",@progbits
	.p2align	6, 0x0
	.amdhsa_kernel _ZL41rocblas_syrkx_herkx_small_restrict_kernelIl19rocblas_complex_numIdELi16ELb0ELb0ELc84ELc85EKPKS1_KPS1_EviT_T0_PT6_S7_lSA_S7_lS8_PT7_S7_li
		.amdhsa_group_segment_fixed_size 8192
		.amdhsa_private_segment_fixed_size 0
		.amdhsa_kernarg_size 124
		.amdhsa_user_sgpr_count 13
		.amdhsa_user_sgpr_dispatch_ptr 0
		.amdhsa_user_sgpr_queue_ptr 0
		.amdhsa_user_sgpr_kernarg_segment_ptr 1
		.amdhsa_user_sgpr_dispatch_id 0
		.amdhsa_user_sgpr_private_segment_size 0
		.amdhsa_wavefront_size32 1
		.amdhsa_uses_dynamic_stack 0
		.amdhsa_enable_private_segment 0
		.amdhsa_system_sgpr_workgroup_id_x 1
		.amdhsa_system_sgpr_workgroup_id_y 1
		.amdhsa_system_sgpr_workgroup_id_z 1
		.amdhsa_system_sgpr_workgroup_info 0
		.amdhsa_system_vgpr_workitem_id 1
		.amdhsa_next_free_vgpr 48
		.amdhsa_next_free_sgpr 26
		.amdhsa_reserve_vcc 1
		.amdhsa_float_round_mode_32 0
		.amdhsa_float_round_mode_16_64 0
		.amdhsa_float_denorm_mode_32 3
		.amdhsa_float_denorm_mode_16_64 3
		.amdhsa_dx10_clamp 1
		.amdhsa_ieee_mode 1
		.amdhsa_fp16_overflow 0
		.amdhsa_workgroup_processor_mode 1
		.amdhsa_memory_ordered 1
		.amdhsa_forward_progress 0
		.amdhsa_shared_vgpr_count 0
		.amdhsa_exception_fp_ieee_invalid_op 0
		.amdhsa_exception_fp_denorm_src 0
		.amdhsa_exception_fp_ieee_div_zero 0
		.amdhsa_exception_fp_ieee_overflow 0
		.amdhsa_exception_fp_ieee_underflow 0
		.amdhsa_exception_fp_ieee_inexact 0
		.amdhsa_exception_int_div_zero 0
	.end_amdhsa_kernel
	.section	.text._ZL41rocblas_syrkx_herkx_small_restrict_kernelIl19rocblas_complex_numIdELi16ELb0ELb0ELc84ELc85EKPKS1_KPS1_EviT_T0_PT6_S7_lSA_S7_lS8_PT7_S7_li,"axG",@progbits,_ZL41rocblas_syrkx_herkx_small_restrict_kernelIl19rocblas_complex_numIdELi16ELb0ELb0ELc84ELc85EKPKS1_KPS1_EviT_T0_PT6_S7_lSA_S7_lS8_PT7_S7_li,comdat
.Lfunc_end1664:
	.size	_ZL41rocblas_syrkx_herkx_small_restrict_kernelIl19rocblas_complex_numIdELi16ELb0ELb0ELc84ELc85EKPKS1_KPS1_EviT_T0_PT6_S7_lSA_S7_lS8_PT7_S7_li, .Lfunc_end1664-_ZL41rocblas_syrkx_herkx_small_restrict_kernelIl19rocblas_complex_numIdELi16ELb0ELb0ELc84ELc85EKPKS1_KPS1_EviT_T0_PT6_S7_lSA_S7_lS8_PT7_S7_li
                                        ; -- End function
	.section	.AMDGPU.csdata,"",@progbits
; Kernel info:
; codeLenInByte = 1848
; NumSgprs: 28
; NumVgprs: 48
; ScratchSize: 0
; MemoryBound: 0
; FloatMode: 240
; IeeeMode: 1
; LDSByteSize: 8192 bytes/workgroup (compile time only)
; SGPRBlocks: 3
; VGPRBlocks: 5
; NumSGPRsForWavesPerEU: 28
; NumVGPRsForWavesPerEU: 48
; Occupancy: 16
; WaveLimiterHint : 1
; COMPUTE_PGM_RSRC2:SCRATCH_EN: 0
; COMPUTE_PGM_RSRC2:USER_SGPR: 13
; COMPUTE_PGM_RSRC2:TRAP_HANDLER: 0
; COMPUTE_PGM_RSRC2:TGID_X_EN: 1
; COMPUTE_PGM_RSRC2:TGID_Y_EN: 1
; COMPUTE_PGM_RSRC2:TGID_Z_EN: 1
; COMPUTE_PGM_RSRC2:TIDIG_COMP_CNT: 1
	.section	.text._ZL41rocblas_syrkx_herkx_small_restrict_kernelIl19rocblas_complex_numIdELi16ELb0ELb0ELc67ELc85EKPKS1_KPS1_EviT_T0_PT6_S7_lSA_S7_lS8_PT7_S7_li,"axG",@progbits,_ZL41rocblas_syrkx_herkx_small_restrict_kernelIl19rocblas_complex_numIdELi16ELb0ELb0ELc67ELc85EKPKS1_KPS1_EviT_T0_PT6_S7_lSA_S7_lS8_PT7_S7_li,comdat
	.globl	_ZL41rocblas_syrkx_herkx_small_restrict_kernelIl19rocblas_complex_numIdELi16ELb0ELb0ELc67ELc85EKPKS1_KPS1_EviT_T0_PT6_S7_lSA_S7_lS8_PT7_S7_li ; -- Begin function _ZL41rocblas_syrkx_herkx_small_restrict_kernelIl19rocblas_complex_numIdELi16ELb0ELb0ELc67ELc85EKPKS1_KPS1_EviT_T0_PT6_S7_lSA_S7_lS8_PT7_S7_li
	.p2align	8
	.type	_ZL41rocblas_syrkx_herkx_small_restrict_kernelIl19rocblas_complex_numIdELi16ELb0ELb0ELc67ELc85EKPKS1_KPS1_EviT_T0_PT6_S7_lSA_S7_lS8_PT7_S7_li,@function
_ZL41rocblas_syrkx_herkx_small_restrict_kernelIl19rocblas_complex_numIdELi16ELb0ELb0ELc67ELc85EKPKS1_KPS1_EviT_T0_PT6_S7_lSA_S7_lS8_PT7_S7_li: ; @_ZL41rocblas_syrkx_herkx_small_restrict_kernelIl19rocblas_complex_numIdELi16ELb0ELb0ELc67ELc85EKPKS1_KPS1_EviT_T0_PT6_S7_lSA_S7_lS8_PT7_S7_li
; %bb.0:
	s_clause 0x1
	s_load_b256 s[4:11], s[0:1], 0x50
	s_load_b256 s[16:23], s[0:1], 0x8
	s_mov_b32 s2, s15
	s_mov_b32 s3, 0
	v_dual_mov_b32 v6, 0 :: v_dual_and_b32 v3, 0x3ff, v0
	s_lshl_b64 s[24:25], s[2:3], 3
	v_bfe_u32 v2, v0, 10, 10
	v_mov_b32_e32 v7, 0
	s_delay_alu instid0(VALU_DEP_3) | instskip(NEXT) | instid1(VALU_DEP_3)
	v_lshl_add_u32 v0, s13, 4, v3
	v_lshl_add_u32 v10, s14, 4, v2
	s_delay_alu instid0(VALU_DEP_3) | instskip(NEXT) | instid1(VALU_DEP_3)
	v_dual_mov_b32 v9, v7 :: v_dual_mov_b32 v8, v6
	v_ashrrev_i32_e32 v1, 31, v0
	s_delay_alu instid0(VALU_DEP_3)
	v_ashrrev_i32_e32 v11, 31, v10
	s_waitcnt lgkmcnt(0)
	s_add_u32 s2, s8, s24
	s_addc_u32 s3, s9, s25
	s_load_b64 s[8:9], s[0:1], 0x28
	s_load_b64 s[2:3], s[2:3], 0x0
	v_cmp_lt_i64_e64 s12, s[16:17], 1
	s_delay_alu instid0(VALU_DEP_1)
	s_and_b32 vcc_lo, exec_lo, s12
	s_cbranch_vccnz .LBB1665_3
; %bb.1:
	s_load_b128 s[12:15], s[0:1], 0x38
	s_waitcnt lgkmcnt(0)
	v_mul_lo_u32 v6, s9, v0
	v_mul_lo_u32 v7, s8, v1
	v_mad_u64_u32 v[4:5], null, s8, v0, 0
	v_lshlrev_b32_e32 v14, 8, v2
	v_lshlrev_b32_e32 v18, 4, v2
	s_delay_alu instid0(VALU_DEP_3) | instskip(SKIP_3) | instid1(VALU_DEP_4)
	v_add3_u32 v5, v5, v7, v6
	v_mov_b32_e32 v6, 0
	v_dual_mov_b32 v7, 0 :: v_dual_lshlrev_b32 v12, 4, v3
	v_add_nc_u32_e32 v13, 0x1000, v14
	v_lshlrev_b64 v[2:3], 4, v[4:5]
	s_add_u32 s0, s12, s24
	s_addc_u32 s1, s13, s25
	s_add_u32 s8, s22, s24
	s_load_b64 s[0:1], s[0:1], 0x0
	s_addc_u32 s9, s23, s25
	v_mul_lo_u32 v16, v10, s15
	s_load_b64 s[8:9], s[8:9], 0x0
	v_mul_lo_u32 v17, v11, s14
	v_mad_u64_u32 v[8:9], null, v10, s14, 0
	v_add_co_u32 v4, vcc_lo, v2, v18
	v_add_co_ci_u32_e32 v5, vcc_lo, 0, v3, vcc_lo
	s_delay_alu instid0(VALU_DEP_3) | instskip(NEXT) | instid1(VALU_DEP_1)
	v_add3_u32 v9, v9, v16, v17
	v_lshlrev_b64 v[2:3], 4, v[8:9]
	s_waitcnt lgkmcnt(0)
	v_add_co_u32 v8, s0, s0, v12
	s_delay_alu instid0(VALU_DEP_1) | instskip(SKIP_2) | instid1(VALU_DEP_4)
	v_add_co_ci_u32_e64 v9, null, s1, 0, s0
	v_add_co_u32 v4, vcc_lo, v4, s8
	v_add_co_ci_u32_e32 v5, vcc_lo, s9, v5, vcc_lo
	v_add_co_u32 v2, vcc_lo, v8, v2
	s_delay_alu instid0(VALU_DEP_4) | instskip(NEXT) | instid1(VALU_DEP_4)
	v_add_co_ci_u32_e32 v3, vcc_lo, v9, v3, vcc_lo
	v_add_co_u32 v4, vcc_lo, v4, 8
	v_dual_mov_b32 v9, v7 :: v_dual_mov_b32 v8, v6
	v_add_nc_u32_e32 v14, v12, v14
	v_add_nc_u32_e32 v15, v13, v12
	v_add_co_ci_u32_e32 v5, vcc_lo, 0, v5, vcc_lo
	s_mov_b64 s[0:1], 0
.LBB1665_2:                             ; =>This Inner Loop Header: Depth=1
	global_load_b128 v[16:19], v[4:5], off offset:-8
	global_load_b128 v[20:23], v[2:3], off
	s_add_u32 s0, s0, 16
	v_add_co_u32 v2, vcc_lo, 0x100, v2
	s_addc_u32 s1, s1, 0
	v_add_co_ci_u32_e32 v3, vcc_lo, 0, v3, vcc_lo
	v_cmp_lt_i64_e64 s8, s[0:1], s[16:17]
	v_add_co_u32 v4, vcc_lo, 0x100, v4
	v_add_co_ci_u32_e32 v5, vcc_lo, 0, v5, vcc_lo
	s_waitcnt vmcnt(1)
	ds_store_b128 v14, v[16:19]
	s_waitcnt vmcnt(0)
	ds_store_2addr_b64 v15, v[20:21], v[22:23] offset1:1
	s_waitcnt lgkmcnt(0)
	s_barrier
	buffer_gl0_inv
	ds_load_b128 v[16:19], v12
	ds_load_b128 v[20:23], v13
	ds_load_b128 v[24:27], v13 offset:16
	ds_load_b128 v[28:31], v12 offset:256
	s_and_b32 vcc_lo, exec_lo, s8
	s_waitcnt lgkmcnt(2)
	v_mul_f64 v[32:33], v[22:23], v[18:19]
	v_mul_f64 v[18:19], v[20:21], v[18:19]
	s_waitcnt lgkmcnt(0)
	v_mul_f64 v[38:39], v[26:27], v[30:31]
	v_mul_f64 v[40:41], v[24:25], v[30:31]
	s_delay_alu instid0(VALU_DEP_4) | instskip(NEXT) | instid1(VALU_DEP_4)
	v_fma_f64 v[42:43], v[20:21], v[16:17], -v[32:33]
	v_fma_f64 v[44:45], v[22:23], v[16:17], v[18:19]
	ds_load_b128 v[16:19], v12 offset:512
	ds_load_b128 v[20:23], v13 offset:32
	;; [unrolled: 1-line block ×4, first 2 shown]
	v_fma_f64 v[24:25], v[24:25], v[28:29], -v[38:39]
	v_fma_f64 v[26:27], v[26:27], v[28:29], v[40:41]
	s_waitcnt lgkmcnt(2)
	v_mul_f64 v[46:47], v[22:23], v[18:19]
	v_mul_f64 v[18:19], v[20:21], v[18:19]
	s_waitcnt lgkmcnt(0)
	v_mul_f64 v[28:29], v[32:33], v[36:37]
	v_mul_f64 v[36:37], v[30:31], v[36:37]
	v_add_f64 v[8:9], v[8:9], v[42:43]
	v_add_f64 v[6:7], v[6:7], v[44:45]
	v_fma_f64 v[38:39], v[20:21], v[16:17], -v[46:47]
	v_fma_f64 v[40:41], v[22:23], v[16:17], v[18:19]
	v_fma_f64 v[28:29], v[30:31], v[34:35], -v[28:29]
	v_fma_f64 v[30:31], v[32:33], v[34:35], v[36:37]
	v_add_f64 v[42:43], v[8:9], v[24:25]
	v_add_f64 v[44:45], v[6:7], v[26:27]
	ds_load_b128 v[6:9], v12 offset:1024
	ds_load_b128 v[16:19], v13 offset:64
	;; [unrolled: 1-line block ×4, first 2 shown]
	s_waitcnt lgkmcnt(2)
	v_mul_f64 v[46:47], v[18:19], v[8:9]
	v_mul_f64 v[8:9], v[16:17], v[8:9]
	s_waitcnt lgkmcnt(0)
	v_mul_f64 v[36:37], v[22:23], v[26:27]
	v_add_f64 v[32:33], v[42:43], v[38:39]
	v_add_f64 v[34:35], v[44:45], v[40:41]
	v_mul_f64 v[38:39], v[20:21], v[26:27]
	v_fma_f64 v[40:41], v[16:17], v[6:7], -v[46:47]
	v_fma_f64 v[42:43], v[18:19], v[6:7], v[8:9]
	v_fma_f64 v[20:21], v[20:21], v[24:25], -v[36:37]
	v_add_f64 v[44:45], v[32:33], v[28:29]
	v_add_f64 v[34:35], v[34:35], v[30:31]
	ds_load_b128 v[6:9], v12 offset:1536
	ds_load_b128 v[16:19], v13 offset:96
	;; [unrolled: 1-line block ×4, first 2 shown]
	v_fma_f64 v[22:23], v[22:23], v[24:25], v[38:39]
	s_waitcnt lgkmcnt(2)
	v_mul_f64 v[46:47], v[18:19], v[8:9]
	v_mul_f64 v[8:9], v[16:17], v[8:9]
	s_waitcnt lgkmcnt(0)
	v_mul_f64 v[36:37], v[28:29], v[32:33]
	v_mul_f64 v[38:39], v[26:27], v[32:33]
	v_add_f64 v[24:25], v[44:45], v[40:41]
	v_add_f64 v[34:35], v[34:35], v[42:43]
	v_fma_f64 v[40:41], v[16:17], v[6:7], -v[46:47]
	v_fma_f64 v[42:43], v[18:19], v[6:7], v[8:9]
	v_fma_f64 v[26:27], v[26:27], v[30:31], -v[36:37]
	v_fma_f64 v[28:29], v[28:29], v[30:31], v[38:39]
	v_add_f64 v[24:25], v[24:25], v[20:21]
	v_add_f64 v[44:45], v[34:35], v[22:23]
	ds_load_b128 v[6:9], v12 offset:2048
	ds_load_b128 v[16:19], v13 offset:128
	;; [unrolled: 1-line block ×4, first 2 shown]
	s_waitcnt lgkmcnt(2)
	v_mul_f64 v[46:47], v[18:19], v[8:9]
	v_mul_f64 v[8:9], v[16:17], v[8:9]
	s_waitcnt lgkmcnt(0)
	v_mul_f64 v[36:37], v[22:23], v[34:35]
	v_mul_f64 v[34:35], v[20:21], v[34:35]
	v_add_f64 v[24:25], v[24:25], v[40:41]
	v_add_f64 v[30:31], v[44:45], v[42:43]
	v_fma_f64 v[38:39], v[16:17], v[6:7], -v[46:47]
	v_fma_f64 v[40:41], v[18:19], v[6:7], v[8:9]
	v_fma_f64 v[20:21], v[20:21], v[32:33], -v[36:37]
	v_fma_f64 v[22:23], v[22:23], v[32:33], v[34:35]
	v_add_f64 v[42:43], v[24:25], v[26:27]
	v_add_f64 v[44:45], v[30:31], v[28:29]
	ds_load_b128 v[6:9], v12 offset:2560
	ds_load_b128 v[16:19], v13 offset:160
	;; [unrolled: 1-line block ×4, first 2 shown]
	s_waitcnt lgkmcnt(2)
	v_mul_f64 v[46:47], v[18:19], v[8:9]
	v_mul_f64 v[8:9], v[16:17], v[8:9]
	s_waitcnt lgkmcnt(0)
	v_mul_f64 v[36:37], v[26:27], v[30:31]
	v_add_f64 v[32:33], v[42:43], v[38:39]
	v_add_f64 v[34:35], v[44:45], v[40:41]
	v_mul_f64 v[38:39], v[24:25], v[30:31]
	v_fma_f64 v[40:41], v[16:17], v[6:7], -v[46:47]
	v_fma_f64 v[42:43], v[18:19], v[6:7], v[8:9]
	v_fma_f64 v[24:25], v[24:25], v[28:29], -v[36:37]
	v_add_f64 v[44:45], v[32:33], v[20:21]
	v_add_f64 v[34:35], v[34:35], v[22:23]
	ds_load_b128 v[6:9], v12 offset:3072
	ds_load_b128 v[16:19], v13 offset:192
	;; [unrolled: 1-line block ×4, first 2 shown]
	v_fma_f64 v[26:27], v[26:27], v[28:29], v[38:39]
	s_waitcnt lgkmcnt(2)
	v_mul_f64 v[46:47], v[18:19], v[8:9]
	v_mul_f64 v[8:9], v[16:17], v[8:9]
	s_waitcnt lgkmcnt(0)
	v_mul_f64 v[36:37], v[22:23], v[32:33]
	v_mul_f64 v[38:39], v[20:21], v[32:33]
	v_add_f64 v[28:29], v[44:45], v[40:41]
	v_add_f64 v[34:35], v[34:35], v[42:43]
	v_fma_f64 v[40:41], v[16:17], v[6:7], -v[46:47]
	v_fma_f64 v[42:43], v[18:19], v[6:7], v[8:9]
	v_fma_f64 v[20:21], v[20:21], v[30:31], -v[36:37]
	v_fma_f64 v[22:23], v[22:23], v[30:31], v[38:39]
	v_add_f64 v[28:29], v[28:29], v[24:25]
	v_add_f64 v[44:45], v[34:35], v[26:27]
	ds_load_b128 v[6:9], v12 offset:3584
	ds_load_b128 v[16:19], v13 offset:224
	;; [unrolled: 1-line block ×4, first 2 shown]
	s_waitcnt lgkmcnt(0)
	s_barrier
	buffer_gl0_inv
	v_mul_f64 v[46:47], v[18:19], v[8:9]
	v_mul_f64 v[8:9], v[16:17], v[8:9]
	;; [unrolled: 1-line block ×4, first 2 shown]
	v_add_f64 v[28:29], v[28:29], v[40:41]
	v_add_f64 v[30:31], v[44:45], v[42:43]
	v_fma_f64 v[16:17], v[16:17], v[6:7], -v[46:47]
	v_fma_f64 v[6:7], v[18:19], v[6:7], v[8:9]
	s_delay_alu instid0(VALU_DEP_4) | instskip(NEXT) | instid1(VALU_DEP_4)
	v_add_f64 v[8:9], v[28:29], v[20:21]
	v_add_f64 v[18:19], v[30:31], v[22:23]
	v_fma_f64 v[20:21], v[24:25], v[32:33], -v[36:37]
	v_fma_f64 v[22:23], v[26:27], v[32:33], v[34:35]
	s_delay_alu instid0(VALU_DEP_4) | instskip(NEXT) | instid1(VALU_DEP_4)
	v_add_f64 v[8:9], v[8:9], v[16:17]
	v_add_f64 v[6:7], v[18:19], v[6:7]
	s_delay_alu instid0(VALU_DEP_2) | instskip(NEXT) | instid1(VALU_DEP_2)
	v_add_f64 v[8:9], v[8:9], v[20:21]
	v_add_f64 v[6:7], v[6:7], v[22:23]
	s_cbranch_vccnz .LBB1665_2
.LBB1665_3:
	s_mov_b32 s0, exec_lo
	v_cmpx_le_i32_e64 v0, v10
	s_cbranch_execz .LBB1665_5
; %bb.4:
	v_mul_lo_u32 v4, v10, s11
	v_mul_lo_u32 v5, v11, s10
	v_mad_u64_u32 v[2:3], null, v10, s10, 0
	v_lshlrev_b64 v[0:1], 4, v[0:1]
	v_mul_f64 v[10:11], s[20:21], v[6:7]
	v_mul_f64 v[6:7], s[18:19], v[6:7]
	s_delay_alu instid0(VALU_DEP_4) | instskip(NEXT) | instid1(VALU_DEP_1)
	v_add3_u32 v3, v3, v4, v5
	v_lshlrev_b64 v[2:3], 4, v[2:3]
	s_waitcnt lgkmcnt(0)
	s_delay_alu instid0(VALU_DEP_1) | instskip(NEXT) | instid1(VALU_DEP_2)
	v_add_co_u32 v2, vcc_lo, s2, v2
	v_add_co_ci_u32_e32 v3, vcc_lo, s3, v3, vcc_lo
	s_delay_alu instid0(VALU_DEP_2) | instskip(NEXT) | instid1(VALU_DEP_2)
	v_add_co_u32 v4, vcc_lo, v2, v0
	v_add_co_ci_u32_e32 v5, vcc_lo, v3, v1, vcc_lo
	global_load_b128 v[0:3], v[4:5], off
	v_fma_f64 v[10:11], s[18:19], v[8:9], -v[10:11]
	v_fma_f64 v[6:7], s[20:21], v[8:9], v[6:7]
	s_waitcnt vmcnt(0)
	v_mul_f64 v[12:13], s[6:7], v[2:3]
	v_mul_f64 v[2:3], s[4:5], v[2:3]
	s_delay_alu instid0(VALU_DEP_2) | instskip(NEXT) | instid1(VALU_DEP_2)
	v_fma_f64 v[8:9], s[4:5], v[0:1], -v[12:13]
	v_fma_f64 v[2:3], s[6:7], v[0:1], v[2:3]
	s_delay_alu instid0(VALU_DEP_2) | instskip(NEXT) | instid1(VALU_DEP_2)
	v_add_f64 v[0:1], v[10:11], v[8:9]
	v_add_f64 v[2:3], v[6:7], v[2:3]
	global_store_b128 v[4:5], v[0:3], off
.LBB1665_5:
	s_nop 0
	s_sendmsg sendmsg(MSG_DEALLOC_VGPRS)
	s_endpgm
	.section	.rodata,"a",@progbits
	.p2align	6, 0x0
	.amdhsa_kernel _ZL41rocblas_syrkx_herkx_small_restrict_kernelIl19rocblas_complex_numIdELi16ELb0ELb0ELc67ELc85EKPKS1_KPS1_EviT_T0_PT6_S7_lSA_S7_lS8_PT7_S7_li
		.amdhsa_group_segment_fixed_size 8192
		.amdhsa_private_segment_fixed_size 0
		.amdhsa_kernarg_size 124
		.amdhsa_user_sgpr_count 13
		.amdhsa_user_sgpr_dispatch_ptr 0
		.amdhsa_user_sgpr_queue_ptr 0
		.amdhsa_user_sgpr_kernarg_segment_ptr 1
		.amdhsa_user_sgpr_dispatch_id 0
		.amdhsa_user_sgpr_private_segment_size 0
		.amdhsa_wavefront_size32 1
		.amdhsa_uses_dynamic_stack 0
		.amdhsa_enable_private_segment 0
		.amdhsa_system_sgpr_workgroup_id_x 1
		.amdhsa_system_sgpr_workgroup_id_y 1
		.amdhsa_system_sgpr_workgroup_id_z 1
		.amdhsa_system_sgpr_workgroup_info 0
		.amdhsa_system_vgpr_workitem_id 1
		.amdhsa_next_free_vgpr 48
		.amdhsa_next_free_sgpr 26
		.amdhsa_reserve_vcc 1
		.amdhsa_float_round_mode_32 0
		.amdhsa_float_round_mode_16_64 0
		.amdhsa_float_denorm_mode_32 3
		.amdhsa_float_denorm_mode_16_64 3
		.amdhsa_dx10_clamp 1
		.amdhsa_ieee_mode 1
		.amdhsa_fp16_overflow 0
		.amdhsa_workgroup_processor_mode 1
		.amdhsa_memory_ordered 1
		.amdhsa_forward_progress 0
		.amdhsa_shared_vgpr_count 0
		.amdhsa_exception_fp_ieee_invalid_op 0
		.amdhsa_exception_fp_denorm_src 0
		.amdhsa_exception_fp_ieee_div_zero 0
		.amdhsa_exception_fp_ieee_overflow 0
		.amdhsa_exception_fp_ieee_underflow 0
		.amdhsa_exception_fp_ieee_inexact 0
		.amdhsa_exception_int_div_zero 0
	.end_amdhsa_kernel
	.section	.text._ZL41rocblas_syrkx_herkx_small_restrict_kernelIl19rocblas_complex_numIdELi16ELb0ELb0ELc67ELc85EKPKS1_KPS1_EviT_T0_PT6_S7_lSA_S7_lS8_PT7_S7_li,"axG",@progbits,_ZL41rocblas_syrkx_herkx_small_restrict_kernelIl19rocblas_complex_numIdELi16ELb0ELb0ELc67ELc85EKPKS1_KPS1_EviT_T0_PT6_S7_lSA_S7_lS8_PT7_S7_li,comdat
.Lfunc_end1665:
	.size	_ZL41rocblas_syrkx_herkx_small_restrict_kernelIl19rocblas_complex_numIdELi16ELb0ELb0ELc67ELc85EKPKS1_KPS1_EviT_T0_PT6_S7_lSA_S7_lS8_PT7_S7_li, .Lfunc_end1665-_ZL41rocblas_syrkx_herkx_small_restrict_kernelIl19rocblas_complex_numIdELi16ELb0ELb0ELc67ELc85EKPKS1_KPS1_EviT_T0_PT6_S7_lSA_S7_lS8_PT7_S7_li
                                        ; -- End function
	.section	.AMDGPU.csdata,"",@progbits
; Kernel info:
; codeLenInByte = 1852
; NumSgprs: 28
; NumVgprs: 48
; ScratchSize: 0
; MemoryBound: 0
; FloatMode: 240
; IeeeMode: 1
; LDSByteSize: 8192 bytes/workgroup (compile time only)
; SGPRBlocks: 3
; VGPRBlocks: 5
; NumSGPRsForWavesPerEU: 28
; NumVGPRsForWavesPerEU: 48
; Occupancy: 16
; WaveLimiterHint : 1
; COMPUTE_PGM_RSRC2:SCRATCH_EN: 0
; COMPUTE_PGM_RSRC2:USER_SGPR: 13
; COMPUTE_PGM_RSRC2:TRAP_HANDLER: 0
; COMPUTE_PGM_RSRC2:TGID_X_EN: 1
; COMPUTE_PGM_RSRC2:TGID_Y_EN: 1
; COMPUTE_PGM_RSRC2:TGID_Z_EN: 1
; COMPUTE_PGM_RSRC2:TIDIG_COMP_CNT: 1
	.section	.text._ZL41rocblas_syrkx_herkx_small_restrict_kernelIl19rocblas_complex_numIdELi16ELb0ELb0ELc78ELc85EKPKS1_KPS1_EviT_T0_PT6_S7_lSA_S7_lS8_PT7_S7_li,"axG",@progbits,_ZL41rocblas_syrkx_herkx_small_restrict_kernelIl19rocblas_complex_numIdELi16ELb0ELb0ELc78ELc85EKPKS1_KPS1_EviT_T0_PT6_S7_lSA_S7_lS8_PT7_S7_li,comdat
	.globl	_ZL41rocblas_syrkx_herkx_small_restrict_kernelIl19rocblas_complex_numIdELi16ELb0ELb0ELc78ELc85EKPKS1_KPS1_EviT_T0_PT6_S7_lSA_S7_lS8_PT7_S7_li ; -- Begin function _ZL41rocblas_syrkx_herkx_small_restrict_kernelIl19rocblas_complex_numIdELi16ELb0ELb0ELc78ELc85EKPKS1_KPS1_EviT_T0_PT6_S7_lSA_S7_lS8_PT7_S7_li
	.p2align	8
	.type	_ZL41rocblas_syrkx_herkx_small_restrict_kernelIl19rocblas_complex_numIdELi16ELb0ELb0ELc78ELc85EKPKS1_KPS1_EviT_T0_PT6_S7_lSA_S7_lS8_PT7_S7_li,@function
_ZL41rocblas_syrkx_herkx_small_restrict_kernelIl19rocblas_complex_numIdELi16ELb0ELb0ELc78ELc85EKPKS1_KPS1_EviT_T0_PT6_S7_lSA_S7_lS8_PT7_S7_li: ; @_ZL41rocblas_syrkx_herkx_small_restrict_kernelIl19rocblas_complex_numIdELi16ELb0ELb0ELc78ELc85EKPKS1_KPS1_EviT_T0_PT6_S7_lSA_S7_lS8_PT7_S7_li
; %bb.0:
	s_clause 0x1
	s_load_b256 s[4:11], s[0:1], 0x50
	s_load_b256 s[16:23], s[0:1], 0x8
	s_mov_b32 s2, s15
	s_mov_b32 s3, 0
	v_dual_mov_b32 v8, 0 :: v_dual_and_b32 v5, 0x3ff, v0
	s_lshl_b64 s[26:27], s[2:3], 3
	v_bfe_u32 v4, v0, 10, 10
	v_mov_b32_e32 v9, 0
	s_delay_alu instid0(VALU_DEP_3) | instskip(NEXT) | instid1(VALU_DEP_3)
	v_lshl_add_u32 v0, s13, 4, v5
	v_lshl_add_u32 v2, s14, 4, v4
	s_delay_alu instid0(VALU_DEP_3) | instskip(NEXT) | instid1(VALU_DEP_3)
	v_dual_mov_b32 v11, v9 :: v_dual_mov_b32 v10, v8
	v_ashrrev_i32_e32 v1, 31, v0
	s_delay_alu instid0(VALU_DEP_3)
	v_ashrrev_i32_e32 v3, 31, v2
	s_waitcnt lgkmcnt(0)
	s_add_u32 s2, s8, s26
	s_addc_u32 s3, s9, s27
	s_load_b64 s[24:25], s[0:1], 0x28
	s_load_b64 s[8:9], s[2:3], 0x0
	v_cmp_lt_i64_e64 s2, s[16:17], 1
	s_delay_alu instid0(VALU_DEP_1)
	s_and_b32 vcc_lo, exec_lo, s2
	s_cbranch_vccnz .LBB1666_3
; %bb.1:
	s_load_b128 s[0:3], s[0:1], 0x38
	s_waitcnt lgkmcnt(0)
	v_mad_u64_u32 v[10:11], null, s24, v4, 0
	v_lshlrev_b64 v[16:17], 4, v[2:3]
	v_lshlrev_b64 v[18:19], 4, v[0:1]
	s_delay_alu instid0(VALU_DEP_3)
	v_mov_b32_e32 v8, v11
	v_mad_u64_u32 v[6:7], null, s2, v5, 0
	s_add_u32 s0, s0, s26
	s_addc_u32 s1, s1, s27
	s_add_u32 s12, s22, s26
	s_load_b64 s[0:1], s[0:1], 0x0
	s_addc_u32 s13, s23, s27
	s_load_b64 s[12:13], s[12:13], 0x0
	s_delay_alu instid0(VALU_DEP_1) | instskip(NEXT) | instid1(VALU_DEP_1)
	v_mad_u64_u32 v[13:14], null, s3, v5, v[7:8]
	v_dual_mov_b32 v7, v13 :: v_dual_lshlrev_b32 v20, 8, v4
	s_delay_alu instid0(VALU_DEP_1) | instskip(SKIP_2) | instid1(VALU_DEP_4)
	v_add_nc_u32_e32 v13, 0x1000, v20
	v_mad_u64_u32 v[14:15], null, s25, v4, v[8:9]
	v_lshlrev_b32_e32 v12, 4, v5
	v_lshlrev_b64 v[4:5], 4, v[6:7]
	s_delay_alu instid0(VALU_DEP_3) | instskip(NEXT) | instid1(VALU_DEP_2)
	v_mov_b32_e32 v11, v14
	v_add_co_u32 v4, vcc_lo, v4, v16
	s_delay_alu instid0(VALU_DEP_3) | instskip(NEXT) | instid1(VALU_DEP_3)
	v_add_co_ci_u32_e32 v5, vcc_lo, v5, v17, vcc_lo
	v_lshlrev_b64 v[6:7], 4, v[10:11]
	v_dual_mov_b32 v8, 0 :: v_dual_add_nc_u32 v15, v13, v12
	v_dual_mov_b32 v9, 0 :: v_dual_add_nc_u32 v14, v12, v20
	s_delay_alu instid0(VALU_DEP_3) | instskip(NEXT) | instid1(VALU_DEP_4)
	v_add_co_u32 v6, vcc_lo, v6, v18
	v_add_co_ci_u32_e32 v7, vcc_lo, v7, v19, vcc_lo
	s_waitcnt lgkmcnt(0)
	v_add_co_u32 v10, vcc_lo, v4, s0
	v_add_co_ci_u32_e32 v11, vcc_lo, s1, v5, vcc_lo
	v_add_co_u32 v4, vcc_lo, s12, v6
	v_add_co_ci_u32_e32 v5, vcc_lo, s13, v7, vcc_lo
	s_delay_alu instid0(VALU_DEP_4) | instskip(NEXT) | instid1(VALU_DEP_4)
	v_add_co_u32 v6, vcc_lo, v10, 8
	v_add_co_ci_u32_e32 v7, vcc_lo, 0, v11, vcc_lo
	v_dual_mov_b32 v11, v9 :: v_dual_mov_b32 v10, v8
	s_lshl_b64 s[0:1], s[2:3], 8
	s_lshl_b64 s[2:3], s[24:25], 8
	s_mov_b64 s[12:13], 0
.LBB1666_2:                             ; =>This Inner Loop Header: Depth=1
	global_load_b128 v[16:19], v[4:5], off
	global_load_b128 v[20:23], v[6:7], off offset:-8
	s_add_u32 s12, s12, 16
	v_add_co_u32 v6, vcc_lo, v6, s0
	s_addc_u32 s13, s13, 0
	v_add_co_ci_u32_e32 v7, vcc_lo, s1, v7, vcc_lo
	v_cmp_lt_i64_e64 s14, s[12:13], s[16:17]
	v_add_co_u32 v4, vcc_lo, v4, s2
	v_add_co_ci_u32_e32 v5, vcc_lo, s3, v5, vcc_lo
	s_waitcnt vmcnt(1)
	ds_store_2addr_b64 v14, v[16:17], v[18:19] offset1:1
	s_waitcnt vmcnt(0)
	ds_store_b128 v15, v[20:23]
	s_waitcnt lgkmcnt(0)
	s_barrier
	buffer_gl0_inv
	ds_load_b128 v[16:19], v12
	ds_load_b128 v[20:23], v13
	ds_load_b128 v[24:27], v13 offset:16
	ds_load_b128 v[28:31], v12 offset:256
	s_and_b32 vcc_lo, exec_lo, s14
	s_waitcnt lgkmcnt(2)
	v_mul_f64 v[32:33], v[22:23], v[18:19]
	v_mul_f64 v[18:19], v[20:21], v[18:19]
	s_waitcnt lgkmcnt(0)
	v_mul_f64 v[38:39], v[26:27], v[30:31]
	v_mul_f64 v[40:41], v[24:25], v[30:31]
	s_delay_alu instid0(VALU_DEP_4) | instskip(NEXT) | instid1(VALU_DEP_4)
	v_fma_f64 v[42:43], v[20:21], v[16:17], -v[32:33]
	v_fma_f64 v[44:45], v[22:23], v[16:17], v[18:19]
	ds_load_b128 v[16:19], v12 offset:512
	ds_load_b128 v[20:23], v13 offset:32
	;; [unrolled: 1-line block ×4, first 2 shown]
	v_fma_f64 v[24:25], v[24:25], v[28:29], -v[38:39]
	v_fma_f64 v[26:27], v[26:27], v[28:29], v[40:41]
	s_waitcnt lgkmcnt(2)
	v_mul_f64 v[46:47], v[22:23], v[18:19]
	v_mul_f64 v[18:19], v[20:21], v[18:19]
	s_waitcnt lgkmcnt(0)
	v_mul_f64 v[28:29], v[32:33], v[36:37]
	v_mul_f64 v[36:37], v[30:31], v[36:37]
	v_add_f64 v[10:11], v[10:11], v[42:43]
	v_add_f64 v[8:9], v[8:9], v[44:45]
	v_fma_f64 v[38:39], v[20:21], v[16:17], -v[46:47]
	v_fma_f64 v[40:41], v[22:23], v[16:17], v[18:19]
	v_fma_f64 v[28:29], v[30:31], v[34:35], -v[28:29]
	v_fma_f64 v[30:31], v[32:33], v[34:35], v[36:37]
	v_add_f64 v[42:43], v[10:11], v[24:25]
	v_add_f64 v[44:45], v[8:9], v[26:27]
	ds_load_b128 v[8:11], v12 offset:1024
	ds_load_b128 v[16:19], v13 offset:64
	ds_load_b128 v[20:23], v13 offset:80
	ds_load_b128 v[24:27], v12 offset:1280
	s_waitcnt lgkmcnt(2)
	v_mul_f64 v[46:47], v[18:19], v[10:11]
	v_mul_f64 v[10:11], v[16:17], v[10:11]
	s_waitcnt lgkmcnt(0)
	v_mul_f64 v[36:37], v[22:23], v[26:27]
	v_add_f64 v[32:33], v[42:43], v[38:39]
	v_add_f64 v[34:35], v[44:45], v[40:41]
	v_mul_f64 v[38:39], v[20:21], v[26:27]
	v_fma_f64 v[40:41], v[16:17], v[8:9], -v[46:47]
	v_fma_f64 v[42:43], v[18:19], v[8:9], v[10:11]
	v_fma_f64 v[20:21], v[20:21], v[24:25], -v[36:37]
	v_add_f64 v[44:45], v[32:33], v[28:29]
	v_add_f64 v[34:35], v[34:35], v[30:31]
	ds_load_b128 v[8:11], v12 offset:1536
	ds_load_b128 v[16:19], v13 offset:96
	;; [unrolled: 1-line block ×4, first 2 shown]
	v_fma_f64 v[22:23], v[22:23], v[24:25], v[38:39]
	s_waitcnt lgkmcnt(2)
	v_mul_f64 v[46:47], v[18:19], v[10:11]
	v_mul_f64 v[10:11], v[16:17], v[10:11]
	s_waitcnt lgkmcnt(0)
	v_mul_f64 v[36:37], v[28:29], v[32:33]
	v_mul_f64 v[38:39], v[26:27], v[32:33]
	v_add_f64 v[24:25], v[44:45], v[40:41]
	v_add_f64 v[34:35], v[34:35], v[42:43]
	v_fma_f64 v[40:41], v[16:17], v[8:9], -v[46:47]
	v_fma_f64 v[42:43], v[18:19], v[8:9], v[10:11]
	v_fma_f64 v[26:27], v[26:27], v[30:31], -v[36:37]
	v_fma_f64 v[28:29], v[28:29], v[30:31], v[38:39]
	v_add_f64 v[24:25], v[24:25], v[20:21]
	v_add_f64 v[44:45], v[34:35], v[22:23]
	ds_load_b128 v[8:11], v12 offset:2048
	ds_load_b128 v[16:19], v13 offset:128
	;; [unrolled: 1-line block ×4, first 2 shown]
	s_waitcnt lgkmcnt(2)
	v_mul_f64 v[46:47], v[18:19], v[10:11]
	v_mul_f64 v[10:11], v[16:17], v[10:11]
	s_waitcnt lgkmcnt(0)
	v_mul_f64 v[36:37], v[22:23], v[34:35]
	v_mul_f64 v[34:35], v[20:21], v[34:35]
	v_add_f64 v[24:25], v[24:25], v[40:41]
	v_add_f64 v[30:31], v[44:45], v[42:43]
	v_fma_f64 v[38:39], v[16:17], v[8:9], -v[46:47]
	v_fma_f64 v[40:41], v[18:19], v[8:9], v[10:11]
	v_fma_f64 v[20:21], v[20:21], v[32:33], -v[36:37]
	v_fma_f64 v[22:23], v[22:23], v[32:33], v[34:35]
	v_add_f64 v[42:43], v[24:25], v[26:27]
	v_add_f64 v[44:45], v[30:31], v[28:29]
	ds_load_b128 v[8:11], v12 offset:2560
	ds_load_b128 v[16:19], v13 offset:160
	;; [unrolled: 1-line block ×4, first 2 shown]
	s_waitcnt lgkmcnt(2)
	v_mul_f64 v[46:47], v[18:19], v[10:11]
	v_mul_f64 v[10:11], v[16:17], v[10:11]
	s_waitcnt lgkmcnt(0)
	v_mul_f64 v[36:37], v[26:27], v[30:31]
	v_add_f64 v[32:33], v[42:43], v[38:39]
	v_add_f64 v[34:35], v[44:45], v[40:41]
	v_mul_f64 v[38:39], v[24:25], v[30:31]
	v_fma_f64 v[40:41], v[16:17], v[8:9], -v[46:47]
	v_fma_f64 v[42:43], v[18:19], v[8:9], v[10:11]
	v_fma_f64 v[24:25], v[24:25], v[28:29], -v[36:37]
	v_add_f64 v[44:45], v[32:33], v[20:21]
	v_add_f64 v[34:35], v[34:35], v[22:23]
	ds_load_b128 v[8:11], v12 offset:3072
	ds_load_b128 v[16:19], v13 offset:192
	ds_load_b128 v[20:23], v13 offset:208
	ds_load_b128 v[30:33], v12 offset:3328
	v_fma_f64 v[26:27], v[26:27], v[28:29], v[38:39]
	s_waitcnt lgkmcnt(2)
	v_mul_f64 v[46:47], v[18:19], v[10:11]
	v_mul_f64 v[10:11], v[16:17], v[10:11]
	s_waitcnt lgkmcnt(0)
	v_mul_f64 v[36:37], v[22:23], v[32:33]
	v_mul_f64 v[38:39], v[20:21], v[32:33]
	v_add_f64 v[28:29], v[44:45], v[40:41]
	v_add_f64 v[34:35], v[34:35], v[42:43]
	v_fma_f64 v[40:41], v[16:17], v[8:9], -v[46:47]
	v_fma_f64 v[42:43], v[18:19], v[8:9], v[10:11]
	v_fma_f64 v[20:21], v[20:21], v[30:31], -v[36:37]
	v_fma_f64 v[22:23], v[22:23], v[30:31], v[38:39]
	v_add_f64 v[28:29], v[28:29], v[24:25]
	v_add_f64 v[44:45], v[34:35], v[26:27]
	ds_load_b128 v[8:11], v12 offset:3584
	ds_load_b128 v[16:19], v13 offset:224
	;; [unrolled: 1-line block ×4, first 2 shown]
	s_waitcnt lgkmcnt(0)
	s_barrier
	buffer_gl0_inv
	v_mul_f64 v[46:47], v[18:19], v[10:11]
	v_mul_f64 v[10:11], v[16:17], v[10:11]
	;; [unrolled: 1-line block ×4, first 2 shown]
	v_add_f64 v[28:29], v[28:29], v[40:41]
	v_add_f64 v[30:31], v[44:45], v[42:43]
	v_fma_f64 v[16:17], v[16:17], v[8:9], -v[46:47]
	v_fma_f64 v[8:9], v[18:19], v[8:9], v[10:11]
	s_delay_alu instid0(VALU_DEP_4) | instskip(NEXT) | instid1(VALU_DEP_4)
	v_add_f64 v[10:11], v[28:29], v[20:21]
	v_add_f64 v[18:19], v[30:31], v[22:23]
	v_fma_f64 v[20:21], v[24:25], v[32:33], -v[36:37]
	v_fma_f64 v[22:23], v[26:27], v[32:33], v[34:35]
	s_delay_alu instid0(VALU_DEP_4) | instskip(NEXT) | instid1(VALU_DEP_4)
	v_add_f64 v[10:11], v[10:11], v[16:17]
	v_add_f64 v[8:9], v[18:19], v[8:9]
	s_delay_alu instid0(VALU_DEP_2) | instskip(NEXT) | instid1(VALU_DEP_2)
	v_add_f64 v[10:11], v[10:11], v[20:21]
	v_add_f64 v[8:9], v[8:9], v[22:23]
	s_cbranch_vccnz .LBB1666_2
.LBB1666_3:
	s_mov_b32 s0, exec_lo
	v_cmpx_le_i32_e64 v0, v2
	s_cbranch_execz .LBB1666_5
; %bb.4:
	v_mul_lo_u32 v5, v2, s11
	v_mul_lo_u32 v6, v3, s10
	v_mad_u64_u32 v[3:4], null, v2, s10, 0
	v_lshlrev_b64 v[0:1], 4, v[0:1]
	s_delay_alu instid0(VALU_DEP_2) | instskip(SKIP_2) | instid1(VALU_DEP_3)
	v_add3_u32 v4, v4, v5, v6
	v_mul_f64 v[6:7], s[20:21], v[8:9]
	v_mul_f64 v[8:9], s[18:19], v[8:9]
	v_lshlrev_b64 v[2:3], 4, v[3:4]
	s_waitcnt lgkmcnt(0)
	s_delay_alu instid0(VALU_DEP_1) | instskip(NEXT) | instid1(VALU_DEP_2)
	v_add_co_u32 v2, vcc_lo, s8, v2
	v_add_co_ci_u32_e32 v3, vcc_lo, s9, v3, vcc_lo
	s_delay_alu instid0(VALU_DEP_2) | instskip(NEXT) | instid1(VALU_DEP_2)
	v_add_co_u32 v4, vcc_lo, v2, v0
	v_add_co_ci_u32_e32 v5, vcc_lo, v3, v1, vcc_lo
	global_load_b128 v[0:3], v[4:5], off
	v_fma_f64 v[6:7], s[18:19], v[10:11], -v[6:7]
	v_fma_f64 v[8:9], s[20:21], v[10:11], v[8:9]
	s_waitcnt vmcnt(0)
	v_mul_f64 v[12:13], s[6:7], v[2:3]
	v_mul_f64 v[2:3], s[4:5], v[2:3]
	s_delay_alu instid0(VALU_DEP_2) | instskip(NEXT) | instid1(VALU_DEP_2)
	v_fma_f64 v[10:11], s[4:5], v[0:1], -v[12:13]
	v_fma_f64 v[2:3], s[6:7], v[0:1], v[2:3]
	s_delay_alu instid0(VALU_DEP_2) | instskip(NEXT) | instid1(VALU_DEP_2)
	v_add_f64 v[0:1], v[6:7], v[10:11]
	v_add_f64 v[2:3], v[8:9], v[2:3]
	global_store_b128 v[4:5], v[0:3], off
.LBB1666_5:
	s_nop 0
	s_sendmsg sendmsg(MSG_DEALLOC_VGPRS)
	s_endpgm
	.section	.rodata,"a",@progbits
	.p2align	6, 0x0
	.amdhsa_kernel _ZL41rocblas_syrkx_herkx_small_restrict_kernelIl19rocblas_complex_numIdELi16ELb0ELb0ELc78ELc85EKPKS1_KPS1_EviT_T0_PT6_S7_lSA_S7_lS8_PT7_S7_li
		.amdhsa_group_segment_fixed_size 8192
		.amdhsa_private_segment_fixed_size 0
		.amdhsa_kernarg_size 124
		.amdhsa_user_sgpr_count 13
		.amdhsa_user_sgpr_dispatch_ptr 0
		.amdhsa_user_sgpr_queue_ptr 0
		.amdhsa_user_sgpr_kernarg_segment_ptr 1
		.amdhsa_user_sgpr_dispatch_id 0
		.amdhsa_user_sgpr_private_segment_size 0
		.amdhsa_wavefront_size32 1
		.amdhsa_uses_dynamic_stack 0
		.amdhsa_enable_private_segment 0
		.amdhsa_system_sgpr_workgroup_id_x 1
		.amdhsa_system_sgpr_workgroup_id_y 1
		.amdhsa_system_sgpr_workgroup_id_z 1
		.amdhsa_system_sgpr_workgroup_info 0
		.amdhsa_system_vgpr_workitem_id 1
		.amdhsa_next_free_vgpr 48
		.amdhsa_next_free_sgpr 28
		.amdhsa_reserve_vcc 1
		.amdhsa_float_round_mode_32 0
		.amdhsa_float_round_mode_16_64 0
		.amdhsa_float_denorm_mode_32 3
		.amdhsa_float_denorm_mode_16_64 3
		.amdhsa_dx10_clamp 1
		.amdhsa_ieee_mode 1
		.amdhsa_fp16_overflow 0
		.amdhsa_workgroup_processor_mode 1
		.amdhsa_memory_ordered 1
		.amdhsa_forward_progress 0
		.amdhsa_shared_vgpr_count 0
		.amdhsa_exception_fp_ieee_invalid_op 0
		.amdhsa_exception_fp_denorm_src 0
		.amdhsa_exception_fp_ieee_div_zero 0
		.amdhsa_exception_fp_ieee_overflow 0
		.amdhsa_exception_fp_ieee_underflow 0
		.amdhsa_exception_fp_ieee_inexact 0
		.amdhsa_exception_int_div_zero 0
	.end_amdhsa_kernel
	.section	.text._ZL41rocblas_syrkx_herkx_small_restrict_kernelIl19rocblas_complex_numIdELi16ELb0ELb0ELc78ELc85EKPKS1_KPS1_EviT_T0_PT6_S7_lSA_S7_lS8_PT7_S7_li,"axG",@progbits,_ZL41rocblas_syrkx_herkx_small_restrict_kernelIl19rocblas_complex_numIdELi16ELb0ELb0ELc78ELc85EKPKS1_KPS1_EviT_T0_PT6_S7_lSA_S7_lS8_PT7_S7_li,comdat
.Lfunc_end1666:
	.size	_ZL41rocblas_syrkx_herkx_small_restrict_kernelIl19rocblas_complex_numIdELi16ELb0ELb0ELc78ELc85EKPKS1_KPS1_EviT_T0_PT6_S7_lSA_S7_lS8_PT7_S7_li, .Lfunc_end1666-_ZL41rocblas_syrkx_herkx_small_restrict_kernelIl19rocblas_complex_numIdELi16ELb0ELb0ELc78ELc85EKPKS1_KPS1_EviT_T0_PT6_S7_lSA_S7_lS8_PT7_S7_li
                                        ; -- End function
	.section	.AMDGPU.csdata,"",@progbits
; Kernel info:
; codeLenInByte = 1852
; NumSgprs: 30
; NumVgprs: 48
; ScratchSize: 0
; MemoryBound: 0
; FloatMode: 240
; IeeeMode: 1
; LDSByteSize: 8192 bytes/workgroup (compile time only)
; SGPRBlocks: 3
; VGPRBlocks: 5
; NumSGPRsForWavesPerEU: 30
; NumVGPRsForWavesPerEU: 48
; Occupancy: 16
; WaveLimiterHint : 1
; COMPUTE_PGM_RSRC2:SCRATCH_EN: 0
; COMPUTE_PGM_RSRC2:USER_SGPR: 13
; COMPUTE_PGM_RSRC2:TRAP_HANDLER: 0
; COMPUTE_PGM_RSRC2:TGID_X_EN: 1
; COMPUTE_PGM_RSRC2:TGID_Y_EN: 1
; COMPUTE_PGM_RSRC2:TGID_Z_EN: 1
; COMPUTE_PGM_RSRC2:TIDIG_COMP_CNT: 1
	.section	.text._ZL32rocblas_syrkx_herkx_small_kernelIl19rocblas_complex_numIdELi16ELb1ELb0ELc84ELc76EKPKS1_KPS1_EviT_T0_PT6_S7_lSA_S7_lS8_PT7_S7_li,"axG",@progbits,_ZL32rocblas_syrkx_herkx_small_kernelIl19rocblas_complex_numIdELi16ELb1ELb0ELc84ELc76EKPKS1_KPS1_EviT_T0_PT6_S7_lSA_S7_lS8_PT7_S7_li,comdat
	.globl	_ZL32rocblas_syrkx_herkx_small_kernelIl19rocblas_complex_numIdELi16ELb1ELb0ELc84ELc76EKPKS1_KPS1_EviT_T0_PT6_S7_lSA_S7_lS8_PT7_S7_li ; -- Begin function _ZL32rocblas_syrkx_herkx_small_kernelIl19rocblas_complex_numIdELi16ELb1ELb0ELc84ELc76EKPKS1_KPS1_EviT_T0_PT6_S7_lSA_S7_lS8_PT7_S7_li
	.p2align	8
	.type	_ZL32rocblas_syrkx_herkx_small_kernelIl19rocblas_complex_numIdELi16ELb1ELb0ELc84ELc76EKPKS1_KPS1_EviT_T0_PT6_S7_lSA_S7_lS8_PT7_S7_li,@function
_ZL32rocblas_syrkx_herkx_small_kernelIl19rocblas_complex_numIdELi16ELb1ELb0ELc84ELc76EKPKS1_KPS1_EviT_T0_PT6_S7_lSA_S7_lS8_PT7_S7_li: ; @_ZL32rocblas_syrkx_herkx_small_kernelIl19rocblas_complex_numIdELi16ELb1ELb0ELc84ELc76EKPKS1_KPS1_EviT_T0_PT6_S7_lSA_S7_lS8_PT7_S7_li
; %bb.0:
	s_clause 0x2
	s_load_b128 s[16:19], s[0:1], 0x60
	s_load_b256 s[4:11], s[0:1], 0x8
	s_load_b32 s3, s[0:1], 0x0
	s_mov_b32 s20, s15
	s_mov_b32 s21, 0
	v_and_b32_e32 v16, 0x3ff, v0
	s_lshl_b64 s[20:21], s[20:21], 3
	v_bfe_u32 v17, v0, 10, 10
	v_mov_b32_e32 v10, 0
	v_mov_b32_e32 v11, 0
	v_lshl_add_u32 v4, s13, 4, v16
	s_delay_alu instid0(VALU_DEP_4) | instskip(NEXT) | instid1(VALU_DEP_3)
	v_lshl_add_u32 v14, s14, 4, v17
	v_dual_mov_b32 v13, v11 :: v_dual_mov_b32 v12, v10
	s_delay_alu instid0(VALU_DEP_3) | instskip(NEXT) | instid1(VALU_DEP_3)
	v_ashrrev_i32_e32 v5, 31, v4
	v_ashrrev_i32_e32 v15, 31, v14
	s_waitcnt lgkmcnt(0)
	s_add_u32 s16, s16, s20
	s_addc_u32 s17, s17, s21
	s_load_b64 s[22:23], s[0:1], 0x28
	s_load_b64 s[16:17], s[16:17], 0x0
	v_cmp_lt_i64_e64 s2, s[4:5], 1
	s_delay_alu instid0(VALU_DEP_1)
	s_and_b32 vcc_lo, exec_lo, s2
	v_cmp_gt_i32_e64 s2, s3, v4
	s_cbranch_vccnz .LBB1667_11
; %bb.1:
	s_load_b128 s[12:15], s[0:1], 0x38
	s_waitcnt lgkmcnt(0)
	v_mul_lo_u32 v8, s23, v4
	v_mul_lo_u32 v9, s22, v5
	v_mad_u64_u32 v[6:7], null, s22, v4, 0
	v_dual_mov_b32 v0, 0 :: v_dual_lshlrev_b32 v3, 8, v17
	v_lshlrev_b32_e32 v18, 4, v16
	v_lshlrev_b32_e32 v12, 4, v17
	v_cmp_gt_i32_e32 vcc_lo, s3, v14
	v_add3_u32 v7, v7, v9, v8
	v_add_nc_u32_e32 v19, 0x1000, v3
	s_delay_alu instid0(VALU_DEP_2)
	v_lshlrev_b64 v[6:7], 4, v[6:7]
	v_mul_lo_u32 v10, s15, v14
	v_mul_lo_u32 v11, s14, v15
	v_mad_u64_u32 v[1:2], null, s14, v14, 0
	s_add_u32 s0, s12, s20
	s_addc_u32 s1, s13, s21
	s_add_u32 s10, s10, s20
	s_load_b64 s[12:13], s[0:1], 0x0
	s_addc_u32 s11, s11, s21
	s_xor_b32 s2, s2, -1
	s_delay_alu instid0(VALU_DEP_1) | instskip(SKIP_3) | instid1(VALU_DEP_3)
	v_add3_u32 v2, v2, v11, v10
	v_mov_b32_e32 v10, 0
	s_load_b64 s[10:11], s[10:11], 0x0
	v_dual_mov_b32 v11, 0 :: v_dual_add_nc_u32 v20, v18, v3
	v_lshlrev_b64 v[1:2], 4, v[1:2]
	v_add_nc_u32_e32 v21, v19, v18
	s_delay_alu instid0(VALU_DEP_2) | instskip(NEXT) | instid1(VALU_DEP_1)
	v_add_co_u32 v1, s0, v1, v18
	v_add_co_ci_u32_e64 v2, s0, 0, v2, s0
	v_add_co_u32 v3, s0, v6, v12
	s_delay_alu instid0(VALU_DEP_1) | instskip(SKIP_2) | instid1(VALU_DEP_1)
	v_add_co_ci_u32_e64 v9, s0, 0, v7, s0
	s_waitcnt lgkmcnt(0)
	v_add_co_u32 v6, s0, s12, v1
	v_add_co_ci_u32_e64 v7, s0, s13, v2, s0
	v_add_co_u32 v8, s0, s10, v3
	v_dual_mov_b32 v13, v11 :: v_dual_mov_b32 v12, v10
	v_add_co_ci_u32_e64 v9, s0, s11, v9, s0
	s_mov_b64 s[0:1], 0
	s_xor_b32 s10, vcc_lo, -1
	s_branch .LBB1667_3
.LBB1667_2:                             ;   in Loop: Header=BB1667_3 Depth=1
	s_or_b32 exec_lo, exec_lo, s11
	s_waitcnt lgkmcnt(0)
	s_barrier
	buffer_gl0_inv
	ds_load_b128 v[22:25], v18
	ds_load_b128 v[26:29], v19
	ds_load_b128 v[30:33], v19 offset:16
	ds_load_b128 v[34:37], v18 offset:256
	s_add_u32 s0, s0, 16
	s_addc_u32 s1, s1, 0
	v_add_co_u32 v6, vcc_lo, 0x100, v6
	v_cmp_ge_i64_e64 s11, s[0:1], s[4:5]
	v_add_co_ci_u32_e32 v7, vcc_lo, 0, v7, vcc_lo
	v_add_co_u32 v8, vcc_lo, 0x100, v8
	v_add_co_ci_u32_e32 v9, vcc_lo, 0, v9, vcc_lo
	s_delay_alu instid0(VALU_DEP_4)
	s_and_b32 vcc_lo, exec_lo, s11
	s_waitcnt lgkmcnt(2)
	v_mul_f64 v[1:2], v[28:29], v[24:25]
	v_mul_f64 v[24:25], v[26:27], v[24:25]
	s_waitcnt lgkmcnt(0)
	v_mul_f64 v[44:45], v[32:33], v[36:37]
	v_mul_f64 v[46:47], v[30:31], v[36:37]
	s_delay_alu instid0(VALU_DEP_4) | instskip(NEXT) | instid1(VALU_DEP_4)
	v_fma_f64 v[1:2], v[26:27], v[22:23], -v[1:2]
	v_fma_f64 v[48:49], v[28:29], v[22:23], v[24:25]
	ds_load_b128 v[22:25], v18 offset:512
	ds_load_b128 v[26:29], v19 offset:32
	;; [unrolled: 1-line block ×4, first 2 shown]
	v_fma_f64 v[30:31], v[30:31], v[34:35], -v[44:45]
	v_fma_f64 v[32:33], v[32:33], v[34:35], v[46:47]
	s_waitcnt lgkmcnt(2)
	v_mul_f64 v[50:51], v[28:29], v[24:25]
	v_mul_f64 v[24:25], v[26:27], v[24:25]
	s_waitcnt lgkmcnt(0)
	v_mul_f64 v[34:35], v[38:39], v[42:43]
	v_mul_f64 v[42:43], v[36:37], v[42:43]
	v_add_f64 v[1:2], v[12:13], v[1:2]
	v_add_f64 v[10:11], v[10:11], v[48:49]
	v_fma_f64 v[44:45], v[26:27], v[22:23], -v[50:51]
	v_fma_f64 v[46:47], v[28:29], v[22:23], v[24:25]
	v_fma_f64 v[34:35], v[36:37], v[40:41], -v[34:35]
	v_fma_f64 v[36:37], v[38:39], v[40:41], v[42:43]
	v_add_f64 v[1:2], v[1:2], v[30:31]
	v_add_f64 v[48:49], v[10:11], v[32:33]
	ds_load_b128 v[10:13], v18 offset:1024
	ds_load_b128 v[22:25], v19 offset:64
	;; [unrolled: 1-line block ×4, first 2 shown]
	s_waitcnt lgkmcnt(2)
	v_mul_f64 v[50:51], v[24:25], v[12:13]
	v_mul_f64 v[12:13], v[22:23], v[12:13]
	s_waitcnt lgkmcnt(0)
	v_mul_f64 v[40:41], v[28:29], v[32:33]
	v_mul_f64 v[42:43], v[26:27], v[32:33]
	v_add_f64 v[1:2], v[1:2], v[44:45]
	v_add_f64 v[38:39], v[48:49], v[46:47]
	v_fma_f64 v[44:45], v[22:23], v[10:11], -v[50:51]
	v_fma_f64 v[46:47], v[24:25], v[10:11], v[12:13]
	v_fma_f64 v[26:27], v[26:27], v[30:31], -v[40:41]
	v_fma_f64 v[28:29], v[28:29], v[30:31], v[42:43]
	v_add_f64 v[1:2], v[1:2], v[34:35]
	v_add_f64 v[48:49], v[38:39], v[36:37]
	ds_load_b128 v[10:13], v18 offset:1536
	ds_load_b128 v[22:25], v19 offset:96
	;; [unrolled: 1-line block ×4, first 2 shown]
	s_waitcnt lgkmcnt(2)
	v_mul_f64 v[50:51], v[24:25], v[12:13]
	v_mul_f64 v[12:13], v[22:23], v[12:13]
	s_waitcnt lgkmcnt(0)
	v_mul_f64 v[42:43], v[34:35], v[38:39]
	v_add_f64 v[1:2], v[1:2], v[44:45]
	v_add_f64 v[30:31], v[48:49], v[46:47]
	v_mul_f64 v[44:45], v[32:33], v[38:39]
	v_fma_f64 v[46:47], v[22:23], v[10:11], -v[50:51]
	v_fma_f64 v[48:49], v[24:25], v[10:11], v[12:13]
	v_fma_f64 v[32:33], v[32:33], v[36:37], -v[42:43]
	v_add_f64 v[1:2], v[1:2], v[26:27]
	v_add_f64 v[30:31], v[30:31], v[28:29]
	ds_load_b128 v[10:13], v18 offset:2048
	ds_load_b128 v[22:25], v19 offset:128
	;; [unrolled: 1-line block ×4, first 2 shown]
	v_fma_f64 v[34:35], v[34:35], v[36:37], v[44:45]
	s_waitcnt lgkmcnt(2)
	v_mul_f64 v[50:51], v[24:25], v[12:13]
	v_mul_f64 v[12:13], v[22:23], v[12:13]
	s_waitcnt lgkmcnt(0)
	v_mul_f64 v[42:43], v[28:29], v[40:41]
	v_mul_f64 v[40:41], v[26:27], v[40:41]
	v_add_f64 v[1:2], v[1:2], v[46:47]
	v_add_f64 v[30:31], v[30:31], v[48:49]
	v_fma_f64 v[44:45], v[22:23], v[10:11], -v[50:51]
	v_fma_f64 v[46:47], v[24:25], v[10:11], v[12:13]
	v_fma_f64 v[26:27], v[26:27], v[38:39], -v[42:43]
	v_fma_f64 v[28:29], v[28:29], v[38:39], v[40:41]
	v_add_f64 v[1:2], v[1:2], v[32:33]
	v_add_f64 v[48:49], v[30:31], v[34:35]
	ds_load_b128 v[10:13], v18 offset:2560
	ds_load_b128 v[22:25], v19 offset:160
	;; [unrolled: 1-line block ×4, first 2 shown]
	s_waitcnt lgkmcnt(2)
	v_mul_f64 v[50:51], v[24:25], v[12:13]
	v_mul_f64 v[12:13], v[22:23], v[12:13]
	s_waitcnt lgkmcnt(0)
	v_mul_f64 v[40:41], v[32:33], v[36:37]
	v_mul_f64 v[42:43], v[30:31], v[36:37]
	v_add_f64 v[1:2], v[1:2], v[44:45]
	v_add_f64 v[38:39], v[48:49], v[46:47]
	v_fma_f64 v[44:45], v[22:23], v[10:11], -v[50:51]
	v_fma_f64 v[46:47], v[24:25], v[10:11], v[12:13]
	v_fma_f64 v[30:31], v[30:31], v[34:35], -v[40:41]
	v_fma_f64 v[32:33], v[32:33], v[34:35], v[42:43]
	v_add_f64 v[1:2], v[1:2], v[26:27]
	v_add_f64 v[48:49], v[38:39], v[28:29]
	ds_load_b128 v[10:13], v18 offset:3072
	ds_load_b128 v[22:25], v19 offset:192
	;; [unrolled: 1-line block ×4, first 2 shown]
	s_waitcnt lgkmcnt(2)
	v_mul_f64 v[50:51], v[24:25], v[12:13]
	v_mul_f64 v[12:13], v[22:23], v[12:13]
	s_waitcnt lgkmcnt(0)
	v_mul_f64 v[42:43], v[28:29], v[38:39]
	v_add_f64 v[1:2], v[1:2], v[44:45]
	v_add_f64 v[34:35], v[48:49], v[46:47]
	v_mul_f64 v[44:45], v[26:27], v[38:39]
	v_fma_f64 v[46:47], v[22:23], v[10:11], -v[50:51]
	v_fma_f64 v[48:49], v[24:25], v[10:11], v[12:13]
	v_fma_f64 v[26:27], v[26:27], v[36:37], -v[42:43]
	v_add_f64 v[1:2], v[1:2], v[30:31]
	v_add_f64 v[34:35], v[34:35], v[32:33]
	ds_load_b128 v[10:13], v18 offset:3584
	ds_load_b128 v[22:25], v19 offset:224
	;; [unrolled: 1-line block ×4, first 2 shown]
	v_fma_f64 v[28:29], v[28:29], v[36:37], v[44:45]
	s_waitcnt lgkmcnt(0)
	s_barrier
	buffer_gl0_inv
	v_mul_f64 v[50:51], v[24:25], v[12:13]
	v_mul_f64 v[12:13], v[22:23], v[12:13]
	;; [unrolled: 1-line block ×4, first 2 shown]
	v_add_f64 v[1:2], v[1:2], v[46:47]
	v_add_f64 v[34:35], v[34:35], v[48:49]
	v_fma_f64 v[22:23], v[22:23], v[10:11], -v[50:51]
	v_fma_f64 v[10:11], v[24:25], v[10:11], v[12:13]
	v_fma_f64 v[24:25], v[30:31], v[38:39], -v[36:37]
	v_add_f64 v[1:2], v[1:2], v[26:27]
	v_add_f64 v[12:13], v[34:35], v[28:29]
	v_fma_f64 v[26:27], v[32:33], v[38:39], v[40:41]
	s_delay_alu instid0(VALU_DEP_3) | instskip(NEXT) | instid1(VALU_DEP_3)
	v_add_f64 v[1:2], v[1:2], v[22:23]
	v_add_f64 v[10:11], v[12:13], v[10:11]
	s_delay_alu instid0(VALU_DEP_2) | instskip(NEXT) | instid1(VALU_DEP_2)
	v_add_f64 v[12:13], v[1:2], v[24:25]
	v_add_f64 v[10:11], v[10:11], v[26:27]
	s_cbranch_vccnz .LBB1667_11
.LBB1667_3:                             ; =>This Inner Loop Header: Depth=1
	v_add_co_u32 v1, s11, v17, s0
	s_delay_alu instid0(VALU_DEP_1) | instskip(NEXT) | instid1(VALU_DEP_1)
	v_add_co_ci_u32_e64 v2, null, 0, s1, s11
	v_cmp_le_i64_e32 vcc_lo, s[4:5], v[1:2]
	s_or_b32 s11, s2, vcc_lo
	s_delay_alu instid0(SALU_CYCLE_1) | instskip(NEXT) | instid1(SALU_CYCLE_1)
	s_and_saveexec_b32 s12, s11
	s_xor_b32 s11, exec_lo, s12
	s_cbranch_execz .LBB1667_5
; %bb.4:                                ;   in Loop: Header=BB1667_3 Depth=1
	v_mov_b32_e32 v1, v0
	v_mov_b32_e32 v2, v0
	;; [unrolled: 1-line block ×3, first 2 shown]
	ds_store_b128 v20, v[0:3]
.LBB1667_5:                             ;   in Loop: Header=BB1667_3 Depth=1
	s_and_not1_saveexec_b32 s11, s11
	s_cbranch_execz .LBB1667_7
; %bb.6:                                ;   in Loop: Header=BB1667_3 Depth=1
	global_load_b128 v[22:25], v[8:9], off
	s_waitcnt vmcnt(0)
	ds_store_2addr_b64 v20, v[22:23], v[24:25] offset1:1
.LBB1667_7:                             ;   in Loop: Header=BB1667_3 Depth=1
	s_or_b32 exec_lo, exec_lo, s11
	v_add_co_u32 v1, s11, v16, s0
	s_delay_alu instid0(VALU_DEP_1) | instskip(NEXT) | instid1(VALU_DEP_1)
	v_add_co_ci_u32_e64 v2, null, 0, s1, s11
	v_cmp_le_i64_e32 vcc_lo, s[4:5], v[1:2]
	s_or_b32 s11, s10, vcc_lo
	s_delay_alu instid0(SALU_CYCLE_1) | instskip(NEXT) | instid1(SALU_CYCLE_1)
	s_and_saveexec_b32 s12, s11
	s_xor_b32 s11, exec_lo, s12
	s_cbranch_execz .LBB1667_9
; %bb.8:                                ;   in Loop: Header=BB1667_3 Depth=1
	v_mov_b32_e32 v1, v0
	v_mov_b32_e32 v2, v0
	;; [unrolled: 1-line block ×3, first 2 shown]
	ds_store_b128 v21, v[0:3]
.LBB1667_9:                             ;   in Loop: Header=BB1667_3 Depth=1
	s_and_not1_saveexec_b32 s11, s11
	s_cbranch_execz .LBB1667_2
; %bb.10:                               ;   in Loop: Header=BB1667_3 Depth=1
	global_load_b128 v[22:25], v[6:7], off
	s_waitcnt vmcnt(0)
	ds_store_2addr_b64 v21, v[22:23], v[24:25] offset1:1
	s_branch .LBB1667_2
.LBB1667_11:
	v_cmp_le_i32_e32 vcc_lo, v14, v4
	v_cmp_gt_i32_e64 s0, s3, v4
	s_delay_alu instid0(VALU_DEP_1) | instskip(NEXT) | instid1(SALU_CYCLE_1)
	s_and_b32 s0, vcc_lo, s0
	s_and_saveexec_b32 s1, s0
	s_cbranch_execz .LBB1667_13
; %bb.12:
	s_delay_alu instid0(VALU_DEP_3)
	v_mul_f64 v[0:1], s[8:9], v[10:11]
	v_mul_f64 v[2:3], s[6:7], v[10:11]
	v_mul_lo_u32 v8, v14, s19
	v_mul_lo_u32 v9, v15, s18
	v_mad_u64_u32 v[6:7], null, v14, s18, 0
	v_lshlrev_b64 v[4:5], 4, v[4:5]
	s_delay_alu instid0(VALU_DEP_2) | instskip(NEXT) | instid1(VALU_DEP_1)
	v_add3_u32 v7, v7, v8, v9
	v_lshlrev_b64 v[6:7], 4, v[6:7]
	s_waitcnt lgkmcnt(0)
	s_delay_alu instid0(VALU_DEP_1) | instskip(NEXT) | instid1(VALU_DEP_2)
	v_add_co_u32 v6, vcc_lo, s16, v6
	v_add_co_ci_u32_e32 v7, vcc_lo, s17, v7, vcc_lo
	s_delay_alu instid0(VALU_DEP_2) | instskip(NEXT) | instid1(VALU_DEP_2)
	v_add_co_u32 v4, vcc_lo, v6, v4
	v_add_co_ci_u32_e32 v5, vcc_lo, v7, v5, vcc_lo
	v_fma_f64 v[0:1], s[6:7], v[12:13], -v[0:1]
	v_fma_f64 v[2:3], s[8:9], v[12:13], v[2:3]
	global_store_b128 v[4:5], v[0:3], off
.LBB1667_13:
	s_nop 0
	s_sendmsg sendmsg(MSG_DEALLOC_VGPRS)
	s_endpgm
	.section	.rodata,"a",@progbits
	.p2align	6, 0x0
	.amdhsa_kernel _ZL32rocblas_syrkx_herkx_small_kernelIl19rocblas_complex_numIdELi16ELb1ELb0ELc84ELc76EKPKS1_KPS1_EviT_T0_PT6_S7_lSA_S7_lS8_PT7_S7_li
		.amdhsa_group_segment_fixed_size 8192
		.amdhsa_private_segment_fixed_size 0
		.amdhsa_kernarg_size 124
		.amdhsa_user_sgpr_count 13
		.amdhsa_user_sgpr_dispatch_ptr 0
		.amdhsa_user_sgpr_queue_ptr 0
		.amdhsa_user_sgpr_kernarg_segment_ptr 1
		.amdhsa_user_sgpr_dispatch_id 0
		.amdhsa_user_sgpr_private_segment_size 0
		.amdhsa_wavefront_size32 1
		.amdhsa_uses_dynamic_stack 0
		.amdhsa_enable_private_segment 0
		.amdhsa_system_sgpr_workgroup_id_x 1
		.amdhsa_system_sgpr_workgroup_id_y 1
		.amdhsa_system_sgpr_workgroup_id_z 1
		.amdhsa_system_sgpr_workgroup_info 0
		.amdhsa_system_vgpr_workitem_id 1
		.amdhsa_next_free_vgpr 52
		.amdhsa_next_free_sgpr 24
		.amdhsa_reserve_vcc 1
		.amdhsa_float_round_mode_32 0
		.amdhsa_float_round_mode_16_64 0
		.amdhsa_float_denorm_mode_32 3
		.amdhsa_float_denorm_mode_16_64 3
		.amdhsa_dx10_clamp 1
		.amdhsa_ieee_mode 1
		.amdhsa_fp16_overflow 0
		.amdhsa_workgroup_processor_mode 1
		.amdhsa_memory_ordered 1
		.amdhsa_forward_progress 0
		.amdhsa_shared_vgpr_count 0
		.amdhsa_exception_fp_ieee_invalid_op 0
		.amdhsa_exception_fp_denorm_src 0
		.amdhsa_exception_fp_ieee_div_zero 0
		.amdhsa_exception_fp_ieee_overflow 0
		.amdhsa_exception_fp_ieee_underflow 0
		.amdhsa_exception_fp_ieee_inexact 0
		.amdhsa_exception_int_div_zero 0
	.end_amdhsa_kernel
	.section	.text._ZL32rocblas_syrkx_herkx_small_kernelIl19rocblas_complex_numIdELi16ELb1ELb0ELc84ELc76EKPKS1_KPS1_EviT_T0_PT6_S7_lSA_S7_lS8_PT7_S7_li,"axG",@progbits,_ZL32rocblas_syrkx_herkx_small_kernelIl19rocblas_complex_numIdELi16ELb1ELb0ELc84ELc76EKPKS1_KPS1_EviT_T0_PT6_S7_lSA_S7_lS8_PT7_S7_li,comdat
.Lfunc_end1667:
	.size	_ZL32rocblas_syrkx_herkx_small_kernelIl19rocblas_complex_numIdELi16ELb1ELb0ELc84ELc76EKPKS1_KPS1_EviT_T0_PT6_S7_lSA_S7_lS8_PT7_S7_li, .Lfunc_end1667-_ZL32rocblas_syrkx_herkx_small_kernelIl19rocblas_complex_numIdELi16ELb1ELb0ELc84ELc76EKPKS1_KPS1_EviT_T0_PT6_S7_lSA_S7_lS8_PT7_S7_li
                                        ; -- End function
	.section	.AMDGPU.csdata,"",@progbits
; Kernel info:
; codeLenInByte = 1988
; NumSgprs: 26
; NumVgprs: 52
; ScratchSize: 0
; MemoryBound: 0
; FloatMode: 240
; IeeeMode: 1
; LDSByteSize: 8192 bytes/workgroup (compile time only)
; SGPRBlocks: 3
; VGPRBlocks: 6
; NumSGPRsForWavesPerEU: 26
; NumVGPRsForWavesPerEU: 52
; Occupancy: 16
; WaveLimiterHint : 1
; COMPUTE_PGM_RSRC2:SCRATCH_EN: 0
; COMPUTE_PGM_RSRC2:USER_SGPR: 13
; COMPUTE_PGM_RSRC2:TRAP_HANDLER: 0
; COMPUTE_PGM_RSRC2:TGID_X_EN: 1
; COMPUTE_PGM_RSRC2:TGID_Y_EN: 1
; COMPUTE_PGM_RSRC2:TGID_Z_EN: 1
; COMPUTE_PGM_RSRC2:TIDIG_COMP_CNT: 1
	.section	.text._ZL32rocblas_syrkx_herkx_small_kernelIl19rocblas_complex_numIdELi16ELb1ELb0ELc67ELc76EKPKS1_KPS1_EviT_T0_PT6_S7_lSA_S7_lS8_PT7_S7_li,"axG",@progbits,_ZL32rocblas_syrkx_herkx_small_kernelIl19rocblas_complex_numIdELi16ELb1ELb0ELc67ELc76EKPKS1_KPS1_EviT_T0_PT6_S7_lSA_S7_lS8_PT7_S7_li,comdat
	.globl	_ZL32rocblas_syrkx_herkx_small_kernelIl19rocblas_complex_numIdELi16ELb1ELb0ELc67ELc76EKPKS1_KPS1_EviT_T0_PT6_S7_lSA_S7_lS8_PT7_S7_li ; -- Begin function _ZL32rocblas_syrkx_herkx_small_kernelIl19rocblas_complex_numIdELi16ELb1ELb0ELc67ELc76EKPKS1_KPS1_EviT_T0_PT6_S7_lSA_S7_lS8_PT7_S7_li
	.p2align	8
	.type	_ZL32rocblas_syrkx_herkx_small_kernelIl19rocblas_complex_numIdELi16ELb1ELb0ELc67ELc76EKPKS1_KPS1_EviT_T0_PT6_S7_lSA_S7_lS8_PT7_S7_li,@function
_ZL32rocblas_syrkx_herkx_small_kernelIl19rocblas_complex_numIdELi16ELb1ELb0ELc67ELc76EKPKS1_KPS1_EviT_T0_PT6_S7_lSA_S7_lS8_PT7_S7_li: ; @_ZL32rocblas_syrkx_herkx_small_kernelIl19rocblas_complex_numIdELi16ELb1ELb0ELc67ELc76EKPKS1_KPS1_EviT_T0_PT6_S7_lSA_S7_lS8_PT7_S7_li
; %bb.0:
	s_clause 0x2
	s_load_b128 s[16:19], s[0:1], 0x60
	s_load_b256 s[4:11], s[0:1], 0x8
	s_load_b32 s3, s[0:1], 0x0
	s_mov_b32 s20, s15
	s_mov_b32 s21, 0
	v_and_b32_e32 v19, 0x3ff, v0
	s_lshl_b64 s[20:21], s[20:21], 3
	v_bfe_u32 v20, v0, 10, 10
	v_mov_b32_e32 v13, 0
	v_mov_b32_e32 v14, 0
	v_lshl_add_u32 v5, s13, 4, v19
	s_delay_alu instid0(VALU_DEP_4) | instskip(NEXT) | instid1(VALU_DEP_3)
	v_lshl_add_u32 v17, s14, 4, v20
	v_dual_mov_b32 v16, v14 :: v_dual_mov_b32 v15, v13
	s_delay_alu instid0(VALU_DEP_3) | instskip(NEXT) | instid1(VALU_DEP_3)
	v_ashrrev_i32_e32 v6, 31, v5
	v_ashrrev_i32_e32 v18, 31, v17
	s_waitcnt lgkmcnt(0)
	s_add_u32 s16, s16, s20
	s_addc_u32 s17, s17, s21
	s_load_b64 s[22:23], s[0:1], 0x28
	s_load_b64 s[16:17], s[16:17], 0x0
	v_cmp_lt_i64_e64 s2, s[4:5], 1
	s_delay_alu instid0(VALU_DEP_1)
	s_and_b32 vcc_lo, exec_lo, s2
	v_cmp_gt_i32_e64 s2, s3, v5
	s_cbranch_vccnz .LBB1668_9
; %bb.1:
	s_load_b128 s[12:15], s[0:1], 0x38
	s_waitcnt lgkmcnt(0)
	v_mul_lo_u32 v7, s23, v5
	v_mul_lo_u32 v8, s22, v6
	v_mad_u64_u32 v[1:2], null, s22, v5, 0
	v_lshlrev_b32_e32 v12, 4, v20
	v_dual_mov_b32 v0, 0 :: v_dual_lshlrev_b32 v21, 4, v19
	v_lshlrev_b32_e32 v9, 8, v20
	v_cmp_gt_i32_e32 vcc_lo, s3, v17
	v_add3_u32 v2, v2, v8, v7
	v_mov_b32_e32 v7, 0
	v_mov_b32_e32 v8, 0
	v_add_nc_u32_e32 v22, 0x1000, v9
	v_add_nc_u32_e32 v23, v21, v9
	v_lshlrev_b64 v[1:2], 4, v[1:2]
	s_delay_alu instid0(VALU_DEP_4)
	v_mov_b32_e32 v14, v8
	v_mov_b32_e32 v16, v8
	s_add_u32 s0, s12, s20
	s_addc_u32 s1, s13, s21
	s_add_u32 s10, s10, s20
	v_mul_lo_u32 v10, s15, v17
	v_mul_lo_u32 v11, s14, v18
	v_mad_u64_u32 v[3:4], null, s14, v17, 0
	s_addc_u32 s11, s11, s21
	s_load_b64 s[12:13], s[0:1], 0x0
	s_load_b64 s[10:11], s[10:11], 0x0
	v_add_co_u32 v1, s0, v1, v12
	s_delay_alu instid0(VALU_DEP_1) | instskip(NEXT) | instid1(VALU_DEP_3)
	v_add_co_ci_u32_e64 v2, s0, 0, v2, s0
	v_add3_u32 v4, v4, v11, v10
	v_dual_mov_b32 v13, v7 :: v_dual_add_nc_u32 v24, v22, v21
	v_mov_b32_e32 v15, v7
	s_delay_alu instid0(VALU_DEP_3) | instskip(NEXT) | instid1(VALU_DEP_1)
	v_lshlrev_b64 v[3:4], 4, v[3:4]
	v_add_co_u32 v3, s0, v3, v21
	s_delay_alu instid0(VALU_DEP_1) | instskip(SKIP_2) | instid1(VALU_DEP_1)
	v_add_co_ci_u32_e64 v4, s0, 0, v4, s0
	s_waitcnt lgkmcnt(0)
	v_add_co_u32 v1, s0, v1, s10
	v_add_co_ci_u32_e64 v2, s0, s11, v2, s0
	v_add_co_u32 v9, s0, s12, v3
	s_delay_alu instid0(VALU_DEP_1) | instskip(NEXT) | instid1(VALU_DEP_4)
	v_add_co_ci_u32_e64 v10, s0, s13, v4, s0
	v_add_co_u32 v11, s0, v1, 8
	s_delay_alu instid0(VALU_DEP_1)
	v_add_co_ci_u32_e64 v12, s0, 0, v2, s0
	s_mov_b64 s[0:1], 0
	s_xor_b32 s10, vcc_lo, -1
	s_branch .LBB1668_3
.LBB1668_2:                             ;   in Loop: Header=BB1668_3 Depth=1
	s_or_b32 exec_lo, exec_lo, s11
	s_waitcnt lgkmcnt(0)
	s_barrier
	buffer_gl0_inv
	ds_load_b128 v[1:4], v21
	ds_load_b128 v[25:28], v22
	ds_load_b128 v[29:32], v22 offset:16
	ds_load_b128 v[33:36], v21 offset:256
	s_add_u32 s0, s0, 16
	s_addc_u32 s1, s1, 0
	v_add_co_u32 v9, vcc_lo, 0x100, v9
	v_cmp_ge_i64_e64 s11, s[0:1], s[4:5]
	v_add_co_ci_u32_e32 v10, vcc_lo, 0, v10, vcc_lo
	v_add_co_u32 v11, vcc_lo, 0x100, v11
	v_add_co_ci_u32_e32 v12, vcc_lo, 0, v12, vcc_lo
	s_delay_alu instid0(VALU_DEP_4)
	s_and_b32 vcc_lo, exec_lo, s11
	s_waitcnt lgkmcnt(2)
	v_mul_f64 v[37:38], v[27:28], v[3:4]
	v_mul_f64 v[3:4], v[25:26], v[3:4]
	s_waitcnt lgkmcnt(0)
	v_mul_f64 v[43:44], v[31:32], v[35:36]
	v_mul_f64 v[45:46], v[29:30], v[35:36]
	s_delay_alu instid0(VALU_DEP_4) | instskip(NEXT) | instid1(VALU_DEP_4)
	v_fma_f64 v[47:48], v[25:26], v[1:2], -v[37:38]
	v_fma_f64 v[49:50], v[27:28], v[1:2], v[3:4]
	ds_load_b128 v[1:4], v21 offset:512
	ds_load_b128 v[25:28], v22 offset:32
	;; [unrolled: 1-line block ×4, first 2 shown]
	v_fma_f64 v[29:30], v[29:30], v[33:34], -v[43:44]
	v_fma_f64 v[31:32], v[31:32], v[33:34], v[45:46]
	s_waitcnt lgkmcnt(2)
	v_mul_f64 v[51:52], v[27:28], v[3:4]
	v_mul_f64 v[3:4], v[25:26], v[3:4]
	s_waitcnt lgkmcnt(0)
	v_mul_f64 v[33:34], v[37:38], v[41:42]
	v_mul_f64 v[41:42], v[35:36], v[41:42]
	v_add_f64 v[15:16], v[15:16], v[47:48]
	v_add_f64 v[13:14], v[13:14], v[49:50]
	v_fma_f64 v[43:44], v[25:26], v[1:2], -v[51:52]
	v_fma_f64 v[45:46], v[27:28], v[1:2], v[3:4]
	v_fma_f64 v[33:34], v[35:36], v[39:40], -v[33:34]
	v_fma_f64 v[35:36], v[37:38], v[39:40], v[41:42]
	v_add_f64 v[47:48], v[15:16], v[29:30]
	v_add_f64 v[49:50], v[13:14], v[31:32]
	ds_load_b128 v[1:4], v21 offset:1024
	ds_load_b128 v[13:16], v22 offset:64
	;; [unrolled: 1-line block ×4, first 2 shown]
	s_waitcnt lgkmcnt(2)
	v_mul_f64 v[51:52], v[15:16], v[3:4]
	v_mul_f64 v[3:4], v[13:14], v[3:4]
	s_waitcnt lgkmcnt(0)
	v_mul_f64 v[41:42], v[27:28], v[31:32]
	v_add_f64 v[37:38], v[47:48], v[43:44]
	v_add_f64 v[39:40], v[49:50], v[45:46]
	v_mul_f64 v[43:44], v[25:26], v[31:32]
	v_fma_f64 v[45:46], v[13:14], v[1:2], -v[51:52]
	v_fma_f64 v[47:48], v[15:16], v[1:2], v[3:4]
	v_fma_f64 v[25:26], v[25:26], v[29:30], -v[41:42]
	v_add_f64 v[49:50], v[37:38], v[33:34]
	v_add_f64 v[39:40], v[39:40], v[35:36]
	ds_load_b128 v[1:4], v21 offset:1536
	ds_load_b128 v[13:16], v22 offset:96
	;; [unrolled: 1-line block ×4, first 2 shown]
	v_fma_f64 v[27:28], v[27:28], v[29:30], v[43:44]
	s_waitcnt lgkmcnt(2)
	v_mul_f64 v[51:52], v[15:16], v[3:4]
	v_mul_f64 v[3:4], v[13:14], v[3:4]
	s_waitcnt lgkmcnt(0)
	v_mul_f64 v[41:42], v[33:34], v[37:38]
	v_mul_f64 v[43:44], v[31:32], v[37:38]
	v_add_f64 v[29:30], v[49:50], v[45:46]
	v_add_f64 v[39:40], v[39:40], v[47:48]
	v_fma_f64 v[45:46], v[13:14], v[1:2], -v[51:52]
	v_fma_f64 v[47:48], v[15:16], v[1:2], v[3:4]
	v_fma_f64 v[31:32], v[31:32], v[35:36], -v[41:42]
	v_fma_f64 v[33:34], v[33:34], v[35:36], v[43:44]
	v_add_f64 v[29:30], v[29:30], v[25:26]
	v_add_f64 v[49:50], v[39:40], v[27:28]
	ds_load_b128 v[1:4], v21 offset:2048
	ds_load_b128 v[13:16], v22 offset:128
	;; [unrolled: 1-line block ×4, first 2 shown]
	s_waitcnt lgkmcnt(2)
	v_mul_f64 v[51:52], v[15:16], v[3:4]
	v_mul_f64 v[3:4], v[13:14], v[3:4]
	s_waitcnt lgkmcnt(0)
	v_mul_f64 v[41:42], v[27:28], v[39:40]
	v_mul_f64 v[39:40], v[25:26], v[39:40]
	v_add_f64 v[29:30], v[29:30], v[45:46]
	v_add_f64 v[35:36], v[49:50], v[47:48]
	v_fma_f64 v[43:44], v[13:14], v[1:2], -v[51:52]
	v_fma_f64 v[45:46], v[15:16], v[1:2], v[3:4]
	v_fma_f64 v[25:26], v[25:26], v[37:38], -v[41:42]
	v_fma_f64 v[27:28], v[27:28], v[37:38], v[39:40]
	v_add_f64 v[47:48], v[29:30], v[31:32]
	v_add_f64 v[49:50], v[35:36], v[33:34]
	ds_load_b128 v[1:4], v21 offset:2560
	ds_load_b128 v[13:16], v22 offset:160
	;; [unrolled: 1-line block ×4, first 2 shown]
	s_waitcnt lgkmcnt(2)
	v_mul_f64 v[51:52], v[15:16], v[3:4]
	v_mul_f64 v[3:4], v[13:14], v[3:4]
	s_waitcnt lgkmcnt(0)
	v_mul_f64 v[41:42], v[31:32], v[35:36]
	v_add_f64 v[37:38], v[47:48], v[43:44]
	v_add_f64 v[39:40], v[49:50], v[45:46]
	v_mul_f64 v[43:44], v[29:30], v[35:36]
	v_fma_f64 v[45:46], v[13:14], v[1:2], -v[51:52]
	v_fma_f64 v[47:48], v[15:16], v[1:2], v[3:4]
	v_fma_f64 v[29:30], v[29:30], v[33:34], -v[41:42]
	v_add_f64 v[49:50], v[37:38], v[25:26]
	v_add_f64 v[39:40], v[39:40], v[27:28]
	ds_load_b128 v[1:4], v21 offset:3072
	ds_load_b128 v[13:16], v22 offset:192
	;; [unrolled: 1-line block ×4, first 2 shown]
	v_fma_f64 v[31:32], v[31:32], v[33:34], v[43:44]
	s_waitcnt lgkmcnt(2)
	v_mul_f64 v[51:52], v[15:16], v[3:4]
	v_mul_f64 v[3:4], v[13:14], v[3:4]
	s_waitcnt lgkmcnt(0)
	v_mul_f64 v[41:42], v[27:28], v[37:38]
	v_mul_f64 v[43:44], v[25:26], v[37:38]
	v_add_f64 v[33:34], v[49:50], v[45:46]
	v_add_f64 v[39:40], v[39:40], v[47:48]
	v_fma_f64 v[45:46], v[13:14], v[1:2], -v[51:52]
	v_fma_f64 v[47:48], v[15:16], v[1:2], v[3:4]
	v_fma_f64 v[25:26], v[25:26], v[35:36], -v[41:42]
	v_fma_f64 v[27:28], v[27:28], v[35:36], v[43:44]
	v_add_f64 v[33:34], v[33:34], v[29:30]
	v_add_f64 v[49:50], v[39:40], v[31:32]
	ds_load_b128 v[1:4], v21 offset:3584
	ds_load_b128 v[13:16], v22 offset:224
	;; [unrolled: 1-line block ×4, first 2 shown]
	s_waitcnt lgkmcnt(0)
	s_barrier
	buffer_gl0_inv
	v_mul_f64 v[51:52], v[15:16], v[3:4]
	v_mul_f64 v[3:4], v[13:14], v[3:4]
	;; [unrolled: 1-line block ×4, first 2 shown]
	v_add_f64 v[33:34], v[33:34], v[45:46]
	v_add_f64 v[35:36], v[49:50], v[47:48]
	v_fma_f64 v[13:14], v[13:14], v[1:2], -v[51:52]
	v_fma_f64 v[1:2], v[15:16], v[1:2], v[3:4]
	s_delay_alu instid0(VALU_DEP_4) | instskip(NEXT) | instid1(VALU_DEP_4)
	v_add_f64 v[3:4], v[33:34], v[25:26]
	v_add_f64 v[15:16], v[35:36], v[27:28]
	v_fma_f64 v[25:26], v[29:30], v[37:38], -v[41:42]
	v_fma_f64 v[27:28], v[31:32], v[37:38], v[39:40]
	s_delay_alu instid0(VALU_DEP_4) | instskip(NEXT) | instid1(VALU_DEP_4)
	v_add_f64 v[3:4], v[3:4], v[13:14]
	v_add_f64 v[1:2], v[15:16], v[1:2]
	s_delay_alu instid0(VALU_DEP_2) | instskip(NEXT) | instid1(VALU_DEP_2)
	v_add_f64 v[15:16], v[3:4], v[25:26]
	v_add_f64 v[13:14], v[1:2], v[27:28]
	s_cbranch_vccnz .LBB1668_9
.LBB1668_3:                             ; =>This Inner Loop Header: Depth=1
	v_add_co_u32 v1, s11, v20, s0
	s_delay_alu instid0(VALU_DEP_1) | instskip(SKIP_1) | instid1(VALU_DEP_2)
	v_add_co_ci_u32_e64 v2, null, 0, s1, s11
	v_dual_mov_b32 v3, v7 :: v_dual_mov_b32 v4, v8
	v_cmp_gt_i64_e32 vcc_lo, s[4:5], v[1:2]
	v_dual_mov_b32 v1, v7 :: v_dual_mov_b32 v2, v8
	s_and_b32 s12, s2, vcc_lo
	s_delay_alu instid0(SALU_CYCLE_1)
	s_and_saveexec_b32 s11, s12
	s_cbranch_execz .LBB1668_5
; %bb.4:                                ;   in Loop: Header=BB1668_3 Depth=1
	global_load_b128 v[1:4], v[11:12], off offset:-8
.LBB1668_5:                             ;   in Loop: Header=BB1668_3 Depth=1
	s_or_b32 exec_lo, exec_lo, s11
	v_add_co_u32 v25, s11, v19, s0
	s_delay_alu instid0(VALU_DEP_1) | instskip(SKIP_4) | instid1(SALU_CYCLE_1)
	v_add_co_ci_u32_e64 v26, null, 0, s1, s11
	s_waitcnt vmcnt(0)
	ds_store_b128 v23, v[1:4]
	v_cmp_le_i64_e32 vcc_lo, s[4:5], v[25:26]
	s_or_b32 s11, s10, vcc_lo
	s_and_saveexec_b32 s12, s11
	s_delay_alu instid0(SALU_CYCLE_1)
	s_xor_b32 s11, exec_lo, s12
	s_cbranch_execz .LBB1668_7
; %bb.6:                                ;   in Loop: Header=BB1668_3 Depth=1
	v_mov_b32_e32 v1, v0
	v_mov_b32_e32 v2, v0
	;; [unrolled: 1-line block ×3, first 2 shown]
	ds_store_b128 v24, v[0:3]
.LBB1668_7:                             ;   in Loop: Header=BB1668_3 Depth=1
	s_and_not1_saveexec_b32 s11, s11
	s_cbranch_execz .LBB1668_2
; %bb.8:                                ;   in Loop: Header=BB1668_3 Depth=1
	global_load_b128 v[1:4], v[9:10], off
	s_waitcnt vmcnt(0)
	ds_store_2addr_b64 v24, v[1:2], v[3:4] offset1:1
	s_branch .LBB1668_2
.LBB1668_9:
	v_cmp_le_i32_e32 vcc_lo, v17, v5
	v_cmp_gt_i32_e64 s0, s3, v5
	s_delay_alu instid0(VALU_DEP_1) | instskip(NEXT) | instid1(SALU_CYCLE_1)
	s_and_b32 s0, vcc_lo, s0
	s_and_saveexec_b32 s1, s0
	s_cbranch_execz .LBB1668_11
; %bb.10:
	s_delay_alu instid0(VALU_DEP_3) | instskip(SKIP_4) | instid1(VALU_DEP_1)
	v_mul_f64 v[0:1], s[8:9], v[13:14]
	v_mul_f64 v[2:3], s[6:7], v[13:14]
	v_mul_lo_u32 v4, v17, s19
	v_mul_lo_u32 v9, v18, s18
	v_mad_u64_u32 v[7:8], null, v17, s18, 0
	v_add3_u32 v8, v8, v4, v9
	v_lshlrev_b64 v[4:5], 4, v[5:6]
	s_delay_alu instid0(VALU_DEP_2) | instskip(SKIP_1) | instid1(VALU_DEP_1)
	v_lshlrev_b64 v[7:8], 4, v[7:8]
	s_waitcnt lgkmcnt(0)
	v_add_co_u32 v6, vcc_lo, s16, v7
	s_delay_alu instid0(VALU_DEP_2) | instskip(NEXT) | instid1(VALU_DEP_2)
	v_add_co_ci_u32_e32 v7, vcc_lo, s17, v8, vcc_lo
	v_add_co_u32 v4, vcc_lo, v6, v4
	s_delay_alu instid0(VALU_DEP_2)
	v_add_co_ci_u32_e32 v5, vcc_lo, v7, v5, vcc_lo
	v_fma_f64 v[0:1], s[6:7], v[15:16], -v[0:1]
	v_fma_f64 v[2:3], s[8:9], v[15:16], v[2:3]
	global_store_b128 v[4:5], v[0:3], off
.LBB1668_11:
	s_nop 0
	s_sendmsg sendmsg(MSG_DEALLOC_VGPRS)
	s_endpgm
	.section	.rodata,"a",@progbits
	.p2align	6, 0x0
	.amdhsa_kernel _ZL32rocblas_syrkx_herkx_small_kernelIl19rocblas_complex_numIdELi16ELb1ELb0ELc67ELc76EKPKS1_KPS1_EviT_T0_PT6_S7_lSA_S7_lS8_PT7_S7_li
		.amdhsa_group_segment_fixed_size 8192
		.amdhsa_private_segment_fixed_size 0
		.amdhsa_kernarg_size 124
		.amdhsa_user_sgpr_count 13
		.amdhsa_user_sgpr_dispatch_ptr 0
		.amdhsa_user_sgpr_queue_ptr 0
		.amdhsa_user_sgpr_kernarg_segment_ptr 1
		.amdhsa_user_sgpr_dispatch_id 0
		.amdhsa_user_sgpr_private_segment_size 0
		.amdhsa_wavefront_size32 1
		.amdhsa_uses_dynamic_stack 0
		.amdhsa_enable_private_segment 0
		.amdhsa_system_sgpr_workgroup_id_x 1
		.amdhsa_system_sgpr_workgroup_id_y 1
		.amdhsa_system_sgpr_workgroup_id_z 1
		.amdhsa_system_sgpr_workgroup_info 0
		.amdhsa_system_vgpr_workitem_id 1
		.amdhsa_next_free_vgpr 53
		.amdhsa_next_free_sgpr 24
		.amdhsa_reserve_vcc 1
		.amdhsa_float_round_mode_32 0
		.amdhsa_float_round_mode_16_64 0
		.amdhsa_float_denorm_mode_32 3
		.amdhsa_float_denorm_mode_16_64 3
		.amdhsa_dx10_clamp 1
		.amdhsa_ieee_mode 1
		.amdhsa_fp16_overflow 0
		.amdhsa_workgroup_processor_mode 1
		.amdhsa_memory_ordered 1
		.amdhsa_forward_progress 0
		.amdhsa_shared_vgpr_count 0
		.amdhsa_exception_fp_ieee_invalid_op 0
		.amdhsa_exception_fp_denorm_src 0
		.amdhsa_exception_fp_ieee_div_zero 0
		.amdhsa_exception_fp_ieee_overflow 0
		.amdhsa_exception_fp_ieee_underflow 0
		.amdhsa_exception_fp_ieee_inexact 0
		.amdhsa_exception_int_div_zero 0
	.end_amdhsa_kernel
	.section	.text._ZL32rocblas_syrkx_herkx_small_kernelIl19rocblas_complex_numIdELi16ELb1ELb0ELc67ELc76EKPKS1_KPS1_EviT_T0_PT6_S7_lSA_S7_lS8_PT7_S7_li,"axG",@progbits,_ZL32rocblas_syrkx_herkx_small_kernelIl19rocblas_complex_numIdELi16ELb1ELb0ELc67ELc76EKPKS1_KPS1_EviT_T0_PT6_S7_lSA_S7_lS8_PT7_S7_li,comdat
.Lfunc_end1668:
	.size	_ZL32rocblas_syrkx_herkx_small_kernelIl19rocblas_complex_numIdELi16ELb1ELb0ELc67ELc76EKPKS1_KPS1_EviT_T0_PT6_S7_lSA_S7_lS8_PT7_S7_li, .Lfunc_end1668-_ZL32rocblas_syrkx_herkx_small_kernelIl19rocblas_complex_numIdELi16ELb1ELb0ELc67ELc76EKPKS1_KPS1_EviT_T0_PT6_S7_lSA_S7_lS8_PT7_S7_li
                                        ; -- End function
	.section	.AMDGPU.csdata,"",@progbits
; Kernel info:
; codeLenInByte = 2004
; NumSgprs: 26
; NumVgprs: 53
; ScratchSize: 0
; MemoryBound: 1
; FloatMode: 240
; IeeeMode: 1
; LDSByteSize: 8192 bytes/workgroup (compile time only)
; SGPRBlocks: 3
; VGPRBlocks: 6
; NumSGPRsForWavesPerEU: 26
; NumVGPRsForWavesPerEU: 53
; Occupancy: 16
; WaveLimiterHint : 1
; COMPUTE_PGM_RSRC2:SCRATCH_EN: 0
; COMPUTE_PGM_RSRC2:USER_SGPR: 13
; COMPUTE_PGM_RSRC2:TRAP_HANDLER: 0
; COMPUTE_PGM_RSRC2:TGID_X_EN: 1
; COMPUTE_PGM_RSRC2:TGID_Y_EN: 1
; COMPUTE_PGM_RSRC2:TGID_Z_EN: 1
; COMPUTE_PGM_RSRC2:TIDIG_COMP_CNT: 1
	.section	.text._ZL32rocblas_syrkx_herkx_small_kernelIl19rocblas_complex_numIdELi16ELb1ELb0ELc78ELc76EKPKS1_KPS1_EviT_T0_PT6_S7_lSA_S7_lS8_PT7_S7_li,"axG",@progbits,_ZL32rocblas_syrkx_herkx_small_kernelIl19rocblas_complex_numIdELi16ELb1ELb0ELc78ELc76EKPKS1_KPS1_EviT_T0_PT6_S7_lSA_S7_lS8_PT7_S7_li,comdat
	.globl	_ZL32rocblas_syrkx_herkx_small_kernelIl19rocblas_complex_numIdELi16ELb1ELb0ELc78ELc76EKPKS1_KPS1_EviT_T0_PT6_S7_lSA_S7_lS8_PT7_S7_li ; -- Begin function _ZL32rocblas_syrkx_herkx_small_kernelIl19rocblas_complex_numIdELi16ELb1ELb0ELc78ELc76EKPKS1_KPS1_EviT_T0_PT6_S7_lSA_S7_lS8_PT7_S7_li
	.p2align	8
	.type	_ZL32rocblas_syrkx_herkx_small_kernelIl19rocblas_complex_numIdELi16ELb1ELb0ELc78ELc76EKPKS1_KPS1_EviT_T0_PT6_S7_lSA_S7_lS8_PT7_S7_li,@function
_ZL32rocblas_syrkx_herkx_small_kernelIl19rocblas_complex_numIdELi16ELb1ELb0ELc78ELc76EKPKS1_KPS1_EviT_T0_PT6_S7_lSA_S7_lS8_PT7_S7_li: ; @_ZL32rocblas_syrkx_herkx_small_kernelIl19rocblas_complex_numIdELi16ELb1ELb0ELc78ELc76EKPKS1_KPS1_EviT_T0_PT6_S7_lSA_S7_lS8_PT7_S7_li
; %bb.0:
	s_clause 0x2
	s_load_b128 s[16:19], s[0:1], 0x60
	s_load_b256 s[4:11], s[0:1], 0x8
	s_load_b32 s3, s[0:1], 0x0
	s_mov_b32 s20, s15
	s_mov_b32 s21, 0
	v_and_b32_e32 v17, 0x3ff, v0
	s_lshl_b64 s[22:23], s[20:21], 3
	v_bfe_u32 v18, v0, 10, 10
	v_mov_b32_e32 v13, 0
	v_mov_b32_e32 v14, 0
	v_lshl_add_u32 v5, s13, 4, v17
	s_delay_alu instid0(VALU_DEP_4) | instskip(NEXT) | instid1(VALU_DEP_3)
	v_lshl_add_u32 v7, s14, 4, v18
	v_dual_mov_b32 v16, v14 :: v_dual_mov_b32 v15, v13
	s_delay_alu instid0(VALU_DEP_3) | instskip(NEXT) | instid1(VALU_DEP_3)
	v_ashrrev_i32_e32 v6, 31, v5
	v_ashrrev_i32_e32 v8, 31, v7
	s_waitcnt lgkmcnt(0)
	s_add_u32 s16, s16, s22
	s_addc_u32 s17, s17, s23
	s_load_b64 s[20:21], s[0:1], 0x28
	s_load_b64 s[16:17], s[16:17], 0x0
	v_cmp_lt_i64_e64 s2, s[4:5], 1
	s_delay_alu instid0(VALU_DEP_1)
	s_and_b32 vcc_lo, exec_lo, s2
	v_cmp_gt_i32_e64 s2, s3, v5
	s_cbranch_vccnz .LBB1669_9
; %bb.1:
	s_load_b128 s[12:15], s[0:1], 0x38
	s_waitcnt lgkmcnt(0)
	v_mad_u64_u32 v[3:4], null, s20, v18, 0
	v_dual_mov_b32 v0, 0 :: v_dual_lshlrev_b32 v23, 8, v18
	v_lshlrev_b32_e32 v19, 4, v17
	v_lshlrev_b64 v[9:10], 4, v[7:8]
	v_lshlrev_b64 v[11:12], 4, v[5:6]
	v_cmp_gt_i32_e64 s0, s3, v7
	v_mad_u64_u32 v[21:22], null, s21, v18, v[4:5]
	v_mad_u64_u32 v[1:2], null, s14, v17, 0
	s_add_u32 s12, s12, s22
	s_addc_u32 s13, s13, s23
	s_add_u32 s10, s10, s22
	s_load_b64 s[12:13], s[12:13], 0x0
	s_addc_u32 s11, s11, s23
	s_xor_b32 s1, s2, -1
	s_delay_alu instid0(VALU_DEP_1)
	v_mad_u64_u32 v[15:16], null, s15, v17, v[2:3]
	v_mov_b32_e32 v13, 0
	s_load_b64 s[22:23], s[10:11], 0x0
	v_mov_b32_e32 v14, 0
	v_dual_mov_b32 v4, v21 :: v_dual_add_nc_u32 v21, v19, v23
	v_add_nc_u32_e32 v20, 0x1000, v23
	v_mov_b32_e32 v2, v15
	s_delay_alu instid0(VALU_DEP_4) | instskip(NEXT) | instid1(VALU_DEP_4)
	v_dual_mov_b32 v16, v14 :: v_dual_mov_b32 v15, v13
	v_lshlrev_b64 v[3:4], 4, v[3:4]
	s_delay_alu instid0(VALU_DEP_4) | instskip(NEXT) | instid1(VALU_DEP_4)
	v_add_nc_u32_e32 v22, v20, v19
	v_lshlrev_b64 v[1:2], 4, v[1:2]
	s_lshl_b64 s[10:11], s[14:15], 8
	s_mov_b64 s[14:15], 0
	s_delay_alu instid0(VALU_DEP_1) | instskip(NEXT) | instid1(VALU_DEP_2)
	v_add_co_u32 v1, vcc_lo, v1, v9
	v_add_co_ci_u32_e32 v2, vcc_lo, v2, v10, vcc_lo
	v_add_co_u32 v3, vcc_lo, v3, v11
	v_add_co_ci_u32_e32 v4, vcc_lo, v4, v12, vcc_lo
	s_waitcnt lgkmcnt(0)
	v_add_co_u32 v1, vcc_lo, v1, s12
	v_add_co_ci_u32_e32 v2, vcc_lo, s13, v2, vcc_lo
	v_add_co_u32 v9, vcc_lo, s22, v3
	v_add_co_ci_u32_e32 v10, vcc_lo, s23, v4, vcc_lo
	s_delay_alu instid0(VALU_DEP_4) | instskip(NEXT) | instid1(VALU_DEP_4)
	v_add_co_u32 v11, vcc_lo, v1, 8
	v_add_co_ci_u32_e32 v12, vcc_lo, 0, v2, vcc_lo
	s_lshl_b64 s[12:13], s[20:21], 8
	s_branch .LBB1669_3
.LBB1669_2:                             ;   in Loop: Header=BB1669_3 Depth=1
	s_or_b32 exec_lo, exec_lo, s2
	s_waitcnt vmcnt(0)
	ds_store_b128 v22, v[1:4]
	s_waitcnt lgkmcnt(0)
	s_barrier
	buffer_gl0_inv
	ds_load_b128 v[1:4], v19
	ds_load_b128 v[23:26], v20
	ds_load_b128 v[27:30], v20 offset:16
	ds_load_b128 v[31:34], v19 offset:256
	s_add_u32 s14, s14, 16
	s_addc_u32 s15, s15, 0
	v_add_co_u32 v11, vcc_lo, v11, s10
	v_cmp_ge_i64_e64 s2, s[14:15], s[4:5]
	v_add_co_ci_u32_e32 v12, vcc_lo, s11, v12, vcc_lo
	v_add_co_u32 v9, vcc_lo, v9, s12
	v_add_co_ci_u32_e32 v10, vcc_lo, s13, v10, vcc_lo
	s_delay_alu instid0(VALU_DEP_4)
	s_and_b32 vcc_lo, exec_lo, s2
	s_waitcnt lgkmcnt(2)
	v_mul_f64 v[35:36], v[25:26], v[3:4]
	v_mul_f64 v[3:4], v[23:24], v[3:4]
	s_waitcnt lgkmcnt(0)
	v_mul_f64 v[41:42], v[29:30], v[33:34]
	v_mul_f64 v[43:44], v[27:28], v[33:34]
	s_delay_alu instid0(VALU_DEP_4) | instskip(NEXT) | instid1(VALU_DEP_4)
	v_fma_f64 v[45:46], v[23:24], v[1:2], -v[35:36]
	v_fma_f64 v[47:48], v[25:26], v[1:2], v[3:4]
	ds_load_b128 v[1:4], v19 offset:512
	ds_load_b128 v[23:26], v20 offset:32
	ds_load_b128 v[33:36], v20 offset:48
	ds_load_b128 v[37:40], v19 offset:768
	v_fma_f64 v[27:28], v[27:28], v[31:32], -v[41:42]
	v_fma_f64 v[29:30], v[29:30], v[31:32], v[43:44]
	s_waitcnt lgkmcnt(2)
	v_mul_f64 v[49:50], v[25:26], v[3:4]
	v_mul_f64 v[3:4], v[23:24], v[3:4]
	s_waitcnt lgkmcnt(0)
	v_mul_f64 v[31:32], v[35:36], v[39:40]
	v_mul_f64 v[39:40], v[33:34], v[39:40]
	v_add_f64 v[15:16], v[15:16], v[45:46]
	v_add_f64 v[13:14], v[13:14], v[47:48]
	v_fma_f64 v[41:42], v[23:24], v[1:2], -v[49:50]
	v_fma_f64 v[43:44], v[25:26], v[1:2], v[3:4]
	v_fma_f64 v[31:32], v[33:34], v[37:38], -v[31:32]
	v_fma_f64 v[33:34], v[35:36], v[37:38], v[39:40]
	v_add_f64 v[45:46], v[15:16], v[27:28]
	v_add_f64 v[47:48], v[13:14], v[29:30]
	ds_load_b128 v[1:4], v19 offset:1024
	ds_load_b128 v[13:16], v20 offset:64
	;; [unrolled: 1-line block ×4, first 2 shown]
	s_waitcnt lgkmcnt(2)
	v_mul_f64 v[49:50], v[15:16], v[3:4]
	v_mul_f64 v[3:4], v[13:14], v[3:4]
	s_waitcnt lgkmcnt(0)
	v_mul_f64 v[39:40], v[25:26], v[29:30]
	v_add_f64 v[35:36], v[45:46], v[41:42]
	v_add_f64 v[37:38], v[47:48], v[43:44]
	v_mul_f64 v[41:42], v[23:24], v[29:30]
	v_fma_f64 v[43:44], v[13:14], v[1:2], -v[49:50]
	v_fma_f64 v[45:46], v[15:16], v[1:2], v[3:4]
	v_fma_f64 v[23:24], v[23:24], v[27:28], -v[39:40]
	v_add_f64 v[47:48], v[35:36], v[31:32]
	v_add_f64 v[37:38], v[37:38], v[33:34]
	ds_load_b128 v[1:4], v19 offset:1536
	ds_load_b128 v[13:16], v20 offset:96
	;; [unrolled: 1-line block ×4, first 2 shown]
	v_fma_f64 v[25:26], v[25:26], v[27:28], v[41:42]
	s_waitcnt lgkmcnt(2)
	v_mul_f64 v[49:50], v[15:16], v[3:4]
	v_mul_f64 v[3:4], v[13:14], v[3:4]
	s_waitcnt lgkmcnt(0)
	v_mul_f64 v[39:40], v[31:32], v[35:36]
	v_mul_f64 v[41:42], v[29:30], v[35:36]
	v_add_f64 v[27:28], v[47:48], v[43:44]
	v_add_f64 v[37:38], v[37:38], v[45:46]
	v_fma_f64 v[43:44], v[13:14], v[1:2], -v[49:50]
	v_fma_f64 v[45:46], v[15:16], v[1:2], v[3:4]
	v_fma_f64 v[29:30], v[29:30], v[33:34], -v[39:40]
	v_fma_f64 v[31:32], v[31:32], v[33:34], v[41:42]
	v_add_f64 v[27:28], v[27:28], v[23:24]
	v_add_f64 v[47:48], v[37:38], v[25:26]
	ds_load_b128 v[1:4], v19 offset:2048
	ds_load_b128 v[13:16], v20 offset:128
	;; [unrolled: 1-line block ×4, first 2 shown]
	s_waitcnt lgkmcnt(2)
	v_mul_f64 v[49:50], v[15:16], v[3:4]
	v_mul_f64 v[3:4], v[13:14], v[3:4]
	s_waitcnt lgkmcnt(0)
	v_mul_f64 v[39:40], v[25:26], v[37:38]
	v_mul_f64 v[37:38], v[23:24], v[37:38]
	v_add_f64 v[27:28], v[27:28], v[43:44]
	v_add_f64 v[33:34], v[47:48], v[45:46]
	v_fma_f64 v[41:42], v[13:14], v[1:2], -v[49:50]
	v_fma_f64 v[43:44], v[15:16], v[1:2], v[3:4]
	v_fma_f64 v[23:24], v[23:24], v[35:36], -v[39:40]
	v_fma_f64 v[25:26], v[25:26], v[35:36], v[37:38]
	v_add_f64 v[45:46], v[27:28], v[29:30]
	v_add_f64 v[47:48], v[33:34], v[31:32]
	ds_load_b128 v[1:4], v19 offset:2560
	ds_load_b128 v[13:16], v20 offset:160
	;; [unrolled: 1-line block ×4, first 2 shown]
	s_waitcnt lgkmcnt(2)
	v_mul_f64 v[49:50], v[15:16], v[3:4]
	v_mul_f64 v[3:4], v[13:14], v[3:4]
	s_waitcnt lgkmcnt(0)
	v_mul_f64 v[39:40], v[29:30], v[33:34]
	v_add_f64 v[35:36], v[45:46], v[41:42]
	v_add_f64 v[37:38], v[47:48], v[43:44]
	v_mul_f64 v[41:42], v[27:28], v[33:34]
	v_fma_f64 v[43:44], v[13:14], v[1:2], -v[49:50]
	v_fma_f64 v[45:46], v[15:16], v[1:2], v[3:4]
	v_fma_f64 v[27:28], v[27:28], v[31:32], -v[39:40]
	v_add_f64 v[47:48], v[35:36], v[23:24]
	v_add_f64 v[37:38], v[37:38], v[25:26]
	ds_load_b128 v[1:4], v19 offset:3072
	ds_load_b128 v[13:16], v20 offset:192
	;; [unrolled: 1-line block ×4, first 2 shown]
	v_fma_f64 v[29:30], v[29:30], v[31:32], v[41:42]
	s_waitcnt lgkmcnt(2)
	v_mul_f64 v[49:50], v[15:16], v[3:4]
	v_mul_f64 v[3:4], v[13:14], v[3:4]
	s_waitcnt lgkmcnt(0)
	v_mul_f64 v[39:40], v[25:26], v[35:36]
	v_mul_f64 v[41:42], v[23:24], v[35:36]
	v_add_f64 v[31:32], v[47:48], v[43:44]
	v_add_f64 v[37:38], v[37:38], v[45:46]
	v_fma_f64 v[43:44], v[13:14], v[1:2], -v[49:50]
	v_fma_f64 v[45:46], v[15:16], v[1:2], v[3:4]
	v_fma_f64 v[23:24], v[23:24], v[33:34], -v[39:40]
	v_fma_f64 v[25:26], v[25:26], v[33:34], v[41:42]
	v_add_f64 v[31:32], v[31:32], v[27:28]
	v_add_f64 v[47:48], v[37:38], v[29:30]
	ds_load_b128 v[1:4], v19 offset:3584
	ds_load_b128 v[13:16], v20 offset:224
	;; [unrolled: 1-line block ×4, first 2 shown]
	s_waitcnt lgkmcnt(0)
	s_barrier
	buffer_gl0_inv
	v_mul_f64 v[49:50], v[15:16], v[3:4]
	v_mul_f64 v[3:4], v[13:14], v[3:4]
	;; [unrolled: 1-line block ×4, first 2 shown]
	v_add_f64 v[31:32], v[31:32], v[43:44]
	v_add_f64 v[33:34], v[47:48], v[45:46]
	v_fma_f64 v[13:14], v[13:14], v[1:2], -v[49:50]
	v_fma_f64 v[1:2], v[15:16], v[1:2], v[3:4]
	s_delay_alu instid0(VALU_DEP_4) | instskip(NEXT) | instid1(VALU_DEP_4)
	v_add_f64 v[3:4], v[31:32], v[23:24]
	v_add_f64 v[15:16], v[33:34], v[25:26]
	v_fma_f64 v[23:24], v[27:28], v[35:36], -v[39:40]
	v_fma_f64 v[25:26], v[29:30], v[35:36], v[37:38]
	s_delay_alu instid0(VALU_DEP_4) | instskip(NEXT) | instid1(VALU_DEP_4)
	v_add_f64 v[3:4], v[3:4], v[13:14]
	v_add_f64 v[1:2], v[15:16], v[1:2]
	s_delay_alu instid0(VALU_DEP_2) | instskip(NEXT) | instid1(VALU_DEP_2)
	v_add_f64 v[15:16], v[3:4], v[23:24]
	v_add_f64 v[13:14], v[1:2], v[25:26]
	s_cbranch_vccnz .LBB1669_9
.LBB1669_3:                             ; =>This Inner Loop Header: Depth=1
	v_add_co_u32 v1, s2, v18, s14
	s_delay_alu instid0(VALU_DEP_1) | instskip(NEXT) | instid1(VALU_DEP_1)
	v_add_co_ci_u32_e64 v2, null, 0, s15, s2
	v_cmp_le_i64_e32 vcc_lo, s[4:5], v[1:2]
	s_or_b32 s2, s1, vcc_lo
	s_delay_alu instid0(SALU_CYCLE_1) | instskip(NEXT) | instid1(SALU_CYCLE_1)
	s_and_saveexec_b32 s20, s2
	s_xor_b32 s2, exec_lo, s20
	s_cbranch_execz .LBB1669_5
; %bb.4:                                ;   in Loop: Header=BB1669_3 Depth=1
	v_mov_b32_e32 v1, v0
	v_mov_b32_e32 v2, v0
	;; [unrolled: 1-line block ×3, first 2 shown]
	ds_store_b128 v21, v[0:3]
.LBB1669_5:                             ;   in Loop: Header=BB1669_3 Depth=1
	s_and_not1_saveexec_b32 s2, s2
	s_cbranch_execz .LBB1669_7
; %bb.6:                                ;   in Loop: Header=BB1669_3 Depth=1
	global_load_b128 v[1:4], v[9:10], off
	s_waitcnt vmcnt(0)
	ds_store_2addr_b64 v21, v[1:2], v[3:4] offset1:1
.LBB1669_7:                             ;   in Loop: Header=BB1669_3 Depth=1
	s_or_b32 exec_lo, exec_lo, s2
	v_add_co_u32 v3, s2, v17, s14
	s_delay_alu instid0(VALU_DEP_1) | instskip(SKIP_2) | instid1(VALU_DEP_3)
	v_add_co_ci_u32_e64 v4, null, 0, s15, s2
	v_mov_b32_e32 v1, 0
	v_mov_b32_e32 v2, 0
	v_cmp_gt_i64_e32 vcc_lo, s[4:5], v[3:4]
	s_delay_alu instid0(VALU_DEP_2) | instskip(SKIP_1) | instid1(SALU_CYCLE_1)
	v_dual_mov_b32 v4, v2 :: v_dual_mov_b32 v3, v1
	s_and_b32 s20, s0, vcc_lo
	s_and_saveexec_b32 s2, s20
	s_cbranch_execz .LBB1669_2
; %bb.8:                                ;   in Loop: Header=BB1669_3 Depth=1
	global_load_b128 v[1:4], v[11:12], off offset:-8
	s_branch .LBB1669_2
.LBB1669_9:
	v_cmp_le_i32_e32 vcc_lo, v7, v5
	v_cmp_gt_i32_e64 s0, s3, v5
	s_delay_alu instid0(VALU_DEP_1) | instskip(NEXT) | instid1(SALU_CYCLE_1)
	s_and_b32 s0, vcc_lo, s0
	s_and_saveexec_b32 s1, s0
	s_cbranch_execz .LBB1669_11
; %bb.10:
	s_delay_alu instid0(VALU_DEP_3) | instskip(SKIP_4) | instid1(VALU_DEP_1)
	v_mul_f64 v[0:1], s[8:9], v[13:14]
	v_mul_f64 v[2:3], s[6:7], v[13:14]
	v_mul_lo_u32 v4, v7, s19
	v_mul_lo_u32 v10, v8, s18
	v_mad_u64_u32 v[8:9], null, v7, s18, 0
	v_add3_u32 v9, v9, v4, v10
	v_lshlrev_b64 v[4:5], 4, v[5:6]
	s_delay_alu instid0(VALU_DEP_2) | instskip(SKIP_1) | instid1(VALU_DEP_1)
	v_lshlrev_b64 v[7:8], 4, v[8:9]
	s_waitcnt lgkmcnt(0)
	v_add_co_u32 v6, vcc_lo, s16, v7
	s_delay_alu instid0(VALU_DEP_2) | instskip(NEXT) | instid1(VALU_DEP_2)
	v_add_co_ci_u32_e32 v7, vcc_lo, s17, v8, vcc_lo
	v_add_co_u32 v4, vcc_lo, v6, v4
	s_delay_alu instid0(VALU_DEP_2)
	v_add_co_ci_u32_e32 v5, vcc_lo, v7, v5, vcc_lo
	v_fma_f64 v[0:1], s[6:7], v[15:16], -v[0:1]
	v_fma_f64 v[2:3], s[8:9], v[15:16], v[2:3]
	global_store_b128 v[4:5], v[0:3], off
.LBB1669_11:
	s_nop 0
	s_sendmsg sendmsg(MSG_DEALLOC_VGPRS)
	s_endpgm
	.section	.rodata,"a",@progbits
	.p2align	6, 0x0
	.amdhsa_kernel _ZL32rocblas_syrkx_herkx_small_kernelIl19rocblas_complex_numIdELi16ELb1ELb0ELc78ELc76EKPKS1_KPS1_EviT_T0_PT6_S7_lSA_S7_lS8_PT7_S7_li
		.amdhsa_group_segment_fixed_size 8192
		.amdhsa_private_segment_fixed_size 0
		.amdhsa_kernarg_size 124
		.amdhsa_user_sgpr_count 13
		.amdhsa_user_sgpr_dispatch_ptr 0
		.amdhsa_user_sgpr_queue_ptr 0
		.amdhsa_user_sgpr_kernarg_segment_ptr 1
		.amdhsa_user_sgpr_dispatch_id 0
		.amdhsa_user_sgpr_private_segment_size 0
		.amdhsa_wavefront_size32 1
		.amdhsa_uses_dynamic_stack 0
		.amdhsa_enable_private_segment 0
		.amdhsa_system_sgpr_workgroup_id_x 1
		.amdhsa_system_sgpr_workgroup_id_y 1
		.amdhsa_system_sgpr_workgroup_id_z 1
		.amdhsa_system_sgpr_workgroup_info 0
		.amdhsa_system_vgpr_workitem_id 1
		.amdhsa_next_free_vgpr 51
		.amdhsa_next_free_sgpr 24
		.amdhsa_reserve_vcc 1
		.amdhsa_float_round_mode_32 0
		.amdhsa_float_round_mode_16_64 0
		.amdhsa_float_denorm_mode_32 3
		.amdhsa_float_denorm_mode_16_64 3
		.amdhsa_dx10_clamp 1
		.amdhsa_ieee_mode 1
		.amdhsa_fp16_overflow 0
		.amdhsa_workgroup_processor_mode 1
		.amdhsa_memory_ordered 1
		.amdhsa_forward_progress 0
		.amdhsa_shared_vgpr_count 0
		.amdhsa_exception_fp_ieee_invalid_op 0
		.amdhsa_exception_fp_denorm_src 0
		.amdhsa_exception_fp_ieee_div_zero 0
		.amdhsa_exception_fp_ieee_overflow 0
		.amdhsa_exception_fp_ieee_underflow 0
		.amdhsa_exception_fp_ieee_inexact 0
		.amdhsa_exception_int_div_zero 0
	.end_amdhsa_kernel
	.section	.text._ZL32rocblas_syrkx_herkx_small_kernelIl19rocblas_complex_numIdELi16ELb1ELb0ELc78ELc76EKPKS1_KPS1_EviT_T0_PT6_S7_lSA_S7_lS8_PT7_S7_li,"axG",@progbits,_ZL32rocblas_syrkx_herkx_small_kernelIl19rocblas_complex_numIdELi16ELb1ELb0ELc78ELc76EKPKS1_KPS1_EviT_T0_PT6_S7_lSA_S7_lS8_PT7_S7_li,comdat
.Lfunc_end1669:
	.size	_ZL32rocblas_syrkx_herkx_small_kernelIl19rocblas_complex_numIdELi16ELb1ELb0ELc78ELc76EKPKS1_KPS1_EviT_T0_PT6_S7_lSA_S7_lS8_PT7_S7_li, .Lfunc_end1669-_ZL32rocblas_syrkx_herkx_small_kernelIl19rocblas_complex_numIdELi16ELb1ELb0ELc78ELc76EKPKS1_KPS1_EviT_T0_PT6_S7_lSA_S7_lS8_PT7_S7_li
                                        ; -- End function
	.section	.AMDGPU.csdata,"",@progbits
; Kernel info:
; codeLenInByte = 1964
; NumSgprs: 26
; NumVgprs: 51
; ScratchSize: 0
; MemoryBound: 1
; FloatMode: 240
; IeeeMode: 1
; LDSByteSize: 8192 bytes/workgroup (compile time only)
; SGPRBlocks: 3
; VGPRBlocks: 6
; NumSGPRsForWavesPerEU: 26
; NumVGPRsForWavesPerEU: 51
; Occupancy: 16
; WaveLimiterHint : 1
; COMPUTE_PGM_RSRC2:SCRATCH_EN: 0
; COMPUTE_PGM_RSRC2:USER_SGPR: 13
; COMPUTE_PGM_RSRC2:TRAP_HANDLER: 0
; COMPUTE_PGM_RSRC2:TGID_X_EN: 1
; COMPUTE_PGM_RSRC2:TGID_Y_EN: 1
; COMPUTE_PGM_RSRC2:TGID_Z_EN: 1
; COMPUTE_PGM_RSRC2:TIDIG_COMP_CNT: 1
	.section	.text._ZL32rocblas_syrkx_herkx_small_kernelIl19rocblas_complex_numIdELi16ELb1ELb0ELc84ELc85EKPKS1_KPS1_EviT_T0_PT6_S7_lSA_S7_lS8_PT7_S7_li,"axG",@progbits,_ZL32rocblas_syrkx_herkx_small_kernelIl19rocblas_complex_numIdELi16ELb1ELb0ELc84ELc85EKPKS1_KPS1_EviT_T0_PT6_S7_lSA_S7_lS8_PT7_S7_li,comdat
	.globl	_ZL32rocblas_syrkx_herkx_small_kernelIl19rocblas_complex_numIdELi16ELb1ELb0ELc84ELc85EKPKS1_KPS1_EviT_T0_PT6_S7_lSA_S7_lS8_PT7_S7_li ; -- Begin function _ZL32rocblas_syrkx_herkx_small_kernelIl19rocblas_complex_numIdELi16ELb1ELb0ELc84ELc85EKPKS1_KPS1_EviT_T0_PT6_S7_lSA_S7_lS8_PT7_S7_li
	.p2align	8
	.type	_ZL32rocblas_syrkx_herkx_small_kernelIl19rocblas_complex_numIdELi16ELb1ELb0ELc84ELc85EKPKS1_KPS1_EviT_T0_PT6_S7_lSA_S7_lS8_PT7_S7_li,@function
_ZL32rocblas_syrkx_herkx_small_kernelIl19rocblas_complex_numIdELi16ELb1ELb0ELc84ELc85EKPKS1_KPS1_EviT_T0_PT6_S7_lSA_S7_lS8_PT7_S7_li: ; @_ZL32rocblas_syrkx_herkx_small_kernelIl19rocblas_complex_numIdELi16ELb1ELb0ELc84ELc85EKPKS1_KPS1_EviT_T0_PT6_S7_lSA_S7_lS8_PT7_S7_li
; %bb.0:
	s_clause 0x2
	s_load_b128 s[16:19], s[0:1], 0x60
	s_load_b256 s[4:11], s[0:1], 0x8
	s_load_b32 s3, s[0:1], 0x0
	s_mov_b32 s20, s15
	s_mov_b32 s21, 0
	v_and_b32_e32 v16, 0x3ff, v0
	s_lshl_b64 s[20:21], s[20:21], 3
	v_bfe_u32 v17, v0, 10, 10
	v_mov_b32_e32 v10, 0
	v_mov_b32_e32 v11, 0
	v_lshl_add_u32 v4, s13, 4, v16
	s_delay_alu instid0(VALU_DEP_4) | instskip(NEXT) | instid1(VALU_DEP_3)
	v_lshl_add_u32 v14, s14, 4, v17
	v_dual_mov_b32 v13, v11 :: v_dual_mov_b32 v12, v10
	s_delay_alu instid0(VALU_DEP_3) | instskip(NEXT) | instid1(VALU_DEP_3)
	v_ashrrev_i32_e32 v5, 31, v4
	v_ashrrev_i32_e32 v15, 31, v14
	s_waitcnt lgkmcnt(0)
	s_add_u32 s16, s16, s20
	s_addc_u32 s17, s17, s21
	s_load_b64 s[22:23], s[0:1], 0x28
	s_load_b64 s[16:17], s[16:17], 0x0
	v_cmp_lt_i64_e64 s2, s[4:5], 1
	s_delay_alu instid0(VALU_DEP_1)
	s_and_b32 vcc_lo, exec_lo, s2
	v_cmp_gt_i32_e64 s2, s3, v14
	s_cbranch_vccnz .LBB1670_11
; %bb.1:
	s_load_b128 s[12:15], s[0:1], 0x38
	s_waitcnt lgkmcnt(0)
	v_mul_lo_u32 v8, s23, v4
	v_mul_lo_u32 v9, s22, v5
	v_mad_u64_u32 v[6:7], null, s22, v4, 0
	v_dual_mov_b32 v0, 0 :: v_dual_lshlrev_b32 v3, 8, v17
	v_lshlrev_b32_e32 v18, 4, v16
	v_lshlrev_b32_e32 v12, 4, v17
	v_cmp_gt_i32_e32 vcc_lo, s3, v4
	v_add3_u32 v7, v7, v9, v8
	v_add_nc_u32_e32 v19, 0x1000, v3
	s_delay_alu instid0(VALU_DEP_2)
	v_lshlrev_b64 v[6:7], 4, v[6:7]
	v_mul_lo_u32 v10, s15, v14
	v_mul_lo_u32 v11, s14, v15
	v_mad_u64_u32 v[1:2], null, s14, v14, 0
	s_add_u32 s0, s12, s20
	s_addc_u32 s1, s13, s21
	s_add_u32 s10, s10, s20
	s_load_b64 s[12:13], s[0:1], 0x0
	s_addc_u32 s11, s11, s21
	s_xor_b32 s2, s2, -1
	s_delay_alu instid0(VALU_DEP_1) | instskip(SKIP_3) | instid1(VALU_DEP_3)
	v_add3_u32 v2, v2, v11, v10
	v_mov_b32_e32 v10, 0
	s_load_b64 s[10:11], s[10:11], 0x0
	v_dual_mov_b32 v11, 0 :: v_dual_add_nc_u32 v20, v18, v3
	v_lshlrev_b64 v[1:2], 4, v[1:2]
	v_add_nc_u32_e32 v21, v19, v18
	s_delay_alu instid0(VALU_DEP_2) | instskip(NEXT) | instid1(VALU_DEP_1)
	v_add_co_u32 v1, s0, v1, v18
	v_add_co_ci_u32_e64 v2, s0, 0, v2, s0
	v_add_co_u32 v3, s0, v6, v12
	s_delay_alu instid0(VALU_DEP_1) | instskip(SKIP_2) | instid1(VALU_DEP_1)
	v_add_co_ci_u32_e64 v9, s0, 0, v7, s0
	s_waitcnt lgkmcnt(0)
	v_add_co_u32 v6, s0, s12, v1
	v_add_co_ci_u32_e64 v7, s0, s13, v2, s0
	v_add_co_u32 v8, s0, s10, v3
	v_dual_mov_b32 v13, v11 :: v_dual_mov_b32 v12, v10
	v_add_co_ci_u32_e64 v9, s0, s11, v9, s0
	s_mov_b64 s[0:1], 0
	s_xor_b32 s10, vcc_lo, -1
	s_branch .LBB1670_3
.LBB1670_2:                             ;   in Loop: Header=BB1670_3 Depth=1
	s_or_b32 exec_lo, exec_lo, s11
	s_waitcnt lgkmcnt(0)
	s_barrier
	buffer_gl0_inv
	ds_load_b128 v[22:25], v18
	ds_load_b128 v[26:29], v19
	ds_load_b128 v[30:33], v19 offset:16
	ds_load_b128 v[34:37], v18 offset:256
	s_add_u32 s0, s0, 16
	s_addc_u32 s1, s1, 0
	v_add_co_u32 v6, vcc_lo, 0x100, v6
	v_cmp_ge_i64_e64 s11, s[0:1], s[4:5]
	v_add_co_ci_u32_e32 v7, vcc_lo, 0, v7, vcc_lo
	v_add_co_u32 v8, vcc_lo, 0x100, v8
	v_add_co_ci_u32_e32 v9, vcc_lo, 0, v9, vcc_lo
	s_delay_alu instid0(VALU_DEP_4)
	s_and_b32 vcc_lo, exec_lo, s11
	s_waitcnt lgkmcnt(2)
	v_mul_f64 v[1:2], v[28:29], v[24:25]
	v_mul_f64 v[24:25], v[26:27], v[24:25]
	s_waitcnt lgkmcnt(0)
	v_mul_f64 v[44:45], v[32:33], v[36:37]
	v_mul_f64 v[46:47], v[30:31], v[36:37]
	s_delay_alu instid0(VALU_DEP_4) | instskip(NEXT) | instid1(VALU_DEP_4)
	v_fma_f64 v[1:2], v[26:27], v[22:23], -v[1:2]
	v_fma_f64 v[48:49], v[28:29], v[22:23], v[24:25]
	ds_load_b128 v[22:25], v18 offset:512
	ds_load_b128 v[26:29], v19 offset:32
	;; [unrolled: 1-line block ×4, first 2 shown]
	v_fma_f64 v[30:31], v[30:31], v[34:35], -v[44:45]
	v_fma_f64 v[32:33], v[32:33], v[34:35], v[46:47]
	s_waitcnt lgkmcnt(2)
	v_mul_f64 v[50:51], v[28:29], v[24:25]
	v_mul_f64 v[24:25], v[26:27], v[24:25]
	s_waitcnt lgkmcnt(0)
	v_mul_f64 v[34:35], v[38:39], v[42:43]
	v_mul_f64 v[42:43], v[36:37], v[42:43]
	v_add_f64 v[1:2], v[12:13], v[1:2]
	v_add_f64 v[10:11], v[10:11], v[48:49]
	v_fma_f64 v[44:45], v[26:27], v[22:23], -v[50:51]
	v_fma_f64 v[46:47], v[28:29], v[22:23], v[24:25]
	v_fma_f64 v[34:35], v[36:37], v[40:41], -v[34:35]
	v_fma_f64 v[36:37], v[38:39], v[40:41], v[42:43]
	v_add_f64 v[1:2], v[1:2], v[30:31]
	v_add_f64 v[48:49], v[10:11], v[32:33]
	ds_load_b128 v[10:13], v18 offset:1024
	ds_load_b128 v[22:25], v19 offset:64
	;; [unrolled: 1-line block ×4, first 2 shown]
	s_waitcnt lgkmcnt(2)
	v_mul_f64 v[50:51], v[24:25], v[12:13]
	v_mul_f64 v[12:13], v[22:23], v[12:13]
	s_waitcnt lgkmcnt(0)
	v_mul_f64 v[40:41], v[28:29], v[32:33]
	v_mul_f64 v[42:43], v[26:27], v[32:33]
	v_add_f64 v[1:2], v[1:2], v[44:45]
	v_add_f64 v[38:39], v[48:49], v[46:47]
	v_fma_f64 v[44:45], v[22:23], v[10:11], -v[50:51]
	v_fma_f64 v[46:47], v[24:25], v[10:11], v[12:13]
	v_fma_f64 v[26:27], v[26:27], v[30:31], -v[40:41]
	v_fma_f64 v[28:29], v[28:29], v[30:31], v[42:43]
	v_add_f64 v[1:2], v[1:2], v[34:35]
	v_add_f64 v[48:49], v[38:39], v[36:37]
	ds_load_b128 v[10:13], v18 offset:1536
	ds_load_b128 v[22:25], v19 offset:96
	;; [unrolled: 1-line block ×4, first 2 shown]
	s_waitcnt lgkmcnt(2)
	v_mul_f64 v[50:51], v[24:25], v[12:13]
	v_mul_f64 v[12:13], v[22:23], v[12:13]
	s_waitcnt lgkmcnt(0)
	v_mul_f64 v[42:43], v[34:35], v[38:39]
	v_add_f64 v[1:2], v[1:2], v[44:45]
	v_add_f64 v[30:31], v[48:49], v[46:47]
	v_mul_f64 v[44:45], v[32:33], v[38:39]
	v_fma_f64 v[46:47], v[22:23], v[10:11], -v[50:51]
	v_fma_f64 v[48:49], v[24:25], v[10:11], v[12:13]
	v_fma_f64 v[32:33], v[32:33], v[36:37], -v[42:43]
	v_add_f64 v[1:2], v[1:2], v[26:27]
	v_add_f64 v[30:31], v[30:31], v[28:29]
	ds_load_b128 v[10:13], v18 offset:2048
	ds_load_b128 v[22:25], v19 offset:128
	;; [unrolled: 1-line block ×4, first 2 shown]
	v_fma_f64 v[34:35], v[34:35], v[36:37], v[44:45]
	s_waitcnt lgkmcnt(2)
	v_mul_f64 v[50:51], v[24:25], v[12:13]
	v_mul_f64 v[12:13], v[22:23], v[12:13]
	s_waitcnt lgkmcnt(0)
	v_mul_f64 v[42:43], v[28:29], v[40:41]
	v_mul_f64 v[40:41], v[26:27], v[40:41]
	v_add_f64 v[1:2], v[1:2], v[46:47]
	v_add_f64 v[30:31], v[30:31], v[48:49]
	v_fma_f64 v[44:45], v[22:23], v[10:11], -v[50:51]
	v_fma_f64 v[46:47], v[24:25], v[10:11], v[12:13]
	v_fma_f64 v[26:27], v[26:27], v[38:39], -v[42:43]
	v_fma_f64 v[28:29], v[28:29], v[38:39], v[40:41]
	v_add_f64 v[1:2], v[1:2], v[32:33]
	v_add_f64 v[48:49], v[30:31], v[34:35]
	ds_load_b128 v[10:13], v18 offset:2560
	ds_load_b128 v[22:25], v19 offset:160
	;; [unrolled: 1-line block ×4, first 2 shown]
	s_waitcnt lgkmcnt(2)
	v_mul_f64 v[50:51], v[24:25], v[12:13]
	v_mul_f64 v[12:13], v[22:23], v[12:13]
	s_waitcnt lgkmcnt(0)
	v_mul_f64 v[40:41], v[32:33], v[36:37]
	v_mul_f64 v[42:43], v[30:31], v[36:37]
	v_add_f64 v[1:2], v[1:2], v[44:45]
	v_add_f64 v[38:39], v[48:49], v[46:47]
	v_fma_f64 v[44:45], v[22:23], v[10:11], -v[50:51]
	v_fma_f64 v[46:47], v[24:25], v[10:11], v[12:13]
	v_fma_f64 v[30:31], v[30:31], v[34:35], -v[40:41]
	v_fma_f64 v[32:33], v[32:33], v[34:35], v[42:43]
	v_add_f64 v[1:2], v[1:2], v[26:27]
	v_add_f64 v[48:49], v[38:39], v[28:29]
	ds_load_b128 v[10:13], v18 offset:3072
	ds_load_b128 v[22:25], v19 offset:192
	;; [unrolled: 1-line block ×4, first 2 shown]
	s_waitcnt lgkmcnt(2)
	v_mul_f64 v[50:51], v[24:25], v[12:13]
	v_mul_f64 v[12:13], v[22:23], v[12:13]
	s_waitcnt lgkmcnt(0)
	v_mul_f64 v[42:43], v[28:29], v[38:39]
	v_add_f64 v[1:2], v[1:2], v[44:45]
	v_add_f64 v[34:35], v[48:49], v[46:47]
	v_mul_f64 v[44:45], v[26:27], v[38:39]
	v_fma_f64 v[46:47], v[22:23], v[10:11], -v[50:51]
	v_fma_f64 v[48:49], v[24:25], v[10:11], v[12:13]
	v_fma_f64 v[26:27], v[26:27], v[36:37], -v[42:43]
	v_add_f64 v[1:2], v[1:2], v[30:31]
	v_add_f64 v[34:35], v[34:35], v[32:33]
	ds_load_b128 v[10:13], v18 offset:3584
	ds_load_b128 v[22:25], v19 offset:224
	;; [unrolled: 1-line block ×4, first 2 shown]
	v_fma_f64 v[28:29], v[28:29], v[36:37], v[44:45]
	s_waitcnt lgkmcnt(0)
	s_barrier
	buffer_gl0_inv
	v_mul_f64 v[50:51], v[24:25], v[12:13]
	v_mul_f64 v[12:13], v[22:23], v[12:13]
	v_mul_f64 v[36:37], v[32:33], v[40:41]
	v_mul_f64 v[40:41], v[30:31], v[40:41]
	v_add_f64 v[1:2], v[1:2], v[46:47]
	v_add_f64 v[34:35], v[34:35], v[48:49]
	v_fma_f64 v[22:23], v[22:23], v[10:11], -v[50:51]
	v_fma_f64 v[10:11], v[24:25], v[10:11], v[12:13]
	v_fma_f64 v[24:25], v[30:31], v[38:39], -v[36:37]
	v_add_f64 v[1:2], v[1:2], v[26:27]
	v_add_f64 v[12:13], v[34:35], v[28:29]
	v_fma_f64 v[26:27], v[32:33], v[38:39], v[40:41]
	s_delay_alu instid0(VALU_DEP_3) | instskip(NEXT) | instid1(VALU_DEP_3)
	v_add_f64 v[1:2], v[1:2], v[22:23]
	v_add_f64 v[10:11], v[12:13], v[10:11]
	s_delay_alu instid0(VALU_DEP_2) | instskip(NEXT) | instid1(VALU_DEP_2)
	v_add_f64 v[12:13], v[1:2], v[24:25]
	v_add_f64 v[10:11], v[10:11], v[26:27]
	s_cbranch_vccnz .LBB1670_11
.LBB1670_3:                             ; =>This Inner Loop Header: Depth=1
	v_add_co_u32 v1, s11, v17, s0
	s_delay_alu instid0(VALU_DEP_1) | instskip(NEXT) | instid1(VALU_DEP_1)
	v_add_co_ci_u32_e64 v2, null, 0, s1, s11
	v_cmp_le_i64_e32 vcc_lo, s[4:5], v[1:2]
	s_or_b32 s11, s10, vcc_lo
	s_delay_alu instid0(SALU_CYCLE_1) | instskip(NEXT) | instid1(SALU_CYCLE_1)
	s_and_saveexec_b32 s12, s11
	s_xor_b32 s11, exec_lo, s12
	s_cbranch_execz .LBB1670_5
; %bb.4:                                ;   in Loop: Header=BB1670_3 Depth=1
	v_mov_b32_e32 v1, v0
	v_mov_b32_e32 v2, v0
	v_mov_b32_e32 v3, v0
	ds_store_b128 v20, v[0:3]
.LBB1670_5:                             ;   in Loop: Header=BB1670_3 Depth=1
	s_and_not1_saveexec_b32 s11, s11
	s_cbranch_execz .LBB1670_7
; %bb.6:                                ;   in Loop: Header=BB1670_3 Depth=1
	global_load_b128 v[22:25], v[8:9], off
	s_waitcnt vmcnt(0)
	ds_store_2addr_b64 v20, v[22:23], v[24:25] offset1:1
.LBB1670_7:                             ;   in Loop: Header=BB1670_3 Depth=1
	s_or_b32 exec_lo, exec_lo, s11
	v_add_co_u32 v1, s11, v16, s0
	s_delay_alu instid0(VALU_DEP_1) | instskip(NEXT) | instid1(VALU_DEP_1)
	v_add_co_ci_u32_e64 v2, null, 0, s1, s11
	v_cmp_le_i64_e32 vcc_lo, s[4:5], v[1:2]
	s_or_b32 s11, s2, vcc_lo
	s_delay_alu instid0(SALU_CYCLE_1) | instskip(NEXT) | instid1(SALU_CYCLE_1)
	s_and_saveexec_b32 s12, s11
	s_xor_b32 s11, exec_lo, s12
	s_cbranch_execz .LBB1670_9
; %bb.8:                                ;   in Loop: Header=BB1670_3 Depth=1
	v_mov_b32_e32 v1, v0
	v_mov_b32_e32 v2, v0
	;; [unrolled: 1-line block ×3, first 2 shown]
	ds_store_b128 v21, v[0:3]
.LBB1670_9:                             ;   in Loop: Header=BB1670_3 Depth=1
	s_and_not1_saveexec_b32 s11, s11
	s_cbranch_execz .LBB1670_2
; %bb.10:                               ;   in Loop: Header=BB1670_3 Depth=1
	global_load_b128 v[22:25], v[6:7], off
	s_waitcnt vmcnt(0)
	ds_store_2addr_b64 v21, v[22:23], v[24:25] offset1:1
	s_branch .LBB1670_2
.LBB1670_11:
	v_cmp_le_i32_e32 vcc_lo, v4, v14
	v_cmp_gt_i32_e64 s0, s3, v14
	s_delay_alu instid0(VALU_DEP_1) | instskip(NEXT) | instid1(SALU_CYCLE_1)
	s_and_b32 s0, vcc_lo, s0
	s_and_saveexec_b32 s1, s0
	s_cbranch_execz .LBB1670_13
; %bb.12:
	s_delay_alu instid0(VALU_DEP_3)
	v_mul_f64 v[0:1], s[8:9], v[10:11]
	v_mul_f64 v[2:3], s[6:7], v[10:11]
	v_mul_lo_u32 v8, v14, s19
	v_mul_lo_u32 v9, v15, s18
	v_mad_u64_u32 v[6:7], null, v14, s18, 0
	v_lshlrev_b64 v[4:5], 4, v[4:5]
	s_delay_alu instid0(VALU_DEP_2) | instskip(NEXT) | instid1(VALU_DEP_1)
	v_add3_u32 v7, v7, v8, v9
	v_lshlrev_b64 v[6:7], 4, v[6:7]
	s_waitcnt lgkmcnt(0)
	s_delay_alu instid0(VALU_DEP_1) | instskip(NEXT) | instid1(VALU_DEP_2)
	v_add_co_u32 v6, vcc_lo, s16, v6
	v_add_co_ci_u32_e32 v7, vcc_lo, s17, v7, vcc_lo
	s_delay_alu instid0(VALU_DEP_2) | instskip(NEXT) | instid1(VALU_DEP_2)
	v_add_co_u32 v4, vcc_lo, v6, v4
	v_add_co_ci_u32_e32 v5, vcc_lo, v7, v5, vcc_lo
	v_fma_f64 v[0:1], s[6:7], v[12:13], -v[0:1]
	v_fma_f64 v[2:3], s[8:9], v[12:13], v[2:3]
	global_store_b128 v[4:5], v[0:3], off
.LBB1670_13:
	s_nop 0
	s_sendmsg sendmsg(MSG_DEALLOC_VGPRS)
	s_endpgm
	.section	.rodata,"a",@progbits
	.p2align	6, 0x0
	.amdhsa_kernel _ZL32rocblas_syrkx_herkx_small_kernelIl19rocblas_complex_numIdELi16ELb1ELb0ELc84ELc85EKPKS1_KPS1_EviT_T0_PT6_S7_lSA_S7_lS8_PT7_S7_li
		.amdhsa_group_segment_fixed_size 8192
		.amdhsa_private_segment_fixed_size 0
		.amdhsa_kernarg_size 124
		.amdhsa_user_sgpr_count 13
		.amdhsa_user_sgpr_dispatch_ptr 0
		.amdhsa_user_sgpr_queue_ptr 0
		.amdhsa_user_sgpr_kernarg_segment_ptr 1
		.amdhsa_user_sgpr_dispatch_id 0
		.amdhsa_user_sgpr_private_segment_size 0
		.amdhsa_wavefront_size32 1
		.amdhsa_uses_dynamic_stack 0
		.amdhsa_enable_private_segment 0
		.amdhsa_system_sgpr_workgroup_id_x 1
		.amdhsa_system_sgpr_workgroup_id_y 1
		.amdhsa_system_sgpr_workgroup_id_z 1
		.amdhsa_system_sgpr_workgroup_info 0
		.amdhsa_system_vgpr_workitem_id 1
		.amdhsa_next_free_vgpr 52
		.amdhsa_next_free_sgpr 24
		.amdhsa_reserve_vcc 1
		.amdhsa_float_round_mode_32 0
		.amdhsa_float_round_mode_16_64 0
		.amdhsa_float_denorm_mode_32 3
		.amdhsa_float_denorm_mode_16_64 3
		.amdhsa_dx10_clamp 1
		.amdhsa_ieee_mode 1
		.amdhsa_fp16_overflow 0
		.amdhsa_workgroup_processor_mode 1
		.amdhsa_memory_ordered 1
		.amdhsa_forward_progress 0
		.amdhsa_shared_vgpr_count 0
		.amdhsa_exception_fp_ieee_invalid_op 0
		.amdhsa_exception_fp_denorm_src 0
		.amdhsa_exception_fp_ieee_div_zero 0
		.amdhsa_exception_fp_ieee_overflow 0
		.amdhsa_exception_fp_ieee_underflow 0
		.amdhsa_exception_fp_ieee_inexact 0
		.amdhsa_exception_int_div_zero 0
	.end_amdhsa_kernel
	.section	.text._ZL32rocblas_syrkx_herkx_small_kernelIl19rocblas_complex_numIdELi16ELb1ELb0ELc84ELc85EKPKS1_KPS1_EviT_T0_PT6_S7_lSA_S7_lS8_PT7_S7_li,"axG",@progbits,_ZL32rocblas_syrkx_herkx_small_kernelIl19rocblas_complex_numIdELi16ELb1ELb0ELc84ELc85EKPKS1_KPS1_EviT_T0_PT6_S7_lSA_S7_lS8_PT7_S7_li,comdat
.Lfunc_end1670:
	.size	_ZL32rocblas_syrkx_herkx_small_kernelIl19rocblas_complex_numIdELi16ELb1ELb0ELc84ELc85EKPKS1_KPS1_EviT_T0_PT6_S7_lSA_S7_lS8_PT7_S7_li, .Lfunc_end1670-_ZL32rocblas_syrkx_herkx_small_kernelIl19rocblas_complex_numIdELi16ELb1ELb0ELc84ELc85EKPKS1_KPS1_EviT_T0_PT6_S7_lSA_S7_lS8_PT7_S7_li
                                        ; -- End function
	.section	.AMDGPU.csdata,"",@progbits
; Kernel info:
; codeLenInByte = 1988
; NumSgprs: 26
; NumVgprs: 52
; ScratchSize: 0
; MemoryBound: 0
; FloatMode: 240
; IeeeMode: 1
; LDSByteSize: 8192 bytes/workgroup (compile time only)
; SGPRBlocks: 3
; VGPRBlocks: 6
; NumSGPRsForWavesPerEU: 26
; NumVGPRsForWavesPerEU: 52
; Occupancy: 16
; WaveLimiterHint : 1
; COMPUTE_PGM_RSRC2:SCRATCH_EN: 0
; COMPUTE_PGM_RSRC2:USER_SGPR: 13
; COMPUTE_PGM_RSRC2:TRAP_HANDLER: 0
; COMPUTE_PGM_RSRC2:TGID_X_EN: 1
; COMPUTE_PGM_RSRC2:TGID_Y_EN: 1
; COMPUTE_PGM_RSRC2:TGID_Z_EN: 1
; COMPUTE_PGM_RSRC2:TIDIG_COMP_CNT: 1
	.section	.text._ZL32rocblas_syrkx_herkx_small_kernelIl19rocblas_complex_numIdELi16ELb1ELb0ELc67ELc85EKPKS1_KPS1_EviT_T0_PT6_S7_lSA_S7_lS8_PT7_S7_li,"axG",@progbits,_ZL32rocblas_syrkx_herkx_small_kernelIl19rocblas_complex_numIdELi16ELb1ELb0ELc67ELc85EKPKS1_KPS1_EviT_T0_PT6_S7_lSA_S7_lS8_PT7_S7_li,comdat
	.globl	_ZL32rocblas_syrkx_herkx_small_kernelIl19rocblas_complex_numIdELi16ELb1ELb0ELc67ELc85EKPKS1_KPS1_EviT_T0_PT6_S7_lSA_S7_lS8_PT7_S7_li ; -- Begin function _ZL32rocblas_syrkx_herkx_small_kernelIl19rocblas_complex_numIdELi16ELb1ELb0ELc67ELc85EKPKS1_KPS1_EviT_T0_PT6_S7_lSA_S7_lS8_PT7_S7_li
	.p2align	8
	.type	_ZL32rocblas_syrkx_herkx_small_kernelIl19rocblas_complex_numIdELi16ELb1ELb0ELc67ELc85EKPKS1_KPS1_EviT_T0_PT6_S7_lSA_S7_lS8_PT7_S7_li,@function
_ZL32rocblas_syrkx_herkx_small_kernelIl19rocblas_complex_numIdELi16ELb1ELb0ELc67ELc85EKPKS1_KPS1_EviT_T0_PT6_S7_lSA_S7_lS8_PT7_S7_li: ; @_ZL32rocblas_syrkx_herkx_small_kernelIl19rocblas_complex_numIdELi16ELb1ELb0ELc67ELc85EKPKS1_KPS1_EviT_T0_PT6_S7_lSA_S7_lS8_PT7_S7_li
; %bb.0:
	s_clause 0x2
	s_load_b128 s[16:19], s[0:1], 0x60
	s_load_b256 s[4:11], s[0:1], 0x8
	s_load_b32 s3, s[0:1], 0x0
	s_mov_b32 s20, s15
	s_mov_b32 s21, 0
	v_and_b32_e32 v19, 0x3ff, v0
	s_lshl_b64 s[20:21], s[20:21], 3
	v_bfe_u32 v20, v0, 10, 10
	v_mov_b32_e32 v13, 0
	v_mov_b32_e32 v14, 0
	v_lshl_add_u32 v5, s13, 4, v19
	s_delay_alu instid0(VALU_DEP_4) | instskip(NEXT) | instid1(VALU_DEP_3)
	v_lshl_add_u32 v17, s14, 4, v20
	v_dual_mov_b32 v16, v14 :: v_dual_mov_b32 v15, v13
	s_delay_alu instid0(VALU_DEP_3) | instskip(NEXT) | instid1(VALU_DEP_3)
	v_ashrrev_i32_e32 v6, 31, v5
	v_ashrrev_i32_e32 v18, 31, v17
	s_waitcnt lgkmcnt(0)
	s_add_u32 s16, s16, s20
	s_addc_u32 s17, s17, s21
	s_load_b64 s[22:23], s[0:1], 0x28
	s_load_b64 s[16:17], s[16:17], 0x0
	v_cmp_lt_i64_e64 s2, s[4:5], 1
	s_delay_alu instid0(VALU_DEP_1)
	s_and_b32 vcc_lo, exec_lo, s2
	v_cmp_gt_i32_e64 s2, s3, v17
	s_cbranch_vccnz .LBB1671_9
; %bb.1:
	s_load_b128 s[12:15], s[0:1], 0x38
	s_waitcnt lgkmcnt(0)
	v_mul_lo_u32 v7, s23, v5
	v_mul_lo_u32 v8, s22, v6
	v_mad_u64_u32 v[1:2], null, s22, v5, 0
	v_lshlrev_b32_e32 v12, 4, v20
	v_dual_mov_b32 v0, 0 :: v_dual_lshlrev_b32 v21, 4, v19
	v_lshlrev_b32_e32 v9, 8, v20
	v_cmp_gt_i32_e64 s0, s3, v5
	v_add3_u32 v2, v2, v8, v7
	v_mov_b32_e32 v7, 0
	v_mov_b32_e32 v8, 0
	v_add_nc_u32_e32 v22, 0x1000, v9
	v_add_nc_u32_e32 v23, v21, v9
	v_lshlrev_b64 v[1:2], 4, v[1:2]
	s_delay_alu instid0(VALU_DEP_4)
	v_mov_b32_e32 v14, v8
	v_mov_b32_e32 v16, v8
	s_add_u32 s12, s12, s20
	s_addc_u32 s13, s13, s21
	s_add_u32 s10, s10, s20
	v_mul_lo_u32 v10, s15, v17
	v_mul_lo_u32 v11, s14, v18
	v_mad_u64_u32 v[3:4], null, s14, v17, 0
	s_addc_u32 s11, s11, s21
	s_load_b64 s[12:13], s[12:13], 0x0
	s_load_b64 s[10:11], s[10:11], 0x0
	v_add_co_u32 v1, vcc_lo, v1, v12
	v_add_co_ci_u32_e32 v2, vcc_lo, 0, v2, vcc_lo
	s_delay_alu instid0(VALU_DEP_3) | instskip(SKIP_3) | instid1(VALU_DEP_3)
	v_add3_u32 v4, v4, v11, v10
	v_dual_mov_b32 v13, v7 :: v_dual_add_nc_u32 v24, v22, v21
	v_mov_b32_e32 v15, v7
	s_xor_b32 s1, s2, -1
	v_lshlrev_b64 v[3:4], 4, v[3:4]
	s_delay_alu instid0(VALU_DEP_1) | instskip(NEXT) | instid1(VALU_DEP_2)
	v_add_co_u32 v3, vcc_lo, v3, v21
	v_add_co_ci_u32_e32 v4, vcc_lo, 0, v4, vcc_lo
	s_waitcnt lgkmcnt(0)
	v_add_co_u32 v1, vcc_lo, v1, s10
	v_add_co_ci_u32_e32 v2, vcc_lo, s11, v2, vcc_lo
	v_add_co_u32 v9, vcc_lo, s12, v3
	v_add_co_ci_u32_e32 v10, vcc_lo, s13, v4, vcc_lo
	s_delay_alu instid0(VALU_DEP_4) | instskip(NEXT) | instid1(VALU_DEP_4)
	v_add_co_u32 v11, vcc_lo, v1, 8
	v_add_co_ci_u32_e32 v12, vcc_lo, 0, v2, vcc_lo
	s_mov_b64 s[10:11], 0
	s_branch .LBB1671_3
.LBB1671_2:                             ;   in Loop: Header=BB1671_3 Depth=1
	s_or_b32 exec_lo, exec_lo, s2
	s_waitcnt lgkmcnt(0)
	s_barrier
	buffer_gl0_inv
	ds_load_b128 v[1:4], v21
	ds_load_b128 v[25:28], v22
	ds_load_b128 v[29:32], v22 offset:16
	ds_load_b128 v[33:36], v21 offset:256
	s_add_u32 s10, s10, 16
	s_addc_u32 s11, s11, 0
	v_add_co_u32 v9, vcc_lo, 0x100, v9
	v_cmp_ge_i64_e64 s2, s[10:11], s[4:5]
	v_add_co_ci_u32_e32 v10, vcc_lo, 0, v10, vcc_lo
	v_add_co_u32 v11, vcc_lo, 0x100, v11
	v_add_co_ci_u32_e32 v12, vcc_lo, 0, v12, vcc_lo
	s_delay_alu instid0(VALU_DEP_4)
	s_and_b32 vcc_lo, exec_lo, s2
	s_waitcnt lgkmcnt(2)
	v_mul_f64 v[37:38], v[27:28], v[3:4]
	v_mul_f64 v[3:4], v[25:26], v[3:4]
	s_waitcnt lgkmcnt(0)
	v_mul_f64 v[43:44], v[31:32], v[35:36]
	v_mul_f64 v[45:46], v[29:30], v[35:36]
	s_delay_alu instid0(VALU_DEP_4) | instskip(NEXT) | instid1(VALU_DEP_4)
	v_fma_f64 v[47:48], v[25:26], v[1:2], -v[37:38]
	v_fma_f64 v[49:50], v[27:28], v[1:2], v[3:4]
	ds_load_b128 v[1:4], v21 offset:512
	ds_load_b128 v[25:28], v22 offset:32
	;; [unrolled: 1-line block ×4, first 2 shown]
	v_fma_f64 v[29:30], v[29:30], v[33:34], -v[43:44]
	v_fma_f64 v[31:32], v[31:32], v[33:34], v[45:46]
	s_waitcnt lgkmcnt(2)
	v_mul_f64 v[51:52], v[27:28], v[3:4]
	v_mul_f64 v[3:4], v[25:26], v[3:4]
	s_waitcnt lgkmcnt(0)
	v_mul_f64 v[33:34], v[37:38], v[41:42]
	v_mul_f64 v[41:42], v[35:36], v[41:42]
	v_add_f64 v[15:16], v[15:16], v[47:48]
	v_add_f64 v[13:14], v[13:14], v[49:50]
	v_fma_f64 v[43:44], v[25:26], v[1:2], -v[51:52]
	v_fma_f64 v[45:46], v[27:28], v[1:2], v[3:4]
	v_fma_f64 v[33:34], v[35:36], v[39:40], -v[33:34]
	v_fma_f64 v[35:36], v[37:38], v[39:40], v[41:42]
	v_add_f64 v[47:48], v[15:16], v[29:30]
	v_add_f64 v[49:50], v[13:14], v[31:32]
	ds_load_b128 v[1:4], v21 offset:1024
	ds_load_b128 v[13:16], v22 offset:64
	;; [unrolled: 1-line block ×4, first 2 shown]
	s_waitcnt lgkmcnt(2)
	v_mul_f64 v[51:52], v[15:16], v[3:4]
	v_mul_f64 v[3:4], v[13:14], v[3:4]
	s_waitcnt lgkmcnt(0)
	v_mul_f64 v[41:42], v[27:28], v[31:32]
	v_add_f64 v[37:38], v[47:48], v[43:44]
	v_add_f64 v[39:40], v[49:50], v[45:46]
	v_mul_f64 v[43:44], v[25:26], v[31:32]
	v_fma_f64 v[45:46], v[13:14], v[1:2], -v[51:52]
	v_fma_f64 v[47:48], v[15:16], v[1:2], v[3:4]
	v_fma_f64 v[25:26], v[25:26], v[29:30], -v[41:42]
	v_add_f64 v[49:50], v[37:38], v[33:34]
	v_add_f64 v[39:40], v[39:40], v[35:36]
	ds_load_b128 v[1:4], v21 offset:1536
	ds_load_b128 v[13:16], v22 offset:96
	;; [unrolled: 1-line block ×4, first 2 shown]
	v_fma_f64 v[27:28], v[27:28], v[29:30], v[43:44]
	s_waitcnt lgkmcnt(2)
	v_mul_f64 v[51:52], v[15:16], v[3:4]
	v_mul_f64 v[3:4], v[13:14], v[3:4]
	s_waitcnt lgkmcnt(0)
	v_mul_f64 v[41:42], v[33:34], v[37:38]
	v_mul_f64 v[43:44], v[31:32], v[37:38]
	v_add_f64 v[29:30], v[49:50], v[45:46]
	v_add_f64 v[39:40], v[39:40], v[47:48]
	v_fma_f64 v[45:46], v[13:14], v[1:2], -v[51:52]
	v_fma_f64 v[47:48], v[15:16], v[1:2], v[3:4]
	v_fma_f64 v[31:32], v[31:32], v[35:36], -v[41:42]
	v_fma_f64 v[33:34], v[33:34], v[35:36], v[43:44]
	v_add_f64 v[29:30], v[29:30], v[25:26]
	v_add_f64 v[49:50], v[39:40], v[27:28]
	ds_load_b128 v[1:4], v21 offset:2048
	ds_load_b128 v[13:16], v22 offset:128
	;; [unrolled: 1-line block ×4, first 2 shown]
	s_waitcnt lgkmcnt(2)
	v_mul_f64 v[51:52], v[15:16], v[3:4]
	v_mul_f64 v[3:4], v[13:14], v[3:4]
	s_waitcnt lgkmcnt(0)
	v_mul_f64 v[41:42], v[27:28], v[39:40]
	v_mul_f64 v[39:40], v[25:26], v[39:40]
	v_add_f64 v[29:30], v[29:30], v[45:46]
	v_add_f64 v[35:36], v[49:50], v[47:48]
	v_fma_f64 v[43:44], v[13:14], v[1:2], -v[51:52]
	v_fma_f64 v[45:46], v[15:16], v[1:2], v[3:4]
	v_fma_f64 v[25:26], v[25:26], v[37:38], -v[41:42]
	v_fma_f64 v[27:28], v[27:28], v[37:38], v[39:40]
	v_add_f64 v[47:48], v[29:30], v[31:32]
	v_add_f64 v[49:50], v[35:36], v[33:34]
	ds_load_b128 v[1:4], v21 offset:2560
	ds_load_b128 v[13:16], v22 offset:160
	;; [unrolled: 1-line block ×4, first 2 shown]
	s_waitcnt lgkmcnt(2)
	v_mul_f64 v[51:52], v[15:16], v[3:4]
	v_mul_f64 v[3:4], v[13:14], v[3:4]
	s_waitcnt lgkmcnt(0)
	v_mul_f64 v[41:42], v[31:32], v[35:36]
	v_add_f64 v[37:38], v[47:48], v[43:44]
	v_add_f64 v[39:40], v[49:50], v[45:46]
	v_mul_f64 v[43:44], v[29:30], v[35:36]
	v_fma_f64 v[45:46], v[13:14], v[1:2], -v[51:52]
	v_fma_f64 v[47:48], v[15:16], v[1:2], v[3:4]
	v_fma_f64 v[29:30], v[29:30], v[33:34], -v[41:42]
	v_add_f64 v[49:50], v[37:38], v[25:26]
	v_add_f64 v[39:40], v[39:40], v[27:28]
	ds_load_b128 v[1:4], v21 offset:3072
	ds_load_b128 v[13:16], v22 offset:192
	;; [unrolled: 1-line block ×4, first 2 shown]
	v_fma_f64 v[31:32], v[31:32], v[33:34], v[43:44]
	s_waitcnt lgkmcnt(2)
	v_mul_f64 v[51:52], v[15:16], v[3:4]
	v_mul_f64 v[3:4], v[13:14], v[3:4]
	s_waitcnt lgkmcnt(0)
	v_mul_f64 v[41:42], v[27:28], v[37:38]
	v_mul_f64 v[43:44], v[25:26], v[37:38]
	v_add_f64 v[33:34], v[49:50], v[45:46]
	v_add_f64 v[39:40], v[39:40], v[47:48]
	v_fma_f64 v[45:46], v[13:14], v[1:2], -v[51:52]
	v_fma_f64 v[47:48], v[15:16], v[1:2], v[3:4]
	v_fma_f64 v[25:26], v[25:26], v[35:36], -v[41:42]
	v_fma_f64 v[27:28], v[27:28], v[35:36], v[43:44]
	v_add_f64 v[33:34], v[33:34], v[29:30]
	v_add_f64 v[49:50], v[39:40], v[31:32]
	ds_load_b128 v[1:4], v21 offset:3584
	ds_load_b128 v[13:16], v22 offset:224
	;; [unrolled: 1-line block ×4, first 2 shown]
	s_waitcnt lgkmcnt(0)
	s_barrier
	buffer_gl0_inv
	v_mul_f64 v[51:52], v[15:16], v[3:4]
	v_mul_f64 v[3:4], v[13:14], v[3:4]
	;; [unrolled: 1-line block ×4, first 2 shown]
	v_add_f64 v[33:34], v[33:34], v[45:46]
	v_add_f64 v[35:36], v[49:50], v[47:48]
	v_fma_f64 v[13:14], v[13:14], v[1:2], -v[51:52]
	v_fma_f64 v[1:2], v[15:16], v[1:2], v[3:4]
	s_delay_alu instid0(VALU_DEP_4) | instskip(NEXT) | instid1(VALU_DEP_4)
	v_add_f64 v[3:4], v[33:34], v[25:26]
	v_add_f64 v[15:16], v[35:36], v[27:28]
	v_fma_f64 v[25:26], v[29:30], v[37:38], -v[41:42]
	v_fma_f64 v[27:28], v[31:32], v[37:38], v[39:40]
	s_delay_alu instid0(VALU_DEP_4) | instskip(NEXT) | instid1(VALU_DEP_4)
	v_add_f64 v[3:4], v[3:4], v[13:14]
	v_add_f64 v[1:2], v[15:16], v[1:2]
	s_delay_alu instid0(VALU_DEP_2) | instskip(NEXT) | instid1(VALU_DEP_2)
	v_add_f64 v[15:16], v[3:4], v[25:26]
	v_add_f64 v[13:14], v[1:2], v[27:28]
	s_cbranch_vccnz .LBB1671_9
.LBB1671_3:                             ; =>This Inner Loop Header: Depth=1
	v_add_co_u32 v1, s2, v20, s10
	s_delay_alu instid0(VALU_DEP_1) | instskip(SKIP_1) | instid1(VALU_DEP_2)
	v_add_co_ci_u32_e64 v2, null, 0, s11, s2
	v_dual_mov_b32 v3, v7 :: v_dual_mov_b32 v4, v8
	v_cmp_gt_i64_e32 vcc_lo, s[4:5], v[1:2]
	v_dual_mov_b32 v1, v7 :: v_dual_mov_b32 v2, v8
	s_and_b32 s12, s0, vcc_lo
	s_delay_alu instid0(SALU_CYCLE_1)
	s_and_saveexec_b32 s2, s12
	s_cbranch_execz .LBB1671_5
; %bb.4:                                ;   in Loop: Header=BB1671_3 Depth=1
	global_load_b128 v[1:4], v[11:12], off offset:-8
.LBB1671_5:                             ;   in Loop: Header=BB1671_3 Depth=1
	s_or_b32 exec_lo, exec_lo, s2
	v_add_co_u32 v25, s2, v19, s10
	s_delay_alu instid0(VALU_DEP_1) | instskip(SKIP_4) | instid1(SALU_CYCLE_1)
	v_add_co_ci_u32_e64 v26, null, 0, s11, s2
	s_waitcnt vmcnt(0)
	ds_store_b128 v23, v[1:4]
	v_cmp_le_i64_e32 vcc_lo, s[4:5], v[25:26]
	s_or_b32 s2, s1, vcc_lo
	s_and_saveexec_b32 s12, s2
	s_delay_alu instid0(SALU_CYCLE_1)
	s_xor_b32 s2, exec_lo, s12
	s_cbranch_execz .LBB1671_7
; %bb.6:                                ;   in Loop: Header=BB1671_3 Depth=1
	v_mov_b32_e32 v1, v0
	v_mov_b32_e32 v2, v0
	;; [unrolled: 1-line block ×3, first 2 shown]
	ds_store_b128 v24, v[0:3]
.LBB1671_7:                             ;   in Loop: Header=BB1671_3 Depth=1
	s_and_not1_saveexec_b32 s2, s2
	s_cbranch_execz .LBB1671_2
; %bb.8:                                ;   in Loop: Header=BB1671_3 Depth=1
	global_load_b128 v[1:4], v[9:10], off
	s_waitcnt vmcnt(0)
	ds_store_2addr_b64 v24, v[1:2], v[3:4] offset1:1
	s_branch .LBB1671_2
.LBB1671_9:
	v_cmp_le_i32_e32 vcc_lo, v5, v17
	v_cmp_gt_i32_e64 s0, s3, v17
	s_delay_alu instid0(VALU_DEP_1) | instskip(NEXT) | instid1(SALU_CYCLE_1)
	s_and_b32 s0, vcc_lo, s0
	s_and_saveexec_b32 s1, s0
	s_cbranch_execz .LBB1671_11
; %bb.10:
	s_delay_alu instid0(VALU_DEP_3) | instskip(SKIP_4) | instid1(VALU_DEP_1)
	v_mul_f64 v[0:1], s[8:9], v[13:14]
	v_mul_f64 v[2:3], s[6:7], v[13:14]
	v_mul_lo_u32 v4, v17, s19
	v_mul_lo_u32 v9, v18, s18
	v_mad_u64_u32 v[7:8], null, v17, s18, 0
	v_add3_u32 v8, v8, v4, v9
	v_lshlrev_b64 v[4:5], 4, v[5:6]
	s_delay_alu instid0(VALU_DEP_2) | instskip(SKIP_1) | instid1(VALU_DEP_1)
	v_lshlrev_b64 v[7:8], 4, v[7:8]
	s_waitcnt lgkmcnt(0)
	v_add_co_u32 v6, vcc_lo, s16, v7
	s_delay_alu instid0(VALU_DEP_2) | instskip(NEXT) | instid1(VALU_DEP_2)
	v_add_co_ci_u32_e32 v7, vcc_lo, s17, v8, vcc_lo
	v_add_co_u32 v4, vcc_lo, v6, v4
	s_delay_alu instid0(VALU_DEP_2)
	v_add_co_ci_u32_e32 v5, vcc_lo, v7, v5, vcc_lo
	v_fma_f64 v[0:1], s[6:7], v[15:16], -v[0:1]
	v_fma_f64 v[2:3], s[8:9], v[15:16], v[2:3]
	global_store_b128 v[4:5], v[0:3], off
.LBB1671_11:
	s_nop 0
	s_sendmsg sendmsg(MSG_DEALLOC_VGPRS)
	s_endpgm
	.section	.rodata,"a",@progbits
	.p2align	6, 0x0
	.amdhsa_kernel _ZL32rocblas_syrkx_herkx_small_kernelIl19rocblas_complex_numIdELi16ELb1ELb0ELc67ELc85EKPKS1_KPS1_EviT_T0_PT6_S7_lSA_S7_lS8_PT7_S7_li
		.amdhsa_group_segment_fixed_size 8192
		.amdhsa_private_segment_fixed_size 0
		.amdhsa_kernarg_size 124
		.amdhsa_user_sgpr_count 13
		.amdhsa_user_sgpr_dispatch_ptr 0
		.amdhsa_user_sgpr_queue_ptr 0
		.amdhsa_user_sgpr_kernarg_segment_ptr 1
		.amdhsa_user_sgpr_dispatch_id 0
		.amdhsa_user_sgpr_private_segment_size 0
		.amdhsa_wavefront_size32 1
		.amdhsa_uses_dynamic_stack 0
		.amdhsa_enable_private_segment 0
		.amdhsa_system_sgpr_workgroup_id_x 1
		.amdhsa_system_sgpr_workgroup_id_y 1
		.amdhsa_system_sgpr_workgroup_id_z 1
		.amdhsa_system_sgpr_workgroup_info 0
		.amdhsa_system_vgpr_workitem_id 1
		.amdhsa_next_free_vgpr 53
		.amdhsa_next_free_sgpr 24
		.amdhsa_reserve_vcc 1
		.amdhsa_float_round_mode_32 0
		.amdhsa_float_round_mode_16_64 0
		.amdhsa_float_denorm_mode_32 3
		.amdhsa_float_denorm_mode_16_64 3
		.amdhsa_dx10_clamp 1
		.amdhsa_ieee_mode 1
		.amdhsa_fp16_overflow 0
		.amdhsa_workgroup_processor_mode 1
		.amdhsa_memory_ordered 1
		.amdhsa_forward_progress 0
		.amdhsa_shared_vgpr_count 0
		.amdhsa_exception_fp_ieee_invalid_op 0
		.amdhsa_exception_fp_denorm_src 0
		.amdhsa_exception_fp_ieee_div_zero 0
		.amdhsa_exception_fp_ieee_overflow 0
		.amdhsa_exception_fp_ieee_underflow 0
		.amdhsa_exception_fp_ieee_inexact 0
		.amdhsa_exception_int_div_zero 0
	.end_amdhsa_kernel
	.section	.text._ZL32rocblas_syrkx_herkx_small_kernelIl19rocblas_complex_numIdELi16ELb1ELb0ELc67ELc85EKPKS1_KPS1_EviT_T0_PT6_S7_lSA_S7_lS8_PT7_S7_li,"axG",@progbits,_ZL32rocblas_syrkx_herkx_small_kernelIl19rocblas_complex_numIdELi16ELb1ELb0ELc67ELc85EKPKS1_KPS1_EviT_T0_PT6_S7_lSA_S7_lS8_PT7_S7_li,comdat
.Lfunc_end1671:
	.size	_ZL32rocblas_syrkx_herkx_small_kernelIl19rocblas_complex_numIdELi16ELb1ELb0ELc67ELc85EKPKS1_KPS1_EviT_T0_PT6_S7_lSA_S7_lS8_PT7_S7_li, .Lfunc_end1671-_ZL32rocblas_syrkx_herkx_small_kernelIl19rocblas_complex_numIdELi16ELb1ELb0ELc67ELc85EKPKS1_KPS1_EviT_T0_PT6_S7_lSA_S7_lS8_PT7_S7_li
                                        ; -- End function
	.section	.AMDGPU.csdata,"",@progbits
; Kernel info:
; codeLenInByte = 1980
; NumSgprs: 26
; NumVgprs: 53
; ScratchSize: 0
; MemoryBound: 1
; FloatMode: 240
; IeeeMode: 1
; LDSByteSize: 8192 bytes/workgroup (compile time only)
; SGPRBlocks: 3
; VGPRBlocks: 6
; NumSGPRsForWavesPerEU: 26
; NumVGPRsForWavesPerEU: 53
; Occupancy: 16
; WaveLimiterHint : 1
; COMPUTE_PGM_RSRC2:SCRATCH_EN: 0
; COMPUTE_PGM_RSRC2:USER_SGPR: 13
; COMPUTE_PGM_RSRC2:TRAP_HANDLER: 0
; COMPUTE_PGM_RSRC2:TGID_X_EN: 1
; COMPUTE_PGM_RSRC2:TGID_Y_EN: 1
; COMPUTE_PGM_RSRC2:TGID_Z_EN: 1
; COMPUTE_PGM_RSRC2:TIDIG_COMP_CNT: 1
	.section	.text._ZL32rocblas_syrkx_herkx_small_kernelIl19rocblas_complex_numIdELi16ELb1ELb0ELc78ELc85EKPKS1_KPS1_EviT_T0_PT6_S7_lSA_S7_lS8_PT7_S7_li,"axG",@progbits,_ZL32rocblas_syrkx_herkx_small_kernelIl19rocblas_complex_numIdELi16ELb1ELb0ELc78ELc85EKPKS1_KPS1_EviT_T0_PT6_S7_lSA_S7_lS8_PT7_S7_li,comdat
	.globl	_ZL32rocblas_syrkx_herkx_small_kernelIl19rocblas_complex_numIdELi16ELb1ELb0ELc78ELc85EKPKS1_KPS1_EviT_T0_PT6_S7_lSA_S7_lS8_PT7_S7_li ; -- Begin function _ZL32rocblas_syrkx_herkx_small_kernelIl19rocblas_complex_numIdELi16ELb1ELb0ELc78ELc85EKPKS1_KPS1_EviT_T0_PT6_S7_lSA_S7_lS8_PT7_S7_li
	.p2align	8
	.type	_ZL32rocblas_syrkx_herkx_small_kernelIl19rocblas_complex_numIdELi16ELb1ELb0ELc78ELc85EKPKS1_KPS1_EviT_T0_PT6_S7_lSA_S7_lS8_PT7_S7_li,@function
_ZL32rocblas_syrkx_herkx_small_kernelIl19rocblas_complex_numIdELi16ELb1ELb0ELc78ELc85EKPKS1_KPS1_EviT_T0_PT6_S7_lSA_S7_lS8_PT7_S7_li: ; @_ZL32rocblas_syrkx_herkx_small_kernelIl19rocblas_complex_numIdELi16ELb1ELb0ELc78ELc85EKPKS1_KPS1_EviT_T0_PT6_S7_lSA_S7_lS8_PT7_S7_li
; %bb.0:
	s_clause 0x2
	s_load_b128 s[16:19], s[0:1], 0x60
	s_load_b256 s[4:11], s[0:1], 0x8
	s_load_b32 s3, s[0:1], 0x0
	s_mov_b32 s20, s15
	s_mov_b32 s21, 0
	v_and_b32_e32 v17, 0x3ff, v0
	s_lshl_b64 s[22:23], s[20:21], 3
	v_bfe_u32 v18, v0, 10, 10
	v_mov_b32_e32 v13, 0
	v_mov_b32_e32 v14, 0
	v_lshl_add_u32 v5, s13, 4, v17
	s_delay_alu instid0(VALU_DEP_4) | instskip(NEXT) | instid1(VALU_DEP_3)
	v_lshl_add_u32 v7, s14, 4, v18
	v_dual_mov_b32 v16, v14 :: v_dual_mov_b32 v15, v13
	s_delay_alu instid0(VALU_DEP_3) | instskip(NEXT) | instid1(VALU_DEP_3)
	v_ashrrev_i32_e32 v6, 31, v5
	v_ashrrev_i32_e32 v8, 31, v7
	s_waitcnt lgkmcnt(0)
	s_add_u32 s16, s16, s22
	s_addc_u32 s17, s17, s23
	s_load_b64 s[20:21], s[0:1], 0x28
	s_load_b64 s[16:17], s[16:17], 0x0
	v_cmp_lt_i64_e64 s2, s[4:5], 1
	s_delay_alu instid0(VALU_DEP_1)
	s_and_b32 vcc_lo, exec_lo, s2
	v_cmp_gt_i32_e64 s2, s3, v7
	s_cbranch_vccnz .LBB1672_9
; %bb.1:
	s_load_b128 s[12:15], s[0:1], 0x38
	s_waitcnt lgkmcnt(0)
	v_mad_u64_u32 v[3:4], null, s20, v18, 0
	v_dual_mov_b32 v0, 0 :: v_dual_lshlrev_b32 v23, 8, v18
	v_lshlrev_b32_e32 v19, 4, v17
	v_lshlrev_b64 v[9:10], 4, v[7:8]
	v_lshlrev_b64 v[11:12], 4, v[5:6]
	v_cmp_gt_i32_e32 vcc_lo, s3, v5
	v_mad_u64_u32 v[21:22], null, s21, v18, v[4:5]
	v_mad_u64_u32 v[1:2], null, s14, v17, 0
	s_add_u32 s0, s12, s22
	s_addc_u32 s1, s13, s23
	s_add_u32 s10, s10, s22
	s_load_b64 s[12:13], s[0:1], 0x0
	s_addc_u32 s11, s11, s23
	s_load_b64 s[22:23], s[10:11], 0x0
	s_delay_alu instid0(VALU_DEP_1)
	v_mad_u64_u32 v[15:16], null, s15, v17, v[2:3]
	v_mov_b32_e32 v13, 0
	v_mov_b32_e32 v14, 0
	v_dual_mov_b32 v4, v21 :: v_dual_add_nc_u32 v21, v19, v23
	v_add_nc_u32_e32 v20, 0x1000, v23
	s_lshl_b64 s[10:11], s[14:15], 8
	v_mov_b32_e32 v2, v15
	s_delay_alu instid0(VALU_DEP_3) | instskip(SKIP_2) | instid1(VALU_DEP_4)
	v_lshlrev_b64 v[3:4], 4, v[3:4]
	v_dual_mov_b32 v16, v14 :: v_dual_mov_b32 v15, v13
	v_add_nc_u32_e32 v22, v20, v19
	v_lshlrev_b64 v[1:2], 4, v[1:2]
	s_xor_b32 s14, vcc_lo, -1
	s_delay_alu instid0(VALU_DEP_1) | instskip(NEXT) | instid1(VALU_DEP_1)
	v_add_co_u32 v1, s0, v1, v9
	v_add_co_ci_u32_e64 v2, s0, v2, v10, s0
	v_add_co_u32 v3, s0, v3, v11
	s_delay_alu instid0(VALU_DEP_1) | instskip(SKIP_2) | instid1(VALU_DEP_1)
	v_add_co_ci_u32_e64 v4, s0, v4, v12, s0
	s_waitcnt lgkmcnt(0)
	v_add_co_u32 v1, s0, v1, s12
	v_add_co_ci_u32_e64 v2, s0, s13, v2, s0
	v_add_co_u32 v9, s0, s22, v3
	s_delay_alu instid0(VALU_DEP_1) | instskip(NEXT) | instid1(VALU_DEP_4)
	v_add_co_ci_u32_e64 v10, s0, s23, v4, s0
	v_add_co_u32 v11, s0, v1, 8
	s_delay_alu instid0(VALU_DEP_1)
	v_add_co_ci_u32_e64 v12, s0, 0, v2, s0
	s_lshl_b64 s[0:1], s[20:21], 8
	s_mov_b64 s[12:13], 0
	s_branch .LBB1672_3
.LBB1672_2:                             ;   in Loop: Header=BB1672_3 Depth=1
	s_or_b32 exec_lo, exec_lo, s15
	s_waitcnt vmcnt(0)
	ds_store_b128 v22, v[1:4]
	s_waitcnt lgkmcnt(0)
	s_barrier
	buffer_gl0_inv
	ds_load_b128 v[1:4], v19
	ds_load_b128 v[23:26], v20
	ds_load_b128 v[27:30], v20 offset:16
	ds_load_b128 v[31:34], v19 offset:256
	s_add_u32 s12, s12, 16
	s_addc_u32 s13, s13, 0
	v_add_co_u32 v11, vcc_lo, v11, s10
	v_cmp_ge_i64_e64 s15, s[12:13], s[4:5]
	v_add_co_ci_u32_e32 v12, vcc_lo, s11, v12, vcc_lo
	v_add_co_u32 v9, vcc_lo, v9, s0
	v_add_co_ci_u32_e32 v10, vcc_lo, s1, v10, vcc_lo
	s_delay_alu instid0(VALU_DEP_4)
	s_and_b32 vcc_lo, exec_lo, s15
	s_waitcnt lgkmcnt(2)
	v_mul_f64 v[35:36], v[25:26], v[3:4]
	v_mul_f64 v[3:4], v[23:24], v[3:4]
	s_waitcnt lgkmcnt(0)
	v_mul_f64 v[41:42], v[29:30], v[33:34]
	v_mul_f64 v[43:44], v[27:28], v[33:34]
	s_delay_alu instid0(VALU_DEP_4) | instskip(NEXT) | instid1(VALU_DEP_4)
	v_fma_f64 v[45:46], v[23:24], v[1:2], -v[35:36]
	v_fma_f64 v[47:48], v[25:26], v[1:2], v[3:4]
	ds_load_b128 v[1:4], v19 offset:512
	ds_load_b128 v[23:26], v20 offset:32
	;; [unrolled: 1-line block ×4, first 2 shown]
	v_fma_f64 v[27:28], v[27:28], v[31:32], -v[41:42]
	v_fma_f64 v[29:30], v[29:30], v[31:32], v[43:44]
	s_waitcnt lgkmcnt(2)
	v_mul_f64 v[49:50], v[25:26], v[3:4]
	v_mul_f64 v[3:4], v[23:24], v[3:4]
	s_waitcnt lgkmcnt(0)
	v_mul_f64 v[31:32], v[35:36], v[39:40]
	v_mul_f64 v[39:40], v[33:34], v[39:40]
	v_add_f64 v[15:16], v[15:16], v[45:46]
	v_add_f64 v[13:14], v[13:14], v[47:48]
	v_fma_f64 v[41:42], v[23:24], v[1:2], -v[49:50]
	v_fma_f64 v[43:44], v[25:26], v[1:2], v[3:4]
	v_fma_f64 v[31:32], v[33:34], v[37:38], -v[31:32]
	v_fma_f64 v[33:34], v[35:36], v[37:38], v[39:40]
	v_add_f64 v[45:46], v[15:16], v[27:28]
	v_add_f64 v[47:48], v[13:14], v[29:30]
	ds_load_b128 v[1:4], v19 offset:1024
	ds_load_b128 v[13:16], v20 offset:64
	;; [unrolled: 1-line block ×4, first 2 shown]
	s_waitcnt lgkmcnt(2)
	v_mul_f64 v[49:50], v[15:16], v[3:4]
	v_mul_f64 v[3:4], v[13:14], v[3:4]
	s_waitcnt lgkmcnt(0)
	v_mul_f64 v[39:40], v[25:26], v[29:30]
	v_add_f64 v[35:36], v[45:46], v[41:42]
	v_add_f64 v[37:38], v[47:48], v[43:44]
	v_mul_f64 v[41:42], v[23:24], v[29:30]
	v_fma_f64 v[43:44], v[13:14], v[1:2], -v[49:50]
	v_fma_f64 v[45:46], v[15:16], v[1:2], v[3:4]
	v_fma_f64 v[23:24], v[23:24], v[27:28], -v[39:40]
	v_add_f64 v[47:48], v[35:36], v[31:32]
	v_add_f64 v[37:38], v[37:38], v[33:34]
	ds_load_b128 v[1:4], v19 offset:1536
	ds_load_b128 v[13:16], v20 offset:96
	;; [unrolled: 1-line block ×4, first 2 shown]
	v_fma_f64 v[25:26], v[25:26], v[27:28], v[41:42]
	s_waitcnt lgkmcnt(2)
	v_mul_f64 v[49:50], v[15:16], v[3:4]
	v_mul_f64 v[3:4], v[13:14], v[3:4]
	s_waitcnt lgkmcnt(0)
	v_mul_f64 v[39:40], v[31:32], v[35:36]
	v_mul_f64 v[41:42], v[29:30], v[35:36]
	v_add_f64 v[27:28], v[47:48], v[43:44]
	v_add_f64 v[37:38], v[37:38], v[45:46]
	v_fma_f64 v[43:44], v[13:14], v[1:2], -v[49:50]
	v_fma_f64 v[45:46], v[15:16], v[1:2], v[3:4]
	v_fma_f64 v[29:30], v[29:30], v[33:34], -v[39:40]
	v_fma_f64 v[31:32], v[31:32], v[33:34], v[41:42]
	v_add_f64 v[27:28], v[27:28], v[23:24]
	v_add_f64 v[47:48], v[37:38], v[25:26]
	ds_load_b128 v[1:4], v19 offset:2048
	ds_load_b128 v[13:16], v20 offset:128
	;; [unrolled: 1-line block ×4, first 2 shown]
	s_waitcnt lgkmcnt(2)
	v_mul_f64 v[49:50], v[15:16], v[3:4]
	v_mul_f64 v[3:4], v[13:14], v[3:4]
	s_waitcnt lgkmcnt(0)
	v_mul_f64 v[39:40], v[25:26], v[37:38]
	v_mul_f64 v[37:38], v[23:24], v[37:38]
	v_add_f64 v[27:28], v[27:28], v[43:44]
	v_add_f64 v[33:34], v[47:48], v[45:46]
	v_fma_f64 v[41:42], v[13:14], v[1:2], -v[49:50]
	v_fma_f64 v[43:44], v[15:16], v[1:2], v[3:4]
	v_fma_f64 v[23:24], v[23:24], v[35:36], -v[39:40]
	v_fma_f64 v[25:26], v[25:26], v[35:36], v[37:38]
	v_add_f64 v[45:46], v[27:28], v[29:30]
	v_add_f64 v[47:48], v[33:34], v[31:32]
	ds_load_b128 v[1:4], v19 offset:2560
	ds_load_b128 v[13:16], v20 offset:160
	;; [unrolled: 1-line block ×4, first 2 shown]
	s_waitcnt lgkmcnt(2)
	v_mul_f64 v[49:50], v[15:16], v[3:4]
	v_mul_f64 v[3:4], v[13:14], v[3:4]
	s_waitcnt lgkmcnt(0)
	v_mul_f64 v[39:40], v[29:30], v[33:34]
	v_add_f64 v[35:36], v[45:46], v[41:42]
	v_add_f64 v[37:38], v[47:48], v[43:44]
	v_mul_f64 v[41:42], v[27:28], v[33:34]
	v_fma_f64 v[43:44], v[13:14], v[1:2], -v[49:50]
	v_fma_f64 v[45:46], v[15:16], v[1:2], v[3:4]
	v_fma_f64 v[27:28], v[27:28], v[31:32], -v[39:40]
	v_add_f64 v[47:48], v[35:36], v[23:24]
	v_add_f64 v[37:38], v[37:38], v[25:26]
	ds_load_b128 v[1:4], v19 offset:3072
	ds_load_b128 v[13:16], v20 offset:192
	;; [unrolled: 1-line block ×4, first 2 shown]
	v_fma_f64 v[29:30], v[29:30], v[31:32], v[41:42]
	s_waitcnt lgkmcnt(2)
	v_mul_f64 v[49:50], v[15:16], v[3:4]
	v_mul_f64 v[3:4], v[13:14], v[3:4]
	s_waitcnt lgkmcnt(0)
	v_mul_f64 v[39:40], v[25:26], v[35:36]
	v_mul_f64 v[41:42], v[23:24], v[35:36]
	v_add_f64 v[31:32], v[47:48], v[43:44]
	v_add_f64 v[37:38], v[37:38], v[45:46]
	v_fma_f64 v[43:44], v[13:14], v[1:2], -v[49:50]
	v_fma_f64 v[45:46], v[15:16], v[1:2], v[3:4]
	v_fma_f64 v[23:24], v[23:24], v[33:34], -v[39:40]
	v_fma_f64 v[25:26], v[25:26], v[33:34], v[41:42]
	v_add_f64 v[31:32], v[31:32], v[27:28]
	v_add_f64 v[47:48], v[37:38], v[29:30]
	ds_load_b128 v[1:4], v19 offset:3584
	ds_load_b128 v[13:16], v20 offset:224
	;; [unrolled: 1-line block ×4, first 2 shown]
	s_waitcnt lgkmcnt(0)
	s_barrier
	buffer_gl0_inv
	v_mul_f64 v[49:50], v[15:16], v[3:4]
	v_mul_f64 v[3:4], v[13:14], v[3:4]
	;; [unrolled: 1-line block ×4, first 2 shown]
	v_add_f64 v[31:32], v[31:32], v[43:44]
	v_add_f64 v[33:34], v[47:48], v[45:46]
	v_fma_f64 v[13:14], v[13:14], v[1:2], -v[49:50]
	v_fma_f64 v[1:2], v[15:16], v[1:2], v[3:4]
	s_delay_alu instid0(VALU_DEP_4) | instskip(NEXT) | instid1(VALU_DEP_4)
	v_add_f64 v[3:4], v[31:32], v[23:24]
	v_add_f64 v[15:16], v[33:34], v[25:26]
	v_fma_f64 v[23:24], v[27:28], v[35:36], -v[39:40]
	v_fma_f64 v[25:26], v[29:30], v[35:36], v[37:38]
	s_delay_alu instid0(VALU_DEP_4) | instskip(NEXT) | instid1(VALU_DEP_4)
	v_add_f64 v[3:4], v[3:4], v[13:14]
	v_add_f64 v[1:2], v[15:16], v[1:2]
	s_delay_alu instid0(VALU_DEP_2) | instskip(NEXT) | instid1(VALU_DEP_2)
	v_add_f64 v[15:16], v[3:4], v[23:24]
	v_add_f64 v[13:14], v[1:2], v[25:26]
	s_cbranch_vccnz .LBB1672_9
.LBB1672_3:                             ; =>This Inner Loop Header: Depth=1
	v_add_co_u32 v1, s15, v18, s12
	s_delay_alu instid0(VALU_DEP_1) | instskip(NEXT) | instid1(VALU_DEP_1)
	v_add_co_ci_u32_e64 v2, null, 0, s13, s15
	v_cmp_le_i64_e32 vcc_lo, s[4:5], v[1:2]
	s_or_b32 s15, s14, vcc_lo
	s_delay_alu instid0(SALU_CYCLE_1) | instskip(NEXT) | instid1(SALU_CYCLE_1)
	s_and_saveexec_b32 s20, s15
	s_xor_b32 s15, exec_lo, s20
	s_cbranch_execz .LBB1672_5
; %bb.4:                                ;   in Loop: Header=BB1672_3 Depth=1
	v_mov_b32_e32 v1, v0
	v_mov_b32_e32 v2, v0
	;; [unrolled: 1-line block ×3, first 2 shown]
	ds_store_b128 v21, v[0:3]
.LBB1672_5:                             ;   in Loop: Header=BB1672_3 Depth=1
	s_and_not1_saveexec_b32 s15, s15
	s_cbranch_execz .LBB1672_7
; %bb.6:                                ;   in Loop: Header=BB1672_3 Depth=1
	global_load_b128 v[1:4], v[9:10], off
	s_waitcnt vmcnt(0)
	ds_store_2addr_b64 v21, v[1:2], v[3:4] offset1:1
.LBB1672_7:                             ;   in Loop: Header=BB1672_3 Depth=1
	s_or_b32 exec_lo, exec_lo, s15
	v_add_co_u32 v3, s15, v17, s12
	s_delay_alu instid0(VALU_DEP_1) | instskip(SKIP_2) | instid1(VALU_DEP_3)
	v_add_co_ci_u32_e64 v4, null, 0, s13, s15
	v_mov_b32_e32 v1, 0
	v_mov_b32_e32 v2, 0
	v_cmp_gt_i64_e32 vcc_lo, s[4:5], v[3:4]
	s_delay_alu instid0(VALU_DEP_2) | instskip(SKIP_1) | instid1(SALU_CYCLE_1)
	v_dual_mov_b32 v4, v2 :: v_dual_mov_b32 v3, v1
	s_and_b32 s20, s2, vcc_lo
	s_and_saveexec_b32 s15, s20
	s_cbranch_execz .LBB1672_2
; %bb.8:                                ;   in Loop: Header=BB1672_3 Depth=1
	global_load_b128 v[1:4], v[11:12], off offset:-8
	s_branch .LBB1672_2
.LBB1672_9:
	v_cmp_le_i32_e32 vcc_lo, v5, v7
	v_cmp_gt_i32_e64 s0, s3, v7
	s_delay_alu instid0(VALU_DEP_1) | instskip(NEXT) | instid1(SALU_CYCLE_1)
	s_and_b32 s0, vcc_lo, s0
	s_and_saveexec_b32 s1, s0
	s_cbranch_execz .LBB1672_11
; %bb.10:
	s_delay_alu instid0(VALU_DEP_3) | instskip(SKIP_4) | instid1(VALU_DEP_1)
	v_mul_f64 v[0:1], s[8:9], v[13:14]
	v_mul_f64 v[2:3], s[6:7], v[13:14]
	v_mul_lo_u32 v4, v7, s19
	v_mul_lo_u32 v10, v8, s18
	v_mad_u64_u32 v[8:9], null, v7, s18, 0
	v_add3_u32 v9, v9, v4, v10
	v_lshlrev_b64 v[4:5], 4, v[5:6]
	s_delay_alu instid0(VALU_DEP_2) | instskip(SKIP_1) | instid1(VALU_DEP_1)
	v_lshlrev_b64 v[7:8], 4, v[8:9]
	s_waitcnt lgkmcnt(0)
	v_add_co_u32 v6, vcc_lo, s16, v7
	s_delay_alu instid0(VALU_DEP_2) | instskip(NEXT) | instid1(VALU_DEP_2)
	v_add_co_ci_u32_e32 v7, vcc_lo, s17, v8, vcc_lo
	v_add_co_u32 v4, vcc_lo, v6, v4
	s_delay_alu instid0(VALU_DEP_2)
	v_add_co_ci_u32_e32 v5, vcc_lo, v7, v5, vcc_lo
	v_fma_f64 v[0:1], s[6:7], v[15:16], -v[0:1]
	v_fma_f64 v[2:3], s[8:9], v[15:16], v[2:3]
	global_store_b128 v[4:5], v[0:3], off
.LBB1672_11:
	s_nop 0
	s_sendmsg sendmsg(MSG_DEALLOC_VGPRS)
	s_endpgm
	.section	.rodata,"a",@progbits
	.p2align	6, 0x0
	.amdhsa_kernel _ZL32rocblas_syrkx_herkx_small_kernelIl19rocblas_complex_numIdELi16ELb1ELb0ELc78ELc85EKPKS1_KPS1_EviT_T0_PT6_S7_lSA_S7_lS8_PT7_S7_li
		.amdhsa_group_segment_fixed_size 8192
		.amdhsa_private_segment_fixed_size 0
		.amdhsa_kernarg_size 124
		.amdhsa_user_sgpr_count 13
		.amdhsa_user_sgpr_dispatch_ptr 0
		.amdhsa_user_sgpr_queue_ptr 0
		.amdhsa_user_sgpr_kernarg_segment_ptr 1
		.amdhsa_user_sgpr_dispatch_id 0
		.amdhsa_user_sgpr_private_segment_size 0
		.amdhsa_wavefront_size32 1
		.amdhsa_uses_dynamic_stack 0
		.amdhsa_enable_private_segment 0
		.amdhsa_system_sgpr_workgroup_id_x 1
		.amdhsa_system_sgpr_workgroup_id_y 1
		.amdhsa_system_sgpr_workgroup_id_z 1
		.amdhsa_system_sgpr_workgroup_info 0
		.amdhsa_system_vgpr_workitem_id 1
		.amdhsa_next_free_vgpr 51
		.amdhsa_next_free_sgpr 24
		.amdhsa_reserve_vcc 1
		.amdhsa_float_round_mode_32 0
		.amdhsa_float_round_mode_16_64 0
		.amdhsa_float_denorm_mode_32 3
		.amdhsa_float_denorm_mode_16_64 3
		.amdhsa_dx10_clamp 1
		.amdhsa_ieee_mode 1
		.amdhsa_fp16_overflow 0
		.amdhsa_workgroup_processor_mode 1
		.amdhsa_memory_ordered 1
		.amdhsa_forward_progress 0
		.amdhsa_shared_vgpr_count 0
		.amdhsa_exception_fp_ieee_invalid_op 0
		.amdhsa_exception_fp_denorm_src 0
		.amdhsa_exception_fp_ieee_div_zero 0
		.amdhsa_exception_fp_ieee_overflow 0
		.amdhsa_exception_fp_ieee_underflow 0
		.amdhsa_exception_fp_ieee_inexact 0
		.amdhsa_exception_int_div_zero 0
	.end_amdhsa_kernel
	.section	.text._ZL32rocblas_syrkx_herkx_small_kernelIl19rocblas_complex_numIdELi16ELb1ELb0ELc78ELc85EKPKS1_KPS1_EviT_T0_PT6_S7_lSA_S7_lS8_PT7_S7_li,"axG",@progbits,_ZL32rocblas_syrkx_herkx_small_kernelIl19rocblas_complex_numIdELi16ELb1ELb0ELc78ELc85EKPKS1_KPS1_EviT_T0_PT6_S7_lSA_S7_lS8_PT7_S7_li,comdat
.Lfunc_end1672:
	.size	_ZL32rocblas_syrkx_herkx_small_kernelIl19rocblas_complex_numIdELi16ELb1ELb0ELc78ELc85EKPKS1_KPS1_EviT_T0_PT6_S7_lSA_S7_lS8_PT7_S7_li, .Lfunc_end1672-_ZL32rocblas_syrkx_herkx_small_kernelIl19rocblas_complex_numIdELi16ELb1ELb0ELc78ELc85EKPKS1_KPS1_EviT_T0_PT6_S7_lSA_S7_lS8_PT7_S7_li
                                        ; -- End function
	.section	.AMDGPU.csdata,"",@progbits
; Kernel info:
; codeLenInByte = 1984
; NumSgprs: 26
; NumVgprs: 51
; ScratchSize: 0
; MemoryBound: 1
; FloatMode: 240
; IeeeMode: 1
; LDSByteSize: 8192 bytes/workgroup (compile time only)
; SGPRBlocks: 3
; VGPRBlocks: 6
; NumSGPRsForWavesPerEU: 26
; NumVGPRsForWavesPerEU: 51
; Occupancy: 16
; WaveLimiterHint : 1
; COMPUTE_PGM_RSRC2:SCRATCH_EN: 0
; COMPUTE_PGM_RSRC2:USER_SGPR: 13
; COMPUTE_PGM_RSRC2:TRAP_HANDLER: 0
; COMPUTE_PGM_RSRC2:TGID_X_EN: 1
; COMPUTE_PGM_RSRC2:TGID_Y_EN: 1
; COMPUTE_PGM_RSRC2:TGID_Z_EN: 1
; COMPUTE_PGM_RSRC2:TIDIG_COMP_CNT: 1
	.section	.text._ZL32rocblas_syrkx_herkx_small_kernelIl19rocblas_complex_numIdELi16ELb0ELb0ELc84ELc76EKPKS1_KPS1_EviT_T0_PT6_S7_lSA_S7_lS8_PT7_S7_li,"axG",@progbits,_ZL32rocblas_syrkx_herkx_small_kernelIl19rocblas_complex_numIdELi16ELb0ELb0ELc84ELc76EKPKS1_KPS1_EviT_T0_PT6_S7_lSA_S7_lS8_PT7_S7_li,comdat
	.globl	_ZL32rocblas_syrkx_herkx_small_kernelIl19rocblas_complex_numIdELi16ELb0ELb0ELc84ELc76EKPKS1_KPS1_EviT_T0_PT6_S7_lSA_S7_lS8_PT7_S7_li ; -- Begin function _ZL32rocblas_syrkx_herkx_small_kernelIl19rocblas_complex_numIdELi16ELb0ELb0ELc84ELc76EKPKS1_KPS1_EviT_T0_PT6_S7_lSA_S7_lS8_PT7_S7_li
	.p2align	8
	.type	_ZL32rocblas_syrkx_herkx_small_kernelIl19rocblas_complex_numIdELi16ELb0ELb0ELc84ELc76EKPKS1_KPS1_EviT_T0_PT6_S7_lSA_S7_lS8_PT7_S7_li,@function
_ZL32rocblas_syrkx_herkx_small_kernelIl19rocblas_complex_numIdELi16ELb0ELb0ELc84ELc76EKPKS1_KPS1_EviT_T0_PT6_S7_lSA_S7_lS8_PT7_S7_li: ; @_ZL32rocblas_syrkx_herkx_small_kernelIl19rocblas_complex_numIdELi16ELb0ELb0ELc84ELc76EKPKS1_KPS1_EviT_T0_PT6_S7_lSA_S7_lS8_PT7_S7_li
; %bb.0:
	s_clause 0x2
	s_load_b256 s[4:11], s[0:1], 0x50
	s_load_b256 s[16:23], s[0:1], 0x8
	s_load_b32 s3, s[0:1], 0x0
	s_mov_b32 s24, s15
	s_mov_b32 s25, 0
	v_and_b32_e32 v16, 0x3ff, v0
	s_lshl_b64 s[24:25], s[24:25], 3
	v_bfe_u32 v17, v0, 10, 10
	v_mov_b32_e32 v10, 0
	v_mov_b32_e32 v11, 0
	v_lshl_add_u32 v4, s13, 4, v16
	s_delay_alu instid0(VALU_DEP_4) | instskip(NEXT) | instid1(VALU_DEP_3)
	v_lshl_add_u32 v14, s14, 4, v17
	v_dual_mov_b32 v13, v11 :: v_dual_mov_b32 v12, v10
	s_delay_alu instid0(VALU_DEP_3) | instskip(NEXT) | instid1(VALU_DEP_3)
	v_ashrrev_i32_e32 v5, 31, v4
	v_ashrrev_i32_e32 v15, 31, v14
	s_waitcnt lgkmcnt(0)
	s_add_u32 s8, s8, s24
	s_addc_u32 s9, s9, s25
	s_load_b64 s[26:27], s[0:1], 0x28
	s_load_b64 s[8:9], s[8:9], 0x0
	v_cmp_lt_i64_e64 s2, s[16:17], 1
	s_delay_alu instid0(VALU_DEP_1)
	s_and_b32 vcc_lo, exec_lo, s2
	v_cmp_gt_i32_e64 s2, s3, v4
	s_cbranch_vccnz .LBB1673_11
; %bb.1:
	s_load_b128 s[12:15], s[0:1], 0x38
	s_waitcnt lgkmcnt(0)
	v_mul_lo_u32 v8, s27, v4
	v_mul_lo_u32 v9, s26, v5
	v_mad_u64_u32 v[6:7], null, s26, v4, 0
	v_dual_mov_b32 v0, 0 :: v_dual_lshlrev_b32 v3, 8, v17
	v_lshlrev_b32_e32 v18, 4, v16
	v_lshlrev_b32_e32 v12, 4, v17
	v_cmp_gt_i32_e32 vcc_lo, s3, v14
	v_add3_u32 v7, v7, v9, v8
	v_add_nc_u32_e32 v19, 0x1000, v3
	s_delay_alu instid0(VALU_DEP_2)
	v_lshlrev_b64 v[6:7], 4, v[6:7]
	v_mul_lo_u32 v10, s15, v14
	v_mul_lo_u32 v11, s14, v15
	v_mad_u64_u32 v[1:2], null, s14, v14, 0
	s_add_u32 s0, s12, s24
	s_addc_u32 s1, s13, s25
	s_add_u32 s12, s22, s24
	s_load_b64 s[14:15], s[0:1], 0x0
	s_addc_u32 s13, s23, s25
	s_xor_b32 s2, s2, -1
	s_delay_alu instid0(VALU_DEP_1) | instskip(SKIP_3) | instid1(VALU_DEP_3)
	v_add3_u32 v2, v2, v11, v10
	v_mov_b32_e32 v10, 0
	s_load_b64 s[12:13], s[12:13], 0x0
	v_dual_mov_b32 v11, 0 :: v_dual_add_nc_u32 v20, v18, v3
	v_lshlrev_b64 v[1:2], 4, v[1:2]
	v_add_nc_u32_e32 v21, v19, v18
	s_delay_alu instid0(VALU_DEP_2) | instskip(NEXT) | instid1(VALU_DEP_1)
	v_add_co_u32 v1, s0, v1, v18
	v_add_co_ci_u32_e64 v2, s0, 0, v2, s0
	v_add_co_u32 v3, s0, v6, v12
	s_delay_alu instid0(VALU_DEP_1) | instskip(SKIP_2) | instid1(VALU_DEP_1)
	v_add_co_ci_u32_e64 v9, s0, 0, v7, s0
	s_waitcnt lgkmcnt(0)
	v_add_co_u32 v6, s0, s14, v1
	v_add_co_ci_u32_e64 v7, s0, s15, v2, s0
	v_add_co_u32 v8, s0, s12, v3
	v_dual_mov_b32 v13, v11 :: v_dual_mov_b32 v12, v10
	v_add_co_ci_u32_e64 v9, s0, s13, v9, s0
	s_mov_b64 s[0:1], 0
	s_xor_b32 s12, vcc_lo, -1
	s_branch .LBB1673_3
.LBB1673_2:                             ;   in Loop: Header=BB1673_3 Depth=1
	s_or_b32 exec_lo, exec_lo, s13
	s_waitcnt lgkmcnt(0)
	s_barrier
	buffer_gl0_inv
	ds_load_b128 v[22:25], v18
	ds_load_b128 v[26:29], v19
	ds_load_b128 v[30:33], v19 offset:16
	ds_load_b128 v[34:37], v18 offset:256
	s_add_u32 s0, s0, 16
	s_addc_u32 s1, s1, 0
	v_add_co_u32 v6, vcc_lo, 0x100, v6
	v_cmp_ge_i64_e64 s13, s[0:1], s[16:17]
	v_add_co_ci_u32_e32 v7, vcc_lo, 0, v7, vcc_lo
	v_add_co_u32 v8, vcc_lo, 0x100, v8
	v_add_co_ci_u32_e32 v9, vcc_lo, 0, v9, vcc_lo
	s_delay_alu instid0(VALU_DEP_4)
	s_and_b32 vcc_lo, exec_lo, s13
	s_waitcnt lgkmcnt(2)
	v_mul_f64 v[1:2], v[28:29], v[24:25]
	v_mul_f64 v[24:25], v[26:27], v[24:25]
	s_waitcnt lgkmcnt(0)
	v_mul_f64 v[44:45], v[32:33], v[36:37]
	v_mul_f64 v[46:47], v[30:31], v[36:37]
	s_delay_alu instid0(VALU_DEP_4) | instskip(NEXT) | instid1(VALU_DEP_4)
	v_fma_f64 v[1:2], v[26:27], v[22:23], -v[1:2]
	v_fma_f64 v[48:49], v[28:29], v[22:23], v[24:25]
	ds_load_b128 v[22:25], v18 offset:512
	ds_load_b128 v[26:29], v19 offset:32
	;; [unrolled: 1-line block ×4, first 2 shown]
	v_fma_f64 v[30:31], v[30:31], v[34:35], -v[44:45]
	v_fma_f64 v[32:33], v[32:33], v[34:35], v[46:47]
	s_waitcnt lgkmcnt(2)
	v_mul_f64 v[50:51], v[28:29], v[24:25]
	v_mul_f64 v[24:25], v[26:27], v[24:25]
	s_waitcnt lgkmcnt(0)
	v_mul_f64 v[34:35], v[38:39], v[42:43]
	v_mul_f64 v[42:43], v[36:37], v[42:43]
	v_add_f64 v[1:2], v[12:13], v[1:2]
	v_add_f64 v[10:11], v[10:11], v[48:49]
	v_fma_f64 v[44:45], v[26:27], v[22:23], -v[50:51]
	v_fma_f64 v[46:47], v[28:29], v[22:23], v[24:25]
	v_fma_f64 v[34:35], v[36:37], v[40:41], -v[34:35]
	v_fma_f64 v[36:37], v[38:39], v[40:41], v[42:43]
	v_add_f64 v[1:2], v[1:2], v[30:31]
	v_add_f64 v[48:49], v[10:11], v[32:33]
	ds_load_b128 v[10:13], v18 offset:1024
	ds_load_b128 v[22:25], v19 offset:64
	;; [unrolled: 1-line block ×4, first 2 shown]
	s_waitcnt lgkmcnt(2)
	v_mul_f64 v[50:51], v[24:25], v[12:13]
	v_mul_f64 v[12:13], v[22:23], v[12:13]
	s_waitcnt lgkmcnt(0)
	v_mul_f64 v[40:41], v[28:29], v[32:33]
	v_mul_f64 v[42:43], v[26:27], v[32:33]
	v_add_f64 v[1:2], v[1:2], v[44:45]
	v_add_f64 v[38:39], v[48:49], v[46:47]
	v_fma_f64 v[44:45], v[22:23], v[10:11], -v[50:51]
	v_fma_f64 v[46:47], v[24:25], v[10:11], v[12:13]
	v_fma_f64 v[26:27], v[26:27], v[30:31], -v[40:41]
	v_fma_f64 v[28:29], v[28:29], v[30:31], v[42:43]
	v_add_f64 v[1:2], v[1:2], v[34:35]
	v_add_f64 v[48:49], v[38:39], v[36:37]
	ds_load_b128 v[10:13], v18 offset:1536
	ds_load_b128 v[22:25], v19 offset:96
	;; [unrolled: 1-line block ×4, first 2 shown]
	s_waitcnt lgkmcnt(2)
	v_mul_f64 v[50:51], v[24:25], v[12:13]
	v_mul_f64 v[12:13], v[22:23], v[12:13]
	s_waitcnt lgkmcnt(0)
	v_mul_f64 v[42:43], v[34:35], v[38:39]
	v_add_f64 v[1:2], v[1:2], v[44:45]
	v_add_f64 v[30:31], v[48:49], v[46:47]
	v_mul_f64 v[44:45], v[32:33], v[38:39]
	v_fma_f64 v[46:47], v[22:23], v[10:11], -v[50:51]
	v_fma_f64 v[48:49], v[24:25], v[10:11], v[12:13]
	v_fma_f64 v[32:33], v[32:33], v[36:37], -v[42:43]
	v_add_f64 v[1:2], v[1:2], v[26:27]
	v_add_f64 v[30:31], v[30:31], v[28:29]
	ds_load_b128 v[10:13], v18 offset:2048
	ds_load_b128 v[22:25], v19 offset:128
	;; [unrolled: 1-line block ×4, first 2 shown]
	v_fma_f64 v[34:35], v[34:35], v[36:37], v[44:45]
	s_waitcnt lgkmcnt(2)
	v_mul_f64 v[50:51], v[24:25], v[12:13]
	v_mul_f64 v[12:13], v[22:23], v[12:13]
	s_waitcnt lgkmcnt(0)
	v_mul_f64 v[42:43], v[28:29], v[40:41]
	v_mul_f64 v[40:41], v[26:27], v[40:41]
	v_add_f64 v[1:2], v[1:2], v[46:47]
	v_add_f64 v[30:31], v[30:31], v[48:49]
	v_fma_f64 v[44:45], v[22:23], v[10:11], -v[50:51]
	v_fma_f64 v[46:47], v[24:25], v[10:11], v[12:13]
	v_fma_f64 v[26:27], v[26:27], v[38:39], -v[42:43]
	v_fma_f64 v[28:29], v[28:29], v[38:39], v[40:41]
	v_add_f64 v[1:2], v[1:2], v[32:33]
	v_add_f64 v[48:49], v[30:31], v[34:35]
	ds_load_b128 v[10:13], v18 offset:2560
	ds_load_b128 v[22:25], v19 offset:160
	;; [unrolled: 1-line block ×4, first 2 shown]
	s_waitcnt lgkmcnt(2)
	v_mul_f64 v[50:51], v[24:25], v[12:13]
	v_mul_f64 v[12:13], v[22:23], v[12:13]
	s_waitcnt lgkmcnt(0)
	v_mul_f64 v[40:41], v[32:33], v[36:37]
	v_mul_f64 v[42:43], v[30:31], v[36:37]
	v_add_f64 v[1:2], v[1:2], v[44:45]
	v_add_f64 v[38:39], v[48:49], v[46:47]
	v_fma_f64 v[44:45], v[22:23], v[10:11], -v[50:51]
	v_fma_f64 v[46:47], v[24:25], v[10:11], v[12:13]
	v_fma_f64 v[30:31], v[30:31], v[34:35], -v[40:41]
	v_fma_f64 v[32:33], v[32:33], v[34:35], v[42:43]
	v_add_f64 v[1:2], v[1:2], v[26:27]
	v_add_f64 v[48:49], v[38:39], v[28:29]
	ds_load_b128 v[10:13], v18 offset:3072
	ds_load_b128 v[22:25], v19 offset:192
	;; [unrolled: 1-line block ×4, first 2 shown]
	s_waitcnt lgkmcnt(2)
	v_mul_f64 v[50:51], v[24:25], v[12:13]
	v_mul_f64 v[12:13], v[22:23], v[12:13]
	s_waitcnt lgkmcnt(0)
	v_mul_f64 v[42:43], v[28:29], v[38:39]
	v_add_f64 v[1:2], v[1:2], v[44:45]
	v_add_f64 v[34:35], v[48:49], v[46:47]
	v_mul_f64 v[44:45], v[26:27], v[38:39]
	v_fma_f64 v[46:47], v[22:23], v[10:11], -v[50:51]
	v_fma_f64 v[48:49], v[24:25], v[10:11], v[12:13]
	v_fma_f64 v[26:27], v[26:27], v[36:37], -v[42:43]
	v_add_f64 v[1:2], v[1:2], v[30:31]
	v_add_f64 v[34:35], v[34:35], v[32:33]
	ds_load_b128 v[10:13], v18 offset:3584
	ds_load_b128 v[22:25], v19 offset:224
	;; [unrolled: 1-line block ×4, first 2 shown]
	v_fma_f64 v[28:29], v[28:29], v[36:37], v[44:45]
	s_waitcnt lgkmcnt(0)
	s_barrier
	buffer_gl0_inv
	v_mul_f64 v[50:51], v[24:25], v[12:13]
	v_mul_f64 v[12:13], v[22:23], v[12:13]
	;; [unrolled: 1-line block ×4, first 2 shown]
	v_add_f64 v[1:2], v[1:2], v[46:47]
	v_add_f64 v[34:35], v[34:35], v[48:49]
	v_fma_f64 v[22:23], v[22:23], v[10:11], -v[50:51]
	v_fma_f64 v[10:11], v[24:25], v[10:11], v[12:13]
	v_fma_f64 v[24:25], v[30:31], v[38:39], -v[36:37]
	v_add_f64 v[1:2], v[1:2], v[26:27]
	v_add_f64 v[12:13], v[34:35], v[28:29]
	v_fma_f64 v[26:27], v[32:33], v[38:39], v[40:41]
	s_delay_alu instid0(VALU_DEP_3) | instskip(NEXT) | instid1(VALU_DEP_3)
	v_add_f64 v[1:2], v[1:2], v[22:23]
	v_add_f64 v[10:11], v[12:13], v[10:11]
	s_delay_alu instid0(VALU_DEP_2) | instskip(NEXT) | instid1(VALU_DEP_2)
	v_add_f64 v[12:13], v[1:2], v[24:25]
	v_add_f64 v[10:11], v[10:11], v[26:27]
	s_cbranch_vccnz .LBB1673_11
.LBB1673_3:                             ; =>This Inner Loop Header: Depth=1
	v_add_co_u32 v1, s13, v17, s0
	s_delay_alu instid0(VALU_DEP_1) | instskip(NEXT) | instid1(VALU_DEP_1)
	v_add_co_ci_u32_e64 v2, null, 0, s1, s13
	v_cmp_le_i64_e32 vcc_lo, s[16:17], v[1:2]
	s_or_b32 s13, s2, vcc_lo
	s_delay_alu instid0(SALU_CYCLE_1) | instskip(NEXT) | instid1(SALU_CYCLE_1)
	s_and_saveexec_b32 s14, s13
	s_xor_b32 s13, exec_lo, s14
	s_cbranch_execz .LBB1673_5
; %bb.4:                                ;   in Loop: Header=BB1673_3 Depth=1
	v_mov_b32_e32 v1, v0
	v_mov_b32_e32 v2, v0
	v_mov_b32_e32 v3, v0
	ds_store_b128 v20, v[0:3]
.LBB1673_5:                             ;   in Loop: Header=BB1673_3 Depth=1
	s_and_not1_saveexec_b32 s13, s13
	s_cbranch_execz .LBB1673_7
; %bb.6:                                ;   in Loop: Header=BB1673_3 Depth=1
	global_load_b128 v[22:25], v[8:9], off
	s_waitcnt vmcnt(0)
	ds_store_2addr_b64 v20, v[22:23], v[24:25] offset1:1
.LBB1673_7:                             ;   in Loop: Header=BB1673_3 Depth=1
	s_or_b32 exec_lo, exec_lo, s13
	v_add_co_u32 v1, s13, v16, s0
	s_delay_alu instid0(VALU_DEP_1) | instskip(NEXT) | instid1(VALU_DEP_1)
	v_add_co_ci_u32_e64 v2, null, 0, s1, s13
	v_cmp_le_i64_e32 vcc_lo, s[16:17], v[1:2]
	s_or_b32 s13, s12, vcc_lo
	s_delay_alu instid0(SALU_CYCLE_1) | instskip(NEXT) | instid1(SALU_CYCLE_1)
	s_and_saveexec_b32 s14, s13
	s_xor_b32 s13, exec_lo, s14
	s_cbranch_execz .LBB1673_9
; %bb.8:                                ;   in Loop: Header=BB1673_3 Depth=1
	v_mov_b32_e32 v1, v0
	v_mov_b32_e32 v2, v0
	;; [unrolled: 1-line block ×3, first 2 shown]
	ds_store_b128 v21, v[0:3]
.LBB1673_9:                             ;   in Loop: Header=BB1673_3 Depth=1
	s_and_not1_saveexec_b32 s13, s13
	s_cbranch_execz .LBB1673_2
; %bb.10:                               ;   in Loop: Header=BB1673_3 Depth=1
	global_load_b128 v[22:25], v[6:7], off
	s_waitcnt vmcnt(0)
	ds_store_2addr_b64 v21, v[22:23], v[24:25] offset1:1
	s_branch .LBB1673_2
.LBB1673_11:
	v_cmp_le_i32_e32 vcc_lo, v14, v4
	v_cmp_gt_i32_e64 s0, s3, v4
	s_delay_alu instid0(VALU_DEP_1) | instskip(NEXT) | instid1(SALU_CYCLE_1)
	s_and_b32 s0, vcc_lo, s0
	s_and_saveexec_b32 s1, s0
	s_cbranch_execz .LBB1673_13
; %bb.12:
	v_mul_lo_u32 v2, v14, s11
	v_mul_lo_u32 v3, v15, s10
	v_mad_u64_u32 v[0:1], null, v14, s10, 0
	v_mul_f64 v[6:7], s[20:21], v[10:11]
	v_mul_f64 v[8:9], s[18:19], v[10:11]
	s_delay_alu instid0(VALU_DEP_3) | instskip(SKIP_1) | instid1(VALU_DEP_2)
	v_add3_u32 v1, v1, v2, v3
	v_lshlrev_b64 v[2:3], 4, v[4:5]
	v_lshlrev_b64 v[0:1], 4, v[0:1]
	s_waitcnt lgkmcnt(0)
	s_delay_alu instid0(VALU_DEP_1) | instskip(NEXT) | instid1(VALU_DEP_2)
	v_add_co_u32 v0, vcc_lo, s8, v0
	v_add_co_ci_u32_e32 v1, vcc_lo, s9, v1, vcc_lo
	s_delay_alu instid0(VALU_DEP_2) | instskip(NEXT) | instid1(VALU_DEP_2)
	v_add_co_u32 v4, vcc_lo, v0, v2
	v_add_co_ci_u32_e32 v5, vcc_lo, v1, v3, vcc_lo
	global_load_b128 v[0:3], v[4:5], off
	v_fma_f64 v[6:7], s[18:19], v[12:13], -v[6:7]
	v_fma_f64 v[8:9], s[20:21], v[12:13], v[8:9]
	s_waitcnt vmcnt(0)
	v_mul_f64 v[10:11], s[6:7], v[2:3]
	v_mul_f64 v[2:3], s[4:5], v[2:3]
	s_delay_alu instid0(VALU_DEP_2) | instskip(NEXT) | instid1(VALU_DEP_2)
	v_fma_f64 v[10:11], s[4:5], v[0:1], -v[10:11]
	v_fma_f64 v[2:3], s[6:7], v[0:1], v[2:3]
	s_delay_alu instid0(VALU_DEP_2) | instskip(NEXT) | instid1(VALU_DEP_2)
	v_add_f64 v[0:1], v[6:7], v[10:11]
	v_add_f64 v[2:3], v[8:9], v[2:3]
	global_store_b128 v[4:5], v[0:3], off
.LBB1673_13:
	s_nop 0
	s_sendmsg sendmsg(MSG_DEALLOC_VGPRS)
	s_endpgm
	.section	.rodata,"a",@progbits
	.p2align	6, 0x0
	.amdhsa_kernel _ZL32rocblas_syrkx_herkx_small_kernelIl19rocblas_complex_numIdELi16ELb0ELb0ELc84ELc76EKPKS1_KPS1_EviT_T0_PT6_S7_lSA_S7_lS8_PT7_S7_li
		.amdhsa_group_segment_fixed_size 8192
		.amdhsa_private_segment_fixed_size 0
		.amdhsa_kernarg_size 124
		.amdhsa_user_sgpr_count 13
		.amdhsa_user_sgpr_dispatch_ptr 0
		.amdhsa_user_sgpr_queue_ptr 0
		.amdhsa_user_sgpr_kernarg_segment_ptr 1
		.amdhsa_user_sgpr_dispatch_id 0
		.amdhsa_user_sgpr_private_segment_size 0
		.amdhsa_wavefront_size32 1
		.amdhsa_uses_dynamic_stack 0
		.amdhsa_enable_private_segment 0
		.amdhsa_system_sgpr_workgroup_id_x 1
		.amdhsa_system_sgpr_workgroup_id_y 1
		.amdhsa_system_sgpr_workgroup_id_z 1
		.amdhsa_system_sgpr_workgroup_info 0
		.amdhsa_system_vgpr_workitem_id 1
		.amdhsa_next_free_vgpr 52
		.amdhsa_next_free_sgpr 28
		.amdhsa_reserve_vcc 1
		.amdhsa_float_round_mode_32 0
		.amdhsa_float_round_mode_16_64 0
		.amdhsa_float_denorm_mode_32 3
		.amdhsa_float_denorm_mode_16_64 3
		.amdhsa_dx10_clamp 1
		.amdhsa_ieee_mode 1
		.amdhsa_fp16_overflow 0
		.amdhsa_workgroup_processor_mode 1
		.amdhsa_memory_ordered 1
		.amdhsa_forward_progress 0
		.amdhsa_shared_vgpr_count 0
		.amdhsa_exception_fp_ieee_invalid_op 0
		.amdhsa_exception_fp_denorm_src 0
		.amdhsa_exception_fp_ieee_div_zero 0
		.amdhsa_exception_fp_ieee_overflow 0
		.amdhsa_exception_fp_ieee_underflow 0
		.amdhsa_exception_fp_ieee_inexact 0
		.amdhsa_exception_int_div_zero 0
	.end_amdhsa_kernel
	.section	.text._ZL32rocblas_syrkx_herkx_small_kernelIl19rocblas_complex_numIdELi16ELb0ELb0ELc84ELc76EKPKS1_KPS1_EviT_T0_PT6_S7_lSA_S7_lS8_PT7_S7_li,"axG",@progbits,_ZL32rocblas_syrkx_herkx_small_kernelIl19rocblas_complex_numIdELi16ELb0ELb0ELc84ELc76EKPKS1_KPS1_EviT_T0_PT6_S7_lSA_S7_lS8_PT7_S7_li,comdat
.Lfunc_end1673:
	.size	_ZL32rocblas_syrkx_herkx_small_kernelIl19rocblas_complex_numIdELi16ELb0ELb0ELc84ELc76EKPKS1_KPS1_EviT_T0_PT6_S7_lSA_S7_lS8_PT7_S7_li, .Lfunc_end1673-_ZL32rocblas_syrkx_herkx_small_kernelIl19rocblas_complex_numIdELi16ELb0ELb0ELc84ELc76EKPKS1_KPS1_EviT_T0_PT6_S7_lSA_S7_lS8_PT7_S7_li
                                        ; -- End function
	.section	.AMDGPU.csdata,"",@progbits
; Kernel info:
; codeLenInByte = 2052
; NumSgprs: 30
; NumVgprs: 52
; ScratchSize: 0
; MemoryBound: 0
; FloatMode: 240
; IeeeMode: 1
; LDSByteSize: 8192 bytes/workgroup (compile time only)
; SGPRBlocks: 3
; VGPRBlocks: 6
; NumSGPRsForWavesPerEU: 30
; NumVGPRsForWavesPerEU: 52
; Occupancy: 16
; WaveLimiterHint : 1
; COMPUTE_PGM_RSRC2:SCRATCH_EN: 0
; COMPUTE_PGM_RSRC2:USER_SGPR: 13
; COMPUTE_PGM_RSRC2:TRAP_HANDLER: 0
; COMPUTE_PGM_RSRC2:TGID_X_EN: 1
; COMPUTE_PGM_RSRC2:TGID_Y_EN: 1
; COMPUTE_PGM_RSRC2:TGID_Z_EN: 1
; COMPUTE_PGM_RSRC2:TIDIG_COMP_CNT: 1
	.section	.text._ZL32rocblas_syrkx_herkx_small_kernelIl19rocblas_complex_numIdELi16ELb0ELb0ELc67ELc76EKPKS1_KPS1_EviT_T0_PT6_S7_lSA_S7_lS8_PT7_S7_li,"axG",@progbits,_ZL32rocblas_syrkx_herkx_small_kernelIl19rocblas_complex_numIdELi16ELb0ELb0ELc67ELc76EKPKS1_KPS1_EviT_T0_PT6_S7_lSA_S7_lS8_PT7_S7_li,comdat
	.globl	_ZL32rocblas_syrkx_herkx_small_kernelIl19rocblas_complex_numIdELi16ELb0ELb0ELc67ELc76EKPKS1_KPS1_EviT_T0_PT6_S7_lSA_S7_lS8_PT7_S7_li ; -- Begin function _ZL32rocblas_syrkx_herkx_small_kernelIl19rocblas_complex_numIdELi16ELb0ELb0ELc67ELc76EKPKS1_KPS1_EviT_T0_PT6_S7_lSA_S7_lS8_PT7_S7_li
	.p2align	8
	.type	_ZL32rocblas_syrkx_herkx_small_kernelIl19rocblas_complex_numIdELi16ELb0ELb0ELc67ELc76EKPKS1_KPS1_EviT_T0_PT6_S7_lSA_S7_lS8_PT7_S7_li,@function
_ZL32rocblas_syrkx_herkx_small_kernelIl19rocblas_complex_numIdELi16ELb0ELb0ELc67ELc76EKPKS1_KPS1_EviT_T0_PT6_S7_lSA_S7_lS8_PT7_S7_li: ; @_ZL32rocblas_syrkx_herkx_small_kernelIl19rocblas_complex_numIdELi16ELb0ELb0ELc67ELc76EKPKS1_KPS1_EviT_T0_PT6_S7_lSA_S7_lS8_PT7_S7_li
; %bb.0:
	s_clause 0x2
	s_load_b256 s[4:11], s[0:1], 0x50
	s_load_b256 s[16:23], s[0:1], 0x8
	s_load_b32 s3, s[0:1], 0x0
	s_mov_b32 s24, s15
	s_mov_b32 s25, 0
	v_and_b32_e32 v19, 0x3ff, v0
	s_lshl_b64 s[24:25], s[24:25], 3
	v_bfe_u32 v20, v0, 10, 10
	v_mov_b32_e32 v13, 0
	v_mov_b32_e32 v14, 0
	v_lshl_add_u32 v5, s13, 4, v19
	s_delay_alu instid0(VALU_DEP_4) | instskip(NEXT) | instid1(VALU_DEP_3)
	v_lshl_add_u32 v17, s14, 4, v20
	v_dual_mov_b32 v16, v14 :: v_dual_mov_b32 v15, v13
	s_delay_alu instid0(VALU_DEP_3) | instskip(NEXT) | instid1(VALU_DEP_3)
	v_ashrrev_i32_e32 v6, 31, v5
	v_ashrrev_i32_e32 v18, 31, v17
	s_waitcnt lgkmcnt(0)
	s_add_u32 s8, s8, s24
	s_addc_u32 s9, s9, s25
	s_load_b64 s[26:27], s[0:1], 0x28
	s_load_b64 s[8:9], s[8:9], 0x0
	v_cmp_lt_i64_e64 s2, s[16:17], 1
	s_delay_alu instid0(VALU_DEP_1)
	s_and_b32 vcc_lo, exec_lo, s2
	v_cmp_gt_i32_e64 s2, s3, v5
	s_cbranch_vccnz .LBB1674_9
; %bb.1:
	s_load_b128 s[12:15], s[0:1], 0x38
	s_waitcnt lgkmcnt(0)
	v_mul_lo_u32 v7, s27, v5
	v_mul_lo_u32 v8, s26, v6
	v_mad_u64_u32 v[1:2], null, s26, v5, 0
	v_lshlrev_b32_e32 v12, 4, v20
	v_dual_mov_b32 v0, 0 :: v_dual_lshlrev_b32 v21, 4, v19
	v_lshlrev_b32_e32 v9, 8, v20
	v_cmp_gt_i32_e32 vcc_lo, s3, v17
	v_add3_u32 v2, v2, v8, v7
	v_mov_b32_e32 v7, 0
	v_mov_b32_e32 v8, 0
	v_add_nc_u32_e32 v22, 0x1000, v9
	v_add_nc_u32_e32 v23, v21, v9
	v_lshlrev_b64 v[1:2], 4, v[1:2]
	s_delay_alu instid0(VALU_DEP_4)
	v_mov_b32_e32 v14, v8
	v_mov_b32_e32 v16, v8
	s_add_u32 s0, s12, s24
	s_addc_u32 s1, s13, s25
	s_add_u32 s12, s22, s24
	v_mul_lo_u32 v10, s15, v17
	v_mul_lo_u32 v11, s14, v18
	v_mad_u64_u32 v[3:4], null, s14, v17, 0
	s_addc_u32 s13, s23, s25
	s_load_b64 s[14:15], s[0:1], 0x0
	s_load_b64 s[12:13], s[12:13], 0x0
	v_add_co_u32 v1, s0, v1, v12
	s_delay_alu instid0(VALU_DEP_1) | instskip(NEXT) | instid1(VALU_DEP_3)
	v_add_co_ci_u32_e64 v2, s0, 0, v2, s0
	v_add3_u32 v4, v4, v11, v10
	v_dual_mov_b32 v13, v7 :: v_dual_add_nc_u32 v24, v22, v21
	v_mov_b32_e32 v15, v7
	s_delay_alu instid0(VALU_DEP_3) | instskip(NEXT) | instid1(VALU_DEP_1)
	v_lshlrev_b64 v[3:4], 4, v[3:4]
	v_add_co_u32 v3, s0, v3, v21
	s_delay_alu instid0(VALU_DEP_1) | instskip(SKIP_2) | instid1(VALU_DEP_1)
	v_add_co_ci_u32_e64 v4, s0, 0, v4, s0
	s_waitcnt lgkmcnt(0)
	v_add_co_u32 v1, s0, v1, s12
	v_add_co_ci_u32_e64 v2, s0, s13, v2, s0
	v_add_co_u32 v9, s0, s14, v3
	s_delay_alu instid0(VALU_DEP_1) | instskip(NEXT) | instid1(VALU_DEP_4)
	v_add_co_ci_u32_e64 v10, s0, s15, v4, s0
	v_add_co_u32 v11, s0, v1, 8
	s_delay_alu instid0(VALU_DEP_1)
	v_add_co_ci_u32_e64 v12, s0, 0, v2, s0
	s_mov_b64 s[0:1], 0
	s_xor_b32 s12, vcc_lo, -1
	s_branch .LBB1674_3
.LBB1674_2:                             ;   in Loop: Header=BB1674_3 Depth=1
	s_or_b32 exec_lo, exec_lo, s13
	s_waitcnt lgkmcnt(0)
	s_barrier
	buffer_gl0_inv
	ds_load_b128 v[1:4], v21
	ds_load_b128 v[25:28], v22
	ds_load_b128 v[29:32], v22 offset:16
	ds_load_b128 v[33:36], v21 offset:256
	s_add_u32 s0, s0, 16
	s_addc_u32 s1, s1, 0
	v_add_co_u32 v9, vcc_lo, 0x100, v9
	v_cmp_ge_i64_e64 s13, s[0:1], s[16:17]
	v_add_co_ci_u32_e32 v10, vcc_lo, 0, v10, vcc_lo
	v_add_co_u32 v11, vcc_lo, 0x100, v11
	v_add_co_ci_u32_e32 v12, vcc_lo, 0, v12, vcc_lo
	s_delay_alu instid0(VALU_DEP_4)
	s_and_b32 vcc_lo, exec_lo, s13
	s_waitcnt lgkmcnt(2)
	v_mul_f64 v[37:38], v[27:28], v[3:4]
	v_mul_f64 v[3:4], v[25:26], v[3:4]
	s_waitcnt lgkmcnt(0)
	v_mul_f64 v[43:44], v[31:32], v[35:36]
	v_mul_f64 v[45:46], v[29:30], v[35:36]
	s_delay_alu instid0(VALU_DEP_4) | instskip(NEXT) | instid1(VALU_DEP_4)
	v_fma_f64 v[47:48], v[25:26], v[1:2], -v[37:38]
	v_fma_f64 v[49:50], v[27:28], v[1:2], v[3:4]
	ds_load_b128 v[1:4], v21 offset:512
	ds_load_b128 v[25:28], v22 offset:32
	;; [unrolled: 1-line block ×4, first 2 shown]
	v_fma_f64 v[29:30], v[29:30], v[33:34], -v[43:44]
	v_fma_f64 v[31:32], v[31:32], v[33:34], v[45:46]
	s_waitcnt lgkmcnt(2)
	v_mul_f64 v[51:52], v[27:28], v[3:4]
	v_mul_f64 v[3:4], v[25:26], v[3:4]
	s_waitcnt lgkmcnt(0)
	v_mul_f64 v[33:34], v[37:38], v[41:42]
	v_mul_f64 v[41:42], v[35:36], v[41:42]
	v_add_f64 v[15:16], v[15:16], v[47:48]
	v_add_f64 v[13:14], v[13:14], v[49:50]
	v_fma_f64 v[43:44], v[25:26], v[1:2], -v[51:52]
	v_fma_f64 v[45:46], v[27:28], v[1:2], v[3:4]
	v_fma_f64 v[33:34], v[35:36], v[39:40], -v[33:34]
	v_fma_f64 v[35:36], v[37:38], v[39:40], v[41:42]
	v_add_f64 v[47:48], v[15:16], v[29:30]
	v_add_f64 v[49:50], v[13:14], v[31:32]
	ds_load_b128 v[1:4], v21 offset:1024
	ds_load_b128 v[13:16], v22 offset:64
	;; [unrolled: 1-line block ×4, first 2 shown]
	s_waitcnt lgkmcnt(2)
	v_mul_f64 v[51:52], v[15:16], v[3:4]
	v_mul_f64 v[3:4], v[13:14], v[3:4]
	s_waitcnt lgkmcnt(0)
	v_mul_f64 v[41:42], v[27:28], v[31:32]
	v_add_f64 v[37:38], v[47:48], v[43:44]
	v_add_f64 v[39:40], v[49:50], v[45:46]
	v_mul_f64 v[43:44], v[25:26], v[31:32]
	v_fma_f64 v[45:46], v[13:14], v[1:2], -v[51:52]
	v_fma_f64 v[47:48], v[15:16], v[1:2], v[3:4]
	v_fma_f64 v[25:26], v[25:26], v[29:30], -v[41:42]
	v_add_f64 v[49:50], v[37:38], v[33:34]
	v_add_f64 v[39:40], v[39:40], v[35:36]
	ds_load_b128 v[1:4], v21 offset:1536
	ds_load_b128 v[13:16], v22 offset:96
	;; [unrolled: 1-line block ×4, first 2 shown]
	v_fma_f64 v[27:28], v[27:28], v[29:30], v[43:44]
	s_waitcnt lgkmcnt(2)
	v_mul_f64 v[51:52], v[15:16], v[3:4]
	v_mul_f64 v[3:4], v[13:14], v[3:4]
	s_waitcnt lgkmcnt(0)
	v_mul_f64 v[41:42], v[33:34], v[37:38]
	v_mul_f64 v[43:44], v[31:32], v[37:38]
	v_add_f64 v[29:30], v[49:50], v[45:46]
	v_add_f64 v[39:40], v[39:40], v[47:48]
	v_fma_f64 v[45:46], v[13:14], v[1:2], -v[51:52]
	v_fma_f64 v[47:48], v[15:16], v[1:2], v[3:4]
	v_fma_f64 v[31:32], v[31:32], v[35:36], -v[41:42]
	v_fma_f64 v[33:34], v[33:34], v[35:36], v[43:44]
	v_add_f64 v[29:30], v[29:30], v[25:26]
	v_add_f64 v[49:50], v[39:40], v[27:28]
	ds_load_b128 v[1:4], v21 offset:2048
	ds_load_b128 v[13:16], v22 offset:128
	;; [unrolled: 1-line block ×4, first 2 shown]
	s_waitcnt lgkmcnt(2)
	v_mul_f64 v[51:52], v[15:16], v[3:4]
	v_mul_f64 v[3:4], v[13:14], v[3:4]
	s_waitcnt lgkmcnt(0)
	v_mul_f64 v[41:42], v[27:28], v[39:40]
	v_mul_f64 v[39:40], v[25:26], v[39:40]
	v_add_f64 v[29:30], v[29:30], v[45:46]
	v_add_f64 v[35:36], v[49:50], v[47:48]
	v_fma_f64 v[43:44], v[13:14], v[1:2], -v[51:52]
	v_fma_f64 v[45:46], v[15:16], v[1:2], v[3:4]
	v_fma_f64 v[25:26], v[25:26], v[37:38], -v[41:42]
	v_fma_f64 v[27:28], v[27:28], v[37:38], v[39:40]
	v_add_f64 v[47:48], v[29:30], v[31:32]
	v_add_f64 v[49:50], v[35:36], v[33:34]
	ds_load_b128 v[1:4], v21 offset:2560
	ds_load_b128 v[13:16], v22 offset:160
	;; [unrolled: 1-line block ×4, first 2 shown]
	s_waitcnt lgkmcnt(2)
	v_mul_f64 v[51:52], v[15:16], v[3:4]
	v_mul_f64 v[3:4], v[13:14], v[3:4]
	s_waitcnt lgkmcnt(0)
	v_mul_f64 v[41:42], v[31:32], v[35:36]
	v_add_f64 v[37:38], v[47:48], v[43:44]
	v_add_f64 v[39:40], v[49:50], v[45:46]
	v_mul_f64 v[43:44], v[29:30], v[35:36]
	v_fma_f64 v[45:46], v[13:14], v[1:2], -v[51:52]
	v_fma_f64 v[47:48], v[15:16], v[1:2], v[3:4]
	v_fma_f64 v[29:30], v[29:30], v[33:34], -v[41:42]
	v_add_f64 v[49:50], v[37:38], v[25:26]
	v_add_f64 v[39:40], v[39:40], v[27:28]
	ds_load_b128 v[1:4], v21 offset:3072
	ds_load_b128 v[13:16], v22 offset:192
	;; [unrolled: 1-line block ×4, first 2 shown]
	v_fma_f64 v[31:32], v[31:32], v[33:34], v[43:44]
	s_waitcnt lgkmcnt(2)
	v_mul_f64 v[51:52], v[15:16], v[3:4]
	v_mul_f64 v[3:4], v[13:14], v[3:4]
	s_waitcnt lgkmcnt(0)
	v_mul_f64 v[41:42], v[27:28], v[37:38]
	v_mul_f64 v[43:44], v[25:26], v[37:38]
	v_add_f64 v[33:34], v[49:50], v[45:46]
	v_add_f64 v[39:40], v[39:40], v[47:48]
	v_fma_f64 v[45:46], v[13:14], v[1:2], -v[51:52]
	v_fma_f64 v[47:48], v[15:16], v[1:2], v[3:4]
	v_fma_f64 v[25:26], v[25:26], v[35:36], -v[41:42]
	v_fma_f64 v[27:28], v[27:28], v[35:36], v[43:44]
	v_add_f64 v[33:34], v[33:34], v[29:30]
	v_add_f64 v[49:50], v[39:40], v[31:32]
	ds_load_b128 v[1:4], v21 offset:3584
	ds_load_b128 v[13:16], v22 offset:224
	;; [unrolled: 1-line block ×4, first 2 shown]
	s_waitcnt lgkmcnt(0)
	s_barrier
	buffer_gl0_inv
	v_mul_f64 v[51:52], v[15:16], v[3:4]
	v_mul_f64 v[3:4], v[13:14], v[3:4]
	;; [unrolled: 1-line block ×4, first 2 shown]
	v_add_f64 v[33:34], v[33:34], v[45:46]
	v_add_f64 v[35:36], v[49:50], v[47:48]
	v_fma_f64 v[13:14], v[13:14], v[1:2], -v[51:52]
	v_fma_f64 v[1:2], v[15:16], v[1:2], v[3:4]
	s_delay_alu instid0(VALU_DEP_4) | instskip(NEXT) | instid1(VALU_DEP_4)
	v_add_f64 v[3:4], v[33:34], v[25:26]
	v_add_f64 v[15:16], v[35:36], v[27:28]
	v_fma_f64 v[25:26], v[29:30], v[37:38], -v[41:42]
	v_fma_f64 v[27:28], v[31:32], v[37:38], v[39:40]
	s_delay_alu instid0(VALU_DEP_4) | instskip(NEXT) | instid1(VALU_DEP_4)
	v_add_f64 v[3:4], v[3:4], v[13:14]
	v_add_f64 v[1:2], v[15:16], v[1:2]
	s_delay_alu instid0(VALU_DEP_2) | instskip(NEXT) | instid1(VALU_DEP_2)
	v_add_f64 v[15:16], v[3:4], v[25:26]
	v_add_f64 v[13:14], v[1:2], v[27:28]
	s_cbranch_vccnz .LBB1674_9
.LBB1674_3:                             ; =>This Inner Loop Header: Depth=1
	v_add_co_u32 v1, s13, v20, s0
	s_delay_alu instid0(VALU_DEP_1) | instskip(SKIP_1) | instid1(VALU_DEP_2)
	v_add_co_ci_u32_e64 v2, null, 0, s1, s13
	v_dual_mov_b32 v3, v7 :: v_dual_mov_b32 v4, v8
	v_cmp_gt_i64_e32 vcc_lo, s[16:17], v[1:2]
	v_dual_mov_b32 v1, v7 :: v_dual_mov_b32 v2, v8
	s_and_b32 s14, s2, vcc_lo
	s_delay_alu instid0(SALU_CYCLE_1)
	s_and_saveexec_b32 s13, s14
	s_cbranch_execz .LBB1674_5
; %bb.4:                                ;   in Loop: Header=BB1674_3 Depth=1
	global_load_b128 v[1:4], v[11:12], off offset:-8
.LBB1674_5:                             ;   in Loop: Header=BB1674_3 Depth=1
	s_or_b32 exec_lo, exec_lo, s13
	v_add_co_u32 v25, s13, v19, s0
	s_delay_alu instid0(VALU_DEP_1) | instskip(SKIP_4) | instid1(SALU_CYCLE_1)
	v_add_co_ci_u32_e64 v26, null, 0, s1, s13
	s_waitcnt vmcnt(0)
	ds_store_b128 v23, v[1:4]
	v_cmp_le_i64_e32 vcc_lo, s[16:17], v[25:26]
	s_or_b32 s13, s12, vcc_lo
	s_and_saveexec_b32 s14, s13
	s_delay_alu instid0(SALU_CYCLE_1)
	s_xor_b32 s13, exec_lo, s14
	s_cbranch_execz .LBB1674_7
; %bb.6:                                ;   in Loop: Header=BB1674_3 Depth=1
	v_mov_b32_e32 v1, v0
	v_mov_b32_e32 v2, v0
	;; [unrolled: 1-line block ×3, first 2 shown]
	ds_store_b128 v24, v[0:3]
.LBB1674_7:                             ;   in Loop: Header=BB1674_3 Depth=1
	s_and_not1_saveexec_b32 s13, s13
	s_cbranch_execz .LBB1674_2
; %bb.8:                                ;   in Loop: Header=BB1674_3 Depth=1
	global_load_b128 v[1:4], v[9:10], off
	s_waitcnt vmcnt(0)
	ds_store_2addr_b64 v24, v[1:2], v[3:4] offset1:1
	s_branch .LBB1674_2
.LBB1674_9:
	v_cmp_le_i32_e32 vcc_lo, v17, v5
	v_cmp_gt_i32_e64 s0, s3, v5
	s_delay_alu instid0(VALU_DEP_1) | instskip(NEXT) | instid1(SALU_CYCLE_1)
	s_and_b32 s0, vcc_lo, s0
	s_and_saveexec_b32 s1, s0
	s_cbranch_execz .LBB1674_11
; %bb.10:
	v_mul_lo_u32 v2, v17, s11
	v_mul_lo_u32 v3, v18, s10
	v_mad_u64_u32 v[0:1], null, v17, s10, 0
	v_mul_f64 v[8:9], s[18:19], v[13:14]
	s_delay_alu instid0(VALU_DEP_2) | instskip(SKIP_2) | instid1(VALU_DEP_3)
	v_add3_u32 v1, v1, v2, v3
	v_lshlrev_b64 v[2:3], 4, v[5:6]
	v_mul_f64 v[6:7], s[20:21], v[13:14]
	v_lshlrev_b64 v[0:1], 4, v[0:1]
	s_waitcnt lgkmcnt(0)
	s_delay_alu instid0(VALU_DEP_1) | instskip(NEXT) | instid1(VALU_DEP_2)
	v_add_co_u32 v0, vcc_lo, s8, v0
	v_add_co_ci_u32_e32 v1, vcc_lo, s9, v1, vcc_lo
	s_delay_alu instid0(VALU_DEP_2) | instskip(NEXT) | instid1(VALU_DEP_2)
	v_add_co_u32 v4, vcc_lo, v0, v2
	v_add_co_ci_u32_e32 v5, vcc_lo, v1, v3, vcc_lo
	global_load_b128 v[0:3], v[4:5], off
	v_fma_f64 v[8:9], s[20:21], v[15:16], v[8:9]
	v_fma_f64 v[6:7], s[18:19], v[15:16], -v[6:7]
	s_waitcnt vmcnt(0)
	v_mul_f64 v[10:11], s[6:7], v[2:3]
	v_mul_f64 v[2:3], s[4:5], v[2:3]
	s_delay_alu instid0(VALU_DEP_2) | instskip(NEXT) | instid1(VALU_DEP_2)
	v_fma_f64 v[10:11], s[4:5], v[0:1], -v[10:11]
	v_fma_f64 v[2:3], s[6:7], v[0:1], v[2:3]
	s_delay_alu instid0(VALU_DEP_2) | instskip(NEXT) | instid1(VALU_DEP_2)
	v_add_f64 v[0:1], v[6:7], v[10:11]
	v_add_f64 v[2:3], v[8:9], v[2:3]
	global_store_b128 v[4:5], v[0:3], off
.LBB1674_11:
	s_nop 0
	s_sendmsg sendmsg(MSG_DEALLOC_VGPRS)
	s_endpgm
	.section	.rodata,"a",@progbits
	.p2align	6, 0x0
	.amdhsa_kernel _ZL32rocblas_syrkx_herkx_small_kernelIl19rocblas_complex_numIdELi16ELb0ELb0ELc67ELc76EKPKS1_KPS1_EviT_T0_PT6_S7_lSA_S7_lS8_PT7_S7_li
		.amdhsa_group_segment_fixed_size 8192
		.amdhsa_private_segment_fixed_size 0
		.amdhsa_kernarg_size 124
		.amdhsa_user_sgpr_count 13
		.amdhsa_user_sgpr_dispatch_ptr 0
		.amdhsa_user_sgpr_queue_ptr 0
		.amdhsa_user_sgpr_kernarg_segment_ptr 1
		.amdhsa_user_sgpr_dispatch_id 0
		.amdhsa_user_sgpr_private_segment_size 0
		.amdhsa_wavefront_size32 1
		.amdhsa_uses_dynamic_stack 0
		.amdhsa_enable_private_segment 0
		.amdhsa_system_sgpr_workgroup_id_x 1
		.amdhsa_system_sgpr_workgroup_id_y 1
		.amdhsa_system_sgpr_workgroup_id_z 1
		.amdhsa_system_sgpr_workgroup_info 0
		.amdhsa_system_vgpr_workitem_id 1
		.amdhsa_next_free_vgpr 53
		.amdhsa_next_free_sgpr 28
		.amdhsa_reserve_vcc 1
		.amdhsa_float_round_mode_32 0
		.amdhsa_float_round_mode_16_64 0
		.amdhsa_float_denorm_mode_32 3
		.amdhsa_float_denorm_mode_16_64 3
		.amdhsa_dx10_clamp 1
		.amdhsa_ieee_mode 1
		.amdhsa_fp16_overflow 0
		.amdhsa_workgroup_processor_mode 1
		.amdhsa_memory_ordered 1
		.amdhsa_forward_progress 0
		.amdhsa_shared_vgpr_count 0
		.amdhsa_exception_fp_ieee_invalid_op 0
		.amdhsa_exception_fp_denorm_src 0
		.amdhsa_exception_fp_ieee_div_zero 0
		.amdhsa_exception_fp_ieee_overflow 0
		.amdhsa_exception_fp_ieee_underflow 0
		.amdhsa_exception_fp_ieee_inexact 0
		.amdhsa_exception_int_div_zero 0
	.end_amdhsa_kernel
	.section	.text._ZL32rocblas_syrkx_herkx_small_kernelIl19rocblas_complex_numIdELi16ELb0ELb0ELc67ELc76EKPKS1_KPS1_EviT_T0_PT6_S7_lSA_S7_lS8_PT7_S7_li,"axG",@progbits,_ZL32rocblas_syrkx_herkx_small_kernelIl19rocblas_complex_numIdELi16ELb0ELb0ELc67ELc76EKPKS1_KPS1_EviT_T0_PT6_S7_lSA_S7_lS8_PT7_S7_li,comdat
.Lfunc_end1674:
	.size	_ZL32rocblas_syrkx_herkx_small_kernelIl19rocblas_complex_numIdELi16ELb0ELb0ELc67ELc76EKPKS1_KPS1_EviT_T0_PT6_S7_lSA_S7_lS8_PT7_S7_li, .Lfunc_end1674-_ZL32rocblas_syrkx_herkx_small_kernelIl19rocblas_complex_numIdELi16ELb0ELb0ELc67ELc76EKPKS1_KPS1_EviT_T0_PT6_S7_lSA_S7_lS8_PT7_S7_li
                                        ; -- End function
	.section	.AMDGPU.csdata,"",@progbits
; Kernel info:
; codeLenInByte = 2068
; NumSgprs: 30
; NumVgprs: 53
; ScratchSize: 0
; MemoryBound: 1
; FloatMode: 240
; IeeeMode: 1
; LDSByteSize: 8192 bytes/workgroup (compile time only)
; SGPRBlocks: 3
; VGPRBlocks: 6
; NumSGPRsForWavesPerEU: 30
; NumVGPRsForWavesPerEU: 53
; Occupancy: 16
; WaveLimiterHint : 1
; COMPUTE_PGM_RSRC2:SCRATCH_EN: 0
; COMPUTE_PGM_RSRC2:USER_SGPR: 13
; COMPUTE_PGM_RSRC2:TRAP_HANDLER: 0
; COMPUTE_PGM_RSRC2:TGID_X_EN: 1
; COMPUTE_PGM_RSRC2:TGID_Y_EN: 1
; COMPUTE_PGM_RSRC2:TGID_Z_EN: 1
; COMPUTE_PGM_RSRC2:TIDIG_COMP_CNT: 1
	.section	.text._ZL32rocblas_syrkx_herkx_small_kernelIl19rocblas_complex_numIdELi16ELb0ELb0ELc78ELc76EKPKS1_KPS1_EviT_T0_PT6_S7_lSA_S7_lS8_PT7_S7_li,"axG",@progbits,_ZL32rocblas_syrkx_herkx_small_kernelIl19rocblas_complex_numIdELi16ELb0ELb0ELc78ELc76EKPKS1_KPS1_EviT_T0_PT6_S7_lSA_S7_lS8_PT7_S7_li,comdat
	.globl	_ZL32rocblas_syrkx_herkx_small_kernelIl19rocblas_complex_numIdELi16ELb0ELb0ELc78ELc76EKPKS1_KPS1_EviT_T0_PT6_S7_lSA_S7_lS8_PT7_S7_li ; -- Begin function _ZL32rocblas_syrkx_herkx_small_kernelIl19rocblas_complex_numIdELi16ELb0ELb0ELc78ELc76EKPKS1_KPS1_EviT_T0_PT6_S7_lSA_S7_lS8_PT7_S7_li
	.p2align	8
	.type	_ZL32rocblas_syrkx_herkx_small_kernelIl19rocblas_complex_numIdELi16ELb0ELb0ELc78ELc76EKPKS1_KPS1_EviT_T0_PT6_S7_lSA_S7_lS8_PT7_S7_li,@function
_ZL32rocblas_syrkx_herkx_small_kernelIl19rocblas_complex_numIdELi16ELb0ELb0ELc78ELc76EKPKS1_KPS1_EviT_T0_PT6_S7_lSA_S7_lS8_PT7_S7_li: ; @_ZL32rocblas_syrkx_herkx_small_kernelIl19rocblas_complex_numIdELi16ELb0ELb0ELc78ELc76EKPKS1_KPS1_EviT_T0_PT6_S7_lSA_S7_lS8_PT7_S7_li
; %bb.0:
	s_clause 0x2
	s_load_b256 s[4:11], s[0:1], 0x50
	s_load_b256 s[16:23], s[0:1], 0x8
	s_load_b32 s3, s[0:1], 0x0
	s_mov_b32 s24, s15
	s_mov_b32 s25, 0
	v_and_b32_e32 v17, 0x3ff, v0
	s_lshl_b64 s[26:27], s[24:25], 3
	v_bfe_u32 v18, v0, 10, 10
	v_mov_b32_e32 v13, 0
	v_mov_b32_e32 v14, 0
	v_lshl_add_u32 v5, s13, 4, v17
	s_delay_alu instid0(VALU_DEP_4) | instskip(NEXT) | instid1(VALU_DEP_3)
	v_lshl_add_u32 v7, s14, 4, v18
	v_dual_mov_b32 v16, v14 :: v_dual_mov_b32 v15, v13
	s_delay_alu instid0(VALU_DEP_3) | instskip(NEXT) | instid1(VALU_DEP_3)
	v_ashrrev_i32_e32 v6, 31, v5
	v_ashrrev_i32_e32 v8, 31, v7
	s_waitcnt lgkmcnt(0)
	s_add_u32 s8, s8, s26
	s_addc_u32 s9, s9, s27
	s_load_b64 s[24:25], s[0:1], 0x28
	s_load_b64 s[8:9], s[8:9], 0x0
	v_cmp_lt_i64_e64 s2, s[16:17], 1
	s_delay_alu instid0(VALU_DEP_1)
	s_and_b32 vcc_lo, exec_lo, s2
	v_cmp_gt_i32_e64 s2, s3, v5
	s_cbranch_vccnz .LBB1675_9
; %bb.1:
	s_load_b128 s[12:15], s[0:1], 0x38
	s_waitcnt lgkmcnt(0)
	v_mad_u64_u32 v[3:4], null, s24, v18, 0
	v_dual_mov_b32 v0, 0 :: v_dual_lshlrev_b32 v23, 8, v18
	v_lshlrev_b32_e32 v19, 4, v17
	v_lshlrev_b64 v[9:10], 4, v[7:8]
	v_lshlrev_b64 v[11:12], 4, v[5:6]
	v_cmp_gt_i32_e64 s0, s3, v7
	v_mad_u64_u32 v[21:22], null, s25, v18, v[4:5]
	v_mad_u64_u32 v[1:2], null, s14, v17, 0
	s_add_u32 s12, s12, s26
	s_addc_u32 s13, s13, s27
	s_add_u32 s22, s22, s26
	s_load_b64 s[28:29], s[12:13], 0x0
	s_addc_u32 s23, s23, s27
	s_lshl_b64 s[12:13], s[14:15], 8
	s_delay_alu instid0(VALU_DEP_1)
	v_mad_u64_u32 v[15:16], null, s15, v17, v[2:3]
	v_mov_b32_e32 v13, 0
	s_load_b64 s[22:23], s[22:23], 0x0
	v_mov_b32_e32 v14, 0
	v_dual_mov_b32 v4, v21 :: v_dual_add_nc_u32 v21, v19, v23
	v_add_nc_u32_e32 v20, 0x1000, v23
	v_mov_b32_e32 v2, v15
	s_delay_alu instid0(VALU_DEP_4) | instskip(NEXT) | instid1(VALU_DEP_4)
	v_dual_mov_b32 v16, v14 :: v_dual_mov_b32 v15, v13
	v_lshlrev_b64 v[3:4], 4, v[3:4]
	s_delay_alu instid0(VALU_DEP_4) | instskip(NEXT) | instid1(VALU_DEP_4)
	v_add_nc_u32_e32 v22, v20, v19
	v_lshlrev_b64 v[1:2], 4, v[1:2]
	s_lshl_b64 s[14:15], s[24:25], 8
	s_xor_b32 s1, s2, -1
	s_delay_alu instid0(VALU_DEP_1) | instskip(NEXT) | instid1(VALU_DEP_2)
	v_add_co_u32 v1, vcc_lo, v1, v9
	v_add_co_ci_u32_e32 v2, vcc_lo, v2, v10, vcc_lo
	v_add_co_u32 v3, vcc_lo, v3, v11
	v_add_co_ci_u32_e32 v4, vcc_lo, v4, v12, vcc_lo
	s_waitcnt lgkmcnt(0)
	v_add_co_u32 v1, vcc_lo, v1, s28
	v_add_co_ci_u32_e32 v2, vcc_lo, s29, v2, vcc_lo
	v_add_co_u32 v9, vcc_lo, s22, v3
	v_add_co_ci_u32_e32 v10, vcc_lo, s23, v4, vcc_lo
	s_delay_alu instid0(VALU_DEP_4) | instskip(NEXT) | instid1(VALU_DEP_4)
	v_add_co_u32 v11, vcc_lo, v1, 8
	v_add_co_ci_u32_e32 v12, vcc_lo, 0, v2, vcc_lo
	s_mov_b64 s[22:23], 0
	s_branch .LBB1675_3
.LBB1675_2:                             ;   in Loop: Header=BB1675_3 Depth=1
	s_or_b32 exec_lo, exec_lo, s2
	s_waitcnt vmcnt(0)
	ds_store_b128 v22, v[1:4]
	s_waitcnt lgkmcnt(0)
	s_barrier
	buffer_gl0_inv
	ds_load_b128 v[1:4], v19
	ds_load_b128 v[23:26], v20
	ds_load_b128 v[27:30], v20 offset:16
	ds_load_b128 v[31:34], v19 offset:256
	s_add_u32 s22, s22, 16
	s_addc_u32 s23, s23, 0
	v_add_co_u32 v11, vcc_lo, v11, s12
	v_cmp_ge_i64_e64 s2, s[22:23], s[16:17]
	v_add_co_ci_u32_e32 v12, vcc_lo, s13, v12, vcc_lo
	v_add_co_u32 v9, vcc_lo, v9, s14
	v_add_co_ci_u32_e32 v10, vcc_lo, s15, v10, vcc_lo
	s_delay_alu instid0(VALU_DEP_4)
	s_and_b32 vcc_lo, exec_lo, s2
	s_waitcnt lgkmcnt(2)
	v_mul_f64 v[35:36], v[25:26], v[3:4]
	v_mul_f64 v[3:4], v[23:24], v[3:4]
	s_waitcnt lgkmcnt(0)
	v_mul_f64 v[41:42], v[29:30], v[33:34]
	v_mul_f64 v[43:44], v[27:28], v[33:34]
	s_delay_alu instid0(VALU_DEP_4) | instskip(NEXT) | instid1(VALU_DEP_4)
	v_fma_f64 v[45:46], v[23:24], v[1:2], -v[35:36]
	v_fma_f64 v[47:48], v[25:26], v[1:2], v[3:4]
	ds_load_b128 v[1:4], v19 offset:512
	ds_load_b128 v[23:26], v20 offset:32
	;; [unrolled: 1-line block ×4, first 2 shown]
	v_fma_f64 v[27:28], v[27:28], v[31:32], -v[41:42]
	v_fma_f64 v[29:30], v[29:30], v[31:32], v[43:44]
	s_waitcnt lgkmcnt(2)
	v_mul_f64 v[49:50], v[25:26], v[3:4]
	v_mul_f64 v[3:4], v[23:24], v[3:4]
	s_waitcnt lgkmcnt(0)
	v_mul_f64 v[31:32], v[35:36], v[39:40]
	v_mul_f64 v[39:40], v[33:34], v[39:40]
	v_add_f64 v[15:16], v[15:16], v[45:46]
	v_add_f64 v[13:14], v[13:14], v[47:48]
	v_fma_f64 v[41:42], v[23:24], v[1:2], -v[49:50]
	v_fma_f64 v[43:44], v[25:26], v[1:2], v[3:4]
	v_fma_f64 v[31:32], v[33:34], v[37:38], -v[31:32]
	v_fma_f64 v[33:34], v[35:36], v[37:38], v[39:40]
	v_add_f64 v[45:46], v[15:16], v[27:28]
	v_add_f64 v[47:48], v[13:14], v[29:30]
	ds_load_b128 v[1:4], v19 offset:1024
	ds_load_b128 v[13:16], v20 offset:64
	ds_load_b128 v[23:26], v20 offset:80
	ds_load_b128 v[27:30], v19 offset:1280
	s_waitcnt lgkmcnt(2)
	v_mul_f64 v[49:50], v[15:16], v[3:4]
	v_mul_f64 v[3:4], v[13:14], v[3:4]
	s_waitcnt lgkmcnt(0)
	v_mul_f64 v[39:40], v[25:26], v[29:30]
	v_add_f64 v[35:36], v[45:46], v[41:42]
	v_add_f64 v[37:38], v[47:48], v[43:44]
	v_mul_f64 v[41:42], v[23:24], v[29:30]
	v_fma_f64 v[43:44], v[13:14], v[1:2], -v[49:50]
	v_fma_f64 v[45:46], v[15:16], v[1:2], v[3:4]
	v_fma_f64 v[23:24], v[23:24], v[27:28], -v[39:40]
	v_add_f64 v[47:48], v[35:36], v[31:32]
	v_add_f64 v[37:38], v[37:38], v[33:34]
	ds_load_b128 v[1:4], v19 offset:1536
	ds_load_b128 v[13:16], v20 offset:96
	;; [unrolled: 1-line block ×4, first 2 shown]
	v_fma_f64 v[25:26], v[25:26], v[27:28], v[41:42]
	s_waitcnt lgkmcnt(2)
	v_mul_f64 v[49:50], v[15:16], v[3:4]
	v_mul_f64 v[3:4], v[13:14], v[3:4]
	s_waitcnt lgkmcnt(0)
	v_mul_f64 v[39:40], v[31:32], v[35:36]
	v_mul_f64 v[41:42], v[29:30], v[35:36]
	v_add_f64 v[27:28], v[47:48], v[43:44]
	v_add_f64 v[37:38], v[37:38], v[45:46]
	v_fma_f64 v[43:44], v[13:14], v[1:2], -v[49:50]
	v_fma_f64 v[45:46], v[15:16], v[1:2], v[3:4]
	v_fma_f64 v[29:30], v[29:30], v[33:34], -v[39:40]
	v_fma_f64 v[31:32], v[31:32], v[33:34], v[41:42]
	v_add_f64 v[27:28], v[27:28], v[23:24]
	v_add_f64 v[47:48], v[37:38], v[25:26]
	ds_load_b128 v[1:4], v19 offset:2048
	ds_load_b128 v[13:16], v20 offset:128
	;; [unrolled: 1-line block ×4, first 2 shown]
	s_waitcnt lgkmcnt(2)
	v_mul_f64 v[49:50], v[15:16], v[3:4]
	v_mul_f64 v[3:4], v[13:14], v[3:4]
	s_waitcnt lgkmcnt(0)
	v_mul_f64 v[39:40], v[25:26], v[37:38]
	v_mul_f64 v[37:38], v[23:24], v[37:38]
	v_add_f64 v[27:28], v[27:28], v[43:44]
	v_add_f64 v[33:34], v[47:48], v[45:46]
	v_fma_f64 v[41:42], v[13:14], v[1:2], -v[49:50]
	v_fma_f64 v[43:44], v[15:16], v[1:2], v[3:4]
	v_fma_f64 v[23:24], v[23:24], v[35:36], -v[39:40]
	v_fma_f64 v[25:26], v[25:26], v[35:36], v[37:38]
	v_add_f64 v[45:46], v[27:28], v[29:30]
	v_add_f64 v[47:48], v[33:34], v[31:32]
	ds_load_b128 v[1:4], v19 offset:2560
	ds_load_b128 v[13:16], v20 offset:160
	;; [unrolled: 1-line block ×4, first 2 shown]
	s_waitcnt lgkmcnt(2)
	v_mul_f64 v[49:50], v[15:16], v[3:4]
	v_mul_f64 v[3:4], v[13:14], v[3:4]
	s_waitcnt lgkmcnt(0)
	v_mul_f64 v[39:40], v[29:30], v[33:34]
	v_add_f64 v[35:36], v[45:46], v[41:42]
	v_add_f64 v[37:38], v[47:48], v[43:44]
	v_mul_f64 v[41:42], v[27:28], v[33:34]
	v_fma_f64 v[43:44], v[13:14], v[1:2], -v[49:50]
	v_fma_f64 v[45:46], v[15:16], v[1:2], v[3:4]
	v_fma_f64 v[27:28], v[27:28], v[31:32], -v[39:40]
	v_add_f64 v[47:48], v[35:36], v[23:24]
	v_add_f64 v[37:38], v[37:38], v[25:26]
	ds_load_b128 v[1:4], v19 offset:3072
	ds_load_b128 v[13:16], v20 offset:192
	;; [unrolled: 1-line block ×4, first 2 shown]
	v_fma_f64 v[29:30], v[29:30], v[31:32], v[41:42]
	s_waitcnt lgkmcnt(2)
	v_mul_f64 v[49:50], v[15:16], v[3:4]
	v_mul_f64 v[3:4], v[13:14], v[3:4]
	s_waitcnt lgkmcnt(0)
	v_mul_f64 v[39:40], v[25:26], v[35:36]
	v_mul_f64 v[41:42], v[23:24], v[35:36]
	v_add_f64 v[31:32], v[47:48], v[43:44]
	v_add_f64 v[37:38], v[37:38], v[45:46]
	v_fma_f64 v[43:44], v[13:14], v[1:2], -v[49:50]
	v_fma_f64 v[45:46], v[15:16], v[1:2], v[3:4]
	v_fma_f64 v[23:24], v[23:24], v[33:34], -v[39:40]
	v_fma_f64 v[25:26], v[25:26], v[33:34], v[41:42]
	v_add_f64 v[31:32], v[31:32], v[27:28]
	v_add_f64 v[47:48], v[37:38], v[29:30]
	ds_load_b128 v[1:4], v19 offset:3584
	ds_load_b128 v[13:16], v20 offset:224
	;; [unrolled: 1-line block ×4, first 2 shown]
	s_waitcnt lgkmcnt(0)
	s_barrier
	buffer_gl0_inv
	v_mul_f64 v[49:50], v[15:16], v[3:4]
	v_mul_f64 v[3:4], v[13:14], v[3:4]
	;; [unrolled: 1-line block ×4, first 2 shown]
	v_add_f64 v[31:32], v[31:32], v[43:44]
	v_add_f64 v[33:34], v[47:48], v[45:46]
	v_fma_f64 v[13:14], v[13:14], v[1:2], -v[49:50]
	v_fma_f64 v[1:2], v[15:16], v[1:2], v[3:4]
	s_delay_alu instid0(VALU_DEP_4) | instskip(NEXT) | instid1(VALU_DEP_4)
	v_add_f64 v[3:4], v[31:32], v[23:24]
	v_add_f64 v[15:16], v[33:34], v[25:26]
	v_fma_f64 v[23:24], v[27:28], v[35:36], -v[39:40]
	v_fma_f64 v[25:26], v[29:30], v[35:36], v[37:38]
	s_delay_alu instid0(VALU_DEP_4) | instskip(NEXT) | instid1(VALU_DEP_4)
	v_add_f64 v[3:4], v[3:4], v[13:14]
	v_add_f64 v[1:2], v[15:16], v[1:2]
	s_delay_alu instid0(VALU_DEP_2) | instskip(NEXT) | instid1(VALU_DEP_2)
	v_add_f64 v[15:16], v[3:4], v[23:24]
	v_add_f64 v[13:14], v[1:2], v[25:26]
	s_cbranch_vccnz .LBB1675_9
.LBB1675_3:                             ; =>This Inner Loop Header: Depth=1
	v_add_co_u32 v1, s2, v18, s22
	s_delay_alu instid0(VALU_DEP_1) | instskip(NEXT) | instid1(VALU_DEP_1)
	v_add_co_ci_u32_e64 v2, null, 0, s23, s2
	v_cmp_le_i64_e32 vcc_lo, s[16:17], v[1:2]
	s_or_b32 s2, s1, vcc_lo
	s_delay_alu instid0(SALU_CYCLE_1) | instskip(NEXT) | instid1(SALU_CYCLE_1)
	s_and_saveexec_b32 s24, s2
	s_xor_b32 s2, exec_lo, s24
	s_cbranch_execz .LBB1675_5
; %bb.4:                                ;   in Loop: Header=BB1675_3 Depth=1
	v_mov_b32_e32 v1, v0
	v_mov_b32_e32 v2, v0
	;; [unrolled: 1-line block ×3, first 2 shown]
	ds_store_b128 v21, v[0:3]
.LBB1675_5:                             ;   in Loop: Header=BB1675_3 Depth=1
	s_and_not1_saveexec_b32 s2, s2
	s_cbranch_execz .LBB1675_7
; %bb.6:                                ;   in Loop: Header=BB1675_3 Depth=1
	global_load_b128 v[1:4], v[9:10], off
	s_waitcnt vmcnt(0)
	ds_store_2addr_b64 v21, v[1:2], v[3:4] offset1:1
.LBB1675_7:                             ;   in Loop: Header=BB1675_3 Depth=1
	s_or_b32 exec_lo, exec_lo, s2
	v_add_co_u32 v3, s2, v17, s22
	s_delay_alu instid0(VALU_DEP_1) | instskip(SKIP_2) | instid1(VALU_DEP_3)
	v_add_co_ci_u32_e64 v4, null, 0, s23, s2
	v_mov_b32_e32 v1, 0
	v_mov_b32_e32 v2, 0
	v_cmp_gt_i64_e32 vcc_lo, s[16:17], v[3:4]
	s_delay_alu instid0(VALU_DEP_2) | instskip(SKIP_1) | instid1(SALU_CYCLE_1)
	v_dual_mov_b32 v4, v2 :: v_dual_mov_b32 v3, v1
	s_and_b32 s24, s0, vcc_lo
	s_and_saveexec_b32 s2, s24
	s_cbranch_execz .LBB1675_2
; %bb.8:                                ;   in Loop: Header=BB1675_3 Depth=1
	global_load_b128 v[1:4], v[11:12], off offset:-8
	s_branch .LBB1675_2
.LBB1675_9:
	v_cmp_le_i32_e32 vcc_lo, v7, v5
	v_cmp_gt_i32_e64 s0, s3, v5
	s_delay_alu instid0(VALU_DEP_1) | instskip(NEXT) | instid1(SALU_CYCLE_1)
	s_and_b32 s0, vcc_lo, s0
	s_and_saveexec_b32 s1, s0
	s_cbranch_execz .LBB1675_11
; %bb.10:
	v_mul_lo_u32 v2, v7, s11
	v_mul_lo_u32 v3, v8, s10
	v_mad_u64_u32 v[0:1], null, v7, s10, 0
	v_mul_f64 v[8:9], s[18:19], v[13:14]
	s_delay_alu instid0(VALU_DEP_2) | instskip(SKIP_2) | instid1(VALU_DEP_3)
	v_add3_u32 v1, v1, v2, v3
	v_lshlrev_b64 v[2:3], 4, v[5:6]
	v_mul_f64 v[6:7], s[20:21], v[13:14]
	v_lshlrev_b64 v[0:1], 4, v[0:1]
	s_waitcnt lgkmcnt(0)
	s_delay_alu instid0(VALU_DEP_1) | instskip(NEXT) | instid1(VALU_DEP_2)
	v_add_co_u32 v0, vcc_lo, s8, v0
	v_add_co_ci_u32_e32 v1, vcc_lo, s9, v1, vcc_lo
	s_delay_alu instid0(VALU_DEP_2) | instskip(NEXT) | instid1(VALU_DEP_2)
	v_add_co_u32 v4, vcc_lo, v0, v2
	v_add_co_ci_u32_e32 v5, vcc_lo, v1, v3, vcc_lo
	global_load_b128 v[0:3], v[4:5], off
	v_fma_f64 v[8:9], s[20:21], v[15:16], v[8:9]
	v_fma_f64 v[6:7], s[18:19], v[15:16], -v[6:7]
	s_waitcnt vmcnt(0)
	v_mul_f64 v[10:11], s[6:7], v[2:3]
	v_mul_f64 v[2:3], s[4:5], v[2:3]
	s_delay_alu instid0(VALU_DEP_2) | instskip(NEXT) | instid1(VALU_DEP_2)
	v_fma_f64 v[10:11], s[4:5], v[0:1], -v[10:11]
	v_fma_f64 v[2:3], s[6:7], v[0:1], v[2:3]
	s_delay_alu instid0(VALU_DEP_2) | instskip(NEXT) | instid1(VALU_DEP_2)
	v_add_f64 v[0:1], v[6:7], v[10:11]
	v_add_f64 v[2:3], v[8:9], v[2:3]
	global_store_b128 v[4:5], v[0:3], off
.LBB1675_11:
	s_nop 0
	s_sendmsg sendmsg(MSG_DEALLOC_VGPRS)
	s_endpgm
	.section	.rodata,"a",@progbits
	.p2align	6, 0x0
	.amdhsa_kernel _ZL32rocblas_syrkx_herkx_small_kernelIl19rocblas_complex_numIdELi16ELb0ELb0ELc78ELc76EKPKS1_KPS1_EviT_T0_PT6_S7_lSA_S7_lS8_PT7_S7_li
		.amdhsa_group_segment_fixed_size 8192
		.amdhsa_private_segment_fixed_size 0
		.amdhsa_kernarg_size 124
		.amdhsa_user_sgpr_count 13
		.amdhsa_user_sgpr_dispatch_ptr 0
		.amdhsa_user_sgpr_queue_ptr 0
		.amdhsa_user_sgpr_kernarg_segment_ptr 1
		.amdhsa_user_sgpr_dispatch_id 0
		.amdhsa_user_sgpr_private_segment_size 0
		.amdhsa_wavefront_size32 1
		.amdhsa_uses_dynamic_stack 0
		.amdhsa_enable_private_segment 0
		.amdhsa_system_sgpr_workgroup_id_x 1
		.amdhsa_system_sgpr_workgroup_id_y 1
		.amdhsa_system_sgpr_workgroup_id_z 1
		.amdhsa_system_sgpr_workgroup_info 0
		.amdhsa_system_vgpr_workitem_id 1
		.amdhsa_next_free_vgpr 51
		.amdhsa_next_free_sgpr 30
		.amdhsa_reserve_vcc 1
		.amdhsa_float_round_mode_32 0
		.amdhsa_float_round_mode_16_64 0
		.amdhsa_float_denorm_mode_32 3
		.amdhsa_float_denorm_mode_16_64 3
		.amdhsa_dx10_clamp 1
		.amdhsa_ieee_mode 1
		.amdhsa_fp16_overflow 0
		.amdhsa_workgroup_processor_mode 1
		.amdhsa_memory_ordered 1
		.amdhsa_forward_progress 0
		.amdhsa_shared_vgpr_count 0
		.amdhsa_exception_fp_ieee_invalid_op 0
		.amdhsa_exception_fp_denorm_src 0
		.amdhsa_exception_fp_ieee_div_zero 0
		.amdhsa_exception_fp_ieee_overflow 0
		.amdhsa_exception_fp_ieee_underflow 0
		.amdhsa_exception_fp_ieee_inexact 0
		.amdhsa_exception_int_div_zero 0
	.end_amdhsa_kernel
	.section	.text._ZL32rocblas_syrkx_herkx_small_kernelIl19rocblas_complex_numIdELi16ELb0ELb0ELc78ELc76EKPKS1_KPS1_EviT_T0_PT6_S7_lSA_S7_lS8_PT7_S7_li,"axG",@progbits,_ZL32rocblas_syrkx_herkx_small_kernelIl19rocblas_complex_numIdELi16ELb0ELb0ELc78ELc76EKPKS1_KPS1_EviT_T0_PT6_S7_lSA_S7_lS8_PT7_S7_li,comdat
.Lfunc_end1675:
	.size	_ZL32rocblas_syrkx_herkx_small_kernelIl19rocblas_complex_numIdELi16ELb0ELb0ELc78ELc76EKPKS1_KPS1_EviT_T0_PT6_S7_lSA_S7_lS8_PT7_S7_li, .Lfunc_end1675-_ZL32rocblas_syrkx_herkx_small_kernelIl19rocblas_complex_numIdELi16ELb0ELb0ELc78ELc76EKPKS1_KPS1_EviT_T0_PT6_S7_lSA_S7_lS8_PT7_S7_li
                                        ; -- End function
	.section	.AMDGPU.csdata,"",@progbits
; Kernel info:
; codeLenInByte = 2028
; NumSgprs: 32
; NumVgprs: 51
; ScratchSize: 0
; MemoryBound: 1
; FloatMode: 240
; IeeeMode: 1
; LDSByteSize: 8192 bytes/workgroup (compile time only)
; SGPRBlocks: 3
; VGPRBlocks: 6
; NumSGPRsForWavesPerEU: 32
; NumVGPRsForWavesPerEU: 51
; Occupancy: 16
; WaveLimiterHint : 1
; COMPUTE_PGM_RSRC2:SCRATCH_EN: 0
; COMPUTE_PGM_RSRC2:USER_SGPR: 13
; COMPUTE_PGM_RSRC2:TRAP_HANDLER: 0
; COMPUTE_PGM_RSRC2:TGID_X_EN: 1
; COMPUTE_PGM_RSRC2:TGID_Y_EN: 1
; COMPUTE_PGM_RSRC2:TGID_Z_EN: 1
; COMPUTE_PGM_RSRC2:TIDIG_COMP_CNT: 1
	.section	.text._ZL32rocblas_syrkx_herkx_small_kernelIl19rocblas_complex_numIdELi16ELb0ELb0ELc84ELc85EKPKS1_KPS1_EviT_T0_PT6_S7_lSA_S7_lS8_PT7_S7_li,"axG",@progbits,_ZL32rocblas_syrkx_herkx_small_kernelIl19rocblas_complex_numIdELi16ELb0ELb0ELc84ELc85EKPKS1_KPS1_EviT_T0_PT6_S7_lSA_S7_lS8_PT7_S7_li,comdat
	.globl	_ZL32rocblas_syrkx_herkx_small_kernelIl19rocblas_complex_numIdELi16ELb0ELb0ELc84ELc85EKPKS1_KPS1_EviT_T0_PT6_S7_lSA_S7_lS8_PT7_S7_li ; -- Begin function _ZL32rocblas_syrkx_herkx_small_kernelIl19rocblas_complex_numIdELi16ELb0ELb0ELc84ELc85EKPKS1_KPS1_EviT_T0_PT6_S7_lSA_S7_lS8_PT7_S7_li
	.p2align	8
	.type	_ZL32rocblas_syrkx_herkx_small_kernelIl19rocblas_complex_numIdELi16ELb0ELb0ELc84ELc85EKPKS1_KPS1_EviT_T0_PT6_S7_lSA_S7_lS8_PT7_S7_li,@function
_ZL32rocblas_syrkx_herkx_small_kernelIl19rocblas_complex_numIdELi16ELb0ELb0ELc84ELc85EKPKS1_KPS1_EviT_T0_PT6_S7_lSA_S7_lS8_PT7_S7_li: ; @_ZL32rocblas_syrkx_herkx_small_kernelIl19rocblas_complex_numIdELi16ELb0ELb0ELc84ELc85EKPKS1_KPS1_EviT_T0_PT6_S7_lSA_S7_lS8_PT7_S7_li
; %bb.0:
	s_clause 0x2
	s_load_b256 s[4:11], s[0:1], 0x50
	s_load_b256 s[16:23], s[0:1], 0x8
	s_load_b32 s3, s[0:1], 0x0
	s_mov_b32 s24, s15
	s_mov_b32 s25, 0
	v_and_b32_e32 v16, 0x3ff, v0
	s_lshl_b64 s[24:25], s[24:25], 3
	v_bfe_u32 v17, v0, 10, 10
	v_mov_b32_e32 v10, 0
	v_mov_b32_e32 v11, 0
	v_lshl_add_u32 v4, s13, 4, v16
	s_delay_alu instid0(VALU_DEP_4) | instskip(NEXT) | instid1(VALU_DEP_3)
	v_lshl_add_u32 v14, s14, 4, v17
	v_dual_mov_b32 v13, v11 :: v_dual_mov_b32 v12, v10
	s_delay_alu instid0(VALU_DEP_3) | instskip(NEXT) | instid1(VALU_DEP_3)
	v_ashrrev_i32_e32 v5, 31, v4
	v_ashrrev_i32_e32 v15, 31, v14
	s_waitcnt lgkmcnt(0)
	s_add_u32 s8, s8, s24
	s_addc_u32 s9, s9, s25
	s_load_b64 s[26:27], s[0:1], 0x28
	s_load_b64 s[8:9], s[8:9], 0x0
	v_cmp_lt_i64_e64 s2, s[16:17], 1
	s_delay_alu instid0(VALU_DEP_1)
	s_and_b32 vcc_lo, exec_lo, s2
	v_cmp_gt_i32_e64 s2, s3, v14
	s_cbranch_vccnz .LBB1676_11
; %bb.1:
	s_load_b128 s[12:15], s[0:1], 0x38
	s_waitcnt lgkmcnt(0)
	v_mul_lo_u32 v8, s27, v4
	v_mul_lo_u32 v9, s26, v5
	v_mad_u64_u32 v[6:7], null, s26, v4, 0
	v_dual_mov_b32 v0, 0 :: v_dual_lshlrev_b32 v3, 8, v17
	v_lshlrev_b32_e32 v18, 4, v16
	v_lshlrev_b32_e32 v12, 4, v17
	v_cmp_gt_i32_e32 vcc_lo, s3, v4
	v_add3_u32 v7, v7, v9, v8
	v_add_nc_u32_e32 v19, 0x1000, v3
	s_delay_alu instid0(VALU_DEP_2)
	v_lshlrev_b64 v[6:7], 4, v[6:7]
	v_mul_lo_u32 v10, s15, v14
	v_mul_lo_u32 v11, s14, v15
	v_mad_u64_u32 v[1:2], null, s14, v14, 0
	s_add_u32 s0, s12, s24
	s_addc_u32 s1, s13, s25
	s_add_u32 s12, s22, s24
	s_load_b64 s[14:15], s[0:1], 0x0
	s_addc_u32 s13, s23, s25
	s_xor_b32 s2, s2, -1
	s_delay_alu instid0(VALU_DEP_1) | instskip(SKIP_3) | instid1(VALU_DEP_3)
	v_add3_u32 v2, v2, v11, v10
	v_mov_b32_e32 v10, 0
	s_load_b64 s[12:13], s[12:13], 0x0
	v_dual_mov_b32 v11, 0 :: v_dual_add_nc_u32 v20, v18, v3
	v_lshlrev_b64 v[1:2], 4, v[1:2]
	v_add_nc_u32_e32 v21, v19, v18
	s_delay_alu instid0(VALU_DEP_2) | instskip(NEXT) | instid1(VALU_DEP_1)
	v_add_co_u32 v1, s0, v1, v18
	v_add_co_ci_u32_e64 v2, s0, 0, v2, s0
	v_add_co_u32 v3, s0, v6, v12
	s_delay_alu instid0(VALU_DEP_1) | instskip(SKIP_2) | instid1(VALU_DEP_1)
	v_add_co_ci_u32_e64 v9, s0, 0, v7, s0
	s_waitcnt lgkmcnt(0)
	v_add_co_u32 v6, s0, s14, v1
	v_add_co_ci_u32_e64 v7, s0, s15, v2, s0
	v_add_co_u32 v8, s0, s12, v3
	v_dual_mov_b32 v13, v11 :: v_dual_mov_b32 v12, v10
	v_add_co_ci_u32_e64 v9, s0, s13, v9, s0
	s_mov_b64 s[0:1], 0
	s_xor_b32 s12, vcc_lo, -1
	s_branch .LBB1676_3
.LBB1676_2:                             ;   in Loop: Header=BB1676_3 Depth=1
	s_or_b32 exec_lo, exec_lo, s13
	s_waitcnt lgkmcnt(0)
	s_barrier
	buffer_gl0_inv
	ds_load_b128 v[22:25], v18
	ds_load_b128 v[26:29], v19
	ds_load_b128 v[30:33], v19 offset:16
	ds_load_b128 v[34:37], v18 offset:256
	s_add_u32 s0, s0, 16
	s_addc_u32 s1, s1, 0
	v_add_co_u32 v6, vcc_lo, 0x100, v6
	v_cmp_ge_i64_e64 s13, s[0:1], s[16:17]
	v_add_co_ci_u32_e32 v7, vcc_lo, 0, v7, vcc_lo
	v_add_co_u32 v8, vcc_lo, 0x100, v8
	v_add_co_ci_u32_e32 v9, vcc_lo, 0, v9, vcc_lo
	s_delay_alu instid0(VALU_DEP_4)
	s_and_b32 vcc_lo, exec_lo, s13
	s_waitcnt lgkmcnt(2)
	v_mul_f64 v[1:2], v[28:29], v[24:25]
	v_mul_f64 v[24:25], v[26:27], v[24:25]
	s_waitcnt lgkmcnt(0)
	v_mul_f64 v[44:45], v[32:33], v[36:37]
	v_mul_f64 v[46:47], v[30:31], v[36:37]
	s_delay_alu instid0(VALU_DEP_4) | instskip(NEXT) | instid1(VALU_DEP_4)
	v_fma_f64 v[1:2], v[26:27], v[22:23], -v[1:2]
	v_fma_f64 v[48:49], v[28:29], v[22:23], v[24:25]
	ds_load_b128 v[22:25], v18 offset:512
	ds_load_b128 v[26:29], v19 offset:32
	;; [unrolled: 1-line block ×4, first 2 shown]
	v_fma_f64 v[30:31], v[30:31], v[34:35], -v[44:45]
	v_fma_f64 v[32:33], v[32:33], v[34:35], v[46:47]
	s_waitcnt lgkmcnt(2)
	v_mul_f64 v[50:51], v[28:29], v[24:25]
	v_mul_f64 v[24:25], v[26:27], v[24:25]
	s_waitcnt lgkmcnt(0)
	v_mul_f64 v[34:35], v[38:39], v[42:43]
	v_mul_f64 v[42:43], v[36:37], v[42:43]
	v_add_f64 v[1:2], v[12:13], v[1:2]
	v_add_f64 v[10:11], v[10:11], v[48:49]
	v_fma_f64 v[44:45], v[26:27], v[22:23], -v[50:51]
	v_fma_f64 v[46:47], v[28:29], v[22:23], v[24:25]
	v_fma_f64 v[34:35], v[36:37], v[40:41], -v[34:35]
	v_fma_f64 v[36:37], v[38:39], v[40:41], v[42:43]
	v_add_f64 v[1:2], v[1:2], v[30:31]
	v_add_f64 v[48:49], v[10:11], v[32:33]
	ds_load_b128 v[10:13], v18 offset:1024
	ds_load_b128 v[22:25], v19 offset:64
	;; [unrolled: 1-line block ×4, first 2 shown]
	s_waitcnt lgkmcnt(2)
	v_mul_f64 v[50:51], v[24:25], v[12:13]
	v_mul_f64 v[12:13], v[22:23], v[12:13]
	s_waitcnt lgkmcnt(0)
	v_mul_f64 v[40:41], v[28:29], v[32:33]
	v_mul_f64 v[42:43], v[26:27], v[32:33]
	v_add_f64 v[1:2], v[1:2], v[44:45]
	v_add_f64 v[38:39], v[48:49], v[46:47]
	v_fma_f64 v[44:45], v[22:23], v[10:11], -v[50:51]
	v_fma_f64 v[46:47], v[24:25], v[10:11], v[12:13]
	v_fma_f64 v[26:27], v[26:27], v[30:31], -v[40:41]
	v_fma_f64 v[28:29], v[28:29], v[30:31], v[42:43]
	v_add_f64 v[1:2], v[1:2], v[34:35]
	v_add_f64 v[48:49], v[38:39], v[36:37]
	ds_load_b128 v[10:13], v18 offset:1536
	ds_load_b128 v[22:25], v19 offset:96
	;; [unrolled: 1-line block ×4, first 2 shown]
	s_waitcnt lgkmcnt(2)
	v_mul_f64 v[50:51], v[24:25], v[12:13]
	v_mul_f64 v[12:13], v[22:23], v[12:13]
	s_waitcnt lgkmcnt(0)
	v_mul_f64 v[42:43], v[34:35], v[38:39]
	v_add_f64 v[1:2], v[1:2], v[44:45]
	v_add_f64 v[30:31], v[48:49], v[46:47]
	v_mul_f64 v[44:45], v[32:33], v[38:39]
	v_fma_f64 v[46:47], v[22:23], v[10:11], -v[50:51]
	v_fma_f64 v[48:49], v[24:25], v[10:11], v[12:13]
	v_fma_f64 v[32:33], v[32:33], v[36:37], -v[42:43]
	v_add_f64 v[1:2], v[1:2], v[26:27]
	v_add_f64 v[30:31], v[30:31], v[28:29]
	ds_load_b128 v[10:13], v18 offset:2048
	ds_load_b128 v[22:25], v19 offset:128
	;; [unrolled: 1-line block ×4, first 2 shown]
	v_fma_f64 v[34:35], v[34:35], v[36:37], v[44:45]
	s_waitcnt lgkmcnt(2)
	v_mul_f64 v[50:51], v[24:25], v[12:13]
	v_mul_f64 v[12:13], v[22:23], v[12:13]
	s_waitcnt lgkmcnt(0)
	v_mul_f64 v[42:43], v[28:29], v[40:41]
	v_mul_f64 v[40:41], v[26:27], v[40:41]
	v_add_f64 v[1:2], v[1:2], v[46:47]
	v_add_f64 v[30:31], v[30:31], v[48:49]
	v_fma_f64 v[44:45], v[22:23], v[10:11], -v[50:51]
	v_fma_f64 v[46:47], v[24:25], v[10:11], v[12:13]
	v_fma_f64 v[26:27], v[26:27], v[38:39], -v[42:43]
	v_fma_f64 v[28:29], v[28:29], v[38:39], v[40:41]
	v_add_f64 v[1:2], v[1:2], v[32:33]
	v_add_f64 v[48:49], v[30:31], v[34:35]
	ds_load_b128 v[10:13], v18 offset:2560
	ds_load_b128 v[22:25], v19 offset:160
	;; [unrolled: 1-line block ×4, first 2 shown]
	s_waitcnt lgkmcnt(2)
	v_mul_f64 v[50:51], v[24:25], v[12:13]
	v_mul_f64 v[12:13], v[22:23], v[12:13]
	s_waitcnt lgkmcnt(0)
	v_mul_f64 v[40:41], v[32:33], v[36:37]
	v_mul_f64 v[42:43], v[30:31], v[36:37]
	v_add_f64 v[1:2], v[1:2], v[44:45]
	v_add_f64 v[38:39], v[48:49], v[46:47]
	v_fma_f64 v[44:45], v[22:23], v[10:11], -v[50:51]
	v_fma_f64 v[46:47], v[24:25], v[10:11], v[12:13]
	v_fma_f64 v[30:31], v[30:31], v[34:35], -v[40:41]
	v_fma_f64 v[32:33], v[32:33], v[34:35], v[42:43]
	v_add_f64 v[1:2], v[1:2], v[26:27]
	v_add_f64 v[48:49], v[38:39], v[28:29]
	ds_load_b128 v[10:13], v18 offset:3072
	ds_load_b128 v[22:25], v19 offset:192
	;; [unrolled: 1-line block ×4, first 2 shown]
	s_waitcnt lgkmcnt(2)
	v_mul_f64 v[50:51], v[24:25], v[12:13]
	v_mul_f64 v[12:13], v[22:23], v[12:13]
	s_waitcnt lgkmcnt(0)
	v_mul_f64 v[42:43], v[28:29], v[38:39]
	v_add_f64 v[1:2], v[1:2], v[44:45]
	v_add_f64 v[34:35], v[48:49], v[46:47]
	v_mul_f64 v[44:45], v[26:27], v[38:39]
	v_fma_f64 v[46:47], v[22:23], v[10:11], -v[50:51]
	v_fma_f64 v[48:49], v[24:25], v[10:11], v[12:13]
	v_fma_f64 v[26:27], v[26:27], v[36:37], -v[42:43]
	v_add_f64 v[1:2], v[1:2], v[30:31]
	v_add_f64 v[34:35], v[34:35], v[32:33]
	ds_load_b128 v[10:13], v18 offset:3584
	ds_load_b128 v[22:25], v19 offset:224
	;; [unrolled: 1-line block ×4, first 2 shown]
	v_fma_f64 v[28:29], v[28:29], v[36:37], v[44:45]
	s_waitcnt lgkmcnt(0)
	s_barrier
	buffer_gl0_inv
	v_mul_f64 v[50:51], v[24:25], v[12:13]
	v_mul_f64 v[12:13], v[22:23], v[12:13]
	;; [unrolled: 1-line block ×4, first 2 shown]
	v_add_f64 v[1:2], v[1:2], v[46:47]
	v_add_f64 v[34:35], v[34:35], v[48:49]
	v_fma_f64 v[22:23], v[22:23], v[10:11], -v[50:51]
	v_fma_f64 v[10:11], v[24:25], v[10:11], v[12:13]
	v_fma_f64 v[24:25], v[30:31], v[38:39], -v[36:37]
	v_add_f64 v[1:2], v[1:2], v[26:27]
	v_add_f64 v[12:13], v[34:35], v[28:29]
	v_fma_f64 v[26:27], v[32:33], v[38:39], v[40:41]
	s_delay_alu instid0(VALU_DEP_3) | instskip(NEXT) | instid1(VALU_DEP_3)
	v_add_f64 v[1:2], v[1:2], v[22:23]
	v_add_f64 v[10:11], v[12:13], v[10:11]
	s_delay_alu instid0(VALU_DEP_2) | instskip(NEXT) | instid1(VALU_DEP_2)
	v_add_f64 v[12:13], v[1:2], v[24:25]
	v_add_f64 v[10:11], v[10:11], v[26:27]
	s_cbranch_vccnz .LBB1676_11
.LBB1676_3:                             ; =>This Inner Loop Header: Depth=1
	v_add_co_u32 v1, s13, v17, s0
	s_delay_alu instid0(VALU_DEP_1) | instskip(NEXT) | instid1(VALU_DEP_1)
	v_add_co_ci_u32_e64 v2, null, 0, s1, s13
	v_cmp_le_i64_e32 vcc_lo, s[16:17], v[1:2]
	s_or_b32 s13, s12, vcc_lo
	s_delay_alu instid0(SALU_CYCLE_1) | instskip(NEXT) | instid1(SALU_CYCLE_1)
	s_and_saveexec_b32 s14, s13
	s_xor_b32 s13, exec_lo, s14
	s_cbranch_execz .LBB1676_5
; %bb.4:                                ;   in Loop: Header=BB1676_3 Depth=1
	v_mov_b32_e32 v1, v0
	v_mov_b32_e32 v2, v0
	;; [unrolled: 1-line block ×3, first 2 shown]
	ds_store_b128 v20, v[0:3]
.LBB1676_5:                             ;   in Loop: Header=BB1676_3 Depth=1
	s_and_not1_saveexec_b32 s13, s13
	s_cbranch_execz .LBB1676_7
; %bb.6:                                ;   in Loop: Header=BB1676_3 Depth=1
	global_load_b128 v[22:25], v[8:9], off
	s_waitcnt vmcnt(0)
	ds_store_2addr_b64 v20, v[22:23], v[24:25] offset1:1
.LBB1676_7:                             ;   in Loop: Header=BB1676_3 Depth=1
	s_or_b32 exec_lo, exec_lo, s13
	v_add_co_u32 v1, s13, v16, s0
	s_delay_alu instid0(VALU_DEP_1) | instskip(NEXT) | instid1(VALU_DEP_1)
	v_add_co_ci_u32_e64 v2, null, 0, s1, s13
	v_cmp_le_i64_e32 vcc_lo, s[16:17], v[1:2]
	s_or_b32 s13, s2, vcc_lo
	s_delay_alu instid0(SALU_CYCLE_1) | instskip(NEXT) | instid1(SALU_CYCLE_1)
	s_and_saveexec_b32 s14, s13
	s_xor_b32 s13, exec_lo, s14
	s_cbranch_execz .LBB1676_9
; %bb.8:                                ;   in Loop: Header=BB1676_3 Depth=1
	v_mov_b32_e32 v1, v0
	v_mov_b32_e32 v2, v0
	v_mov_b32_e32 v3, v0
	ds_store_b128 v21, v[0:3]
.LBB1676_9:                             ;   in Loop: Header=BB1676_3 Depth=1
	s_and_not1_saveexec_b32 s13, s13
	s_cbranch_execz .LBB1676_2
; %bb.10:                               ;   in Loop: Header=BB1676_3 Depth=1
	global_load_b128 v[22:25], v[6:7], off
	s_waitcnt vmcnt(0)
	ds_store_2addr_b64 v21, v[22:23], v[24:25] offset1:1
	s_branch .LBB1676_2
.LBB1676_11:
	v_cmp_le_i32_e32 vcc_lo, v4, v14
	v_cmp_gt_i32_e64 s0, s3, v14
	s_delay_alu instid0(VALU_DEP_1) | instskip(NEXT) | instid1(SALU_CYCLE_1)
	s_and_b32 s0, vcc_lo, s0
	s_and_saveexec_b32 s1, s0
	s_cbranch_execz .LBB1676_13
; %bb.12:
	v_mul_lo_u32 v2, v14, s11
	v_mul_lo_u32 v3, v15, s10
	v_mad_u64_u32 v[0:1], null, v14, s10, 0
	v_mul_f64 v[6:7], s[20:21], v[10:11]
	v_mul_f64 v[8:9], s[18:19], v[10:11]
	s_delay_alu instid0(VALU_DEP_3) | instskip(SKIP_1) | instid1(VALU_DEP_2)
	v_add3_u32 v1, v1, v2, v3
	v_lshlrev_b64 v[2:3], 4, v[4:5]
	v_lshlrev_b64 v[0:1], 4, v[0:1]
	s_waitcnt lgkmcnt(0)
	s_delay_alu instid0(VALU_DEP_1) | instskip(NEXT) | instid1(VALU_DEP_2)
	v_add_co_u32 v0, vcc_lo, s8, v0
	v_add_co_ci_u32_e32 v1, vcc_lo, s9, v1, vcc_lo
	s_delay_alu instid0(VALU_DEP_2) | instskip(NEXT) | instid1(VALU_DEP_2)
	v_add_co_u32 v4, vcc_lo, v0, v2
	v_add_co_ci_u32_e32 v5, vcc_lo, v1, v3, vcc_lo
	global_load_b128 v[0:3], v[4:5], off
	v_fma_f64 v[6:7], s[18:19], v[12:13], -v[6:7]
	v_fma_f64 v[8:9], s[20:21], v[12:13], v[8:9]
	s_waitcnt vmcnt(0)
	v_mul_f64 v[10:11], s[6:7], v[2:3]
	v_mul_f64 v[2:3], s[4:5], v[2:3]
	s_delay_alu instid0(VALU_DEP_2) | instskip(NEXT) | instid1(VALU_DEP_2)
	v_fma_f64 v[10:11], s[4:5], v[0:1], -v[10:11]
	v_fma_f64 v[2:3], s[6:7], v[0:1], v[2:3]
	s_delay_alu instid0(VALU_DEP_2) | instskip(NEXT) | instid1(VALU_DEP_2)
	v_add_f64 v[0:1], v[6:7], v[10:11]
	v_add_f64 v[2:3], v[8:9], v[2:3]
	global_store_b128 v[4:5], v[0:3], off
.LBB1676_13:
	s_nop 0
	s_sendmsg sendmsg(MSG_DEALLOC_VGPRS)
	s_endpgm
	.section	.rodata,"a",@progbits
	.p2align	6, 0x0
	.amdhsa_kernel _ZL32rocblas_syrkx_herkx_small_kernelIl19rocblas_complex_numIdELi16ELb0ELb0ELc84ELc85EKPKS1_KPS1_EviT_T0_PT6_S7_lSA_S7_lS8_PT7_S7_li
		.amdhsa_group_segment_fixed_size 8192
		.amdhsa_private_segment_fixed_size 0
		.amdhsa_kernarg_size 124
		.amdhsa_user_sgpr_count 13
		.amdhsa_user_sgpr_dispatch_ptr 0
		.amdhsa_user_sgpr_queue_ptr 0
		.amdhsa_user_sgpr_kernarg_segment_ptr 1
		.amdhsa_user_sgpr_dispatch_id 0
		.amdhsa_user_sgpr_private_segment_size 0
		.amdhsa_wavefront_size32 1
		.amdhsa_uses_dynamic_stack 0
		.amdhsa_enable_private_segment 0
		.amdhsa_system_sgpr_workgroup_id_x 1
		.amdhsa_system_sgpr_workgroup_id_y 1
		.amdhsa_system_sgpr_workgroup_id_z 1
		.amdhsa_system_sgpr_workgroup_info 0
		.amdhsa_system_vgpr_workitem_id 1
		.amdhsa_next_free_vgpr 52
		.amdhsa_next_free_sgpr 28
		.amdhsa_reserve_vcc 1
		.amdhsa_float_round_mode_32 0
		.amdhsa_float_round_mode_16_64 0
		.amdhsa_float_denorm_mode_32 3
		.amdhsa_float_denorm_mode_16_64 3
		.amdhsa_dx10_clamp 1
		.amdhsa_ieee_mode 1
		.amdhsa_fp16_overflow 0
		.amdhsa_workgroup_processor_mode 1
		.amdhsa_memory_ordered 1
		.amdhsa_forward_progress 0
		.amdhsa_shared_vgpr_count 0
		.amdhsa_exception_fp_ieee_invalid_op 0
		.amdhsa_exception_fp_denorm_src 0
		.amdhsa_exception_fp_ieee_div_zero 0
		.amdhsa_exception_fp_ieee_overflow 0
		.amdhsa_exception_fp_ieee_underflow 0
		.amdhsa_exception_fp_ieee_inexact 0
		.amdhsa_exception_int_div_zero 0
	.end_amdhsa_kernel
	.section	.text._ZL32rocblas_syrkx_herkx_small_kernelIl19rocblas_complex_numIdELi16ELb0ELb0ELc84ELc85EKPKS1_KPS1_EviT_T0_PT6_S7_lSA_S7_lS8_PT7_S7_li,"axG",@progbits,_ZL32rocblas_syrkx_herkx_small_kernelIl19rocblas_complex_numIdELi16ELb0ELb0ELc84ELc85EKPKS1_KPS1_EviT_T0_PT6_S7_lSA_S7_lS8_PT7_S7_li,comdat
.Lfunc_end1676:
	.size	_ZL32rocblas_syrkx_herkx_small_kernelIl19rocblas_complex_numIdELi16ELb0ELb0ELc84ELc85EKPKS1_KPS1_EviT_T0_PT6_S7_lSA_S7_lS8_PT7_S7_li, .Lfunc_end1676-_ZL32rocblas_syrkx_herkx_small_kernelIl19rocblas_complex_numIdELi16ELb0ELb0ELc84ELc85EKPKS1_KPS1_EviT_T0_PT6_S7_lSA_S7_lS8_PT7_S7_li
                                        ; -- End function
	.section	.AMDGPU.csdata,"",@progbits
; Kernel info:
; codeLenInByte = 2052
; NumSgprs: 30
; NumVgprs: 52
; ScratchSize: 0
; MemoryBound: 0
; FloatMode: 240
; IeeeMode: 1
; LDSByteSize: 8192 bytes/workgroup (compile time only)
; SGPRBlocks: 3
; VGPRBlocks: 6
; NumSGPRsForWavesPerEU: 30
; NumVGPRsForWavesPerEU: 52
; Occupancy: 16
; WaveLimiterHint : 1
; COMPUTE_PGM_RSRC2:SCRATCH_EN: 0
; COMPUTE_PGM_RSRC2:USER_SGPR: 13
; COMPUTE_PGM_RSRC2:TRAP_HANDLER: 0
; COMPUTE_PGM_RSRC2:TGID_X_EN: 1
; COMPUTE_PGM_RSRC2:TGID_Y_EN: 1
; COMPUTE_PGM_RSRC2:TGID_Z_EN: 1
; COMPUTE_PGM_RSRC2:TIDIG_COMP_CNT: 1
	.section	.text._ZL32rocblas_syrkx_herkx_small_kernelIl19rocblas_complex_numIdELi16ELb0ELb0ELc67ELc85EKPKS1_KPS1_EviT_T0_PT6_S7_lSA_S7_lS8_PT7_S7_li,"axG",@progbits,_ZL32rocblas_syrkx_herkx_small_kernelIl19rocblas_complex_numIdELi16ELb0ELb0ELc67ELc85EKPKS1_KPS1_EviT_T0_PT6_S7_lSA_S7_lS8_PT7_S7_li,comdat
	.globl	_ZL32rocblas_syrkx_herkx_small_kernelIl19rocblas_complex_numIdELi16ELb0ELb0ELc67ELc85EKPKS1_KPS1_EviT_T0_PT6_S7_lSA_S7_lS8_PT7_S7_li ; -- Begin function _ZL32rocblas_syrkx_herkx_small_kernelIl19rocblas_complex_numIdELi16ELb0ELb0ELc67ELc85EKPKS1_KPS1_EviT_T0_PT6_S7_lSA_S7_lS8_PT7_S7_li
	.p2align	8
	.type	_ZL32rocblas_syrkx_herkx_small_kernelIl19rocblas_complex_numIdELi16ELb0ELb0ELc67ELc85EKPKS1_KPS1_EviT_T0_PT6_S7_lSA_S7_lS8_PT7_S7_li,@function
_ZL32rocblas_syrkx_herkx_small_kernelIl19rocblas_complex_numIdELi16ELb0ELb0ELc67ELc85EKPKS1_KPS1_EviT_T0_PT6_S7_lSA_S7_lS8_PT7_S7_li: ; @_ZL32rocblas_syrkx_herkx_small_kernelIl19rocblas_complex_numIdELi16ELb0ELb0ELc67ELc85EKPKS1_KPS1_EviT_T0_PT6_S7_lSA_S7_lS8_PT7_S7_li
; %bb.0:
	s_clause 0x2
	s_load_b256 s[4:11], s[0:1], 0x50
	s_load_b256 s[16:23], s[0:1], 0x8
	s_load_b32 s3, s[0:1], 0x0
	s_mov_b32 s24, s15
	s_mov_b32 s25, 0
	v_and_b32_e32 v19, 0x3ff, v0
	s_lshl_b64 s[24:25], s[24:25], 3
	v_bfe_u32 v20, v0, 10, 10
	v_mov_b32_e32 v13, 0
	v_mov_b32_e32 v14, 0
	v_lshl_add_u32 v5, s13, 4, v19
	s_delay_alu instid0(VALU_DEP_4) | instskip(NEXT) | instid1(VALU_DEP_3)
	v_lshl_add_u32 v17, s14, 4, v20
	v_dual_mov_b32 v16, v14 :: v_dual_mov_b32 v15, v13
	s_delay_alu instid0(VALU_DEP_3) | instskip(NEXT) | instid1(VALU_DEP_3)
	v_ashrrev_i32_e32 v6, 31, v5
	v_ashrrev_i32_e32 v18, 31, v17
	s_waitcnt lgkmcnt(0)
	s_add_u32 s8, s8, s24
	s_addc_u32 s9, s9, s25
	s_load_b64 s[26:27], s[0:1], 0x28
	s_load_b64 s[8:9], s[8:9], 0x0
	v_cmp_lt_i64_e64 s2, s[16:17], 1
	s_delay_alu instid0(VALU_DEP_1)
	s_and_b32 vcc_lo, exec_lo, s2
	v_cmp_gt_i32_e64 s2, s3, v17
	s_cbranch_vccnz .LBB1677_9
; %bb.1:
	s_load_b128 s[12:15], s[0:1], 0x38
	s_waitcnt lgkmcnt(0)
	v_mul_lo_u32 v7, s27, v5
	v_mul_lo_u32 v8, s26, v6
	v_mad_u64_u32 v[1:2], null, s26, v5, 0
	v_lshlrev_b32_e32 v12, 4, v20
	v_dual_mov_b32 v0, 0 :: v_dual_lshlrev_b32 v21, 4, v19
	v_lshlrev_b32_e32 v9, 8, v20
	v_cmp_gt_i32_e64 s0, s3, v5
	v_add3_u32 v2, v2, v8, v7
	v_mov_b32_e32 v7, 0
	v_mov_b32_e32 v8, 0
	v_add_nc_u32_e32 v22, 0x1000, v9
	v_add_nc_u32_e32 v23, v21, v9
	v_lshlrev_b64 v[1:2], 4, v[1:2]
	s_delay_alu instid0(VALU_DEP_4)
	v_mov_b32_e32 v14, v8
	v_mov_b32_e32 v16, v8
	s_add_u32 s12, s12, s24
	s_addc_u32 s13, s13, s25
	v_mul_lo_u32 v11, s14, v18
	v_mad_u64_u32 v[3:4], null, s14, v17, 0
	s_add_u32 s14, s22, s24
	v_mul_lo_u32 v10, s15, v17
	s_addc_u32 s15, s23, s25
	s_load_b64 s[12:13], s[12:13], 0x0
	s_load_b64 s[14:15], s[14:15], 0x0
	v_add_co_u32 v1, vcc_lo, v1, v12
	v_add_co_ci_u32_e32 v2, vcc_lo, 0, v2, vcc_lo
	s_delay_alu instid0(VALU_DEP_3) | instskip(SKIP_3) | instid1(VALU_DEP_3)
	v_add3_u32 v4, v4, v11, v10
	v_dual_mov_b32 v13, v7 :: v_dual_add_nc_u32 v24, v22, v21
	v_mov_b32_e32 v15, v7
	s_xor_b32 s1, s2, -1
	v_lshlrev_b64 v[3:4], 4, v[3:4]
	s_delay_alu instid0(VALU_DEP_1) | instskip(NEXT) | instid1(VALU_DEP_2)
	v_add_co_u32 v3, vcc_lo, v3, v21
	v_add_co_ci_u32_e32 v4, vcc_lo, 0, v4, vcc_lo
	s_waitcnt lgkmcnt(0)
	v_add_co_u32 v1, vcc_lo, v1, s14
	v_add_co_ci_u32_e32 v2, vcc_lo, s15, v2, vcc_lo
	v_add_co_u32 v9, vcc_lo, s12, v3
	v_add_co_ci_u32_e32 v10, vcc_lo, s13, v4, vcc_lo
	s_delay_alu instid0(VALU_DEP_4) | instskip(NEXT) | instid1(VALU_DEP_4)
	v_add_co_u32 v11, vcc_lo, v1, 8
	v_add_co_ci_u32_e32 v12, vcc_lo, 0, v2, vcc_lo
	s_mov_b64 s[12:13], 0
	s_branch .LBB1677_3
.LBB1677_2:                             ;   in Loop: Header=BB1677_3 Depth=1
	s_or_b32 exec_lo, exec_lo, s2
	s_waitcnt lgkmcnt(0)
	s_barrier
	buffer_gl0_inv
	ds_load_b128 v[1:4], v21
	ds_load_b128 v[25:28], v22
	ds_load_b128 v[29:32], v22 offset:16
	ds_load_b128 v[33:36], v21 offset:256
	s_add_u32 s12, s12, 16
	s_addc_u32 s13, s13, 0
	v_add_co_u32 v9, vcc_lo, 0x100, v9
	v_cmp_ge_i64_e64 s2, s[12:13], s[16:17]
	v_add_co_ci_u32_e32 v10, vcc_lo, 0, v10, vcc_lo
	v_add_co_u32 v11, vcc_lo, 0x100, v11
	v_add_co_ci_u32_e32 v12, vcc_lo, 0, v12, vcc_lo
	s_delay_alu instid0(VALU_DEP_4)
	s_and_b32 vcc_lo, exec_lo, s2
	s_waitcnt lgkmcnt(2)
	v_mul_f64 v[37:38], v[27:28], v[3:4]
	v_mul_f64 v[3:4], v[25:26], v[3:4]
	s_waitcnt lgkmcnt(0)
	v_mul_f64 v[43:44], v[31:32], v[35:36]
	v_mul_f64 v[45:46], v[29:30], v[35:36]
	s_delay_alu instid0(VALU_DEP_4) | instskip(NEXT) | instid1(VALU_DEP_4)
	v_fma_f64 v[47:48], v[25:26], v[1:2], -v[37:38]
	v_fma_f64 v[49:50], v[27:28], v[1:2], v[3:4]
	ds_load_b128 v[1:4], v21 offset:512
	ds_load_b128 v[25:28], v22 offset:32
	;; [unrolled: 1-line block ×4, first 2 shown]
	v_fma_f64 v[29:30], v[29:30], v[33:34], -v[43:44]
	v_fma_f64 v[31:32], v[31:32], v[33:34], v[45:46]
	s_waitcnt lgkmcnt(2)
	v_mul_f64 v[51:52], v[27:28], v[3:4]
	v_mul_f64 v[3:4], v[25:26], v[3:4]
	s_waitcnt lgkmcnt(0)
	v_mul_f64 v[33:34], v[37:38], v[41:42]
	v_mul_f64 v[41:42], v[35:36], v[41:42]
	v_add_f64 v[15:16], v[15:16], v[47:48]
	v_add_f64 v[13:14], v[13:14], v[49:50]
	v_fma_f64 v[43:44], v[25:26], v[1:2], -v[51:52]
	v_fma_f64 v[45:46], v[27:28], v[1:2], v[3:4]
	v_fma_f64 v[33:34], v[35:36], v[39:40], -v[33:34]
	v_fma_f64 v[35:36], v[37:38], v[39:40], v[41:42]
	v_add_f64 v[47:48], v[15:16], v[29:30]
	v_add_f64 v[49:50], v[13:14], v[31:32]
	ds_load_b128 v[1:4], v21 offset:1024
	ds_load_b128 v[13:16], v22 offset:64
	;; [unrolled: 1-line block ×4, first 2 shown]
	s_waitcnt lgkmcnt(2)
	v_mul_f64 v[51:52], v[15:16], v[3:4]
	v_mul_f64 v[3:4], v[13:14], v[3:4]
	s_waitcnt lgkmcnt(0)
	v_mul_f64 v[41:42], v[27:28], v[31:32]
	v_add_f64 v[37:38], v[47:48], v[43:44]
	v_add_f64 v[39:40], v[49:50], v[45:46]
	v_mul_f64 v[43:44], v[25:26], v[31:32]
	v_fma_f64 v[45:46], v[13:14], v[1:2], -v[51:52]
	v_fma_f64 v[47:48], v[15:16], v[1:2], v[3:4]
	v_fma_f64 v[25:26], v[25:26], v[29:30], -v[41:42]
	v_add_f64 v[49:50], v[37:38], v[33:34]
	v_add_f64 v[39:40], v[39:40], v[35:36]
	ds_load_b128 v[1:4], v21 offset:1536
	ds_load_b128 v[13:16], v22 offset:96
	;; [unrolled: 1-line block ×4, first 2 shown]
	v_fma_f64 v[27:28], v[27:28], v[29:30], v[43:44]
	s_waitcnt lgkmcnt(2)
	v_mul_f64 v[51:52], v[15:16], v[3:4]
	v_mul_f64 v[3:4], v[13:14], v[3:4]
	s_waitcnt lgkmcnt(0)
	v_mul_f64 v[41:42], v[33:34], v[37:38]
	v_mul_f64 v[43:44], v[31:32], v[37:38]
	v_add_f64 v[29:30], v[49:50], v[45:46]
	v_add_f64 v[39:40], v[39:40], v[47:48]
	v_fma_f64 v[45:46], v[13:14], v[1:2], -v[51:52]
	v_fma_f64 v[47:48], v[15:16], v[1:2], v[3:4]
	v_fma_f64 v[31:32], v[31:32], v[35:36], -v[41:42]
	v_fma_f64 v[33:34], v[33:34], v[35:36], v[43:44]
	v_add_f64 v[29:30], v[29:30], v[25:26]
	v_add_f64 v[49:50], v[39:40], v[27:28]
	ds_load_b128 v[1:4], v21 offset:2048
	ds_load_b128 v[13:16], v22 offset:128
	;; [unrolled: 1-line block ×4, first 2 shown]
	s_waitcnt lgkmcnt(2)
	v_mul_f64 v[51:52], v[15:16], v[3:4]
	v_mul_f64 v[3:4], v[13:14], v[3:4]
	s_waitcnt lgkmcnt(0)
	v_mul_f64 v[41:42], v[27:28], v[39:40]
	v_mul_f64 v[39:40], v[25:26], v[39:40]
	v_add_f64 v[29:30], v[29:30], v[45:46]
	v_add_f64 v[35:36], v[49:50], v[47:48]
	v_fma_f64 v[43:44], v[13:14], v[1:2], -v[51:52]
	v_fma_f64 v[45:46], v[15:16], v[1:2], v[3:4]
	v_fma_f64 v[25:26], v[25:26], v[37:38], -v[41:42]
	v_fma_f64 v[27:28], v[27:28], v[37:38], v[39:40]
	v_add_f64 v[47:48], v[29:30], v[31:32]
	v_add_f64 v[49:50], v[35:36], v[33:34]
	ds_load_b128 v[1:4], v21 offset:2560
	ds_load_b128 v[13:16], v22 offset:160
	;; [unrolled: 1-line block ×4, first 2 shown]
	s_waitcnt lgkmcnt(2)
	v_mul_f64 v[51:52], v[15:16], v[3:4]
	v_mul_f64 v[3:4], v[13:14], v[3:4]
	s_waitcnt lgkmcnt(0)
	v_mul_f64 v[41:42], v[31:32], v[35:36]
	v_add_f64 v[37:38], v[47:48], v[43:44]
	v_add_f64 v[39:40], v[49:50], v[45:46]
	v_mul_f64 v[43:44], v[29:30], v[35:36]
	v_fma_f64 v[45:46], v[13:14], v[1:2], -v[51:52]
	v_fma_f64 v[47:48], v[15:16], v[1:2], v[3:4]
	v_fma_f64 v[29:30], v[29:30], v[33:34], -v[41:42]
	v_add_f64 v[49:50], v[37:38], v[25:26]
	v_add_f64 v[39:40], v[39:40], v[27:28]
	ds_load_b128 v[1:4], v21 offset:3072
	ds_load_b128 v[13:16], v22 offset:192
	;; [unrolled: 1-line block ×4, first 2 shown]
	v_fma_f64 v[31:32], v[31:32], v[33:34], v[43:44]
	s_waitcnt lgkmcnt(2)
	v_mul_f64 v[51:52], v[15:16], v[3:4]
	v_mul_f64 v[3:4], v[13:14], v[3:4]
	s_waitcnt lgkmcnt(0)
	v_mul_f64 v[41:42], v[27:28], v[37:38]
	v_mul_f64 v[43:44], v[25:26], v[37:38]
	v_add_f64 v[33:34], v[49:50], v[45:46]
	v_add_f64 v[39:40], v[39:40], v[47:48]
	v_fma_f64 v[45:46], v[13:14], v[1:2], -v[51:52]
	v_fma_f64 v[47:48], v[15:16], v[1:2], v[3:4]
	v_fma_f64 v[25:26], v[25:26], v[35:36], -v[41:42]
	v_fma_f64 v[27:28], v[27:28], v[35:36], v[43:44]
	v_add_f64 v[33:34], v[33:34], v[29:30]
	v_add_f64 v[49:50], v[39:40], v[31:32]
	ds_load_b128 v[1:4], v21 offset:3584
	ds_load_b128 v[13:16], v22 offset:224
	;; [unrolled: 1-line block ×4, first 2 shown]
	s_waitcnt lgkmcnt(0)
	s_barrier
	buffer_gl0_inv
	v_mul_f64 v[51:52], v[15:16], v[3:4]
	v_mul_f64 v[3:4], v[13:14], v[3:4]
	;; [unrolled: 1-line block ×4, first 2 shown]
	v_add_f64 v[33:34], v[33:34], v[45:46]
	v_add_f64 v[35:36], v[49:50], v[47:48]
	v_fma_f64 v[13:14], v[13:14], v[1:2], -v[51:52]
	v_fma_f64 v[1:2], v[15:16], v[1:2], v[3:4]
	s_delay_alu instid0(VALU_DEP_4) | instskip(NEXT) | instid1(VALU_DEP_4)
	v_add_f64 v[3:4], v[33:34], v[25:26]
	v_add_f64 v[15:16], v[35:36], v[27:28]
	v_fma_f64 v[25:26], v[29:30], v[37:38], -v[41:42]
	v_fma_f64 v[27:28], v[31:32], v[37:38], v[39:40]
	s_delay_alu instid0(VALU_DEP_4) | instskip(NEXT) | instid1(VALU_DEP_4)
	v_add_f64 v[3:4], v[3:4], v[13:14]
	v_add_f64 v[1:2], v[15:16], v[1:2]
	s_delay_alu instid0(VALU_DEP_2) | instskip(NEXT) | instid1(VALU_DEP_2)
	v_add_f64 v[15:16], v[3:4], v[25:26]
	v_add_f64 v[13:14], v[1:2], v[27:28]
	s_cbranch_vccnz .LBB1677_9
.LBB1677_3:                             ; =>This Inner Loop Header: Depth=1
	v_add_co_u32 v1, s2, v20, s12
	s_delay_alu instid0(VALU_DEP_1) | instskip(SKIP_1) | instid1(VALU_DEP_2)
	v_add_co_ci_u32_e64 v2, null, 0, s13, s2
	v_dual_mov_b32 v3, v7 :: v_dual_mov_b32 v4, v8
	v_cmp_gt_i64_e32 vcc_lo, s[16:17], v[1:2]
	v_dual_mov_b32 v1, v7 :: v_dual_mov_b32 v2, v8
	s_and_b32 s14, s0, vcc_lo
	s_delay_alu instid0(SALU_CYCLE_1)
	s_and_saveexec_b32 s2, s14
	s_cbranch_execz .LBB1677_5
; %bb.4:                                ;   in Loop: Header=BB1677_3 Depth=1
	global_load_b128 v[1:4], v[11:12], off offset:-8
.LBB1677_5:                             ;   in Loop: Header=BB1677_3 Depth=1
	s_or_b32 exec_lo, exec_lo, s2
	v_add_co_u32 v25, s2, v19, s12
	s_delay_alu instid0(VALU_DEP_1) | instskip(SKIP_4) | instid1(SALU_CYCLE_1)
	v_add_co_ci_u32_e64 v26, null, 0, s13, s2
	s_waitcnt vmcnt(0)
	ds_store_b128 v23, v[1:4]
	v_cmp_le_i64_e32 vcc_lo, s[16:17], v[25:26]
	s_or_b32 s2, s1, vcc_lo
	s_and_saveexec_b32 s14, s2
	s_delay_alu instid0(SALU_CYCLE_1)
	s_xor_b32 s2, exec_lo, s14
	s_cbranch_execz .LBB1677_7
; %bb.6:                                ;   in Loop: Header=BB1677_3 Depth=1
	v_mov_b32_e32 v1, v0
	v_mov_b32_e32 v2, v0
	;; [unrolled: 1-line block ×3, first 2 shown]
	ds_store_b128 v24, v[0:3]
.LBB1677_7:                             ;   in Loop: Header=BB1677_3 Depth=1
	s_and_not1_saveexec_b32 s2, s2
	s_cbranch_execz .LBB1677_2
; %bb.8:                                ;   in Loop: Header=BB1677_3 Depth=1
	global_load_b128 v[1:4], v[9:10], off
	s_waitcnt vmcnt(0)
	ds_store_2addr_b64 v24, v[1:2], v[3:4] offset1:1
	s_branch .LBB1677_2
.LBB1677_9:
	v_cmp_le_i32_e32 vcc_lo, v5, v17
	v_cmp_gt_i32_e64 s0, s3, v17
	s_delay_alu instid0(VALU_DEP_1) | instskip(NEXT) | instid1(SALU_CYCLE_1)
	s_and_b32 s0, vcc_lo, s0
	s_and_saveexec_b32 s1, s0
	s_cbranch_execz .LBB1677_11
; %bb.10:
	v_mul_lo_u32 v2, v17, s11
	v_mul_lo_u32 v3, v18, s10
	v_mad_u64_u32 v[0:1], null, v17, s10, 0
	v_mul_f64 v[8:9], s[18:19], v[13:14]
	s_delay_alu instid0(VALU_DEP_2) | instskip(SKIP_2) | instid1(VALU_DEP_3)
	v_add3_u32 v1, v1, v2, v3
	v_lshlrev_b64 v[2:3], 4, v[5:6]
	v_mul_f64 v[6:7], s[20:21], v[13:14]
	v_lshlrev_b64 v[0:1], 4, v[0:1]
	s_waitcnt lgkmcnt(0)
	s_delay_alu instid0(VALU_DEP_1) | instskip(NEXT) | instid1(VALU_DEP_2)
	v_add_co_u32 v0, vcc_lo, s8, v0
	v_add_co_ci_u32_e32 v1, vcc_lo, s9, v1, vcc_lo
	s_delay_alu instid0(VALU_DEP_2) | instskip(NEXT) | instid1(VALU_DEP_2)
	v_add_co_u32 v4, vcc_lo, v0, v2
	v_add_co_ci_u32_e32 v5, vcc_lo, v1, v3, vcc_lo
	global_load_b128 v[0:3], v[4:5], off
	v_fma_f64 v[8:9], s[20:21], v[15:16], v[8:9]
	v_fma_f64 v[6:7], s[18:19], v[15:16], -v[6:7]
	s_waitcnt vmcnt(0)
	v_mul_f64 v[10:11], s[6:7], v[2:3]
	v_mul_f64 v[2:3], s[4:5], v[2:3]
	s_delay_alu instid0(VALU_DEP_2) | instskip(NEXT) | instid1(VALU_DEP_2)
	v_fma_f64 v[10:11], s[4:5], v[0:1], -v[10:11]
	v_fma_f64 v[2:3], s[6:7], v[0:1], v[2:3]
	s_delay_alu instid0(VALU_DEP_2) | instskip(NEXT) | instid1(VALU_DEP_2)
	v_add_f64 v[0:1], v[6:7], v[10:11]
	v_add_f64 v[2:3], v[8:9], v[2:3]
	global_store_b128 v[4:5], v[0:3], off
.LBB1677_11:
	s_nop 0
	s_sendmsg sendmsg(MSG_DEALLOC_VGPRS)
	s_endpgm
	.section	.rodata,"a",@progbits
	.p2align	6, 0x0
	.amdhsa_kernel _ZL32rocblas_syrkx_herkx_small_kernelIl19rocblas_complex_numIdELi16ELb0ELb0ELc67ELc85EKPKS1_KPS1_EviT_T0_PT6_S7_lSA_S7_lS8_PT7_S7_li
		.amdhsa_group_segment_fixed_size 8192
		.amdhsa_private_segment_fixed_size 0
		.amdhsa_kernarg_size 124
		.amdhsa_user_sgpr_count 13
		.amdhsa_user_sgpr_dispatch_ptr 0
		.amdhsa_user_sgpr_queue_ptr 0
		.amdhsa_user_sgpr_kernarg_segment_ptr 1
		.amdhsa_user_sgpr_dispatch_id 0
		.amdhsa_user_sgpr_private_segment_size 0
		.amdhsa_wavefront_size32 1
		.amdhsa_uses_dynamic_stack 0
		.amdhsa_enable_private_segment 0
		.amdhsa_system_sgpr_workgroup_id_x 1
		.amdhsa_system_sgpr_workgroup_id_y 1
		.amdhsa_system_sgpr_workgroup_id_z 1
		.amdhsa_system_sgpr_workgroup_info 0
		.amdhsa_system_vgpr_workitem_id 1
		.amdhsa_next_free_vgpr 53
		.amdhsa_next_free_sgpr 28
		.amdhsa_reserve_vcc 1
		.amdhsa_float_round_mode_32 0
		.amdhsa_float_round_mode_16_64 0
		.amdhsa_float_denorm_mode_32 3
		.amdhsa_float_denorm_mode_16_64 3
		.amdhsa_dx10_clamp 1
		.amdhsa_ieee_mode 1
		.amdhsa_fp16_overflow 0
		.amdhsa_workgroup_processor_mode 1
		.amdhsa_memory_ordered 1
		.amdhsa_forward_progress 0
		.amdhsa_shared_vgpr_count 0
		.amdhsa_exception_fp_ieee_invalid_op 0
		.amdhsa_exception_fp_denorm_src 0
		.amdhsa_exception_fp_ieee_div_zero 0
		.amdhsa_exception_fp_ieee_overflow 0
		.amdhsa_exception_fp_ieee_underflow 0
		.amdhsa_exception_fp_ieee_inexact 0
		.amdhsa_exception_int_div_zero 0
	.end_amdhsa_kernel
	.section	.text._ZL32rocblas_syrkx_herkx_small_kernelIl19rocblas_complex_numIdELi16ELb0ELb0ELc67ELc85EKPKS1_KPS1_EviT_T0_PT6_S7_lSA_S7_lS8_PT7_S7_li,"axG",@progbits,_ZL32rocblas_syrkx_herkx_small_kernelIl19rocblas_complex_numIdELi16ELb0ELb0ELc67ELc85EKPKS1_KPS1_EviT_T0_PT6_S7_lSA_S7_lS8_PT7_S7_li,comdat
.Lfunc_end1677:
	.size	_ZL32rocblas_syrkx_herkx_small_kernelIl19rocblas_complex_numIdELi16ELb0ELb0ELc67ELc85EKPKS1_KPS1_EviT_T0_PT6_S7_lSA_S7_lS8_PT7_S7_li, .Lfunc_end1677-_ZL32rocblas_syrkx_herkx_small_kernelIl19rocblas_complex_numIdELi16ELb0ELb0ELc67ELc85EKPKS1_KPS1_EviT_T0_PT6_S7_lSA_S7_lS8_PT7_S7_li
                                        ; -- End function
	.section	.AMDGPU.csdata,"",@progbits
; Kernel info:
; codeLenInByte = 2044
; NumSgprs: 30
; NumVgprs: 53
; ScratchSize: 0
; MemoryBound: 1
; FloatMode: 240
; IeeeMode: 1
; LDSByteSize: 8192 bytes/workgroup (compile time only)
; SGPRBlocks: 3
; VGPRBlocks: 6
; NumSGPRsForWavesPerEU: 30
; NumVGPRsForWavesPerEU: 53
; Occupancy: 16
; WaveLimiterHint : 1
; COMPUTE_PGM_RSRC2:SCRATCH_EN: 0
; COMPUTE_PGM_RSRC2:USER_SGPR: 13
; COMPUTE_PGM_RSRC2:TRAP_HANDLER: 0
; COMPUTE_PGM_RSRC2:TGID_X_EN: 1
; COMPUTE_PGM_RSRC2:TGID_Y_EN: 1
; COMPUTE_PGM_RSRC2:TGID_Z_EN: 1
; COMPUTE_PGM_RSRC2:TIDIG_COMP_CNT: 1
	.section	.text._ZL32rocblas_syrkx_herkx_small_kernelIl19rocblas_complex_numIdELi16ELb0ELb0ELc78ELc85EKPKS1_KPS1_EviT_T0_PT6_S7_lSA_S7_lS8_PT7_S7_li,"axG",@progbits,_ZL32rocblas_syrkx_herkx_small_kernelIl19rocblas_complex_numIdELi16ELb0ELb0ELc78ELc85EKPKS1_KPS1_EviT_T0_PT6_S7_lSA_S7_lS8_PT7_S7_li,comdat
	.globl	_ZL32rocblas_syrkx_herkx_small_kernelIl19rocblas_complex_numIdELi16ELb0ELb0ELc78ELc85EKPKS1_KPS1_EviT_T0_PT6_S7_lSA_S7_lS8_PT7_S7_li ; -- Begin function _ZL32rocblas_syrkx_herkx_small_kernelIl19rocblas_complex_numIdELi16ELb0ELb0ELc78ELc85EKPKS1_KPS1_EviT_T0_PT6_S7_lSA_S7_lS8_PT7_S7_li
	.p2align	8
	.type	_ZL32rocblas_syrkx_herkx_small_kernelIl19rocblas_complex_numIdELi16ELb0ELb0ELc78ELc85EKPKS1_KPS1_EviT_T0_PT6_S7_lSA_S7_lS8_PT7_S7_li,@function
_ZL32rocblas_syrkx_herkx_small_kernelIl19rocblas_complex_numIdELi16ELb0ELb0ELc78ELc85EKPKS1_KPS1_EviT_T0_PT6_S7_lSA_S7_lS8_PT7_S7_li: ; @_ZL32rocblas_syrkx_herkx_small_kernelIl19rocblas_complex_numIdELi16ELb0ELb0ELc78ELc85EKPKS1_KPS1_EviT_T0_PT6_S7_lSA_S7_lS8_PT7_S7_li
; %bb.0:
	s_clause 0x2
	s_load_b256 s[4:11], s[0:1], 0x50
	s_load_b256 s[16:23], s[0:1], 0x8
	s_load_b32 s3, s[0:1], 0x0
	s_mov_b32 s24, s15
	s_mov_b32 s25, 0
	v_and_b32_e32 v17, 0x3ff, v0
	s_lshl_b64 s[26:27], s[24:25], 3
	v_bfe_u32 v18, v0, 10, 10
	v_mov_b32_e32 v13, 0
	v_mov_b32_e32 v14, 0
	v_lshl_add_u32 v5, s13, 4, v17
	s_delay_alu instid0(VALU_DEP_4) | instskip(NEXT) | instid1(VALU_DEP_3)
	v_lshl_add_u32 v7, s14, 4, v18
	v_dual_mov_b32 v16, v14 :: v_dual_mov_b32 v15, v13
	s_delay_alu instid0(VALU_DEP_3) | instskip(NEXT) | instid1(VALU_DEP_3)
	v_ashrrev_i32_e32 v6, 31, v5
	v_ashrrev_i32_e32 v8, 31, v7
	s_waitcnt lgkmcnt(0)
	s_add_u32 s8, s8, s26
	s_addc_u32 s9, s9, s27
	s_load_b64 s[24:25], s[0:1], 0x28
	s_load_b64 s[8:9], s[8:9], 0x0
	v_cmp_lt_i64_e64 s2, s[16:17], 1
	s_delay_alu instid0(VALU_DEP_1)
	s_and_b32 vcc_lo, exec_lo, s2
	v_cmp_gt_i32_e64 s2, s3, v7
	s_cbranch_vccnz .LBB1678_9
; %bb.1:
	s_load_b128 s[12:15], s[0:1], 0x38
	s_waitcnt lgkmcnt(0)
	v_mad_u64_u32 v[3:4], null, s24, v18, 0
	v_dual_mov_b32 v0, 0 :: v_dual_lshlrev_b32 v23, 8, v18
	v_lshlrev_b32_e32 v19, 4, v17
	v_lshlrev_b64 v[9:10], 4, v[7:8]
	v_lshlrev_b64 v[11:12], 4, v[5:6]
	v_cmp_gt_i32_e32 vcc_lo, s3, v5
	v_mad_u64_u32 v[21:22], null, s25, v18, v[4:5]
	v_mad_u64_u32 v[1:2], null, s14, v17, 0
	s_add_u32 s0, s12, s26
	s_addc_u32 s1, s13, s27
	s_add_u32 s12, s22, s26
	s_load_b64 s[28:29], s[0:1], 0x0
	s_addc_u32 s13, s23, s27
	s_load_b64 s[22:23], s[12:13], 0x0
	s_delay_alu instid0(VALU_DEP_1)
	v_mad_u64_u32 v[15:16], null, s15, v17, v[2:3]
	v_mov_b32_e32 v13, 0
	v_mov_b32_e32 v14, 0
	v_dual_mov_b32 v4, v21 :: v_dual_add_nc_u32 v21, v19, v23
	v_add_nc_u32_e32 v20, 0x1000, v23
	s_lshl_b64 s[12:13], s[14:15], 8
	v_mov_b32_e32 v2, v15
	s_delay_alu instid0(VALU_DEP_3) | instskip(SKIP_2) | instid1(VALU_DEP_4)
	v_lshlrev_b64 v[3:4], 4, v[3:4]
	v_dual_mov_b32 v16, v14 :: v_dual_mov_b32 v15, v13
	v_add_nc_u32_e32 v22, v20, v19
	v_lshlrev_b64 v[1:2], 4, v[1:2]
	s_mov_b64 s[14:15], 0
	s_delay_alu instid0(VALU_DEP_1) | instskip(NEXT) | instid1(VALU_DEP_1)
	v_add_co_u32 v1, s0, v1, v9
	v_add_co_ci_u32_e64 v2, s0, v2, v10, s0
	v_add_co_u32 v3, s0, v3, v11
	s_delay_alu instid0(VALU_DEP_1) | instskip(SKIP_2) | instid1(VALU_DEP_1)
	v_add_co_ci_u32_e64 v4, s0, v4, v12, s0
	s_waitcnt lgkmcnt(0)
	v_add_co_u32 v1, s0, v1, s28
	v_add_co_ci_u32_e64 v2, s0, s29, v2, s0
	v_add_co_u32 v9, s0, s22, v3
	s_delay_alu instid0(VALU_DEP_1) | instskip(NEXT) | instid1(VALU_DEP_4)
	v_add_co_ci_u32_e64 v10, s0, s23, v4, s0
	v_add_co_u32 v11, s0, v1, 8
	s_delay_alu instid0(VALU_DEP_1)
	v_add_co_ci_u32_e64 v12, s0, 0, v2, s0
	s_lshl_b64 s[0:1], s[24:25], 8
	s_xor_b32 s22, vcc_lo, -1
	s_branch .LBB1678_3
.LBB1678_2:                             ;   in Loop: Header=BB1678_3 Depth=1
	s_or_b32 exec_lo, exec_lo, s23
	s_waitcnt vmcnt(0)
	ds_store_b128 v22, v[1:4]
	s_waitcnt lgkmcnt(0)
	s_barrier
	buffer_gl0_inv
	ds_load_b128 v[1:4], v19
	ds_load_b128 v[23:26], v20
	ds_load_b128 v[27:30], v20 offset:16
	ds_load_b128 v[31:34], v19 offset:256
	s_add_u32 s14, s14, 16
	s_addc_u32 s15, s15, 0
	v_add_co_u32 v11, vcc_lo, v11, s12
	v_cmp_ge_i64_e64 s23, s[14:15], s[16:17]
	v_add_co_ci_u32_e32 v12, vcc_lo, s13, v12, vcc_lo
	v_add_co_u32 v9, vcc_lo, v9, s0
	v_add_co_ci_u32_e32 v10, vcc_lo, s1, v10, vcc_lo
	s_delay_alu instid0(VALU_DEP_4)
	s_and_b32 vcc_lo, exec_lo, s23
	s_waitcnt lgkmcnt(2)
	v_mul_f64 v[35:36], v[25:26], v[3:4]
	v_mul_f64 v[3:4], v[23:24], v[3:4]
	s_waitcnt lgkmcnt(0)
	v_mul_f64 v[41:42], v[29:30], v[33:34]
	v_mul_f64 v[43:44], v[27:28], v[33:34]
	s_delay_alu instid0(VALU_DEP_4) | instskip(NEXT) | instid1(VALU_DEP_4)
	v_fma_f64 v[45:46], v[23:24], v[1:2], -v[35:36]
	v_fma_f64 v[47:48], v[25:26], v[1:2], v[3:4]
	ds_load_b128 v[1:4], v19 offset:512
	ds_load_b128 v[23:26], v20 offset:32
	;; [unrolled: 1-line block ×4, first 2 shown]
	v_fma_f64 v[27:28], v[27:28], v[31:32], -v[41:42]
	v_fma_f64 v[29:30], v[29:30], v[31:32], v[43:44]
	s_waitcnt lgkmcnt(2)
	v_mul_f64 v[49:50], v[25:26], v[3:4]
	v_mul_f64 v[3:4], v[23:24], v[3:4]
	s_waitcnt lgkmcnt(0)
	v_mul_f64 v[31:32], v[35:36], v[39:40]
	v_mul_f64 v[39:40], v[33:34], v[39:40]
	v_add_f64 v[15:16], v[15:16], v[45:46]
	v_add_f64 v[13:14], v[13:14], v[47:48]
	v_fma_f64 v[41:42], v[23:24], v[1:2], -v[49:50]
	v_fma_f64 v[43:44], v[25:26], v[1:2], v[3:4]
	v_fma_f64 v[31:32], v[33:34], v[37:38], -v[31:32]
	v_fma_f64 v[33:34], v[35:36], v[37:38], v[39:40]
	v_add_f64 v[45:46], v[15:16], v[27:28]
	v_add_f64 v[47:48], v[13:14], v[29:30]
	ds_load_b128 v[1:4], v19 offset:1024
	ds_load_b128 v[13:16], v20 offset:64
	;; [unrolled: 1-line block ×4, first 2 shown]
	s_waitcnt lgkmcnt(2)
	v_mul_f64 v[49:50], v[15:16], v[3:4]
	v_mul_f64 v[3:4], v[13:14], v[3:4]
	s_waitcnt lgkmcnt(0)
	v_mul_f64 v[39:40], v[25:26], v[29:30]
	v_add_f64 v[35:36], v[45:46], v[41:42]
	v_add_f64 v[37:38], v[47:48], v[43:44]
	v_mul_f64 v[41:42], v[23:24], v[29:30]
	v_fma_f64 v[43:44], v[13:14], v[1:2], -v[49:50]
	v_fma_f64 v[45:46], v[15:16], v[1:2], v[3:4]
	v_fma_f64 v[23:24], v[23:24], v[27:28], -v[39:40]
	v_add_f64 v[47:48], v[35:36], v[31:32]
	v_add_f64 v[37:38], v[37:38], v[33:34]
	ds_load_b128 v[1:4], v19 offset:1536
	ds_load_b128 v[13:16], v20 offset:96
	;; [unrolled: 1-line block ×4, first 2 shown]
	v_fma_f64 v[25:26], v[25:26], v[27:28], v[41:42]
	s_waitcnt lgkmcnt(2)
	v_mul_f64 v[49:50], v[15:16], v[3:4]
	v_mul_f64 v[3:4], v[13:14], v[3:4]
	s_waitcnt lgkmcnt(0)
	v_mul_f64 v[39:40], v[31:32], v[35:36]
	v_mul_f64 v[41:42], v[29:30], v[35:36]
	v_add_f64 v[27:28], v[47:48], v[43:44]
	v_add_f64 v[37:38], v[37:38], v[45:46]
	v_fma_f64 v[43:44], v[13:14], v[1:2], -v[49:50]
	v_fma_f64 v[45:46], v[15:16], v[1:2], v[3:4]
	v_fma_f64 v[29:30], v[29:30], v[33:34], -v[39:40]
	v_fma_f64 v[31:32], v[31:32], v[33:34], v[41:42]
	v_add_f64 v[27:28], v[27:28], v[23:24]
	v_add_f64 v[47:48], v[37:38], v[25:26]
	ds_load_b128 v[1:4], v19 offset:2048
	ds_load_b128 v[13:16], v20 offset:128
	;; [unrolled: 1-line block ×4, first 2 shown]
	s_waitcnt lgkmcnt(2)
	v_mul_f64 v[49:50], v[15:16], v[3:4]
	v_mul_f64 v[3:4], v[13:14], v[3:4]
	s_waitcnt lgkmcnt(0)
	v_mul_f64 v[39:40], v[25:26], v[37:38]
	v_mul_f64 v[37:38], v[23:24], v[37:38]
	v_add_f64 v[27:28], v[27:28], v[43:44]
	v_add_f64 v[33:34], v[47:48], v[45:46]
	v_fma_f64 v[41:42], v[13:14], v[1:2], -v[49:50]
	v_fma_f64 v[43:44], v[15:16], v[1:2], v[3:4]
	v_fma_f64 v[23:24], v[23:24], v[35:36], -v[39:40]
	v_fma_f64 v[25:26], v[25:26], v[35:36], v[37:38]
	v_add_f64 v[45:46], v[27:28], v[29:30]
	v_add_f64 v[47:48], v[33:34], v[31:32]
	ds_load_b128 v[1:4], v19 offset:2560
	ds_load_b128 v[13:16], v20 offset:160
	;; [unrolled: 1-line block ×4, first 2 shown]
	s_waitcnt lgkmcnt(2)
	v_mul_f64 v[49:50], v[15:16], v[3:4]
	v_mul_f64 v[3:4], v[13:14], v[3:4]
	s_waitcnt lgkmcnt(0)
	v_mul_f64 v[39:40], v[29:30], v[33:34]
	v_add_f64 v[35:36], v[45:46], v[41:42]
	v_add_f64 v[37:38], v[47:48], v[43:44]
	v_mul_f64 v[41:42], v[27:28], v[33:34]
	v_fma_f64 v[43:44], v[13:14], v[1:2], -v[49:50]
	v_fma_f64 v[45:46], v[15:16], v[1:2], v[3:4]
	v_fma_f64 v[27:28], v[27:28], v[31:32], -v[39:40]
	v_add_f64 v[47:48], v[35:36], v[23:24]
	v_add_f64 v[37:38], v[37:38], v[25:26]
	ds_load_b128 v[1:4], v19 offset:3072
	ds_load_b128 v[13:16], v20 offset:192
	;; [unrolled: 1-line block ×4, first 2 shown]
	v_fma_f64 v[29:30], v[29:30], v[31:32], v[41:42]
	s_waitcnt lgkmcnt(2)
	v_mul_f64 v[49:50], v[15:16], v[3:4]
	v_mul_f64 v[3:4], v[13:14], v[3:4]
	s_waitcnt lgkmcnt(0)
	v_mul_f64 v[39:40], v[25:26], v[35:36]
	v_mul_f64 v[41:42], v[23:24], v[35:36]
	v_add_f64 v[31:32], v[47:48], v[43:44]
	v_add_f64 v[37:38], v[37:38], v[45:46]
	v_fma_f64 v[43:44], v[13:14], v[1:2], -v[49:50]
	v_fma_f64 v[45:46], v[15:16], v[1:2], v[3:4]
	v_fma_f64 v[23:24], v[23:24], v[33:34], -v[39:40]
	v_fma_f64 v[25:26], v[25:26], v[33:34], v[41:42]
	v_add_f64 v[31:32], v[31:32], v[27:28]
	v_add_f64 v[47:48], v[37:38], v[29:30]
	ds_load_b128 v[1:4], v19 offset:3584
	ds_load_b128 v[13:16], v20 offset:224
	;; [unrolled: 1-line block ×4, first 2 shown]
	s_waitcnt lgkmcnt(0)
	s_barrier
	buffer_gl0_inv
	v_mul_f64 v[49:50], v[15:16], v[3:4]
	v_mul_f64 v[3:4], v[13:14], v[3:4]
	;; [unrolled: 1-line block ×4, first 2 shown]
	v_add_f64 v[31:32], v[31:32], v[43:44]
	v_add_f64 v[33:34], v[47:48], v[45:46]
	v_fma_f64 v[13:14], v[13:14], v[1:2], -v[49:50]
	v_fma_f64 v[1:2], v[15:16], v[1:2], v[3:4]
	s_delay_alu instid0(VALU_DEP_4) | instskip(NEXT) | instid1(VALU_DEP_4)
	v_add_f64 v[3:4], v[31:32], v[23:24]
	v_add_f64 v[15:16], v[33:34], v[25:26]
	v_fma_f64 v[23:24], v[27:28], v[35:36], -v[39:40]
	v_fma_f64 v[25:26], v[29:30], v[35:36], v[37:38]
	s_delay_alu instid0(VALU_DEP_4) | instskip(NEXT) | instid1(VALU_DEP_4)
	v_add_f64 v[3:4], v[3:4], v[13:14]
	v_add_f64 v[1:2], v[15:16], v[1:2]
	s_delay_alu instid0(VALU_DEP_2) | instskip(NEXT) | instid1(VALU_DEP_2)
	v_add_f64 v[15:16], v[3:4], v[23:24]
	v_add_f64 v[13:14], v[1:2], v[25:26]
	s_cbranch_vccnz .LBB1678_9
.LBB1678_3:                             ; =>This Inner Loop Header: Depth=1
	v_add_co_u32 v1, s23, v18, s14
	s_delay_alu instid0(VALU_DEP_1) | instskip(NEXT) | instid1(VALU_DEP_1)
	v_add_co_ci_u32_e64 v2, null, 0, s15, s23
	v_cmp_le_i64_e32 vcc_lo, s[16:17], v[1:2]
	s_or_b32 s23, s22, vcc_lo
	s_delay_alu instid0(SALU_CYCLE_1) | instskip(NEXT) | instid1(SALU_CYCLE_1)
	s_and_saveexec_b32 s24, s23
	s_xor_b32 s23, exec_lo, s24
	s_cbranch_execz .LBB1678_5
; %bb.4:                                ;   in Loop: Header=BB1678_3 Depth=1
	v_mov_b32_e32 v1, v0
	v_mov_b32_e32 v2, v0
	;; [unrolled: 1-line block ×3, first 2 shown]
	ds_store_b128 v21, v[0:3]
.LBB1678_5:                             ;   in Loop: Header=BB1678_3 Depth=1
	s_and_not1_saveexec_b32 s23, s23
	s_cbranch_execz .LBB1678_7
; %bb.6:                                ;   in Loop: Header=BB1678_3 Depth=1
	global_load_b128 v[1:4], v[9:10], off
	s_waitcnt vmcnt(0)
	ds_store_2addr_b64 v21, v[1:2], v[3:4] offset1:1
.LBB1678_7:                             ;   in Loop: Header=BB1678_3 Depth=1
	s_or_b32 exec_lo, exec_lo, s23
	v_add_co_u32 v3, s23, v17, s14
	s_delay_alu instid0(VALU_DEP_1) | instskip(SKIP_2) | instid1(VALU_DEP_3)
	v_add_co_ci_u32_e64 v4, null, 0, s15, s23
	v_mov_b32_e32 v1, 0
	v_mov_b32_e32 v2, 0
	v_cmp_gt_i64_e32 vcc_lo, s[16:17], v[3:4]
	s_delay_alu instid0(VALU_DEP_2) | instskip(SKIP_1) | instid1(SALU_CYCLE_1)
	v_dual_mov_b32 v4, v2 :: v_dual_mov_b32 v3, v1
	s_and_b32 s24, s2, vcc_lo
	s_and_saveexec_b32 s23, s24
	s_cbranch_execz .LBB1678_2
; %bb.8:                                ;   in Loop: Header=BB1678_3 Depth=1
	global_load_b128 v[1:4], v[11:12], off offset:-8
	s_branch .LBB1678_2
.LBB1678_9:
	v_cmp_le_i32_e32 vcc_lo, v5, v7
	v_cmp_gt_i32_e64 s0, s3, v7
	s_delay_alu instid0(VALU_DEP_1) | instskip(NEXT) | instid1(SALU_CYCLE_1)
	s_and_b32 s0, vcc_lo, s0
	s_and_saveexec_b32 s1, s0
	s_cbranch_execz .LBB1678_11
; %bb.10:
	v_mul_lo_u32 v2, v7, s11
	v_mul_lo_u32 v3, v8, s10
	v_mad_u64_u32 v[0:1], null, v7, s10, 0
	v_mul_f64 v[8:9], s[18:19], v[13:14]
	s_delay_alu instid0(VALU_DEP_2) | instskip(SKIP_2) | instid1(VALU_DEP_3)
	v_add3_u32 v1, v1, v2, v3
	v_lshlrev_b64 v[2:3], 4, v[5:6]
	v_mul_f64 v[6:7], s[20:21], v[13:14]
	v_lshlrev_b64 v[0:1], 4, v[0:1]
	s_waitcnt lgkmcnt(0)
	s_delay_alu instid0(VALU_DEP_1) | instskip(NEXT) | instid1(VALU_DEP_2)
	v_add_co_u32 v0, vcc_lo, s8, v0
	v_add_co_ci_u32_e32 v1, vcc_lo, s9, v1, vcc_lo
	s_delay_alu instid0(VALU_DEP_2) | instskip(NEXT) | instid1(VALU_DEP_2)
	v_add_co_u32 v4, vcc_lo, v0, v2
	v_add_co_ci_u32_e32 v5, vcc_lo, v1, v3, vcc_lo
	global_load_b128 v[0:3], v[4:5], off
	v_fma_f64 v[8:9], s[20:21], v[15:16], v[8:9]
	v_fma_f64 v[6:7], s[18:19], v[15:16], -v[6:7]
	s_waitcnt vmcnt(0)
	v_mul_f64 v[10:11], s[6:7], v[2:3]
	v_mul_f64 v[2:3], s[4:5], v[2:3]
	s_delay_alu instid0(VALU_DEP_2) | instskip(NEXT) | instid1(VALU_DEP_2)
	v_fma_f64 v[10:11], s[4:5], v[0:1], -v[10:11]
	v_fma_f64 v[2:3], s[6:7], v[0:1], v[2:3]
	s_delay_alu instid0(VALU_DEP_2) | instskip(NEXT) | instid1(VALU_DEP_2)
	v_add_f64 v[0:1], v[6:7], v[10:11]
	v_add_f64 v[2:3], v[8:9], v[2:3]
	global_store_b128 v[4:5], v[0:3], off
.LBB1678_11:
	s_nop 0
	s_sendmsg sendmsg(MSG_DEALLOC_VGPRS)
	s_endpgm
	.section	.rodata,"a",@progbits
	.p2align	6, 0x0
	.amdhsa_kernel _ZL32rocblas_syrkx_herkx_small_kernelIl19rocblas_complex_numIdELi16ELb0ELb0ELc78ELc85EKPKS1_KPS1_EviT_T0_PT6_S7_lSA_S7_lS8_PT7_S7_li
		.amdhsa_group_segment_fixed_size 8192
		.amdhsa_private_segment_fixed_size 0
		.amdhsa_kernarg_size 124
		.amdhsa_user_sgpr_count 13
		.amdhsa_user_sgpr_dispatch_ptr 0
		.amdhsa_user_sgpr_queue_ptr 0
		.amdhsa_user_sgpr_kernarg_segment_ptr 1
		.amdhsa_user_sgpr_dispatch_id 0
		.amdhsa_user_sgpr_private_segment_size 0
		.amdhsa_wavefront_size32 1
		.amdhsa_uses_dynamic_stack 0
		.amdhsa_enable_private_segment 0
		.amdhsa_system_sgpr_workgroup_id_x 1
		.amdhsa_system_sgpr_workgroup_id_y 1
		.amdhsa_system_sgpr_workgroup_id_z 1
		.amdhsa_system_sgpr_workgroup_info 0
		.amdhsa_system_vgpr_workitem_id 1
		.amdhsa_next_free_vgpr 51
		.amdhsa_next_free_sgpr 30
		.amdhsa_reserve_vcc 1
		.amdhsa_float_round_mode_32 0
		.amdhsa_float_round_mode_16_64 0
		.amdhsa_float_denorm_mode_32 3
		.amdhsa_float_denorm_mode_16_64 3
		.amdhsa_dx10_clamp 1
		.amdhsa_ieee_mode 1
		.amdhsa_fp16_overflow 0
		.amdhsa_workgroup_processor_mode 1
		.amdhsa_memory_ordered 1
		.amdhsa_forward_progress 0
		.amdhsa_shared_vgpr_count 0
		.amdhsa_exception_fp_ieee_invalid_op 0
		.amdhsa_exception_fp_denorm_src 0
		.amdhsa_exception_fp_ieee_div_zero 0
		.amdhsa_exception_fp_ieee_overflow 0
		.amdhsa_exception_fp_ieee_underflow 0
		.amdhsa_exception_fp_ieee_inexact 0
		.amdhsa_exception_int_div_zero 0
	.end_amdhsa_kernel
	.section	.text._ZL32rocblas_syrkx_herkx_small_kernelIl19rocblas_complex_numIdELi16ELb0ELb0ELc78ELc85EKPKS1_KPS1_EviT_T0_PT6_S7_lSA_S7_lS8_PT7_S7_li,"axG",@progbits,_ZL32rocblas_syrkx_herkx_small_kernelIl19rocblas_complex_numIdELi16ELb0ELb0ELc78ELc85EKPKS1_KPS1_EviT_T0_PT6_S7_lSA_S7_lS8_PT7_S7_li,comdat
.Lfunc_end1678:
	.size	_ZL32rocblas_syrkx_herkx_small_kernelIl19rocblas_complex_numIdELi16ELb0ELb0ELc78ELc85EKPKS1_KPS1_EviT_T0_PT6_S7_lSA_S7_lS8_PT7_S7_li, .Lfunc_end1678-_ZL32rocblas_syrkx_herkx_small_kernelIl19rocblas_complex_numIdELi16ELb0ELb0ELc78ELc85EKPKS1_KPS1_EviT_T0_PT6_S7_lSA_S7_lS8_PT7_S7_li
                                        ; -- End function
	.section	.AMDGPU.csdata,"",@progbits
; Kernel info:
; codeLenInByte = 2048
; NumSgprs: 32
; NumVgprs: 51
; ScratchSize: 0
; MemoryBound: 1
; FloatMode: 240
; IeeeMode: 1
; LDSByteSize: 8192 bytes/workgroup (compile time only)
; SGPRBlocks: 3
; VGPRBlocks: 6
; NumSGPRsForWavesPerEU: 32
; NumVGPRsForWavesPerEU: 51
; Occupancy: 16
; WaveLimiterHint : 1
; COMPUTE_PGM_RSRC2:SCRATCH_EN: 0
; COMPUTE_PGM_RSRC2:USER_SGPR: 13
; COMPUTE_PGM_RSRC2:TRAP_HANDLER: 0
; COMPUTE_PGM_RSRC2:TGID_X_EN: 1
; COMPUTE_PGM_RSRC2:TGID_Y_EN: 1
; COMPUTE_PGM_RSRC2:TGID_Z_EN: 1
; COMPUTE_PGM_RSRC2:TIDIG_COMP_CNT: 1
	.section	.text._ZL34rocblas_syrkx_herkx_general_kernelIl19rocblas_complex_numIdELi16ELi32ELi8ELb1ELb0ELc84ELc76EKPKS1_KPS1_EviT_T0_PT8_S7_lSA_S7_lS8_PT9_S7_li,"axG",@progbits,_ZL34rocblas_syrkx_herkx_general_kernelIl19rocblas_complex_numIdELi16ELi32ELi8ELb1ELb0ELc84ELc76EKPKS1_KPS1_EviT_T0_PT8_S7_lSA_S7_lS8_PT9_S7_li,comdat
	.globl	_ZL34rocblas_syrkx_herkx_general_kernelIl19rocblas_complex_numIdELi16ELi32ELi8ELb1ELb0ELc84ELc76EKPKS1_KPS1_EviT_T0_PT8_S7_lSA_S7_lS8_PT9_S7_li ; -- Begin function _ZL34rocblas_syrkx_herkx_general_kernelIl19rocblas_complex_numIdELi16ELi32ELi8ELb1ELb0ELc84ELc76EKPKS1_KPS1_EviT_T0_PT8_S7_lSA_S7_lS8_PT9_S7_li
	.p2align	8
	.type	_ZL34rocblas_syrkx_herkx_general_kernelIl19rocblas_complex_numIdELi16ELi32ELi8ELb1ELb0ELc84ELc76EKPKS1_KPS1_EviT_T0_PT8_S7_lSA_S7_lS8_PT9_S7_li,@function
_ZL34rocblas_syrkx_herkx_general_kernelIl19rocblas_complex_numIdELi16ELi32ELi8ELb1ELb0ELc84ELc76EKPKS1_KPS1_EviT_T0_PT8_S7_lSA_S7_lS8_PT9_S7_li: ; @_ZL34rocblas_syrkx_herkx_general_kernelIl19rocblas_complex_numIdELi16ELi32ELi8ELb1ELb0ELc84ELc76EKPKS1_KPS1_EviT_T0_PT8_S7_lSA_S7_lS8_PT9_S7_li
; %bb.0:
	s_clause 0x1
	s_load_b128 s[16:19], s[0:1], 0x60
	s_load_b256 s[4:11], s[0:1], 0x8
	s_mov_b32 s2, s15
	s_mov_b32 s3, 0
	s_load_b64 s[22:23], s[0:1], 0x28
	s_lshl_b64 s[20:21], s[2:3], 3
	v_mov_b32_e32 v20, 0
	v_dual_mov_b32 v21, 0 :: v_dual_and_b32 v24, 0x3ff, v0
	v_bfe_u32 v25, v0, 10, 10
	s_delay_alu instid0(VALU_DEP_3) | instskip(NEXT) | instid1(VALU_DEP_3)
	v_mov_b32_e32 v16, v20
	v_dual_mov_b32 v18, v20 :: v_dual_mov_b32 v19, v21
	v_dual_mov_b32 v23, v21 :: v_dual_mov_b32 v22, v20
	;; [unrolled: 1-line block ×4, first 2 shown]
	v_mov_b32_e32 v15, v21
	s_waitcnt lgkmcnt(0)
	s_add_u32 s2, s16, s20
	s_addc_u32 s3, s17, s21
	s_load_b32 s15, s[0:1], 0x0
	s_load_b64 s[16:17], s[2:3], 0x0
	v_cmp_lt_i64_e64 s2, s[4:5], 1
	v_dual_mov_b32 v10, v20 :: v_dual_mov_b32 v11, v21
	v_dual_mov_b32 v8, v20 :: v_dual_mov_b32 v9, v21
	s_lshl_b32 s24, s13, 5
	s_lshl_b32 s14, s14, 5
	s_delay_alu instid0(VALU_DEP_3)
	s_and_b32 vcc_lo, exec_lo, s2
	s_mov_b64 s[12:13], 0
	s_cbranch_vccnz .LBB1679_11
; %bb.1:
	v_lshl_add_u32 v0, v25, 4, v24
	v_and_b32_e32 v26, 7, v24
	s_load_b128 s[0:3], s[0:1], 0x38
	v_lshl_add_u32 v31, v25, 7, 0x1000
	s_delay_alu instid0(VALU_DEP_3) | instskip(SKIP_2) | instid1(VALU_DEP_3)
	v_and_b32_e32 v1, 31, v0
	v_lshrrev_b32_e32 v27, 5, v0
	v_lshrrev_b32_e32 v5, 3, v0
	v_or_b32_e32 v8, s24, v1
	v_lshlrev_b32_e32 v9, 4, v1
	s_waitcnt lgkmcnt(0)
	s_delay_alu instid0(VALU_DEP_2) | instskip(NEXT) | instid1(VALU_DEP_2)
	v_cmp_gt_i32_e32 vcc_lo, s15, v8
	v_lshl_or_b32 v28, v27, 9, v9
	v_mov_b32_e32 v8, 0
	v_dual_mov_b32 v9, 0 :: v_dual_add_nc_u32 v0, s24, v1
	v_add_nc_u32_e32 v6, s14, v5
	v_lshlrev_b32_e32 v7, 4, v26
	s_add_u32 s0, s0, s20
	s_delay_alu instid0(VALU_DEP_3) | instskip(SKIP_4) | instid1(VALU_DEP_3)
	v_mov_b32_e32 v15, v9
	v_ashrrev_i32_e32 v4, 31, v0
	v_mul_lo_u32 v10, s23, v0
	v_mad_u64_u32 v[1:2], null, s22, v0, 0
	s_addc_u32 s1, s1, s21
	v_mul_lo_u32 v11, s22, v4
	s_add_u32 s10, s10, s20
	s_addc_u32 s11, s11, s21
	s_load_b64 s[20:21], s[0:1], 0x0
	s_load_b64 s[10:11], s[10:11], 0x0
	v_lshlrev_b32_e32 v30, 4, v24
	v_dual_mov_b32 v0, 0 :: v_dual_mov_b32 v19, v9
	v_mov_b32_e32 v18, v8
	v_add3_u32 v2, v2, v11, v10
	v_mov_b32_e32 v11, v9
	v_ashrrev_i32_e32 v3, 31, v6
	v_mul_lo_u32 v13, s3, v6
	v_mov_b32_e32 v10, v8
	v_lshl_or_b32 v5, v5, 7, v7
	v_lshlrev_b64 v[1:2], 4, v[1:2]
	v_mul_lo_u32 v12, s2, v3
	v_mad_u64_u32 v[3:4], null, s2, v6, 0
	s_delay_alu instid0(VALU_DEP_4)
	v_dual_mov_b32 v14, v8 :: v_dual_add_nc_u32 v29, 0x1000, v5
	v_lshlrev_b32_e32 v5, 4, v27
	v_cmp_gt_i32_e64 s0, s15, v6
	v_dual_mov_b32 v17, v9 :: v_dual_mov_b32 v16, v8
	v_add3_u32 v4, v4, v12, v13
	v_dual_mov_b32 v13, v9 :: v_dual_mov_b32 v12, v8
	v_add_co_u32 v1, s1, v1, v5
	s_delay_alu instid0(VALU_DEP_3) | instskip(SKIP_3) | instid1(VALU_DEP_4)
	v_lshlrev_b64 v[3:4], 4, v[3:4]
	v_add_co_ci_u32_e64 v2, s1, 0, v2, s1
	v_dual_mov_b32 v23, v9 :: v_dual_mov_b32 v22, v8
	v_dual_mov_b32 v21, v9 :: v_dual_mov_b32 v20, v8
	v_add_co_u32 v3, s1, v3, v7
	s_delay_alu instid0(VALU_DEP_1) | instskip(SKIP_2) | instid1(VALU_DEP_1)
	v_add_co_ci_u32_e64 v7, s1, 0, v4, s1
	s_waitcnt lgkmcnt(0)
	v_add_co_u32 v4, s1, s10, v1
	v_add_co_ci_u32_e64 v5, s1, s11, v2, s1
	v_add_co_u32 v6, s1, s20, v3
	s_delay_alu instid0(VALU_DEP_1)
	v_add_co_ci_u32_e64 v7, s1, s21, v7, s1
	s_xor_b32 s1, vcc_lo, -1
	s_xor_b32 s0, s0, -1
	s_branch .LBB1679_3
.LBB1679_2:                             ;   in Loop: Header=BB1679_3 Depth=1
	s_or_b32 exec_lo, exec_lo, s2
	s_waitcnt lgkmcnt(0)
	s_barrier
	buffer_gl0_inv
	ds_load_b128 v[32:35], v31
	ds_load_b128 v[36:39], v30
	ds_load_b128 v[40:43], v30 offset:256
	ds_load_b128 v[44:47], v31 offset:2048
	;; [unrolled: 1-line block ×9, first 2 shown]
	s_add_u32 s12, s12, 8
	s_addc_u32 s13, s13, 0
	v_add_co_u32 v4, vcc_lo, 0x80, v4
	v_cmp_ge_i64_e64 s2, s[12:13], s[4:5]
	v_add_co_ci_u32_e32 v5, vcc_lo, 0, v5, vcc_lo
	v_add_co_u32 v6, vcc_lo, 0x80, v6
	v_add_co_ci_u32_e32 v7, vcc_lo, 0, v7, vcc_lo
	s_delay_alu instid0(VALU_DEP_4)
	s_and_b32 vcc_lo, exec_lo, s2
	s_waitcnt lgkmcnt(9)
	v_mul_f64 v[1:2], v[34:35], v[38:39]
	v_mul_f64 v[76:77], v[32:33], v[38:39]
	s_waitcnt lgkmcnt(8)
	v_mul_f64 v[78:79], v[34:35], v[42:43]
	v_mul_f64 v[80:81], v[32:33], v[42:43]
	;; [unrolled: 3-line block ×3, first 2 shown]
	v_mul_f64 v[84:85], v[46:47], v[42:43]
	v_mul_f64 v[42:43], v[44:45], v[42:43]
	s_waitcnt lgkmcnt(4)
	v_mul_f64 v[86:87], v[50:51], v[58:59]
	v_mul_f64 v[88:89], v[48:49], v[58:59]
	s_waitcnt lgkmcnt(3)
	v_mul_f64 v[90:91], v[50:51], v[62:63]
	v_mul_f64 v[92:93], v[48:49], v[62:63]
	v_mul_f64 v[94:95], v[54:55], v[58:59]
	v_mul_f64 v[58:59], v[52:53], v[58:59]
	v_mul_f64 v[96:97], v[54:55], v[62:63]
	v_mul_f64 v[62:63], v[52:53], v[62:63]
	s_waitcnt lgkmcnt(0)
	v_mul_f64 v[114:115], v[74:75], v[66:67]
	v_mul_f64 v[116:117], v[74:75], v[70:71]
	v_fma_f64 v[1:2], v[32:33], v[36:37], -v[1:2]
	v_fma_f64 v[98:99], v[34:35], v[36:37], v[76:77]
	v_fma_f64 v[100:101], v[32:33], v[40:41], -v[78:79]
	v_fma_f64 v[80:81], v[34:35], v[40:41], v[80:81]
	;; [unrolled: 2-line block ×4, first 2 shown]
	ds_load_b128 v[76:79], v31 offset:32
	v_fma_f64 v[86:87], v[48:49], v[56:57], -v[86:87]
	v_fma_f64 v[88:89], v[50:51], v[56:57], v[88:89]
	v_fma_f64 v[48:49], v[48:49], v[60:61], -v[90:91]
	v_fma_f64 v[50:51], v[50:51], v[60:61], v[92:93]
	;; [unrolled: 2-line block ×4, first 2 shown]
	ds_load_b128 v[32:35], v31 offset:48
	ds_load_b128 v[36:39], v31 offset:2096
	;; [unrolled: 1-line block ×4, first 2 shown]
	s_waitcnt lgkmcnt(4)
	v_mul_f64 v[106:107], v[78:79], v[66:67]
	v_mul_f64 v[108:109], v[76:77], v[66:67]
	;; [unrolled: 1-line block ×6, first 2 shown]
	s_waitcnt lgkmcnt(1)
	v_mul_f64 v[92:93], v[32:33], v[42:43]
	s_waitcnt lgkmcnt(0)
	v_mul_f64 v[94:95], v[34:35], v[46:47]
	v_add_f64 v[1:2], v[20:21], v[1:2]
	v_add_f64 v[20:21], v[22:23], v[98:99]
	;; [unrolled: 1-line block ×8, first 2 shown]
	v_mul_f64 v[84:85], v[34:35], v[42:43]
	v_mul_f64 v[96:97], v[32:33], v[46:47]
	v_mul_f64 v[98:99], v[38:39], v[42:43]
	v_mul_f64 v[42:43], v[36:37], v[42:43]
	v_mul_f64 v[100:101], v[38:39], v[46:47]
	v_mul_f64 v[102:103], v[36:37], v[46:47]
	ds_load_b128 v[8:11], v30 offset:2048
	ds_load_b128 v[12:15], v30 offset:2304
	;; [unrolled: 1-line block ×3, first 2 shown]
	v_fma_f64 v[104:105], v[76:77], v[64:65], -v[106:107]
	v_fma_f64 v[106:107], v[78:79], v[64:65], v[108:109]
	v_fma_f64 v[76:77], v[76:77], v[68:69], -v[110:111]
	v_fma_f64 v[78:79], v[78:79], v[68:69], v[112:113]
	;; [unrolled: 2-line block ×4, first 2 shown]
	s_waitcnt lgkmcnt(0)
	v_mul_f64 v[114:115], v[18:19], v[10:11]
	v_mul_f64 v[116:117], v[18:19], v[14:15]
	v_add_f64 v[1:2], v[1:2], v[86:87]
	v_add_f64 v[70:71], v[20:21], v[88:89]
	;; [unrolled: 1-line block ×8, first 2 shown]
	ds_load_b128 v[20:23], v31 offset:64
	v_fma_f64 v[84:85], v[32:33], v[40:41], -v[84:85]
	v_fma_f64 v[92:93], v[34:35], v[40:41], v[92:93]
	v_fma_f64 v[94:95], v[32:33], v[44:45], -v[94:95]
	v_fma_f64 v[96:97], v[34:35], v[44:45], v[96:97]
	;; [unrolled: 2-line block ×4, first 2 shown]
	ds_load_b128 v[46:49], v31 offset:80
	ds_load_b128 v[50:53], v31 offset:2128
	;; [unrolled: 1-line block ×7, first 2 shown]
	s_waitcnt lgkmcnt(7)
	v_mul_f64 v[88:89], v[22:23], v[10:11]
	v_mul_f64 v[90:91], v[20:21], v[10:11]
	;; [unrolled: 1-line block ×6, first 2 shown]
	s_waitcnt lgkmcnt(3)
	v_mul_f64 v[102:103], v[52:53], v[60:61]
	v_add_f64 v[1:2], v[1:2], v[104:105]
	v_add_f64 v[70:71], v[70:71], v[106:107]
	;; [unrolled: 1-line block ×8, first 2 shown]
	v_mul_f64 v[68:69], v[48:49], v[56:57]
	v_mul_f64 v[78:79], v[46:47], v[56:57]
	;; [unrolled: 1-line block ×7, first 2 shown]
	v_fma_f64 v[88:89], v[20:21], v[8:9], -v[88:89]
	v_fma_f64 v[90:91], v[22:23], v[8:9], v[90:91]
	v_fma_f64 v[106:107], v[20:21], v[12:13], -v[110:111]
	v_fma_f64 v[108:109], v[22:23], v[12:13], v[112:113]
	;; [unrolled: 2-line block ×4, first 2 shown]
	ds_load_b128 v[8:11], v31 offset:96
	v_add_f64 v[1:2], v[1:2], v[84:85]
	v_add_f64 v[70:71], v[70:71], v[92:93]
	;; [unrolled: 1-line block ×8, first 2 shown]
	s_waitcnt lgkmcnt(1)
	v_mul_f64 v[98:99], v[42:43], v[34:35]
	v_mul_f64 v[100:101], v[42:43], v[38:39]
	v_fma_f64 v[68:69], v[46:47], v[54:55], -v[68:69]
	v_fma_f64 v[78:79], v[48:49], v[54:55], v[78:79]
	v_fma_f64 v[46:47], v[46:47], v[58:59], -v[80:81]
	v_fma_f64 v[48:49], v[48:49], v[58:59], v[82:83]
	;; [unrolled: 2-line block ×4, first 2 shown]
	s_waitcnt lgkmcnt(0)
	v_mul_f64 v[66:67], v[10:11], v[34:35]
	v_mul_f64 v[92:93], v[8:9], v[34:35]
	;; [unrolled: 1-line block ×6, first 2 shown]
	ds_load_b128 v[12:15], v31 offset:112
	ds_load_b128 v[16:19], v31 offset:2160
	ds_load_b128 v[20:23], v30 offset:3584
	ds_load_b128 v[60:63], v30 offset:3840
	s_waitcnt lgkmcnt(0)
	s_barrier
	buffer_gl0_inv
	v_add_f64 v[1:2], v[1:2], v[88:89]
	v_add_f64 v[56:57], v[70:71], v[90:91]
	;; [unrolled: 1-line block ×8, first 2 shown]
	v_mul_f64 v[76:77], v[14:15], v[22:23]
	v_mul_f64 v[82:83], v[12:13], v[22:23]
	v_mul_f64 v[84:85], v[14:15], v[62:63]
	v_mul_f64 v[86:87], v[12:13], v[62:63]
	v_mul_f64 v[88:89], v[18:19], v[22:23]
	v_mul_f64 v[22:23], v[16:17], v[22:23]
	v_mul_f64 v[90:91], v[18:19], v[62:63]
	v_mul_f64 v[62:63], v[16:17], v[62:63]
	v_fma_f64 v[66:67], v[8:9], v[32:33], -v[66:67]
	v_fma_f64 v[92:93], v[10:11], v[32:33], v[92:93]
	v_fma_f64 v[8:9], v[8:9], v[36:37], -v[94:95]
	v_fma_f64 v[10:11], v[10:11], v[36:37], v[96:97]
	;; [unrolled: 2-line block ×4, first 2 shown]
	v_add_f64 v[1:2], v[1:2], v[68:69]
	v_add_f64 v[38:39], v[56:57], v[78:79]
	;; [unrolled: 1-line block ×8, first 2 shown]
	v_fma_f64 v[52:53], v[12:13], v[20:21], -v[76:77]
	v_fma_f64 v[54:55], v[14:15], v[20:21], v[82:83]
	v_fma_f64 v[12:13], v[12:13], v[60:61], -v[84:85]
	v_fma_f64 v[14:15], v[14:15], v[60:61], v[86:87]
	;; [unrolled: 2-line block ×4, first 2 shown]
	v_add_f64 v[1:2], v[1:2], v[66:67]
	v_add_f64 v[16:17], v[38:39], v[92:93]
	;; [unrolled: 1-line block ×16, first 2 shown]
	s_cbranch_vccnz .LBB1679_11
.LBB1679_3:                             ; =>This Inner Loop Header: Depth=1
	v_add_co_u32 v1, s2, v27, s12
	s_delay_alu instid0(VALU_DEP_1) | instskip(NEXT) | instid1(VALU_DEP_1)
	v_add_co_ci_u32_e64 v2, null, 0, s13, s2
	v_cmp_le_i64_e32 vcc_lo, s[4:5], v[1:2]
	s_or_b32 s2, s1, vcc_lo
	s_delay_alu instid0(SALU_CYCLE_1) | instskip(NEXT) | instid1(SALU_CYCLE_1)
	s_and_saveexec_b32 s3, s2
	s_xor_b32 s2, exec_lo, s3
	s_cbranch_execz .LBB1679_5
; %bb.4:                                ;   in Loop: Header=BB1679_3 Depth=1
	v_mov_b32_e32 v1, v0
	v_mov_b32_e32 v2, v0
	;; [unrolled: 1-line block ×3, first 2 shown]
	ds_store_b128 v28, v[0:3]
.LBB1679_5:                             ;   in Loop: Header=BB1679_3 Depth=1
	s_and_not1_saveexec_b32 s2, s2
	s_cbranch_execz .LBB1679_7
; %bb.6:                                ;   in Loop: Header=BB1679_3 Depth=1
	global_load_b128 v[32:35], v[4:5], off
	s_waitcnt vmcnt(0)
	ds_store_2addr_b64 v28, v[32:33], v[34:35] offset1:1
.LBB1679_7:                             ;   in Loop: Header=BB1679_3 Depth=1
	s_or_b32 exec_lo, exec_lo, s2
	v_add_co_u32 v1, s2, v26, s12
	s_delay_alu instid0(VALU_DEP_1) | instskip(NEXT) | instid1(VALU_DEP_1)
	v_add_co_ci_u32_e64 v2, null, 0, s13, s2
	v_cmp_le_i64_e32 vcc_lo, s[4:5], v[1:2]
	s_or_b32 s2, vcc_lo, s0
	s_delay_alu instid0(SALU_CYCLE_1) | instskip(NEXT) | instid1(SALU_CYCLE_1)
	s_and_saveexec_b32 s3, s2
	s_xor_b32 s2, exec_lo, s3
	s_cbranch_execz .LBB1679_9
; %bb.8:                                ;   in Loop: Header=BB1679_3 Depth=1
	v_mov_b32_e32 v1, v0
	v_mov_b32_e32 v2, v0
	;; [unrolled: 1-line block ×3, first 2 shown]
	ds_store_b128 v29, v[0:3]
.LBB1679_9:                             ;   in Loop: Header=BB1679_3 Depth=1
	s_and_not1_saveexec_b32 s2, s2
	s_cbranch_execz .LBB1679_2
; %bb.10:                               ;   in Loop: Header=BB1679_3 Depth=1
	global_load_b128 v[32:35], v[6:7], off
	s_waitcnt vmcnt(0)
	ds_store_2addr_b64 v29, v[32:33], v[34:35] offset1:1
	s_branch .LBB1679_2
.LBB1679_11:
	v_add_nc_u32_e32 v4, s14, v25
	s_delay_alu instid0(VALU_DEP_1) | instskip(SKIP_2) | instid1(VALU_DEP_3)
	v_ashrrev_i32_e32 v0, 31, v4
	v_mul_lo_u32 v3, v4, s19
	v_mad_u64_u32 v[1:2], null, v4, s18, 0
	v_mul_lo_u32 v0, v0, s18
	s_delay_alu instid0(VALU_DEP_1) | instskip(SKIP_1) | instid1(VALU_DEP_2)
	v_add3_u32 v2, v2, v3, v0
	v_add_nc_u32_e32 v0, s24, v24
	v_lshlrev_b64 v[1:2], 4, v[1:2]
	s_delay_alu instid0(VALU_DEP_2) | instskip(SKIP_2) | instid1(VALU_DEP_3)
	v_cmp_le_i32_e64 s0, v4, v0
	s_waitcnt lgkmcnt(0)
	v_cmp_gt_i32_e32 vcc_lo, s15, v0
	v_add_co_u32 v5, s1, s16, v1
	s_delay_alu instid0(VALU_DEP_1) | instskip(SKIP_1) | instid1(SALU_CYCLE_1)
	v_add_co_ci_u32_e64 v6, s1, s17, v2, s1
	s_and_b32 s0, s0, vcc_lo
	s_and_saveexec_b32 s1, s0
	s_cbranch_execz .LBB1679_13
; %bb.12:
	v_mul_f64 v[1:2], s[8:9], v[22:23]
	v_mul_f64 v[24:25], s[6:7], v[22:23]
	s_delay_alu instid0(VALU_DEP_2) | instskip(NEXT) | instid1(VALU_DEP_2)
	v_fma_f64 v[22:23], s[6:7], v[20:21], -v[1:2]
	v_fma_f64 v[24:25], s[8:9], v[20:21], v[24:25]
	v_ashrrev_i32_e32 v1, 31, v0
	s_delay_alu instid0(VALU_DEP_1) | instskip(NEXT) | instid1(VALU_DEP_1)
	v_lshlrev_b64 v[1:2], 4, v[0:1]
	v_add_co_u32 v1, s0, v5, v1
	s_delay_alu instid0(VALU_DEP_1)
	v_add_co_ci_u32_e64 v2, s0, v6, v2, s0
	global_store_b128 v[1:2], v[22:25], off
.LBB1679_13:
	s_or_b32 exec_lo, exec_lo, s1
	v_add_nc_u32_e32 v2, 16, v0
	s_delay_alu instid0(VALU_DEP_1) | instskip(SKIP_1) | instid1(VALU_DEP_1)
	v_cmp_le_i32_e64 s1, v4, v2
	v_cmp_gt_i32_e64 s0, s15, v2
	s_and_b32 s1, s1, s0
	s_delay_alu instid0(SALU_CYCLE_1)
	s_and_saveexec_b32 s2, s1
	s_cbranch_execz .LBB1679_15
; %bb.14:
	v_mul_f64 v[20:21], s[8:9], v[18:19]
	v_mul_f64 v[22:23], s[6:7], v[18:19]
	v_ashrrev_i32_e32 v3, 31, v2
	s_delay_alu instid0(VALU_DEP_3) | instskip(NEXT) | instid1(VALU_DEP_3)
	v_fma_f64 v[18:19], s[6:7], v[16:17], -v[20:21]
	v_fma_f64 v[20:21], s[8:9], v[16:17], v[22:23]
	s_delay_alu instid0(VALU_DEP_3) | instskip(NEXT) | instid1(VALU_DEP_1)
	v_lshlrev_b64 v[16:17], 4, v[2:3]
	v_add_co_u32 v5, s1, v5, v16
	s_delay_alu instid0(VALU_DEP_1)
	v_add_co_ci_u32_e64 v6, s1, v6, v17, s1
	global_store_b128 v[5:6], v[18:21], off
.LBB1679_15:
	s_or_b32 exec_lo, exec_lo, s2
	v_add_nc_u32_e32 v3, 16, v4
	s_delay_alu instid0(VALU_DEP_1) | instskip(SKIP_3) | instid1(VALU_DEP_4)
	v_ashrrev_i32_e32 v1, 31, v3
	v_mul_lo_u32 v6, v3, s19
	v_mad_u64_u32 v[4:5], null, v3, s18, 0
	v_cmp_le_i32_e64 s1, v3, v0
	v_mul_lo_u32 v1, v1, s18
	s_delay_alu instid0(VALU_DEP_1) | instskip(NEXT) | instid1(VALU_DEP_1)
	v_add3_u32 v5, v5, v6, v1
	v_lshlrev_b64 v[4:5], 4, v[4:5]
	s_delay_alu instid0(VALU_DEP_1) | instskip(NEXT) | instid1(VALU_DEP_1)
	v_add_co_u32 v4, s2, s16, v4
	v_add_co_ci_u32_e64 v5, s2, s17, v5, s2
	s_and_b32 s2, s1, vcc_lo
	s_delay_alu instid0(SALU_CYCLE_1)
	s_and_saveexec_b32 s1, s2
	s_cbranch_execz .LBB1679_17
; %bb.16:
	v_mul_f64 v[6:7], s[8:9], v[14:15]
	v_mul_f64 v[16:17], s[6:7], v[14:15]
	v_ashrrev_i32_e32 v1, 31, v0
	s_delay_alu instid0(VALU_DEP_1) | instskip(NEXT) | instid1(VALU_DEP_1)
	v_lshlrev_b64 v[0:1], 4, v[0:1]
	v_add_co_u32 v0, vcc_lo, v4, v0
	s_delay_alu instid0(VALU_DEP_2)
	v_add_co_ci_u32_e32 v1, vcc_lo, v5, v1, vcc_lo
	v_fma_f64 v[14:15], s[6:7], v[12:13], -v[6:7]
	v_fma_f64 v[16:17], s[8:9], v[12:13], v[16:17]
	global_store_b128 v[0:1], v[14:17], off
.LBB1679_17:
	s_or_b32 exec_lo, exec_lo, s1
	v_cmp_le_i32_e32 vcc_lo, v3, v2
	s_and_b32 s0, vcc_lo, s0
	s_delay_alu instid0(SALU_CYCLE_1)
	s_and_saveexec_b32 s1, s0
	s_cbranch_execz .LBB1679_19
; %bb.18:
	v_mul_f64 v[0:1], s[8:9], v[8:9]
	v_mul_f64 v[8:9], s[6:7], v[8:9]
	v_ashrrev_i32_e32 v3, 31, v2
	s_delay_alu instid0(VALU_DEP_3) | instskip(NEXT) | instid1(VALU_DEP_3)
	v_fma_f64 v[6:7], s[6:7], v[10:11], -v[0:1]
	v_fma_f64 v[8:9], s[8:9], v[10:11], v[8:9]
	s_delay_alu instid0(VALU_DEP_3) | instskip(NEXT) | instid1(VALU_DEP_1)
	v_lshlrev_b64 v[0:1], 4, v[2:3]
	v_add_co_u32 v0, vcc_lo, v4, v0
	s_delay_alu instid0(VALU_DEP_2)
	v_add_co_ci_u32_e32 v1, vcc_lo, v5, v1, vcc_lo
	global_store_b128 v[0:1], v[6:9], off
.LBB1679_19:
	s_nop 0
	s_sendmsg sendmsg(MSG_DEALLOC_VGPRS)
	s_endpgm
	.section	.rodata,"a",@progbits
	.p2align	6, 0x0
	.amdhsa_kernel _ZL34rocblas_syrkx_herkx_general_kernelIl19rocblas_complex_numIdELi16ELi32ELi8ELb1ELb0ELc84ELc76EKPKS1_KPS1_EviT_T0_PT8_S7_lSA_S7_lS8_PT9_S7_li
		.amdhsa_group_segment_fixed_size 8192
		.amdhsa_private_segment_fixed_size 0
		.amdhsa_kernarg_size 124
		.amdhsa_user_sgpr_count 13
		.amdhsa_user_sgpr_dispatch_ptr 0
		.amdhsa_user_sgpr_queue_ptr 0
		.amdhsa_user_sgpr_kernarg_segment_ptr 1
		.amdhsa_user_sgpr_dispatch_id 0
		.amdhsa_user_sgpr_private_segment_size 0
		.amdhsa_wavefront_size32 1
		.amdhsa_uses_dynamic_stack 0
		.amdhsa_enable_private_segment 0
		.amdhsa_system_sgpr_workgroup_id_x 1
		.amdhsa_system_sgpr_workgroup_id_y 1
		.amdhsa_system_sgpr_workgroup_id_z 1
		.amdhsa_system_sgpr_workgroup_info 0
		.amdhsa_system_vgpr_workitem_id 1
		.amdhsa_next_free_vgpr 120
		.amdhsa_next_free_sgpr 25
		.amdhsa_reserve_vcc 1
		.amdhsa_float_round_mode_32 0
		.amdhsa_float_round_mode_16_64 0
		.amdhsa_float_denorm_mode_32 3
		.amdhsa_float_denorm_mode_16_64 3
		.amdhsa_dx10_clamp 1
		.amdhsa_ieee_mode 1
		.amdhsa_fp16_overflow 0
		.amdhsa_workgroup_processor_mode 1
		.amdhsa_memory_ordered 1
		.amdhsa_forward_progress 0
		.amdhsa_shared_vgpr_count 0
		.amdhsa_exception_fp_ieee_invalid_op 0
		.amdhsa_exception_fp_denorm_src 0
		.amdhsa_exception_fp_ieee_div_zero 0
		.amdhsa_exception_fp_ieee_overflow 0
		.amdhsa_exception_fp_ieee_underflow 0
		.amdhsa_exception_fp_ieee_inexact 0
		.amdhsa_exception_int_div_zero 0
	.end_amdhsa_kernel
	.section	.text._ZL34rocblas_syrkx_herkx_general_kernelIl19rocblas_complex_numIdELi16ELi32ELi8ELb1ELb0ELc84ELc76EKPKS1_KPS1_EviT_T0_PT8_S7_lSA_S7_lS8_PT9_S7_li,"axG",@progbits,_ZL34rocblas_syrkx_herkx_general_kernelIl19rocblas_complex_numIdELi16ELi32ELi8ELb1ELb0ELc84ELc76EKPKS1_KPS1_EviT_T0_PT8_S7_lSA_S7_lS8_PT9_S7_li,comdat
.Lfunc_end1679:
	.size	_ZL34rocblas_syrkx_herkx_general_kernelIl19rocblas_complex_numIdELi16ELi32ELi8ELb1ELb0ELc84ELc76EKPKS1_KPS1_EviT_T0_PT8_S7_lSA_S7_lS8_PT9_S7_li, .Lfunc_end1679-_ZL34rocblas_syrkx_herkx_general_kernelIl19rocblas_complex_numIdELi16ELi32ELi8ELb1ELb0ELc84ELc76EKPKS1_KPS1_EviT_T0_PT8_S7_lSA_S7_lS8_PT9_S7_li
                                        ; -- End function
	.section	.AMDGPU.csdata,"",@progbits
; Kernel info:
; codeLenInByte = 3332
; NumSgprs: 27
; NumVgprs: 120
; ScratchSize: 0
; MemoryBound: 0
; FloatMode: 240
; IeeeMode: 1
; LDSByteSize: 8192 bytes/workgroup (compile time only)
; SGPRBlocks: 3
; VGPRBlocks: 14
; NumSGPRsForWavesPerEU: 27
; NumVGPRsForWavesPerEU: 120
; Occupancy: 12
; WaveLimiterHint : 1
; COMPUTE_PGM_RSRC2:SCRATCH_EN: 0
; COMPUTE_PGM_RSRC2:USER_SGPR: 13
; COMPUTE_PGM_RSRC2:TRAP_HANDLER: 0
; COMPUTE_PGM_RSRC2:TGID_X_EN: 1
; COMPUTE_PGM_RSRC2:TGID_Y_EN: 1
; COMPUTE_PGM_RSRC2:TGID_Z_EN: 1
; COMPUTE_PGM_RSRC2:TIDIG_COMP_CNT: 1
	.section	.text._ZL34rocblas_syrkx_herkx_general_kernelIl19rocblas_complex_numIdELi16ELi32ELi8ELb1ELb0ELc67ELc76EKPKS1_KPS1_EviT_T0_PT8_S7_lSA_S7_lS8_PT9_S7_li,"axG",@progbits,_ZL34rocblas_syrkx_herkx_general_kernelIl19rocblas_complex_numIdELi16ELi32ELi8ELb1ELb0ELc67ELc76EKPKS1_KPS1_EviT_T0_PT8_S7_lSA_S7_lS8_PT9_S7_li,comdat
	.globl	_ZL34rocblas_syrkx_herkx_general_kernelIl19rocblas_complex_numIdELi16ELi32ELi8ELb1ELb0ELc67ELc76EKPKS1_KPS1_EviT_T0_PT8_S7_lSA_S7_lS8_PT9_S7_li ; -- Begin function _ZL34rocblas_syrkx_herkx_general_kernelIl19rocblas_complex_numIdELi16ELi32ELi8ELb1ELb0ELc67ELc76EKPKS1_KPS1_EviT_T0_PT8_S7_lSA_S7_lS8_PT9_S7_li
	.p2align	8
	.type	_ZL34rocblas_syrkx_herkx_general_kernelIl19rocblas_complex_numIdELi16ELi32ELi8ELb1ELb0ELc67ELc76EKPKS1_KPS1_EviT_T0_PT8_S7_lSA_S7_lS8_PT9_S7_li,@function
_ZL34rocblas_syrkx_herkx_general_kernelIl19rocblas_complex_numIdELi16ELi32ELi8ELb1ELb0ELc67ELc76EKPKS1_KPS1_EviT_T0_PT8_S7_lSA_S7_lS8_PT9_S7_li: ; @_ZL34rocblas_syrkx_herkx_general_kernelIl19rocblas_complex_numIdELi16ELi32ELi8ELb1ELb0ELc67ELc76EKPKS1_KPS1_EviT_T0_PT8_S7_lSA_S7_lS8_PT9_S7_li
; %bb.0:
	s_clause 0x1
	s_load_b128 s[16:19], s[0:1], 0x60
	s_load_b256 s[4:11], s[0:1], 0x8
	s_mov_b32 s2, s15
	s_mov_b32 s3, 0
	s_load_b64 s[22:23], s[0:1], 0x28
	s_lshl_b64 s[20:21], s[2:3], 3
	v_mov_b32_e32 v23, 0
	v_dual_mov_b32 v24, 0 :: v_dual_and_b32 v27, 0x3ff, v0
	v_bfe_u32 v28, v0, 10, 10
	s_delay_alu instid0(VALU_DEP_3) | instskip(NEXT) | instid1(VALU_DEP_3)
	v_mov_b32_e32 v19, v23
	v_dual_mov_b32 v21, v23 :: v_dual_mov_b32 v22, v24
	v_dual_mov_b32 v26, v24 :: v_dual_mov_b32 v25, v23
	v_dual_mov_b32 v20, v24 :: v_dual_mov_b32 v15, v23
	v_dual_mov_b32 v16, v24 :: v_dual_mov_b32 v17, v23
	v_mov_b32_e32 v18, v24
	s_waitcnt lgkmcnt(0)
	s_add_u32 s2, s16, s20
	s_addc_u32 s3, s17, s21
	s_load_b32 s15, s[0:1], 0x0
	s_load_b64 s[16:17], s[2:3], 0x0
	v_cmp_lt_i64_e64 s2, s[4:5], 1
	v_dual_mov_b32 v11, v23 :: v_dual_mov_b32 v12, v24
	v_dual_mov_b32 v13, v23 :: v_dual_mov_b32 v14, v24
	s_lshl_b32 s24, s13, 5
	s_lshl_b32 s14, s14, 5
	s_delay_alu instid0(VALU_DEP_3)
	s_and_b32 vcc_lo, exec_lo, s2
	s_mov_b64 s[12:13], 0
	s_cbranch_vccnz .LBB1680_9
; %bb.1:
	s_load_b128 s[0:3], s[0:1], 0x38
	v_lshl_add_u32 v1, v28, 4, v27
	v_dual_mov_b32 v0, 0 :: v_dual_and_b32 v29, 7, v27
	v_lshl_add_u32 v31, v28, 7, 0x1000
	s_delay_alu instid0(VALU_DEP_3) | instskip(SKIP_3) | instid1(VALU_DEP_4)
	v_and_b32_e32 v2, 31, v1
	v_lshrrev_b32_e32 v3, 3, v1
	v_lshrrev_b32_e32 v32, 5, v1
	v_lshlrev_b32_e32 v6, 4, v29
	v_add_nc_u32_e32 v4, s24, v2
	s_delay_alu instid0(VALU_DEP_4) | instskip(SKIP_2) | instid1(VALU_DEP_4)
	v_add_nc_u32_e32 v5, s14, v3
	v_or_b32_e32 v7, s24, v2
	v_lshlrev_b32_e32 v8, 4, v2
	v_ashrrev_i32_e32 v10, 31, v4
	v_mul_lo_u32 v11, s23, v4
	v_mad_u64_u32 v[1:2], null, s22, v4, 0
	s_waitcnt lgkmcnt(0)
	s_add_u32 s26, s0, s20
	v_mul_lo_u32 v4, s22, v10
	s_addc_u32 s27, s1, s21
	s_add_u32 s0, s10, s20
	s_addc_u32 s1, s11, s21
	v_ashrrev_i32_e32 v9, 31, v5
	s_load_b64 s[10:11], s[0:1], 0x0
	v_lshl_or_b32 v10, v3, 7, v6
	v_mul_lo_u32 v12, s3, v5
	v_add3_u32 v2, v2, v4, v11
	v_mul_lo_u32 v9, s2, v9
	v_mad_u64_u32 v[3:4], null, s2, v5, 0
	v_lshlrev_b32_e32 v11, 4, v32
	s_delay_alu instid0(VALU_DEP_4) | instskip(SKIP_4) | instid1(VALU_DEP_4)
	v_lshlrev_b64 v[1:2], 4, v[1:2]
	s_load_b64 s[2:3], s[26:27], 0x0
	v_cmp_gt_i32_e32 vcc_lo, s15, v5
	v_cmp_gt_i32_e64 s0, s15, v7
	v_add3_u32 v4, v4, v9, v12
	v_add_co_u32 v5, s1, v1, v11
	s_delay_alu instid0(VALU_DEP_1) | instskip(NEXT) | instid1(VALU_DEP_3)
	v_add_co_ci_u32_e64 v7, s1, 0, v2, s1
	v_lshlrev_b64 v[1:2], 4, v[3:4]
	s_waitcnt lgkmcnt(0)
	s_delay_alu instid0(VALU_DEP_3) | instskip(NEXT) | instid1(VALU_DEP_1)
	v_add_co_u32 v3, s1, v5, s10
	v_add_co_ci_u32_e64 v4, s1, s11, v7, s1
	s_delay_alu instid0(VALU_DEP_3) | instskip(SKIP_4) | instid1(VALU_DEP_3)
	v_add_co_u32 v1, s1, v1, v6
	v_mov_b32_e32 v5, 0
	v_mov_b32_e32 v6, 0
	v_add_co_ci_u32_e64 v2, s1, 0, v2, s1
	v_add_co_u32 v7, s1, v3, 8
	v_dual_mov_b32 v18, v6 :: v_dual_mov_b32 v17, v5
	v_lshl_or_b32 v33, v32, 9, v8
	v_add_co_ci_u32_e64 v8, s1, 0, v4, s1
	v_add_co_u32 v9, s1, s2, v1
	v_mov_b32_e32 v14, v6
	v_mov_b32_e32 v12, v6
	;; [unrolled: 1-line block ×6, first 2 shown]
	v_dual_mov_b32 v24, v6 :: v_dual_mov_b32 v23, v5
	v_dual_mov_b32 v13, v5 :: v_dual_lshlrev_b32 v30, 4, v27
	v_dual_mov_b32 v15, v5 :: v_dual_add_nc_u32 v34, 0x1000, v10
	v_add_co_ci_u32_e64 v10, s1, s3, v2, s1
	v_mov_b32_e32 v11, v5
	v_mov_b32_e32 v21, v5
	;; [unrolled: 1-line block ×4, first 2 shown]
	s_xor_b32 s1, vcc_lo, -1
	s_branch .LBB1680_3
.LBB1680_2:                             ;   in Loop: Header=BB1680_3 Depth=1
	s_or_b32 exec_lo, exec_lo, s2
	s_waitcnt lgkmcnt(0)
	s_barrier
	buffer_gl0_inv
	ds_load_b128 v[1:4], v31
	ds_load_b128 v[35:38], v30
	ds_load_b128 v[39:42], v30 offset:256
	ds_load_b128 v[43:46], v31 offset:2048
	;; [unrolled: 1-line block ×9, first 2 shown]
	s_add_u32 s12, s12, 8
	s_addc_u32 s13, s13, 0
	v_add_co_u32 v7, vcc_lo, 0x80, v7
	v_cmp_ge_i64_e64 s2, s[12:13], s[4:5]
	v_add_co_ci_u32_e32 v8, vcc_lo, 0, v8, vcc_lo
	v_add_co_u32 v9, vcc_lo, 0x80, v9
	v_add_co_ci_u32_e32 v10, vcc_lo, 0, v10, vcc_lo
	s_delay_alu instid0(VALU_DEP_4)
	s_and_b32 vcc_lo, exec_lo, s2
	s_waitcnt lgkmcnt(9)
	v_mul_f64 v[75:76], v[3:4], v[37:38]
	v_mul_f64 v[77:78], v[1:2], v[37:38]
	s_waitcnt lgkmcnt(8)
	v_mul_f64 v[79:80], v[3:4], v[41:42]
	v_mul_f64 v[81:82], v[1:2], v[41:42]
	;; [unrolled: 3-line block ×3, first 2 shown]
	v_mul_f64 v[85:86], v[45:46], v[41:42]
	v_mul_f64 v[41:42], v[43:44], v[41:42]
	s_waitcnt lgkmcnt(4)
	v_mul_f64 v[87:88], v[49:50], v[57:58]
	v_mul_f64 v[89:90], v[47:48], v[57:58]
	s_waitcnt lgkmcnt(3)
	v_mul_f64 v[91:92], v[49:50], v[61:62]
	v_mul_f64 v[93:94], v[47:48], v[61:62]
	;; [unrolled: 1-line block ×6, first 2 shown]
	s_waitcnt lgkmcnt(0)
	v_mul_f64 v[115:116], v[73:74], v[65:66]
	v_mul_f64 v[117:118], v[73:74], v[69:70]
	v_fma_f64 v[99:100], v[1:2], v[35:36], -v[75:76]
	v_fma_f64 v[101:102], v[3:4], v[35:36], v[77:78]
	v_fma_f64 v[79:80], v[1:2], v[39:40], -v[79:80]
	v_fma_f64 v[81:82], v[3:4], v[39:40], v[81:82]
	;; [unrolled: 2-line block ×4, first 2 shown]
	ds_load_b128 v[75:78], v31 offset:32
	v_fma_f64 v[87:88], v[47:48], v[55:56], -v[87:88]
	v_fma_f64 v[89:90], v[49:50], v[55:56], v[89:90]
	v_fma_f64 v[47:48], v[47:48], v[59:60], -v[91:92]
	v_fma_f64 v[49:50], v[49:50], v[59:60], v[93:94]
	;; [unrolled: 2-line block ×4, first 2 shown]
	ds_load_b128 v[1:4], v31 offset:48
	ds_load_b128 v[35:38], v31 offset:2096
	ds_load_b128 v[39:42], v30 offset:1536
	ds_load_b128 v[43:46], v30 offset:1792
	s_waitcnt lgkmcnt(4)
	v_mul_f64 v[107:108], v[77:78], v[65:66]
	v_mul_f64 v[109:110], v[75:76], v[65:66]
	;; [unrolled: 1-line block ×6, first 2 shown]
	s_waitcnt lgkmcnt(1)
	v_mul_f64 v[93:94], v[1:2], v[41:42]
	s_waitcnt lgkmcnt(0)
	v_mul_f64 v[95:96], v[3:4], v[45:46]
	v_add_f64 v[23:24], v[23:24], v[99:100]
	v_add_f64 v[25:26], v[25:26], v[101:102]
	;; [unrolled: 1-line block ×8, first 2 shown]
	v_mul_f64 v[85:86], v[3:4], v[41:42]
	v_mul_f64 v[97:98], v[1:2], v[45:46]
	v_mul_f64 v[99:100], v[37:38], v[41:42]
	v_mul_f64 v[41:42], v[35:36], v[41:42]
	v_mul_f64 v[101:102], v[37:38], v[45:46]
	v_mul_f64 v[103:104], v[35:36], v[45:46]
	ds_load_b128 v[11:14], v30 offset:2048
	ds_load_b128 v[15:18], v30 offset:2304
	;; [unrolled: 1-line block ×3, first 2 shown]
	v_fma_f64 v[105:106], v[75:76], v[63:64], -v[107:108]
	v_fma_f64 v[107:108], v[77:78], v[63:64], v[109:110]
	v_fma_f64 v[75:76], v[75:76], v[67:68], -v[111:112]
	v_fma_f64 v[77:78], v[77:78], v[67:68], v[113:114]
	;; [unrolled: 2-line block ×4, first 2 shown]
	s_waitcnt lgkmcnt(0)
	v_mul_f64 v[115:116], v[21:22], v[13:14]
	v_mul_f64 v[117:118], v[21:22], v[17:18]
	v_add_f64 v[69:70], v[23:24], v[87:88]
	v_add_f64 v[71:72], v[25:26], v[89:90]
	;; [unrolled: 1-line block ×8, first 2 shown]
	ds_load_b128 v[23:26], v31 offset:64
	v_fma_f64 v[85:86], v[1:2], v[39:40], -v[85:86]
	v_fma_f64 v[93:94], v[3:4], v[39:40], v[93:94]
	v_fma_f64 v[95:96], v[1:2], v[43:44], -v[95:96]
	v_fma_f64 v[97:98], v[3:4], v[43:44], v[97:98]
	v_fma_f64 v[99:100], v[35:36], v[39:40], -v[99:100]
	v_fma_f64 v[119:120], v[37:38], v[39:40], v[41:42]
	v_fma_f64 v[101:102], v[35:36], v[43:44], -v[101:102]
	v_fma_f64 v[43:44], v[37:38], v[43:44], v[103:104]
	ds_load_b128 v[45:48], v31 offset:80
	ds_load_b128 v[49:52], v31 offset:2128
	ds_load_b128 v[53:56], v30 offset:2560
	ds_load_b128 v[57:60], v30 offset:2816
	ds_load_b128 v[1:4], v30 offset:3072
	ds_load_b128 v[35:38], v30 offset:3328
	ds_load_b128 v[39:42], v31 offset:2144
	s_waitcnt lgkmcnt(7)
	v_mul_f64 v[89:90], v[25:26], v[13:14]
	v_mul_f64 v[91:92], v[23:24], v[13:14]
	v_mul_f64 v[111:112], v[25:26], v[17:18]
	v_mul_f64 v[113:114], v[23:24], v[17:18]
	v_mul_f64 v[13:14], v[19:20], v[13:14]
	v_mul_f64 v[17:18], v[19:20], v[17:18]
	s_waitcnt lgkmcnt(3)
	v_mul_f64 v[103:104], v[51:52], v[59:60]
	v_add_f64 v[69:70], v[69:70], v[105:106]
	v_add_f64 v[71:72], v[71:72], v[107:108]
	;; [unrolled: 1-line block ×8, first 2 shown]
	v_mul_f64 v[77:78], v[47:48], v[55:56]
	v_mul_f64 v[79:80], v[45:46], v[55:56]
	;; [unrolled: 1-line block ×7, first 2 shown]
	v_fma_f64 v[89:90], v[23:24], v[11:12], -v[89:90]
	v_fma_f64 v[91:92], v[25:26], v[11:12], v[91:92]
	v_fma_f64 v[107:108], v[23:24], v[15:16], -v[111:112]
	v_fma_f64 v[109:110], v[25:26], v[15:16], v[113:114]
	v_fma_f64 v[111:112], v[19:20], v[11:12], -v[115:116]
	v_fma_f64 v[113:114], v[21:22], v[11:12], v[13:14]
	v_fma_f64 v[115:116], v[19:20], v[15:16], -v[117:118]
	v_fma_f64 v[117:118], v[21:22], v[15:16], v[17:18]
	ds_load_b128 v[11:14], v31 offset:96
	v_add_f64 v[69:70], v[69:70], v[85:86]
	v_add_f64 v[71:72], v[71:72], v[93:94]
	;; [unrolled: 1-line block ×8, first 2 shown]
	s_waitcnt lgkmcnt(1)
	v_mul_f64 v[99:100], v[41:42], v[3:4]
	v_mul_f64 v[101:102], v[41:42], v[37:38]
	v_fma_f64 v[77:78], v[45:46], v[53:54], -v[77:78]
	v_fma_f64 v[79:80], v[47:48], v[53:54], v[79:80]
	v_fma_f64 v[45:46], v[45:46], v[57:58], -v[81:82]
	v_fma_f64 v[47:48], v[47:48], v[57:58], v[83:84]
	;; [unrolled: 2-line block ×4, first 2 shown]
	s_waitcnt lgkmcnt(0)
	v_mul_f64 v[67:68], v[13:14], v[3:4]
	v_mul_f64 v[93:94], v[11:12], v[3:4]
	v_mul_f64 v[95:96], v[13:14], v[37:38]
	v_mul_f64 v[97:98], v[11:12], v[37:38]
	v_mul_f64 v[3:4], v[39:40], v[3:4]
	v_mul_f64 v[37:38], v[39:40], v[37:38]
	ds_load_b128 v[15:18], v31 offset:112
	ds_load_b128 v[19:22], v31 offset:2160
	;; [unrolled: 1-line block ×4, first 2 shown]
	s_waitcnt lgkmcnt(0)
	s_barrier
	buffer_gl0_inv
	v_add_f64 v[55:56], v[69:70], v[89:90]
	v_add_f64 v[57:58], v[71:72], v[91:92]
	;; [unrolled: 1-line block ×8, first 2 shown]
	v_mul_f64 v[75:76], v[17:18], v[25:26]
	v_mul_f64 v[83:84], v[15:16], v[25:26]
	;; [unrolled: 1-line block ×8, first 2 shown]
	v_fma_f64 v[67:68], v[11:12], v[1:2], -v[67:68]
	v_fma_f64 v[93:94], v[13:14], v[1:2], v[93:94]
	v_fma_f64 v[11:12], v[11:12], v[35:36], -v[95:96]
	v_fma_f64 v[13:14], v[13:14], v[35:36], v[97:98]
	;; [unrolled: 2-line block ×4, first 2 shown]
	v_add_f64 v[37:38], v[55:56], v[77:78]
	v_add_f64 v[39:40], v[57:58], v[79:80]
	;; [unrolled: 1-line block ×8, first 2 shown]
	v_fma_f64 v[51:52], v[15:16], v[23:24], -v[75:76]
	v_fma_f64 v[55:56], v[17:18], v[23:24], v[83:84]
	v_fma_f64 v[15:16], v[15:16], v[59:60], -v[85:86]
	v_fma_f64 v[17:18], v[17:18], v[59:60], v[87:88]
	;; [unrolled: 2-line block ×4, first 2 shown]
	v_add_f64 v[19:20], v[37:38], v[67:68]
	v_add_f64 v[21:22], v[39:40], v[93:94]
	;; [unrolled: 1-line block ×16, first 2 shown]
	s_cbranch_vccnz .LBB1680_9
.LBB1680_3:                             ; =>This Inner Loop Header: Depth=1
	v_add_co_u32 v1, s2, v32, s12
	s_delay_alu instid0(VALU_DEP_1) | instskip(SKIP_1) | instid1(VALU_DEP_2)
	v_add_co_ci_u32_e64 v2, null, 0, s13, s2
	v_dual_mov_b32 v3, v5 :: v_dual_mov_b32 v4, v6
	v_cmp_gt_i64_e32 vcc_lo, s[4:5], v[1:2]
	v_dual_mov_b32 v1, v5 :: v_dual_mov_b32 v2, v6
	s_and_b32 s3, s0, vcc_lo
	s_delay_alu instid0(SALU_CYCLE_1)
	s_and_saveexec_b32 s2, s3
	s_cbranch_execz .LBB1680_5
; %bb.4:                                ;   in Loop: Header=BB1680_3 Depth=1
	global_load_b128 v[1:4], v[7:8], off offset:-8
.LBB1680_5:                             ;   in Loop: Header=BB1680_3 Depth=1
	s_or_b32 exec_lo, exec_lo, s2
	v_add_co_u32 v35, s2, v29, s12
	s_delay_alu instid0(VALU_DEP_1) | instskip(SKIP_4) | instid1(SALU_CYCLE_1)
	v_add_co_ci_u32_e64 v36, null, 0, s13, s2
	s_waitcnt vmcnt(0)
	ds_store_b128 v33, v[1:4]
	v_cmp_le_i64_e32 vcc_lo, s[4:5], v[35:36]
	s_or_b32 s2, vcc_lo, s1
	s_and_saveexec_b32 s3, s2
	s_delay_alu instid0(SALU_CYCLE_1)
	s_xor_b32 s2, exec_lo, s3
	s_cbranch_execz .LBB1680_7
; %bb.6:                                ;   in Loop: Header=BB1680_3 Depth=1
	v_mov_b32_e32 v1, v0
	v_mov_b32_e32 v2, v0
	v_mov_b32_e32 v3, v0
	ds_store_b128 v34, v[0:3]
.LBB1680_7:                             ;   in Loop: Header=BB1680_3 Depth=1
	s_and_not1_saveexec_b32 s2, s2
	s_cbranch_execz .LBB1680_2
; %bb.8:                                ;   in Loop: Header=BB1680_3 Depth=1
	global_load_b128 v[1:4], v[9:10], off
	s_waitcnt vmcnt(0)
	ds_store_2addr_b64 v34, v[1:2], v[3:4] offset1:1
	s_branch .LBB1680_2
.LBB1680_9:
	v_add_nc_u32_e32 v4, s14, v28
	s_delay_alu instid0(VALU_DEP_1) | instskip(SKIP_2) | instid1(VALU_DEP_3)
	v_ashrrev_i32_e32 v0, 31, v4
	v_mul_lo_u32 v3, v4, s19
	v_mad_u64_u32 v[1:2], null, v4, s18, 0
	v_mul_lo_u32 v0, v0, s18
	s_delay_alu instid0(VALU_DEP_1) | instskip(SKIP_1) | instid1(VALU_DEP_2)
	v_add3_u32 v2, v2, v3, v0
	v_add_nc_u32_e32 v0, s24, v27
	v_lshlrev_b64 v[1:2], 4, v[1:2]
	s_delay_alu instid0(VALU_DEP_2) | instskip(SKIP_2) | instid1(VALU_DEP_3)
	v_cmp_le_i32_e64 s0, v4, v0
	s_waitcnt lgkmcnt(0)
	v_cmp_gt_i32_e32 vcc_lo, s15, v0
	v_add_co_u32 v5, s1, s16, v1
	s_delay_alu instid0(VALU_DEP_1) | instskip(SKIP_1) | instid1(SALU_CYCLE_1)
	v_add_co_ci_u32_e64 v6, s1, s17, v2, s1
	s_and_b32 s0, s0, vcc_lo
	s_and_saveexec_b32 s1, s0
	s_cbranch_execz .LBB1680_11
; %bb.10:
	v_mul_f64 v[1:2], s[8:9], v[25:26]
	v_mul_f64 v[9:10], s[6:7], v[25:26]
	s_delay_alu instid0(VALU_DEP_2) | instskip(NEXT) | instid1(VALU_DEP_2)
	v_fma_f64 v[7:8], s[6:7], v[23:24], -v[1:2]
	v_fma_f64 v[9:10], s[8:9], v[23:24], v[9:10]
	v_ashrrev_i32_e32 v1, 31, v0
	s_delay_alu instid0(VALU_DEP_1) | instskip(NEXT) | instid1(VALU_DEP_1)
	v_lshlrev_b64 v[1:2], 4, v[0:1]
	v_add_co_u32 v1, s0, v5, v1
	s_delay_alu instid0(VALU_DEP_1)
	v_add_co_ci_u32_e64 v2, s0, v6, v2, s0
	global_store_b128 v[1:2], v[7:10], off
.LBB1680_11:
	s_or_b32 exec_lo, exec_lo, s1
	v_add_nc_u32_e32 v2, 16, v0
	s_delay_alu instid0(VALU_DEP_1) | instskip(SKIP_1) | instid1(VALU_DEP_1)
	v_cmp_le_i32_e64 s1, v4, v2
	v_cmp_gt_i32_e64 s0, s15, v2
	s_and_b32 s1, s1, s0
	s_delay_alu instid0(SALU_CYCLE_1)
	s_and_saveexec_b32 s2, s1
	s_cbranch_execz .LBB1680_13
; %bb.12:
	v_mul_f64 v[7:8], s[8:9], v[21:22]
	v_mul_f64 v[9:10], s[6:7], v[21:22]
	v_ashrrev_i32_e32 v3, 31, v2
	s_delay_alu instid0(VALU_DEP_3) | instskip(NEXT) | instid1(VALU_DEP_3)
	v_fma_f64 v[7:8], s[6:7], v[19:20], -v[7:8]
	v_fma_f64 v[9:10], s[8:9], v[19:20], v[9:10]
	s_delay_alu instid0(VALU_DEP_3) | instskip(NEXT) | instid1(VALU_DEP_1)
	v_lshlrev_b64 v[19:20], 4, v[2:3]
	v_add_co_u32 v5, s1, v5, v19
	s_delay_alu instid0(VALU_DEP_1)
	v_add_co_ci_u32_e64 v6, s1, v6, v20, s1
	global_store_b128 v[5:6], v[7:10], off
.LBB1680_13:
	s_or_b32 exec_lo, exec_lo, s2
	v_add_nc_u32_e32 v3, 16, v4
	s_delay_alu instid0(VALU_DEP_1) | instskip(SKIP_3) | instid1(VALU_DEP_4)
	v_ashrrev_i32_e32 v1, 31, v3
	v_mul_lo_u32 v6, v3, s19
	v_mad_u64_u32 v[4:5], null, v3, s18, 0
	v_cmp_le_i32_e64 s1, v3, v0
	v_mul_lo_u32 v1, v1, s18
	s_delay_alu instid0(VALU_DEP_1) | instskip(NEXT) | instid1(VALU_DEP_1)
	v_add3_u32 v5, v5, v6, v1
	v_lshlrev_b64 v[4:5], 4, v[4:5]
	s_delay_alu instid0(VALU_DEP_1) | instskip(NEXT) | instid1(VALU_DEP_1)
	v_add_co_u32 v4, s2, s16, v4
	v_add_co_ci_u32_e64 v5, s2, s17, v5, s2
	s_and_b32 s2, s1, vcc_lo
	s_delay_alu instid0(SALU_CYCLE_1)
	s_and_saveexec_b32 s1, s2
	s_cbranch_execz .LBB1680_15
; %bb.14:
	v_mul_f64 v[6:7], s[8:9], v[17:18]
	v_mul_f64 v[8:9], s[6:7], v[17:18]
	v_ashrrev_i32_e32 v1, 31, v0
	s_delay_alu instid0(VALU_DEP_1) | instskip(NEXT) | instid1(VALU_DEP_1)
	v_lshlrev_b64 v[0:1], 4, v[0:1]
	v_add_co_u32 v0, vcc_lo, v4, v0
	s_delay_alu instid0(VALU_DEP_2)
	v_add_co_ci_u32_e32 v1, vcc_lo, v5, v1, vcc_lo
	v_fma_f64 v[6:7], s[6:7], v[15:16], -v[6:7]
	v_fma_f64 v[8:9], s[8:9], v[15:16], v[8:9]
	global_store_b128 v[0:1], v[6:9], off
.LBB1680_15:
	s_or_b32 exec_lo, exec_lo, s1
	v_cmp_le_i32_e32 vcc_lo, v3, v2
	s_and_b32 s0, vcc_lo, s0
	s_delay_alu instid0(SALU_CYCLE_1)
	s_and_saveexec_b32 s1, s0
	s_cbranch_execz .LBB1680_17
; %bb.16:
	v_mul_f64 v[0:1], s[8:9], v[13:14]
	v_mul_f64 v[8:9], s[6:7], v[13:14]
	v_ashrrev_i32_e32 v3, 31, v2
	s_delay_alu instid0(VALU_DEP_3) | instskip(NEXT) | instid1(VALU_DEP_3)
	v_fma_f64 v[6:7], s[6:7], v[11:12], -v[0:1]
	v_fma_f64 v[8:9], s[8:9], v[11:12], v[8:9]
	s_delay_alu instid0(VALU_DEP_3) | instskip(NEXT) | instid1(VALU_DEP_1)
	v_lshlrev_b64 v[0:1], 4, v[2:3]
	v_add_co_u32 v0, vcc_lo, v4, v0
	s_delay_alu instid0(VALU_DEP_2)
	v_add_co_ci_u32_e32 v1, vcc_lo, v5, v1, vcc_lo
	global_store_b128 v[0:1], v[6:9], off
.LBB1680_17:
	s_nop 0
	s_sendmsg sendmsg(MSG_DEALLOC_VGPRS)
	s_endpgm
	.section	.rodata,"a",@progbits
	.p2align	6, 0x0
	.amdhsa_kernel _ZL34rocblas_syrkx_herkx_general_kernelIl19rocblas_complex_numIdELi16ELi32ELi8ELb1ELb0ELc67ELc76EKPKS1_KPS1_EviT_T0_PT8_S7_lSA_S7_lS8_PT9_S7_li
		.amdhsa_group_segment_fixed_size 8192
		.amdhsa_private_segment_fixed_size 0
		.amdhsa_kernarg_size 124
		.amdhsa_user_sgpr_count 13
		.amdhsa_user_sgpr_dispatch_ptr 0
		.amdhsa_user_sgpr_queue_ptr 0
		.amdhsa_user_sgpr_kernarg_segment_ptr 1
		.amdhsa_user_sgpr_dispatch_id 0
		.amdhsa_user_sgpr_private_segment_size 0
		.amdhsa_wavefront_size32 1
		.amdhsa_uses_dynamic_stack 0
		.amdhsa_enable_private_segment 0
		.amdhsa_system_sgpr_workgroup_id_x 1
		.amdhsa_system_sgpr_workgroup_id_y 1
		.amdhsa_system_sgpr_workgroup_id_z 1
		.amdhsa_system_sgpr_workgroup_info 0
		.amdhsa_system_vgpr_workitem_id 1
		.amdhsa_next_free_vgpr 121
		.amdhsa_next_free_sgpr 28
		.amdhsa_reserve_vcc 1
		.amdhsa_float_round_mode_32 0
		.amdhsa_float_round_mode_16_64 0
		.amdhsa_float_denorm_mode_32 3
		.amdhsa_float_denorm_mode_16_64 3
		.amdhsa_dx10_clamp 1
		.amdhsa_ieee_mode 1
		.amdhsa_fp16_overflow 0
		.amdhsa_workgroup_processor_mode 1
		.amdhsa_memory_ordered 1
		.amdhsa_forward_progress 0
		.amdhsa_shared_vgpr_count 0
		.amdhsa_exception_fp_ieee_invalid_op 0
		.amdhsa_exception_fp_denorm_src 0
		.amdhsa_exception_fp_ieee_div_zero 0
		.amdhsa_exception_fp_ieee_overflow 0
		.amdhsa_exception_fp_ieee_underflow 0
		.amdhsa_exception_fp_ieee_inexact 0
		.amdhsa_exception_int_div_zero 0
	.end_amdhsa_kernel
	.section	.text._ZL34rocblas_syrkx_herkx_general_kernelIl19rocblas_complex_numIdELi16ELi32ELi8ELb1ELb0ELc67ELc76EKPKS1_KPS1_EviT_T0_PT8_S7_lSA_S7_lS8_PT9_S7_li,"axG",@progbits,_ZL34rocblas_syrkx_herkx_general_kernelIl19rocblas_complex_numIdELi16ELi32ELi8ELb1ELb0ELc67ELc76EKPKS1_KPS1_EviT_T0_PT8_S7_lSA_S7_lS8_PT9_S7_li,comdat
.Lfunc_end1680:
	.size	_ZL34rocblas_syrkx_herkx_general_kernelIl19rocblas_complex_numIdELi16ELi32ELi8ELb1ELb0ELc67ELc76EKPKS1_KPS1_EviT_T0_PT8_S7_lSA_S7_lS8_PT9_S7_li, .Lfunc_end1680-_ZL34rocblas_syrkx_herkx_general_kernelIl19rocblas_complex_numIdELi16ELi32ELi8ELb1ELb0ELc67ELc76EKPKS1_KPS1_EviT_T0_PT8_S7_lSA_S7_lS8_PT9_S7_li
                                        ; -- End function
	.section	.AMDGPU.csdata,"",@progbits
; Kernel info:
; codeLenInByte = 3332
; NumSgprs: 30
; NumVgprs: 121
; ScratchSize: 0
; MemoryBound: 1
; FloatMode: 240
; IeeeMode: 1
; LDSByteSize: 8192 bytes/workgroup (compile time only)
; SGPRBlocks: 3
; VGPRBlocks: 15
; NumSGPRsForWavesPerEU: 30
; NumVGPRsForWavesPerEU: 121
; Occupancy: 10
; WaveLimiterHint : 1
; COMPUTE_PGM_RSRC2:SCRATCH_EN: 0
; COMPUTE_PGM_RSRC2:USER_SGPR: 13
; COMPUTE_PGM_RSRC2:TRAP_HANDLER: 0
; COMPUTE_PGM_RSRC2:TGID_X_EN: 1
; COMPUTE_PGM_RSRC2:TGID_Y_EN: 1
; COMPUTE_PGM_RSRC2:TGID_Z_EN: 1
; COMPUTE_PGM_RSRC2:TIDIG_COMP_CNT: 1
	.section	.text._ZL34rocblas_syrkx_herkx_general_kernelIl19rocblas_complex_numIdELi16ELi32ELi8ELb1ELb0ELc78ELc76EKPKS1_KPS1_EviT_T0_PT8_S7_lSA_S7_lS8_PT9_S7_li,"axG",@progbits,_ZL34rocblas_syrkx_herkx_general_kernelIl19rocblas_complex_numIdELi16ELi32ELi8ELb1ELb0ELc78ELc76EKPKS1_KPS1_EviT_T0_PT8_S7_lSA_S7_lS8_PT9_S7_li,comdat
	.globl	_ZL34rocblas_syrkx_herkx_general_kernelIl19rocblas_complex_numIdELi16ELi32ELi8ELb1ELb0ELc78ELc76EKPKS1_KPS1_EviT_T0_PT8_S7_lSA_S7_lS8_PT9_S7_li ; -- Begin function _ZL34rocblas_syrkx_herkx_general_kernelIl19rocblas_complex_numIdELi16ELi32ELi8ELb1ELb0ELc78ELc76EKPKS1_KPS1_EviT_T0_PT8_S7_lSA_S7_lS8_PT9_S7_li
	.p2align	8
	.type	_ZL34rocblas_syrkx_herkx_general_kernelIl19rocblas_complex_numIdELi16ELi32ELi8ELb1ELb0ELc78ELc76EKPKS1_KPS1_EviT_T0_PT8_S7_lSA_S7_lS8_PT9_S7_li,@function
_ZL34rocblas_syrkx_herkx_general_kernelIl19rocblas_complex_numIdELi16ELi32ELi8ELb1ELb0ELc78ELc76EKPKS1_KPS1_EviT_T0_PT8_S7_lSA_S7_lS8_PT9_S7_li: ; @_ZL34rocblas_syrkx_herkx_general_kernelIl19rocblas_complex_numIdELi16ELi32ELi8ELb1ELb0ELc78ELc76EKPKS1_KPS1_EviT_T0_PT8_S7_lSA_S7_lS8_PT9_S7_li
; %bb.0:
	s_clause 0x1
	s_load_b128 s[16:19], s[0:1], 0x60
	s_load_b256 s[4:11], s[0:1], 0x8
	s_mov_b32 s2, s15
	s_mov_b32 s3, 0
	s_load_b64 s[20:21], s[0:1], 0x28
	s_lshl_b64 s[22:23], s[2:3], 3
	v_mov_b32_e32 v21, 0
	v_dual_mov_b32 v22, 0 :: v_dual_and_b32 v25, 0x3ff, v0
	v_bfe_u32 v26, v0, 10, 10
	s_delay_alu instid0(VALU_DEP_3) | instskip(NEXT) | instid1(VALU_DEP_3)
	v_mov_b32_e32 v17, v21
	v_dual_mov_b32 v19, v21 :: v_dual_mov_b32 v20, v22
	v_dual_mov_b32 v24, v22 :: v_dual_mov_b32 v23, v21
	;; [unrolled: 1-line block ×4, first 2 shown]
	v_mov_b32_e32 v16, v22
	s_waitcnt lgkmcnt(0)
	s_add_u32 s2, s16, s22
	s_addc_u32 s3, s17, s23
	s_load_b32 s15, s[0:1], 0x0
	s_load_b64 s[16:17], s[2:3], 0x0
	v_cmp_lt_i64_e64 s2, s[4:5], 1
	v_dual_mov_b32 v11, v21 :: v_dual_mov_b32 v12, v22
	v_dual_mov_b32 v9, v21 :: v_dual_mov_b32 v10, v22
	s_lshl_b32 s24, s13, 5
	s_lshl_b32 s14, s14, 5
	s_delay_alu instid0(VALU_DEP_3)
	s_and_b32 vcc_lo, exec_lo, s2
	s_mov_b64 s[12:13], 0
	s_cbranch_vccnz .LBB1681_9
; %bb.1:
	s_load_b128 s[0:3], s[0:1], 0x38
	v_lshl_add_u32 v1, v26, 4, v25
	v_dual_mov_b32 v0, 0 :: v_dual_and_b32 v27, 7, v25
	v_dual_mov_b32 v9, 0 :: v_dual_lshlrev_b32 v28, 4, v25
	s_delay_alu instid0(VALU_DEP_3) | instskip(SKIP_3) | instid1(VALU_DEP_4)
	v_lshrrev_b32_e32 v30, 5, v1
	v_dual_mov_b32 v10, 0 :: v_dual_and_b32 v7, 31, v1
	v_lshrrev_b32_e32 v2, 3, v1
	v_lshlrev_b32_e32 v8, 4, v27
	v_mad_u64_u32 v[5:6], null, s20, v30, 0
	s_delay_alu instid0(VALU_DEP_4)
	v_or_b32_e32 v11, s24, v7
	v_lshlrev_b32_e32 v12, 4, v7
	v_dual_mov_b32 v20, v10 :: v_dual_add_nc_u32 v7, s24, v7
	v_mov_b32_e32 v18, v10
	s_waitcnt lgkmcnt(0)
	v_cmp_gt_i32_e32 vcc_lo, s15, v11
	v_lshl_or_b32 v31, v30, 9, v12
	v_mad_u64_u32 v[3:4], null, s2, v27, 0
	s_add_u32 s0, s0, s22
	s_addc_u32 s1, s1, s23
	s_add_u32 s10, s10, s22
	s_load_b64 s[26:27], s[0:1], 0x0
	s_addc_u32 s11, s11, s23
	v_mov_b32_e32 v24, v10
	s_delay_alu instid0(VALU_DEP_2)
	v_mad_u64_u32 v[11:12], null, s3, v27, v[4:5]
	v_mad_u64_u32 v[12:13], null, s21, v30, v[6:7]
	v_add_nc_u32_e32 v1, s14, v2
	s_load_b64 s[10:11], s[10:11], 0x0
	v_mov_b32_e32 v22, v10
	v_lshl_add_u32 v29, v26, 7, 0x1000
	v_mov_b32_e32 v4, v11
	v_cmp_gt_i32_e64 s0, s15, v1
	v_mov_b32_e32 v6, v12
	v_dual_mov_b32 v12, v10 :: v_dual_mov_b32 v19, v9
	v_mov_b32_e32 v11, v9
	v_lshl_or_b32 v15, v2, 7, v8
	v_ashrrev_i32_e32 v2, 31, v1
	v_ashrrev_i32_e32 v8, 31, v7
	v_mov_b32_e32 v17, v9
	s_delay_alu instid0(VALU_DEP_4) | instskip(NEXT) | instid1(VALU_DEP_4)
	v_dual_mov_b32 v21, v9 :: v_dual_add_nc_u32 v32, 0x1000, v15
	v_lshlrev_b64 v[13:14], 4, v[1:2]
	v_lshlrev_b64 v[2:3], 4, v[3:4]
	v_lshlrev_b64 v[7:8], 4, v[7:8]
	v_lshlrev_b64 v[4:5], 4, v[5:6]
	v_dual_mov_b32 v16, v10 :: v_dual_mov_b32 v15, v9
	v_mov_b32_e32 v23, v9
	v_add_co_u32 v1, s1, v2, v13
	s_delay_alu instid0(VALU_DEP_1) | instskip(SKIP_1) | instid1(VALU_DEP_1)
	v_add_co_ci_u32_e64 v2, s1, v3, v14, s1
	v_add_co_u32 v3, s1, v4, v7
	v_add_co_ci_u32_e64 v4, s1, v5, v8, s1
	s_waitcnt lgkmcnt(0)
	v_add_co_u32 v1, s1, v1, s26
	s_delay_alu instid0(VALU_DEP_1) | instskip(SKIP_1) | instid1(VALU_DEP_1)
	v_add_co_ci_u32_e64 v2, s1, s27, v2, s1
	v_add_co_u32 v5, s1, s10, v3
	v_add_co_ci_u32_e64 v6, s1, s11, v4, s1
	s_delay_alu instid0(VALU_DEP_4)
	v_add_co_u32 v7, s1, v1, 8
	v_mov_b32_e32 v14, v10
	v_add_co_ci_u32_e64 v8, s1, 0, v2, s1
	v_mov_b32_e32 v13, v9
	s_lshl_b64 s[10:11], s[20:21], 7
	s_lshl_b64 s[2:3], s[2:3], 7
	s_xor_b32 s1, vcc_lo, -1
	s_branch .LBB1681_3
.LBB1681_2:                             ;   in Loop: Header=BB1681_3 Depth=1
	s_or_b32 exec_lo, exec_lo, s20
	s_waitcnt vmcnt(0)
	ds_store_b128 v32, v[1:4]
	s_waitcnt lgkmcnt(0)
	s_barrier
	buffer_gl0_inv
	ds_load_b128 v[1:4], v29
	ds_load_b128 v[33:36], v28
	ds_load_b128 v[37:40], v28 offset:256
	ds_load_b128 v[41:44], v29 offset:2048
	;; [unrolled: 1-line block ×9, first 2 shown]
	s_add_u32 s12, s12, 8
	s_addc_u32 s13, s13, 0
	v_add_co_u32 v5, vcc_lo, v5, s10
	v_cmp_ge_i64_e64 s20, s[12:13], s[4:5]
	v_add_co_ci_u32_e32 v6, vcc_lo, s11, v6, vcc_lo
	v_add_co_u32 v7, vcc_lo, v7, s2
	v_add_co_ci_u32_e32 v8, vcc_lo, s3, v8, vcc_lo
	s_delay_alu instid0(VALU_DEP_4)
	s_and_b32 vcc_lo, exec_lo, s20
	s_waitcnt lgkmcnt(9)
	v_mul_f64 v[73:74], v[3:4], v[35:36]
	v_mul_f64 v[75:76], v[1:2], v[35:36]
	s_waitcnt lgkmcnt(8)
	v_mul_f64 v[77:78], v[3:4], v[39:40]
	v_mul_f64 v[79:80], v[1:2], v[39:40]
	;; [unrolled: 3-line block ×3, first 2 shown]
	v_mul_f64 v[83:84], v[43:44], v[39:40]
	v_mul_f64 v[39:40], v[41:42], v[39:40]
	s_waitcnt lgkmcnt(4)
	v_mul_f64 v[85:86], v[47:48], v[55:56]
	v_mul_f64 v[87:88], v[45:46], v[55:56]
	s_waitcnt lgkmcnt(3)
	v_mul_f64 v[89:90], v[47:48], v[59:60]
	v_mul_f64 v[91:92], v[45:46], v[59:60]
	v_mul_f64 v[93:94], v[51:52], v[55:56]
	v_mul_f64 v[55:56], v[49:50], v[55:56]
	v_mul_f64 v[95:96], v[51:52], v[59:60]
	v_mul_f64 v[59:60], v[49:50], v[59:60]
	v_fma_f64 v[97:98], v[1:2], v[33:34], -v[73:74]
	v_fma_f64 v[99:100], v[3:4], v[33:34], v[75:76]
	ds_load_b128 v[73:76], v29 offset:32
	v_fma_f64 v[77:78], v[1:2], v[37:38], -v[77:78]
	v_fma_f64 v[79:80], v[3:4], v[37:38], v[79:80]
	v_fma_f64 v[81:82], v[41:42], v[33:34], -v[81:82]
	v_fma_f64 v[101:102], v[43:44], v[33:34], v[35:36]
	;; [unrolled: 2-line block ×3, first 2 shown]
	s_waitcnt lgkmcnt(1)
	v_mul_f64 v[113:114], v[71:72], v[63:64]
	v_fma_f64 v[85:86], v[45:46], v[53:54], -v[85:86]
	v_fma_f64 v[87:88], v[47:48], v[53:54], v[87:88]
	v_fma_f64 v[45:46], v[45:46], v[57:58], -v[89:90]
	v_fma_f64 v[47:48], v[47:48], v[57:58], v[91:92]
	v_mul_f64 v[89:90], v[71:72], v[67:68]
	v_fma_f64 v[91:92], v[49:50], v[53:54], -v[93:94]
	v_fma_f64 v[53:54], v[51:52], v[53:54], v[55:56]
	v_fma_f64 v[49:50], v[49:50], v[57:58], -v[95:96]
	v_fma_f64 v[51:52], v[51:52], v[57:58], v[59:60]
	ds_load_b128 v[1:4], v29 offset:48
	ds_load_b128 v[33:36], v29 offset:2096
	;; [unrolled: 1-line block ×4, first 2 shown]
	s_waitcnt lgkmcnt(4)
	v_mul_f64 v[105:106], v[75:76], v[63:64]
	v_mul_f64 v[107:108], v[73:74], v[63:64]
	;; [unrolled: 1-line block ×6, first 2 shown]
	s_waitcnt lgkmcnt(1)
	v_mul_f64 v[93:94], v[1:2], v[39:40]
	v_add_f64 v[21:22], v[21:22], v[97:98]
	v_add_f64 v[23:24], v[23:24], v[99:100]
	;; [unrolled: 1-line block ×8, first 2 shown]
	v_mul_f64 v[83:84], v[3:4], v[39:40]
	s_waitcnt lgkmcnt(0)
	v_mul_f64 v[95:96], v[3:4], v[43:44]
	v_mul_f64 v[97:98], v[1:2], v[43:44]
	;; [unrolled: 1-line block ×6, first 2 shown]
	ds_load_b128 v[9:12], v28 offset:2048
	ds_load_b128 v[13:16], v28 offset:2304
	;; [unrolled: 1-line block ×3, first 2 shown]
	v_fma_f64 v[105:106], v[73:74], v[61:62], -v[105:106]
	v_fma_f64 v[107:108], v[75:76], v[61:62], v[107:108]
	v_fma_f64 v[73:74], v[73:74], v[65:66], -v[109:110]
	v_fma_f64 v[75:76], v[75:76], v[65:66], v[111:112]
	;; [unrolled: 2-line block ×4, first 2 shown]
	s_waitcnt lgkmcnt(0)
	v_mul_f64 v[113:114], v[19:20], v[11:12]
	v_mul_f64 v[115:116], v[19:20], v[15:16]
	v_fma_f64 v[93:94], v[3:4], v[37:38], v[93:94]
	v_add_f64 v[67:68], v[21:22], v[85:86]
	v_add_f64 v[69:70], v[23:24], v[87:88]
	;; [unrolled: 1-line block ×8, first 2 shown]
	ds_load_b128 v[21:24], v29 offset:64
	v_fma_f64 v[83:84], v[1:2], v[37:38], -v[83:84]
	v_fma_f64 v[95:96], v[1:2], v[41:42], -v[95:96]
	v_fma_f64 v[97:98], v[3:4], v[41:42], v[97:98]
	v_fma_f64 v[99:100], v[33:34], v[37:38], -v[99:100]
	v_fma_f64 v[117:118], v[35:36], v[37:38], v[39:40]
	;; [unrolled: 2-line block ×3, first 2 shown]
	ds_load_b128 v[43:46], v29 offset:80
	ds_load_b128 v[47:50], v29 offset:2128
	;; [unrolled: 1-line block ×7, first 2 shown]
	s_waitcnt lgkmcnt(7)
	v_mul_f64 v[87:88], v[23:24], v[11:12]
	v_mul_f64 v[89:90], v[21:22], v[11:12]
	;; [unrolled: 1-line block ×6, first 2 shown]
	s_waitcnt lgkmcnt(3)
	v_mul_f64 v[103:104], v[49:50], v[57:58]
	v_add_f64 v[67:68], v[67:68], v[105:106]
	v_add_f64 v[69:70], v[69:70], v[107:108]
	;; [unrolled: 1-line block ×8, first 2 shown]
	v_mul_f64 v[75:76], v[45:46], v[53:54]
	v_mul_f64 v[77:78], v[43:44], v[53:54]
	;; [unrolled: 1-line block ×7, first 2 shown]
	v_fma_f64 v[109:110], v[17:18], v[9:10], -v[113:114]
	v_fma_f64 v[113:114], v[17:18], v[13:14], -v[115:116]
	;; [unrolled: 1-line block ×3, first 2 shown]
	v_fma_f64 v[89:90], v[23:24], v[9:10], v[89:90]
	v_fma_f64 v[91:92], v[21:22], v[13:14], -v[91:92]
	v_fma_f64 v[107:108], v[23:24], v[13:14], v[111:112]
	v_fma_f64 v[111:112], v[19:20], v[9:10], v[11:12]
	;; [unrolled: 1-line block ×3, first 2 shown]
	ds_load_b128 v[9:12], v29 offset:96
	v_add_f64 v[67:68], v[67:68], v[83:84]
	v_add_f64 v[69:70], v[69:70], v[93:94]
	;; [unrolled: 1-line block ×8, first 2 shown]
	s_waitcnt lgkmcnt(1)
	v_mul_f64 v[99:100], v[39:40], v[3:4]
	v_fma_f64 v[75:76], v[43:44], v[51:52], -v[75:76]
	v_fma_f64 v[77:78], v[45:46], v[51:52], v[77:78]
	v_fma_f64 v[43:44], v[43:44], v[55:56], -v[79:80]
	v_fma_f64 v[45:46], v[45:46], v[55:56], v[81:82]
	v_mul_f64 v[79:80], v[39:40], v[35:36]
	v_fma_f64 v[81:82], v[47:48], v[51:52], -v[85:86]
	v_fma_f64 v[51:52], v[49:50], v[51:52], v[53:54]
	s_waitcnt lgkmcnt(0)
	v_mul_f64 v[65:66], v[11:12], v[3:4]
	v_mul_f64 v[93:94], v[9:10], v[3:4]
	;; [unrolled: 1-line block ×6, first 2 shown]
	v_fma_f64 v[47:48], v[47:48], v[55:56], -v[103:104]
	v_fma_f64 v[49:50], v[49:50], v[55:56], v[105:106]
	ds_load_b128 v[13:16], v29 offset:112
	ds_load_b128 v[17:20], v29 offset:2160
	;; [unrolled: 1-line block ×4, first 2 shown]
	s_waitcnt lgkmcnt(0)
	s_barrier
	buffer_gl0_inv
	v_add_f64 v[53:54], v[67:68], v[87:88]
	v_add_f64 v[55:56], v[69:70], v[89:90]
	;; [unrolled: 1-line block ×8, first 2 shown]
	v_mul_f64 v[73:74], v[15:16], v[23:24]
	v_mul_f64 v[83:84], v[13:14], v[23:24]
	;; [unrolled: 1-line block ×8, first 2 shown]
	v_fma_f64 v[65:66], v[9:10], v[1:2], -v[65:66]
	v_fma_f64 v[93:94], v[11:12], v[1:2], v[93:94]
	v_fma_f64 v[9:10], v[9:10], v[33:34], -v[95:96]
	v_fma_f64 v[11:12], v[11:12], v[33:34], v[97:98]
	v_fma_f64 v[95:96], v[37:38], v[1:2], -v[99:100]
	v_fma_f64 v[1:2], v[39:40], v[1:2], v[3:4]
	v_fma_f64 v[3:4], v[37:38], v[33:34], -v[79:80]
	v_fma_f64 v[33:34], v[39:40], v[33:34], v[35:36]
	v_add_f64 v[35:36], v[53:54], v[75:76]
	v_add_f64 v[37:38], v[55:56], v[77:78]
	;; [unrolled: 1-line block ×8, first 2 shown]
	v_fma_f64 v[49:50], v[13:14], v[21:22], -v[73:74]
	v_fma_f64 v[53:54], v[15:16], v[21:22], v[83:84]
	v_fma_f64 v[13:14], v[13:14], v[57:58], -v[85:86]
	v_fma_f64 v[15:16], v[15:16], v[57:58], v[87:88]
	;; [unrolled: 2-line block ×4, first 2 shown]
	v_add_f64 v[17:18], v[35:36], v[65:66]
	v_add_f64 v[19:20], v[37:38], v[93:94]
	;; [unrolled: 1-line block ×16, first 2 shown]
	s_cbranch_vccnz .LBB1681_9
.LBB1681_3:                             ; =>This Inner Loop Header: Depth=1
	v_add_co_u32 v1, s20, v30, s12
	s_delay_alu instid0(VALU_DEP_1) | instskip(NEXT) | instid1(VALU_DEP_1)
	v_add_co_ci_u32_e64 v2, null, 0, s13, s20
	v_cmp_le_i64_e32 vcc_lo, s[4:5], v[1:2]
	s_or_b32 s20, s1, vcc_lo
	s_delay_alu instid0(SALU_CYCLE_1) | instskip(NEXT) | instid1(SALU_CYCLE_1)
	s_and_saveexec_b32 s21, s20
	s_xor_b32 s20, exec_lo, s21
	s_cbranch_execz .LBB1681_5
; %bb.4:                                ;   in Loop: Header=BB1681_3 Depth=1
	v_mov_b32_e32 v1, v0
	v_mov_b32_e32 v2, v0
	;; [unrolled: 1-line block ×3, first 2 shown]
	ds_store_b128 v31, v[0:3]
.LBB1681_5:                             ;   in Loop: Header=BB1681_3 Depth=1
	s_and_not1_saveexec_b32 s20, s20
	s_cbranch_execz .LBB1681_7
; %bb.6:                                ;   in Loop: Header=BB1681_3 Depth=1
	global_load_b128 v[1:4], v[5:6], off
	s_waitcnt vmcnt(0)
	ds_store_2addr_b64 v31, v[1:2], v[3:4] offset1:1
.LBB1681_7:                             ;   in Loop: Header=BB1681_3 Depth=1
	s_or_b32 exec_lo, exec_lo, s20
	v_add_co_u32 v3, s20, v27, s12
	s_delay_alu instid0(VALU_DEP_1) | instskip(SKIP_2) | instid1(VALU_DEP_3)
	v_add_co_ci_u32_e64 v4, null, 0, s13, s20
	v_mov_b32_e32 v1, 0
	v_mov_b32_e32 v2, 0
	v_cmp_gt_i64_e32 vcc_lo, s[4:5], v[3:4]
	s_delay_alu instid0(VALU_DEP_2) | instskip(SKIP_1) | instid1(SALU_CYCLE_1)
	v_dual_mov_b32 v4, v2 :: v_dual_mov_b32 v3, v1
	s_and_b32 s21, vcc_lo, s0
	s_and_saveexec_b32 s20, s21
	s_cbranch_execz .LBB1681_2
; %bb.8:                                ;   in Loop: Header=BB1681_3 Depth=1
	global_load_b128 v[1:4], v[7:8], off offset:-8
	s_branch .LBB1681_2
.LBB1681_9:
	v_add_nc_u32_e32 v4, s14, v26
	s_delay_alu instid0(VALU_DEP_1) | instskip(SKIP_2) | instid1(VALU_DEP_3)
	v_ashrrev_i32_e32 v0, 31, v4
	v_mul_lo_u32 v3, v4, s19
	v_mad_u64_u32 v[1:2], null, v4, s18, 0
	v_mul_lo_u32 v0, v0, s18
	s_delay_alu instid0(VALU_DEP_1) | instskip(SKIP_1) | instid1(VALU_DEP_2)
	v_add3_u32 v2, v2, v3, v0
	v_add_nc_u32_e32 v0, s24, v25
	v_lshlrev_b64 v[1:2], 4, v[1:2]
	s_delay_alu instid0(VALU_DEP_2) | instskip(SKIP_2) | instid1(VALU_DEP_3)
	v_cmp_le_i32_e64 s0, v4, v0
	s_waitcnt lgkmcnt(0)
	v_cmp_gt_i32_e32 vcc_lo, s15, v0
	v_add_co_u32 v5, s1, s16, v1
	s_delay_alu instid0(VALU_DEP_1) | instskip(SKIP_1) | instid1(SALU_CYCLE_1)
	v_add_co_ci_u32_e64 v6, s1, s17, v2, s1
	s_and_b32 s0, s0, vcc_lo
	s_and_saveexec_b32 s1, s0
	s_cbranch_execz .LBB1681_11
; %bb.10:
	v_mul_f64 v[1:2], s[8:9], v[23:24]
	v_mul_f64 v[7:8], s[6:7], v[23:24]
	s_delay_alu instid0(VALU_DEP_2) | instskip(NEXT) | instid1(VALU_DEP_2)
	v_fma_f64 v[23:24], s[6:7], v[21:22], -v[1:2]
	v_fma_f64 v[25:26], s[8:9], v[21:22], v[7:8]
	v_ashrrev_i32_e32 v1, 31, v0
	s_delay_alu instid0(VALU_DEP_1) | instskip(NEXT) | instid1(VALU_DEP_1)
	v_lshlrev_b64 v[1:2], 4, v[0:1]
	v_add_co_u32 v1, s0, v5, v1
	s_delay_alu instid0(VALU_DEP_1)
	v_add_co_ci_u32_e64 v2, s0, v6, v2, s0
	global_store_b128 v[1:2], v[23:26], off
.LBB1681_11:
	s_or_b32 exec_lo, exec_lo, s1
	v_add_nc_u32_e32 v2, 16, v0
	s_delay_alu instid0(VALU_DEP_1) | instskip(SKIP_1) | instid1(VALU_DEP_1)
	v_cmp_le_i32_e64 s1, v4, v2
	v_cmp_gt_i32_e64 s0, s15, v2
	s_and_b32 s1, s1, s0
	s_delay_alu instid0(SALU_CYCLE_1)
	s_and_saveexec_b32 s2, s1
	s_cbranch_execz .LBB1681_13
; %bb.12:
	v_mul_f64 v[7:8], s[8:9], v[19:20]
	v_mul_f64 v[21:22], s[6:7], v[19:20]
	v_ashrrev_i32_e32 v3, 31, v2
	s_delay_alu instid0(VALU_DEP_3) | instskip(NEXT) | instid1(VALU_DEP_3)
	v_fma_f64 v[19:20], s[6:7], v[17:18], -v[7:8]
	v_fma_f64 v[21:22], s[8:9], v[17:18], v[21:22]
	s_delay_alu instid0(VALU_DEP_3) | instskip(NEXT) | instid1(VALU_DEP_1)
	v_lshlrev_b64 v[7:8], 4, v[2:3]
	v_add_co_u32 v5, s1, v5, v7
	s_delay_alu instid0(VALU_DEP_1)
	v_add_co_ci_u32_e64 v6, s1, v6, v8, s1
	global_store_b128 v[5:6], v[19:22], off
.LBB1681_13:
	s_or_b32 exec_lo, exec_lo, s2
	v_add_nc_u32_e32 v3, 16, v4
	s_delay_alu instid0(VALU_DEP_1) | instskip(SKIP_3) | instid1(VALU_DEP_4)
	v_ashrrev_i32_e32 v1, 31, v3
	v_mul_lo_u32 v6, v3, s19
	v_mad_u64_u32 v[4:5], null, v3, s18, 0
	v_cmp_le_i32_e64 s1, v3, v0
	v_mul_lo_u32 v1, v1, s18
	s_delay_alu instid0(VALU_DEP_1) | instskip(NEXT) | instid1(VALU_DEP_1)
	v_add3_u32 v5, v5, v6, v1
	v_lshlrev_b64 v[4:5], 4, v[4:5]
	s_delay_alu instid0(VALU_DEP_1) | instskip(NEXT) | instid1(VALU_DEP_1)
	v_add_co_u32 v4, s2, s16, v4
	v_add_co_ci_u32_e64 v5, s2, s17, v5, s2
	s_and_b32 s2, s1, vcc_lo
	s_delay_alu instid0(SALU_CYCLE_1)
	s_and_saveexec_b32 s1, s2
	s_cbranch_execz .LBB1681_15
; %bb.14:
	v_mul_f64 v[6:7], s[8:9], v[15:16]
	v_mul_f64 v[17:18], s[6:7], v[15:16]
	v_ashrrev_i32_e32 v1, 31, v0
	s_delay_alu instid0(VALU_DEP_1) | instskip(NEXT) | instid1(VALU_DEP_1)
	v_lshlrev_b64 v[0:1], 4, v[0:1]
	v_add_co_u32 v0, vcc_lo, v4, v0
	s_delay_alu instid0(VALU_DEP_2)
	v_add_co_ci_u32_e32 v1, vcc_lo, v5, v1, vcc_lo
	v_fma_f64 v[15:16], s[6:7], v[13:14], -v[6:7]
	v_fma_f64 v[17:18], s[8:9], v[13:14], v[17:18]
	global_store_b128 v[0:1], v[15:18], off
.LBB1681_15:
	s_or_b32 exec_lo, exec_lo, s1
	v_cmp_le_i32_e32 vcc_lo, v3, v2
	s_and_b32 s0, vcc_lo, s0
	s_delay_alu instid0(SALU_CYCLE_1)
	s_and_saveexec_b32 s1, s0
	s_cbranch_execz .LBB1681_17
; %bb.16:
	v_mul_f64 v[0:1], s[8:9], v[9:10]
	v_mul_f64 v[8:9], s[6:7], v[9:10]
	v_ashrrev_i32_e32 v3, 31, v2
	s_delay_alu instid0(VALU_DEP_3) | instskip(NEXT) | instid1(VALU_DEP_3)
	v_fma_f64 v[6:7], s[6:7], v[11:12], -v[0:1]
	v_fma_f64 v[8:9], s[8:9], v[11:12], v[8:9]
	s_delay_alu instid0(VALU_DEP_3) | instskip(NEXT) | instid1(VALU_DEP_1)
	v_lshlrev_b64 v[0:1], 4, v[2:3]
	v_add_co_u32 v0, vcc_lo, v4, v0
	s_delay_alu instid0(VALU_DEP_2)
	v_add_co_ci_u32_e32 v1, vcc_lo, v5, v1, vcc_lo
	global_store_b128 v[0:1], v[6:9], off
.LBB1681_17:
	s_nop 0
	s_sendmsg sendmsg(MSG_DEALLOC_VGPRS)
	s_endpgm
	.section	.rodata,"a",@progbits
	.p2align	6, 0x0
	.amdhsa_kernel _ZL34rocblas_syrkx_herkx_general_kernelIl19rocblas_complex_numIdELi16ELi32ELi8ELb1ELb0ELc78ELc76EKPKS1_KPS1_EviT_T0_PT8_S7_lSA_S7_lS8_PT9_S7_li
		.amdhsa_group_segment_fixed_size 8192
		.amdhsa_private_segment_fixed_size 0
		.amdhsa_kernarg_size 124
		.amdhsa_user_sgpr_count 13
		.amdhsa_user_sgpr_dispatch_ptr 0
		.amdhsa_user_sgpr_queue_ptr 0
		.amdhsa_user_sgpr_kernarg_segment_ptr 1
		.amdhsa_user_sgpr_dispatch_id 0
		.amdhsa_user_sgpr_private_segment_size 0
		.amdhsa_wavefront_size32 1
		.amdhsa_uses_dynamic_stack 0
		.amdhsa_enable_private_segment 0
		.amdhsa_system_sgpr_workgroup_id_x 1
		.amdhsa_system_sgpr_workgroup_id_y 1
		.amdhsa_system_sgpr_workgroup_id_z 1
		.amdhsa_system_sgpr_workgroup_info 0
		.amdhsa_system_vgpr_workitem_id 1
		.amdhsa_next_free_vgpr 119
		.amdhsa_next_free_sgpr 28
		.amdhsa_reserve_vcc 1
		.amdhsa_float_round_mode_32 0
		.amdhsa_float_round_mode_16_64 0
		.amdhsa_float_denorm_mode_32 3
		.amdhsa_float_denorm_mode_16_64 3
		.amdhsa_dx10_clamp 1
		.amdhsa_ieee_mode 1
		.amdhsa_fp16_overflow 0
		.amdhsa_workgroup_processor_mode 1
		.amdhsa_memory_ordered 1
		.amdhsa_forward_progress 0
		.amdhsa_shared_vgpr_count 0
		.amdhsa_exception_fp_ieee_invalid_op 0
		.amdhsa_exception_fp_denorm_src 0
		.amdhsa_exception_fp_ieee_div_zero 0
		.amdhsa_exception_fp_ieee_overflow 0
		.amdhsa_exception_fp_ieee_underflow 0
		.amdhsa_exception_fp_ieee_inexact 0
		.amdhsa_exception_int_div_zero 0
	.end_amdhsa_kernel
	.section	.text._ZL34rocblas_syrkx_herkx_general_kernelIl19rocblas_complex_numIdELi16ELi32ELi8ELb1ELb0ELc78ELc76EKPKS1_KPS1_EviT_T0_PT8_S7_lSA_S7_lS8_PT9_S7_li,"axG",@progbits,_ZL34rocblas_syrkx_herkx_general_kernelIl19rocblas_complex_numIdELi16ELi32ELi8ELb1ELb0ELc78ELc76EKPKS1_KPS1_EviT_T0_PT8_S7_lSA_S7_lS8_PT9_S7_li,comdat
.Lfunc_end1681:
	.size	_ZL34rocblas_syrkx_herkx_general_kernelIl19rocblas_complex_numIdELi16ELi32ELi8ELb1ELb0ELc78ELc76EKPKS1_KPS1_EviT_T0_PT8_S7_lSA_S7_lS8_PT9_S7_li, .Lfunc_end1681-_ZL34rocblas_syrkx_herkx_general_kernelIl19rocblas_complex_numIdELi16ELi32ELi8ELb1ELb0ELc78ELc76EKPKS1_KPS1_EviT_T0_PT8_S7_lSA_S7_lS8_PT9_S7_li
                                        ; -- End function
	.section	.AMDGPU.csdata,"",@progbits
; Kernel info:
; codeLenInByte = 3316
; NumSgprs: 30
; NumVgprs: 119
; ScratchSize: 0
; MemoryBound: 1
; FloatMode: 240
; IeeeMode: 1
; LDSByteSize: 8192 bytes/workgroup (compile time only)
; SGPRBlocks: 3
; VGPRBlocks: 14
; NumSGPRsForWavesPerEU: 30
; NumVGPRsForWavesPerEU: 119
; Occupancy: 12
; WaveLimiterHint : 1
; COMPUTE_PGM_RSRC2:SCRATCH_EN: 0
; COMPUTE_PGM_RSRC2:USER_SGPR: 13
; COMPUTE_PGM_RSRC2:TRAP_HANDLER: 0
; COMPUTE_PGM_RSRC2:TGID_X_EN: 1
; COMPUTE_PGM_RSRC2:TGID_Y_EN: 1
; COMPUTE_PGM_RSRC2:TGID_Z_EN: 1
; COMPUTE_PGM_RSRC2:TIDIG_COMP_CNT: 1
	.section	.text._ZL34rocblas_syrkx_herkx_general_kernelIl19rocblas_complex_numIdELi16ELi32ELi8ELb1ELb0ELc84ELc85EKPKS1_KPS1_EviT_T0_PT8_S7_lSA_S7_lS8_PT9_S7_li,"axG",@progbits,_ZL34rocblas_syrkx_herkx_general_kernelIl19rocblas_complex_numIdELi16ELi32ELi8ELb1ELb0ELc84ELc85EKPKS1_KPS1_EviT_T0_PT8_S7_lSA_S7_lS8_PT9_S7_li,comdat
	.globl	_ZL34rocblas_syrkx_herkx_general_kernelIl19rocblas_complex_numIdELi16ELi32ELi8ELb1ELb0ELc84ELc85EKPKS1_KPS1_EviT_T0_PT8_S7_lSA_S7_lS8_PT9_S7_li ; -- Begin function _ZL34rocblas_syrkx_herkx_general_kernelIl19rocblas_complex_numIdELi16ELi32ELi8ELb1ELb0ELc84ELc85EKPKS1_KPS1_EviT_T0_PT8_S7_lSA_S7_lS8_PT9_S7_li
	.p2align	8
	.type	_ZL34rocblas_syrkx_herkx_general_kernelIl19rocblas_complex_numIdELi16ELi32ELi8ELb1ELb0ELc84ELc85EKPKS1_KPS1_EviT_T0_PT8_S7_lSA_S7_lS8_PT9_S7_li,@function
_ZL34rocblas_syrkx_herkx_general_kernelIl19rocblas_complex_numIdELi16ELi32ELi8ELb1ELb0ELc84ELc85EKPKS1_KPS1_EviT_T0_PT8_S7_lSA_S7_lS8_PT9_S7_li: ; @_ZL34rocblas_syrkx_herkx_general_kernelIl19rocblas_complex_numIdELi16ELi32ELi8ELb1ELb0ELc84ELc85EKPKS1_KPS1_EviT_T0_PT8_S7_lSA_S7_lS8_PT9_S7_li
; %bb.0:
	s_clause 0x1
	s_load_b128 s[16:19], s[0:1], 0x60
	s_load_b256 s[4:11], s[0:1], 0x8
	s_mov_b32 s2, s15
	s_mov_b32 s3, 0
	s_load_b64 s[22:23], s[0:1], 0x28
	s_lshl_b64 s[20:21], s[2:3], 3
	v_mov_b32_e32 v20, 0
	v_dual_mov_b32 v21, 0 :: v_dual_and_b32 v24, 0x3ff, v0
	v_bfe_u32 v25, v0, 10, 10
	s_delay_alu instid0(VALU_DEP_3) | instskip(NEXT) | instid1(VALU_DEP_3)
	v_mov_b32_e32 v16, v20
	v_dual_mov_b32 v18, v20 :: v_dual_mov_b32 v19, v21
	v_dual_mov_b32 v23, v21 :: v_dual_mov_b32 v22, v20
	v_dual_mov_b32 v17, v21 :: v_dual_mov_b32 v12, v20
	v_dual_mov_b32 v13, v21 :: v_dual_mov_b32 v14, v20
	v_mov_b32_e32 v15, v21
	s_waitcnt lgkmcnt(0)
	s_add_u32 s2, s16, s20
	s_addc_u32 s3, s17, s21
	s_load_b32 s15, s[0:1], 0x0
	s_load_b64 s[16:17], s[2:3], 0x0
	v_cmp_lt_i64_e64 s2, s[4:5], 1
	v_dual_mov_b32 v10, v20 :: v_dual_mov_b32 v11, v21
	v_dual_mov_b32 v8, v20 :: v_dual_mov_b32 v9, v21
	s_lshl_b32 s24, s13, 5
	s_lshl_b32 s14, s14, 5
	s_delay_alu instid0(VALU_DEP_3)
	s_and_b32 vcc_lo, exec_lo, s2
	s_mov_b64 s[12:13], 0
	s_cbranch_vccnz .LBB1682_11
; %bb.1:
	v_lshl_add_u32 v0, v25, 4, v24
	v_and_b32_e32 v26, 7, v24
	s_load_b128 s[0:3], s[0:1], 0x38
	v_lshl_add_u32 v31, v25, 7, 0x1000
	s_delay_alu instid0(VALU_DEP_3) | instskip(SKIP_2) | instid1(VALU_DEP_3)
	v_and_b32_e32 v1, 31, v0
	v_lshrrev_b32_e32 v27, 5, v0
	v_lshrrev_b32_e32 v5, 3, v0
	v_or_b32_e32 v8, s24, v1
	v_lshlrev_b32_e32 v9, 4, v1
	s_waitcnt lgkmcnt(0)
	s_delay_alu instid0(VALU_DEP_2) | instskip(NEXT) | instid1(VALU_DEP_2)
	v_cmp_gt_i32_e32 vcc_lo, s15, v8
	v_lshl_or_b32 v28, v27, 9, v9
	v_mov_b32_e32 v8, 0
	v_dual_mov_b32 v9, 0 :: v_dual_add_nc_u32 v0, s24, v1
	v_add_nc_u32_e32 v6, s14, v5
	v_lshlrev_b32_e32 v7, 4, v26
	s_add_u32 s0, s0, s20
	s_delay_alu instid0(VALU_DEP_3) | instskip(SKIP_4) | instid1(VALU_DEP_3)
	v_mov_b32_e32 v15, v9
	v_ashrrev_i32_e32 v4, 31, v0
	v_mul_lo_u32 v10, s23, v0
	v_mad_u64_u32 v[1:2], null, s22, v0, 0
	s_addc_u32 s1, s1, s21
	v_mul_lo_u32 v11, s22, v4
	s_add_u32 s10, s10, s20
	s_addc_u32 s11, s11, s21
	s_load_b64 s[20:21], s[0:1], 0x0
	s_load_b64 s[10:11], s[10:11], 0x0
	v_lshlrev_b32_e32 v30, 4, v24
	v_dual_mov_b32 v0, 0 :: v_dual_mov_b32 v19, v9
	v_mov_b32_e32 v18, v8
	v_add3_u32 v2, v2, v11, v10
	v_mov_b32_e32 v11, v9
	v_ashrrev_i32_e32 v3, 31, v6
	v_mul_lo_u32 v13, s3, v6
	v_mov_b32_e32 v10, v8
	v_lshl_or_b32 v5, v5, 7, v7
	v_lshlrev_b64 v[1:2], 4, v[1:2]
	v_mul_lo_u32 v12, s2, v3
	v_mad_u64_u32 v[3:4], null, s2, v6, 0
	s_delay_alu instid0(VALU_DEP_4)
	v_dual_mov_b32 v14, v8 :: v_dual_add_nc_u32 v29, 0x1000, v5
	v_lshlrev_b32_e32 v5, 4, v27
	v_cmp_gt_i32_e64 s0, s15, v6
	v_dual_mov_b32 v17, v9 :: v_dual_mov_b32 v16, v8
	v_add3_u32 v4, v4, v12, v13
	v_dual_mov_b32 v13, v9 :: v_dual_mov_b32 v12, v8
	v_add_co_u32 v1, s1, v1, v5
	s_delay_alu instid0(VALU_DEP_3) | instskip(SKIP_3) | instid1(VALU_DEP_4)
	v_lshlrev_b64 v[3:4], 4, v[3:4]
	v_add_co_ci_u32_e64 v2, s1, 0, v2, s1
	v_dual_mov_b32 v23, v9 :: v_dual_mov_b32 v22, v8
	v_dual_mov_b32 v21, v9 :: v_dual_mov_b32 v20, v8
	v_add_co_u32 v3, s1, v3, v7
	s_delay_alu instid0(VALU_DEP_1) | instskip(SKIP_2) | instid1(VALU_DEP_1)
	v_add_co_ci_u32_e64 v7, s1, 0, v4, s1
	s_waitcnt lgkmcnt(0)
	v_add_co_u32 v4, s1, s10, v1
	v_add_co_ci_u32_e64 v5, s1, s11, v2, s1
	v_add_co_u32 v6, s1, s20, v3
	s_delay_alu instid0(VALU_DEP_1)
	v_add_co_ci_u32_e64 v7, s1, s21, v7, s1
	s_xor_b32 s1, vcc_lo, -1
	s_xor_b32 s0, s0, -1
	s_branch .LBB1682_3
.LBB1682_2:                             ;   in Loop: Header=BB1682_3 Depth=1
	s_or_b32 exec_lo, exec_lo, s2
	s_waitcnt lgkmcnt(0)
	s_barrier
	buffer_gl0_inv
	ds_load_b128 v[32:35], v31
	ds_load_b128 v[36:39], v30
	ds_load_b128 v[40:43], v30 offset:256
	ds_load_b128 v[44:47], v31 offset:2048
	;; [unrolled: 1-line block ×9, first 2 shown]
	s_add_u32 s12, s12, 8
	s_addc_u32 s13, s13, 0
	v_add_co_u32 v4, vcc_lo, 0x80, v4
	v_cmp_ge_i64_e64 s2, s[12:13], s[4:5]
	v_add_co_ci_u32_e32 v5, vcc_lo, 0, v5, vcc_lo
	v_add_co_u32 v6, vcc_lo, 0x80, v6
	v_add_co_ci_u32_e32 v7, vcc_lo, 0, v7, vcc_lo
	s_delay_alu instid0(VALU_DEP_4)
	s_and_b32 vcc_lo, exec_lo, s2
	s_waitcnt lgkmcnt(9)
	v_mul_f64 v[1:2], v[34:35], v[38:39]
	v_mul_f64 v[76:77], v[32:33], v[38:39]
	s_waitcnt lgkmcnt(8)
	v_mul_f64 v[78:79], v[34:35], v[42:43]
	v_mul_f64 v[80:81], v[32:33], v[42:43]
	s_waitcnt lgkmcnt(7)
	v_mul_f64 v[82:83], v[46:47], v[38:39]
	v_mul_f64 v[38:39], v[44:45], v[38:39]
	v_mul_f64 v[84:85], v[46:47], v[42:43]
	v_mul_f64 v[42:43], v[44:45], v[42:43]
	s_waitcnt lgkmcnt(4)
	v_mul_f64 v[86:87], v[50:51], v[58:59]
	v_mul_f64 v[88:89], v[48:49], v[58:59]
	s_waitcnt lgkmcnt(3)
	v_mul_f64 v[90:91], v[50:51], v[62:63]
	v_mul_f64 v[92:93], v[48:49], v[62:63]
	;; [unrolled: 1-line block ×6, first 2 shown]
	s_waitcnt lgkmcnt(0)
	v_mul_f64 v[114:115], v[74:75], v[66:67]
	v_mul_f64 v[116:117], v[74:75], v[70:71]
	v_fma_f64 v[1:2], v[32:33], v[36:37], -v[1:2]
	v_fma_f64 v[98:99], v[34:35], v[36:37], v[76:77]
	v_fma_f64 v[100:101], v[32:33], v[40:41], -v[78:79]
	v_fma_f64 v[80:81], v[34:35], v[40:41], v[80:81]
	;; [unrolled: 2-line block ×4, first 2 shown]
	ds_load_b128 v[76:79], v31 offset:32
	v_fma_f64 v[86:87], v[48:49], v[56:57], -v[86:87]
	v_fma_f64 v[88:89], v[50:51], v[56:57], v[88:89]
	v_fma_f64 v[48:49], v[48:49], v[60:61], -v[90:91]
	v_fma_f64 v[50:51], v[50:51], v[60:61], v[92:93]
	;; [unrolled: 2-line block ×4, first 2 shown]
	ds_load_b128 v[32:35], v31 offset:48
	ds_load_b128 v[36:39], v31 offset:2096
	;; [unrolled: 1-line block ×4, first 2 shown]
	s_waitcnt lgkmcnt(4)
	v_mul_f64 v[106:107], v[78:79], v[66:67]
	v_mul_f64 v[108:109], v[76:77], v[66:67]
	;; [unrolled: 1-line block ×6, first 2 shown]
	s_waitcnt lgkmcnt(1)
	v_mul_f64 v[92:93], v[32:33], v[42:43]
	s_waitcnt lgkmcnt(0)
	v_mul_f64 v[94:95], v[34:35], v[46:47]
	v_add_f64 v[1:2], v[20:21], v[1:2]
	v_add_f64 v[20:21], v[22:23], v[98:99]
	;; [unrolled: 1-line block ×8, first 2 shown]
	v_mul_f64 v[84:85], v[34:35], v[42:43]
	v_mul_f64 v[96:97], v[32:33], v[46:47]
	;; [unrolled: 1-line block ×6, first 2 shown]
	ds_load_b128 v[8:11], v30 offset:2048
	ds_load_b128 v[12:15], v30 offset:2304
	;; [unrolled: 1-line block ×3, first 2 shown]
	v_fma_f64 v[104:105], v[76:77], v[64:65], -v[106:107]
	v_fma_f64 v[106:107], v[78:79], v[64:65], v[108:109]
	v_fma_f64 v[76:77], v[76:77], v[68:69], -v[110:111]
	v_fma_f64 v[78:79], v[78:79], v[68:69], v[112:113]
	;; [unrolled: 2-line block ×4, first 2 shown]
	s_waitcnt lgkmcnt(0)
	v_mul_f64 v[114:115], v[18:19], v[10:11]
	v_mul_f64 v[116:117], v[18:19], v[14:15]
	v_add_f64 v[1:2], v[1:2], v[86:87]
	v_add_f64 v[70:71], v[20:21], v[88:89]
	;; [unrolled: 1-line block ×8, first 2 shown]
	ds_load_b128 v[20:23], v31 offset:64
	v_fma_f64 v[84:85], v[32:33], v[40:41], -v[84:85]
	v_fma_f64 v[92:93], v[34:35], v[40:41], v[92:93]
	v_fma_f64 v[94:95], v[32:33], v[44:45], -v[94:95]
	v_fma_f64 v[96:97], v[34:35], v[44:45], v[96:97]
	;; [unrolled: 2-line block ×4, first 2 shown]
	ds_load_b128 v[46:49], v31 offset:80
	ds_load_b128 v[50:53], v31 offset:2128
	;; [unrolled: 1-line block ×7, first 2 shown]
	s_waitcnt lgkmcnt(7)
	v_mul_f64 v[88:89], v[22:23], v[10:11]
	v_mul_f64 v[90:91], v[20:21], v[10:11]
	;; [unrolled: 1-line block ×6, first 2 shown]
	s_waitcnt lgkmcnt(3)
	v_mul_f64 v[102:103], v[52:53], v[60:61]
	v_add_f64 v[1:2], v[1:2], v[104:105]
	v_add_f64 v[70:71], v[70:71], v[106:107]
	;; [unrolled: 1-line block ×8, first 2 shown]
	v_mul_f64 v[68:69], v[48:49], v[56:57]
	v_mul_f64 v[78:79], v[46:47], v[56:57]
	v_mul_f64 v[80:81], v[48:49], v[60:61]
	v_mul_f64 v[82:83], v[46:47], v[60:61]
	v_mul_f64 v[86:87], v[52:53], v[56:57]
	v_mul_f64 v[56:57], v[50:51], v[56:57]
	v_mul_f64 v[104:105], v[50:51], v[60:61]
	v_fma_f64 v[88:89], v[20:21], v[8:9], -v[88:89]
	v_fma_f64 v[90:91], v[22:23], v[8:9], v[90:91]
	v_fma_f64 v[106:107], v[20:21], v[12:13], -v[110:111]
	v_fma_f64 v[108:109], v[22:23], v[12:13], v[112:113]
	;; [unrolled: 2-line block ×4, first 2 shown]
	ds_load_b128 v[8:11], v31 offset:96
	v_add_f64 v[1:2], v[1:2], v[84:85]
	v_add_f64 v[70:71], v[70:71], v[92:93]
	;; [unrolled: 1-line block ×8, first 2 shown]
	s_waitcnt lgkmcnt(1)
	v_mul_f64 v[98:99], v[42:43], v[34:35]
	v_mul_f64 v[100:101], v[42:43], v[38:39]
	v_fma_f64 v[68:69], v[46:47], v[54:55], -v[68:69]
	v_fma_f64 v[78:79], v[48:49], v[54:55], v[78:79]
	v_fma_f64 v[46:47], v[46:47], v[58:59], -v[80:81]
	v_fma_f64 v[48:49], v[48:49], v[58:59], v[82:83]
	;; [unrolled: 2-line block ×4, first 2 shown]
	s_waitcnt lgkmcnt(0)
	v_mul_f64 v[66:67], v[10:11], v[34:35]
	v_mul_f64 v[92:93], v[8:9], v[34:35]
	;; [unrolled: 1-line block ×6, first 2 shown]
	ds_load_b128 v[12:15], v31 offset:112
	ds_load_b128 v[16:19], v31 offset:2160
	;; [unrolled: 1-line block ×4, first 2 shown]
	s_waitcnt lgkmcnt(0)
	s_barrier
	buffer_gl0_inv
	v_add_f64 v[1:2], v[1:2], v[88:89]
	v_add_f64 v[56:57], v[70:71], v[90:91]
	;; [unrolled: 1-line block ×8, first 2 shown]
	v_mul_f64 v[76:77], v[14:15], v[22:23]
	v_mul_f64 v[82:83], v[12:13], v[22:23]
	;; [unrolled: 1-line block ×8, first 2 shown]
	v_fma_f64 v[66:67], v[8:9], v[32:33], -v[66:67]
	v_fma_f64 v[92:93], v[10:11], v[32:33], v[92:93]
	v_fma_f64 v[8:9], v[8:9], v[36:37], -v[94:95]
	v_fma_f64 v[10:11], v[10:11], v[36:37], v[96:97]
	;; [unrolled: 2-line block ×4, first 2 shown]
	v_add_f64 v[1:2], v[1:2], v[68:69]
	v_add_f64 v[38:39], v[56:57], v[78:79]
	;; [unrolled: 1-line block ×8, first 2 shown]
	v_fma_f64 v[52:53], v[12:13], v[20:21], -v[76:77]
	v_fma_f64 v[54:55], v[14:15], v[20:21], v[82:83]
	v_fma_f64 v[12:13], v[12:13], v[60:61], -v[84:85]
	v_fma_f64 v[14:15], v[14:15], v[60:61], v[86:87]
	;; [unrolled: 2-line block ×4, first 2 shown]
	v_add_f64 v[1:2], v[1:2], v[66:67]
	v_add_f64 v[16:17], v[38:39], v[92:93]
	;; [unrolled: 1-line block ×16, first 2 shown]
	s_cbranch_vccnz .LBB1682_11
.LBB1682_3:                             ; =>This Inner Loop Header: Depth=1
	v_add_co_u32 v1, s2, v27, s12
	s_delay_alu instid0(VALU_DEP_1) | instskip(NEXT) | instid1(VALU_DEP_1)
	v_add_co_ci_u32_e64 v2, null, 0, s13, s2
	v_cmp_le_i64_e32 vcc_lo, s[4:5], v[1:2]
	s_or_b32 s2, s1, vcc_lo
	s_delay_alu instid0(SALU_CYCLE_1) | instskip(NEXT) | instid1(SALU_CYCLE_1)
	s_and_saveexec_b32 s3, s2
	s_xor_b32 s2, exec_lo, s3
	s_cbranch_execz .LBB1682_5
; %bb.4:                                ;   in Loop: Header=BB1682_3 Depth=1
	v_mov_b32_e32 v1, v0
	v_mov_b32_e32 v2, v0
	v_mov_b32_e32 v3, v0
	ds_store_b128 v28, v[0:3]
.LBB1682_5:                             ;   in Loop: Header=BB1682_3 Depth=1
	s_and_not1_saveexec_b32 s2, s2
	s_cbranch_execz .LBB1682_7
; %bb.6:                                ;   in Loop: Header=BB1682_3 Depth=1
	global_load_b128 v[32:35], v[4:5], off
	s_waitcnt vmcnt(0)
	ds_store_2addr_b64 v28, v[32:33], v[34:35] offset1:1
.LBB1682_7:                             ;   in Loop: Header=BB1682_3 Depth=1
	s_or_b32 exec_lo, exec_lo, s2
	v_add_co_u32 v1, s2, v26, s12
	s_delay_alu instid0(VALU_DEP_1) | instskip(NEXT) | instid1(VALU_DEP_1)
	v_add_co_ci_u32_e64 v2, null, 0, s13, s2
	v_cmp_le_i64_e32 vcc_lo, s[4:5], v[1:2]
	s_or_b32 s2, vcc_lo, s0
	s_delay_alu instid0(SALU_CYCLE_1) | instskip(NEXT) | instid1(SALU_CYCLE_1)
	s_and_saveexec_b32 s3, s2
	s_xor_b32 s2, exec_lo, s3
	s_cbranch_execz .LBB1682_9
; %bb.8:                                ;   in Loop: Header=BB1682_3 Depth=1
	v_mov_b32_e32 v1, v0
	v_mov_b32_e32 v2, v0
	;; [unrolled: 1-line block ×3, first 2 shown]
	ds_store_b128 v29, v[0:3]
.LBB1682_9:                             ;   in Loop: Header=BB1682_3 Depth=1
	s_and_not1_saveexec_b32 s2, s2
	s_cbranch_execz .LBB1682_2
; %bb.10:                               ;   in Loop: Header=BB1682_3 Depth=1
	global_load_b128 v[32:35], v[6:7], off
	s_waitcnt vmcnt(0)
	ds_store_2addr_b64 v29, v[32:33], v[34:35] offset1:1
	s_branch .LBB1682_2
.LBB1682_11:
	v_add_nc_u32_e32 v4, s14, v25
	s_delay_alu instid0(VALU_DEP_1)
	v_ashrrev_i32_e32 v0, 31, v4
	v_mul_lo_u32 v3, v4, s19
	v_mad_u64_u32 v[1:2], null, v4, s18, 0
	s_waitcnt lgkmcnt(0)
	v_cmp_gt_i32_e32 vcc_lo, s15, v4
	v_mul_lo_u32 v0, v0, s18
	s_delay_alu instid0(VALU_DEP_1) | instskip(SKIP_1) | instid1(VALU_DEP_2)
	v_add3_u32 v2, v2, v3, v0
	v_add_nc_u32_e32 v0, s24, v24
	v_lshlrev_b64 v[1:2], 4, v[1:2]
	s_delay_alu instid0(VALU_DEP_2) | instskip(NEXT) | instid1(VALU_DEP_1)
	v_cmp_le_i32_e64 s0, v0, v4
	s_and_b32 s0, vcc_lo, s0
	s_delay_alu instid0(VALU_DEP_2) | instskip(NEXT) | instid1(VALU_DEP_1)
	v_add_co_u32 v5, s1, s16, v1
	v_add_co_ci_u32_e64 v6, s1, s17, v2, s1
	s_and_saveexec_b32 s1, s0
	s_cbranch_execz .LBB1682_13
; %bb.12:
	v_mul_f64 v[1:2], s[8:9], v[22:23]
	v_mul_f64 v[24:25], s[6:7], v[22:23]
	s_delay_alu instid0(VALU_DEP_2) | instskip(NEXT) | instid1(VALU_DEP_2)
	v_fma_f64 v[22:23], s[6:7], v[20:21], -v[1:2]
	v_fma_f64 v[24:25], s[8:9], v[20:21], v[24:25]
	v_ashrrev_i32_e32 v1, 31, v0
	s_delay_alu instid0(VALU_DEP_1) | instskip(NEXT) | instid1(VALU_DEP_1)
	v_lshlrev_b64 v[1:2], 4, v[0:1]
	v_add_co_u32 v1, s0, v5, v1
	s_delay_alu instid0(VALU_DEP_1)
	v_add_co_ci_u32_e64 v2, s0, v6, v2, s0
	global_store_b128 v[1:2], v[22:25], off
.LBB1682_13:
	s_or_b32 exec_lo, exec_lo, s1
	v_add_nc_u32_e32 v2, 16, v0
	s_delay_alu instid0(VALU_DEP_1) | instskip(NEXT) | instid1(VALU_DEP_1)
	v_cmp_le_i32_e64 s0, v2, v4
	s_and_b32 s1, vcc_lo, s0
	s_delay_alu instid0(SALU_CYCLE_1)
	s_and_saveexec_b32 s0, s1
	s_cbranch_execz .LBB1682_15
; %bb.14:
	v_mul_f64 v[20:21], s[8:9], v[18:19]
	v_mul_f64 v[22:23], s[6:7], v[18:19]
	v_ashrrev_i32_e32 v3, 31, v2
	s_delay_alu instid0(VALU_DEP_3) | instskip(NEXT) | instid1(VALU_DEP_3)
	v_fma_f64 v[18:19], s[6:7], v[16:17], -v[20:21]
	v_fma_f64 v[20:21], s[8:9], v[16:17], v[22:23]
	s_delay_alu instid0(VALU_DEP_3) | instskip(NEXT) | instid1(VALU_DEP_1)
	v_lshlrev_b64 v[16:17], 4, v[2:3]
	v_add_co_u32 v5, vcc_lo, v5, v16
	s_delay_alu instid0(VALU_DEP_2)
	v_add_co_ci_u32_e32 v6, vcc_lo, v6, v17, vcc_lo
	global_store_b128 v[5:6], v[18:21], off
.LBB1682_15:
	s_or_b32 exec_lo, exec_lo, s0
	v_add_nc_u32_e32 v3, 16, v4
	s_delay_alu instid0(VALU_DEP_1) | instskip(SKIP_3) | instid1(VALU_DEP_4)
	v_ashrrev_i32_e32 v1, 31, v3
	v_mul_lo_u32 v6, v3, s19
	v_mad_u64_u32 v[4:5], null, v3, s18, 0
	v_cmp_gt_i32_e32 vcc_lo, s15, v3
	v_mul_lo_u32 v1, v1, s18
	v_cmp_le_i32_e64 s0, v0, v3
	s_delay_alu instid0(VALU_DEP_1) | instskip(NEXT) | instid1(VALU_DEP_2)
	s_and_b32 s0, vcc_lo, s0
	v_add3_u32 v5, v5, v6, v1
	s_delay_alu instid0(VALU_DEP_1) | instskip(NEXT) | instid1(VALU_DEP_1)
	v_lshlrev_b64 v[4:5], 4, v[4:5]
	v_add_co_u32 v4, s1, s16, v4
	s_delay_alu instid0(VALU_DEP_1)
	v_add_co_ci_u32_e64 v5, s1, s17, v5, s1
	s_and_saveexec_b32 s1, s0
	s_cbranch_execz .LBB1682_17
; %bb.16:
	v_mul_f64 v[6:7], s[8:9], v[14:15]
	v_mul_f64 v[16:17], s[6:7], v[14:15]
	v_ashrrev_i32_e32 v1, 31, v0
	s_delay_alu instid0(VALU_DEP_1) | instskip(NEXT) | instid1(VALU_DEP_1)
	v_lshlrev_b64 v[0:1], 4, v[0:1]
	v_add_co_u32 v0, s0, v4, v0
	s_delay_alu instid0(VALU_DEP_1)
	v_add_co_ci_u32_e64 v1, s0, v5, v1, s0
	v_fma_f64 v[14:15], s[6:7], v[12:13], -v[6:7]
	v_fma_f64 v[16:17], s[8:9], v[12:13], v[16:17]
	global_store_b128 v[0:1], v[14:17], off
.LBB1682_17:
	s_or_b32 exec_lo, exec_lo, s1
	v_cmp_le_i32_e64 s0, v2, v3
	s_delay_alu instid0(VALU_DEP_1) | instskip(NEXT) | instid1(SALU_CYCLE_1)
	s_and_b32 s0, vcc_lo, s0
	s_and_saveexec_b32 s1, s0
	s_cbranch_execz .LBB1682_19
; %bb.18:
	v_mul_f64 v[0:1], s[8:9], v[8:9]
	v_mul_f64 v[8:9], s[6:7], v[8:9]
	v_ashrrev_i32_e32 v3, 31, v2
	s_delay_alu instid0(VALU_DEP_3) | instskip(NEXT) | instid1(VALU_DEP_3)
	v_fma_f64 v[6:7], s[6:7], v[10:11], -v[0:1]
	v_fma_f64 v[8:9], s[8:9], v[10:11], v[8:9]
	s_delay_alu instid0(VALU_DEP_3) | instskip(NEXT) | instid1(VALU_DEP_1)
	v_lshlrev_b64 v[0:1], 4, v[2:3]
	v_add_co_u32 v0, vcc_lo, v4, v0
	s_delay_alu instid0(VALU_DEP_2)
	v_add_co_ci_u32_e32 v1, vcc_lo, v5, v1, vcc_lo
	global_store_b128 v[0:1], v[6:9], off
.LBB1682_19:
	s_nop 0
	s_sendmsg sendmsg(MSG_DEALLOC_VGPRS)
	s_endpgm
	.section	.rodata,"a",@progbits
	.p2align	6, 0x0
	.amdhsa_kernel _ZL34rocblas_syrkx_herkx_general_kernelIl19rocblas_complex_numIdELi16ELi32ELi8ELb1ELb0ELc84ELc85EKPKS1_KPS1_EviT_T0_PT8_S7_lSA_S7_lS8_PT9_S7_li
		.amdhsa_group_segment_fixed_size 8192
		.amdhsa_private_segment_fixed_size 0
		.amdhsa_kernarg_size 124
		.amdhsa_user_sgpr_count 13
		.amdhsa_user_sgpr_dispatch_ptr 0
		.amdhsa_user_sgpr_queue_ptr 0
		.amdhsa_user_sgpr_kernarg_segment_ptr 1
		.amdhsa_user_sgpr_dispatch_id 0
		.amdhsa_user_sgpr_private_segment_size 0
		.amdhsa_wavefront_size32 1
		.amdhsa_uses_dynamic_stack 0
		.amdhsa_enable_private_segment 0
		.amdhsa_system_sgpr_workgroup_id_x 1
		.amdhsa_system_sgpr_workgroup_id_y 1
		.amdhsa_system_sgpr_workgroup_id_z 1
		.amdhsa_system_sgpr_workgroup_info 0
		.amdhsa_system_vgpr_workitem_id 1
		.amdhsa_next_free_vgpr 120
		.amdhsa_next_free_sgpr 25
		.amdhsa_reserve_vcc 1
		.amdhsa_float_round_mode_32 0
		.amdhsa_float_round_mode_16_64 0
		.amdhsa_float_denorm_mode_32 3
		.amdhsa_float_denorm_mode_16_64 3
		.amdhsa_dx10_clamp 1
		.amdhsa_ieee_mode 1
		.amdhsa_fp16_overflow 0
		.amdhsa_workgroup_processor_mode 1
		.amdhsa_memory_ordered 1
		.amdhsa_forward_progress 0
		.amdhsa_shared_vgpr_count 0
		.amdhsa_exception_fp_ieee_invalid_op 0
		.amdhsa_exception_fp_denorm_src 0
		.amdhsa_exception_fp_ieee_div_zero 0
		.amdhsa_exception_fp_ieee_overflow 0
		.amdhsa_exception_fp_ieee_underflow 0
		.amdhsa_exception_fp_ieee_inexact 0
		.amdhsa_exception_int_div_zero 0
	.end_amdhsa_kernel
	.section	.text._ZL34rocblas_syrkx_herkx_general_kernelIl19rocblas_complex_numIdELi16ELi32ELi8ELb1ELb0ELc84ELc85EKPKS1_KPS1_EviT_T0_PT8_S7_lSA_S7_lS8_PT9_S7_li,"axG",@progbits,_ZL34rocblas_syrkx_herkx_general_kernelIl19rocblas_complex_numIdELi16ELi32ELi8ELb1ELb0ELc84ELc85EKPKS1_KPS1_EviT_T0_PT8_S7_lSA_S7_lS8_PT9_S7_li,comdat
.Lfunc_end1682:
	.size	_ZL34rocblas_syrkx_herkx_general_kernelIl19rocblas_complex_numIdELi16ELi32ELi8ELb1ELb0ELc84ELc85EKPKS1_KPS1_EviT_T0_PT8_S7_lSA_S7_lS8_PT9_S7_li, .Lfunc_end1682-_ZL34rocblas_syrkx_herkx_general_kernelIl19rocblas_complex_numIdELi16ELi32ELi8ELb1ELb0ELc84ELc85EKPKS1_KPS1_EviT_T0_PT8_S7_lSA_S7_lS8_PT9_S7_li
                                        ; -- End function
	.section	.AMDGPU.csdata,"",@progbits
; Kernel info:
; codeLenInByte = 3332
; NumSgprs: 27
; NumVgprs: 120
; ScratchSize: 0
; MemoryBound: 0
; FloatMode: 240
; IeeeMode: 1
; LDSByteSize: 8192 bytes/workgroup (compile time only)
; SGPRBlocks: 3
; VGPRBlocks: 14
; NumSGPRsForWavesPerEU: 27
; NumVGPRsForWavesPerEU: 120
; Occupancy: 12
; WaveLimiterHint : 1
; COMPUTE_PGM_RSRC2:SCRATCH_EN: 0
; COMPUTE_PGM_RSRC2:USER_SGPR: 13
; COMPUTE_PGM_RSRC2:TRAP_HANDLER: 0
; COMPUTE_PGM_RSRC2:TGID_X_EN: 1
; COMPUTE_PGM_RSRC2:TGID_Y_EN: 1
; COMPUTE_PGM_RSRC2:TGID_Z_EN: 1
; COMPUTE_PGM_RSRC2:TIDIG_COMP_CNT: 1
	.section	.text._ZL34rocblas_syrkx_herkx_general_kernelIl19rocblas_complex_numIdELi16ELi32ELi8ELb1ELb0ELc67ELc85EKPKS1_KPS1_EviT_T0_PT8_S7_lSA_S7_lS8_PT9_S7_li,"axG",@progbits,_ZL34rocblas_syrkx_herkx_general_kernelIl19rocblas_complex_numIdELi16ELi32ELi8ELb1ELb0ELc67ELc85EKPKS1_KPS1_EviT_T0_PT8_S7_lSA_S7_lS8_PT9_S7_li,comdat
	.globl	_ZL34rocblas_syrkx_herkx_general_kernelIl19rocblas_complex_numIdELi16ELi32ELi8ELb1ELb0ELc67ELc85EKPKS1_KPS1_EviT_T0_PT8_S7_lSA_S7_lS8_PT9_S7_li ; -- Begin function _ZL34rocblas_syrkx_herkx_general_kernelIl19rocblas_complex_numIdELi16ELi32ELi8ELb1ELb0ELc67ELc85EKPKS1_KPS1_EviT_T0_PT8_S7_lSA_S7_lS8_PT9_S7_li
	.p2align	8
	.type	_ZL34rocblas_syrkx_herkx_general_kernelIl19rocblas_complex_numIdELi16ELi32ELi8ELb1ELb0ELc67ELc85EKPKS1_KPS1_EviT_T0_PT8_S7_lSA_S7_lS8_PT9_S7_li,@function
_ZL34rocblas_syrkx_herkx_general_kernelIl19rocblas_complex_numIdELi16ELi32ELi8ELb1ELb0ELc67ELc85EKPKS1_KPS1_EviT_T0_PT8_S7_lSA_S7_lS8_PT9_S7_li: ; @_ZL34rocblas_syrkx_herkx_general_kernelIl19rocblas_complex_numIdELi16ELi32ELi8ELb1ELb0ELc67ELc85EKPKS1_KPS1_EviT_T0_PT8_S7_lSA_S7_lS8_PT9_S7_li
; %bb.0:
	s_clause 0x1
	s_load_b128 s[16:19], s[0:1], 0x60
	s_load_b256 s[4:11], s[0:1], 0x8
	s_mov_b32 s2, s15
	s_mov_b32 s3, 0
	s_load_b64 s[22:23], s[0:1], 0x28
	s_lshl_b64 s[20:21], s[2:3], 3
	v_mov_b32_e32 v23, 0
	v_dual_mov_b32 v24, 0 :: v_dual_and_b32 v27, 0x3ff, v0
	v_bfe_u32 v28, v0, 10, 10
	s_delay_alu instid0(VALU_DEP_3) | instskip(NEXT) | instid1(VALU_DEP_3)
	v_mov_b32_e32 v19, v23
	v_dual_mov_b32 v21, v23 :: v_dual_mov_b32 v22, v24
	v_dual_mov_b32 v26, v24 :: v_dual_mov_b32 v25, v23
	v_dual_mov_b32 v20, v24 :: v_dual_mov_b32 v15, v23
	v_dual_mov_b32 v16, v24 :: v_dual_mov_b32 v17, v23
	v_mov_b32_e32 v18, v24
	s_waitcnt lgkmcnt(0)
	s_add_u32 s2, s16, s20
	s_addc_u32 s3, s17, s21
	s_load_b32 s15, s[0:1], 0x0
	s_load_b64 s[16:17], s[2:3], 0x0
	v_cmp_lt_i64_e64 s2, s[4:5], 1
	v_dual_mov_b32 v11, v23 :: v_dual_mov_b32 v12, v24
	v_dual_mov_b32 v13, v23 :: v_dual_mov_b32 v14, v24
	s_lshl_b32 s24, s13, 5
	s_lshl_b32 s14, s14, 5
	s_delay_alu instid0(VALU_DEP_3)
	s_and_b32 vcc_lo, exec_lo, s2
	s_mov_b64 s[12:13], 0
	s_cbranch_vccnz .LBB1683_9
; %bb.1:
	s_load_b128 s[0:3], s[0:1], 0x38
	v_lshl_add_u32 v1, v28, 4, v27
	v_dual_mov_b32 v0, 0 :: v_dual_and_b32 v29, 7, v27
	v_lshl_add_u32 v31, v28, 7, 0x1000
	s_delay_alu instid0(VALU_DEP_3) | instskip(SKIP_3) | instid1(VALU_DEP_4)
	v_and_b32_e32 v2, 31, v1
	v_lshrrev_b32_e32 v3, 3, v1
	v_lshrrev_b32_e32 v32, 5, v1
	v_lshlrev_b32_e32 v6, 4, v29
	v_add_nc_u32_e32 v4, s24, v2
	s_delay_alu instid0(VALU_DEP_4) | instskip(SKIP_2) | instid1(VALU_DEP_4)
	v_add_nc_u32_e32 v5, s14, v3
	v_or_b32_e32 v7, s24, v2
	v_lshlrev_b32_e32 v8, 4, v2
	v_ashrrev_i32_e32 v10, 31, v4
	v_mul_lo_u32 v11, s23, v4
	v_mad_u64_u32 v[1:2], null, s22, v4, 0
	s_waitcnt lgkmcnt(0)
	s_add_u32 s26, s0, s20
	v_mul_lo_u32 v4, s22, v10
	s_addc_u32 s27, s1, s21
	s_add_u32 s0, s10, s20
	s_addc_u32 s1, s11, s21
	v_ashrrev_i32_e32 v9, 31, v5
	s_load_b64 s[10:11], s[0:1], 0x0
	v_lshl_or_b32 v10, v3, 7, v6
	v_mul_lo_u32 v12, s3, v5
	v_add3_u32 v2, v2, v4, v11
	v_mul_lo_u32 v9, s2, v9
	v_mad_u64_u32 v[3:4], null, s2, v5, 0
	v_lshlrev_b32_e32 v11, 4, v32
	s_delay_alu instid0(VALU_DEP_4) | instskip(SKIP_4) | instid1(VALU_DEP_4)
	v_lshlrev_b64 v[1:2], 4, v[1:2]
	s_load_b64 s[2:3], s[26:27], 0x0
	v_cmp_gt_i32_e32 vcc_lo, s15, v5
	v_cmp_gt_i32_e64 s0, s15, v7
	v_add3_u32 v4, v4, v9, v12
	v_add_co_u32 v5, s1, v1, v11
	s_delay_alu instid0(VALU_DEP_1) | instskip(NEXT) | instid1(VALU_DEP_3)
	v_add_co_ci_u32_e64 v7, s1, 0, v2, s1
	v_lshlrev_b64 v[1:2], 4, v[3:4]
	s_waitcnt lgkmcnt(0)
	s_delay_alu instid0(VALU_DEP_3) | instskip(NEXT) | instid1(VALU_DEP_1)
	v_add_co_u32 v3, s1, v5, s10
	v_add_co_ci_u32_e64 v4, s1, s11, v7, s1
	s_delay_alu instid0(VALU_DEP_3) | instskip(SKIP_4) | instid1(VALU_DEP_3)
	v_add_co_u32 v1, s1, v1, v6
	v_mov_b32_e32 v5, 0
	v_mov_b32_e32 v6, 0
	v_add_co_ci_u32_e64 v2, s1, 0, v2, s1
	v_add_co_u32 v7, s1, v3, 8
	v_dual_mov_b32 v18, v6 :: v_dual_mov_b32 v17, v5
	v_lshl_or_b32 v33, v32, 9, v8
	v_add_co_ci_u32_e64 v8, s1, 0, v4, s1
	v_add_co_u32 v9, s1, s2, v1
	v_mov_b32_e32 v14, v6
	v_mov_b32_e32 v12, v6
	;; [unrolled: 1-line block ×6, first 2 shown]
	v_dual_mov_b32 v24, v6 :: v_dual_mov_b32 v23, v5
	v_dual_mov_b32 v13, v5 :: v_dual_lshlrev_b32 v30, 4, v27
	v_dual_mov_b32 v15, v5 :: v_dual_add_nc_u32 v34, 0x1000, v10
	v_add_co_ci_u32_e64 v10, s1, s3, v2, s1
	v_mov_b32_e32 v11, v5
	v_mov_b32_e32 v21, v5
	;; [unrolled: 1-line block ×4, first 2 shown]
	s_xor_b32 s1, vcc_lo, -1
	s_branch .LBB1683_3
.LBB1683_2:                             ;   in Loop: Header=BB1683_3 Depth=1
	s_or_b32 exec_lo, exec_lo, s2
	s_waitcnt lgkmcnt(0)
	s_barrier
	buffer_gl0_inv
	ds_load_b128 v[1:4], v31
	ds_load_b128 v[35:38], v30
	ds_load_b128 v[39:42], v30 offset:256
	ds_load_b128 v[43:46], v31 offset:2048
	;; [unrolled: 1-line block ×9, first 2 shown]
	s_add_u32 s12, s12, 8
	s_addc_u32 s13, s13, 0
	v_add_co_u32 v7, vcc_lo, 0x80, v7
	v_cmp_ge_i64_e64 s2, s[12:13], s[4:5]
	v_add_co_ci_u32_e32 v8, vcc_lo, 0, v8, vcc_lo
	v_add_co_u32 v9, vcc_lo, 0x80, v9
	v_add_co_ci_u32_e32 v10, vcc_lo, 0, v10, vcc_lo
	s_delay_alu instid0(VALU_DEP_4)
	s_and_b32 vcc_lo, exec_lo, s2
	s_waitcnt lgkmcnt(9)
	v_mul_f64 v[75:76], v[3:4], v[37:38]
	v_mul_f64 v[77:78], v[1:2], v[37:38]
	s_waitcnt lgkmcnt(8)
	v_mul_f64 v[79:80], v[3:4], v[41:42]
	v_mul_f64 v[81:82], v[1:2], v[41:42]
	;; [unrolled: 3-line block ×3, first 2 shown]
	v_mul_f64 v[85:86], v[45:46], v[41:42]
	v_mul_f64 v[41:42], v[43:44], v[41:42]
	s_waitcnt lgkmcnt(4)
	v_mul_f64 v[87:88], v[49:50], v[57:58]
	v_mul_f64 v[89:90], v[47:48], v[57:58]
	s_waitcnt lgkmcnt(3)
	v_mul_f64 v[91:92], v[49:50], v[61:62]
	v_mul_f64 v[93:94], v[47:48], v[61:62]
	;; [unrolled: 1-line block ×6, first 2 shown]
	s_waitcnt lgkmcnt(0)
	v_mul_f64 v[115:116], v[73:74], v[65:66]
	v_mul_f64 v[117:118], v[73:74], v[69:70]
	v_fma_f64 v[99:100], v[1:2], v[35:36], -v[75:76]
	v_fma_f64 v[101:102], v[3:4], v[35:36], v[77:78]
	v_fma_f64 v[79:80], v[1:2], v[39:40], -v[79:80]
	v_fma_f64 v[81:82], v[3:4], v[39:40], v[81:82]
	;; [unrolled: 2-line block ×4, first 2 shown]
	ds_load_b128 v[75:78], v31 offset:32
	v_fma_f64 v[87:88], v[47:48], v[55:56], -v[87:88]
	v_fma_f64 v[89:90], v[49:50], v[55:56], v[89:90]
	v_fma_f64 v[47:48], v[47:48], v[59:60], -v[91:92]
	v_fma_f64 v[49:50], v[49:50], v[59:60], v[93:94]
	;; [unrolled: 2-line block ×4, first 2 shown]
	ds_load_b128 v[1:4], v31 offset:48
	ds_load_b128 v[35:38], v31 offset:2096
	;; [unrolled: 1-line block ×4, first 2 shown]
	s_waitcnt lgkmcnt(4)
	v_mul_f64 v[107:108], v[77:78], v[65:66]
	v_mul_f64 v[109:110], v[75:76], v[65:66]
	;; [unrolled: 1-line block ×6, first 2 shown]
	s_waitcnt lgkmcnt(1)
	v_mul_f64 v[93:94], v[1:2], v[41:42]
	s_waitcnt lgkmcnt(0)
	v_mul_f64 v[95:96], v[3:4], v[45:46]
	v_add_f64 v[23:24], v[23:24], v[99:100]
	v_add_f64 v[25:26], v[25:26], v[101:102]
	;; [unrolled: 1-line block ×8, first 2 shown]
	v_mul_f64 v[85:86], v[3:4], v[41:42]
	v_mul_f64 v[97:98], v[1:2], v[45:46]
	;; [unrolled: 1-line block ×6, first 2 shown]
	ds_load_b128 v[11:14], v30 offset:2048
	ds_load_b128 v[15:18], v30 offset:2304
	ds_load_b128 v[19:22], v31 offset:2112
	v_fma_f64 v[105:106], v[75:76], v[63:64], -v[107:108]
	v_fma_f64 v[107:108], v[77:78], v[63:64], v[109:110]
	v_fma_f64 v[75:76], v[75:76], v[67:68], -v[111:112]
	v_fma_f64 v[77:78], v[77:78], v[67:68], v[113:114]
	;; [unrolled: 2-line block ×4, first 2 shown]
	s_waitcnt lgkmcnt(0)
	v_mul_f64 v[115:116], v[21:22], v[13:14]
	v_mul_f64 v[117:118], v[21:22], v[17:18]
	v_add_f64 v[69:70], v[23:24], v[87:88]
	v_add_f64 v[71:72], v[25:26], v[89:90]
	;; [unrolled: 1-line block ×8, first 2 shown]
	ds_load_b128 v[23:26], v31 offset:64
	v_fma_f64 v[85:86], v[1:2], v[39:40], -v[85:86]
	v_fma_f64 v[93:94], v[3:4], v[39:40], v[93:94]
	v_fma_f64 v[95:96], v[1:2], v[43:44], -v[95:96]
	v_fma_f64 v[97:98], v[3:4], v[43:44], v[97:98]
	;; [unrolled: 2-line block ×4, first 2 shown]
	ds_load_b128 v[45:48], v31 offset:80
	ds_load_b128 v[49:52], v31 offset:2128
	;; [unrolled: 1-line block ×7, first 2 shown]
	s_waitcnt lgkmcnt(7)
	v_mul_f64 v[89:90], v[25:26], v[13:14]
	v_mul_f64 v[91:92], v[23:24], v[13:14]
	;; [unrolled: 1-line block ×6, first 2 shown]
	s_waitcnt lgkmcnt(3)
	v_mul_f64 v[103:104], v[51:52], v[59:60]
	v_add_f64 v[69:70], v[69:70], v[105:106]
	v_add_f64 v[71:72], v[71:72], v[107:108]
	;; [unrolled: 1-line block ×8, first 2 shown]
	v_mul_f64 v[77:78], v[47:48], v[55:56]
	v_mul_f64 v[79:80], v[45:46], v[55:56]
	;; [unrolled: 1-line block ×7, first 2 shown]
	v_fma_f64 v[89:90], v[23:24], v[11:12], -v[89:90]
	v_fma_f64 v[91:92], v[25:26], v[11:12], v[91:92]
	v_fma_f64 v[107:108], v[23:24], v[15:16], -v[111:112]
	v_fma_f64 v[109:110], v[25:26], v[15:16], v[113:114]
	;; [unrolled: 2-line block ×4, first 2 shown]
	ds_load_b128 v[11:14], v31 offset:96
	v_add_f64 v[69:70], v[69:70], v[85:86]
	v_add_f64 v[71:72], v[71:72], v[93:94]
	;; [unrolled: 1-line block ×8, first 2 shown]
	s_waitcnt lgkmcnt(1)
	v_mul_f64 v[99:100], v[41:42], v[3:4]
	v_mul_f64 v[101:102], v[41:42], v[37:38]
	v_fma_f64 v[77:78], v[45:46], v[53:54], -v[77:78]
	v_fma_f64 v[79:80], v[47:48], v[53:54], v[79:80]
	v_fma_f64 v[45:46], v[45:46], v[57:58], -v[81:82]
	v_fma_f64 v[47:48], v[47:48], v[57:58], v[83:84]
	;; [unrolled: 2-line block ×4, first 2 shown]
	s_waitcnt lgkmcnt(0)
	v_mul_f64 v[67:68], v[13:14], v[3:4]
	v_mul_f64 v[93:94], v[11:12], v[3:4]
	;; [unrolled: 1-line block ×6, first 2 shown]
	ds_load_b128 v[15:18], v31 offset:112
	ds_load_b128 v[19:22], v31 offset:2160
	ds_load_b128 v[23:26], v30 offset:3584
	ds_load_b128 v[59:62], v30 offset:3840
	s_waitcnt lgkmcnt(0)
	s_barrier
	buffer_gl0_inv
	v_add_f64 v[55:56], v[69:70], v[89:90]
	v_add_f64 v[57:58], v[71:72], v[91:92]
	v_add_f64 v[69:70], v[73:74], v[107:108]
	v_add_f64 v[71:72], v[75:76], v[109:110]
	v_add_f64 v[73:74], v[85:86], v[111:112]
	v_add_f64 v[63:64], v[63:64], v[113:114]
	v_add_f64 v[65:66], v[65:66], v[115:116]
	v_add_f64 v[43:44], v[43:44], v[117:118]
	v_mul_f64 v[75:76], v[17:18], v[25:26]
	v_mul_f64 v[83:84], v[15:16], v[25:26]
	;; [unrolled: 1-line block ×8, first 2 shown]
	v_fma_f64 v[67:68], v[11:12], v[1:2], -v[67:68]
	v_fma_f64 v[93:94], v[13:14], v[1:2], v[93:94]
	v_fma_f64 v[11:12], v[11:12], v[35:36], -v[95:96]
	v_fma_f64 v[13:14], v[13:14], v[35:36], v[97:98]
	;; [unrolled: 2-line block ×4, first 2 shown]
	v_add_f64 v[37:38], v[55:56], v[77:78]
	v_add_f64 v[39:40], v[57:58], v[79:80]
	;; [unrolled: 1-line block ×8, first 2 shown]
	v_fma_f64 v[51:52], v[15:16], v[23:24], -v[75:76]
	v_fma_f64 v[55:56], v[17:18], v[23:24], v[83:84]
	v_fma_f64 v[15:16], v[15:16], v[59:60], -v[85:86]
	v_fma_f64 v[17:18], v[17:18], v[59:60], v[87:88]
	;; [unrolled: 2-line block ×4, first 2 shown]
	v_add_f64 v[19:20], v[37:38], v[67:68]
	v_add_f64 v[21:22], v[39:40], v[93:94]
	;; [unrolled: 1-line block ×16, first 2 shown]
	s_cbranch_vccnz .LBB1683_9
.LBB1683_3:                             ; =>This Inner Loop Header: Depth=1
	v_add_co_u32 v1, s2, v32, s12
	s_delay_alu instid0(VALU_DEP_1) | instskip(SKIP_1) | instid1(VALU_DEP_2)
	v_add_co_ci_u32_e64 v2, null, 0, s13, s2
	v_dual_mov_b32 v3, v5 :: v_dual_mov_b32 v4, v6
	v_cmp_gt_i64_e32 vcc_lo, s[4:5], v[1:2]
	v_dual_mov_b32 v1, v5 :: v_dual_mov_b32 v2, v6
	s_and_b32 s3, s0, vcc_lo
	s_delay_alu instid0(SALU_CYCLE_1)
	s_and_saveexec_b32 s2, s3
	s_cbranch_execz .LBB1683_5
; %bb.4:                                ;   in Loop: Header=BB1683_3 Depth=1
	global_load_b128 v[1:4], v[7:8], off offset:-8
.LBB1683_5:                             ;   in Loop: Header=BB1683_3 Depth=1
	s_or_b32 exec_lo, exec_lo, s2
	v_add_co_u32 v35, s2, v29, s12
	s_delay_alu instid0(VALU_DEP_1) | instskip(SKIP_4) | instid1(SALU_CYCLE_1)
	v_add_co_ci_u32_e64 v36, null, 0, s13, s2
	s_waitcnt vmcnt(0)
	ds_store_b128 v33, v[1:4]
	v_cmp_le_i64_e32 vcc_lo, s[4:5], v[35:36]
	s_or_b32 s2, vcc_lo, s1
	s_and_saveexec_b32 s3, s2
	s_delay_alu instid0(SALU_CYCLE_1)
	s_xor_b32 s2, exec_lo, s3
	s_cbranch_execz .LBB1683_7
; %bb.6:                                ;   in Loop: Header=BB1683_3 Depth=1
	v_mov_b32_e32 v1, v0
	v_mov_b32_e32 v2, v0
	;; [unrolled: 1-line block ×3, first 2 shown]
	ds_store_b128 v34, v[0:3]
.LBB1683_7:                             ;   in Loop: Header=BB1683_3 Depth=1
	s_and_not1_saveexec_b32 s2, s2
	s_cbranch_execz .LBB1683_2
; %bb.8:                                ;   in Loop: Header=BB1683_3 Depth=1
	global_load_b128 v[1:4], v[9:10], off
	s_waitcnt vmcnt(0)
	ds_store_2addr_b64 v34, v[1:2], v[3:4] offset1:1
	s_branch .LBB1683_2
.LBB1683_9:
	v_add_nc_u32_e32 v4, s14, v28
	s_delay_alu instid0(VALU_DEP_1)
	v_ashrrev_i32_e32 v0, 31, v4
	v_mul_lo_u32 v3, v4, s19
	v_mad_u64_u32 v[1:2], null, v4, s18, 0
	s_waitcnt lgkmcnt(0)
	v_cmp_gt_i32_e32 vcc_lo, s15, v4
	v_mul_lo_u32 v0, v0, s18
	s_delay_alu instid0(VALU_DEP_1) | instskip(SKIP_1) | instid1(VALU_DEP_2)
	v_add3_u32 v2, v2, v3, v0
	v_add_nc_u32_e32 v0, s24, v27
	v_lshlrev_b64 v[1:2], 4, v[1:2]
	s_delay_alu instid0(VALU_DEP_2) | instskip(NEXT) | instid1(VALU_DEP_1)
	v_cmp_le_i32_e64 s0, v0, v4
	s_and_b32 s0, vcc_lo, s0
	s_delay_alu instid0(VALU_DEP_2) | instskip(NEXT) | instid1(VALU_DEP_1)
	v_add_co_u32 v5, s1, s16, v1
	v_add_co_ci_u32_e64 v6, s1, s17, v2, s1
	s_and_saveexec_b32 s1, s0
	s_cbranch_execz .LBB1683_11
; %bb.10:
	v_mul_f64 v[1:2], s[8:9], v[25:26]
	v_mul_f64 v[9:10], s[6:7], v[25:26]
	s_delay_alu instid0(VALU_DEP_2) | instskip(NEXT) | instid1(VALU_DEP_2)
	v_fma_f64 v[7:8], s[6:7], v[23:24], -v[1:2]
	v_fma_f64 v[9:10], s[8:9], v[23:24], v[9:10]
	v_ashrrev_i32_e32 v1, 31, v0
	s_delay_alu instid0(VALU_DEP_1) | instskip(NEXT) | instid1(VALU_DEP_1)
	v_lshlrev_b64 v[1:2], 4, v[0:1]
	v_add_co_u32 v1, s0, v5, v1
	s_delay_alu instid0(VALU_DEP_1)
	v_add_co_ci_u32_e64 v2, s0, v6, v2, s0
	global_store_b128 v[1:2], v[7:10], off
.LBB1683_11:
	s_or_b32 exec_lo, exec_lo, s1
	v_add_nc_u32_e32 v2, 16, v0
	s_delay_alu instid0(VALU_DEP_1) | instskip(NEXT) | instid1(VALU_DEP_1)
	v_cmp_le_i32_e64 s0, v2, v4
	s_and_b32 s1, vcc_lo, s0
	s_delay_alu instid0(SALU_CYCLE_1)
	s_and_saveexec_b32 s0, s1
	s_cbranch_execz .LBB1683_13
; %bb.12:
	v_mul_f64 v[7:8], s[8:9], v[21:22]
	v_mul_f64 v[9:10], s[6:7], v[21:22]
	v_ashrrev_i32_e32 v3, 31, v2
	s_delay_alu instid0(VALU_DEP_3) | instskip(NEXT) | instid1(VALU_DEP_3)
	v_fma_f64 v[7:8], s[6:7], v[19:20], -v[7:8]
	v_fma_f64 v[9:10], s[8:9], v[19:20], v[9:10]
	s_delay_alu instid0(VALU_DEP_3) | instskip(NEXT) | instid1(VALU_DEP_1)
	v_lshlrev_b64 v[19:20], 4, v[2:3]
	v_add_co_u32 v5, vcc_lo, v5, v19
	s_delay_alu instid0(VALU_DEP_2)
	v_add_co_ci_u32_e32 v6, vcc_lo, v6, v20, vcc_lo
	global_store_b128 v[5:6], v[7:10], off
.LBB1683_13:
	s_or_b32 exec_lo, exec_lo, s0
	v_add_nc_u32_e32 v3, 16, v4
	s_delay_alu instid0(VALU_DEP_1) | instskip(SKIP_3) | instid1(VALU_DEP_4)
	v_ashrrev_i32_e32 v1, 31, v3
	v_mul_lo_u32 v6, v3, s19
	v_mad_u64_u32 v[4:5], null, v3, s18, 0
	v_cmp_gt_i32_e32 vcc_lo, s15, v3
	v_mul_lo_u32 v1, v1, s18
	v_cmp_le_i32_e64 s0, v0, v3
	s_delay_alu instid0(VALU_DEP_1) | instskip(NEXT) | instid1(VALU_DEP_2)
	s_and_b32 s0, vcc_lo, s0
	v_add3_u32 v5, v5, v6, v1
	s_delay_alu instid0(VALU_DEP_1) | instskip(NEXT) | instid1(VALU_DEP_1)
	v_lshlrev_b64 v[4:5], 4, v[4:5]
	v_add_co_u32 v4, s1, s16, v4
	s_delay_alu instid0(VALU_DEP_1)
	v_add_co_ci_u32_e64 v5, s1, s17, v5, s1
	s_and_saveexec_b32 s1, s0
	s_cbranch_execz .LBB1683_15
; %bb.14:
	v_mul_f64 v[6:7], s[8:9], v[17:18]
	v_mul_f64 v[8:9], s[6:7], v[17:18]
	v_ashrrev_i32_e32 v1, 31, v0
	s_delay_alu instid0(VALU_DEP_1) | instskip(NEXT) | instid1(VALU_DEP_1)
	v_lshlrev_b64 v[0:1], 4, v[0:1]
	v_add_co_u32 v0, s0, v4, v0
	s_delay_alu instid0(VALU_DEP_1)
	v_add_co_ci_u32_e64 v1, s0, v5, v1, s0
	v_fma_f64 v[6:7], s[6:7], v[15:16], -v[6:7]
	v_fma_f64 v[8:9], s[8:9], v[15:16], v[8:9]
	global_store_b128 v[0:1], v[6:9], off
.LBB1683_15:
	s_or_b32 exec_lo, exec_lo, s1
	v_cmp_le_i32_e64 s0, v2, v3
	s_delay_alu instid0(VALU_DEP_1) | instskip(NEXT) | instid1(SALU_CYCLE_1)
	s_and_b32 s0, vcc_lo, s0
	s_and_saveexec_b32 s1, s0
	s_cbranch_execz .LBB1683_17
; %bb.16:
	v_mul_f64 v[0:1], s[8:9], v[13:14]
	v_mul_f64 v[8:9], s[6:7], v[13:14]
	v_ashrrev_i32_e32 v3, 31, v2
	s_delay_alu instid0(VALU_DEP_3) | instskip(NEXT) | instid1(VALU_DEP_3)
	v_fma_f64 v[6:7], s[6:7], v[11:12], -v[0:1]
	v_fma_f64 v[8:9], s[8:9], v[11:12], v[8:9]
	s_delay_alu instid0(VALU_DEP_3) | instskip(NEXT) | instid1(VALU_DEP_1)
	v_lshlrev_b64 v[0:1], 4, v[2:3]
	v_add_co_u32 v0, vcc_lo, v4, v0
	s_delay_alu instid0(VALU_DEP_2)
	v_add_co_ci_u32_e32 v1, vcc_lo, v5, v1, vcc_lo
	global_store_b128 v[0:1], v[6:9], off
.LBB1683_17:
	s_nop 0
	s_sendmsg sendmsg(MSG_DEALLOC_VGPRS)
	s_endpgm
	.section	.rodata,"a",@progbits
	.p2align	6, 0x0
	.amdhsa_kernel _ZL34rocblas_syrkx_herkx_general_kernelIl19rocblas_complex_numIdELi16ELi32ELi8ELb1ELb0ELc67ELc85EKPKS1_KPS1_EviT_T0_PT8_S7_lSA_S7_lS8_PT9_S7_li
		.amdhsa_group_segment_fixed_size 8192
		.amdhsa_private_segment_fixed_size 0
		.amdhsa_kernarg_size 124
		.amdhsa_user_sgpr_count 13
		.amdhsa_user_sgpr_dispatch_ptr 0
		.amdhsa_user_sgpr_queue_ptr 0
		.amdhsa_user_sgpr_kernarg_segment_ptr 1
		.amdhsa_user_sgpr_dispatch_id 0
		.amdhsa_user_sgpr_private_segment_size 0
		.amdhsa_wavefront_size32 1
		.amdhsa_uses_dynamic_stack 0
		.amdhsa_enable_private_segment 0
		.amdhsa_system_sgpr_workgroup_id_x 1
		.amdhsa_system_sgpr_workgroup_id_y 1
		.amdhsa_system_sgpr_workgroup_id_z 1
		.amdhsa_system_sgpr_workgroup_info 0
		.amdhsa_system_vgpr_workitem_id 1
		.amdhsa_next_free_vgpr 121
		.amdhsa_next_free_sgpr 28
		.amdhsa_reserve_vcc 1
		.amdhsa_float_round_mode_32 0
		.amdhsa_float_round_mode_16_64 0
		.amdhsa_float_denorm_mode_32 3
		.amdhsa_float_denorm_mode_16_64 3
		.amdhsa_dx10_clamp 1
		.amdhsa_ieee_mode 1
		.amdhsa_fp16_overflow 0
		.amdhsa_workgroup_processor_mode 1
		.amdhsa_memory_ordered 1
		.amdhsa_forward_progress 0
		.amdhsa_shared_vgpr_count 0
		.amdhsa_exception_fp_ieee_invalid_op 0
		.amdhsa_exception_fp_denorm_src 0
		.amdhsa_exception_fp_ieee_div_zero 0
		.amdhsa_exception_fp_ieee_overflow 0
		.amdhsa_exception_fp_ieee_underflow 0
		.amdhsa_exception_fp_ieee_inexact 0
		.amdhsa_exception_int_div_zero 0
	.end_amdhsa_kernel
	.section	.text._ZL34rocblas_syrkx_herkx_general_kernelIl19rocblas_complex_numIdELi16ELi32ELi8ELb1ELb0ELc67ELc85EKPKS1_KPS1_EviT_T0_PT8_S7_lSA_S7_lS8_PT9_S7_li,"axG",@progbits,_ZL34rocblas_syrkx_herkx_general_kernelIl19rocblas_complex_numIdELi16ELi32ELi8ELb1ELb0ELc67ELc85EKPKS1_KPS1_EviT_T0_PT8_S7_lSA_S7_lS8_PT9_S7_li,comdat
.Lfunc_end1683:
	.size	_ZL34rocblas_syrkx_herkx_general_kernelIl19rocblas_complex_numIdELi16ELi32ELi8ELb1ELb0ELc67ELc85EKPKS1_KPS1_EviT_T0_PT8_S7_lSA_S7_lS8_PT9_S7_li, .Lfunc_end1683-_ZL34rocblas_syrkx_herkx_general_kernelIl19rocblas_complex_numIdELi16ELi32ELi8ELb1ELb0ELc67ELc85EKPKS1_KPS1_EviT_T0_PT8_S7_lSA_S7_lS8_PT9_S7_li
                                        ; -- End function
	.section	.AMDGPU.csdata,"",@progbits
; Kernel info:
; codeLenInByte = 3332
; NumSgprs: 30
; NumVgprs: 121
; ScratchSize: 0
; MemoryBound: 1
; FloatMode: 240
; IeeeMode: 1
; LDSByteSize: 8192 bytes/workgroup (compile time only)
; SGPRBlocks: 3
; VGPRBlocks: 15
; NumSGPRsForWavesPerEU: 30
; NumVGPRsForWavesPerEU: 121
; Occupancy: 10
; WaveLimiterHint : 1
; COMPUTE_PGM_RSRC2:SCRATCH_EN: 0
; COMPUTE_PGM_RSRC2:USER_SGPR: 13
; COMPUTE_PGM_RSRC2:TRAP_HANDLER: 0
; COMPUTE_PGM_RSRC2:TGID_X_EN: 1
; COMPUTE_PGM_RSRC2:TGID_Y_EN: 1
; COMPUTE_PGM_RSRC2:TGID_Z_EN: 1
; COMPUTE_PGM_RSRC2:TIDIG_COMP_CNT: 1
	.section	.text._ZL34rocblas_syrkx_herkx_general_kernelIl19rocblas_complex_numIdELi16ELi32ELi8ELb1ELb0ELc78ELc85EKPKS1_KPS1_EviT_T0_PT8_S7_lSA_S7_lS8_PT9_S7_li,"axG",@progbits,_ZL34rocblas_syrkx_herkx_general_kernelIl19rocblas_complex_numIdELi16ELi32ELi8ELb1ELb0ELc78ELc85EKPKS1_KPS1_EviT_T0_PT8_S7_lSA_S7_lS8_PT9_S7_li,comdat
	.globl	_ZL34rocblas_syrkx_herkx_general_kernelIl19rocblas_complex_numIdELi16ELi32ELi8ELb1ELb0ELc78ELc85EKPKS1_KPS1_EviT_T0_PT8_S7_lSA_S7_lS8_PT9_S7_li ; -- Begin function _ZL34rocblas_syrkx_herkx_general_kernelIl19rocblas_complex_numIdELi16ELi32ELi8ELb1ELb0ELc78ELc85EKPKS1_KPS1_EviT_T0_PT8_S7_lSA_S7_lS8_PT9_S7_li
	.p2align	8
	.type	_ZL34rocblas_syrkx_herkx_general_kernelIl19rocblas_complex_numIdELi16ELi32ELi8ELb1ELb0ELc78ELc85EKPKS1_KPS1_EviT_T0_PT8_S7_lSA_S7_lS8_PT9_S7_li,@function
_ZL34rocblas_syrkx_herkx_general_kernelIl19rocblas_complex_numIdELi16ELi32ELi8ELb1ELb0ELc78ELc85EKPKS1_KPS1_EviT_T0_PT8_S7_lSA_S7_lS8_PT9_S7_li: ; @_ZL34rocblas_syrkx_herkx_general_kernelIl19rocblas_complex_numIdELi16ELi32ELi8ELb1ELb0ELc78ELc85EKPKS1_KPS1_EviT_T0_PT8_S7_lSA_S7_lS8_PT9_S7_li
; %bb.0:
	s_clause 0x1
	s_load_b128 s[16:19], s[0:1], 0x60
	s_load_b256 s[4:11], s[0:1], 0x8
	s_mov_b32 s2, s15
	s_mov_b32 s3, 0
	s_load_b64 s[20:21], s[0:1], 0x28
	s_lshl_b64 s[22:23], s[2:3], 3
	v_mov_b32_e32 v21, 0
	v_dual_mov_b32 v22, 0 :: v_dual_and_b32 v25, 0x3ff, v0
	v_bfe_u32 v26, v0, 10, 10
	s_delay_alu instid0(VALU_DEP_3) | instskip(NEXT) | instid1(VALU_DEP_3)
	v_mov_b32_e32 v17, v21
	v_dual_mov_b32 v19, v21 :: v_dual_mov_b32 v20, v22
	v_dual_mov_b32 v24, v22 :: v_dual_mov_b32 v23, v21
	;; [unrolled: 1-line block ×4, first 2 shown]
	v_mov_b32_e32 v16, v22
	s_waitcnt lgkmcnt(0)
	s_add_u32 s2, s16, s22
	s_addc_u32 s3, s17, s23
	s_load_b32 s15, s[0:1], 0x0
	s_load_b64 s[16:17], s[2:3], 0x0
	v_cmp_lt_i64_e64 s2, s[4:5], 1
	v_dual_mov_b32 v11, v21 :: v_dual_mov_b32 v12, v22
	v_dual_mov_b32 v9, v21 :: v_dual_mov_b32 v10, v22
	s_lshl_b32 s24, s13, 5
	s_lshl_b32 s14, s14, 5
	s_delay_alu instid0(VALU_DEP_3)
	s_and_b32 vcc_lo, exec_lo, s2
	s_mov_b64 s[12:13], 0
	s_cbranch_vccnz .LBB1684_9
; %bb.1:
	s_load_b128 s[0:3], s[0:1], 0x38
	v_lshl_add_u32 v1, v26, 4, v25
	v_dual_mov_b32 v0, 0 :: v_dual_and_b32 v27, 7, v25
	v_dual_mov_b32 v9, 0 :: v_dual_lshlrev_b32 v28, 4, v25
	s_delay_alu instid0(VALU_DEP_3) | instskip(SKIP_3) | instid1(VALU_DEP_4)
	v_lshrrev_b32_e32 v30, 5, v1
	v_dual_mov_b32 v10, 0 :: v_dual_and_b32 v7, 31, v1
	v_lshrrev_b32_e32 v2, 3, v1
	v_lshlrev_b32_e32 v8, 4, v27
	v_mad_u64_u32 v[5:6], null, s20, v30, 0
	s_delay_alu instid0(VALU_DEP_4)
	v_or_b32_e32 v11, s24, v7
	v_lshlrev_b32_e32 v12, 4, v7
	v_dual_mov_b32 v20, v10 :: v_dual_add_nc_u32 v7, s24, v7
	v_mov_b32_e32 v18, v10
	s_waitcnt lgkmcnt(0)
	v_cmp_gt_i32_e32 vcc_lo, s15, v11
	v_lshl_or_b32 v31, v30, 9, v12
	v_mad_u64_u32 v[3:4], null, s2, v27, 0
	s_add_u32 s0, s0, s22
	s_addc_u32 s1, s1, s23
	s_add_u32 s10, s10, s22
	s_load_b64 s[26:27], s[0:1], 0x0
	s_addc_u32 s11, s11, s23
	v_mov_b32_e32 v24, v10
	s_delay_alu instid0(VALU_DEP_2)
	v_mad_u64_u32 v[11:12], null, s3, v27, v[4:5]
	v_mad_u64_u32 v[12:13], null, s21, v30, v[6:7]
	v_add_nc_u32_e32 v1, s14, v2
	s_load_b64 s[10:11], s[10:11], 0x0
	v_mov_b32_e32 v22, v10
	v_lshl_add_u32 v29, v26, 7, 0x1000
	v_mov_b32_e32 v4, v11
	v_cmp_gt_i32_e64 s0, s15, v1
	v_mov_b32_e32 v6, v12
	v_dual_mov_b32 v12, v10 :: v_dual_mov_b32 v19, v9
	v_mov_b32_e32 v11, v9
	v_lshl_or_b32 v15, v2, 7, v8
	v_ashrrev_i32_e32 v2, 31, v1
	v_ashrrev_i32_e32 v8, 31, v7
	v_mov_b32_e32 v17, v9
	s_delay_alu instid0(VALU_DEP_4) | instskip(NEXT) | instid1(VALU_DEP_4)
	v_dual_mov_b32 v21, v9 :: v_dual_add_nc_u32 v32, 0x1000, v15
	v_lshlrev_b64 v[13:14], 4, v[1:2]
	v_lshlrev_b64 v[2:3], 4, v[3:4]
	v_lshlrev_b64 v[7:8], 4, v[7:8]
	v_lshlrev_b64 v[4:5], 4, v[5:6]
	v_dual_mov_b32 v16, v10 :: v_dual_mov_b32 v15, v9
	v_mov_b32_e32 v23, v9
	v_add_co_u32 v1, s1, v2, v13
	s_delay_alu instid0(VALU_DEP_1) | instskip(SKIP_1) | instid1(VALU_DEP_1)
	v_add_co_ci_u32_e64 v2, s1, v3, v14, s1
	v_add_co_u32 v3, s1, v4, v7
	v_add_co_ci_u32_e64 v4, s1, v5, v8, s1
	s_waitcnt lgkmcnt(0)
	v_add_co_u32 v1, s1, v1, s26
	s_delay_alu instid0(VALU_DEP_1) | instskip(SKIP_1) | instid1(VALU_DEP_1)
	v_add_co_ci_u32_e64 v2, s1, s27, v2, s1
	v_add_co_u32 v5, s1, s10, v3
	v_add_co_ci_u32_e64 v6, s1, s11, v4, s1
	s_delay_alu instid0(VALU_DEP_4)
	v_add_co_u32 v7, s1, v1, 8
	v_mov_b32_e32 v14, v10
	v_add_co_ci_u32_e64 v8, s1, 0, v2, s1
	v_mov_b32_e32 v13, v9
	s_lshl_b64 s[10:11], s[20:21], 7
	s_lshl_b64 s[2:3], s[2:3], 7
	s_xor_b32 s1, vcc_lo, -1
	s_branch .LBB1684_3
.LBB1684_2:                             ;   in Loop: Header=BB1684_3 Depth=1
	s_or_b32 exec_lo, exec_lo, s20
	s_waitcnt vmcnt(0)
	ds_store_b128 v32, v[1:4]
	s_waitcnt lgkmcnt(0)
	s_barrier
	buffer_gl0_inv
	ds_load_b128 v[1:4], v29
	ds_load_b128 v[33:36], v28
	ds_load_b128 v[37:40], v28 offset:256
	ds_load_b128 v[41:44], v29 offset:2048
	;; [unrolled: 1-line block ×9, first 2 shown]
	s_add_u32 s12, s12, 8
	s_addc_u32 s13, s13, 0
	v_add_co_u32 v5, vcc_lo, v5, s10
	v_cmp_ge_i64_e64 s20, s[12:13], s[4:5]
	v_add_co_ci_u32_e32 v6, vcc_lo, s11, v6, vcc_lo
	v_add_co_u32 v7, vcc_lo, v7, s2
	v_add_co_ci_u32_e32 v8, vcc_lo, s3, v8, vcc_lo
	s_delay_alu instid0(VALU_DEP_4)
	s_and_b32 vcc_lo, exec_lo, s20
	s_waitcnt lgkmcnt(9)
	v_mul_f64 v[73:74], v[3:4], v[35:36]
	v_mul_f64 v[75:76], v[1:2], v[35:36]
	s_waitcnt lgkmcnt(8)
	v_mul_f64 v[77:78], v[3:4], v[39:40]
	v_mul_f64 v[79:80], v[1:2], v[39:40]
	;; [unrolled: 3-line block ×3, first 2 shown]
	v_mul_f64 v[83:84], v[43:44], v[39:40]
	v_mul_f64 v[39:40], v[41:42], v[39:40]
	s_waitcnt lgkmcnt(4)
	v_mul_f64 v[85:86], v[47:48], v[55:56]
	v_mul_f64 v[87:88], v[45:46], v[55:56]
	s_waitcnt lgkmcnt(3)
	v_mul_f64 v[89:90], v[47:48], v[59:60]
	v_mul_f64 v[91:92], v[45:46], v[59:60]
	;; [unrolled: 1-line block ×6, first 2 shown]
	v_fma_f64 v[97:98], v[1:2], v[33:34], -v[73:74]
	v_fma_f64 v[99:100], v[3:4], v[33:34], v[75:76]
	ds_load_b128 v[73:76], v29 offset:32
	v_fma_f64 v[77:78], v[1:2], v[37:38], -v[77:78]
	v_fma_f64 v[79:80], v[3:4], v[37:38], v[79:80]
	v_fma_f64 v[81:82], v[41:42], v[33:34], -v[81:82]
	v_fma_f64 v[101:102], v[43:44], v[33:34], v[35:36]
	;; [unrolled: 2-line block ×3, first 2 shown]
	s_waitcnt lgkmcnt(1)
	v_mul_f64 v[113:114], v[71:72], v[63:64]
	v_fma_f64 v[85:86], v[45:46], v[53:54], -v[85:86]
	v_fma_f64 v[87:88], v[47:48], v[53:54], v[87:88]
	v_fma_f64 v[45:46], v[45:46], v[57:58], -v[89:90]
	v_fma_f64 v[47:48], v[47:48], v[57:58], v[91:92]
	v_mul_f64 v[89:90], v[71:72], v[67:68]
	v_fma_f64 v[91:92], v[49:50], v[53:54], -v[93:94]
	v_fma_f64 v[53:54], v[51:52], v[53:54], v[55:56]
	v_fma_f64 v[49:50], v[49:50], v[57:58], -v[95:96]
	v_fma_f64 v[51:52], v[51:52], v[57:58], v[59:60]
	ds_load_b128 v[1:4], v29 offset:48
	ds_load_b128 v[33:36], v29 offset:2096
	ds_load_b128 v[37:40], v28 offset:1536
	ds_load_b128 v[41:44], v28 offset:1792
	s_waitcnt lgkmcnt(4)
	v_mul_f64 v[105:106], v[75:76], v[63:64]
	v_mul_f64 v[107:108], v[73:74], v[63:64]
	v_mul_f64 v[109:110], v[75:76], v[67:68]
	v_mul_f64 v[111:112], v[73:74], v[67:68]
	v_mul_f64 v[63:64], v[69:70], v[63:64]
	v_mul_f64 v[67:68], v[69:70], v[67:68]
	s_waitcnt lgkmcnt(1)
	v_mul_f64 v[93:94], v[1:2], v[39:40]
	v_add_f64 v[21:22], v[21:22], v[97:98]
	v_add_f64 v[23:24], v[23:24], v[99:100]
	;; [unrolled: 1-line block ×8, first 2 shown]
	v_mul_f64 v[83:84], v[3:4], v[39:40]
	s_waitcnt lgkmcnt(0)
	v_mul_f64 v[95:96], v[3:4], v[43:44]
	v_mul_f64 v[97:98], v[1:2], v[43:44]
	;; [unrolled: 1-line block ×6, first 2 shown]
	ds_load_b128 v[9:12], v28 offset:2048
	ds_load_b128 v[13:16], v28 offset:2304
	;; [unrolled: 1-line block ×3, first 2 shown]
	v_fma_f64 v[105:106], v[73:74], v[61:62], -v[105:106]
	v_fma_f64 v[107:108], v[75:76], v[61:62], v[107:108]
	v_fma_f64 v[73:74], v[73:74], v[65:66], -v[109:110]
	v_fma_f64 v[75:76], v[75:76], v[65:66], v[111:112]
	;; [unrolled: 2-line block ×4, first 2 shown]
	s_waitcnt lgkmcnt(0)
	v_mul_f64 v[113:114], v[19:20], v[11:12]
	v_mul_f64 v[115:116], v[19:20], v[15:16]
	v_fma_f64 v[93:94], v[3:4], v[37:38], v[93:94]
	v_add_f64 v[67:68], v[21:22], v[85:86]
	v_add_f64 v[69:70], v[23:24], v[87:88]
	;; [unrolled: 1-line block ×8, first 2 shown]
	ds_load_b128 v[21:24], v29 offset:64
	v_fma_f64 v[83:84], v[1:2], v[37:38], -v[83:84]
	v_fma_f64 v[95:96], v[1:2], v[41:42], -v[95:96]
	v_fma_f64 v[97:98], v[3:4], v[41:42], v[97:98]
	v_fma_f64 v[99:100], v[33:34], v[37:38], -v[99:100]
	v_fma_f64 v[117:118], v[35:36], v[37:38], v[39:40]
	;; [unrolled: 2-line block ×3, first 2 shown]
	ds_load_b128 v[43:46], v29 offset:80
	ds_load_b128 v[47:50], v29 offset:2128
	;; [unrolled: 1-line block ×7, first 2 shown]
	s_waitcnt lgkmcnt(7)
	v_mul_f64 v[87:88], v[23:24], v[11:12]
	v_mul_f64 v[89:90], v[21:22], v[11:12]
	;; [unrolled: 1-line block ×6, first 2 shown]
	s_waitcnt lgkmcnt(3)
	v_mul_f64 v[103:104], v[49:50], v[57:58]
	v_add_f64 v[67:68], v[67:68], v[105:106]
	v_add_f64 v[69:70], v[69:70], v[107:108]
	;; [unrolled: 1-line block ×8, first 2 shown]
	v_mul_f64 v[75:76], v[45:46], v[53:54]
	v_mul_f64 v[77:78], v[43:44], v[53:54]
	;; [unrolled: 1-line block ×7, first 2 shown]
	v_fma_f64 v[109:110], v[17:18], v[9:10], -v[113:114]
	v_fma_f64 v[113:114], v[17:18], v[13:14], -v[115:116]
	;; [unrolled: 1-line block ×3, first 2 shown]
	v_fma_f64 v[89:90], v[23:24], v[9:10], v[89:90]
	v_fma_f64 v[91:92], v[21:22], v[13:14], -v[91:92]
	v_fma_f64 v[107:108], v[23:24], v[13:14], v[111:112]
	v_fma_f64 v[111:112], v[19:20], v[9:10], v[11:12]
	;; [unrolled: 1-line block ×3, first 2 shown]
	ds_load_b128 v[9:12], v29 offset:96
	v_add_f64 v[67:68], v[67:68], v[83:84]
	v_add_f64 v[69:70], v[69:70], v[93:94]
	v_add_f64 v[71:72], v[71:72], v[95:96]
	v_add_f64 v[73:74], v[73:74], v[97:98]
	v_add_f64 v[83:84], v[59:60], v[99:100]
	v_add_f64 v[61:62], v[61:62], v[117:118]
	v_add_f64 v[63:64], v[63:64], v[101:102]
	v_add_f64 v[41:42], v[65:66], v[41:42]
	s_waitcnt lgkmcnt(1)
	v_mul_f64 v[99:100], v[39:40], v[3:4]
	v_fma_f64 v[75:76], v[43:44], v[51:52], -v[75:76]
	v_fma_f64 v[77:78], v[45:46], v[51:52], v[77:78]
	v_fma_f64 v[43:44], v[43:44], v[55:56], -v[79:80]
	v_fma_f64 v[45:46], v[45:46], v[55:56], v[81:82]
	v_mul_f64 v[79:80], v[39:40], v[35:36]
	v_fma_f64 v[81:82], v[47:48], v[51:52], -v[85:86]
	v_fma_f64 v[51:52], v[49:50], v[51:52], v[53:54]
	s_waitcnt lgkmcnt(0)
	v_mul_f64 v[65:66], v[11:12], v[3:4]
	v_mul_f64 v[93:94], v[9:10], v[3:4]
	;; [unrolled: 1-line block ×6, first 2 shown]
	v_fma_f64 v[47:48], v[47:48], v[55:56], -v[103:104]
	v_fma_f64 v[49:50], v[49:50], v[55:56], v[105:106]
	ds_load_b128 v[13:16], v29 offset:112
	ds_load_b128 v[17:20], v29 offset:2160
	;; [unrolled: 1-line block ×4, first 2 shown]
	s_waitcnt lgkmcnt(0)
	s_barrier
	buffer_gl0_inv
	v_add_f64 v[53:54], v[67:68], v[87:88]
	v_add_f64 v[55:56], v[69:70], v[89:90]
	;; [unrolled: 1-line block ×8, first 2 shown]
	v_mul_f64 v[73:74], v[15:16], v[23:24]
	v_mul_f64 v[83:84], v[13:14], v[23:24]
	v_mul_f64 v[85:86], v[15:16], v[59:60]
	v_mul_f64 v[87:88], v[13:14], v[59:60]
	v_mul_f64 v[89:90], v[19:20], v[23:24]
	v_mul_f64 v[23:24], v[17:18], v[23:24]
	v_mul_f64 v[91:92], v[19:20], v[59:60]
	v_mul_f64 v[59:60], v[17:18], v[59:60]
	v_fma_f64 v[65:66], v[9:10], v[1:2], -v[65:66]
	v_fma_f64 v[93:94], v[11:12], v[1:2], v[93:94]
	v_fma_f64 v[9:10], v[9:10], v[33:34], -v[95:96]
	v_fma_f64 v[11:12], v[11:12], v[33:34], v[97:98]
	;; [unrolled: 2-line block ×4, first 2 shown]
	v_add_f64 v[35:36], v[53:54], v[75:76]
	v_add_f64 v[37:38], v[55:56], v[77:78]
	;; [unrolled: 1-line block ×8, first 2 shown]
	v_fma_f64 v[49:50], v[13:14], v[21:22], -v[73:74]
	v_fma_f64 v[53:54], v[15:16], v[21:22], v[83:84]
	v_fma_f64 v[13:14], v[13:14], v[57:58], -v[85:86]
	v_fma_f64 v[15:16], v[15:16], v[57:58], v[87:88]
	;; [unrolled: 2-line block ×4, first 2 shown]
	v_add_f64 v[17:18], v[35:36], v[65:66]
	v_add_f64 v[19:20], v[37:38], v[93:94]
	;; [unrolled: 1-line block ×16, first 2 shown]
	s_cbranch_vccnz .LBB1684_9
.LBB1684_3:                             ; =>This Inner Loop Header: Depth=1
	v_add_co_u32 v1, s20, v30, s12
	s_delay_alu instid0(VALU_DEP_1) | instskip(NEXT) | instid1(VALU_DEP_1)
	v_add_co_ci_u32_e64 v2, null, 0, s13, s20
	v_cmp_le_i64_e32 vcc_lo, s[4:5], v[1:2]
	s_or_b32 s20, s1, vcc_lo
	s_delay_alu instid0(SALU_CYCLE_1) | instskip(NEXT) | instid1(SALU_CYCLE_1)
	s_and_saveexec_b32 s21, s20
	s_xor_b32 s20, exec_lo, s21
	s_cbranch_execz .LBB1684_5
; %bb.4:                                ;   in Loop: Header=BB1684_3 Depth=1
	v_mov_b32_e32 v1, v0
	v_mov_b32_e32 v2, v0
	;; [unrolled: 1-line block ×3, first 2 shown]
	ds_store_b128 v31, v[0:3]
.LBB1684_5:                             ;   in Loop: Header=BB1684_3 Depth=1
	s_and_not1_saveexec_b32 s20, s20
	s_cbranch_execz .LBB1684_7
; %bb.6:                                ;   in Loop: Header=BB1684_3 Depth=1
	global_load_b128 v[1:4], v[5:6], off
	s_waitcnt vmcnt(0)
	ds_store_2addr_b64 v31, v[1:2], v[3:4] offset1:1
.LBB1684_7:                             ;   in Loop: Header=BB1684_3 Depth=1
	s_or_b32 exec_lo, exec_lo, s20
	v_add_co_u32 v3, s20, v27, s12
	s_delay_alu instid0(VALU_DEP_1) | instskip(SKIP_2) | instid1(VALU_DEP_3)
	v_add_co_ci_u32_e64 v4, null, 0, s13, s20
	v_mov_b32_e32 v1, 0
	v_mov_b32_e32 v2, 0
	v_cmp_gt_i64_e32 vcc_lo, s[4:5], v[3:4]
	s_delay_alu instid0(VALU_DEP_2) | instskip(SKIP_1) | instid1(SALU_CYCLE_1)
	v_dual_mov_b32 v4, v2 :: v_dual_mov_b32 v3, v1
	s_and_b32 s21, vcc_lo, s0
	s_and_saveexec_b32 s20, s21
	s_cbranch_execz .LBB1684_2
; %bb.8:                                ;   in Loop: Header=BB1684_3 Depth=1
	global_load_b128 v[1:4], v[7:8], off offset:-8
	s_branch .LBB1684_2
.LBB1684_9:
	v_add_nc_u32_e32 v4, s14, v26
	s_delay_alu instid0(VALU_DEP_1)
	v_ashrrev_i32_e32 v0, 31, v4
	v_mul_lo_u32 v3, v4, s19
	v_mad_u64_u32 v[1:2], null, v4, s18, 0
	s_waitcnt lgkmcnt(0)
	v_cmp_gt_i32_e32 vcc_lo, s15, v4
	v_mul_lo_u32 v0, v0, s18
	s_delay_alu instid0(VALU_DEP_1) | instskip(SKIP_1) | instid1(VALU_DEP_2)
	v_add3_u32 v2, v2, v3, v0
	v_add_nc_u32_e32 v0, s24, v25
	v_lshlrev_b64 v[1:2], 4, v[1:2]
	s_delay_alu instid0(VALU_DEP_2) | instskip(NEXT) | instid1(VALU_DEP_1)
	v_cmp_le_i32_e64 s0, v0, v4
	s_and_b32 s0, vcc_lo, s0
	s_delay_alu instid0(VALU_DEP_2) | instskip(NEXT) | instid1(VALU_DEP_1)
	v_add_co_u32 v5, s1, s16, v1
	v_add_co_ci_u32_e64 v6, s1, s17, v2, s1
	s_and_saveexec_b32 s1, s0
	s_cbranch_execz .LBB1684_11
; %bb.10:
	v_mul_f64 v[1:2], s[8:9], v[23:24]
	v_mul_f64 v[7:8], s[6:7], v[23:24]
	s_delay_alu instid0(VALU_DEP_2) | instskip(NEXT) | instid1(VALU_DEP_2)
	v_fma_f64 v[23:24], s[6:7], v[21:22], -v[1:2]
	v_fma_f64 v[25:26], s[8:9], v[21:22], v[7:8]
	v_ashrrev_i32_e32 v1, 31, v0
	s_delay_alu instid0(VALU_DEP_1) | instskip(NEXT) | instid1(VALU_DEP_1)
	v_lshlrev_b64 v[1:2], 4, v[0:1]
	v_add_co_u32 v1, s0, v5, v1
	s_delay_alu instid0(VALU_DEP_1)
	v_add_co_ci_u32_e64 v2, s0, v6, v2, s0
	global_store_b128 v[1:2], v[23:26], off
.LBB1684_11:
	s_or_b32 exec_lo, exec_lo, s1
	v_add_nc_u32_e32 v2, 16, v0
	s_delay_alu instid0(VALU_DEP_1) | instskip(NEXT) | instid1(VALU_DEP_1)
	v_cmp_le_i32_e64 s0, v2, v4
	s_and_b32 s1, vcc_lo, s0
	s_delay_alu instid0(SALU_CYCLE_1)
	s_and_saveexec_b32 s0, s1
	s_cbranch_execz .LBB1684_13
; %bb.12:
	v_mul_f64 v[7:8], s[8:9], v[19:20]
	v_mul_f64 v[21:22], s[6:7], v[19:20]
	v_ashrrev_i32_e32 v3, 31, v2
	s_delay_alu instid0(VALU_DEP_3) | instskip(NEXT) | instid1(VALU_DEP_3)
	v_fma_f64 v[19:20], s[6:7], v[17:18], -v[7:8]
	v_fma_f64 v[21:22], s[8:9], v[17:18], v[21:22]
	s_delay_alu instid0(VALU_DEP_3) | instskip(NEXT) | instid1(VALU_DEP_1)
	v_lshlrev_b64 v[7:8], 4, v[2:3]
	v_add_co_u32 v5, vcc_lo, v5, v7
	s_delay_alu instid0(VALU_DEP_2)
	v_add_co_ci_u32_e32 v6, vcc_lo, v6, v8, vcc_lo
	global_store_b128 v[5:6], v[19:22], off
.LBB1684_13:
	s_or_b32 exec_lo, exec_lo, s0
	v_add_nc_u32_e32 v3, 16, v4
	s_delay_alu instid0(VALU_DEP_1) | instskip(SKIP_3) | instid1(VALU_DEP_4)
	v_ashrrev_i32_e32 v1, 31, v3
	v_mul_lo_u32 v6, v3, s19
	v_mad_u64_u32 v[4:5], null, v3, s18, 0
	v_cmp_gt_i32_e32 vcc_lo, s15, v3
	v_mul_lo_u32 v1, v1, s18
	v_cmp_le_i32_e64 s0, v0, v3
	s_delay_alu instid0(VALU_DEP_1) | instskip(NEXT) | instid1(VALU_DEP_2)
	s_and_b32 s0, vcc_lo, s0
	v_add3_u32 v5, v5, v6, v1
	s_delay_alu instid0(VALU_DEP_1) | instskip(NEXT) | instid1(VALU_DEP_1)
	v_lshlrev_b64 v[4:5], 4, v[4:5]
	v_add_co_u32 v4, s1, s16, v4
	s_delay_alu instid0(VALU_DEP_1)
	v_add_co_ci_u32_e64 v5, s1, s17, v5, s1
	s_and_saveexec_b32 s1, s0
	s_cbranch_execz .LBB1684_15
; %bb.14:
	v_mul_f64 v[6:7], s[8:9], v[15:16]
	v_mul_f64 v[17:18], s[6:7], v[15:16]
	v_ashrrev_i32_e32 v1, 31, v0
	s_delay_alu instid0(VALU_DEP_1) | instskip(NEXT) | instid1(VALU_DEP_1)
	v_lshlrev_b64 v[0:1], 4, v[0:1]
	v_add_co_u32 v0, s0, v4, v0
	s_delay_alu instid0(VALU_DEP_1)
	v_add_co_ci_u32_e64 v1, s0, v5, v1, s0
	v_fma_f64 v[15:16], s[6:7], v[13:14], -v[6:7]
	v_fma_f64 v[17:18], s[8:9], v[13:14], v[17:18]
	global_store_b128 v[0:1], v[15:18], off
.LBB1684_15:
	s_or_b32 exec_lo, exec_lo, s1
	v_cmp_le_i32_e64 s0, v2, v3
	s_delay_alu instid0(VALU_DEP_1) | instskip(NEXT) | instid1(SALU_CYCLE_1)
	s_and_b32 s0, vcc_lo, s0
	s_and_saveexec_b32 s1, s0
	s_cbranch_execz .LBB1684_17
; %bb.16:
	v_mul_f64 v[0:1], s[8:9], v[9:10]
	v_mul_f64 v[8:9], s[6:7], v[9:10]
	v_ashrrev_i32_e32 v3, 31, v2
	s_delay_alu instid0(VALU_DEP_3) | instskip(NEXT) | instid1(VALU_DEP_3)
	v_fma_f64 v[6:7], s[6:7], v[11:12], -v[0:1]
	v_fma_f64 v[8:9], s[8:9], v[11:12], v[8:9]
	s_delay_alu instid0(VALU_DEP_3) | instskip(NEXT) | instid1(VALU_DEP_1)
	v_lshlrev_b64 v[0:1], 4, v[2:3]
	v_add_co_u32 v0, vcc_lo, v4, v0
	s_delay_alu instid0(VALU_DEP_2)
	v_add_co_ci_u32_e32 v1, vcc_lo, v5, v1, vcc_lo
	global_store_b128 v[0:1], v[6:9], off
.LBB1684_17:
	s_nop 0
	s_sendmsg sendmsg(MSG_DEALLOC_VGPRS)
	s_endpgm
	.section	.rodata,"a",@progbits
	.p2align	6, 0x0
	.amdhsa_kernel _ZL34rocblas_syrkx_herkx_general_kernelIl19rocblas_complex_numIdELi16ELi32ELi8ELb1ELb0ELc78ELc85EKPKS1_KPS1_EviT_T0_PT8_S7_lSA_S7_lS8_PT9_S7_li
		.amdhsa_group_segment_fixed_size 8192
		.amdhsa_private_segment_fixed_size 0
		.amdhsa_kernarg_size 124
		.amdhsa_user_sgpr_count 13
		.amdhsa_user_sgpr_dispatch_ptr 0
		.amdhsa_user_sgpr_queue_ptr 0
		.amdhsa_user_sgpr_kernarg_segment_ptr 1
		.amdhsa_user_sgpr_dispatch_id 0
		.amdhsa_user_sgpr_private_segment_size 0
		.amdhsa_wavefront_size32 1
		.amdhsa_uses_dynamic_stack 0
		.amdhsa_enable_private_segment 0
		.amdhsa_system_sgpr_workgroup_id_x 1
		.amdhsa_system_sgpr_workgroup_id_y 1
		.amdhsa_system_sgpr_workgroup_id_z 1
		.amdhsa_system_sgpr_workgroup_info 0
		.amdhsa_system_vgpr_workitem_id 1
		.amdhsa_next_free_vgpr 119
		.amdhsa_next_free_sgpr 28
		.amdhsa_reserve_vcc 1
		.amdhsa_float_round_mode_32 0
		.amdhsa_float_round_mode_16_64 0
		.amdhsa_float_denorm_mode_32 3
		.amdhsa_float_denorm_mode_16_64 3
		.amdhsa_dx10_clamp 1
		.amdhsa_ieee_mode 1
		.amdhsa_fp16_overflow 0
		.amdhsa_workgroup_processor_mode 1
		.amdhsa_memory_ordered 1
		.amdhsa_forward_progress 0
		.amdhsa_shared_vgpr_count 0
		.amdhsa_exception_fp_ieee_invalid_op 0
		.amdhsa_exception_fp_denorm_src 0
		.amdhsa_exception_fp_ieee_div_zero 0
		.amdhsa_exception_fp_ieee_overflow 0
		.amdhsa_exception_fp_ieee_underflow 0
		.amdhsa_exception_fp_ieee_inexact 0
		.amdhsa_exception_int_div_zero 0
	.end_amdhsa_kernel
	.section	.text._ZL34rocblas_syrkx_herkx_general_kernelIl19rocblas_complex_numIdELi16ELi32ELi8ELb1ELb0ELc78ELc85EKPKS1_KPS1_EviT_T0_PT8_S7_lSA_S7_lS8_PT9_S7_li,"axG",@progbits,_ZL34rocblas_syrkx_herkx_general_kernelIl19rocblas_complex_numIdELi16ELi32ELi8ELb1ELb0ELc78ELc85EKPKS1_KPS1_EviT_T0_PT8_S7_lSA_S7_lS8_PT9_S7_li,comdat
.Lfunc_end1684:
	.size	_ZL34rocblas_syrkx_herkx_general_kernelIl19rocblas_complex_numIdELi16ELi32ELi8ELb1ELb0ELc78ELc85EKPKS1_KPS1_EviT_T0_PT8_S7_lSA_S7_lS8_PT9_S7_li, .Lfunc_end1684-_ZL34rocblas_syrkx_herkx_general_kernelIl19rocblas_complex_numIdELi16ELi32ELi8ELb1ELb0ELc78ELc85EKPKS1_KPS1_EviT_T0_PT8_S7_lSA_S7_lS8_PT9_S7_li
                                        ; -- End function
	.section	.AMDGPU.csdata,"",@progbits
; Kernel info:
; codeLenInByte = 3316
; NumSgprs: 30
; NumVgprs: 119
; ScratchSize: 0
; MemoryBound: 1
; FloatMode: 240
; IeeeMode: 1
; LDSByteSize: 8192 bytes/workgroup (compile time only)
; SGPRBlocks: 3
; VGPRBlocks: 14
; NumSGPRsForWavesPerEU: 30
; NumVGPRsForWavesPerEU: 119
; Occupancy: 12
; WaveLimiterHint : 1
; COMPUTE_PGM_RSRC2:SCRATCH_EN: 0
; COMPUTE_PGM_RSRC2:USER_SGPR: 13
; COMPUTE_PGM_RSRC2:TRAP_HANDLER: 0
; COMPUTE_PGM_RSRC2:TGID_X_EN: 1
; COMPUTE_PGM_RSRC2:TGID_Y_EN: 1
; COMPUTE_PGM_RSRC2:TGID_Z_EN: 1
; COMPUTE_PGM_RSRC2:TIDIG_COMP_CNT: 1
	.section	.text._ZL34rocblas_syrkx_herkx_general_kernelIl19rocblas_complex_numIdELi16ELi32ELi8ELb0ELb0ELc84ELc76EKPKS1_KPS1_EviT_T0_PT8_S7_lSA_S7_lS8_PT9_S7_li,"axG",@progbits,_ZL34rocblas_syrkx_herkx_general_kernelIl19rocblas_complex_numIdELi16ELi32ELi8ELb0ELb0ELc84ELc76EKPKS1_KPS1_EviT_T0_PT8_S7_lSA_S7_lS8_PT9_S7_li,comdat
	.globl	_ZL34rocblas_syrkx_herkx_general_kernelIl19rocblas_complex_numIdELi16ELi32ELi8ELb0ELb0ELc84ELc76EKPKS1_KPS1_EviT_T0_PT8_S7_lSA_S7_lS8_PT9_S7_li ; -- Begin function _ZL34rocblas_syrkx_herkx_general_kernelIl19rocblas_complex_numIdELi16ELi32ELi8ELb0ELb0ELc84ELc76EKPKS1_KPS1_EviT_T0_PT8_S7_lSA_S7_lS8_PT9_S7_li
	.p2align	8
	.type	_ZL34rocblas_syrkx_herkx_general_kernelIl19rocblas_complex_numIdELi16ELi32ELi8ELb0ELb0ELc84ELc76EKPKS1_KPS1_EviT_T0_PT8_S7_lSA_S7_lS8_PT9_S7_li,@function
_ZL34rocblas_syrkx_herkx_general_kernelIl19rocblas_complex_numIdELi16ELi32ELi8ELb0ELb0ELc84ELc76EKPKS1_KPS1_EviT_T0_PT8_S7_lSA_S7_lS8_PT9_S7_li: ; @_ZL34rocblas_syrkx_herkx_general_kernelIl19rocblas_complex_numIdELi16ELi32ELi8ELb0ELb0ELc84ELc76EKPKS1_KPS1_EviT_T0_PT8_S7_lSA_S7_lS8_PT9_S7_li
; %bb.0:
	s_clause 0x1
	s_load_b256 s[4:11], s[0:1], 0x50
	s_load_b256 s[16:23], s[0:1], 0x8
	s_mov_b32 s2, s15
	s_mov_b32 s3, 0
	s_load_b32 s15, s[0:1], 0x0
	s_lshl_b64 s[24:25], s[2:3], 3
	v_mov_b32_e32 v20, 0
	v_dual_mov_b32 v21, 0 :: v_dual_and_b32 v24, 0x3ff, v0
	v_bfe_u32 v25, v0, 10, 10
	s_delay_alu instid0(VALU_DEP_3) | instskip(NEXT) | instid1(VALU_DEP_3)
	v_mov_b32_e32 v16, v20
	v_dual_mov_b32 v18, v20 :: v_dual_mov_b32 v19, v21
	v_dual_mov_b32 v23, v21 :: v_dual_mov_b32 v22, v20
	;; [unrolled: 1-line block ×4, first 2 shown]
	v_mov_b32_e32 v15, v21
	s_waitcnt lgkmcnt(0)
	s_add_u32 s2, s8, s24
	s_addc_u32 s3, s9, s25
	s_load_b64 s[26:27], s[0:1], 0x28
	s_load_b64 s[8:9], s[2:3], 0x0
	v_cmp_lt_i64_e64 s2, s[16:17], 1
	v_dual_mov_b32 v8, v20 :: v_dual_mov_b32 v9, v21
	v_dual_mov_b32 v10, v20 :: v_dual_mov_b32 v11, v21
	s_lshl_b32 s28, s13, 5
	s_lshl_b32 s14, s14, 5
	s_delay_alu instid0(VALU_DEP_3)
	s_and_b32 vcc_lo, exec_lo, s2
	s_mov_b64 s[12:13], 0
	s_cbranch_vccnz .LBB1685_11
; %bb.1:
	v_lshl_add_u32 v0, v25, 4, v24
	s_load_b128 s[0:3], s[0:1], 0x38
	v_and_b32_e32 v26, 7, v24
	v_lshl_add_u32 v31, v25, 7, 0x1000
	s_delay_alu instid0(VALU_DEP_3) | instskip(SKIP_2) | instid1(VALU_DEP_3)
	v_and_b32_e32 v1, 31, v0
	v_lshrrev_b32_e32 v5, 3, v0
	v_lshrrev_b32_e32 v27, 5, v0
	v_add_nc_u32_e32 v0, s28, v1
	v_or_b32_e32 v8, s28, v1
	v_lshlrev_b32_e32 v9, 4, v1
	s_delay_alu instid0(VALU_DEP_3)
	v_ashrrev_i32_e32 v4, 31, v0
	s_waitcnt lgkmcnt(0)
	v_mul_lo_u32 v10, s27, v0
	v_mad_u64_u32 v[1:2], null, s26, v0, 0
	v_cmp_gt_i32_e32 vcc_lo, s15, v8
	v_mul_lo_u32 v11, s26, v4
	s_add_u32 s0, s0, s24
	s_addc_u32 s1, s1, s25
	s_add_u32 s22, s22, s24
	s_addc_u32 s23, s23, s25
	s_load_b64 s[24:25], s[0:1], 0x0
	s_load_b64 s[22:23], s[22:23], 0x0
	v_mov_b32_e32 v0, 0
	v_add3_u32 v2, v2, v11, v10
	v_mov_b32_e32 v10, 0
	v_dual_mov_b32 v11, 0 :: v_dual_add_nc_u32 v6, s14, v5
	v_lshlrev_b32_e32 v7, 4, v26
	v_lshl_or_b32 v28, v27, 9, v9
	s_delay_alu instid0(VALU_DEP_3) | instskip(NEXT) | instid1(VALU_DEP_4)
	v_dual_mov_b32 v8, v10 :: v_dual_mov_b32 v9, v11
	v_ashrrev_i32_e32 v3, 31, v6
	v_mul_lo_u32 v13, s3, v6
	v_lshl_or_b32 v5, v5, 7, v7
	v_lshlrev_b64 v[1:2], 4, v[1:2]
	v_lshlrev_b32_e32 v30, 4, v24
	v_mul_lo_u32 v12, s2, v3
	v_mad_u64_u32 v[3:4], null, s2, v6, 0
	v_add_nc_u32_e32 v29, 0x1000, v5
	v_lshlrev_b32_e32 v5, 4, v27
	v_cmp_gt_i32_e64 s0, s15, v6
	v_dual_mov_b32 v15, v11 :: v_dual_mov_b32 v14, v10
	v_dual_mov_b32 v19, v11 :: v_dual_mov_b32 v18, v10
	v_add3_u32 v4, v4, v12, v13
	v_dual_mov_b32 v13, v11 :: v_dual_mov_b32 v12, v10
	v_add_co_u32 v1, s1, v1, v5
	s_delay_alu instid0(VALU_DEP_3) | instskip(SKIP_3) | instid1(VALU_DEP_4)
	v_lshlrev_b64 v[3:4], 4, v[3:4]
	v_add_co_ci_u32_e64 v2, s1, 0, v2, s1
	v_dual_mov_b32 v17, v11 :: v_dual_mov_b32 v16, v10
	v_dual_mov_b32 v23, v11 :: v_dual_mov_b32 v22, v10
	v_add_co_u32 v3, s1, v3, v7
	s_delay_alu instid0(VALU_DEP_1) | instskip(SKIP_2) | instid1(VALU_DEP_1)
	v_add_co_ci_u32_e64 v7, s1, 0, v4, s1
	s_waitcnt lgkmcnt(0)
	v_add_co_u32 v4, s1, s22, v1
	v_add_co_ci_u32_e64 v5, s1, s23, v2, s1
	v_add_co_u32 v6, s1, s24, v3
	s_delay_alu instid0(VALU_DEP_1)
	v_add_co_ci_u32_e64 v7, s1, s25, v7, s1
	v_dual_mov_b32 v21, v11 :: v_dual_mov_b32 v20, v10
	s_xor_b32 s1, vcc_lo, -1
	s_xor_b32 s0, s0, -1
	s_branch .LBB1685_3
.LBB1685_2:                             ;   in Loop: Header=BB1685_3 Depth=1
	s_or_b32 exec_lo, exec_lo, s2
	s_waitcnt lgkmcnt(0)
	s_barrier
	buffer_gl0_inv
	ds_load_b128 v[32:35], v31
	ds_load_b128 v[36:39], v30
	ds_load_b128 v[40:43], v30 offset:256
	ds_load_b128 v[44:47], v31 offset:2048
	;; [unrolled: 1-line block ×9, first 2 shown]
	s_add_u32 s12, s12, 8
	s_addc_u32 s13, s13, 0
	v_add_co_u32 v4, vcc_lo, 0x80, v4
	v_cmp_ge_i64_e64 s2, s[12:13], s[16:17]
	v_add_co_ci_u32_e32 v5, vcc_lo, 0, v5, vcc_lo
	v_add_co_u32 v6, vcc_lo, 0x80, v6
	v_add_co_ci_u32_e32 v7, vcc_lo, 0, v7, vcc_lo
	s_delay_alu instid0(VALU_DEP_4)
	s_and_b32 vcc_lo, exec_lo, s2
	s_waitcnt lgkmcnt(9)
	v_mul_f64 v[1:2], v[34:35], v[38:39]
	v_mul_f64 v[76:77], v[32:33], v[38:39]
	s_waitcnt lgkmcnt(8)
	v_mul_f64 v[78:79], v[34:35], v[42:43]
	v_mul_f64 v[80:81], v[32:33], v[42:43]
	;; [unrolled: 3-line block ×3, first 2 shown]
	v_mul_f64 v[84:85], v[46:47], v[42:43]
	v_mul_f64 v[42:43], v[44:45], v[42:43]
	s_waitcnt lgkmcnt(4)
	v_mul_f64 v[86:87], v[50:51], v[58:59]
	v_mul_f64 v[88:89], v[48:49], v[58:59]
	s_waitcnt lgkmcnt(3)
	v_mul_f64 v[90:91], v[50:51], v[62:63]
	v_mul_f64 v[92:93], v[48:49], v[62:63]
	;; [unrolled: 1-line block ×6, first 2 shown]
	s_waitcnt lgkmcnt(0)
	v_mul_f64 v[114:115], v[74:75], v[66:67]
	v_mul_f64 v[116:117], v[74:75], v[70:71]
	v_fma_f64 v[1:2], v[32:33], v[36:37], -v[1:2]
	v_fma_f64 v[98:99], v[34:35], v[36:37], v[76:77]
	v_fma_f64 v[100:101], v[32:33], v[40:41], -v[78:79]
	v_fma_f64 v[80:81], v[34:35], v[40:41], v[80:81]
	;; [unrolled: 2-line block ×4, first 2 shown]
	ds_load_b128 v[76:79], v31 offset:32
	v_fma_f64 v[86:87], v[48:49], v[56:57], -v[86:87]
	v_fma_f64 v[88:89], v[50:51], v[56:57], v[88:89]
	v_fma_f64 v[48:49], v[48:49], v[60:61], -v[90:91]
	v_fma_f64 v[50:51], v[50:51], v[60:61], v[92:93]
	;; [unrolled: 2-line block ×4, first 2 shown]
	ds_load_b128 v[32:35], v31 offset:48
	ds_load_b128 v[36:39], v31 offset:2096
	;; [unrolled: 1-line block ×4, first 2 shown]
	s_waitcnt lgkmcnt(4)
	v_mul_f64 v[106:107], v[78:79], v[66:67]
	v_mul_f64 v[108:109], v[76:77], v[66:67]
	;; [unrolled: 1-line block ×6, first 2 shown]
	s_waitcnt lgkmcnt(1)
	v_mul_f64 v[92:93], v[32:33], v[42:43]
	s_waitcnt lgkmcnt(0)
	v_mul_f64 v[94:95], v[34:35], v[46:47]
	v_add_f64 v[1:2], v[20:21], v[1:2]
	v_add_f64 v[20:21], v[22:23], v[98:99]
	;; [unrolled: 1-line block ×8, first 2 shown]
	v_mul_f64 v[84:85], v[34:35], v[42:43]
	v_mul_f64 v[96:97], v[32:33], v[46:47]
	;; [unrolled: 1-line block ×6, first 2 shown]
	ds_load_b128 v[8:11], v30 offset:2048
	ds_load_b128 v[12:15], v30 offset:2304
	;; [unrolled: 1-line block ×3, first 2 shown]
	v_fma_f64 v[104:105], v[76:77], v[64:65], -v[106:107]
	v_fma_f64 v[106:107], v[78:79], v[64:65], v[108:109]
	v_fma_f64 v[76:77], v[76:77], v[68:69], -v[110:111]
	v_fma_f64 v[78:79], v[78:79], v[68:69], v[112:113]
	;; [unrolled: 2-line block ×4, first 2 shown]
	s_waitcnt lgkmcnt(0)
	v_mul_f64 v[114:115], v[18:19], v[10:11]
	v_mul_f64 v[116:117], v[18:19], v[14:15]
	v_add_f64 v[1:2], v[1:2], v[86:87]
	v_add_f64 v[70:71], v[20:21], v[88:89]
	;; [unrolled: 1-line block ×8, first 2 shown]
	ds_load_b128 v[20:23], v31 offset:64
	v_fma_f64 v[84:85], v[32:33], v[40:41], -v[84:85]
	v_fma_f64 v[92:93], v[34:35], v[40:41], v[92:93]
	v_fma_f64 v[94:95], v[32:33], v[44:45], -v[94:95]
	v_fma_f64 v[96:97], v[34:35], v[44:45], v[96:97]
	;; [unrolled: 2-line block ×4, first 2 shown]
	ds_load_b128 v[46:49], v31 offset:80
	ds_load_b128 v[50:53], v31 offset:2128
	;; [unrolled: 1-line block ×7, first 2 shown]
	s_waitcnt lgkmcnt(7)
	v_mul_f64 v[88:89], v[22:23], v[10:11]
	v_mul_f64 v[90:91], v[20:21], v[10:11]
	;; [unrolled: 1-line block ×6, first 2 shown]
	s_waitcnt lgkmcnt(3)
	v_mul_f64 v[102:103], v[52:53], v[60:61]
	v_add_f64 v[1:2], v[1:2], v[104:105]
	v_add_f64 v[70:71], v[70:71], v[106:107]
	;; [unrolled: 1-line block ×8, first 2 shown]
	v_mul_f64 v[68:69], v[48:49], v[56:57]
	v_mul_f64 v[78:79], v[46:47], v[56:57]
	;; [unrolled: 1-line block ×7, first 2 shown]
	v_fma_f64 v[88:89], v[20:21], v[8:9], -v[88:89]
	v_fma_f64 v[90:91], v[22:23], v[8:9], v[90:91]
	v_fma_f64 v[106:107], v[20:21], v[12:13], -v[110:111]
	v_fma_f64 v[108:109], v[22:23], v[12:13], v[112:113]
	;; [unrolled: 2-line block ×4, first 2 shown]
	ds_load_b128 v[8:11], v31 offset:96
	v_add_f64 v[1:2], v[1:2], v[84:85]
	v_add_f64 v[70:71], v[70:71], v[92:93]
	;; [unrolled: 1-line block ×8, first 2 shown]
	s_waitcnt lgkmcnt(1)
	v_mul_f64 v[98:99], v[42:43], v[34:35]
	v_mul_f64 v[100:101], v[42:43], v[38:39]
	v_fma_f64 v[68:69], v[46:47], v[54:55], -v[68:69]
	v_fma_f64 v[78:79], v[48:49], v[54:55], v[78:79]
	v_fma_f64 v[46:47], v[46:47], v[58:59], -v[80:81]
	v_fma_f64 v[48:49], v[48:49], v[58:59], v[82:83]
	v_fma_f64 v[80:81], v[50:51], v[54:55], -v[86:87]
	v_fma_f64 v[54:55], v[52:53], v[54:55], v[56:57]
	v_fma_f64 v[50:51], v[50:51], v[58:59], -v[102:103]
	v_fma_f64 v[52:53], v[52:53], v[58:59], v[104:105]
	s_waitcnt lgkmcnt(0)
	v_mul_f64 v[66:67], v[10:11], v[34:35]
	v_mul_f64 v[92:93], v[8:9], v[34:35]
	;; [unrolled: 1-line block ×6, first 2 shown]
	ds_load_b128 v[12:15], v31 offset:112
	ds_load_b128 v[16:19], v31 offset:2160
	;; [unrolled: 1-line block ×4, first 2 shown]
	s_waitcnt lgkmcnt(0)
	s_barrier
	buffer_gl0_inv
	v_add_f64 v[1:2], v[1:2], v[88:89]
	v_add_f64 v[56:57], v[70:71], v[90:91]
	;; [unrolled: 1-line block ×8, first 2 shown]
	v_mul_f64 v[76:77], v[14:15], v[22:23]
	v_mul_f64 v[82:83], v[12:13], v[22:23]
	;; [unrolled: 1-line block ×8, first 2 shown]
	v_fma_f64 v[66:67], v[8:9], v[32:33], -v[66:67]
	v_fma_f64 v[92:93], v[10:11], v[32:33], v[92:93]
	v_fma_f64 v[8:9], v[8:9], v[36:37], -v[94:95]
	v_fma_f64 v[10:11], v[10:11], v[36:37], v[96:97]
	;; [unrolled: 2-line block ×4, first 2 shown]
	v_add_f64 v[1:2], v[1:2], v[68:69]
	v_add_f64 v[38:39], v[56:57], v[78:79]
	v_add_f64 v[40:41], v[58:59], v[46:47]
	v_add_f64 v[42:43], v[70:71], v[48:49]
	v_add_f64 v[46:47], v[72:73], v[80:81]
	v_add_f64 v[48:49], v[74:75], v[54:55]
	v_add_f64 v[50:51], v[64:65], v[50:51]
	v_add_f64 v[44:45], v[44:45], v[52:53]
	v_fma_f64 v[52:53], v[12:13], v[20:21], -v[76:77]
	v_fma_f64 v[54:55], v[14:15], v[20:21], v[82:83]
	v_fma_f64 v[12:13], v[12:13], v[60:61], -v[84:85]
	v_fma_f64 v[14:15], v[14:15], v[60:61], v[86:87]
	;; [unrolled: 2-line block ×4, first 2 shown]
	v_add_f64 v[1:2], v[1:2], v[66:67]
	v_add_f64 v[16:17], v[38:39], v[92:93]
	;; [unrolled: 1-line block ×16, first 2 shown]
	s_cbranch_vccnz .LBB1685_11
.LBB1685_3:                             ; =>This Inner Loop Header: Depth=1
	v_add_co_u32 v1, s2, v27, s12
	s_delay_alu instid0(VALU_DEP_1) | instskip(NEXT) | instid1(VALU_DEP_1)
	v_add_co_ci_u32_e64 v2, null, 0, s13, s2
	v_cmp_le_i64_e32 vcc_lo, s[16:17], v[1:2]
	s_or_b32 s2, s1, vcc_lo
	s_delay_alu instid0(SALU_CYCLE_1) | instskip(NEXT) | instid1(SALU_CYCLE_1)
	s_and_saveexec_b32 s3, s2
	s_xor_b32 s2, exec_lo, s3
	s_cbranch_execz .LBB1685_5
; %bb.4:                                ;   in Loop: Header=BB1685_3 Depth=1
	v_mov_b32_e32 v1, v0
	v_mov_b32_e32 v2, v0
	;; [unrolled: 1-line block ×3, first 2 shown]
	ds_store_b128 v28, v[0:3]
.LBB1685_5:                             ;   in Loop: Header=BB1685_3 Depth=1
	s_and_not1_saveexec_b32 s2, s2
	s_cbranch_execz .LBB1685_7
; %bb.6:                                ;   in Loop: Header=BB1685_3 Depth=1
	global_load_b128 v[32:35], v[4:5], off
	s_waitcnt vmcnt(0)
	ds_store_2addr_b64 v28, v[32:33], v[34:35] offset1:1
.LBB1685_7:                             ;   in Loop: Header=BB1685_3 Depth=1
	s_or_b32 exec_lo, exec_lo, s2
	v_add_co_u32 v1, s2, v26, s12
	s_delay_alu instid0(VALU_DEP_1) | instskip(NEXT) | instid1(VALU_DEP_1)
	v_add_co_ci_u32_e64 v2, null, 0, s13, s2
	v_cmp_le_i64_e32 vcc_lo, s[16:17], v[1:2]
	s_or_b32 s2, vcc_lo, s0
	s_delay_alu instid0(SALU_CYCLE_1) | instskip(NEXT) | instid1(SALU_CYCLE_1)
	s_and_saveexec_b32 s3, s2
	s_xor_b32 s2, exec_lo, s3
	s_cbranch_execz .LBB1685_9
; %bb.8:                                ;   in Loop: Header=BB1685_3 Depth=1
	v_mov_b32_e32 v1, v0
	v_mov_b32_e32 v2, v0
	;; [unrolled: 1-line block ×3, first 2 shown]
	ds_store_b128 v29, v[0:3]
.LBB1685_9:                             ;   in Loop: Header=BB1685_3 Depth=1
	s_and_not1_saveexec_b32 s2, s2
	s_cbranch_execz .LBB1685_2
; %bb.10:                               ;   in Loop: Header=BB1685_3 Depth=1
	global_load_b128 v[32:35], v[6:7], off
	s_waitcnt vmcnt(0)
	ds_store_2addr_b64 v29, v[32:33], v[34:35] offset1:1
	s_branch .LBB1685_2
.LBB1685_11:
	v_add_nc_u32_e32 v4, s14, v25
	s_delay_alu instid0(VALU_DEP_1) | instskip(SKIP_2) | instid1(VALU_DEP_3)
	v_ashrrev_i32_e32 v0, 31, v4
	v_mul_lo_u32 v3, v4, s11
	v_mad_u64_u32 v[1:2], null, v4, s10, 0
	v_mul_lo_u32 v0, v0, s10
	s_delay_alu instid0(VALU_DEP_1) | instskip(SKIP_1) | instid1(VALU_DEP_2)
	v_add3_u32 v2, v2, v3, v0
	v_add_nc_u32_e32 v0, s28, v24
	v_lshlrev_b64 v[1:2], 4, v[1:2]
	s_delay_alu instid0(VALU_DEP_2) | instskip(SKIP_2) | instid1(VALU_DEP_3)
	v_cmp_le_i32_e64 s0, v4, v0
	v_cmp_gt_i32_e32 vcc_lo, s15, v0
	s_waitcnt lgkmcnt(0)
	v_add_co_u32 v5, s1, s8, v1
	s_delay_alu instid0(VALU_DEP_1) | instskip(SKIP_1) | instid1(SALU_CYCLE_1)
	v_add_co_ci_u32_e64 v6, s1, s9, v2, s1
	s_and_b32 s0, s0, vcc_lo
	s_and_saveexec_b32 s1, s0
	s_cbranch_execz .LBB1685_13
; %bb.12:
	v_ashrrev_i32_e32 v1, 31, v0
	v_mul_f64 v[28:29], s[20:21], v[22:23]
	v_mul_f64 v[22:23], s[18:19], v[22:23]
	s_delay_alu instid0(VALU_DEP_3) | instskip(NEXT) | instid1(VALU_DEP_1)
	v_lshlrev_b64 v[1:2], 4, v[0:1]
	v_add_co_u32 v1, s0, v5, v1
	s_delay_alu instid0(VALU_DEP_1)
	v_add_co_ci_u32_e64 v2, s0, v6, v2, s0
	global_load_b128 v[24:27], v[1:2], off
	v_fma_f64 v[28:29], s[18:19], v[20:21], -v[28:29]
	v_fma_f64 v[22:23], s[20:21], v[20:21], v[22:23]
	s_waitcnt vmcnt(0)
	v_mul_f64 v[30:31], s[6:7], v[26:27]
	v_mul_f64 v[26:27], s[4:5], v[26:27]
	s_delay_alu instid0(VALU_DEP_2) | instskip(NEXT) | instid1(VALU_DEP_2)
	v_fma_f64 v[20:21], s[4:5], v[24:25], -v[30:31]
	v_fma_f64 v[24:25], s[6:7], v[24:25], v[26:27]
	s_delay_alu instid0(VALU_DEP_2) | instskip(NEXT) | instid1(VALU_DEP_2)
	v_add_f64 v[20:21], v[28:29], v[20:21]
	v_add_f64 v[22:23], v[22:23], v[24:25]
	global_store_b128 v[1:2], v[20:23], off
.LBB1685_13:
	s_or_b32 exec_lo, exec_lo, s1
	v_add_nc_u32_e32 v2, 16, v0
	s_delay_alu instid0(VALU_DEP_1) | instskip(SKIP_1) | instid1(VALU_DEP_1)
	v_cmp_le_i32_e64 s1, v4, v2
	v_cmp_gt_i32_e64 s0, s15, v2
	s_and_b32 s1, s1, s0
	s_delay_alu instid0(SALU_CYCLE_1)
	s_and_saveexec_b32 s2, s1
	s_cbranch_execz .LBB1685_15
; %bb.14:
	v_ashrrev_i32_e32 v3, 31, v2
	v_mul_f64 v[24:25], s[20:21], v[18:19]
	v_mul_f64 v[18:19], s[18:19], v[18:19]
	s_delay_alu instid0(VALU_DEP_3) | instskip(NEXT) | instid1(VALU_DEP_1)
	v_lshlrev_b64 v[20:21], 4, v[2:3]
	v_add_co_u32 v5, s1, v5, v20
	s_delay_alu instid0(VALU_DEP_1)
	v_add_co_ci_u32_e64 v6, s1, v6, v21, s1
	global_load_b128 v[20:23], v[5:6], off
	v_fma_f64 v[24:25], s[18:19], v[16:17], -v[24:25]
	v_fma_f64 v[18:19], s[20:21], v[16:17], v[18:19]
	s_waitcnt vmcnt(0)
	v_mul_f64 v[26:27], s[6:7], v[22:23]
	v_mul_f64 v[22:23], s[4:5], v[22:23]
	s_delay_alu instid0(VALU_DEP_2) | instskip(NEXT) | instid1(VALU_DEP_2)
	v_fma_f64 v[16:17], s[4:5], v[20:21], -v[26:27]
	v_fma_f64 v[20:21], s[6:7], v[20:21], v[22:23]
	s_delay_alu instid0(VALU_DEP_2) | instskip(NEXT) | instid1(VALU_DEP_2)
	v_add_f64 v[16:17], v[24:25], v[16:17]
	v_add_f64 v[18:19], v[18:19], v[20:21]
	global_store_b128 v[5:6], v[16:19], off
.LBB1685_15:
	s_or_b32 exec_lo, exec_lo, s2
	v_add_nc_u32_e32 v3, 16, v4
	s_delay_alu instid0(VALU_DEP_1) | instskip(SKIP_3) | instid1(VALU_DEP_4)
	v_ashrrev_i32_e32 v1, 31, v3
	v_mul_lo_u32 v6, v3, s11
	v_mad_u64_u32 v[4:5], null, v3, s10, 0
	v_cmp_le_i32_e64 s1, v3, v0
	v_mul_lo_u32 v1, v1, s10
	s_delay_alu instid0(VALU_DEP_1) | instskip(NEXT) | instid1(VALU_DEP_1)
	v_add3_u32 v5, v5, v6, v1
	v_lshlrev_b64 v[4:5], 4, v[4:5]
	s_delay_alu instid0(VALU_DEP_1) | instskip(NEXT) | instid1(VALU_DEP_1)
	v_add_co_u32 v4, s2, s8, v4
	v_add_co_ci_u32_e64 v5, s2, s9, v5, s2
	s_and_b32 s2, s1, vcc_lo
	s_delay_alu instid0(SALU_CYCLE_1)
	s_and_saveexec_b32 s1, s2
	s_cbranch_execz .LBB1685_17
; %bb.16:
	v_ashrrev_i32_e32 v1, 31, v0
	v_mul_f64 v[6:7], s[20:21], v[14:15]
	v_mul_f64 v[14:15], s[18:19], v[14:15]
	s_delay_alu instid0(VALU_DEP_3) | instskip(NEXT) | instid1(VALU_DEP_1)
	v_lshlrev_b64 v[0:1], 4, v[0:1]
	v_add_co_u32 v0, vcc_lo, v4, v0
	s_delay_alu instid0(VALU_DEP_2)
	v_add_co_ci_u32_e32 v1, vcc_lo, v5, v1, vcc_lo
	global_load_b128 v[16:19], v[0:1], off
	v_fma_f64 v[6:7], s[18:19], v[12:13], -v[6:7]
	v_fma_f64 v[14:15], s[20:21], v[12:13], v[14:15]
	s_waitcnt vmcnt(0)
	v_mul_f64 v[20:21], s[6:7], v[18:19]
	v_mul_f64 v[18:19], s[4:5], v[18:19]
	s_delay_alu instid0(VALU_DEP_2) | instskip(NEXT) | instid1(VALU_DEP_2)
	v_fma_f64 v[12:13], s[4:5], v[16:17], -v[20:21]
	v_fma_f64 v[16:17], s[6:7], v[16:17], v[18:19]
	s_delay_alu instid0(VALU_DEP_2) | instskip(NEXT) | instid1(VALU_DEP_2)
	v_add_f64 v[12:13], v[6:7], v[12:13]
	v_add_f64 v[14:15], v[14:15], v[16:17]
	global_store_b128 v[0:1], v[12:15], off
.LBB1685_17:
	s_or_b32 exec_lo, exec_lo, s1
	v_cmp_le_i32_e32 vcc_lo, v3, v2
	s_and_b32 s0, vcc_lo, s0
	s_delay_alu instid0(SALU_CYCLE_1)
	s_and_saveexec_b32 s1, s0
	s_cbranch_execz .LBB1685_19
; %bb.18:
	v_ashrrev_i32_e32 v3, 31, v2
	v_mul_f64 v[6:7], s[20:21], v[10:11]
	v_mul_f64 v[10:11], s[18:19], v[10:11]
	s_delay_alu instid0(VALU_DEP_3) | instskip(NEXT) | instid1(VALU_DEP_1)
	v_lshlrev_b64 v[0:1], 4, v[2:3]
	v_add_co_u32 v4, vcc_lo, v4, v0
	s_delay_alu instid0(VALU_DEP_2)
	v_add_co_ci_u32_e32 v5, vcc_lo, v5, v1, vcc_lo
	global_load_b128 v[0:3], v[4:5], off
	v_fma_f64 v[6:7], s[18:19], v[8:9], -v[6:7]
	v_fma_f64 v[8:9], s[20:21], v[8:9], v[10:11]
	s_waitcnt vmcnt(0)
	v_mul_f64 v[12:13], s[6:7], v[2:3]
	v_mul_f64 v[2:3], s[4:5], v[2:3]
	s_delay_alu instid0(VALU_DEP_2) | instskip(NEXT) | instid1(VALU_DEP_2)
	v_fma_f64 v[10:11], s[4:5], v[0:1], -v[12:13]
	v_fma_f64 v[2:3], s[6:7], v[0:1], v[2:3]
	s_delay_alu instid0(VALU_DEP_2) | instskip(NEXT) | instid1(VALU_DEP_2)
	v_add_f64 v[0:1], v[6:7], v[10:11]
	v_add_f64 v[2:3], v[8:9], v[2:3]
	global_store_b128 v[4:5], v[0:3], off
.LBB1685_19:
	s_nop 0
	s_sendmsg sendmsg(MSG_DEALLOC_VGPRS)
	s_endpgm
	.section	.rodata,"a",@progbits
	.p2align	6, 0x0
	.amdhsa_kernel _ZL34rocblas_syrkx_herkx_general_kernelIl19rocblas_complex_numIdELi16ELi32ELi8ELb0ELb0ELc84ELc76EKPKS1_KPS1_EviT_T0_PT8_S7_lSA_S7_lS8_PT9_S7_li
		.amdhsa_group_segment_fixed_size 8192
		.amdhsa_private_segment_fixed_size 0
		.amdhsa_kernarg_size 124
		.amdhsa_user_sgpr_count 13
		.amdhsa_user_sgpr_dispatch_ptr 0
		.amdhsa_user_sgpr_queue_ptr 0
		.amdhsa_user_sgpr_kernarg_segment_ptr 1
		.amdhsa_user_sgpr_dispatch_id 0
		.amdhsa_user_sgpr_private_segment_size 0
		.amdhsa_wavefront_size32 1
		.amdhsa_uses_dynamic_stack 0
		.amdhsa_enable_private_segment 0
		.amdhsa_system_sgpr_workgroup_id_x 1
		.amdhsa_system_sgpr_workgroup_id_y 1
		.amdhsa_system_sgpr_workgroup_id_z 1
		.amdhsa_system_sgpr_workgroup_info 0
		.amdhsa_system_vgpr_workitem_id 1
		.amdhsa_next_free_vgpr 120
		.amdhsa_next_free_sgpr 29
		.amdhsa_reserve_vcc 1
		.amdhsa_float_round_mode_32 0
		.amdhsa_float_round_mode_16_64 0
		.amdhsa_float_denorm_mode_32 3
		.amdhsa_float_denorm_mode_16_64 3
		.amdhsa_dx10_clamp 1
		.amdhsa_ieee_mode 1
		.amdhsa_fp16_overflow 0
		.amdhsa_workgroup_processor_mode 1
		.amdhsa_memory_ordered 1
		.amdhsa_forward_progress 0
		.amdhsa_shared_vgpr_count 0
		.amdhsa_exception_fp_ieee_invalid_op 0
		.amdhsa_exception_fp_denorm_src 0
		.amdhsa_exception_fp_ieee_div_zero 0
		.amdhsa_exception_fp_ieee_overflow 0
		.amdhsa_exception_fp_ieee_underflow 0
		.amdhsa_exception_fp_ieee_inexact 0
		.amdhsa_exception_int_div_zero 0
	.end_amdhsa_kernel
	.section	.text._ZL34rocblas_syrkx_herkx_general_kernelIl19rocblas_complex_numIdELi16ELi32ELi8ELb0ELb0ELc84ELc76EKPKS1_KPS1_EviT_T0_PT8_S7_lSA_S7_lS8_PT9_S7_li,"axG",@progbits,_ZL34rocblas_syrkx_herkx_general_kernelIl19rocblas_complex_numIdELi16ELi32ELi8ELb0ELb0ELc84ELc76EKPKS1_KPS1_EviT_T0_PT8_S7_lSA_S7_lS8_PT9_S7_li,comdat
.Lfunc_end1685:
	.size	_ZL34rocblas_syrkx_herkx_general_kernelIl19rocblas_complex_numIdELi16ELi32ELi8ELb0ELb0ELc84ELc76EKPKS1_KPS1_EviT_T0_PT8_S7_lSA_S7_lS8_PT9_S7_li, .Lfunc_end1685-_ZL34rocblas_syrkx_herkx_general_kernelIl19rocblas_complex_numIdELi16ELi32ELi8ELb0ELb0ELc84ELc76EKPKS1_KPS1_EviT_T0_PT8_S7_lSA_S7_lS8_PT9_S7_li
                                        ; -- End function
	.section	.AMDGPU.csdata,"",@progbits
; Kernel info:
; codeLenInByte = 3588
; NumSgprs: 31
; NumVgprs: 120
; ScratchSize: 0
; MemoryBound: 0
; FloatMode: 240
; IeeeMode: 1
; LDSByteSize: 8192 bytes/workgroup (compile time only)
; SGPRBlocks: 3
; VGPRBlocks: 14
; NumSGPRsForWavesPerEU: 31
; NumVGPRsForWavesPerEU: 120
; Occupancy: 12
; WaveLimiterHint : 1
; COMPUTE_PGM_RSRC2:SCRATCH_EN: 0
; COMPUTE_PGM_RSRC2:USER_SGPR: 13
; COMPUTE_PGM_RSRC2:TRAP_HANDLER: 0
; COMPUTE_PGM_RSRC2:TGID_X_EN: 1
; COMPUTE_PGM_RSRC2:TGID_Y_EN: 1
; COMPUTE_PGM_RSRC2:TGID_Z_EN: 1
; COMPUTE_PGM_RSRC2:TIDIG_COMP_CNT: 1
	.section	.text._ZL34rocblas_syrkx_herkx_general_kernelIl19rocblas_complex_numIdELi16ELi32ELi8ELb0ELb0ELc67ELc76EKPKS1_KPS1_EviT_T0_PT8_S7_lSA_S7_lS8_PT9_S7_li,"axG",@progbits,_ZL34rocblas_syrkx_herkx_general_kernelIl19rocblas_complex_numIdELi16ELi32ELi8ELb0ELb0ELc67ELc76EKPKS1_KPS1_EviT_T0_PT8_S7_lSA_S7_lS8_PT9_S7_li,comdat
	.globl	_ZL34rocblas_syrkx_herkx_general_kernelIl19rocblas_complex_numIdELi16ELi32ELi8ELb0ELb0ELc67ELc76EKPKS1_KPS1_EviT_T0_PT8_S7_lSA_S7_lS8_PT9_S7_li ; -- Begin function _ZL34rocblas_syrkx_herkx_general_kernelIl19rocblas_complex_numIdELi16ELi32ELi8ELb0ELb0ELc67ELc76EKPKS1_KPS1_EviT_T0_PT8_S7_lSA_S7_lS8_PT9_S7_li
	.p2align	8
	.type	_ZL34rocblas_syrkx_herkx_general_kernelIl19rocblas_complex_numIdELi16ELi32ELi8ELb0ELb0ELc67ELc76EKPKS1_KPS1_EviT_T0_PT8_S7_lSA_S7_lS8_PT9_S7_li,@function
_ZL34rocblas_syrkx_herkx_general_kernelIl19rocblas_complex_numIdELi16ELi32ELi8ELb0ELb0ELc67ELc76EKPKS1_KPS1_EviT_T0_PT8_S7_lSA_S7_lS8_PT9_S7_li: ; @_ZL34rocblas_syrkx_herkx_general_kernelIl19rocblas_complex_numIdELi16ELi32ELi8ELb0ELb0ELc67ELc76EKPKS1_KPS1_EviT_T0_PT8_S7_lSA_S7_lS8_PT9_S7_li
; %bb.0:
	s_clause 0x1
	s_load_b256 s[4:11], s[0:1], 0x50
	s_load_b256 s[16:23], s[0:1], 0x8
	s_mov_b32 s2, s15
	s_mov_b32 s3, 0
	s_load_b32 s15, s[0:1], 0x0
	s_lshl_b64 s[24:25], s[2:3], 3
	v_mov_b32_e32 v23, 0
	v_dual_mov_b32 v24, 0 :: v_dual_and_b32 v27, 0x3ff, v0
	v_bfe_u32 v28, v0, 10, 10
	s_delay_alu instid0(VALU_DEP_3) | instskip(NEXT) | instid1(VALU_DEP_3)
	v_mov_b32_e32 v19, v23
	v_dual_mov_b32 v21, v23 :: v_dual_mov_b32 v22, v24
	v_dual_mov_b32 v26, v24 :: v_dual_mov_b32 v25, v23
	v_dual_mov_b32 v20, v24 :: v_dual_mov_b32 v15, v23
	v_dual_mov_b32 v16, v24 :: v_dual_mov_b32 v17, v23
	v_mov_b32_e32 v18, v24
	s_waitcnt lgkmcnt(0)
	s_add_u32 s2, s8, s24
	s_addc_u32 s3, s9, s25
	s_load_b64 s[26:27], s[0:1], 0x28
	s_load_b64 s[8:9], s[2:3], 0x0
	v_cmp_lt_i64_e64 s2, s[16:17], 1
	v_dual_mov_b32 v11, v23 :: v_dual_mov_b32 v12, v24
	v_dual_mov_b32 v13, v23 :: v_dual_mov_b32 v14, v24
	s_lshl_b32 s28, s13, 5
	s_lshl_b32 s14, s14, 5
	s_delay_alu instid0(VALU_DEP_3)
	s_and_b32 vcc_lo, exec_lo, s2
	s_mov_b64 s[12:13], 0
	s_cbranch_vccnz .LBB1686_9
; %bb.1:
	s_load_b128 s[0:3], s[0:1], 0x38
	v_lshl_add_u32 v1, v28, 4, v27
	v_dual_mov_b32 v0, 0 :: v_dual_and_b32 v29, 7, v27
	v_lshl_add_u32 v31, v28, 7, 0x1000
	s_delay_alu instid0(VALU_DEP_3) | instskip(SKIP_3) | instid1(VALU_DEP_4)
	v_and_b32_e32 v2, 31, v1
	v_lshrrev_b32_e32 v3, 3, v1
	v_lshrrev_b32_e32 v32, 5, v1
	v_lshlrev_b32_e32 v6, 4, v29
	v_add_nc_u32_e32 v4, s28, v2
	s_delay_alu instid0(VALU_DEP_4) | instskip(SKIP_2) | instid1(VALU_DEP_4)
	v_add_nc_u32_e32 v5, s14, v3
	v_or_b32_e32 v7, s28, v2
	v_lshlrev_b32_e32 v8, 4, v2
	v_ashrrev_i32_e32 v10, 31, v4
	s_waitcnt lgkmcnt(0)
	v_mul_lo_u32 v11, s27, v4
	v_mad_u64_u32 v[1:2], null, s26, v4, 0
	s_add_u32 s30, s0, s24
	v_mul_lo_u32 v4, s26, v10
	s_addc_u32 s31, s1, s25
	s_add_u32 s0, s22, s24
	s_addc_u32 s1, s23, s25
	v_ashrrev_i32_e32 v9, 31, v5
	s_load_b64 s[22:23], s[0:1], 0x0
	v_lshl_or_b32 v10, v3, 7, v6
	v_mul_lo_u32 v12, s3, v5
	v_add3_u32 v2, v2, v4, v11
	v_mul_lo_u32 v9, s2, v9
	v_mad_u64_u32 v[3:4], null, s2, v5, 0
	v_lshlrev_b32_e32 v11, 4, v32
	s_delay_alu instid0(VALU_DEP_4) | instskip(SKIP_4) | instid1(VALU_DEP_4)
	v_lshlrev_b64 v[1:2], 4, v[1:2]
	s_load_b64 s[2:3], s[30:31], 0x0
	v_cmp_gt_i32_e32 vcc_lo, s15, v5
	v_cmp_gt_i32_e64 s0, s15, v7
	v_add3_u32 v4, v4, v9, v12
	v_add_co_u32 v5, s1, v1, v11
	s_delay_alu instid0(VALU_DEP_1) | instskip(NEXT) | instid1(VALU_DEP_3)
	v_add_co_ci_u32_e64 v7, s1, 0, v2, s1
	v_lshlrev_b64 v[1:2], 4, v[3:4]
	s_waitcnt lgkmcnt(0)
	s_delay_alu instid0(VALU_DEP_3) | instskip(NEXT) | instid1(VALU_DEP_1)
	v_add_co_u32 v3, s1, v5, s22
	v_add_co_ci_u32_e64 v4, s1, s23, v7, s1
	s_delay_alu instid0(VALU_DEP_3) | instskip(SKIP_4) | instid1(VALU_DEP_3)
	v_add_co_u32 v1, s1, v1, v6
	v_mov_b32_e32 v5, 0
	v_mov_b32_e32 v6, 0
	v_add_co_ci_u32_e64 v2, s1, 0, v2, s1
	v_add_co_u32 v7, s1, v3, 8
	v_dual_mov_b32 v18, v6 :: v_dual_mov_b32 v17, v5
	v_lshl_or_b32 v33, v32, 9, v8
	v_add_co_ci_u32_e64 v8, s1, 0, v4, s1
	v_add_co_u32 v9, s1, s2, v1
	v_mov_b32_e32 v14, v6
	v_mov_b32_e32 v12, v6
	;; [unrolled: 1-line block ×6, first 2 shown]
	v_dual_mov_b32 v24, v6 :: v_dual_mov_b32 v23, v5
	v_dual_mov_b32 v13, v5 :: v_dual_lshlrev_b32 v30, 4, v27
	v_dual_mov_b32 v15, v5 :: v_dual_add_nc_u32 v34, 0x1000, v10
	v_add_co_ci_u32_e64 v10, s1, s3, v2, s1
	v_mov_b32_e32 v11, v5
	v_mov_b32_e32 v21, v5
	v_mov_b32_e32 v19, v5
	v_mov_b32_e32 v25, v5
	s_xor_b32 s1, vcc_lo, -1
	s_branch .LBB1686_3
.LBB1686_2:                             ;   in Loop: Header=BB1686_3 Depth=1
	s_or_b32 exec_lo, exec_lo, s2
	s_waitcnt lgkmcnt(0)
	s_barrier
	buffer_gl0_inv
	ds_load_b128 v[1:4], v31
	ds_load_b128 v[35:38], v30
	ds_load_b128 v[39:42], v30 offset:256
	ds_load_b128 v[43:46], v31 offset:2048
	;; [unrolled: 1-line block ×9, first 2 shown]
	s_add_u32 s12, s12, 8
	s_addc_u32 s13, s13, 0
	v_add_co_u32 v7, vcc_lo, 0x80, v7
	v_cmp_ge_i64_e64 s2, s[12:13], s[16:17]
	v_add_co_ci_u32_e32 v8, vcc_lo, 0, v8, vcc_lo
	v_add_co_u32 v9, vcc_lo, 0x80, v9
	v_add_co_ci_u32_e32 v10, vcc_lo, 0, v10, vcc_lo
	s_delay_alu instid0(VALU_DEP_4)
	s_and_b32 vcc_lo, exec_lo, s2
	s_waitcnt lgkmcnt(9)
	v_mul_f64 v[75:76], v[3:4], v[37:38]
	v_mul_f64 v[77:78], v[1:2], v[37:38]
	s_waitcnt lgkmcnt(8)
	v_mul_f64 v[79:80], v[3:4], v[41:42]
	v_mul_f64 v[81:82], v[1:2], v[41:42]
	;; [unrolled: 3-line block ×3, first 2 shown]
	v_mul_f64 v[85:86], v[45:46], v[41:42]
	v_mul_f64 v[41:42], v[43:44], v[41:42]
	s_waitcnt lgkmcnt(4)
	v_mul_f64 v[87:88], v[49:50], v[57:58]
	v_mul_f64 v[89:90], v[47:48], v[57:58]
	s_waitcnt lgkmcnt(3)
	v_mul_f64 v[91:92], v[49:50], v[61:62]
	v_mul_f64 v[93:94], v[47:48], v[61:62]
	;; [unrolled: 1-line block ×6, first 2 shown]
	s_waitcnt lgkmcnt(0)
	v_mul_f64 v[115:116], v[73:74], v[65:66]
	v_mul_f64 v[117:118], v[73:74], v[69:70]
	v_fma_f64 v[99:100], v[1:2], v[35:36], -v[75:76]
	v_fma_f64 v[101:102], v[3:4], v[35:36], v[77:78]
	v_fma_f64 v[79:80], v[1:2], v[39:40], -v[79:80]
	v_fma_f64 v[81:82], v[3:4], v[39:40], v[81:82]
	;; [unrolled: 2-line block ×4, first 2 shown]
	ds_load_b128 v[75:78], v31 offset:32
	v_fma_f64 v[87:88], v[47:48], v[55:56], -v[87:88]
	v_fma_f64 v[89:90], v[49:50], v[55:56], v[89:90]
	v_fma_f64 v[47:48], v[47:48], v[59:60], -v[91:92]
	v_fma_f64 v[49:50], v[49:50], v[59:60], v[93:94]
	;; [unrolled: 2-line block ×4, first 2 shown]
	ds_load_b128 v[1:4], v31 offset:48
	ds_load_b128 v[35:38], v31 offset:2096
	;; [unrolled: 1-line block ×4, first 2 shown]
	s_waitcnt lgkmcnt(4)
	v_mul_f64 v[107:108], v[77:78], v[65:66]
	v_mul_f64 v[109:110], v[75:76], v[65:66]
	;; [unrolled: 1-line block ×6, first 2 shown]
	s_waitcnt lgkmcnt(1)
	v_mul_f64 v[93:94], v[1:2], v[41:42]
	s_waitcnt lgkmcnt(0)
	v_mul_f64 v[95:96], v[3:4], v[45:46]
	v_add_f64 v[23:24], v[23:24], v[99:100]
	v_add_f64 v[25:26], v[25:26], v[101:102]
	;; [unrolled: 1-line block ×8, first 2 shown]
	v_mul_f64 v[85:86], v[3:4], v[41:42]
	v_mul_f64 v[97:98], v[1:2], v[45:46]
	;; [unrolled: 1-line block ×6, first 2 shown]
	ds_load_b128 v[11:14], v30 offset:2048
	ds_load_b128 v[15:18], v30 offset:2304
	;; [unrolled: 1-line block ×3, first 2 shown]
	v_fma_f64 v[105:106], v[75:76], v[63:64], -v[107:108]
	v_fma_f64 v[107:108], v[77:78], v[63:64], v[109:110]
	v_fma_f64 v[75:76], v[75:76], v[67:68], -v[111:112]
	v_fma_f64 v[77:78], v[77:78], v[67:68], v[113:114]
	;; [unrolled: 2-line block ×4, first 2 shown]
	s_waitcnt lgkmcnt(0)
	v_mul_f64 v[115:116], v[21:22], v[13:14]
	v_mul_f64 v[117:118], v[21:22], v[17:18]
	v_add_f64 v[69:70], v[23:24], v[87:88]
	v_add_f64 v[71:72], v[25:26], v[89:90]
	;; [unrolled: 1-line block ×8, first 2 shown]
	ds_load_b128 v[23:26], v31 offset:64
	v_fma_f64 v[85:86], v[1:2], v[39:40], -v[85:86]
	v_fma_f64 v[93:94], v[3:4], v[39:40], v[93:94]
	v_fma_f64 v[95:96], v[1:2], v[43:44], -v[95:96]
	v_fma_f64 v[97:98], v[3:4], v[43:44], v[97:98]
	;; [unrolled: 2-line block ×4, first 2 shown]
	ds_load_b128 v[45:48], v31 offset:80
	ds_load_b128 v[49:52], v31 offset:2128
	;; [unrolled: 1-line block ×7, first 2 shown]
	s_waitcnt lgkmcnt(7)
	v_mul_f64 v[89:90], v[25:26], v[13:14]
	v_mul_f64 v[91:92], v[23:24], v[13:14]
	;; [unrolled: 1-line block ×6, first 2 shown]
	s_waitcnt lgkmcnt(3)
	v_mul_f64 v[103:104], v[51:52], v[59:60]
	v_add_f64 v[69:70], v[69:70], v[105:106]
	v_add_f64 v[71:72], v[71:72], v[107:108]
	;; [unrolled: 1-line block ×8, first 2 shown]
	v_mul_f64 v[77:78], v[47:48], v[55:56]
	v_mul_f64 v[79:80], v[45:46], v[55:56]
	v_mul_f64 v[81:82], v[47:48], v[59:60]
	v_mul_f64 v[83:84], v[45:46], v[59:60]
	v_mul_f64 v[87:88], v[51:52], v[55:56]
	v_mul_f64 v[55:56], v[49:50], v[55:56]
	v_mul_f64 v[105:106], v[49:50], v[59:60]
	v_fma_f64 v[89:90], v[23:24], v[11:12], -v[89:90]
	v_fma_f64 v[91:92], v[25:26], v[11:12], v[91:92]
	v_fma_f64 v[107:108], v[23:24], v[15:16], -v[111:112]
	v_fma_f64 v[109:110], v[25:26], v[15:16], v[113:114]
	;; [unrolled: 2-line block ×4, first 2 shown]
	ds_load_b128 v[11:14], v31 offset:96
	v_add_f64 v[69:70], v[69:70], v[85:86]
	v_add_f64 v[71:72], v[71:72], v[93:94]
	;; [unrolled: 1-line block ×8, first 2 shown]
	s_waitcnt lgkmcnt(1)
	v_mul_f64 v[99:100], v[41:42], v[3:4]
	v_mul_f64 v[101:102], v[41:42], v[37:38]
	v_fma_f64 v[77:78], v[45:46], v[53:54], -v[77:78]
	v_fma_f64 v[79:80], v[47:48], v[53:54], v[79:80]
	v_fma_f64 v[45:46], v[45:46], v[57:58], -v[81:82]
	v_fma_f64 v[47:48], v[47:48], v[57:58], v[83:84]
	;; [unrolled: 2-line block ×4, first 2 shown]
	s_waitcnt lgkmcnt(0)
	v_mul_f64 v[67:68], v[13:14], v[3:4]
	v_mul_f64 v[93:94], v[11:12], v[3:4]
	;; [unrolled: 1-line block ×6, first 2 shown]
	ds_load_b128 v[15:18], v31 offset:112
	ds_load_b128 v[19:22], v31 offset:2160
	;; [unrolled: 1-line block ×4, first 2 shown]
	s_waitcnt lgkmcnt(0)
	s_barrier
	buffer_gl0_inv
	v_add_f64 v[55:56], v[69:70], v[89:90]
	v_add_f64 v[57:58], v[71:72], v[91:92]
	;; [unrolled: 1-line block ×8, first 2 shown]
	v_mul_f64 v[75:76], v[17:18], v[25:26]
	v_mul_f64 v[83:84], v[15:16], v[25:26]
	;; [unrolled: 1-line block ×8, first 2 shown]
	v_fma_f64 v[67:68], v[11:12], v[1:2], -v[67:68]
	v_fma_f64 v[93:94], v[13:14], v[1:2], v[93:94]
	v_fma_f64 v[11:12], v[11:12], v[35:36], -v[95:96]
	v_fma_f64 v[13:14], v[13:14], v[35:36], v[97:98]
	;; [unrolled: 2-line block ×4, first 2 shown]
	v_add_f64 v[37:38], v[55:56], v[77:78]
	v_add_f64 v[39:40], v[57:58], v[79:80]
	;; [unrolled: 1-line block ×8, first 2 shown]
	v_fma_f64 v[51:52], v[15:16], v[23:24], -v[75:76]
	v_fma_f64 v[55:56], v[17:18], v[23:24], v[83:84]
	v_fma_f64 v[15:16], v[15:16], v[59:60], -v[85:86]
	v_fma_f64 v[17:18], v[17:18], v[59:60], v[87:88]
	;; [unrolled: 2-line block ×4, first 2 shown]
	v_add_f64 v[19:20], v[37:38], v[67:68]
	v_add_f64 v[21:22], v[39:40], v[93:94]
	v_add_f64 v[11:12], v[41:42], v[11:12]
	v_add_f64 v[13:14], v[45:46], v[13:14]
	v_add_f64 v[37:38], v[47:48], v[95:96]
	v_add_f64 v[1:2], v[53:54], v[1:2]
	v_add_f64 v[3:4], v[49:50], v[3:4]
	v_add_f64 v[35:36], v[43:44], v[35:36]
	v_add_f64 v[23:24], v[19:20], v[51:52]
	v_add_f64 v[25:26], v[21:22], v[55:56]
	v_add_f64 v[19:20], v[11:12], v[15:16]
	v_add_f64 v[21:22], v[13:14], v[17:18]
	v_add_f64 v[15:16], v[37:38], v[57:58]
	v_add_f64 v[17:18], v[1:2], v[63:64]
	v_add_f64 v[11:12], v[3:4], v[65:66]
	v_add_f64 v[13:14], v[35:36], v[59:60]
	s_cbranch_vccnz .LBB1686_9
.LBB1686_3:                             ; =>This Inner Loop Header: Depth=1
	v_add_co_u32 v1, s2, v32, s12
	s_delay_alu instid0(VALU_DEP_1) | instskip(SKIP_1) | instid1(VALU_DEP_2)
	v_add_co_ci_u32_e64 v2, null, 0, s13, s2
	v_dual_mov_b32 v3, v5 :: v_dual_mov_b32 v4, v6
	v_cmp_gt_i64_e32 vcc_lo, s[16:17], v[1:2]
	v_dual_mov_b32 v1, v5 :: v_dual_mov_b32 v2, v6
	s_and_b32 s3, s0, vcc_lo
	s_delay_alu instid0(SALU_CYCLE_1)
	s_and_saveexec_b32 s2, s3
	s_cbranch_execz .LBB1686_5
; %bb.4:                                ;   in Loop: Header=BB1686_3 Depth=1
	global_load_b128 v[1:4], v[7:8], off offset:-8
.LBB1686_5:                             ;   in Loop: Header=BB1686_3 Depth=1
	s_or_b32 exec_lo, exec_lo, s2
	v_add_co_u32 v35, s2, v29, s12
	s_delay_alu instid0(VALU_DEP_1) | instskip(SKIP_4) | instid1(SALU_CYCLE_1)
	v_add_co_ci_u32_e64 v36, null, 0, s13, s2
	s_waitcnt vmcnt(0)
	ds_store_b128 v33, v[1:4]
	v_cmp_le_i64_e32 vcc_lo, s[16:17], v[35:36]
	s_or_b32 s2, vcc_lo, s1
	s_and_saveexec_b32 s3, s2
	s_delay_alu instid0(SALU_CYCLE_1)
	s_xor_b32 s2, exec_lo, s3
	s_cbranch_execz .LBB1686_7
; %bb.6:                                ;   in Loop: Header=BB1686_3 Depth=1
	v_mov_b32_e32 v1, v0
	v_mov_b32_e32 v2, v0
	;; [unrolled: 1-line block ×3, first 2 shown]
	ds_store_b128 v34, v[0:3]
.LBB1686_7:                             ;   in Loop: Header=BB1686_3 Depth=1
	s_and_not1_saveexec_b32 s2, s2
	s_cbranch_execz .LBB1686_2
; %bb.8:                                ;   in Loop: Header=BB1686_3 Depth=1
	global_load_b128 v[1:4], v[9:10], off
	s_waitcnt vmcnt(0)
	ds_store_2addr_b64 v34, v[1:2], v[3:4] offset1:1
	s_branch .LBB1686_2
.LBB1686_9:
	v_add_nc_u32_e32 v4, s14, v28
	s_delay_alu instid0(VALU_DEP_1) | instskip(SKIP_2) | instid1(VALU_DEP_3)
	v_ashrrev_i32_e32 v0, 31, v4
	v_mul_lo_u32 v3, v4, s11
	v_mad_u64_u32 v[1:2], null, v4, s10, 0
	v_mul_lo_u32 v0, v0, s10
	s_delay_alu instid0(VALU_DEP_1) | instskip(SKIP_1) | instid1(VALU_DEP_2)
	v_add3_u32 v2, v2, v3, v0
	v_add_nc_u32_e32 v0, s28, v27
	v_lshlrev_b64 v[1:2], 4, v[1:2]
	s_delay_alu instid0(VALU_DEP_2) | instskip(SKIP_2) | instid1(VALU_DEP_3)
	v_cmp_le_i32_e64 s0, v4, v0
	v_cmp_gt_i32_e32 vcc_lo, s15, v0
	s_waitcnt lgkmcnt(0)
	v_add_co_u32 v5, s1, s8, v1
	s_delay_alu instid0(VALU_DEP_1) | instskip(SKIP_1) | instid1(SALU_CYCLE_1)
	v_add_co_ci_u32_e64 v6, s1, s9, v2, s1
	s_and_b32 s0, s0, vcc_lo
	s_and_saveexec_b32 s1, s0
	s_cbranch_execz .LBB1686_11
; %bb.10:
	v_ashrrev_i32_e32 v1, 31, v0
	v_mul_f64 v[27:28], s[20:21], v[25:26]
	v_mul_f64 v[25:26], s[18:19], v[25:26]
	s_delay_alu instid0(VALU_DEP_3) | instskip(NEXT) | instid1(VALU_DEP_1)
	v_lshlrev_b64 v[1:2], 4, v[0:1]
	v_add_co_u32 v1, s0, v5, v1
	s_delay_alu instid0(VALU_DEP_1)
	v_add_co_ci_u32_e64 v2, s0, v6, v2, s0
	global_load_b128 v[7:10], v[1:2], off
	v_fma_f64 v[27:28], s[18:19], v[23:24], -v[27:28]
	v_fma_f64 v[23:24], s[20:21], v[23:24], v[25:26]
	s_waitcnt vmcnt(0)
	v_mul_f64 v[29:30], s[6:7], v[9:10]
	v_mul_f64 v[9:10], s[4:5], v[9:10]
	s_delay_alu instid0(VALU_DEP_2) | instskip(NEXT) | instid1(VALU_DEP_2)
	v_fma_f64 v[25:26], s[4:5], v[7:8], -v[29:30]
	v_fma_f64 v[9:10], s[6:7], v[7:8], v[9:10]
	s_delay_alu instid0(VALU_DEP_2) | instskip(NEXT) | instid1(VALU_DEP_2)
	v_add_f64 v[7:8], v[27:28], v[25:26]
	v_add_f64 v[9:10], v[23:24], v[9:10]
	global_store_b128 v[1:2], v[7:10], off
.LBB1686_11:
	s_or_b32 exec_lo, exec_lo, s1
	v_add_nc_u32_e32 v2, 16, v0
	s_delay_alu instid0(VALU_DEP_1) | instskip(SKIP_1) | instid1(VALU_DEP_1)
	v_cmp_le_i32_e64 s1, v4, v2
	v_cmp_gt_i32_e64 s0, s15, v2
	s_and_b32 s1, s1, s0
	s_delay_alu instid0(SALU_CYCLE_1)
	s_and_saveexec_b32 s2, s1
	s_cbranch_execz .LBB1686_13
; %bb.12:
	v_ashrrev_i32_e32 v3, 31, v2
	v_mul_f64 v[23:24], s[20:21], v[21:22]
	v_mul_f64 v[21:22], s[18:19], v[21:22]
	s_delay_alu instid0(VALU_DEP_3) | instskip(NEXT) | instid1(VALU_DEP_1)
	v_lshlrev_b64 v[7:8], 4, v[2:3]
	v_add_co_u32 v9, s1, v5, v7
	s_delay_alu instid0(VALU_DEP_1)
	v_add_co_ci_u32_e64 v10, s1, v6, v8, s1
	global_load_b128 v[5:8], v[9:10], off
	v_fma_f64 v[23:24], s[18:19], v[19:20], -v[23:24]
	v_fma_f64 v[19:20], s[20:21], v[19:20], v[21:22]
	s_waitcnt vmcnt(0)
	v_mul_f64 v[25:26], s[6:7], v[7:8]
	v_mul_f64 v[7:8], s[4:5], v[7:8]
	s_delay_alu instid0(VALU_DEP_2) | instskip(NEXT) | instid1(VALU_DEP_2)
	v_fma_f64 v[21:22], s[4:5], v[5:6], -v[25:26]
	v_fma_f64 v[7:8], s[6:7], v[5:6], v[7:8]
	s_delay_alu instid0(VALU_DEP_2) | instskip(NEXT) | instid1(VALU_DEP_2)
	v_add_f64 v[5:6], v[23:24], v[21:22]
	v_add_f64 v[7:8], v[19:20], v[7:8]
	global_store_b128 v[9:10], v[5:8], off
.LBB1686_13:
	s_or_b32 exec_lo, exec_lo, s2
	v_add_nc_u32_e32 v3, 16, v4
	s_delay_alu instid0(VALU_DEP_1) | instskip(SKIP_3) | instid1(VALU_DEP_4)
	v_ashrrev_i32_e32 v1, 31, v3
	v_mul_lo_u32 v6, v3, s11
	v_mad_u64_u32 v[4:5], null, v3, s10, 0
	v_cmp_le_i32_e64 s1, v3, v0
	v_mul_lo_u32 v1, v1, s10
	s_delay_alu instid0(VALU_DEP_1) | instskip(NEXT) | instid1(VALU_DEP_1)
	v_add3_u32 v5, v5, v6, v1
	v_lshlrev_b64 v[4:5], 4, v[4:5]
	s_delay_alu instid0(VALU_DEP_1) | instskip(NEXT) | instid1(VALU_DEP_1)
	v_add_co_u32 v4, s2, s8, v4
	v_add_co_ci_u32_e64 v5, s2, s9, v5, s2
	s_and_b32 s2, s1, vcc_lo
	s_delay_alu instid0(SALU_CYCLE_1)
	s_and_saveexec_b32 s1, s2
	s_cbranch_execz .LBB1686_15
; %bb.14:
	v_ashrrev_i32_e32 v1, 31, v0
	v_mul_f64 v[19:20], s[20:21], v[17:18]
	v_mul_f64 v[17:18], s[18:19], v[17:18]
	s_delay_alu instid0(VALU_DEP_3) | instskip(NEXT) | instid1(VALU_DEP_1)
	v_lshlrev_b64 v[0:1], 4, v[0:1]
	v_add_co_u32 v0, vcc_lo, v4, v0
	s_delay_alu instid0(VALU_DEP_2)
	v_add_co_ci_u32_e32 v1, vcc_lo, v5, v1, vcc_lo
	global_load_b128 v[6:9], v[0:1], off
	v_fma_f64 v[19:20], s[18:19], v[15:16], -v[19:20]
	v_fma_f64 v[15:16], s[20:21], v[15:16], v[17:18]
	s_waitcnt vmcnt(0)
	v_mul_f64 v[21:22], s[6:7], v[8:9]
	v_mul_f64 v[8:9], s[4:5], v[8:9]
	s_delay_alu instid0(VALU_DEP_2) | instskip(NEXT) | instid1(VALU_DEP_2)
	v_fma_f64 v[17:18], s[4:5], v[6:7], -v[21:22]
	v_fma_f64 v[8:9], s[6:7], v[6:7], v[8:9]
	s_delay_alu instid0(VALU_DEP_2) | instskip(NEXT) | instid1(VALU_DEP_2)
	v_add_f64 v[6:7], v[19:20], v[17:18]
	v_add_f64 v[8:9], v[15:16], v[8:9]
	global_store_b128 v[0:1], v[6:9], off
.LBB1686_15:
	s_or_b32 exec_lo, exec_lo, s1
	v_cmp_le_i32_e32 vcc_lo, v3, v2
	s_and_b32 s0, vcc_lo, s0
	s_delay_alu instid0(SALU_CYCLE_1)
	s_and_saveexec_b32 s1, s0
	s_cbranch_execz .LBB1686_17
; %bb.16:
	v_ashrrev_i32_e32 v3, 31, v2
	v_mul_f64 v[6:7], s[20:21], v[13:14]
	v_mul_f64 v[8:9], s[18:19], v[13:14]
	s_delay_alu instid0(VALU_DEP_3) | instskip(NEXT) | instid1(VALU_DEP_1)
	v_lshlrev_b64 v[0:1], 4, v[2:3]
	v_add_co_u32 v4, vcc_lo, v4, v0
	s_delay_alu instid0(VALU_DEP_2)
	v_add_co_ci_u32_e32 v5, vcc_lo, v5, v1, vcc_lo
	global_load_b128 v[0:3], v[4:5], off
	v_fma_f64 v[6:7], s[18:19], v[11:12], -v[6:7]
	v_fma_f64 v[8:9], s[20:21], v[11:12], v[8:9]
	s_waitcnt vmcnt(0)
	v_mul_f64 v[13:14], s[6:7], v[2:3]
	v_mul_f64 v[2:3], s[4:5], v[2:3]
	s_delay_alu instid0(VALU_DEP_2) | instskip(NEXT) | instid1(VALU_DEP_2)
	v_fma_f64 v[10:11], s[4:5], v[0:1], -v[13:14]
	v_fma_f64 v[2:3], s[6:7], v[0:1], v[2:3]
	s_delay_alu instid0(VALU_DEP_2) | instskip(NEXT) | instid1(VALU_DEP_2)
	v_add_f64 v[0:1], v[6:7], v[10:11]
	v_add_f64 v[2:3], v[8:9], v[2:3]
	global_store_b128 v[4:5], v[0:3], off
.LBB1686_17:
	s_nop 0
	s_sendmsg sendmsg(MSG_DEALLOC_VGPRS)
	s_endpgm
	.section	.rodata,"a",@progbits
	.p2align	6, 0x0
	.amdhsa_kernel _ZL34rocblas_syrkx_herkx_general_kernelIl19rocblas_complex_numIdELi16ELi32ELi8ELb0ELb0ELc67ELc76EKPKS1_KPS1_EviT_T0_PT8_S7_lSA_S7_lS8_PT9_S7_li
		.amdhsa_group_segment_fixed_size 8192
		.amdhsa_private_segment_fixed_size 0
		.amdhsa_kernarg_size 124
		.amdhsa_user_sgpr_count 13
		.amdhsa_user_sgpr_dispatch_ptr 0
		.amdhsa_user_sgpr_queue_ptr 0
		.amdhsa_user_sgpr_kernarg_segment_ptr 1
		.amdhsa_user_sgpr_dispatch_id 0
		.amdhsa_user_sgpr_private_segment_size 0
		.amdhsa_wavefront_size32 1
		.amdhsa_uses_dynamic_stack 0
		.amdhsa_enable_private_segment 0
		.amdhsa_system_sgpr_workgroup_id_x 1
		.amdhsa_system_sgpr_workgroup_id_y 1
		.amdhsa_system_sgpr_workgroup_id_z 1
		.amdhsa_system_sgpr_workgroup_info 0
		.amdhsa_system_vgpr_workitem_id 1
		.amdhsa_next_free_vgpr 121
		.amdhsa_next_free_sgpr 32
		.amdhsa_reserve_vcc 1
		.amdhsa_float_round_mode_32 0
		.amdhsa_float_round_mode_16_64 0
		.amdhsa_float_denorm_mode_32 3
		.amdhsa_float_denorm_mode_16_64 3
		.amdhsa_dx10_clamp 1
		.amdhsa_ieee_mode 1
		.amdhsa_fp16_overflow 0
		.amdhsa_workgroup_processor_mode 1
		.amdhsa_memory_ordered 1
		.amdhsa_forward_progress 0
		.amdhsa_shared_vgpr_count 0
		.amdhsa_exception_fp_ieee_invalid_op 0
		.amdhsa_exception_fp_denorm_src 0
		.amdhsa_exception_fp_ieee_div_zero 0
		.amdhsa_exception_fp_ieee_overflow 0
		.amdhsa_exception_fp_ieee_underflow 0
		.amdhsa_exception_fp_ieee_inexact 0
		.amdhsa_exception_int_div_zero 0
	.end_amdhsa_kernel
	.section	.text._ZL34rocblas_syrkx_herkx_general_kernelIl19rocblas_complex_numIdELi16ELi32ELi8ELb0ELb0ELc67ELc76EKPKS1_KPS1_EviT_T0_PT8_S7_lSA_S7_lS8_PT9_S7_li,"axG",@progbits,_ZL34rocblas_syrkx_herkx_general_kernelIl19rocblas_complex_numIdELi16ELi32ELi8ELb0ELb0ELc67ELc76EKPKS1_KPS1_EviT_T0_PT8_S7_lSA_S7_lS8_PT9_S7_li,comdat
.Lfunc_end1686:
	.size	_ZL34rocblas_syrkx_herkx_general_kernelIl19rocblas_complex_numIdELi16ELi32ELi8ELb0ELb0ELc67ELc76EKPKS1_KPS1_EviT_T0_PT8_S7_lSA_S7_lS8_PT9_S7_li, .Lfunc_end1686-_ZL34rocblas_syrkx_herkx_general_kernelIl19rocblas_complex_numIdELi16ELi32ELi8ELb0ELb0ELc67ELc76EKPKS1_KPS1_EviT_T0_PT8_S7_lSA_S7_lS8_PT9_S7_li
                                        ; -- End function
	.section	.AMDGPU.csdata,"",@progbits
; Kernel info:
; codeLenInByte = 3592
; NumSgprs: 34
; NumVgprs: 121
; ScratchSize: 0
; MemoryBound: 1
; FloatMode: 240
; IeeeMode: 1
; LDSByteSize: 8192 bytes/workgroup (compile time only)
; SGPRBlocks: 4
; VGPRBlocks: 15
; NumSGPRsForWavesPerEU: 34
; NumVGPRsForWavesPerEU: 121
; Occupancy: 10
; WaveLimiterHint : 1
; COMPUTE_PGM_RSRC2:SCRATCH_EN: 0
; COMPUTE_PGM_RSRC2:USER_SGPR: 13
; COMPUTE_PGM_RSRC2:TRAP_HANDLER: 0
; COMPUTE_PGM_RSRC2:TGID_X_EN: 1
; COMPUTE_PGM_RSRC2:TGID_Y_EN: 1
; COMPUTE_PGM_RSRC2:TGID_Z_EN: 1
; COMPUTE_PGM_RSRC2:TIDIG_COMP_CNT: 1
	.section	.text._ZL34rocblas_syrkx_herkx_general_kernelIl19rocblas_complex_numIdELi16ELi32ELi8ELb0ELb0ELc78ELc76EKPKS1_KPS1_EviT_T0_PT8_S7_lSA_S7_lS8_PT9_S7_li,"axG",@progbits,_ZL34rocblas_syrkx_herkx_general_kernelIl19rocblas_complex_numIdELi16ELi32ELi8ELb0ELb0ELc78ELc76EKPKS1_KPS1_EviT_T0_PT8_S7_lSA_S7_lS8_PT9_S7_li,comdat
	.globl	_ZL34rocblas_syrkx_herkx_general_kernelIl19rocblas_complex_numIdELi16ELi32ELi8ELb0ELb0ELc78ELc76EKPKS1_KPS1_EviT_T0_PT8_S7_lSA_S7_lS8_PT9_S7_li ; -- Begin function _ZL34rocblas_syrkx_herkx_general_kernelIl19rocblas_complex_numIdELi16ELi32ELi8ELb0ELb0ELc78ELc76EKPKS1_KPS1_EviT_T0_PT8_S7_lSA_S7_lS8_PT9_S7_li
	.p2align	8
	.type	_ZL34rocblas_syrkx_herkx_general_kernelIl19rocblas_complex_numIdELi16ELi32ELi8ELb0ELb0ELc78ELc76EKPKS1_KPS1_EviT_T0_PT8_S7_lSA_S7_lS8_PT9_S7_li,@function
_ZL34rocblas_syrkx_herkx_general_kernelIl19rocblas_complex_numIdELi16ELi32ELi8ELb0ELb0ELc78ELc76EKPKS1_KPS1_EviT_T0_PT8_S7_lSA_S7_lS8_PT9_S7_li: ; @_ZL34rocblas_syrkx_herkx_general_kernelIl19rocblas_complex_numIdELi16ELi32ELi8ELb0ELb0ELc78ELc76EKPKS1_KPS1_EviT_T0_PT8_S7_lSA_S7_lS8_PT9_S7_li
; %bb.0:
	s_clause 0x1
	s_load_b256 s[4:11], s[0:1], 0x50
	s_load_b256 s[16:23], s[0:1], 0x8
	s_mov_b32 s2, s15
	s_mov_b32 s3, 0
	s_load_b32 s28, s[0:1], 0x0
	s_lshl_b64 s[26:27], s[2:3], 3
	v_mov_b32_e32 v21, 0
	v_dual_mov_b32 v22, 0 :: v_dual_and_b32 v25, 0x3ff, v0
	v_bfe_u32 v26, v0, 10, 10
	s_delay_alu instid0(VALU_DEP_3) | instskip(NEXT) | instid1(VALU_DEP_3)
	v_mov_b32_e32 v17, v21
	v_dual_mov_b32 v19, v21 :: v_dual_mov_b32 v20, v22
	v_dual_mov_b32 v24, v22 :: v_dual_mov_b32 v23, v21
	;; [unrolled: 1-line block ×4, first 2 shown]
	v_mov_b32_e32 v16, v22
	s_waitcnt lgkmcnt(0)
	s_add_u32 s2, s8, s26
	s_addc_u32 s3, s9, s27
	s_load_b64 s[24:25], s[0:1], 0x28
	s_load_b64 s[8:9], s[2:3], 0x0
	v_cmp_lt_i64_e64 s2, s[16:17], 1
	v_dual_mov_b32 v11, v21 :: v_dual_mov_b32 v12, v22
	v_dual_mov_b32 v9, v21 :: v_dual_mov_b32 v10, v22
	s_lshl_b32 s29, s13, 5
	s_lshl_b32 s30, s14, 5
	s_delay_alu instid0(VALU_DEP_3)
	s_and_b32 vcc_lo, exec_lo, s2
	s_mov_b64 s[12:13], 0
	s_cbranch_vccnz .LBB1687_9
; %bb.1:
	s_load_b128 s[0:3], s[0:1], 0x38
	v_lshl_add_u32 v1, v26, 4, v25
	v_dual_mov_b32 v0, 0 :: v_dual_and_b32 v27, 7, v25
	v_dual_mov_b32 v9, 0 :: v_dual_lshlrev_b32 v28, 4, v25
	s_delay_alu instid0(VALU_DEP_3)
	v_lshrrev_b32_e32 v30, 5, v1
	v_dual_mov_b32 v10, 0 :: v_dual_and_b32 v7, 31, v1
	v_lshrrev_b32_e32 v2, 3, v1
	v_lshlrev_b32_e32 v8, 4, v27
	s_waitcnt lgkmcnt(0)
	v_mad_u64_u32 v[5:6], null, s24, v30, 0
	v_or_b32_e32 v11, s29, v7
	v_lshlrev_b32_e32 v12, 4, v7
	v_dual_mov_b32 v20, v10 :: v_dual_add_nc_u32 v7, s29, v7
	v_mov_b32_e32 v18, v10
	s_delay_alu instid0(VALU_DEP_4) | instskip(NEXT) | instid1(VALU_DEP_4)
	v_cmp_gt_i32_e32 vcc_lo, s28, v11
	v_lshl_or_b32 v31, v30, 9, v12
	v_mad_u64_u32 v[3:4], null, s2, v27, 0
	s_add_u32 s0, s0, s26
	s_addc_u32 s1, s1, s27
	s_add_u32 s14, s22, s26
	s_load_b64 s[34:35], s[0:1], 0x0
	s_addc_u32 s15, s23, s27
	v_mov_b32_e32 v24, v10
	s_delay_alu instid0(VALU_DEP_2)
	v_mad_u64_u32 v[11:12], null, s3, v27, v[4:5]
	v_mad_u64_u32 v[12:13], null, s25, v30, v[6:7]
	v_add_nc_u32_e32 v1, s30, v2
	s_load_b64 s[14:15], s[14:15], 0x0
	v_mov_b32_e32 v22, v10
	v_lshl_add_u32 v29, v26, 7, 0x1000
	v_mov_b32_e32 v4, v11
	v_cmp_gt_i32_e64 s0, s28, v1
	v_mov_b32_e32 v6, v12
	v_dual_mov_b32 v12, v10 :: v_dual_mov_b32 v19, v9
	v_mov_b32_e32 v11, v9
	v_lshl_or_b32 v15, v2, 7, v8
	v_ashrrev_i32_e32 v2, 31, v1
	v_ashrrev_i32_e32 v8, 31, v7
	v_mov_b32_e32 v17, v9
	s_delay_alu instid0(VALU_DEP_4) | instskip(NEXT) | instid1(VALU_DEP_4)
	v_dual_mov_b32 v21, v9 :: v_dual_add_nc_u32 v32, 0x1000, v15
	v_lshlrev_b64 v[13:14], 4, v[1:2]
	v_lshlrev_b64 v[2:3], 4, v[3:4]
	;; [unrolled: 1-line block ×4, first 2 shown]
	v_dual_mov_b32 v16, v10 :: v_dual_mov_b32 v15, v9
	v_mov_b32_e32 v23, v9
	v_add_co_u32 v1, s1, v2, v13
	s_delay_alu instid0(VALU_DEP_1) | instskip(SKIP_1) | instid1(VALU_DEP_1)
	v_add_co_ci_u32_e64 v2, s1, v3, v14, s1
	v_add_co_u32 v3, s1, v4, v7
	v_add_co_ci_u32_e64 v4, s1, v5, v8, s1
	s_waitcnt lgkmcnt(0)
	v_add_co_u32 v1, s1, v1, s34
	s_delay_alu instid0(VALU_DEP_1) | instskip(SKIP_1) | instid1(VALU_DEP_1)
	v_add_co_ci_u32_e64 v2, s1, s35, v2, s1
	v_add_co_u32 v5, s1, s14, v3
	v_add_co_ci_u32_e64 v6, s1, s15, v4, s1
	s_delay_alu instid0(VALU_DEP_4)
	v_add_co_u32 v7, s1, v1, 8
	v_mov_b32_e32 v14, v10
	v_add_co_ci_u32_e64 v8, s1, 0, v2, s1
	v_mov_b32_e32 v13, v9
	s_lshl_b64 s[14:15], s[24:25], 7
	s_lshl_b64 s[2:3], s[2:3], 7
	s_xor_b32 s1, vcc_lo, -1
	s_branch .LBB1687_3
.LBB1687_2:                             ;   in Loop: Header=BB1687_3 Depth=1
	s_or_b32 exec_lo, exec_lo, s22
	s_waitcnt vmcnt(0)
	ds_store_b128 v32, v[1:4]
	s_waitcnt lgkmcnt(0)
	s_barrier
	buffer_gl0_inv
	ds_load_b128 v[1:4], v29
	ds_load_b128 v[33:36], v28
	ds_load_b128 v[37:40], v28 offset:256
	ds_load_b128 v[41:44], v29 offset:2048
	;; [unrolled: 1-line block ×9, first 2 shown]
	s_add_u32 s12, s12, 8
	s_addc_u32 s13, s13, 0
	v_add_co_u32 v5, vcc_lo, v5, s14
	v_cmp_ge_i64_e64 s22, s[12:13], s[16:17]
	v_add_co_ci_u32_e32 v6, vcc_lo, s15, v6, vcc_lo
	v_add_co_u32 v7, vcc_lo, v7, s2
	v_add_co_ci_u32_e32 v8, vcc_lo, s3, v8, vcc_lo
	s_delay_alu instid0(VALU_DEP_4)
	s_and_b32 vcc_lo, exec_lo, s22
	s_waitcnt lgkmcnt(9)
	v_mul_f64 v[73:74], v[3:4], v[35:36]
	v_mul_f64 v[75:76], v[1:2], v[35:36]
	s_waitcnt lgkmcnt(8)
	v_mul_f64 v[77:78], v[3:4], v[39:40]
	v_mul_f64 v[79:80], v[1:2], v[39:40]
	;; [unrolled: 3-line block ×3, first 2 shown]
	v_mul_f64 v[83:84], v[43:44], v[39:40]
	v_mul_f64 v[39:40], v[41:42], v[39:40]
	s_waitcnt lgkmcnt(4)
	v_mul_f64 v[85:86], v[47:48], v[55:56]
	v_mul_f64 v[87:88], v[45:46], v[55:56]
	s_waitcnt lgkmcnt(3)
	v_mul_f64 v[89:90], v[47:48], v[59:60]
	v_mul_f64 v[91:92], v[45:46], v[59:60]
	;; [unrolled: 1-line block ×6, first 2 shown]
	v_fma_f64 v[97:98], v[1:2], v[33:34], -v[73:74]
	v_fma_f64 v[99:100], v[3:4], v[33:34], v[75:76]
	ds_load_b128 v[73:76], v29 offset:32
	v_fma_f64 v[77:78], v[1:2], v[37:38], -v[77:78]
	v_fma_f64 v[79:80], v[3:4], v[37:38], v[79:80]
	v_fma_f64 v[81:82], v[41:42], v[33:34], -v[81:82]
	v_fma_f64 v[101:102], v[43:44], v[33:34], v[35:36]
	;; [unrolled: 2-line block ×3, first 2 shown]
	s_waitcnt lgkmcnt(1)
	v_mul_f64 v[113:114], v[71:72], v[63:64]
	v_fma_f64 v[85:86], v[45:46], v[53:54], -v[85:86]
	v_fma_f64 v[87:88], v[47:48], v[53:54], v[87:88]
	v_fma_f64 v[45:46], v[45:46], v[57:58], -v[89:90]
	v_fma_f64 v[47:48], v[47:48], v[57:58], v[91:92]
	v_mul_f64 v[89:90], v[71:72], v[67:68]
	v_fma_f64 v[91:92], v[49:50], v[53:54], -v[93:94]
	v_fma_f64 v[53:54], v[51:52], v[53:54], v[55:56]
	v_fma_f64 v[49:50], v[49:50], v[57:58], -v[95:96]
	v_fma_f64 v[51:52], v[51:52], v[57:58], v[59:60]
	ds_load_b128 v[1:4], v29 offset:48
	ds_load_b128 v[33:36], v29 offset:2096
	;; [unrolled: 1-line block ×4, first 2 shown]
	s_waitcnt lgkmcnt(4)
	v_mul_f64 v[105:106], v[75:76], v[63:64]
	v_mul_f64 v[107:108], v[73:74], v[63:64]
	;; [unrolled: 1-line block ×6, first 2 shown]
	s_waitcnt lgkmcnt(1)
	v_mul_f64 v[93:94], v[1:2], v[39:40]
	v_add_f64 v[21:22], v[21:22], v[97:98]
	v_add_f64 v[23:24], v[23:24], v[99:100]
	;; [unrolled: 1-line block ×8, first 2 shown]
	v_mul_f64 v[83:84], v[3:4], v[39:40]
	s_waitcnt lgkmcnt(0)
	v_mul_f64 v[95:96], v[3:4], v[43:44]
	v_mul_f64 v[97:98], v[1:2], v[43:44]
	v_mul_f64 v[99:100], v[35:36], v[39:40]
	v_mul_f64 v[39:40], v[33:34], v[39:40]
	v_mul_f64 v[101:102], v[35:36], v[43:44]
	v_mul_f64 v[103:104], v[33:34], v[43:44]
	ds_load_b128 v[9:12], v28 offset:2048
	ds_load_b128 v[13:16], v28 offset:2304
	;; [unrolled: 1-line block ×3, first 2 shown]
	v_fma_f64 v[105:106], v[73:74], v[61:62], -v[105:106]
	v_fma_f64 v[107:108], v[75:76], v[61:62], v[107:108]
	v_fma_f64 v[73:74], v[73:74], v[65:66], -v[109:110]
	v_fma_f64 v[75:76], v[75:76], v[65:66], v[111:112]
	;; [unrolled: 2-line block ×4, first 2 shown]
	s_waitcnt lgkmcnt(0)
	v_mul_f64 v[113:114], v[19:20], v[11:12]
	v_mul_f64 v[115:116], v[19:20], v[15:16]
	v_fma_f64 v[93:94], v[3:4], v[37:38], v[93:94]
	v_add_f64 v[67:68], v[21:22], v[85:86]
	v_add_f64 v[69:70], v[23:24], v[87:88]
	;; [unrolled: 1-line block ×8, first 2 shown]
	ds_load_b128 v[21:24], v29 offset:64
	v_fma_f64 v[83:84], v[1:2], v[37:38], -v[83:84]
	v_fma_f64 v[95:96], v[1:2], v[41:42], -v[95:96]
	v_fma_f64 v[97:98], v[3:4], v[41:42], v[97:98]
	v_fma_f64 v[99:100], v[33:34], v[37:38], -v[99:100]
	v_fma_f64 v[117:118], v[35:36], v[37:38], v[39:40]
	v_fma_f64 v[101:102], v[33:34], v[41:42], -v[101:102]
	v_fma_f64 v[41:42], v[35:36], v[41:42], v[103:104]
	ds_load_b128 v[43:46], v29 offset:80
	ds_load_b128 v[47:50], v29 offset:2128
	;; [unrolled: 1-line block ×7, first 2 shown]
	s_waitcnt lgkmcnt(7)
	v_mul_f64 v[87:88], v[23:24], v[11:12]
	v_mul_f64 v[89:90], v[21:22], v[11:12]
	;; [unrolled: 1-line block ×6, first 2 shown]
	s_waitcnt lgkmcnt(3)
	v_mul_f64 v[103:104], v[49:50], v[57:58]
	v_add_f64 v[67:68], v[67:68], v[105:106]
	v_add_f64 v[69:70], v[69:70], v[107:108]
	;; [unrolled: 1-line block ×8, first 2 shown]
	v_mul_f64 v[75:76], v[45:46], v[53:54]
	v_mul_f64 v[77:78], v[43:44], v[53:54]
	;; [unrolled: 1-line block ×7, first 2 shown]
	v_fma_f64 v[109:110], v[17:18], v[9:10], -v[113:114]
	v_fma_f64 v[113:114], v[17:18], v[13:14], -v[115:116]
	v_fma_f64 v[87:88], v[21:22], v[9:10], -v[87:88]
	v_fma_f64 v[89:90], v[23:24], v[9:10], v[89:90]
	v_fma_f64 v[91:92], v[21:22], v[13:14], -v[91:92]
	v_fma_f64 v[107:108], v[23:24], v[13:14], v[111:112]
	v_fma_f64 v[111:112], v[19:20], v[9:10], v[11:12]
	;; [unrolled: 1-line block ×3, first 2 shown]
	ds_load_b128 v[9:12], v29 offset:96
	v_add_f64 v[67:68], v[67:68], v[83:84]
	v_add_f64 v[69:70], v[69:70], v[93:94]
	;; [unrolled: 1-line block ×8, first 2 shown]
	s_waitcnt lgkmcnt(1)
	v_mul_f64 v[99:100], v[39:40], v[3:4]
	v_fma_f64 v[75:76], v[43:44], v[51:52], -v[75:76]
	v_fma_f64 v[77:78], v[45:46], v[51:52], v[77:78]
	v_fma_f64 v[43:44], v[43:44], v[55:56], -v[79:80]
	v_fma_f64 v[45:46], v[45:46], v[55:56], v[81:82]
	v_mul_f64 v[79:80], v[39:40], v[35:36]
	v_fma_f64 v[81:82], v[47:48], v[51:52], -v[85:86]
	v_fma_f64 v[51:52], v[49:50], v[51:52], v[53:54]
	s_waitcnt lgkmcnt(0)
	v_mul_f64 v[65:66], v[11:12], v[3:4]
	v_mul_f64 v[93:94], v[9:10], v[3:4]
	;; [unrolled: 1-line block ×6, first 2 shown]
	v_fma_f64 v[47:48], v[47:48], v[55:56], -v[103:104]
	v_fma_f64 v[49:50], v[49:50], v[55:56], v[105:106]
	ds_load_b128 v[13:16], v29 offset:112
	ds_load_b128 v[17:20], v29 offset:2160
	ds_load_b128 v[21:24], v28 offset:3584
	ds_load_b128 v[57:60], v28 offset:3840
	s_waitcnt lgkmcnt(0)
	s_barrier
	buffer_gl0_inv
	v_add_f64 v[53:54], v[67:68], v[87:88]
	v_add_f64 v[55:56], v[69:70], v[89:90]
	;; [unrolled: 1-line block ×8, first 2 shown]
	v_mul_f64 v[73:74], v[15:16], v[23:24]
	v_mul_f64 v[83:84], v[13:14], v[23:24]
	;; [unrolled: 1-line block ×8, first 2 shown]
	v_fma_f64 v[65:66], v[9:10], v[1:2], -v[65:66]
	v_fma_f64 v[93:94], v[11:12], v[1:2], v[93:94]
	v_fma_f64 v[9:10], v[9:10], v[33:34], -v[95:96]
	v_fma_f64 v[11:12], v[11:12], v[33:34], v[97:98]
	;; [unrolled: 2-line block ×4, first 2 shown]
	v_add_f64 v[35:36], v[53:54], v[75:76]
	v_add_f64 v[37:38], v[55:56], v[77:78]
	;; [unrolled: 1-line block ×8, first 2 shown]
	v_fma_f64 v[49:50], v[13:14], v[21:22], -v[73:74]
	v_fma_f64 v[53:54], v[15:16], v[21:22], v[83:84]
	v_fma_f64 v[13:14], v[13:14], v[57:58], -v[85:86]
	v_fma_f64 v[15:16], v[15:16], v[57:58], v[87:88]
	v_fma_f64 v[55:56], v[17:18], v[21:22], -v[89:90]
	v_fma_f64 v[61:62], v[19:20], v[21:22], v[23:24]
	v_fma_f64 v[63:64], v[17:18], v[57:58], -v[91:92]
	v_fma_f64 v[57:58], v[19:20], v[57:58], v[59:60]
	v_add_f64 v[17:18], v[35:36], v[65:66]
	v_add_f64 v[19:20], v[37:38], v[93:94]
	;; [unrolled: 1-line block ×16, first 2 shown]
	s_cbranch_vccnz .LBB1687_9
.LBB1687_3:                             ; =>This Inner Loop Header: Depth=1
	v_add_co_u32 v1, s22, v30, s12
	s_delay_alu instid0(VALU_DEP_1) | instskip(NEXT) | instid1(VALU_DEP_1)
	v_add_co_ci_u32_e64 v2, null, 0, s13, s22
	v_cmp_le_i64_e32 vcc_lo, s[16:17], v[1:2]
	s_or_b32 s22, s1, vcc_lo
	s_delay_alu instid0(SALU_CYCLE_1) | instskip(NEXT) | instid1(SALU_CYCLE_1)
	s_and_saveexec_b32 s23, s22
	s_xor_b32 s22, exec_lo, s23
	s_cbranch_execz .LBB1687_5
; %bb.4:                                ;   in Loop: Header=BB1687_3 Depth=1
	v_mov_b32_e32 v1, v0
	v_mov_b32_e32 v2, v0
	;; [unrolled: 1-line block ×3, first 2 shown]
	ds_store_b128 v31, v[0:3]
.LBB1687_5:                             ;   in Loop: Header=BB1687_3 Depth=1
	s_and_not1_saveexec_b32 s22, s22
	s_cbranch_execz .LBB1687_7
; %bb.6:                                ;   in Loop: Header=BB1687_3 Depth=1
	global_load_b128 v[1:4], v[5:6], off
	s_waitcnt vmcnt(0)
	ds_store_2addr_b64 v31, v[1:2], v[3:4] offset1:1
.LBB1687_7:                             ;   in Loop: Header=BB1687_3 Depth=1
	s_or_b32 exec_lo, exec_lo, s22
	v_add_co_u32 v3, s22, v27, s12
	s_delay_alu instid0(VALU_DEP_1) | instskip(SKIP_2) | instid1(VALU_DEP_3)
	v_add_co_ci_u32_e64 v4, null, 0, s13, s22
	v_mov_b32_e32 v1, 0
	v_mov_b32_e32 v2, 0
	v_cmp_gt_i64_e32 vcc_lo, s[16:17], v[3:4]
	s_delay_alu instid0(VALU_DEP_2) | instskip(SKIP_1) | instid1(SALU_CYCLE_1)
	v_dual_mov_b32 v4, v2 :: v_dual_mov_b32 v3, v1
	s_and_b32 s23, vcc_lo, s0
	s_and_saveexec_b32 s22, s23
	s_cbranch_execz .LBB1687_2
; %bb.8:                                ;   in Loop: Header=BB1687_3 Depth=1
	global_load_b128 v[1:4], v[7:8], off offset:-8
	s_branch .LBB1687_2
.LBB1687_9:
	v_add_nc_u32_e32 v4, s30, v26
	s_delay_alu instid0(VALU_DEP_1) | instskip(SKIP_2) | instid1(VALU_DEP_3)
	v_ashrrev_i32_e32 v0, 31, v4
	v_mul_lo_u32 v3, v4, s11
	v_mad_u64_u32 v[1:2], null, v4, s10, 0
	v_mul_lo_u32 v0, v0, s10
	s_delay_alu instid0(VALU_DEP_1) | instskip(SKIP_1) | instid1(VALU_DEP_2)
	v_add3_u32 v2, v2, v3, v0
	v_add_nc_u32_e32 v0, s29, v25
	v_lshlrev_b64 v[1:2], 4, v[1:2]
	s_delay_alu instid0(VALU_DEP_2) | instskip(SKIP_2) | instid1(VALU_DEP_3)
	v_cmp_le_i32_e64 s0, v4, v0
	v_cmp_gt_i32_e32 vcc_lo, s28, v0
	s_waitcnt lgkmcnt(0)
	v_add_co_u32 v5, s1, s8, v1
	s_delay_alu instid0(VALU_DEP_1) | instskip(SKIP_1) | instid1(SALU_CYCLE_1)
	v_add_co_ci_u32_e64 v6, s1, s9, v2, s1
	s_and_b32 s0, s0, vcc_lo
	s_and_saveexec_b32 s1, s0
	s_cbranch_execz .LBB1687_11
; %bb.10:
	v_ashrrev_i32_e32 v1, 31, v0
	v_mul_f64 v[7:8], s[20:21], v[23:24]
	v_mul_f64 v[23:24], s[18:19], v[23:24]
	s_delay_alu instid0(VALU_DEP_3) | instskip(NEXT) | instid1(VALU_DEP_1)
	v_lshlrev_b64 v[1:2], 4, v[0:1]
	v_add_co_u32 v1, s0, v5, v1
	s_delay_alu instid0(VALU_DEP_1)
	v_add_co_ci_u32_e64 v2, s0, v6, v2, s0
	global_load_b128 v[25:28], v[1:2], off
	v_fma_f64 v[7:8], s[18:19], v[21:22], -v[7:8]
	v_fma_f64 v[23:24], s[20:21], v[21:22], v[23:24]
	s_waitcnt vmcnt(0)
	v_mul_f64 v[29:30], s[6:7], v[27:28]
	v_mul_f64 v[27:28], s[4:5], v[27:28]
	s_delay_alu instid0(VALU_DEP_2) | instskip(NEXT) | instid1(VALU_DEP_2)
	v_fma_f64 v[21:22], s[4:5], v[25:26], -v[29:30]
	v_fma_f64 v[25:26], s[6:7], v[25:26], v[27:28]
	s_delay_alu instid0(VALU_DEP_2) | instskip(NEXT) | instid1(VALU_DEP_2)
	v_add_f64 v[21:22], v[7:8], v[21:22]
	v_add_f64 v[23:24], v[23:24], v[25:26]
	global_store_b128 v[1:2], v[21:24], off
.LBB1687_11:
	s_or_b32 exec_lo, exec_lo, s1
	v_add_nc_u32_e32 v2, 16, v0
	s_delay_alu instid0(VALU_DEP_1) | instskip(SKIP_1) | instid1(VALU_DEP_1)
	v_cmp_le_i32_e64 s1, v4, v2
	v_cmp_gt_i32_e64 s0, s28, v2
	s_and_b32 s1, s1, s0
	s_delay_alu instid0(SALU_CYCLE_1)
	s_and_saveexec_b32 s2, s1
	s_cbranch_execz .LBB1687_13
; %bb.12:
	v_ashrrev_i32_e32 v3, 31, v2
	v_mul_f64 v[23:24], s[20:21], v[19:20]
	v_mul_f64 v[19:20], s[18:19], v[19:20]
	s_delay_alu instid0(VALU_DEP_3) | instskip(NEXT) | instid1(VALU_DEP_1)
	v_lshlrev_b64 v[7:8], 4, v[2:3]
	v_add_co_u32 v21, s1, v5, v7
	s_delay_alu instid0(VALU_DEP_1)
	v_add_co_ci_u32_e64 v22, s1, v6, v8, s1
	global_load_b128 v[5:8], v[21:22], off
	v_fma_f64 v[23:24], s[18:19], v[17:18], -v[23:24]
	v_fma_f64 v[17:18], s[20:21], v[17:18], v[19:20]
	s_waitcnt vmcnt(0)
	v_mul_f64 v[25:26], s[6:7], v[7:8]
	v_mul_f64 v[7:8], s[4:5], v[7:8]
	s_delay_alu instid0(VALU_DEP_2) | instskip(NEXT) | instid1(VALU_DEP_2)
	v_fma_f64 v[19:20], s[4:5], v[5:6], -v[25:26]
	v_fma_f64 v[7:8], s[6:7], v[5:6], v[7:8]
	s_delay_alu instid0(VALU_DEP_2) | instskip(NEXT) | instid1(VALU_DEP_2)
	v_add_f64 v[5:6], v[23:24], v[19:20]
	v_add_f64 v[7:8], v[17:18], v[7:8]
	global_store_b128 v[21:22], v[5:8], off
.LBB1687_13:
	s_or_b32 exec_lo, exec_lo, s2
	v_add_nc_u32_e32 v3, 16, v4
	s_delay_alu instid0(VALU_DEP_1) | instskip(SKIP_3) | instid1(VALU_DEP_4)
	v_ashrrev_i32_e32 v1, 31, v3
	v_mul_lo_u32 v6, v3, s11
	v_mad_u64_u32 v[4:5], null, v3, s10, 0
	v_cmp_le_i32_e64 s1, v3, v0
	v_mul_lo_u32 v1, v1, s10
	s_delay_alu instid0(VALU_DEP_1) | instskip(NEXT) | instid1(VALU_DEP_1)
	v_add3_u32 v5, v5, v6, v1
	v_lshlrev_b64 v[4:5], 4, v[4:5]
	s_delay_alu instid0(VALU_DEP_1) | instskip(NEXT) | instid1(VALU_DEP_1)
	v_add_co_u32 v4, s2, s8, v4
	v_add_co_ci_u32_e64 v5, s2, s9, v5, s2
	s_and_b32 s2, s1, vcc_lo
	s_delay_alu instid0(SALU_CYCLE_1)
	s_and_saveexec_b32 s1, s2
	s_cbranch_execz .LBB1687_15
; %bb.14:
	v_ashrrev_i32_e32 v1, 31, v0
	v_mul_f64 v[6:7], s[20:21], v[15:16]
	v_mul_f64 v[15:16], s[18:19], v[15:16]
	s_delay_alu instid0(VALU_DEP_3) | instskip(NEXT) | instid1(VALU_DEP_1)
	v_lshlrev_b64 v[0:1], 4, v[0:1]
	v_add_co_u32 v0, vcc_lo, v4, v0
	s_delay_alu instid0(VALU_DEP_2)
	v_add_co_ci_u32_e32 v1, vcc_lo, v5, v1, vcc_lo
	global_load_b128 v[17:20], v[0:1], off
	v_fma_f64 v[6:7], s[18:19], v[13:14], -v[6:7]
	v_fma_f64 v[15:16], s[20:21], v[13:14], v[15:16]
	s_waitcnt vmcnt(0)
	v_mul_f64 v[21:22], s[6:7], v[19:20]
	v_mul_f64 v[19:20], s[4:5], v[19:20]
	s_delay_alu instid0(VALU_DEP_2) | instskip(NEXT) | instid1(VALU_DEP_2)
	v_fma_f64 v[13:14], s[4:5], v[17:18], -v[21:22]
	v_fma_f64 v[17:18], s[6:7], v[17:18], v[19:20]
	s_delay_alu instid0(VALU_DEP_2) | instskip(NEXT) | instid1(VALU_DEP_2)
	v_add_f64 v[13:14], v[6:7], v[13:14]
	v_add_f64 v[15:16], v[15:16], v[17:18]
	global_store_b128 v[0:1], v[13:16], off
.LBB1687_15:
	s_or_b32 exec_lo, exec_lo, s1
	v_cmp_le_i32_e32 vcc_lo, v3, v2
	s_and_b32 s0, vcc_lo, s0
	s_delay_alu instid0(SALU_CYCLE_1)
	s_and_saveexec_b32 s1, s0
	s_cbranch_execz .LBB1687_17
; %bb.16:
	v_ashrrev_i32_e32 v3, 31, v2
	v_mul_f64 v[6:7], s[20:21], v[9:10]
	v_mul_f64 v[8:9], s[18:19], v[9:10]
	s_delay_alu instid0(VALU_DEP_3) | instskip(NEXT) | instid1(VALU_DEP_1)
	v_lshlrev_b64 v[0:1], 4, v[2:3]
	v_add_co_u32 v4, vcc_lo, v4, v0
	s_delay_alu instid0(VALU_DEP_2)
	v_add_co_ci_u32_e32 v5, vcc_lo, v5, v1, vcc_lo
	global_load_b128 v[0:3], v[4:5], off
	v_fma_f64 v[6:7], s[18:19], v[11:12], -v[6:7]
	v_fma_f64 v[8:9], s[20:21], v[11:12], v[8:9]
	s_waitcnt vmcnt(0)
	v_mul_f64 v[13:14], s[6:7], v[2:3]
	v_mul_f64 v[2:3], s[4:5], v[2:3]
	s_delay_alu instid0(VALU_DEP_2) | instskip(NEXT) | instid1(VALU_DEP_2)
	v_fma_f64 v[10:11], s[4:5], v[0:1], -v[13:14]
	v_fma_f64 v[2:3], s[6:7], v[0:1], v[2:3]
	s_delay_alu instid0(VALU_DEP_2) | instskip(NEXT) | instid1(VALU_DEP_2)
	v_add_f64 v[0:1], v[6:7], v[10:11]
	v_add_f64 v[2:3], v[8:9], v[2:3]
	global_store_b128 v[4:5], v[0:3], off
.LBB1687_17:
	s_nop 0
	s_sendmsg sendmsg(MSG_DEALLOC_VGPRS)
	s_endpgm
	.section	.rodata,"a",@progbits
	.p2align	6, 0x0
	.amdhsa_kernel _ZL34rocblas_syrkx_herkx_general_kernelIl19rocblas_complex_numIdELi16ELi32ELi8ELb0ELb0ELc78ELc76EKPKS1_KPS1_EviT_T0_PT8_S7_lSA_S7_lS8_PT9_S7_li
		.amdhsa_group_segment_fixed_size 8192
		.amdhsa_private_segment_fixed_size 0
		.amdhsa_kernarg_size 124
		.amdhsa_user_sgpr_count 13
		.amdhsa_user_sgpr_dispatch_ptr 0
		.amdhsa_user_sgpr_queue_ptr 0
		.amdhsa_user_sgpr_kernarg_segment_ptr 1
		.amdhsa_user_sgpr_dispatch_id 0
		.amdhsa_user_sgpr_private_segment_size 0
		.amdhsa_wavefront_size32 1
		.amdhsa_uses_dynamic_stack 0
		.amdhsa_enable_private_segment 0
		.amdhsa_system_sgpr_workgroup_id_x 1
		.amdhsa_system_sgpr_workgroup_id_y 1
		.amdhsa_system_sgpr_workgroup_id_z 1
		.amdhsa_system_sgpr_workgroup_info 0
		.amdhsa_system_vgpr_workitem_id 1
		.amdhsa_next_free_vgpr 119
		.amdhsa_next_free_sgpr 36
		.amdhsa_reserve_vcc 1
		.amdhsa_float_round_mode_32 0
		.amdhsa_float_round_mode_16_64 0
		.amdhsa_float_denorm_mode_32 3
		.amdhsa_float_denorm_mode_16_64 3
		.amdhsa_dx10_clamp 1
		.amdhsa_ieee_mode 1
		.amdhsa_fp16_overflow 0
		.amdhsa_workgroup_processor_mode 1
		.amdhsa_memory_ordered 1
		.amdhsa_forward_progress 0
		.amdhsa_shared_vgpr_count 0
		.amdhsa_exception_fp_ieee_invalid_op 0
		.amdhsa_exception_fp_denorm_src 0
		.amdhsa_exception_fp_ieee_div_zero 0
		.amdhsa_exception_fp_ieee_overflow 0
		.amdhsa_exception_fp_ieee_underflow 0
		.amdhsa_exception_fp_ieee_inexact 0
		.amdhsa_exception_int_div_zero 0
	.end_amdhsa_kernel
	.section	.text._ZL34rocblas_syrkx_herkx_general_kernelIl19rocblas_complex_numIdELi16ELi32ELi8ELb0ELb0ELc78ELc76EKPKS1_KPS1_EviT_T0_PT8_S7_lSA_S7_lS8_PT9_S7_li,"axG",@progbits,_ZL34rocblas_syrkx_herkx_general_kernelIl19rocblas_complex_numIdELi16ELi32ELi8ELb0ELb0ELc78ELc76EKPKS1_KPS1_EviT_T0_PT8_S7_lSA_S7_lS8_PT9_S7_li,comdat
.Lfunc_end1687:
	.size	_ZL34rocblas_syrkx_herkx_general_kernelIl19rocblas_complex_numIdELi16ELi32ELi8ELb0ELb0ELc78ELc76EKPKS1_KPS1_EviT_T0_PT8_S7_lSA_S7_lS8_PT9_S7_li, .Lfunc_end1687-_ZL34rocblas_syrkx_herkx_general_kernelIl19rocblas_complex_numIdELi16ELi32ELi8ELb0ELb0ELc78ELc76EKPKS1_KPS1_EviT_T0_PT8_S7_lSA_S7_lS8_PT9_S7_li
                                        ; -- End function
	.section	.AMDGPU.csdata,"",@progbits
; Kernel info:
; codeLenInByte = 3576
; NumSgprs: 38
; NumVgprs: 119
; ScratchSize: 0
; MemoryBound: 1
; FloatMode: 240
; IeeeMode: 1
; LDSByteSize: 8192 bytes/workgroup (compile time only)
; SGPRBlocks: 4
; VGPRBlocks: 14
; NumSGPRsForWavesPerEU: 38
; NumVGPRsForWavesPerEU: 119
; Occupancy: 12
; WaveLimiterHint : 1
; COMPUTE_PGM_RSRC2:SCRATCH_EN: 0
; COMPUTE_PGM_RSRC2:USER_SGPR: 13
; COMPUTE_PGM_RSRC2:TRAP_HANDLER: 0
; COMPUTE_PGM_RSRC2:TGID_X_EN: 1
; COMPUTE_PGM_RSRC2:TGID_Y_EN: 1
; COMPUTE_PGM_RSRC2:TGID_Z_EN: 1
; COMPUTE_PGM_RSRC2:TIDIG_COMP_CNT: 1
	.section	.text._ZL34rocblas_syrkx_herkx_general_kernelIl19rocblas_complex_numIdELi16ELi32ELi8ELb0ELb0ELc84ELc85EKPKS1_KPS1_EviT_T0_PT8_S7_lSA_S7_lS8_PT9_S7_li,"axG",@progbits,_ZL34rocblas_syrkx_herkx_general_kernelIl19rocblas_complex_numIdELi16ELi32ELi8ELb0ELb0ELc84ELc85EKPKS1_KPS1_EviT_T0_PT8_S7_lSA_S7_lS8_PT9_S7_li,comdat
	.globl	_ZL34rocblas_syrkx_herkx_general_kernelIl19rocblas_complex_numIdELi16ELi32ELi8ELb0ELb0ELc84ELc85EKPKS1_KPS1_EviT_T0_PT8_S7_lSA_S7_lS8_PT9_S7_li ; -- Begin function _ZL34rocblas_syrkx_herkx_general_kernelIl19rocblas_complex_numIdELi16ELi32ELi8ELb0ELb0ELc84ELc85EKPKS1_KPS1_EviT_T0_PT8_S7_lSA_S7_lS8_PT9_S7_li
	.p2align	8
	.type	_ZL34rocblas_syrkx_herkx_general_kernelIl19rocblas_complex_numIdELi16ELi32ELi8ELb0ELb0ELc84ELc85EKPKS1_KPS1_EviT_T0_PT8_S7_lSA_S7_lS8_PT9_S7_li,@function
_ZL34rocblas_syrkx_herkx_general_kernelIl19rocblas_complex_numIdELi16ELi32ELi8ELb0ELb0ELc84ELc85EKPKS1_KPS1_EviT_T0_PT8_S7_lSA_S7_lS8_PT9_S7_li: ; @_ZL34rocblas_syrkx_herkx_general_kernelIl19rocblas_complex_numIdELi16ELi32ELi8ELb0ELb0ELc84ELc85EKPKS1_KPS1_EviT_T0_PT8_S7_lSA_S7_lS8_PT9_S7_li
; %bb.0:
	s_clause 0x1
	s_load_b256 s[4:11], s[0:1], 0x50
	s_load_b256 s[16:23], s[0:1], 0x8
	s_mov_b32 s2, s15
	s_mov_b32 s3, 0
	s_load_b32 s15, s[0:1], 0x0
	s_lshl_b64 s[24:25], s[2:3], 3
	v_mov_b32_e32 v20, 0
	v_dual_mov_b32 v21, 0 :: v_dual_and_b32 v24, 0x3ff, v0
	v_bfe_u32 v25, v0, 10, 10
	s_delay_alu instid0(VALU_DEP_3) | instskip(NEXT) | instid1(VALU_DEP_3)
	v_mov_b32_e32 v16, v20
	v_dual_mov_b32 v18, v20 :: v_dual_mov_b32 v19, v21
	v_dual_mov_b32 v23, v21 :: v_dual_mov_b32 v22, v20
	;; [unrolled: 1-line block ×4, first 2 shown]
	v_mov_b32_e32 v15, v21
	s_waitcnt lgkmcnt(0)
	s_add_u32 s2, s8, s24
	s_addc_u32 s3, s9, s25
	s_load_b64 s[26:27], s[0:1], 0x28
	s_load_b64 s[8:9], s[2:3], 0x0
	v_cmp_lt_i64_e64 s2, s[16:17], 1
	v_dual_mov_b32 v8, v20 :: v_dual_mov_b32 v9, v21
	v_dual_mov_b32 v10, v20 :: v_dual_mov_b32 v11, v21
	s_lshl_b32 s28, s13, 5
	s_lshl_b32 s14, s14, 5
	s_delay_alu instid0(VALU_DEP_3)
	s_and_b32 vcc_lo, exec_lo, s2
	s_mov_b64 s[12:13], 0
	s_cbranch_vccnz .LBB1688_11
; %bb.1:
	v_lshl_add_u32 v0, v25, 4, v24
	s_load_b128 s[0:3], s[0:1], 0x38
	v_and_b32_e32 v26, 7, v24
	v_lshl_add_u32 v31, v25, 7, 0x1000
	s_delay_alu instid0(VALU_DEP_3) | instskip(SKIP_2) | instid1(VALU_DEP_3)
	v_and_b32_e32 v1, 31, v0
	v_lshrrev_b32_e32 v5, 3, v0
	v_lshrrev_b32_e32 v27, 5, v0
	v_add_nc_u32_e32 v0, s28, v1
	v_or_b32_e32 v8, s28, v1
	v_lshlrev_b32_e32 v9, 4, v1
	s_delay_alu instid0(VALU_DEP_3)
	v_ashrrev_i32_e32 v4, 31, v0
	s_waitcnt lgkmcnt(0)
	v_mul_lo_u32 v10, s27, v0
	v_mad_u64_u32 v[1:2], null, s26, v0, 0
	v_cmp_gt_i32_e32 vcc_lo, s15, v8
	v_mul_lo_u32 v11, s26, v4
	s_add_u32 s0, s0, s24
	s_addc_u32 s1, s1, s25
	s_add_u32 s22, s22, s24
	s_addc_u32 s23, s23, s25
	s_load_b64 s[24:25], s[0:1], 0x0
	s_load_b64 s[22:23], s[22:23], 0x0
	v_mov_b32_e32 v0, 0
	v_add3_u32 v2, v2, v11, v10
	v_mov_b32_e32 v10, 0
	v_dual_mov_b32 v11, 0 :: v_dual_add_nc_u32 v6, s14, v5
	v_lshlrev_b32_e32 v7, 4, v26
	v_lshl_or_b32 v28, v27, 9, v9
	s_delay_alu instid0(VALU_DEP_3) | instskip(NEXT) | instid1(VALU_DEP_4)
	v_dual_mov_b32 v8, v10 :: v_dual_mov_b32 v9, v11
	v_ashrrev_i32_e32 v3, 31, v6
	v_mul_lo_u32 v13, s3, v6
	v_lshl_or_b32 v5, v5, 7, v7
	v_lshlrev_b64 v[1:2], 4, v[1:2]
	v_lshlrev_b32_e32 v30, 4, v24
	v_mul_lo_u32 v12, s2, v3
	v_mad_u64_u32 v[3:4], null, s2, v6, 0
	v_add_nc_u32_e32 v29, 0x1000, v5
	v_lshlrev_b32_e32 v5, 4, v27
	v_cmp_gt_i32_e64 s0, s15, v6
	v_dual_mov_b32 v15, v11 :: v_dual_mov_b32 v14, v10
	v_dual_mov_b32 v19, v11 :: v_dual_mov_b32 v18, v10
	v_add3_u32 v4, v4, v12, v13
	v_dual_mov_b32 v13, v11 :: v_dual_mov_b32 v12, v10
	v_add_co_u32 v1, s1, v1, v5
	s_delay_alu instid0(VALU_DEP_3) | instskip(SKIP_3) | instid1(VALU_DEP_4)
	v_lshlrev_b64 v[3:4], 4, v[3:4]
	v_add_co_ci_u32_e64 v2, s1, 0, v2, s1
	v_dual_mov_b32 v17, v11 :: v_dual_mov_b32 v16, v10
	v_dual_mov_b32 v23, v11 :: v_dual_mov_b32 v22, v10
	v_add_co_u32 v3, s1, v3, v7
	s_delay_alu instid0(VALU_DEP_1) | instskip(SKIP_2) | instid1(VALU_DEP_1)
	v_add_co_ci_u32_e64 v7, s1, 0, v4, s1
	s_waitcnt lgkmcnt(0)
	v_add_co_u32 v4, s1, s22, v1
	v_add_co_ci_u32_e64 v5, s1, s23, v2, s1
	v_add_co_u32 v6, s1, s24, v3
	s_delay_alu instid0(VALU_DEP_1)
	v_add_co_ci_u32_e64 v7, s1, s25, v7, s1
	v_dual_mov_b32 v21, v11 :: v_dual_mov_b32 v20, v10
	s_xor_b32 s1, vcc_lo, -1
	s_xor_b32 s0, s0, -1
	s_branch .LBB1688_3
.LBB1688_2:                             ;   in Loop: Header=BB1688_3 Depth=1
	s_or_b32 exec_lo, exec_lo, s2
	s_waitcnt lgkmcnt(0)
	s_barrier
	buffer_gl0_inv
	ds_load_b128 v[32:35], v31
	ds_load_b128 v[36:39], v30
	ds_load_b128 v[40:43], v30 offset:256
	ds_load_b128 v[44:47], v31 offset:2048
	;; [unrolled: 1-line block ×9, first 2 shown]
	s_add_u32 s12, s12, 8
	s_addc_u32 s13, s13, 0
	v_add_co_u32 v4, vcc_lo, 0x80, v4
	v_cmp_ge_i64_e64 s2, s[12:13], s[16:17]
	v_add_co_ci_u32_e32 v5, vcc_lo, 0, v5, vcc_lo
	v_add_co_u32 v6, vcc_lo, 0x80, v6
	v_add_co_ci_u32_e32 v7, vcc_lo, 0, v7, vcc_lo
	s_delay_alu instid0(VALU_DEP_4)
	s_and_b32 vcc_lo, exec_lo, s2
	s_waitcnt lgkmcnt(9)
	v_mul_f64 v[1:2], v[34:35], v[38:39]
	v_mul_f64 v[76:77], v[32:33], v[38:39]
	s_waitcnt lgkmcnt(8)
	v_mul_f64 v[78:79], v[34:35], v[42:43]
	v_mul_f64 v[80:81], v[32:33], v[42:43]
	;; [unrolled: 3-line block ×3, first 2 shown]
	v_mul_f64 v[84:85], v[46:47], v[42:43]
	v_mul_f64 v[42:43], v[44:45], v[42:43]
	s_waitcnt lgkmcnt(4)
	v_mul_f64 v[86:87], v[50:51], v[58:59]
	v_mul_f64 v[88:89], v[48:49], v[58:59]
	s_waitcnt lgkmcnt(3)
	v_mul_f64 v[90:91], v[50:51], v[62:63]
	v_mul_f64 v[92:93], v[48:49], v[62:63]
	;; [unrolled: 1-line block ×6, first 2 shown]
	s_waitcnt lgkmcnt(0)
	v_mul_f64 v[114:115], v[74:75], v[66:67]
	v_mul_f64 v[116:117], v[74:75], v[70:71]
	v_fma_f64 v[1:2], v[32:33], v[36:37], -v[1:2]
	v_fma_f64 v[98:99], v[34:35], v[36:37], v[76:77]
	v_fma_f64 v[100:101], v[32:33], v[40:41], -v[78:79]
	v_fma_f64 v[80:81], v[34:35], v[40:41], v[80:81]
	;; [unrolled: 2-line block ×4, first 2 shown]
	ds_load_b128 v[76:79], v31 offset:32
	v_fma_f64 v[86:87], v[48:49], v[56:57], -v[86:87]
	v_fma_f64 v[88:89], v[50:51], v[56:57], v[88:89]
	v_fma_f64 v[48:49], v[48:49], v[60:61], -v[90:91]
	v_fma_f64 v[50:51], v[50:51], v[60:61], v[92:93]
	v_fma_f64 v[90:91], v[52:53], v[56:57], -v[94:95]
	v_fma_f64 v[56:57], v[54:55], v[56:57], v[58:59]
	v_fma_f64 v[52:53], v[52:53], v[60:61], -v[96:97]
	v_fma_f64 v[54:55], v[54:55], v[60:61], v[62:63]
	ds_load_b128 v[32:35], v31 offset:48
	ds_load_b128 v[36:39], v31 offset:2096
	ds_load_b128 v[40:43], v30 offset:1536
	ds_load_b128 v[44:47], v30 offset:1792
	s_waitcnt lgkmcnt(4)
	v_mul_f64 v[106:107], v[78:79], v[66:67]
	v_mul_f64 v[108:109], v[76:77], v[66:67]
	;; [unrolled: 1-line block ×6, first 2 shown]
	s_waitcnt lgkmcnt(1)
	v_mul_f64 v[92:93], v[32:33], v[42:43]
	s_waitcnt lgkmcnt(0)
	v_mul_f64 v[94:95], v[34:35], v[46:47]
	v_add_f64 v[1:2], v[20:21], v[1:2]
	v_add_f64 v[20:21], v[22:23], v[98:99]
	;; [unrolled: 1-line block ×8, first 2 shown]
	v_mul_f64 v[84:85], v[34:35], v[42:43]
	v_mul_f64 v[96:97], v[32:33], v[46:47]
	v_mul_f64 v[98:99], v[38:39], v[42:43]
	v_mul_f64 v[42:43], v[36:37], v[42:43]
	v_mul_f64 v[100:101], v[38:39], v[46:47]
	v_mul_f64 v[102:103], v[36:37], v[46:47]
	ds_load_b128 v[8:11], v30 offset:2048
	ds_load_b128 v[12:15], v30 offset:2304
	;; [unrolled: 1-line block ×3, first 2 shown]
	v_fma_f64 v[104:105], v[76:77], v[64:65], -v[106:107]
	v_fma_f64 v[106:107], v[78:79], v[64:65], v[108:109]
	v_fma_f64 v[76:77], v[76:77], v[68:69], -v[110:111]
	v_fma_f64 v[78:79], v[78:79], v[68:69], v[112:113]
	;; [unrolled: 2-line block ×4, first 2 shown]
	s_waitcnt lgkmcnt(0)
	v_mul_f64 v[114:115], v[18:19], v[10:11]
	v_mul_f64 v[116:117], v[18:19], v[14:15]
	v_add_f64 v[1:2], v[1:2], v[86:87]
	v_add_f64 v[70:71], v[20:21], v[88:89]
	;; [unrolled: 1-line block ×8, first 2 shown]
	ds_load_b128 v[20:23], v31 offset:64
	v_fma_f64 v[84:85], v[32:33], v[40:41], -v[84:85]
	v_fma_f64 v[92:93], v[34:35], v[40:41], v[92:93]
	v_fma_f64 v[94:95], v[32:33], v[44:45], -v[94:95]
	v_fma_f64 v[96:97], v[34:35], v[44:45], v[96:97]
	;; [unrolled: 2-line block ×4, first 2 shown]
	ds_load_b128 v[46:49], v31 offset:80
	ds_load_b128 v[50:53], v31 offset:2128
	ds_load_b128 v[54:57], v30 offset:2560
	ds_load_b128 v[58:61], v30 offset:2816
	ds_load_b128 v[32:35], v30 offset:3072
	ds_load_b128 v[36:39], v30 offset:3328
	ds_load_b128 v[40:43], v31 offset:2144
	s_waitcnt lgkmcnt(7)
	v_mul_f64 v[88:89], v[22:23], v[10:11]
	v_mul_f64 v[90:91], v[20:21], v[10:11]
	;; [unrolled: 1-line block ×6, first 2 shown]
	s_waitcnt lgkmcnt(3)
	v_mul_f64 v[102:103], v[52:53], v[60:61]
	v_add_f64 v[1:2], v[1:2], v[104:105]
	v_add_f64 v[70:71], v[70:71], v[106:107]
	;; [unrolled: 1-line block ×8, first 2 shown]
	v_mul_f64 v[68:69], v[48:49], v[56:57]
	v_mul_f64 v[78:79], v[46:47], v[56:57]
	;; [unrolled: 1-line block ×7, first 2 shown]
	v_fma_f64 v[88:89], v[20:21], v[8:9], -v[88:89]
	v_fma_f64 v[90:91], v[22:23], v[8:9], v[90:91]
	v_fma_f64 v[106:107], v[20:21], v[12:13], -v[110:111]
	v_fma_f64 v[108:109], v[22:23], v[12:13], v[112:113]
	;; [unrolled: 2-line block ×4, first 2 shown]
	ds_load_b128 v[8:11], v31 offset:96
	v_add_f64 v[1:2], v[1:2], v[84:85]
	v_add_f64 v[70:71], v[70:71], v[92:93]
	;; [unrolled: 1-line block ×8, first 2 shown]
	s_waitcnt lgkmcnt(1)
	v_mul_f64 v[98:99], v[42:43], v[34:35]
	v_mul_f64 v[100:101], v[42:43], v[38:39]
	v_fma_f64 v[68:69], v[46:47], v[54:55], -v[68:69]
	v_fma_f64 v[78:79], v[48:49], v[54:55], v[78:79]
	v_fma_f64 v[46:47], v[46:47], v[58:59], -v[80:81]
	v_fma_f64 v[48:49], v[48:49], v[58:59], v[82:83]
	;; [unrolled: 2-line block ×4, first 2 shown]
	s_waitcnt lgkmcnt(0)
	v_mul_f64 v[66:67], v[10:11], v[34:35]
	v_mul_f64 v[92:93], v[8:9], v[34:35]
	;; [unrolled: 1-line block ×6, first 2 shown]
	ds_load_b128 v[12:15], v31 offset:112
	ds_load_b128 v[16:19], v31 offset:2160
	;; [unrolled: 1-line block ×4, first 2 shown]
	s_waitcnt lgkmcnt(0)
	s_barrier
	buffer_gl0_inv
	v_add_f64 v[1:2], v[1:2], v[88:89]
	v_add_f64 v[56:57], v[70:71], v[90:91]
	;; [unrolled: 1-line block ×8, first 2 shown]
	v_mul_f64 v[76:77], v[14:15], v[22:23]
	v_mul_f64 v[82:83], v[12:13], v[22:23]
	;; [unrolled: 1-line block ×8, first 2 shown]
	v_fma_f64 v[66:67], v[8:9], v[32:33], -v[66:67]
	v_fma_f64 v[92:93], v[10:11], v[32:33], v[92:93]
	v_fma_f64 v[8:9], v[8:9], v[36:37], -v[94:95]
	v_fma_f64 v[10:11], v[10:11], v[36:37], v[96:97]
	;; [unrolled: 2-line block ×4, first 2 shown]
	v_add_f64 v[1:2], v[1:2], v[68:69]
	v_add_f64 v[38:39], v[56:57], v[78:79]
	;; [unrolled: 1-line block ×8, first 2 shown]
	v_fma_f64 v[52:53], v[12:13], v[20:21], -v[76:77]
	v_fma_f64 v[54:55], v[14:15], v[20:21], v[82:83]
	v_fma_f64 v[12:13], v[12:13], v[60:61], -v[84:85]
	v_fma_f64 v[14:15], v[14:15], v[60:61], v[86:87]
	;; [unrolled: 2-line block ×4, first 2 shown]
	v_add_f64 v[1:2], v[1:2], v[66:67]
	v_add_f64 v[16:17], v[38:39], v[92:93]
	;; [unrolled: 1-line block ×16, first 2 shown]
	s_cbranch_vccnz .LBB1688_11
.LBB1688_3:                             ; =>This Inner Loop Header: Depth=1
	v_add_co_u32 v1, s2, v27, s12
	s_delay_alu instid0(VALU_DEP_1) | instskip(NEXT) | instid1(VALU_DEP_1)
	v_add_co_ci_u32_e64 v2, null, 0, s13, s2
	v_cmp_le_i64_e32 vcc_lo, s[16:17], v[1:2]
	s_or_b32 s2, s1, vcc_lo
	s_delay_alu instid0(SALU_CYCLE_1) | instskip(NEXT) | instid1(SALU_CYCLE_1)
	s_and_saveexec_b32 s3, s2
	s_xor_b32 s2, exec_lo, s3
	s_cbranch_execz .LBB1688_5
; %bb.4:                                ;   in Loop: Header=BB1688_3 Depth=1
	v_mov_b32_e32 v1, v0
	v_mov_b32_e32 v2, v0
	;; [unrolled: 1-line block ×3, first 2 shown]
	ds_store_b128 v28, v[0:3]
.LBB1688_5:                             ;   in Loop: Header=BB1688_3 Depth=1
	s_and_not1_saveexec_b32 s2, s2
	s_cbranch_execz .LBB1688_7
; %bb.6:                                ;   in Loop: Header=BB1688_3 Depth=1
	global_load_b128 v[32:35], v[4:5], off
	s_waitcnt vmcnt(0)
	ds_store_2addr_b64 v28, v[32:33], v[34:35] offset1:1
.LBB1688_7:                             ;   in Loop: Header=BB1688_3 Depth=1
	s_or_b32 exec_lo, exec_lo, s2
	v_add_co_u32 v1, s2, v26, s12
	s_delay_alu instid0(VALU_DEP_1) | instskip(NEXT) | instid1(VALU_DEP_1)
	v_add_co_ci_u32_e64 v2, null, 0, s13, s2
	v_cmp_le_i64_e32 vcc_lo, s[16:17], v[1:2]
	s_or_b32 s2, vcc_lo, s0
	s_delay_alu instid0(SALU_CYCLE_1) | instskip(NEXT) | instid1(SALU_CYCLE_1)
	s_and_saveexec_b32 s3, s2
	s_xor_b32 s2, exec_lo, s3
	s_cbranch_execz .LBB1688_9
; %bb.8:                                ;   in Loop: Header=BB1688_3 Depth=1
	v_mov_b32_e32 v1, v0
	v_mov_b32_e32 v2, v0
	;; [unrolled: 1-line block ×3, first 2 shown]
	ds_store_b128 v29, v[0:3]
.LBB1688_9:                             ;   in Loop: Header=BB1688_3 Depth=1
	s_and_not1_saveexec_b32 s2, s2
	s_cbranch_execz .LBB1688_2
; %bb.10:                               ;   in Loop: Header=BB1688_3 Depth=1
	global_load_b128 v[32:35], v[6:7], off
	s_waitcnt vmcnt(0)
	ds_store_2addr_b64 v29, v[32:33], v[34:35] offset1:1
	s_branch .LBB1688_2
.LBB1688_11:
	v_add_nc_u32_e32 v4, s14, v25
	s_delay_alu instid0(VALU_DEP_1) | instskip(SKIP_3) | instid1(VALU_DEP_4)
	v_ashrrev_i32_e32 v0, 31, v4
	v_mul_lo_u32 v3, v4, s11
	v_mad_u64_u32 v[1:2], null, v4, s10, 0
	v_cmp_gt_i32_e32 vcc_lo, s15, v4
	v_mul_lo_u32 v0, v0, s10
	s_delay_alu instid0(VALU_DEP_1) | instskip(SKIP_1) | instid1(VALU_DEP_2)
	v_add3_u32 v2, v2, v3, v0
	v_add_nc_u32_e32 v0, s28, v24
	v_lshlrev_b64 v[1:2], 4, v[1:2]
	s_delay_alu instid0(VALU_DEP_2) | instskip(NEXT) | instid1(VALU_DEP_1)
	v_cmp_le_i32_e64 s0, v0, v4
	s_and_b32 s0, vcc_lo, s0
	s_waitcnt lgkmcnt(0)
	s_delay_alu instid0(VALU_DEP_2) | instskip(NEXT) | instid1(VALU_DEP_1)
	v_add_co_u32 v5, s1, s8, v1
	v_add_co_ci_u32_e64 v6, s1, s9, v2, s1
	s_and_saveexec_b32 s1, s0
	s_cbranch_execz .LBB1688_13
; %bb.12:
	v_ashrrev_i32_e32 v1, 31, v0
	v_mul_f64 v[28:29], s[20:21], v[22:23]
	v_mul_f64 v[22:23], s[18:19], v[22:23]
	s_delay_alu instid0(VALU_DEP_3) | instskip(NEXT) | instid1(VALU_DEP_1)
	v_lshlrev_b64 v[1:2], 4, v[0:1]
	v_add_co_u32 v1, s0, v5, v1
	s_delay_alu instid0(VALU_DEP_1)
	v_add_co_ci_u32_e64 v2, s0, v6, v2, s0
	global_load_b128 v[24:27], v[1:2], off
	v_fma_f64 v[28:29], s[18:19], v[20:21], -v[28:29]
	v_fma_f64 v[22:23], s[20:21], v[20:21], v[22:23]
	s_waitcnt vmcnt(0)
	v_mul_f64 v[30:31], s[6:7], v[26:27]
	v_mul_f64 v[26:27], s[4:5], v[26:27]
	s_delay_alu instid0(VALU_DEP_2) | instskip(NEXT) | instid1(VALU_DEP_2)
	v_fma_f64 v[20:21], s[4:5], v[24:25], -v[30:31]
	v_fma_f64 v[24:25], s[6:7], v[24:25], v[26:27]
	s_delay_alu instid0(VALU_DEP_2) | instskip(NEXT) | instid1(VALU_DEP_2)
	v_add_f64 v[20:21], v[28:29], v[20:21]
	v_add_f64 v[22:23], v[22:23], v[24:25]
	global_store_b128 v[1:2], v[20:23], off
.LBB1688_13:
	s_or_b32 exec_lo, exec_lo, s1
	v_add_nc_u32_e32 v2, 16, v0
	s_delay_alu instid0(VALU_DEP_1) | instskip(NEXT) | instid1(VALU_DEP_1)
	v_cmp_le_i32_e64 s0, v2, v4
	s_and_b32 s1, vcc_lo, s0
	s_delay_alu instid0(SALU_CYCLE_1)
	s_and_saveexec_b32 s0, s1
	s_cbranch_execz .LBB1688_15
; %bb.14:
	v_ashrrev_i32_e32 v3, 31, v2
	v_mul_f64 v[24:25], s[20:21], v[18:19]
	v_mul_f64 v[18:19], s[18:19], v[18:19]
	s_delay_alu instid0(VALU_DEP_3) | instskip(NEXT) | instid1(VALU_DEP_1)
	v_lshlrev_b64 v[20:21], 4, v[2:3]
	v_add_co_u32 v5, vcc_lo, v5, v20
	s_delay_alu instid0(VALU_DEP_2)
	v_add_co_ci_u32_e32 v6, vcc_lo, v6, v21, vcc_lo
	global_load_b128 v[20:23], v[5:6], off
	v_fma_f64 v[24:25], s[18:19], v[16:17], -v[24:25]
	v_fma_f64 v[18:19], s[20:21], v[16:17], v[18:19]
	s_waitcnt vmcnt(0)
	v_mul_f64 v[26:27], s[6:7], v[22:23]
	v_mul_f64 v[22:23], s[4:5], v[22:23]
	s_delay_alu instid0(VALU_DEP_2) | instskip(NEXT) | instid1(VALU_DEP_2)
	v_fma_f64 v[16:17], s[4:5], v[20:21], -v[26:27]
	v_fma_f64 v[20:21], s[6:7], v[20:21], v[22:23]
	s_delay_alu instid0(VALU_DEP_2) | instskip(NEXT) | instid1(VALU_DEP_2)
	v_add_f64 v[16:17], v[24:25], v[16:17]
	v_add_f64 v[18:19], v[18:19], v[20:21]
	global_store_b128 v[5:6], v[16:19], off
.LBB1688_15:
	s_or_b32 exec_lo, exec_lo, s0
	v_add_nc_u32_e32 v3, 16, v4
	s_delay_alu instid0(VALU_DEP_1) | instskip(SKIP_3) | instid1(VALU_DEP_4)
	v_ashrrev_i32_e32 v1, 31, v3
	v_mul_lo_u32 v6, v3, s11
	v_mad_u64_u32 v[4:5], null, v3, s10, 0
	v_cmp_gt_i32_e32 vcc_lo, s15, v3
	v_mul_lo_u32 v1, v1, s10
	v_cmp_le_i32_e64 s0, v0, v3
	s_delay_alu instid0(VALU_DEP_1) | instskip(NEXT) | instid1(VALU_DEP_2)
	s_and_b32 s0, vcc_lo, s0
	v_add3_u32 v5, v5, v6, v1
	s_delay_alu instid0(VALU_DEP_1) | instskip(NEXT) | instid1(VALU_DEP_1)
	v_lshlrev_b64 v[4:5], 4, v[4:5]
	v_add_co_u32 v4, s1, s8, v4
	s_delay_alu instid0(VALU_DEP_1)
	v_add_co_ci_u32_e64 v5, s1, s9, v5, s1
	s_and_saveexec_b32 s1, s0
	s_cbranch_execz .LBB1688_17
; %bb.16:
	v_ashrrev_i32_e32 v1, 31, v0
	v_mul_f64 v[6:7], s[20:21], v[14:15]
	v_mul_f64 v[14:15], s[18:19], v[14:15]
	s_delay_alu instid0(VALU_DEP_3) | instskip(NEXT) | instid1(VALU_DEP_1)
	v_lshlrev_b64 v[0:1], 4, v[0:1]
	v_add_co_u32 v0, s0, v4, v0
	s_delay_alu instid0(VALU_DEP_1)
	v_add_co_ci_u32_e64 v1, s0, v5, v1, s0
	global_load_b128 v[16:19], v[0:1], off
	v_fma_f64 v[6:7], s[18:19], v[12:13], -v[6:7]
	v_fma_f64 v[14:15], s[20:21], v[12:13], v[14:15]
	s_waitcnt vmcnt(0)
	v_mul_f64 v[20:21], s[6:7], v[18:19]
	v_mul_f64 v[18:19], s[4:5], v[18:19]
	s_delay_alu instid0(VALU_DEP_2) | instskip(NEXT) | instid1(VALU_DEP_2)
	v_fma_f64 v[12:13], s[4:5], v[16:17], -v[20:21]
	v_fma_f64 v[16:17], s[6:7], v[16:17], v[18:19]
	s_delay_alu instid0(VALU_DEP_2) | instskip(NEXT) | instid1(VALU_DEP_2)
	v_add_f64 v[12:13], v[6:7], v[12:13]
	v_add_f64 v[14:15], v[14:15], v[16:17]
	global_store_b128 v[0:1], v[12:15], off
.LBB1688_17:
	s_or_b32 exec_lo, exec_lo, s1
	v_cmp_le_i32_e64 s0, v2, v3
	s_delay_alu instid0(VALU_DEP_1) | instskip(NEXT) | instid1(SALU_CYCLE_1)
	s_and_b32 s0, vcc_lo, s0
	s_and_saveexec_b32 s1, s0
	s_cbranch_execz .LBB1688_19
; %bb.18:
	v_ashrrev_i32_e32 v3, 31, v2
	v_mul_f64 v[6:7], s[20:21], v[10:11]
	v_mul_f64 v[10:11], s[18:19], v[10:11]
	s_delay_alu instid0(VALU_DEP_3) | instskip(NEXT) | instid1(VALU_DEP_1)
	v_lshlrev_b64 v[0:1], 4, v[2:3]
	v_add_co_u32 v4, vcc_lo, v4, v0
	s_delay_alu instid0(VALU_DEP_2)
	v_add_co_ci_u32_e32 v5, vcc_lo, v5, v1, vcc_lo
	global_load_b128 v[0:3], v[4:5], off
	v_fma_f64 v[6:7], s[18:19], v[8:9], -v[6:7]
	v_fma_f64 v[8:9], s[20:21], v[8:9], v[10:11]
	s_waitcnt vmcnt(0)
	v_mul_f64 v[12:13], s[6:7], v[2:3]
	v_mul_f64 v[2:3], s[4:5], v[2:3]
	s_delay_alu instid0(VALU_DEP_2) | instskip(NEXT) | instid1(VALU_DEP_2)
	v_fma_f64 v[10:11], s[4:5], v[0:1], -v[12:13]
	v_fma_f64 v[2:3], s[6:7], v[0:1], v[2:3]
	s_delay_alu instid0(VALU_DEP_2) | instskip(NEXT) | instid1(VALU_DEP_2)
	v_add_f64 v[0:1], v[6:7], v[10:11]
	v_add_f64 v[2:3], v[8:9], v[2:3]
	global_store_b128 v[4:5], v[0:3], off
.LBB1688_19:
	s_nop 0
	s_sendmsg sendmsg(MSG_DEALLOC_VGPRS)
	s_endpgm
	.section	.rodata,"a",@progbits
	.p2align	6, 0x0
	.amdhsa_kernel _ZL34rocblas_syrkx_herkx_general_kernelIl19rocblas_complex_numIdELi16ELi32ELi8ELb0ELb0ELc84ELc85EKPKS1_KPS1_EviT_T0_PT8_S7_lSA_S7_lS8_PT9_S7_li
		.amdhsa_group_segment_fixed_size 8192
		.amdhsa_private_segment_fixed_size 0
		.amdhsa_kernarg_size 124
		.amdhsa_user_sgpr_count 13
		.amdhsa_user_sgpr_dispatch_ptr 0
		.amdhsa_user_sgpr_queue_ptr 0
		.amdhsa_user_sgpr_kernarg_segment_ptr 1
		.amdhsa_user_sgpr_dispatch_id 0
		.amdhsa_user_sgpr_private_segment_size 0
		.amdhsa_wavefront_size32 1
		.amdhsa_uses_dynamic_stack 0
		.amdhsa_enable_private_segment 0
		.amdhsa_system_sgpr_workgroup_id_x 1
		.amdhsa_system_sgpr_workgroup_id_y 1
		.amdhsa_system_sgpr_workgroup_id_z 1
		.amdhsa_system_sgpr_workgroup_info 0
		.amdhsa_system_vgpr_workitem_id 1
		.amdhsa_next_free_vgpr 120
		.amdhsa_next_free_sgpr 29
		.amdhsa_reserve_vcc 1
		.amdhsa_float_round_mode_32 0
		.amdhsa_float_round_mode_16_64 0
		.amdhsa_float_denorm_mode_32 3
		.amdhsa_float_denorm_mode_16_64 3
		.amdhsa_dx10_clamp 1
		.amdhsa_ieee_mode 1
		.amdhsa_fp16_overflow 0
		.amdhsa_workgroup_processor_mode 1
		.amdhsa_memory_ordered 1
		.amdhsa_forward_progress 0
		.amdhsa_shared_vgpr_count 0
		.amdhsa_exception_fp_ieee_invalid_op 0
		.amdhsa_exception_fp_denorm_src 0
		.amdhsa_exception_fp_ieee_div_zero 0
		.amdhsa_exception_fp_ieee_overflow 0
		.amdhsa_exception_fp_ieee_underflow 0
		.amdhsa_exception_fp_ieee_inexact 0
		.amdhsa_exception_int_div_zero 0
	.end_amdhsa_kernel
	.section	.text._ZL34rocblas_syrkx_herkx_general_kernelIl19rocblas_complex_numIdELi16ELi32ELi8ELb0ELb0ELc84ELc85EKPKS1_KPS1_EviT_T0_PT8_S7_lSA_S7_lS8_PT9_S7_li,"axG",@progbits,_ZL34rocblas_syrkx_herkx_general_kernelIl19rocblas_complex_numIdELi16ELi32ELi8ELb0ELb0ELc84ELc85EKPKS1_KPS1_EviT_T0_PT8_S7_lSA_S7_lS8_PT9_S7_li,comdat
.Lfunc_end1688:
	.size	_ZL34rocblas_syrkx_herkx_general_kernelIl19rocblas_complex_numIdELi16ELi32ELi8ELb0ELb0ELc84ELc85EKPKS1_KPS1_EviT_T0_PT8_S7_lSA_S7_lS8_PT9_S7_li, .Lfunc_end1688-_ZL34rocblas_syrkx_herkx_general_kernelIl19rocblas_complex_numIdELi16ELi32ELi8ELb0ELb0ELc84ELc85EKPKS1_KPS1_EviT_T0_PT8_S7_lSA_S7_lS8_PT9_S7_li
                                        ; -- End function
	.section	.AMDGPU.csdata,"",@progbits
; Kernel info:
; codeLenInByte = 3588
; NumSgprs: 31
; NumVgprs: 120
; ScratchSize: 0
; MemoryBound: 0
; FloatMode: 240
; IeeeMode: 1
; LDSByteSize: 8192 bytes/workgroup (compile time only)
; SGPRBlocks: 3
; VGPRBlocks: 14
; NumSGPRsForWavesPerEU: 31
; NumVGPRsForWavesPerEU: 120
; Occupancy: 12
; WaveLimiterHint : 1
; COMPUTE_PGM_RSRC2:SCRATCH_EN: 0
; COMPUTE_PGM_RSRC2:USER_SGPR: 13
; COMPUTE_PGM_RSRC2:TRAP_HANDLER: 0
; COMPUTE_PGM_RSRC2:TGID_X_EN: 1
; COMPUTE_PGM_RSRC2:TGID_Y_EN: 1
; COMPUTE_PGM_RSRC2:TGID_Z_EN: 1
; COMPUTE_PGM_RSRC2:TIDIG_COMP_CNT: 1
	.section	.text._ZL34rocblas_syrkx_herkx_general_kernelIl19rocblas_complex_numIdELi16ELi32ELi8ELb0ELb0ELc67ELc85EKPKS1_KPS1_EviT_T0_PT8_S7_lSA_S7_lS8_PT9_S7_li,"axG",@progbits,_ZL34rocblas_syrkx_herkx_general_kernelIl19rocblas_complex_numIdELi16ELi32ELi8ELb0ELb0ELc67ELc85EKPKS1_KPS1_EviT_T0_PT8_S7_lSA_S7_lS8_PT9_S7_li,comdat
	.globl	_ZL34rocblas_syrkx_herkx_general_kernelIl19rocblas_complex_numIdELi16ELi32ELi8ELb0ELb0ELc67ELc85EKPKS1_KPS1_EviT_T0_PT8_S7_lSA_S7_lS8_PT9_S7_li ; -- Begin function _ZL34rocblas_syrkx_herkx_general_kernelIl19rocblas_complex_numIdELi16ELi32ELi8ELb0ELb0ELc67ELc85EKPKS1_KPS1_EviT_T0_PT8_S7_lSA_S7_lS8_PT9_S7_li
	.p2align	8
	.type	_ZL34rocblas_syrkx_herkx_general_kernelIl19rocblas_complex_numIdELi16ELi32ELi8ELb0ELb0ELc67ELc85EKPKS1_KPS1_EviT_T0_PT8_S7_lSA_S7_lS8_PT9_S7_li,@function
_ZL34rocblas_syrkx_herkx_general_kernelIl19rocblas_complex_numIdELi16ELi32ELi8ELb0ELb0ELc67ELc85EKPKS1_KPS1_EviT_T0_PT8_S7_lSA_S7_lS8_PT9_S7_li: ; @_ZL34rocblas_syrkx_herkx_general_kernelIl19rocblas_complex_numIdELi16ELi32ELi8ELb0ELb0ELc67ELc85EKPKS1_KPS1_EviT_T0_PT8_S7_lSA_S7_lS8_PT9_S7_li
; %bb.0:
	s_clause 0x1
	s_load_b256 s[4:11], s[0:1], 0x50
	s_load_b256 s[16:23], s[0:1], 0x8
	s_mov_b32 s2, s15
	s_mov_b32 s3, 0
	s_load_b32 s15, s[0:1], 0x0
	s_lshl_b64 s[24:25], s[2:3], 3
	v_mov_b32_e32 v23, 0
	v_dual_mov_b32 v24, 0 :: v_dual_and_b32 v27, 0x3ff, v0
	v_bfe_u32 v28, v0, 10, 10
	s_delay_alu instid0(VALU_DEP_3) | instskip(NEXT) | instid1(VALU_DEP_3)
	v_mov_b32_e32 v19, v23
	v_dual_mov_b32 v21, v23 :: v_dual_mov_b32 v22, v24
	v_dual_mov_b32 v26, v24 :: v_dual_mov_b32 v25, v23
	;; [unrolled: 1-line block ×4, first 2 shown]
	v_mov_b32_e32 v18, v24
	s_waitcnt lgkmcnt(0)
	s_add_u32 s2, s8, s24
	s_addc_u32 s3, s9, s25
	s_load_b64 s[26:27], s[0:1], 0x28
	s_load_b64 s[8:9], s[2:3], 0x0
	v_cmp_lt_i64_e64 s2, s[16:17], 1
	v_dual_mov_b32 v11, v23 :: v_dual_mov_b32 v12, v24
	v_dual_mov_b32 v13, v23 :: v_dual_mov_b32 v14, v24
	s_lshl_b32 s28, s13, 5
	s_lshl_b32 s14, s14, 5
	s_delay_alu instid0(VALU_DEP_3)
	s_and_b32 vcc_lo, exec_lo, s2
	s_mov_b64 s[12:13], 0
	s_cbranch_vccnz .LBB1689_9
; %bb.1:
	s_load_b128 s[0:3], s[0:1], 0x38
	v_lshl_add_u32 v1, v28, 4, v27
	v_dual_mov_b32 v0, 0 :: v_dual_and_b32 v29, 7, v27
	v_lshl_add_u32 v31, v28, 7, 0x1000
	s_delay_alu instid0(VALU_DEP_3) | instskip(SKIP_3) | instid1(VALU_DEP_4)
	v_and_b32_e32 v2, 31, v1
	v_lshrrev_b32_e32 v3, 3, v1
	v_lshrrev_b32_e32 v32, 5, v1
	v_lshlrev_b32_e32 v6, 4, v29
	v_add_nc_u32_e32 v4, s28, v2
	s_delay_alu instid0(VALU_DEP_4) | instskip(SKIP_2) | instid1(VALU_DEP_4)
	v_add_nc_u32_e32 v5, s14, v3
	v_or_b32_e32 v7, s28, v2
	v_lshlrev_b32_e32 v8, 4, v2
	v_ashrrev_i32_e32 v10, 31, v4
	s_waitcnt lgkmcnt(0)
	v_mul_lo_u32 v11, s27, v4
	v_mad_u64_u32 v[1:2], null, s26, v4, 0
	s_add_u32 s30, s0, s24
	v_mul_lo_u32 v4, s26, v10
	s_addc_u32 s31, s1, s25
	s_add_u32 s0, s22, s24
	s_addc_u32 s1, s23, s25
	v_ashrrev_i32_e32 v9, 31, v5
	s_load_b64 s[22:23], s[0:1], 0x0
	v_lshl_or_b32 v10, v3, 7, v6
	v_mul_lo_u32 v12, s3, v5
	v_add3_u32 v2, v2, v4, v11
	v_mul_lo_u32 v9, s2, v9
	v_mad_u64_u32 v[3:4], null, s2, v5, 0
	v_lshlrev_b32_e32 v11, 4, v32
	s_delay_alu instid0(VALU_DEP_4) | instskip(SKIP_4) | instid1(VALU_DEP_4)
	v_lshlrev_b64 v[1:2], 4, v[1:2]
	s_load_b64 s[2:3], s[30:31], 0x0
	v_cmp_gt_i32_e32 vcc_lo, s15, v5
	v_cmp_gt_i32_e64 s0, s15, v7
	v_add3_u32 v4, v4, v9, v12
	v_add_co_u32 v5, s1, v1, v11
	s_delay_alu instid0(VALU_DEP_1) | instskip(NEXT) | instid1(VALU_DEP_3)
	v_add_co_ci_u32_e64 v7, s1, 0, v2, s1
	v_lshlrev_b64 v[1:2], 4, v[3:4]
	s_waitcnt lgkmcnt(0)
	s_delay_alu instid0(VALU_DEP_3) | instskip(NEXT) | instid1(VALU_DEP_1)
	v_add_co_u32 v3, s1, v5, s22
	v_add_co_ci_u32_e64 v4, s1, s23, v7, s1
	s_delay_alu instid0(VALU_DEP_3) | instskip(SKIP_4) | instid1(VALU_DEP_3)
	v_add_co_u32 v1, s1, v1, v6
	v_mov_b32_e32 v5, 0
	v_mov_b32_e32 v6, 0
	v_add_co_ci_u32_e64 v2, s1, 0, v2, s1
	v_add_co_u32 v7, s1, v3, 8
	v_dual_mov_b32 v18, v6 :: v_dual_mov_b32 v17, v5
	v_lshl_or_b32 v33, v32, 9, v8
	v_add_co_ci_u32_e64 v8, s1, 0, v4, s1
	v_add_co_u32 v9, s1, s2, v1
	v_mov_b32_e32 v14, v6
	v_mov_b32_e32 v12, v6
	;; [unrolled: 1-line block ×6, first 2 shown]
	v_dual_mov_b32 v24, v6 :: v_dual_mov_b32 v23, v5
	v_dual_mov_b32 v13, v5 :: v_dual_lshlrev_b32 v30, 4, v27
	v_dual_mov_b32 v15, v5 :: v_dual_add_nc_u32 v34, 0x1000, v10
	v_add_co_ci_u32_e64 v10, s1, s3, v2, s1
	v_mov_b32_e32 v11, v5
	v_mov_b32_e32 v21, v5
	;; [unrolled: 1-line block ×4, first 2 shown]
	s_xor_b32 s1, vcc_lo, -1
	s_branch .LBB1689_3
.LBB1689_2:                             ;   in Loop: Header=BB1689_3 Depth=1
	s_or_b32 exec_lo, exec_lo, s2
	s_waitcnt lgkmcnt(0)
	s_barrier
	buffer_gl0_inv
	ds_load_b128 v[1:4], v31
	ds_load_b128 v[35:38], v30
	ds_load_b128 v[39:42], v30 offset:256
	ds_load_b128 v[43:46], v31 offset:2048
	;; [unrolled: 1-line block ×9, first 2 shown]
	s_add_u32 s12, s12, 8
	s_addc_u32 s13, s13, 0
	v_add_co_u32 v7, vcc_lo, 0x80, v7
	v_cmp_ge_i64_e64 s2, s[12:13], s[16:17]
	v_add_co_ci_u32_e32 v8, vcc_lo, 0, v8, vcc_lo
	v_add_co_u32 v9, vcc_lo, 0x80, v9
	v_add_co_ci_u32_e32 v10, vcc_lo, 0, v10, vcc_lo
	s_delay_alu instid0(VALU_DEP_4)
	s_and_b32 vcc_lo, exec_lo, s2
	s_waitcnt lgkmcnt(9)
	v_mul_f64 v[75:76], v[3:4], v[37:38]
	v_mul_f64 v[77:78], v[1:2], v[37:38]
	s_waitcnt lgkmcnt(8)
	v_mul_f64 v[79:80], v[3:4], v[41:42]
	v_mul_f64 v[81:82], v[1:2], v[41:42]
	;; [unrolled: 3-line block ×3, first 2 shown]
	v_mul_f64 v[85:86], v[45:46], v[41:42]
	v_mul_f64 v[41:42], v[43:44], v[41:42]
	s_waitcnt lgkmcnt(4)
	v_mul_f64 v[87:88], v[49:50], v[57:58]
	v_mul_f64 v[89:90], v[47:48], v[57:58]
	s_waitcnt lgkmcnt(3)
	v_mul_f64 v[91:92], v[49:50], v[61:62]
	v_mul_f64 v[93:94], v[47:48], v[61:62]
	;; [unrolled: 1-line block ×6, first 2 shown]
	s_waitcnt lgkmcnt(0)
	v_mul_f64 v[115:116], v[73:74], v[65:66]
	v_mul_f64 v[117:118], v[73:74], v[69:70]
	v_fma_f64 v[99:100], v[1:2], v[35:36], -v[75:76]
	v_fma_f64 v[101:102], v[3:4], v[35:36], v[77:78]
	v_fma_f64 v[79:80], v[1:2], v[39:40], -v[79:80]
	v_fma_f64 v[81:82], v[3:4], v[39:40], v[81:82]
	;; [unrolled: 2-line block ×4, first 2 shown]
	ds_load_b128 v[75:78], v31 offset:32
	v_fma_f64 v[87:88], v[47:48], v[55:56], -v[87:88]
	v_fma_f64 v[89:90], v[49:50], v[55:56], v[89:90]
	v_fma_f64 v[47:48], v[47:48], v[59:60], -v[91:92]
	v_fma_f64 v[49:50], v[49:50], v[59:60], v[93:94]
	;; [unrolled: 2-line block ×4, first 2 shown]
	ds_load_b128 v[1:4], v31 offset:48
	ds_load_b128 v[35:38], v31 offset:2096
	;; [unrolled: 1-line block ×4, first 2 shown]
	s_waitcnt lgkmcnt(4)
	v_mul_f64 v[107:108], v[77:78], v[65:66]
	v_mul_f64 v[109:110], v[75:76], v[65:66]
	;; [unrolled: 1-line block ×6, first 2 shown]
	s_waitcnt lgkmcnt(1)
	v_mul_f64 v[93:94], v[1:2], v[41:42]
	s_waitcnt lgkmcnt(0)
	v_mul_f64 v[95:96], v[3:4], v[45:46]
	v_add_f64 v[23:24], v[23:24], v[99:100]
	v_add_f64 v[25:26], v[25:26], v[101:102]
	;; [unrolled: 1-line block ×8, first 2 shown]
	v_mul_f64 v[85:86], v[3:4], v[41:42]
	v_mul_f64 v[97:98], v[1:2], v[45:46]
	;; [unrolled: 1-line block ×6, first 2 shown]
	ds_load_b128 v[11:14], v30 offset:2048
	ds_load_b128 v[15:18], v30 offset:2304
	;; [unrolled: 1-line block ×3, first 2 shown]
	v_fma_f64 v[105:106], v[75:76], v[63:64], -v[107:108]
	v_fma_f64 v[107:108], v[77:78], v[63:64], v[109:110]
	v_fma_f64 v[75:76], v[75:76], v[67:68], -v[111:112]
	v_fma_f64 v[77:78], v[77:78], v[67:68], v[113:114]
	;; [unrolled: 2-line block ×4, first 2 shown]
	s_waitcnt lgkmcnt(0)
	v_mul_f64 v[115:116], v[21:22], v[13:14]
	v_mul_f64 v[117:118], v[21:22], v[17:18]
	v_add_f64 v[69:70], v[23:24], v[87:88]
	v_add_f64 v[71:72], v[25:26], v[89:90]
	;; [unrolled: 1-line block ×8, first 2 shown]
	ds_load_b128 v[23:26], v31 offset:64
	v_fma_f64 v[85:86], v[1:2], v[39:40], -v[85:86]
	v_fma_f64 v[93:94], v[3:4], v[39:40], v[93:94]
	v_fma_f64 v[95:96], v[1:2], v[43:44], -v[95:96]
	v_fma_f64 v[97:98], v[3:4], v[43:44], v[97:98]
	;; [unrolled: 2-line block ×4, first 2 shown]
	ds_load_b128 v[45:48], v31 offset:80
	ds_load_b128 v[49:52], v31 offset:2128
	;; [unrolled: 1-line block ×7, first 2 shown]
	s_waitcnt lgkmcnt(7)
	v_mul_f64 v[89:90], v[25:26], v[13:14]
	v_mul_f64 v[91:92], v[23:24], v[13:14]
	;; [unrolled: 1-line block ×6, first 2 shown]
	s_waitcnt lgkmcnt(3)
	v_mul_f64 v[103:104], v[51:52], v[59:60]
	v_add_f64 v[69:70], v[69:70], v[105:106]
	v_add_f64 v[71:72], v[71:72], v[107:108]
	;; [unrolled: 1-line block ×8, first 2 shown]
	v_mul_f64 v[77:78], v[47:48], v[55:56]
	v_mul_f64 v[79:80], v[45:46], v[55:56]
	;; [unrolled: 1-line block ×7, first 2 shown]
	v_fma_f64 v[89:90], v[23:24], v[11:12], -v[89:90]
	v_fma_f64 v[91:92], v[25:26], v[11:12], v[91:92]
	v_fma_f64 v[107:108], v[23:24], v[15:16], -v[111:112]
	v_fma_f64 v[109:110], v[25:26], v[15:16], v[113:114]
	;; [unrolled: 2-line block ×4, first 2 shown]
	ds_load_b128 v[11:14], v31 offset:96
	v_add_f64 v[69:70], v[69:70], v[85:86]
	v_add_f64 v[71:72], v[71:72], v[93:94]
	;; [unrolled: 1-line block ×8, first 2 shown]
	s_waitcnt lgkmcnt(1)
	v_mul_f64 v[99:100], v[41:42], v[3:4]
	v_mul_f64 v[101:102], v[41:42], v[37:38]
	v_fma_f64 v[77:78], v[45:46], v[53:54], -v[77:78]
	v_fma_f64 v[79:80], v[47:48], v[53:54], v[79:80]
	v_fma_f64 v[45:46], v[45:46], v[57:58], -v[81:82]
	v_fma_f64 v[47:48], v[47:48], v[57:58], v[83:84]
	;; [unrolled: 2-line block ×4, first 2 shown]
	s_waitcnt lgkmcnt(0)
	v_mul_f64 v[67:68], v[13:14], v[3:4]
	v_mul_f64 v[93:94], v[11:12], v[3:4]
	;; [unrolled: 1-line block ×6, first 2 shown]
	ds_load_b128 v[15:18], v31 offset:112
	ds_load_b128 v[19:22], v31 offset:2160
	;; [unrolled: 1-line block ×4, first 2 shown]
	s_waitcnt lgkmcnt(0)
	s_barrier
	buffer_gl0_inv
	v_add_f64 v[55:56], v[69:70], v[89:90]
	v_add_f64 v[57:58], v[71:72], v[91:92]
	;; [unrolled: 1-line block ×8, first 2 shown]
	v_mul_f64 v[75:76], v[17:18], v[25:26]
	v_mul_f64 v[83:84], v[15:16], v[25:26]
	v_mul_f64 v[85:86], v[17:18], v[61:62]
	v_mul_f64 v[87:88], v[15:16], v[61:62]
	v_mul_f64 v[89:90], v[21:22], v[25:26]
	v_mul_f64 v[25:26], v[19:20], v[25:26]
	v_mul_f64 v[91:92], v[21:22], v[61:62]
	v_mul_f64 v[61:62], v[19:20], v[61:62]
	v_fma_f64 v[67:68], v[11:12], v[1:2], -v[67:68]
	v_fma_f64 v[93:94], v[13:14], v[1:2], v[93:94]
	v_fma_f64 v[11:12], v[11:12], v[35:36], -v[95:96]
	v_fma_f64 v[13:14], v[13:14], v[35:36], v[97:98]
	;; [unrolled: 2-line block ×4, first 2 shown]
	v_add_f64 v[37:38], v[55:56], v[77:78]
	v_add_f64 v[39:40], v[57:58], v[79:80]
	;; [unrolled: 1-line block ×8, first 2 shown]
	v_fma_f64 v[51:52], v[15:16], v[23:24], -v[75:76]
	v_fma_f64 v[55:56], v[17:18], v[23:24], v[83:84]
	v_fma_f64 v[15:16], v[15:16], v[59:60], -v[85:86]
	v_fma_f64 v[17:18], v[17:18], v[59:60], v[87:88]
	;; [unrolled: 2-line block ×4, first 2 shown]
	v_add_f64 v[19:20], v[37:38], v[67:68]
	v_add_f64 v[21:22], v[39:40], v[93:94]
	v_add_f64 v[11:12], v[41:42], v[11:12]
	v_add_f64 v[13:14], v[45:46], v[13:14]
	v_add_f64 v[37:38], v[47:48], v[95:96]
	v_add_f64 v[1:2], v[53:54], v[1:2]
	v_add_f64 v[3:4], v[49:50], v[3:4]
	v_add_f64 v[35:36], v[43:44], v[35:36]
	v_add_f64 v[23:24], v[19:20], v[51:52]
	v_add_f64 v[25:26], v[21:22], v[55:56]
	v_add_f64 v[19:20], v[11:12], v[15:16]
	v_add_f64 v[21:22], v[13:14], v[17:18]
	v_add_f64 v[15:16], v[37:38], v[57:58]
	v_add_f64 v[17:18], v[1:2], v[63:64]
	v_add_f64 v[11:12], v[3:4], v[65:66]
	v_add_f64 v[13:14], v[35:36], v[59:60]
	s_cbranch_vccnz .LBB1689_9
.LBB1689_3:                             ; =>This Inner Loop Header: Depth=1
	v_add_co_u32 v1, s2, v32, s12
	s_delay_alu instid0(VALU_DEP_1) | instskip(SKIP_1) | instid1(VALU_DEP_2)
	v_add_co_ci_u32_e64 v2, null, 0, s13, s2
	v_dual_mov_b32 v3, v5 :: v_dual_mov_b32 v4, v6
	v_cmp_gt_i64_e32 vcc_lo, s[16:17], v[1:2]
	v_dual_mov_b32 v1, v5 :: v_dual_mov_b32 v2, v6
	s_and_b32 s3, s0, vcc_lo
	s_delay_alu instid0(SALU_CYCLE_1)
	s_and_saveexec_b32 s2, s3
	s_cbranch_execz .LBB1689_5
; %bb.4:                                ;   in Loop: Header=BB1689_3 Depth=1
	global_load_b128 v[1:4], v[7:8], off offset:-8
.LBB1689_5:                             ;   in Loop: Header=BB1689_3 Depth=1
	s_or_b32 exec_lo, exec_lo, s2
	v_add_co_u32 v35, s2, v29, s12
	s_delay_alu instid0(VALU_DEP_1) | instskip(SKIP_4) | instid1(SALU_CYCLE_1)
	v_add_co_ci_u32_e64 v36, null, 0, s13, s2
	s_waitcnt vmcnt(0)
	ds_store_b128 v33, v[1:4]
	v_cmp_le_i64_e32 vcc_lo, s[16:17], v[35:36]
	s_or_b32 s2, vcc_lo, s1
	s_and_saveexec_b32 s3, s2
	s_delay_alu instid0(SALU_CYCLE_1)
	s_xor_b32 s2, exec_lo, s3
	s_cbranch_execz .LBB1689_7
; %bb.6:                                ;   in Loop: Header=BB1689_3 Depth=1
	v_mov_b32_e32 v1, v0
	v_mov_b32_e32 v2, v0
	;; [unrolled: 1-line block ×3, first 2 shown]
	ds_store_b128 v34, v[0:3]
.LBB1689_7:                             ;   in Loop: Header=BB1689_3 Depth=1
	s_and_not1_saveexec_b32 s2, s2
	s_cbranch_execz .LBB1689_2
; %bb.8:                                ;   in Loop: Header=BB1689_3 Depth=1
	global_load_b128 v[1:4], v[9:10], off
	s_waitcnt vmcnt(0)
	ds_store_2addr_b64 v34, v[1:2], v[3:4] offset1:1
	s_branch .LBB1689_2
.LBB1689_9:
	v_add_nc_u32_e32 v4, s14, v28
	s_delay_alu instid0(VALU_DEP_1) | instskip(SKIP_3) | instid1(VALU_DEP_4)
	v_ashrrev_i32_e32 v0, 31, v4
	v_mul_lo_u32 v3, v4, s11
	v_mad_u64_u32 v[1:2], null, v4, s10, 0
	v_cmp_gt_i32_e32 vcc_lo, s15, v4
	v_mul_lo_u32 v0, v0, s10
	s_delay_alu instid0(VALU_DEP_1) | instskip(SKIP_1) | instid1(VALU_DEP_2)
	v_add3_u32 v2, v2, v3, v0
	v_add_nc_u32_e32 v0, s28, v27
	v_lshlrev_b64 v[1:2], 4, v[1:2]
	s_delay_alu instid0(VALU_DEP_2) | instskip(NEXT) | instid1(VALU_DEP_1)
	v_cmp_le_i32_e64 s0, v0, v4
	s_and_b32 s0, vcc_lo, s0
	s_waitcnt lgkmcnt(0)
	s_delay_alu instid0(VALU_DEP_2) | instskip(NEXT) | instid1(VALU_DEP_1)
	v_add_co_u32 v5, s1, s8, v1
	v_add_co_ci_u32_e64 v6, s1, s9, v2, s1
	s_and_saveexec_b32 s1, s0
	s_cbranch_execz .LBB1689_11
; %bb.10:
	v_ashrrev_i32_e32 v1, 31, v0
	v_mul_f64 v[27:28], s[20:21], v[25:26]
	v_mul_f64 v[25:26], s[18:19], v[25:26]
	s_delay_alu instid0(VALU_DEP_3) | instskip(NEXT) | instid1(VALU_DEP_1)
	v_lshlrev_b64 v[1:2], 4, v[0:1]
	v_add_co_u32 v1, s0, v5, v1
	s_delay_alu instid0(VALU_DEP_1)
	v_add_co_ci_u32_e64 v2, s0, v6, v2, s0
	global_load_b128 v[7:10], v[1:2], off
	v_fma_f64 v[27:28], s[18:19], v[23:24], -v[27:28]
	v_fma_f64 v[23:24], s[20:21], v[23:24], v[25:26]
	s_waitcnt vmcnt(0)
	v_mul_f64 v[29:30], s[6:7], v[9:10]
	v_mul_f64 v[9:10], s[4:5], v[9:10]
	s_delay_alu instid0(VALU_DEP_2) | instskip(NEXT) | instid1(VALU_DEP_2)
	v_fma_f64 v[25:26], s[4:5], v[7:8], -v[29:30]
	v_fma_f64 v[9:10], s[6:7], v[7:8], v[9:10]
	s_delay_alu instid0(VALU_DEP_2) | instskip(NEXT) | instid1(VALU_DEP_2)
	v_add_f64 v[7:8], v[27:28], v[25:26]
	v_add_f64 v[9:10], v[23:24], v[9:10]
	global_store_b128 v[1:2], v[7:10], off
.LBB1689_11:
	s_or_b32 exec_lo, exec_lo, s1
	v_add_nc_u32_e32 v2, 16, v0
	s_delay_alu instid0(VALU_DEP_1) | instskip(NEXT) | instid1(VALU_DEP_1)
	v_cmp_le_i32_e64 s0, v2, v4
	s_and_b32 s1, vcc_lo, s0
	s_delay_alu instid0(SALU_CYCLE_1)
	s_and_saveexec_b32 s0, s1
	s_cbranch_execz .LBB1689_13
; %bb.12:
	v_ashrrev_i32_e32 v3, 31, v2
	v_mul_f64 v[23:24], s[20:21], v[21:22]
	v_mul_f64 v[21:22], s[18:19], v[21:22]
	s_delay_alu instid0(VALU_DEP_3) | instskip(NEXT) | instid1(VALU_DEP_1)
	v_lshlrev_b64 v[7:8], 4, v[2:3]
	v_add_co_u32 v9, vcc_lo, v5, v7
	s_delay_alu instid0(VALU_DEP_2)
	v_add_co_ci_u32_e32 v10, vcc_lo, v6, v8, vcc_lo
	global_load_b128 v[5:8], v[9:10], off
	v_fma_f64 v[23:24], s[18:19], v[19:20], -v[23:24]
	v_fma_f64 v[19:20], s[20:21], v[19:20], v[21:22]
	s_waitcnt vmcnt(0)
	v_mul_f64 v[25:26], s[6:7], v[7:8]
	v_mul_f64 v[7:8], s[4:5], v[7:8]
	s_delay_alu instid0(VALU_DEP_2) | instskip(NEXT) | instid1(VALU_DEP_2)
	v_fma_f64 v[21:22], s[4:5], v[5:6], -v[25:26]
	v_fma_f64 v[7:8], s[6:7], v[5:6], v[7:8]
	s_delay_alu instid0(VALU_DEP_2) | instskip(NEXT) | instid1(VALU_DEP_2)
	v_add_f64 v[5:6], v[23:24], v[21:22]
	v_add_f64 v[7:8], v[19:20], v[7:8]
	global_store_b128 v[9:10], v[5:8], off
.LBB1689_13:
	s_or_b32 exec_lo, exec_lo, s0
	v_add_nc_u32_e32 v3, 16, v4
	s_delay_alu instid0(VALU_DEP_1) | instskip(SKIP_3) | instid1(VALU_DEP_4)
	v_ashrrev_i32_e32 v1, 31, v3
	v_mul_lo_u32 v6, v3, s11
	v_mad_u64_u32 v[4:5], null, v3, s10, 0
	v_cmp_gt_i32_e32 vcc_lo, s15, v3
	v_mul_lo_u32 v1, v1, s10
	v_cmp_le_i32_e64 s0, v0, v3
	s_delay_alu instid0(VALU_DEP_1) | instskip(NEXT) | instid1(VALU_DEP_2)
	s_and_b32 s0, vcc_lo, s0
	v_add3_u32 v5, v5, v6, v1
	s_delay_alu instid0(VALU_DEP_1) | instskip(NEXT) | instid1(VALU_DEP_1)
	v_lshlrev_b64 v[4:5], 4, v[4:5]
	v_add_co_u32 v4, s1, s8, v4
	s_delay_alu instid0(VALU_DEP_1)
	v_add_co_ci_u32_e64 v5, s1, s9, v5, s1
	s_and_saveexec_b32 s1, s0
	s_cbranch_execz .LBB1689_15
; %bb.14:
	v_ashrrev_i32_e32 v1, 31, v0
	v_mul_f64 v[19:20], s[20:21], v[17:18]
	v_mul_f64 v[17:18], s[18:19], v[17:18]
	s_delay_alu instid0(VALU_DEP_3) | instskip(NEXT) | instid1(VALU_DEP_1)
	v_lshlrev_b64 v[0:1], 4, v[0:1]
	v_add_co_u32 v0, s0, v4, v0
	s_delay_alu instid0(VALU_DEP_1)
	v_add_co_ci_u32_e64 v1, s0, v5, v1, s0
	global_load_b128 v[6:9], v[0:1], off
	v_fma_f64 v[19:20], s[18:19], v[15:16], -v[19:20]
	v_fma_f64 v[15:16], s[20:21], v[15:16], v[17:18]
	s_waitcnt vmcnt(0)
	v_mul_f64 v[21:22], s[6:7], v[8:9]
	v_mul_f64 v[8:9], s[4:5], v[8:9]
	s_delay_alu instid0(VALU_DEP_2) | instskip(NEXT) | instid1(VALU_DEP_2)
	v_fma_f64 v[17:18], s[4:5], v[6:7], -v[21:22]
	v_fma_f64 v[8:9], s[6:7], v[6:7], v[8:9]
	s_delay_alu instid0(VALU_DEP_2) | instskip(NEXT) | instid1(VALU_DEP_2)
	v_add_f64 v[6:7], v[19:20], v[17:18]
	v_add_f64 v[8:9], v[15:16], v[8:9]
	global_store_b128 v[0:1], v[6:9], off
.LBB1689_15:
	s_or_b32 exec_lo, exec_lo, s1
	v_cmp_le_i32_e64 s0, v2, v3
	s_delay_alu instid0(VALU_DEP_1) | instskip(NEXT) | instid1(SALU_CYCLE_1)
	s_and_b32 s0, vcc_lo, s0
	s_and_saveexec_b32 s1, s0
	s_cbranch_execz .LBB1689_17
; %bb.16:
	v_ashrrev_i32_e32 v3, 31, v2
	v_mul_f64 v[6:7], s[20:21], v[13:14]
	v_mul_f64 v[8:9], s[18:19], v[13:14]
	s_delay_alu instid0(VALU_DEP_3) | instskip(NEXT) | instid1(VALU_DEP_1)
	v_lshlrev_b64 v[0:1], 4, v[2:3]
	v_add_co_u32 v4, vcc_lo, v4, v0
	s_delay_alu instid0(VALU_DEP_2)
	v_add_co_ci_u32_e32 v5, vcc_lo, v5, v1, vcc_lo
	global_load_b128 v[0:3], v[4:5], off
	v_fma_f64 v[6:7], s[18:19], v[11:12], -v[6:7]
	v_fma_f64 v[8:9], s[20:21], v[11:12], v[8:9]
	s_waitcnt vmcnt(0)
	v_mul_f64 v[13:14], s[6:7], v[2:3]
	v_mul_f64 v[2:3], s[4:5], v[2:3]
	s_delay_alu instid0(VALU_DEP_2) | instskip(NEXT) | instid1(VALU_DEP_2)
	v_fma_f64 v[10:11], s[4:5], v[0:1], -v[13:14]
	v_fma_f64 v[2:3], s[6:7], v[0:1], v[2:3]
	s_delay_alu instid0(VALU_DEP_2) | instskip(NEXT) | instid1(VALU_DEP_2)
	v_add_f64 v[0:1], v[6:7], v[10:11]
	v_add_f64 v[2:3], v[8:9], v[2:3]
	global_store_b128 v[4:5], v[0:3], off
.LBB1689_17:
	s_nop 0
	s_sendmsg sendmsg(MSG_DEALLOC_VGPRS)
	s_endpgm
	.section	.rodata,"a",@progbits
	.p2align	6, 0x0
	.amdhsa_kernel _ZL34rocblas_syrkx_herkx_general_kernelIl19rocblas_complex_numIdELi16ELi32ELi8ELb0ELb0ELc67ELc85EKPKS1_KPS1_EviT_T0_PT8_S7_lSA_S7_lS8_PT9_S7_li
		.amdhsa_group_segment_fixed_size 8192
		.amdhsa_private_segment_fixed_size 0
		.amdhsa_kernarg_size 124
		.amdhsa_user_sgpr_count 13
		.amdhsa_user_sgpr_dispatch_ptr 0
		.amdhsa_user_sgpr_queue_ptr 0
		.amdhsa_user_sgpr_kernarg_segment_ptr 1
		.amdhsa_user_sgpr_dispatch_id 0
		.amdhsa_user_sgpr_private_segment_size 0
		.amdhsa_wavefront_size32 1
		.amdhsa_uses_dynamic_stack 0
		.amdhsa_enable_private_segment 0
		.amdhsa_system_sgpr_workgroup_id_x 1
		.amdhsa_system_sgpr_workgroup_id_y 1
		.amdhsa_system_sgpr_workgroup_id_z 1
		.amdhsa_system_sgpr_workgroup_info 0
		.amdhsa_system_vgpr_workitem_id 1
		.amdhsa_next_free_vgpr 121
		.amdhsa_next_free_sgpr 32
		.amdhsa_reserve_vcc 1
		.amdhsa_float_round_mode_32 0
		.amdhsa_float_round_mode_16_64 0
		.amdhsa_float_denorm_mode_32 3
		.amdhsa_float_denorm_mode_16_64 3
		.amdhsa_dx10_clamp 1
		.amdhsa_ieee_mode 1
		.amdhsa_fp16_overflow 0
		.amdhsa_workgroup_processor_mode 1
		.amdhsa_memory_ordered 1
		.amdhsa_forward_progress 0
		.amdhsa_shared_vgpr_count 0
		.amdhsa_exception_fp_ieee_invalid_op 0
		.amdhsa_exception_fp_denorm_src 0
		.amdhsa_exception_fp_ieee_div_zero 0
		.amdhsa_exception_fp_ieee_overflow 0
		.amdhsa_exception_fp_ieee_underflow 0
		.amdhsa_exception_fp_ieee_inexact 0
		.amdhsa_exception_int_div_zero 0
	.end_amdhsa_kernel
	.section	.text._ZL34rocblas_syrkx_herkx_general_kernelIl19rocblas_complex_numIdELi16ELi32ELi8ELb0ELb0ELc67ELc85EKPKS1_KPS1_EviT_T0_PT8_S7_lSA_S7_lS8_PT9_S7_li,"axG",@progbits,_ZL34rocblas_syrkx_herkx_general_kernelIl19rocblas_complex_numIdELi16ELi32ELi8ELb0ELb0ELc67ELc85EKPKS1_KPS1_EviT_T0_PT8_S7_lSA_S7_lS8_PT9_S7_li,comdat
.Lfunc_end1689:
	.size	_ZL34rocblas_syrkx_herkx_general_kernelIl19rocblas_complex_numIdELi16ELi32ELi8ELb0ELb0ELc67ELc85EKPKS1_KPS1_EviT_T0_PT8_S7_lSA_S7_lS8_PT9_S7_li, .Lfunc_end1689-_ZL34rocblas_syrkx_herkx_general_kernelIl19rocblas_complex_numIdELi16ELi32ELi8ELb0ELb0ELc67ELc85EKPKS1_KPS1_EviT_T0_PT8_S7_lSA_S7_lS8_PT9_S7_li
                                        ; -- End function
	.section	.AMDGPU.csdata,"",@progbits
; Kernel info:
; codeLenInByte = 3592
; NumSgprs: 34
; NumVgprs: 121
; ScratchSize: 0
; MemoryBound: 1
; FloatMode: 240
; IeeeMode: 1
; LDSByteSize: 8192 bytes/workgroup (compile time only)
; SGPRBlocks: 4
; VGPRBlocks: 15
; NumSGPRsForWavesPerEU: 34
; NumVGPRsForWavesPerEU: 121
; Occupancy: 10
; WaveLimiterHint : 1
; COMPUTE_PGM_RSRC2:SCRATCH_EN: 0
; COMPUTE_PGM_RSRC2:USER_SGPR: 13
; COMPUTE_PGM_RSRC2:TRAP_HANDLER: 0
; COMPUTE_PGM_RSRC2:TGID_X_EN: 1
; COMPUTE_PGM_RSRC2:TGID_Y_EN: 1
; COMPUTE_PGM_RSRC2:TGID_Z_EN: 1
; COMPUTE_PGM_RSRC2:TIDIG_COMP_CNT: 1
	.section	.text._ZL34rocblas_syrkx_herkx_general_kernelIl19rocblas_complex_numIdELi16ELi32ELi8ELb0ELb0ELc78ELc85EKPKS1_KPS1_EviT_T0_PT8_S7_lSA_S7_lS8_PT9_S7_li,"axG",@progbits,_ZL34rocblas_syrkx_herkx_general_kernelIl19rocblas_complex_numIdELi16ELi32ELi8ELb0ELb0ELc78ELc85EKPKS1_KPS1_EviT_T0_PT8_S7_lSA_S7_lS8_PT9_S7_li,comdat
	.globl	_ZL34rocblas_syrkx_herkx_general_kernelIl19rocblas_complex_numIdELi16ELi32ELi8ELb0ELb0ELc78ELc85EKPKS1_KPS1_EviT_T0_PT8_S7_lSA_S7_lS8_PT9_S7_li ; -- Begin function _ZL34rocblas_syrkx_herkx_general_kernelIl19rocblas_complex_numIdELi16ELi32ELi8ELb0ELb0ELc78ELc85EKPKS1_KPS1_EviT_T0_PT8_S7_lSA_S7_lS8_PT9_S7_li
	.p2align	8
	.type	_ZL34rocblas_syrkx_herkx_general_kernelIl19rocblas_complex_numIdELi16ELi32ELi8ELb0ELb0ELc78ELc85EKPKS1_KPS1_EviT_T0_PT8_S7_lSA_S7_lS8_PT9_S7_li,@function
_ZL34rocblas_syrkx_herkx_general_kernelIl19rocblas_complex_numIdELi16ELi32ELi8ELb0ELb0ELc78ELc85EKPKS1_KPS1_EviT_T0_PT8_S7_lSA_S7_lS8_PT9_S7_li: ; @_ZL34rocblas_syrkx_herkx_general_kernelIl19rocblas_complex_numIdELi16ELi32ELi8ELb0ELb0ELc78ELc85EKPKS1_KPS1_EviT_T0_PT8_S7_lSA_S7_lS8_PT9_S7_li
; %bb.0:
	s_clause 0x1
	s_load_b256 s[4:11], s[0:1], 0x50
	s_load_b256 s[16:23], s[0:1], 0x8
	s_mov_b32 s2, s15
	s_mov_b32 s3, 0
	s_load_b32 s28, s[0:1], 0x0
	s_lshl_b64 s[26:27], s[2:3], 3
	v_mov_b32_e32 v21, 0
	v_dual_mov_b32 v22, 0 :: v_dual_and_b32 v25, 0x3ff, v0
	v_bfe_u32 v26, v0, 10, 10
	s_delay_alu instid0(VALU_DEP_3) | instskip(NEXT) | instid1(VALU_DEP_3)
	v_mov_b32_e32 v17, v21
	v_dual_mov_b32 v19, v21 :: v_dual_mov_b32 v20, v22
	v_dual_mov_b32 v24, v22 :: v_dual_mov_b32 v23, v21
	;; [unrolled: 1-line block ×4, first 2 shown]
	v_mov_b32_e32 v16, v22
	s_waitcnt lgkmcnt(0)
	s_add_u32 s2, s8, s26
	s_addc_u32 s3, s9, s27
	s_load_b64 s[24:25], s[0:1], 0x28
	s_load_b64 s[8:9], s[2:3], 0x0
	v_cmp_lt_i64_e64 s2, s[16:17], 1
	v_dual_mov_b32 v11, v21 :: v_dual_mov_b32 v12, v22
	v_dual_mov_b32 v9, v21 :: v_dual_mov_b32 v10, v22
	s_lshl_b32 s29, s13, 5
	s_lshl_b32 s30, s14, 5
	s_delay_alu instid0(VALU_DEP_3)
	s_and_b32 vcc_lo, exec_lo, s2
	s_mov_b64 s[12:13], 0
	s_cbranch_vccnz .LBB1690_9
; %bb.1:
	s_load_b128 s[0:3], s[0:1], 0x38
	v_lshl_add_u32 v1, v26, 4, v25
	v_dual_mov_b32 v0, 0 :: v_dual_and_b32 v27, 7, v25
	v_dual_mov_b32 v9, 0 :: v_dual_lshlrev_b32 v28, 4, v25
	s_delay_alu instid0(VALU_DEP_3)
	v_lshrrev_b32_e32 v30, 5, v1
	v_dual_mov_b32 v10, 0 :: v_dual_and_b32 v7, 31, v1
	v_lshrrev_b32_e32 v2, 3, v1
	v_lshlrev_b32_e32 v8, 4, v27
	s_waitcnt lgkmcnt(0)
	v_mad_u64_u32 v[5:6], null, s24, v30, 0
	v_or_b32_e32 v11, s29, v7
	v_lshlrev_b32_e32 v12, 4, v7
	v_dual_mov_b32 v20, v10 :: v_dual_add_nc_u32 v7, s29, v7
	v_mov_b32_e32 v18, v10
	s_delay_alu instid0(VALU_DEP_4) | instskip(NEXT) | instid1(VALU_DEP_4)
	v_cmp_gt_i32_e32 vcc_lo, s28, v11
	v_lshl_or_b32 v31, v30, 9, v12
	v_mad_u64_u32 v[3:4], null, s2, v27, 0
	s_add_u32 s0, s0, s26
	s_addc_u32 s1, s1, s27
	s_add_u32 s14, s22, s26
	s_load_b64 s[34:35], s[0:1], 0x0
	s_addc_u32 s15, s23, s27
	v_mov_b32_e32 v24, v10
	s_delay_alu instid0(VALU_DEP_2)
	v_mad_u64_u32 v[11:12], null, s3, v27, v[4:5]
	v_mad_u64_u32 v[12:13], null, s25, v30, v[6:7]
	v_add_nc_u32_e32 v1, s30, v2
	s_load_b64 s[14:15], s[14:15], 0x0
	v_mov_b32_e32 v22, v10
	v_lshl_add_u32 v29, v26, 7, 0x1000
	v_mov_b32_e32 v4, v11
	v_cmp_gt_i32_e64 s0, s28, v1
	v_mov_b32_e32 v6, v12
	v_dual_mov_b32 v12, v10 :: v_dual_mov_b32 v19, v9
	v_mov_b32_e32 v11, v9
	v_lshl_or_b32 v15, v2, 7, v8
	v_ashrrev_i32_e32 v2, 31, v1
	v_ashrrev_i32_e32 v8, 31, v7
	v_mov_b32_e32 v17, v9
	s_delay_alu instid0(VALU_DEP_4) | instskip(NEXT) | instid1(VALU_DEP_4)
	v_dual_mov_b32 v21, v9 :: v_dual_add_nc_u32 v32, 0x1000, v15
	v_lshlrev_b64 v[13:14], 4, v[1:2]
	v_lshlrev_b64 v[2:3], 4, v[3:4]
	;; [unrolled: 1-line block ×4, first 2 shown]
	v_dual_mov_b32 v16, v10 :: v_dual_mov_b32 v15, v9
	v_mov_b32_e32 v23, v9
	v_add_co_u32 v1, s1, v2, v13
	s_delay_alu instid0(VALU_DEP_1) | instskip(SKIP_1) | instid1(VALU_DEP_1)
	v_add_co_ci_u32_e64 v2, s1, v3, v14, s1
	v_add_co_u32 v3, s1, v4, v7
	v_add_co_ci_u32_e64 v4, s1, v5, v8, s1
	s_waitcnt lgkmcnt(0)
	v_add_co_u32 v1, s1, v1, s34
	s_delay_alu instid0(VALU_DEP_1) | instskip(SKIP_1) | instid1(VALU_DEP_1)
	v_add_co_ci_u32_e64 v2, s1, s35, v2, s1
	v_add_co_u32 v5, s1, s14, v3
	v_add_co_ci_u32_e64 v6, s1, s15, v4, s1
	s_delay_alu instid0(VALU_DEP_4)
	v_add_co_u32 v7, s1, v1, 8
	v_mov_b32_e32 v14, v10
	v_add_co_ci_u32_e64 v8, s1, 0, v2, s1
	v_mov_b32_e32 v13, v9
	s_lshl_b64 s[14:15], s[24:25], 7
	s_lshl_b64 s[2:3], s[2:3], 7
	s_xor_b32 s1, vcc_lo, -1
	s_branch .LBB1690_3
.LBB1690_2:                             ;   in Loop: Header=BB1690_3 Depth=1
	s_or_b32 exec_lo, exec_lo, s22
	s_waitcnt vmcnt(0)
	ds_store_b128 v32, v[1:4]
	s_waitcnt lgkmcnt(0)
	s_barrier
	buffer_gl0_inv
	ds_load_b128 v[1:4], v29
	ds_load_b128 v[33:36], v28
	ds_load_b128 v[37:40], v28 offset:256
	ds_load_b128 v[41:44], v29 offset:2048
	;; [unrolled: 1-line block ×9, first 2 shown]
	s_add_u32 s12, s12, 8
	s_addc_u32 s13, s13, 0
	v_add_co_u32 v5, vcc_lo, v5, s14
	v_cmp_ge_i64_e64 s22, s[12:13], s[16:17]
	v_add_co_ci_u32_e32 v6, vcc_lo, s15, v6, vcc_lo
	v_add_co_u32 v7, vcc_lo, v7, s2
	v_add_co_ci_u32_e32 v8, vcc_lo, s3, v8, vcc_lo
	s_delay_alu instid0(VALU_DEP_4)
	s_and_b32 vcc_lo, exec_lo, s22
	s_waitcnt lgkmcnt(9)
	v_mul_f64 v[73:74], v[3:4], v[35:36]
	v_mul_f64 v[75:76], v[1:2], v[35:36]
	s_waitcnt lgkmcnt(8)
	v_mul_f64 v[77:78], v[3:4], v[39:40]
	v_mul_f64 v[79:80], v[1:2], v[39:40]
	;; [unrolled: 3-line block ×3, first 2 shown]
	v_mul_f64 v[83:84], v[43:44], v[39:40]
	v_mul_f64 v[39:40], v[41:42], v[39:40]
	s_waitcnt lgkmcnt(4)
	v_mul_f64 v[85:86], v[47:48], v[55:56]
	v_mul_f64 v[87:88], v[45:46], v[55:56]
	s_waitcnt lgkmcnt(3)
	v_mul_f64 v[89:90], v[47:48], v[59:60]
	v_mul_f64 v[91:92], v[45:46], v[59:60]
	;; [unrolled: 1-line block ×6, first 2 shown]
	v_fma_f64 v[97:98], v[1:2], v[33:34], -v[73:74]
	v_fma_f64 v[99:100], v[3:4], v[33:34], v[75:76]
	ds_load_b128 v[73:76], v29 offset:32
	v_fma_f64 v[77:78], v[1:2], v[37:38], -v[77:78]
	v_fma_f64 v[79:80], v[3:4], v[37:38], v[79:80]
	v_fma_f64 v[81:82], v[41:42], v[33:34], -v[81:82]
	v_fma_f64 v[101:102], v[43:44], v[33:34], v[35:36]
	;; [unrolled: 2-line block ×3, first 2 shown]
	s_waitcnt lgkmcnt(1)
	v_mul_f64 v[113:114], v[71:72], v[63:64]
	v_fma_f64 v[85:86], v[45:46], v[53:54], -v[85:86]
	v_fma_f64 v[87:88], v[47:48], v[53:54], v[87:88]
	v_fma_f64 v[45:46], v[45:46], v[57:58], -v[89:90]
	v_fma_f64 v[47:48], v[47:48], v[57:58], v[91:92]
	v_mul_f64 v[89:90], v[71:72], v[67:68]
	v_fma_f64 v[91:92], v[49:50], v[53:54], -v[93:94]
	v_fma_f64 v[53:54], v[51:52], v[53:54], v[55:56]
	v_fma_f64 v[49:50], v[49:50], v[57:58], -v[95:96]
	v_fma_f64 v[51:52], v[51:52], v[57:58], v[59:60]
	ds_load_b128 v[1:4], v29 offset:48
	ds_load_b128 v[33:36], v29 offset:2096
	;; [unrolled: 1-line block ×4, first 2 shown]
	s_waitcnt lgkmcnt(4)
	v_mul_f64 v[105:106], v[75:76], v[63:64]
	v_mul_f64 v[107:108], v[73:74], v[63:64]
	;; [unrolled: 1-line block ×6, first 2 shown]
	s_waitcnt lgkmcnt(1)
	v_mul_f64 v[93:94], v[1:2], v[39:40]
	v_add_f64 v[21:22], v[21:22], v[97:98]
	v_add_f64 v[23:24], v[23:24], v[99:100]
	;; [unrolled: 1-line block ×8, first 2 shown]
	v_mul_f64 v[83:84], v[3:4], v[39:40]
	s_waitcnt lgkmcnt(0)
	v_mul_f64 v[95:96], v[3:4], v[43:44]
	v_mul_f64 v[97:98], v[1:2], v[43:44]
	;; [unrolled: 1-line block ×6, first 2 shown]
	ds_load_b128 v[9:12], v28 offset:2048
	ds_load_b128 v[13:16], v28 offset:2304
	;; [unrolled: 1-line block ×3, first 2 shown]
	v_fma_f64 v[105:106], v[73:74], v[61:62], -v[105:106]
	v_fma_f64 v[107:108], v[75:76], v[61:62], v[107:108]
	v_fma_f64 v[73:74], v[73:74], v[65:66], -v[109:110]
	v_fma_f64 v[75:76], v[75:76], v[65:66], v[111:112]
	;; [unrolled: 2-line block ×4, first 2 shown]
	s_waitcnt lgkmcnt(0)
	v_mul_f64 v[113:114], v[19:20], v[11:12]
	v_mul_f64 v[115:116], v[19:20], v[15:16]
	v_fma_f64 v[93:94], v[3:4], v[37:38], v[93:94]
	v_add_f64 v[67:68], v[21:22], v[85:86]
	v_add_f64 v[69:70], v[23:24], v[87:88]
	;; [unrolled: 1-line block ×8, first 2 shown]
	ds_load_b128 v[21:24], v29 offset:64
	v_fma_f64 v[83:84], v[1:2], v[37:38], -v[83:84]
	v_fma_f64 v[95:96], v[1:2], v[41:42], -v[95:96]
	v_fma_f64 v[97:98], v[3:4], v[41:42], v[97:98]
	v_fma_f64 v[99:100], v[33:34], v[37:38], -v[99:100]
	v_fma_f64 v[117:118], v[35:36], v[37:38], v[39:40]
	;; [unrolled: 2-line block ×3, first 2 shown]
	ds_load_b128 v[43:46], v29 offset:80
	ds_load_b128 v[47:50], v29 offset:2128
	;; [unrolled: 1-line block ×7, first 2 shown]
	s_waitcnt lgkmcnt(7)
	v_mul_f64 v[87:88], v[23:24], v[11:12]
	v_mul_f64 v[89:90], v[21:22], v[11:12]
	v_mul_f64 v[91:92], v[23:24], v[15:16]
	v_mul_f64 v[111:112], v[21:22], v[15:16]
	v_mul_f64 v[11:12], v[17:18], v[11:12]
	v_mul_f64 v[15:16], v[17:18], v[15:16]
	s_waitcnt lgkmcnt(3)
	v_mul_f64 v[103:104], v[49:50], v[57:58]
	v_add_f64 v[67:68], v[67:68], v[105:106]
	v_add_f64 v[69:70], v[69:70], v[107:108]
	;; [unrolled: 1-line block ×8, first 2 shown]
	v_mul_f64 v[75:76], v[45:46], v[53:54]
	v_mul_f64 v[77:78], v[43:44], v[53:54]
	;; [unrolled: 1-line block ×7, first 2 shown]
	v_fma_f64 v[109:110], v[17:18], v[9:10], -v[113:114]
	v_fma_f64 v[113:114], v[17:18], v[13:14], -v[115:116]
	;; [unrolled: 1-line block ×3, first 2 shown]
	v_fma_f64 v[89:90], v[23:24], v[9:10], v[89:90]
	v_fma_f64 v[91:92], v[21:22], v[13:14], -v[91:92]
	v_fma_f64 v[107:108], v[23:24], v[13:14], v[111:112]
	v_fma_f64 v[111:112], v[19:20], v[9:10], v[11:12]
	;; [unrolled: 1-line block ×3, first 2 shown]
	ds_load_b128 v[9:12], v29 offset:96
	v_add_f64 v[67:68], v[67:68], v[83:84]
	v_add_f64 v[69:70], v[69:70], v[93:94]
	;; [unrolled: 1-line block ×8, first 2 shown]
	s_waitcnt lgkmcnt(1)
	v_mul_f64 v[99:100], v[39:40], v[3:4]
	v_fma_f64 v[75:76], v[43:44], v[51:52], -v[75:76]
	v_fma_f64 v[77:78], v[45:46], v[51:52], v[77:78]
	v_fma_f64 v[43:44], v[43:44], v[55:56], -v[79:80]
	v_fma_f64 v[45:46], v[45:46], v[55:56], v[81:82]
	v_mul_f64 v[79:80], v[39:40], v[35:36]
	v_fma_f64 v[81:82], v[47:48], v[51:52], -v[85:86]
	v_fma_f64 v[51:52], v[49:50], v[51:52], v[53:54]
	s_waitcnt lgkmcnt(0)
	v_mul_f64 v[65:66], v[11:12], v[3:4]
	v_mul_f64 v[93:94], v[9:10], v[3:4]
	;; [unrolled: 1-line block ×6, first 2 shown]
	v_fma_f64 v[47:48], v[47:48], v[55:56], -v[103:104]
	v_fma_f64 v[49:50], v[49:50], v[55:56], v[105:106]
	ds_load_b128 v[13:16], v29 offset:112
	ds_load_b128 v[17:20], v29 offset:2160
	ds_load_b128 v[21:24], v28 offset:3584
	ds_load_b128 v[57:60], v28 offset:3840
	s_waitcnt lgkmcnt(0)
	s_barrier
	buffer_gl0_inv
	v_add_f64 v[53:54], v[67:68], v[87:88]
	v_add_f64 v[55:56], v[69:70], v[89:90]
	;; [unrolled: 1-line block ×8, first 2 shown]
	v_mul_f64 v[73:74], v[15:16], v[23:24]
	v_mul_f64 v[83:84], v[13:14], v[23:24]
	v_mul_f64 v[85:86], v[15:16], v[59:60]
	v_mul_f64 v[87:88], v[13:14], v[59:60]
	v_mul_f64 v[89:90], v[19:20], v[23:24]
	v_mul_f64 v[23:24], v[17:18], v[23:24]
	v_mul_f64 v[91:92], v[19:20], v[59:60]
	v_mul_f64 v[59:60], v[17:18], v[59:60]
	v_fma_f64 v[65:66], v[9:10], v[1:2], -v[65:66]
	v_fma_f64 v[93:94], v[11:12], v[1:2], v[93:94]
	v_fma_f64 v[9:10], v[9:10], v[33:34], -v[95:96]
	v_fma_f64 v[11:12], v[11:12], v[33:34], v[97:98]
	;; [unrolled: 2-line block ×4, first 2 shown]
	v_add_f64 v[35:36], v[53:54], v[75:76]
	v_add_f64 v[37:38], v[55:56], v[77:78]
	;; [unrolled: 1-line block ×8, first 2 shown]
	v_fma_f64 v[49:50], v[13:14], v[21:22], -v[73:74]
	v_fma_f64 v[53:54], v[15:16], v[21:22], v[83:84]
	v_fma_f64 v[13:14], v[13:14], v[57:58], -v[85:86]
	v_fma_f64 v[15:16], v[15:16], v[57:58], v[87:88]
	v_fma_f64 v[55:56], v[17:18], v[21:22], -v[89:90]
	v_fma_f64 v[61:62], v[19:20], v[21:22], v[23:24]
	v_fma_f64 v[63:64], v[17:18], v[57:58], -v[91:92]
	v_fma_f64 v[57:58], v[19:20], v[57:58], v[59:60]
	v_add_f64 v[17:18], v[35:36], v[65:66]
	v_add_f64 v[19:20], v[37:38], v[93:94]
	;; [unrolled: 1-line block ×16, first 2 shown]
	s_cbranch_vccnz .LBB1690_9
.LBB1690_3:                             ; =>This Inner Loop Header: Depth=1
	v_add_co_u32 v1, s22, v30, s12
	s_delay_alu instid0(VALU_DEP_1) | instskip(NEXT) | instid1(VALU_DEP_1)
	v_add_co_ci_u32_e64 v2, null, 0, s13, s22
	v_cmp_le_i64_e32 vcc_lo, s[16:17], v[1:2]
	s_or_b32 s22, s1, vcc_lo
	s_delay_alu instid0(SALU_CYCLE_1) | instskip(NEXT) | instid1(SALU_CYCLE_1)
	s_and_saveexec_b32 s23, s22
	s_xor_b32 s22, exec_lo, s23
	s_cbranch_execz .LBB1690_5
; %bb.4:                                ;   in Loop: Header=BB1690_3 Depth=1
	v_mov_b32_e32 v1, v0
	v_mov_b32_e32 v2, v0
	;; [unrolled: 1-line block ×3, first 2 shown]
	ds_store_b128 v31, v[0:3]
.LBB1690_5:                             ;   in Loop: Header=BB1690_3 Depth=1
	s_and_not1_saveexec_b32 s22, s22
	s_cbranch_execz .LBB1690_7
; %bb.6:                                ;   in Loop: Header=BB1690_3 Depth=1
	global_load_b128 v[1:4], v[5:6], off
	s_waitcnt vmcnt(0)
	ds_store_2addr_b64 v31, v[1:2], v[3:4] offset1:1
.LBB1690_7:                             ;   in Loop: Header=BB1690_3 Depth=1
	s_or_b32 exec_lo, exec_lo, s22
	v_add_co_u32 v3, s22, v27, s12
	s_delay_alu instid0(VALU_DEP_1) | instskip(SKIP_2) | instid1(VALU_DEP_3)
	v_add_co_ci_u32_e64 v4, null, 0, s13, s22
	v_mov_b32_e32 v1, 0
	v_mov_b32_e32 v2, 0
	v_cmp_gt_i64_e32 vcc_lo, s[16:17], v[3:4]
	s_delay_alu instid0(VALU_DEP_2) | instskip(SKIP_1) | instid1(SALU_CYCLE_1)
	v_dual_mov_b32 v4, v2 :: v_dual_mov_b32 v3, v1
	s_and_b32 s23, vcc_lo, s0
	s_and_saveexec_b32 s22, s23
	s_cbranch_execz .LBB1690_2
; %bb.8:                                ;   in Loop: Header=BB1690_3 Depth=1
	global_load_b128 v[1:4], v[7:8], off offset:-8
	s_branch .LBB1690_2
.LBB1690_9:
	v_add_nc_u32_e32 v4, s30, v26
	s_delay_alu instid0(VALU_DEP_1) | instskip(SKIP_3) | instid1(VALU_DEP_4)
	v_ashrrev_i32_e32 v0, 31, v4
	v_mul_lo_u32 v3, v4, s11
	v_mad_u64_u32 v[1:2], null, v4, s10, 0
	v_cmp_gt_i32_e32 vcc_lo, s28, v4
	v_mul_lo_u32 v0, v0, s10
	s_delay_alu instid0(VALU_DEP_1) | instskip(SKIP_1) | instid1(VALU_DEP_2)
	v_add3_u32 v2, v2, v3, v0
	v_add_nc_u32_e32 v0, s29, v25
	v_lshlrev_b64 v[1:2], 4, v[1:2]
	s_delay_alu instid0(VALU_DEP_2) | instskip(NEXT) | instid1(VALU_DEP_1)
	v_cmp_le_i32_e64 s0, v0, v4
	s_and_b32 s0, vcc_lo, s0
	s_waitcnt lgkmcnt(0)
	s_delay_alu instid0(VALU_DEP_2) | instskip(NEXT) | instid1(VALU_DEP_1)
	v_add_co_u32 v5, s1, s8, v1
	v_add_co_ci_u32_e64 v6, s1, s9, v2, s1
	s_and_saveexec_b32 s1, s0
	s_cbranch_execz .LBB1690_11
; %bb.10:
	v_ashrrev_i32_e32 v1, 31, v0
	v_mul_f64 v[7:8], s[20:21], v[23:24]
	v_mul_f64 v[23:24], s[18:19], v[23:24]
	s_delay_alu instid0(VALU_DEP_3) | instskip(NEXT) | instid1(VALU_DEP_1)
	v_lshlrev_b64 v[1:2], 4, v[0:1]
	v_add_co_u32 v1, s0, v5, v1
	s_delay_alu instid0(VALU_DEP_1)
	v_add_co_ci_u32_e64 v2, s0, v6, v2, s0
	global_load_b128 v[25:28], v[1:2], off
	v_fma_f64 v[7:8], s[18:19], v[21:22], -v[7:8]
	v_fma_f64 v[23:24], s[20:21], v[21:22], v[23:24]
	s_waitcnt vmcnt(0)
	v_mul_f64 v[29:30], s[6:7], v[27:28]
	v_mul_f64 v[27:28], s[4:5], v[27:28]
	s_delay_alu instid0(VALU_DEP_2) | instskip(NEXT) | instid1(VALU_DEP_2)
	v_fma_f64 v[21:22], s[4:5], v[25:26], -v[29:30]
	v_fma_f64 v[25:26], s[6:7], v[25:26], v[27:28]
	s_delay_alu instid0(VALU_DEP_2) | instskip(NEXT) | instid1(VALU_DEP_2)
	v_add_f64 v[21:22], v[7:8], v[21:22]
	v_add_f64 v[23:24], v[23:24], v[25:26]
	global_store_b128 v[1:2], v[21:24], off
.LBB1690_11:
	s_or_b32 exec_lo, exec_lo, s1
	v_add_nc_u32_e32 v2, 16, v0
	s_delay_alu instid0(VALU_DEP_1) | instskip(NEXT) | instid1(VALU_DEP_1)
	v_cmp_le_i32_e64 s0, v2, v4
	s_and_b32 s1, vcc_lo, s0
	s_delay_alu instid0(SALU_CYCLE_1)
	s_and_saveexec_b32 s0, s1
	s_cbranch_execz .LBB1690_13
; %bb.12:
	v_ashrrev_i32_e32 v3, 31, v2
	v_mul_f64 v[23:24], s[20:21], v[19:20]
	v_mul_f64 v[19:20], s[18:19], v[19:20]
	s_delay_alu instid0(VALU_DEP_3) | instskip(NEXT) | instid1(VALU_DEP_1)
	v_lshlrev_b64 v[7:8], 4, v[2:3]
	v_add_co_u32 v21, vcc_lo, v5, v7
	s_delay_alu instid0(VALU_DEP_2)
	v_add_co_ci_u32_e32 v22, vcc_lo, v6, v8, vcc_lo
	global_load_b128 v[5:8], v[21:22], off
	v_fma_f64 v[23:24], s[18:19], v[17:18], -v[23:24]
	v_fma_f64 v[17:18], s[20:21], v[17:18], v[19:20]
	s_waitcnt vmcnt(0)
	v_mul_f64 v[25:26], s[6:7], v[7:8]
	v_mul_f64 v[7:8], s[4:5], v[7:8]
	s_delay_alu instid0(VALU_DEP_2) | instskip(NEXT) | instid1(VALU_DEP_2)
	v_fma_f64 v[19:20], s[4:5], v[5:6], -v[25:26]
	v_fma_f64 v[7:8], s[6:7], v[5:6], v[7:8]
	s_delay_alu instid0(VALU_DEP_2) | instskip(NEXT) | instid1(VALU_DEP_2)
	v_add_f64 v[5:6], v[23:24], v[19:20]
	v_add_f64 v[7:8], v[17:18], v[7:8]
	global_store_b128 v[21:22], v[5:8], off
.LBB1690_13:
	s_or_b32 exec_lo, exec_lo, s0
	v_add_nc_u32_e32 v3, 16, v4
	s_delay_alu instid0(VALU_DEP_1) | instskip(SKIP_3) | instid1(VALU_DEP_4)
	v_ashrrev_i32_e32 v1, 31, v3
	v_mul_lo_u32 v6, v3, s11
	v_mad_u64_u32 v[4:5], null, v3, s10, 0
	v_cmp_gt_i32_e32 vcc_lo, s28, v3
	v_mul_lo_u32 v1, v1, s10
	v_cmp_le_i32_e64 s0, v0, v3
	s_delay_alu instid0(VALU_DEP_1) | instskip(NEXT) | instid1(VALU_DEP_2)
	s_and_b32 s0, vcc_lo, s0
	v_add3_u32 v5, v5, v6, v1
	s_delay_alu instid0(VALU_DEP_1) | instskip(NEXT) | instid1(VALU_DEP_1)
	v_lshlrev_b64 v[4:5], 4, v[4:5]
	v_add_co_u32 v4, s1, s8, v4
	s_delay_alu instid0(VALU_DEP_1)
	v_add_co_ci_u32_e64 v5, s1, s9, v5, s1
	s_and_saveexec_b32 s1, s0
	s_cbranch_execz .LBB1690_15
; %bb.14:
	v_ashrrev_i32_e32 v1, 31, v0
	v_mul_f64 v[6:7], s[20:21], v[15:16]
	v_mul_f64 v[15:16], s[18:19], v[15:16]
	s_delay_alu instid0(VALU_DEP_3) | instskip(NEXT) | instid1(VALU_DEP_1)
	v_lshlrev_b64 v[0:1], 4, v[0:1]
	v_add_co_u32 v0, s0, v4, v0
	s_delay_alu instid0(VALU_DEP_1)
	v_add_co_ci_u32_e64 v1, s0, v5, v1, s0
	global_load_b128 v[17:20], v[0:1], off
	v_fma_f64 v[6:7], s[18:19], v[13:14], -v[6:7]
	v_fma_f64 v[15:16], s[20:21], v[13:14], v[15:16]
	s_waitcnt vmcnt(0)
	v_mul_f64 v[21:22], s[6:7], v[19:20]
	v_mul_f64 v[19:20], s[4:5], v[19:20]
	s_delay_alu instid0(VALU_DEP_2) | instskip(NEXT) | instid1(VALU_DEP_2)
	v_fma_f64 v[13:14], s[4:5], v[17:18], -v[21:22]
	v_fma_f64 v[17:18], s[6:7], v[17:18], v[19:20]
	s_delay_alu instid0(VALU_DEP_2) | instskip(NEXT) | instid1(VALU_DEP_2)
	v_add_f64 v[13:14], v[6:7], v[13:14]
	v_add_f64 v[15:16], v[15:16], v[17:18]
	global_store_b128 v[0:1], v[13:16], off
.LBB1690_15:
	s_or_b32 exec_lo, exec_lo, s1
	v_cmp_le_i32_e64 s0, v2, v3
	s_delay_alu instid0(VALU_DEP_1) | instskip(NEXT) | instid1(SALU_CYCLE_1)
	s_and_b32 s0, vcc_lo, s0
	s_and_saveexec_b32 s1, s0
	s_cbranch_execz .LBB1690_17
; %bb.16:
	v_ashrrev_i32_e32 v3, 31, v2
	v_mul_f64 v[6:7], s[20:21], v[9:10]
	v_mul_f64 v[8:9], s[18:19], v[9:10]
	s_delay_alu instid0(VALU_DEP_3) | instskip(NEXT) | instid1(VALU_DEP_1)
	v_lshlrev_b64 v[0:1], 4, v[2:3]
	v_add_co_u32 v4, vcc_lo, v4, v0
	s_delay_alu instid0(VALU_DEP_2)
	v_add_co_ci_u32_e32 v5, vcc_lo, v5, v1, vcc_lo
	global_load_b128 v[0:3], v[4:5], off
	v_fma_f64 v[6:7], s[18:19], v[11:12], -v[6:7]
	v_fma_f64 v[8:9], s[20:21], v[11:12], v[8:9]
	s_waitcnt vmcnt(0)
	v_mul_f64 v[13:14], s[6:7], v[2:3]
	v_mul_f64 v[2:3], s[4:5], v[2:3]
	s_delay_alu instid0(VALU_DEP_2) | instskip(NEXT) | instid1(VALU_DEP_2)
	v_fma_f64 v[10:11], s[4:5], v[0:1], -v[13:14]
	v_fma_f64 v[2:3], s[6:7], v[0:1], v[2:3]
	s_delay_alu instid0(VALU_DEP_2) | instskip(NEXT) | instid1(VALU_DEP_2)
	v_add_f64 v[0:1], v[6:7], v[10:11]
	v_add_f64 v[2:3], v[8:9], v[2:3]
	global_store_b128 v[4:5], v[0:3], off
.LBB1690_17:
	s_nop 0
	s_sendmsg sendmsg(MSG_DEALLOC_VGPRS)
	s_endpgm
	.section	.rodata,"a",@progbits
	.p2align	6, 0x0
	.amdhsa_kernel _ZL34rocblas_syrkx_herkx_general_kernelIl19rocblas_complex_numIdELi16ELi32ELi8ELb0ELb0ELc78ELc85EKPKS1_KPS1_EviT_T0_PT8_S7_lSA_S7_lS8_PT9_S7_li
		.amdhsa_group_segment_fixed_size 8192
		.amdhsa_private_segment_fixed_size 0
		.amdhsa_kernarg_size 124
		.amdhsa_user_sgpr_count 13
		.amdhsa_user_sgpr_dispatch_ptr 0
		.amdhsa_user_sgpr_queue_ptr 0
		.amdhsa_user_sgpr_kernarg_segment_ptr 1
		.amdhsa_user_sgpr_dispatch_id 0
		.amdhsa_user_sgpr_private_segment_size 0
		.amdhsa_wavefront_size32 1
		.amdhsa_uses_dynamic_stack 0
		.amdhsa_enable_private_segment 0
		.amdhsa_system_sgpr_workgroup_id_x 1
		.amdhsa_system_sgpr_workgroup_id_y 1
		.amdhsa_system_sgpr_workgroup_id_z 1
		.amdhsa_system_sgpr_workgroup_info 0
		.amdhsa_system_vgpr_workitem_id 1
		.amdhsa_next_free_vgpr 119
		.amdhsa_next_free_sgpr 36
		.amdhsa_reserve_vcc 1
		.amdhsa_float_round_mode_32 0
		.amdhsa_float_round_mode_16_64 0
		.amdhsa_float_denorm_mode_32 3
		.amdhsa_float_denorm_mode_16_64 3
		.amdhsa_dx10_clamp 1
		.amdhsa_ieee_mode 1
		.amdhsa_fp16_overflow 0
		.amdhsa_workgroup_processor_mode 1
		.amdhsa_memory_ordered 1
		.amdhsa_forward_progress 0
		.amdhsa_shared_vgpr_count 0
		.amdhsa_exception_fp_ieee_invalid_op 0
		.amdhsa_exception_fp_denorm_src 0
		.amdhsa_exception_fp_ieee_div_zero 0
		.amdhsa_exception_fp_ieee_overflow 0
		.amdhsa_exception_fp_ieee_underflow 0
		.amdhsa_exception_fp_ieee_inexact 0
		.amdhsa_exception_int_div_zero 0
	.end_amdhsa_kernel
	.section	.text._ZL34rocblas_syrkx_herkx_general_kernelIl19rocblas_complex_numIdELi16ELi32ELi8ELb0ELb0ELc78ELc85EKPKS1_KPS1_EviT_T0_PT8_S7_lSA_S7_lS8_PT9_S7_li,"axG",@progbits,_ZL34rocblas_syrkx_herkx_general_kernelIl19rocblas_complex_numIdELi16ELi32ELi8ELb0ELb0ELc78ELc85EKPKS1_KPS1_EviT_T0_PT8_S7_lSA_S7_lS8_PT9_S7_li,comdat
.Lfunc_end1690:
	.size	_ZL34rocblas_syrkx_herkx_general_kernelIl19rocblas_complex_numIdELi16ELi32ELi8ELb0ELb0ELc78ELc85EKPKS1_KPS1_EviT_T0_PT8_S7_lSA_S7_lS8_PT9_S7_li, .Lfunc_end1690-_ZL34rocblas_syrkx_herkx_general_kernelIl19rocblas_complex_numIdELi16ELi32ELi8ELb0ELb0ELc78ELc85EKPKS1_KPS1_EviT_T0_PT8_S7_lSA_S7_lS8_PT9_S7_li
                                        ; -- End function
	.section	.AMDGPU.csdata,"",@progbits
; Kernel info:
; codeLenInByte = 3576
; NumSgprs: 38
; NumVgprs: 119
; ScratchSize: 0
; MemoryBound: 1
; FloatMode: 240
; IeeeMode: 1
; LDSByteSize: 8192 bytes/workgroup (compile time only)
; SGPRBlocks: 4
; VGPRBlocks: 14
; NumSGPRsForWavesPerEU: 38
; NumVGPRsForWavesPerEU: 119
; Occupancy: 12
; WaveLimiterHint : 1
; COMPUTE_PGM_RSRC2:SCRATCH_EN: 0
; COMPUTE_PGM_RSRC2:USER_SGPR: 13
; COMPUTE_PGM_RSRC2:TRAP_HANDLER: 0
; COMPUTE_PGM_RSRC2:TGID_X_EN: 1
; COMPUTE_PGM_RSRC2:TGID_Y_EN: 1
; COMPUTE_PGM_RSRC2:TGID_Z_EN: 1
; COMPUTE_PGM_RSRC2:TIDIG_COMP_CNT: 1
	.section	.text._ZL26rocblas_syr2k_scale_kernelIlLi128ELi8ELb0E19rocblas_complex_numIdES1_PKPS1_EvbiT_T3_T4_T5_S5_li,"axG",@progbits,_ZL26rocblas_syr2k_scale_kernelIlLi128ELi8ELb0E19rocblas_complex_numIdES1_PKPS1_EvbiT_T3_T4_T5_S5_li,comdat
	.globl	_ZL26rocblas_syr2k_scale_kernelIlLi128ELi8ELb0E19rocblas_complex_numIdES1_PKPS1_EvbiT_T3_T4_T5_S5_li ; -- Begin function _ZL26rocblas_syr2k_scale_kernelIlLi128ELi8ELb0E19rocblas_complex_numIdES1_PKPS1_EvbiT_T3_T4_T5_S5_li
	.p2align	8
	.type	_ZL26rocblas_syr2k_scale_kernelIlLi128ELi8ELb0E19rocblas_complex_numIdES1_PKPS1_EvbiT_T3_T4_T5_S5_li,@function
_ZL26rocblas_syr2k_scale_kernelIlLi128ELi8ELb0E19rocblas_complex_numIdES1_PKPS1_EvbiT_T3_T4_T5_S5_li: ; @_ZL26rocblas_syr2k_scale_kernelIlLi128ELi8ELb0E19rocblas_complex_numIdES1_PKPS1_EvbiT_T3_T4_T5_S5_li
; %bb.0:
	s_load_b256 s[4:11], s[0:1], 0x20
	s_waitcnt lgkmcnt(0)
	v_cmp_eq_f64_e64 s2, s[4:5], 1.0
	v_cmp_eq_f64_e64 s3, s[6:7], 0
	s_delay_alu instid0(VALU_DEP_1) | instskip(NEXT) | instid1(SALU_CYCLE_1)
	s_and_b32 s2, s2, s3
	s_and_b32 vcc_lo, exec_lo, s2
	s_cbranch_vccnz .LBB1691_5
; %bb.1:
	s_mov_b32 s12, s15
	s_clause 0x1
	s_load_b64 s[2:3], s[0:1], 0x0
	s_load_b32 s15, s[0:1], 0x5c
	v_and_b32_e32 v2, 0x3ff, v0
	v_bfe_u32 v3, v0, 10, 10
	s_waitcnt lgkmcnt(0)
	s_bitcmp1_b32 s2, 0
	s_cselect_b32 vcc_lo, -1, 0
	s_lshr_b32 s2, s15, 16
	s_and_b32 s15, s15, 0xffff
	s_delay_alu instid0(SALU_CYCLE_1) | instskip(SKIP_1) | instid1(VALU_DEP_1)
	v_mad_u64_u32 v[0:1], null, s13, s15, v[2:3]
	v_mad_u64_u32 v[1:2], null, s14, s2, v[3:4]
	v_cndmask_b32_e32 v2, v1, v0, vcc_lo
	v_max_u32_e32 v3, v0, v1
	v_cndmask_b32_e32 v4, v0, v1, vcc_lo
	s_delay_alu instid0(VALU_DEP_2) | instskip(NEXT) | instid1(VALU_DEP_2)
	v_cmp_gt_u32_e32 vcc_lo, s3, v3
	v_cmp_le_i32_e64 s2, v2, v4
	s_delay_alu instid0(VALU_DEP_1) | instskip(NEXT) | instid1(SALU_CYCLE_1)
	s_and_b32 s2, vcc_lo, s2
	s_and_saveexec_b32 s3, s2
	s_cbranch_execz .LBB1691_5
; %bb.2:
	v_cmp_neq_f64_e64 s14, s[4:5], 0
	v_cmp_neq_f64_e64 s15, s[6:7], 0
	s_mov_b32 s13, 0
	v_mad_u64_u32 v[4:5], null, v1, s10, 0
	s_lshl_b64 s[2:3], s[12:13], 3
	s_load_b64 s[0:1], s[0:1], 0x40
	s_add_u32 s2, s8, s2
	s_addc_u32 s3, s9, s3
	s_load_b64 s[2:3], s[2:3], 0x0
	s_delay_alu instid0(VALU_DEP_1) | instskip(NEXT) | instid1(VALU_DEP_1)
	v_mov_b32_e32 v2, v5
	v_mad_u64_u32 v[5:6], null, v1, s11, v[2:3]
	v_dual_mov_b32 v1, 0 :: v_dual_mov_b32 v2, 0
	v_mov_b32_e32 v3, 0
	s_delay_alu instid0(VALU_DEP_2) | instskip(NEXT) | instid1(VALU_DEP_4)
	v_lshlrev_b64 v[0:1], 4, v[0:1]
	v_lshlrev_b64 v[4:5], 4, v[4:5]
	s_waitcnt lgkmcnt(0)
	s_lshl_b64 s[0:1], s[0:1], 4
	s_delay_alu instid0(SALU_CYCLE_1) | instskip(SKIP_1) | instid1(VALU_DEP_1)
	s_add_u32 s0, s2, s0
	s_addc_u32 s1, s3, s1
	v_add_co_u32 v4, vcc_lo, s0, v4
	v_add_co_ci_u32_e32 v5, vcc_lo, s1, v5, vcc_lo
	s_delay_alu instid0(VALU_DEP_2) | instskip(NEXT) | instid1(VALU_DEP_2)
	v_add_co_u32 v4, vcc_lo, v4, v0
	v_add_co_ci_u32_e32 v5, vcc_lo, v5, v1, vcc_lo
	v_dual_mov_b32 v0, v2 :: v_dual_mov_b32 v1, v3
	s_or_b32 s2, s14, s15
	s_delay_alu instid0(SALU_CYCLE_1)
	s_and_not1_b32 vcc_lo, exec_lo, s2
	s_cbranch_vccnz .LBB1691_4
; %bb.3:
	global_load_b128 v[6:9], v[4:5], off
	s_waitcnt vmcnt(0)
	v_mul_f64 v[0:1], s[6:7], v[8:9]
	v_mul_f64 v[2:3], s[4:5], v[8:9]
	s_delay_alu instid0(VALU_DEP_2) | instskip(NEXT) | instid1(VALU_DEP_2)
	v_fma_f64 v[0:1], s[4:5], v[6:7], -v[0:1]
	v_fma_f64 v[2:3], s[6:7], v[6:7], v[2:3]
.LBB1691_4:
	global_store_b128 v[4:5], v[0:3], off
.LBB1691_5:
	s_nop 0
	s_sendmsg sendmsg(MSG_DEALLOC_VGPRS)
	s_endpgm
	.section	.rodata,"a",@progbits
	.p2align	6, 0x0
	.amdhsa_kernel _ZL26rocblas_syr2k_scale_kernelIlLi128ELi8ELb0E19rocblas_complex_numIdES1_PKPS1_EvbiT_T3_T4_T5_S5_li
		.amdhsa_group_segment_fixed_size 0
		.amdhsa_private_segment_fixed_size 0
		.amdhsa_kernarg_size 336
		.amdhsa_user_sgpr_count 13
		.amdhsa_user_sgpr_dispatch_ptr 0
		.amdhsa_user_sgpr_queue_ptr 0
		.amdhsa_user_sgpr_kernarg_segment_ptr 1
		.amdhsa_user_sgpr_dispatch_id 0
		.amdhsa_user_sgpr_private_segment_size 0
		.amdhsa_wavefront_size32 1
		.amdhsa_uses_dynamic_stack 0
		.amdhsa_enable_private_segment 0
		.amdhsa_system_sgpr_workgroup_id_x 1
		.amdhsa_system_sgpr_workgroup_id_y 1
		.amdhsa_system_sgpr_workgroup_id_z 1
		.amdhsa_system_sgpr_workgroup_info 0
		.amdhsa_system_vgpr_workitem_id 1
		.amdhsa_next_free_vgpr 10
		.amdhsa_next_free_sgpr 16
		.amdhsa_reserve_vcc 1
		.amdhsa_float_round_mode_32 0
		.amdhsa_float_round_mode_16_64 0
		.amdhsa_float_denorm_mode_32 3
		.amdhsa_float_denorm_mode_16_64 3
		.amdhsa_dx10_clamp 1
		.amdhsa_ieee_mode 1
		.amdhsa_fp16_overflow 0
		.amdhsa_workgroup_processor_mode 1
		.amdhsa_memory_ordered 1
		.amdhsa_forward_progress 0
		.amdhsa_shared_vgpr_count 0
		.amdhsa_exception_fp_ieee_invalid_op 0
		.amdhsa_exception_fp_denorm_src 0
		.amdhsa_exception_fp_ieee_div_zero 0
		.amdhsa_exception_fp_ieee_overflow 0
		.amdhsa_exception_fp_ieee_underflow 0
		.amdhsa_exception_fp_ieee_inexact 0
		.amdhsa_exception_int_div_zero 0
	.end_amdhsa_kernel
	.section	.text._ZL26rocblas_syr2k_scale_kernelIlLi128ELi8ELb0E19rocblas_complex_numIdES1_PKPS1_EvbiT_T3_T4_T5_S5_li,"axG",@progbits,_ZL26rocblas_syr2k_scale_kernelIlLi128ELi8ELb0E19rocblas_complex_numIdES1_PKPS1_EvbiT_T3_T4_T5_S5_li,comdat
.Lfunc_end1691:
	.size	_ZL26rocblas_syr2k_scale_kernelIlLi128ELi8ELb0E19rocblas_complex_numIdES1_PKPS1_EvbiT_T3_T4_T5_S5_li, .Lfunc_end1691-_ZL26rocblas_syr2k_scale_kernelIlLi128ELi8ELb0E19rocblas_complex_numIdES1_PKPS1_EvbiT_T3_T4_T5_S5_li
                                        ; -- End function
	.section	.AMDGPU.csdata,"",@progbits
; Kernel info:
; codeLenInByte = 416
; NumSgprs: 18
; NumVgprs: 10
; ScratchSize: 0
; MemoryBound: 0
; FloatMode: 240
; IeeeMode: 1
; LDSByteSize: 0 bytes/workgroup (compile time only)
; SGPRBlocks: 2
; VGPRBlocks: 1
; NumSGPRsForWavesPerEU: 18
; NumVGPRsForWavesPerEU: 10
; Occupancy: 16
; WaveLimiterHint : 1
; COMPUTE_PGM_RSRC2:SCRATCH_EN: 0
; COMPUTE_PGM_RSRC2:USER_SGPR: 13
; COMPUTE_PGM_RSRC2:TRAP_HANDLER: 0
; COMPUTE_PGM_RSRC2:TGID_X_EN: 1
; COMPUTE_PGM_RSRC2:TGID_Y_EN: 1
; COMPUTE_PGM_RSRC2:TGID_Z_EN: 1
; COMPUTE_PGM_RSRC2:TIDIG_COMP_CNT: 1
	.section	.text._ZL26rocblas_syr2k_her2k_kernelIlLb0ELb0ELb0ELi32EPK19rocblas_complex_numIdEPKS3_PKPS1_EvbiT_T4_T5_S9_lSB_S9_lT6_S9_li,"axG",@progbits,_ZL26rocblas_syr2k_her2k_kernelIlLb0ELb0ELb0ELi32EPK19rocblas_complex_numIdEPKS3_PKPS1_EvbiT_T4_T5_S9_lSB_S9_lT6_S9_li,comdat
	.globl	_ZL26rocblas_syr2k_her2k_kernelIlLb0ELb0ELb0ELi32EPK19rocblas_complex_numIdEPKS3_PKPS1_EvbiT_T4_T5_S9_lSB_S9_lT6_S9_li ; -- Begin function _ZL26rocblas_syr2k_her2k_kernelIlLb0ELb0ELb0ELi32EPK19rocblas_complex_numIdEPKS3_PKPS1_EvbiT_T4_T5_S9_lSB_S9_lT6_S9_li
	.p2align	8
	.type	_ZL26rocblas_syr2k_her2k_kernelIlLb0ELb0ELb0ELi32EPK19rocblas_complex_numIdEPKS3_PKPS1_EvbiT_T4_T5_S9_lSB_S9_lT6_S9_li,@function
_ZL26rocblas_syr2k_her2k_kernelIlLb0ELb0ELb0ELi32EPK19rocblas_complex_numIdEPKS3_PKPS1_EvbiT_T4_T5_S9_lSB_S9_lT6_S9_li: ; @_ZL26rocblas_syr2k_her2k_kernelIlLb0ELb0ELb0ELi32EPK19rocblas_complex_numIdEPKS3_PKPS1_EvbiT_T4_T5_S9_lSB_S9_lT6_S9_li
; %bb.0:
	s_load_b512 s[16:31], s[0:1], 0x8
	s_waitcnt lgkmcnt(0)
	s_load_b128 s[4:7], s[18:19], 0x0
	s_waitcnt lgkmcnt(0)
	v_cmp_eq_f64_e64 s2, s[4:5], 0
	v_cmp_eq_f64_e64 s3, s[6:7], 0
	s_delay_alu instid0(VALU_DEP_1) | instskip(NEXT) | instid1(SALU_CYCLE_1)
	s_and_b32 s2, s2, s3
	s_and_b32 vcc_lo, exec_lo, s2
	s_cbranch_vccnz .LBB1692_11
; %bb.1:
	s_load_b64 s[2:3], s[0:1], 0x0
	s_mov_b32 s12, s15
	s_lshl_b32 s14, s14, 5
	s_lshl_b32 s15, s13, 5
	s_waitcnt lgkmcnt(0)
	s_and_b32 s2, 1, s2
	s_delay_alu instid0(SALU_CYCLE_1) | instskip(SKIP_1) | instid1(SALU_CYCLE_1)
	s_cmp_eq_u32 s2, 1
	s_cselect_b32 s2, -1, 0
	s_and_b32 s8, s2, exec_lo
	s_cselect_b32 s8, s15, s14
	s_cselect_b32 s9, s14, s15
	s_delay_alu instid0(SALU_CYCLE_1)
	s_cmp_gt_i32 s8, s9
	s_cbranch_scc1 .LBB1692_11
; %bb.2:
	v_cmp_lt_i64_e64 s8, s[16:17], 1
	s_delay_alu instid0(VALU_DEP_1)
	s_and_b32 vcc_lo, exec_lo, s8
	s_cbranch_vccnz .LBB1692_11
; %bb.3:
	s_clause 0x1
	s_load_b128 s[8:11], s[0:1], 0x48
	s_load_b64 s[0:1], s[0:1], 0x58
	v_bfe_u32 v14, v0, 10, 10
	v_and_b32_e32 v15, 0x3ff, v0
	v_mov_b32_e32 v1, 0
	s_mov_b32 s13, 0
	s_mov_b32 s18, s3
	v_add_nc_u32_e32 v2, s14, v14
	s_delay_alu instid0(VALU_DEP_2) | instskip(SKIP_2) | instid1(VALU_DEP_2)
	v_dual_mov_b32 v3, v1 :: v_dual_add_nc_u32 v0, s15, v15
	s_lshl_b64 s[12:13], s[12:13], 3
	v_mad_u64_u32 v[6:7], null, s22, v14, 0
	v_cndmask_b32_e64 v10, v0, v2, s2
	v_cndmask_b32_e64 v11, v2, v0, s2
	s_add_u32 s20, s20, s12
	s_addc_u32 s21, s21, s13
	s_add_u32 s14, s26, s12
	s_addc_u32 s15, s27, s13
	v_lshlrev_b32_e32 v8, 4, v14
	s_waitcnt lgkmcnt(0)
	s_add_u32 s8, s8, s12
	v_ashrrev_i32_e32 v9, 31, v2
	v_cmp_le_i32_e64 s2, v11, v10
	v_mov_b32_e32 v10, v0
	v_lshlrev_b32_e32 v16, 9, v15
	s_addc_u32 s9, s9, s13
	v_mad_u64_u32 v[4:5], null, s28, v15, 0
	s_load_b64 s[8:9], s[8:9], 0x0
	s_delay_alu instid0(VALU_DEP_2)
	v_add_nc_u32_e32 v17, v16, v8
	v_or_b32_e32 v18, 0x4000, v8
	v_mul_lo_u32 v13, v9, s10
	v_mul_lo_u32 v20, v2, s11
	v_mad_u64_u32 v[8:9], null, v2, s10, 0
	v_max_i32_e32 v12, v0, v2
	v_ashrrev_i32_e32 v11, 31, v0
	s_lshl_b64 s[0:1], s[0:1], 4
	s_load_b64 s[20:21], s[20:21], 0x0
	s_load_b64 s[14:15], s[14:15], 0x0
	s_mov_b64 s[10:11], 0
	v_cmp_gt_i32_e32 vcc_lo, s3, v12
	v_add3_u32 v9, v9, v20, v13
	v_mad_u64_u32 v[12:13], null, s29, v15, v[5:6]
	v_mov_b32_e32 v5, v7
	s_delay_alu instid0(VALU_DEP_3)
	v_lshlrev_b64 v[7:8], 4, v[8:9]
	v_lshlrev_b64 v[9:10], 4, v[10:11]
	s_waitcnt lgkmcnt(0)
	s_add_u32 s8, s8, s0
	v_mad_u64_u32 v[20:21], null, s23, v14, v[5:6]
	v_mov_b32_e32 v5, v12
	s_addc_u32 s9, s9, s1
	s_and_b32 s12, s2, vcc_lo
	v_add_co_u32 v11, vcc_lo, s8, v7
	v_add_co_ci_u32_e32 v12, vcc_lo, s9, v8, vcc_lo
	s_delay_alu instid0(VALU_DEP_4) | instskip(SKIP_1) | instid1(VALU_DEP_4)
	v_mov_b32_e32 v7, v20
	v_lshlrev_b64 v[4:5], 4, v[4:5]
	v_add_co_u32 v8, vcc_lo, v11, v9
	s_ashr_i32 s19, s3, 31
	s_lshl_b64 s[2:3], s[30:31], 4
	v_lshlrev_b64 v[6:7], 4, v[6:7]
	v_add_co_ci_u32_e32 v9, vcc_lo, v12, v10, vcc_lo
	v_add_co_u32 v4, vcc_lo, v4, s2
	v_cmp_gt_i64_e64 s1, s[18:19], v[2:3]
	v_lshlrev_b64 v[2:3], 4, v[2:3]
	v_add_co_ci_u32_e32 v5, vcc_lo, s3, v5, vcc_lo
	s_lshl_b64 s[2:3], s[24:25], 4
	v_cmp_gt_i64_e64 s0, s[18:19], v[0:1]
	v_add_co_u32 v6, vcc_lo, v6, s2
	v_lshlrev_b64 v[0:1], 4, v[0:1]
	v_add_co_ci_u32_e32 v7, vcc_lo, s3, v7, vcc_lo
	v_add_co_u32 v2, vcc_lo, v4, v2
	v_add_co_ci_u32_e32 v3, vcc_lo, v5, v3, vcc_lo
	s_delay_alu instid0(VALU_DEP_4) | instskip(NEXT) | instid1(VALU_DEP_4)
	v_add_co_u32 v0, vcc_lo, v6, v0
	v_add_co_ci_u32_e32 v1, vcc_lo, v7, v1, vcc_lo
	s_delay_alu instid0(VALU_DEP_4) | instskip(NEXT) | instid1(VALU_DEP_4)
	;; [unrolled: 3-line block ×4, first 2 shown]
	v_add_co_u32 v10, vcc_lo, v2, 8
	v_add_co_ci_u32_e32 v11, vcc_lo, 0, v3, vcc_lo
	s_delay_alu instid0(VALU_DEP_4)
	v_add_co_u32 v12, vcc_lo, v0, 8
	v_add_nc_u32_e32 v19, v18, v16
	v_add_co_ci_u32_e32 v13, vcc_lo, 0, v1, vcc_lo
	s_lshl_b64 s[2:3], s[28:29], 9
	s_lshl_b64 s[8:9], s[22:23], 9
	s_branch .LBB1692_5
.LBB1692_4:                             ;   in Loop: Header=BB1692_5 Depth=1
	s_or_b32 exec_lo, exec_lo, s13
	s_add_u32 s10, s10, 32
	s_addc_u32 s11, s11, 0
	v_add_co_u32 v10, vcc_lo, v10, s2
	v_cmp_lt_i64_e64 s13, s[10:11], s[16:17]
	v_add_co_ci_u32_e32 v11, vcc_lo, s3, v11, vcc_lo
	v_add_co_u32 v12, vcc_lo, v12, s8
	v_add_co_ci_u32_e32 v13, vcc_lo, s9, v13, vcc_lo
	s_delay_alu instid0(VALU_DEP_4)
	s_and_b32 vcc_lo, exec_lo, s13
	s_waitcnt_vscnt null, 0x0
	s_barrier
	buffer_gl0_inv
	s_cbranch_vccz .LBB1692_11
.LBB1692_5:                             ; =>This Inner Loop Header: Depth=1
	v_add_co_u32 v2, s13, v14, s10
	s_delay_alu instid0(VALU_DEP_1) | instskip(SKIP_2) | instid1(VALU_DEP_3)
	v_add_co_ci_u32_e64 v3, null, 0, s11, s13
	v_mov_b32_e32 v0, 0
	v_mov_b32_e32 v1, 0
	v_cmp_gt_i64_e32 vcc_lo, s[16:17], v[2:3]
	s_delay_alu instid0(VALU_DEP_2) | instskip(SKIP_2) | instid1(SALU_CYCLE_1)
	v_dual_mov_b32 v5, v1 :: v_dual_mov_b32 v4, v0
	v_dual_mov_b32 v7, v1 :: v_dual_mov_b32 v6, v0
	s_and_b32 s14, s0, vcc_lo
	s_and_saveexec_b32 s13, s14
	s_cbranch_execz .LBB1692_7
; %bb.6:                                ;   in Loop: Header=BB1692_5 Depth=1
	global_load_b128 v[4:7], v[12:13], off offset:-8
.LBB1692_7:                             ;   in Loop: Header=BB1692_5 Depth=1
	s_or_b32 exec_lo, exec_lo, s13
	v_add_co_u32 v2, s13, v15, s10
	s_delay_alu instid0(VALU_DEP_1)
	v_add_co_ci_u32_e64 v3, null, 0, s11, s13
	s_waitcnt vmcnt(0)
	ds_store_b128 v17, v[4:7]
	v_cmp_gt_i64_e32 vcc_lo, s[16:17], v[2:3]
	v_dual_mov_b32 v3, v1 :: v_dual_mov_b32 v2, v0
	s_and_b32 s14, s1, vcc_lo
	s_delay_alu instid0(SALU_CYCLE_1)
	s_and_saveexec_b32 s13, s14
	s_cbranch_execz .LBB1692_9
; %bb.8:                                ;   in Loop: Header=BB1692_5 Depth=1
	global_load_b128 v[0:3], v[10:11], off offset:-8
.LBB1692_9:                             ;   in Loop: Header=BB1692_5 Depth=1
	s_or_b32 exec_lo, exec_lo, s13
	s_waitcnt vmcnt(0)
	ds_store_b128 v19, v[0:3]
	s_waitcnt lgkmcnt(0)
	s_barrier
	buffer_gl0_inv
	s_and_saveexec_b32 s13, s12
	s_cbranch_execz .LBB1692_4
; %bb.10:                               ;   in Loop: Header=BB1692_5 Depth=1
	ds_load_b128 v[0:3], v18
	ds_load_b128 v[4:7], v16
	ds_load_b128 v[20:23], v16 offset:16
	ds_load_b128 v[24:27], v18 offset:512
	s_waitcnt lgkmcnt(2)
	v_mul_f64 v[28:29], v[0:1], v[6:7]
	v_mul_f64 v[6:7], v[2:3], v[6:7]
	s_waitcnt lgkmcnt(0)
	v_mul_f64 v[36:37], v[26:27], v[22:23]
	v_mul_f64 v[22:23], v[24:25], v[22:23]
	s_delay_alu instid0(VALU_DEP_4) | instskip(NEXT) | instid1(VALU_DEP_4)
	v_fma_f64 v[38:39], v[2:3], v[4:5], v[28:29]
	v_fma_f64 v[40:41], v[0:1], v[4:5], -v[6:7]
	ds_load_b128 v[0:3], v18 offset:1024
	ds_load_b128 v[4:7], v16 offset:32
	;; [unrolled: 1-line block ×4, first 2 shown]
	v_fma_f64 v[24:25], v[24:25], v[20:21], -v[36:37]
	v_fma_f64 v[20:21], v[26:27], v[20:21], v[22:23]
	s_waitcnt lgkmcnt(2)
	v_mul_f64 v[42:43], v[2:3], v[6:7]
	v_mul_f64 v[6:7], v[0:1], v[6:7]
	s_waitcnt lgkmcnt(0)
	v_mul_f64 v[36:37], v[34:35], v[30:31]
	v_mul_f64 v[30:31], v[32:33], v[30:31]
	v_add_f64 v[22:23], v[38:39], 0
	v_add_f64 v[26:27], v[40:41], 0
	v_fma_f64 v[38:39], v[0:1], v[4:5], -v[42:43]
	v_fma_f64 v[40:41], v[2:3], v[4:5], v[6:7]
	v_fma_f64 v[32:33], v[32:33], v[28:29], -v[36:37]
	v_fma_f64 v[28:29], v[34:35], v[28:29], v[30:31]
	v_add_f64 v[42:43], v[22:23], v[20:21]
	v_add_f64 v[44:45], v[26:27], v[24:25]
	ds_load_b128 v[0:3], v16 offset:64
	ds_load_b128 v[4:7], v18 offset:2048
	ds_load_b128 v[20:23], v18 offset:2560
	ds_load_b128 v[24:27], v16 offset:80
	s_waitcnt lgkmcnt(2)
	v_mul_f64 v[46:47], v[6:7], v[2:3]
	v_mul_f64 v[2:3], v[4:5], v[2:3]
	s_waitcnt lgkmcnt(0)
	v_mul_f64 v[36:37], v[22:23], v[26:27]
	v_add_f64 v[30:31], v[42:43], v[40:41]
	v_add_f64 v[34:35], v[44:45], v[38:39]
	v_mul_f64 v[38:39], v[20:21], v[26:27]
	v_fma_f64 v[40:41], v[4:5], v[0:1], -v[46:47]
	v_fma_f64 v[42:43], v[6:7], v[0:1], v[2:3]
	v_fma_f64 v[20:21], v[20:21], v[24:25], -v[36:37]
	v_add_f64 v[44:45], v[30:31], v[28:29]
	v_add_f64 v[34:35], v[34:35], v[32:33]
	ds_load_b128 v[0:3], v16 offset:96
	ds_load_b128 v[4:7], v18 offset:3072
	ds_load_b128 v[26:29], v18 offset:3584
	ds_load_b128 v[30:33], v16 offset:112
	v_fma_f64 v[22:23], v[22:23], v[24:25], v[38:39]
	s_waitcnt lgkmcnt(2)
	v_mul_f64 v[46:47], v[6:7], v[2:3]
	v_mul_f64 v[2:3], v[4:5], v[2:3]
	s_waitcnt lgkmcnt(0)
	v_mul_f64 v[36:37], v[28:29], v[32:33]
	v_mul_f64 v[38:39], v[26:27], v[32:33]
	v_add_f64 v[24:25], v[44:45], v[42:43]
	v_add_f64 v[34:35], v[34:35], v[40:41]
	v_fma_f64 v[40:41], v[4:5], v[0:1], -v[46:47]
	v_fma_f64 v[42:43], v[6:7], v[0:1], v[2:3]
	v_fma_f64 v[26:27], v[26:27], v[30:31], -v[36:37]
	v_fma_f64 v[28:29], v[28:29], v[30:31], v[38:39]
	v_add_f64 v[24:25], v[24:25], v[22:23]
	v_add_f64 v[44:45], v[34:35], v[20:21]
	ds_load_b128 v[0:3], v16 offset:128
	ds_load_b128 v[4:7], v18 offset:4096
	ds_load_b128 v[20:23], v18 offset:4608
	ds_load_b128 v[32:35], v16 offset:144
	s_waitcnt lgkmcnt(2)
	v_mul_f64 v[46:47], v[6:7], v[2:3]
	v_mul_f64 v[2:3], v[4:5], v[2:3]
	s_waitcnt lgkmcnt(0)
	v_mul_f64 v[36:37], v[22:23], v[34:35]
	v_mul_f64 v[34:35], v[20:21], v[34:35]
	v_add_f64 v[24:25], v[24:25], v[42:43]
	v_add_f64 v[30:31], v[44:45], v[40:41]
	v_fma_f64 v[38:39], v[4:5], v[0:1], -v[46:47]
	v_fma_f64 v[40:41], v[6:7], v[0:1], v[2:3]
	v_fma_f64 v[20:21], v[20:21], v[32:33], -v[36:37]
	v_fma_f64 v[22:23], v[22:23], v[32:33], v[34:35]
	v_add_f64 v[42:43], v[24:25], v[28:29]
	v_add_f64 v[44:45], v[30:31], v[26:27]
	ds_load_b128 v[0:3], v16 offset:160
	ds_load_b128 v[4:7], v18 offset:5120
	ds_load_b128 v[24:27], v18 offset:5632
	ds_load_b128 v[28:31], v16 offset:176
	s_waitcnt lgkmcnt(2)
	v_mul_f64 v[46:47], v[6:7], v[2:3]
	v_mul_f64 v[2:3], v[4:5], v[2:3]
	s_waitcnt lgkmcnt(0)
	v_mul_f64 v[36:37], v[26:27], v[30:31]
	v_add_f64 v[32:33], v[42:43], v[40:41]
	v_add_f64 v[34:35], v[44:45], v[38:39]
	v_mul_f64 v[38:39], v[24:25], v[30:31]
	v_fma_f64 v[40:41], v[4:5], v[0:1], -v[46:47]
	v_fma_f64 v[42:43], v[6:7], v[0:1], v[2:3]
	v_fma_f64 v[24:25], v[24:25], v[28:29], -v[36:37]
	v_add_f64 v[44:45], v[32:33], v[22:23]
	v_add_f64 v[34:35], v[34:35], v[20:21]
	ds_load_b128 v[0:3], v16 offset:192
	ds_load_b128 v[4:7], v18 offset:6144
	ds_load_b128 v[20:23], v18 offset:6656
	ds_load_b128 v[30:33], v16 offset:208
	v_fma_f64 v[26:27], v[26:27], v[28:29], v[38:39]
	s_waitcnt lgkmcnt(2)
	v_mul_f64 v[46:47], v[6:7], v[2:3]
	v_mul_f64 v[2:3], v[4:5], v[2:3]
	s_waitcnt lgkmcnt(0)
	v_mul_f64 v[36:37], v[22:23], v[32:33]
	v_mul_f64 v[38:39], v[20:21], v[32:33]
	v_add_f64 v[28:29], v[44:45], v[42:43]
	v_add_f64 v[34:35], v[34:35], v[40:41]
	v_fma_f64 v[40:41], v[4:5], v[0:1], -v[46:47]
	v_fma_f64 v[42:43], v[6:7], v[0:1], v[2:3]
	v_fma_f64 v[20:21], v[20:21], v[30:31], -v[36:37]
	v_fma_f64 v[22:23], v[22:23], v[30:31], v[38:39]
	v_add_f64 v[28:29], v[28:29], v[26:27]
	v_add_f64 v[44:45], v[34:35], v[24:25]
	ds_load_b128 v[0:3], v16 offset:224
	ds_load_b128 v[4:7], v18 offset:7168
	ds_load_b128 v[24:27], v18 offset:7680
	ds_load_b128 v[32:35], v16 offset:240
	;; [unrolled: 54-line block ×4, first 2 shown]
	s_waitcnt lgkmcnt(2)
	v_mul_f64 v[46:47], v[6:7], v[2:3]
	v_mul_f64 v[2:3], v[4:5], v[2:3]
	s_waitcnt lgkmcnt(0)
	v_mul_f64 v[38:39], v[26:27], v[34:35]
	v_add_f64 v[28:29], v[28:29], v[42:43]
	v_add_f64 v[30:31], v[44:45], v[40:41]
	v_mul_f64 v[40:41], v[24:25], v[34:35]
	v_fma_f64 v[42:43], v[4:5], v[0:1], -v[46:47]
	v_fma_f64 v[44:45], v[6:7], v[0:1], v[2:3]
	ds_load_b128 v[0:3], v16 offset:448
	ds_load_b128 v[4:7], v18 offset:14336
	v_fma_f64 v[24:25], v[24:25], v[32:33], -v[38:39]
	v_add_f64 v[46:47], v[28:29], v[22:23]
	v_add_f64 v[48:49], v[30:31], v[20:21]
	global_load_b128 v[20:23], v[8:9], off
	v_fma_f64 v[26:27], v[26:27], v[32:33], v[40:41]
	s_waitcnt lgkmcnt(0)
	v_mul_f64 v[50:51], v[6:7], v[2:3]
	v_mul_f64 v[2:3], v[4:5], v[2:3]
	ds_load_b128 v[28:31], v18 offset:14848
	ds_load_b128 v[34:37], v16 offset:464
	s_waitcnt lgkmcnt(0)
	v_mul_f64 v[40:41], v[30:31], v[36:37]
	v_add_f64 v[32:33], v[46:47], v[44:45]
	v_add_f64 v[38:39], v[48:49], v[42:43]
	v_mul_f64 v[42:43], v[28:29], v[36:37]
	v_fma_f64 v[44:45], v[4:5], v[0:1], -v[50:51]
	v_fma_f64 v[46:47], v[6:7], v[0:1], v[2:3]
	v_fma_f64 v[28:29], v[28:29], v[34:35], -v[40:41]
	v_add_f64 v[32:33], v[32:33], v[26:27]
	v_add_f64 v[48:49], v[38:39], v[24:25]
	ds_load_b128 v[0:3], v16 offset:480
	ds_load_b128 v[4:7], v18 offset:15360
	;; [unrolled: 1-line block ×4, first 2 shown]
	v_fma_f64 v[30:31], v[30:31], v[34:35], v[42:43]
	s_waitcnt lgkmcnt(2)
	v_mul_f64 v[50:51], v[6:7], v[2:3]
	v_mul_f64 v[2:3], v[4:5], v[2:3]
	s_waitcnt lgkmcnt(0)
	v_mul_f64 v[40:41], v[26:27], v[38:39]
	v_mul_f64 v[38:39], v[24:25], v[38:39]
	v_add_f64 v[32:33], v[32:33], v[46:47]
	v_add_f64 v[34:35], v[48:49], v[44:45]
	v_fma_f64 v[4:5], v[4:5], v[0:1], -v[50:51]
	v_fma_f64 v[0:1], v[6:7], v[0:1], v[2:3]
	v_fma_f64 v[24:25], v[24:25], v[36:37], -v[40:41]
	v_fma_f64 v[26:27], v[26:27], v[36:37], v[38:39]
	v_add_f64 v[2:3], v[32:33], v[30:31]
	v_add_f64 v[6:7], v[34:35], v[28:29]
	s_delay_alu instid0(VALU_DEP_2) | instskip(NEXT) | instid1(VALU_DEP_2)
	v_add_f64 v[0:1], v[2:3], v[0:1]
	v_add_f64 v[2:3], v[6:7], v[4:5]
	s_delay_alu instid0(VALU_DEP_2) | instskip(NEXT) | instid1(VALU_DEP_2)
	;; [unrolled: 3-line block ×3, first 2 shown]
	v_mul_f64 v[4:5], s[6:7], v[0:1]
	v_mul_f64 v[6:7], s[6:7], v[2:3]
	s_delay_alu instid0(VALU_DEP_2) | instskip(NEXT) | instid1(VALU_DEP_2)
	v_fma_f64 v[2:3], s[4:5], v[2:3], -v[4:5]
	v_fma_f64 v[4:5], s[4:5], v[0:1], v[6:7]
	s_waitcnt vmcnt(0)
	s_delay_alu instid0(VALU_DEP_2) | instskip(NEXT) | instid1(VALU_DEP_2)
	v_add_f64 v[0:1], v[20:21], v[2:3]
	v_add_f64 v[2:3], v[22:23], v[4:5]
	global_store_b128 v[8:9], v[0:3], off
	s_branch .LBB1692_4
.LBB1692_11:
	s_endpgm
	.section	.rodata,"a",@progbits
	.p2align	6, 0x0
	.amdhsa_kernel _ZL26rocblas_syr2k_her2k_kernelIlLb0ELb0ELb0ELi32EPK19rocblas_complex_numIdEPKS3_PKPS1_EvbiT_T4_T5_S9_lSB_S9_lT6_S9_li
		.amdhsa_group_segment_fixed_size 32768
		.amdhsa_private_segment_fixed_size 0
		.amdhsa_kernarg_size 100
		.amdhsa_user_sgpr_count 13
		.amdhsa_user_sgpr_dispatch_ptr 0
		.amdhsa_user_sgpr_queue_ptr 0
		.amdhsa_user_sgpr_kernarg_segment_ptr 1
		.amdhsa_user_sgpr_dispatch_id 0
		.amdhsa_user_sgpr_private_segment_size 0
		.amdhsa_wavefront_size32 1
		.amdhsa_uses_dynamic_stack 0
		.amdhsa_enable_private_segment 0
		.amdhsa_system_sgpr_workgroup_id_x 1
		.amdhsa_system_sgpr_workgroup_id_y 1
		.amdhsa_system_sgpr_workgroup_id_z 1
		.amdhsa_system_sgpr_workgroup_info 0
		.amdhsa_system_vgpr_workitem_id 1
		.amdhsa_next_free_vgpr 52
		.amdhsa_next_free_sgpr 32
		.amdhsa_reserve_vcc 1
		.amdhsa_float_round_mode_32 0
		.amdhsa_float_round_mode_16_64 0
		.amdhsa_float_denorm_mode_32 3
		.amdhsa_float_denorm_mode_16_64 3
		.amdhsa_dx10_clamp 1
		.amdhsa_ieee_mode 1
		.amdhsa_fp16_overflow 0
		.amdhsa_workgroup_processor_mode 1
		.amdhsa_memory_ordered 1
		.amdhsa_forward_progress 0
		.amdhsa_shared_vgpr_count 0
		.amdhsa_exception_fp_ieee_invalid_op 0
		.amdhsa_exception_fp_denorm_src 0
		.amdhsa_exception_fp_ieee_div_zero 0
		.amdhsa_exception_fp_ieee_overflow 0
		.amdhsa_exception_fp_ieee_underflow 0
		.amdhsa_exception_fp_ieee_inexact 0
		.amdhsa_exception_int_div_zero 0
	.end_amdhsa_kernel
	.section	.text._ZL26rocblas_syr2k_her2k_kernelIlLb0ELb0ELb0ELi32EPK19rocblas_complex_numIdEPKS3_PKPS1_EvbiT_T4_T5_S9_lSB_S9_lT6_S9_li,"axG",@progbits,_ZL26rocblas_syr2k_her2k_kernelIlLb0ELb0ELb0ELi32EPK19rocblas_complex_numIdEPKS3_PKPS1_EvbiT_T4_T5_S9_lSB_S9_lT6_S9_li,comdat
.Lfunc_end1692:
	.size	_ZL26rocblas_syr2k_her2k_kernelIlLb0ELb0ELb0ELi32EPK19rocblas_complex_numIdEPKS3_PKPS1_EvbiT_T4_T5_S9_lSB_S9_lT6_S9_li, .Lfunc_end1692-_ZL26rocblas_syr2k_her2k_kernelIlLb0ELb0ELb0ELi32EPK19rocblas_complex_numIdEPKS3_PKPS1_EvbiT_T4_T5_S9_lSB_S9_lT6_S9_li
                                        ; -- End function
	.section	.AMDGPU.csdata,"",@progbits
; Kernel info:
; codeLenInByte = 3200
; NumSgprs: 34
; NumVgprs: 52
; ScratchSize: 0
; MemoryBound: 1
; FloatMode: 240
; IeeeMode: 1
; LDSByteSize: 32768 bytes/workgroup (compile time only)
; SGPRBlocks: 4
; VGPRBlocks: 6
; NumSGPRsForWavesPerEU: 34
; NumVGPRsForWavesPerEU: 52
; Occupancy: 16
; WaveLimiterHint : 1
; COMPUTE_PGM_RSRC2:SCRATCH_EN: 0
; COMPUTE_PGM_RSRC2:USER_SGPR: 13
; COMPUTE_PGM_RSRC2:TRAP_HANDLER: 0
; COMPUTE_PGM_RSRC2:TGID_X_EN: 1
; COMPUTE_PGM_RSRC2:TGID_Y_EN: 1
; COMPUTE_PGM_RSRC2:TGID_Z_EN: 1
; COMPUTE_PGM_RSRC2:TIDIG_COMP_CNT: 1
	.section	.text._ZL26rocblas_syr2k_her2k_kernelIlLb0ELb0ELb1ELi32EPK19rocblas_complex_numIdEPKS3_PKPS1_EvbiT_T4_T5_S9_lSB_S9_lT6_S9_li,"axG",@progbits,_ZL26rocblas_syr2k_her2k_kernelIlLb0ELb0ELb1ELi32EPK19rocblas_complex_numIdEPKS3_PKPS1_EvbiT_T4_T5_S9_lSB_S9_lT6_S9_li,comdat
	.globl	_ZL26rocblas_syr2k_her2k_kernelIlLb0ELb0ELb1ELi32EPK19rocblas_complex_numIdEPKS3_PKPS1_EvbiT_T4_T5_S9_lSB_S9_lT6_S9_li ; -- Begin function _ZL26rocblas_syr2k_her2k_kernelIlLb0ELb0ELb1ELi32EPK19rocblas_complex_numIdEPKS3_PKPS1_EvbiT_T4_T5_S9_lSB_S9_lT6_S9_li
	.p2align	8
	.type	_ZL26rocblas_syr2k_her2k_kernelIlLb0ELb0ELb1ELi32EPK19rocblas_complex_numIdEPKS3_PKPS1_EvbiT_T4_T5_S9_lSB_S9_lT6_S9_li,@function
_ZL26rocblas_syr2k_her2k_kernelIlLb0ELb0ELb1ELi32EPK19rocblas_complex_numIdEPKS3_PKPS1_EvbiT_T4_T5_S9_lSB_S9_lT6_S9_li: ; @_ZL26rocblas_syr2k_her2k_kernelIlLb0ELb0ELb1ELi32EPK19rocblas_complex_numIdEPKS3_PKPS1_EvbiT_T4_T5_S9_lSB_S9_lT6_S9_li
; %bb.0:
	s_load_b512 s[16:31], s[0:1], 0x8
	s_waitcnt lgkmcnt(0)
	s_load_b128 s[4:7], s[18:19], 0x0
	s_waitcnt lgkmcnt(0)
	v_cmp_eq_f64_e64 s2, s[4:5], 0
	v_cmp_eq_f64_e64 s3, s[6:7], 0
	s_delay_alu instid0(VALU_DEP_1) | instskip(NEXT) | instid1(SALU_CYCLE_1)
	s_and_b32 s2, s2, s3
	s_and_b32 vcc_lo, exec_lo, s2
	s_cbranch_vccnz .LBB1693_11
; %bb.1:
	s_load_b64 s[2:3], s[0:1], 0x0
	s_mov_b32 s12, s15
	s_lshl_b32 s14, s14, 5
	s_lshl_b32 s15, s13, 5
	s_waitcnt lgkmcnt(0)
	s_and_b32 s2, 1, s2
	s_delay_alu instid0(SALU_CYCLE_1) | instskip(SKIP_1) | instid1(SALU_CYCLE_1)
	s_cmp_eq_u32 s2, 1
	s_cselect_b32 s2, -1, 0
	s_and_b32 s8, s2, exec_lo
	s_cselect_b32 s8, s15, s14
	s_cselect_b32 s9, s14, s15
	s_delay_alu instid0(SALU_CYCLE_1)
	s_cmp_gt_i32 s8, s9
	s_cbranch_scc1 .LBB1693_11
; %bb.2:
	v_cmp_lt_i64_e64 s8, s[16:17], 1
	s_delay_alu instid0(VALU_DEP_1)
	s_and_b32 vcc_lo, exec_lo, s8
	s_cbranch_vccnz .LBB1693_11
; %bb.3:
	s_clause 0x1
	s_load_b128 s[8:11], s[0:1], 0x48
	s_load_b64 s[0:1], s[0:1], 0x58
	s_mov_b32 s13, 0
	v_bfe_u32 v14, v0, 10, 10
	v_and_b32_e32 v15, 0x3ff, v0
	s_lshl_b64 s[12:13], s[12:13], 3
	v_mov_b32_e32 v1, 0
	s_add_u32 s20, s20, s12
	v_add_nc_u32_e32 v2, s14, v14
	s_addc_u32 s21, s21, s13
	s_add_u32 s14, s26, s12
	v_dual_mov_b32 v3, v1 :: v_dual_add_nc_u32 v0, s15, v15
	s_addc_u32 s15, s27, s13
	v_ashrrev_i32_e32 v8, 31, v2
	v_mad_u64_u32 v[4:5], null, s28, v2, 0
	s_delay_alu instid0(VALU_DEP_3)
	v_mad_u64_u32 v[6:7], null, s22, v0, 0
	v_max_i32_e32 v10, v0, v2
	s_waitcnt lgkmcnt(0)
	s_add_u32 s8, s8, s12
	s_addc_u32 s9, s9, s13
	s_load_b64 s[12:13], s[20:21], 0x0
	s_load_b64 s[8:9], s[8:9], 0x0
	;; [unrolled: 1-line block ×3, first 2 shown]
	v_mul_lo_u32 v11, v8, s10
	v_mul_lo_u32 v21, v2, s11
	v_mad_u64_u32 v[8:9], null, v2, s10, 0
	s_lshl_b64 s[0:1], s[0:1], 4
	s_mov_b32 s18, s3
	v_cndmask_b32_e64 v12, v0, v2, s2
	v_cndmask_b32_e64 v20, v2, v0, s2
	v_cmp_gt_i32_e32 vcc_lo, s3, v10
	v_lshlrev_b32_e32 v13, 4, v14
	v_add3_u32 v9, v9, v21, v11
	v_mad_u64_u32 v[10:11], null, s29, v2, v[5:6]
	v_cmp_le_i32_e64 s2, v20, v12
	s_delay_alu instid0(VALU_DEP_4) | instskip(SKIP_4) | instid1(VALU_DEP_3)
	v_or_b32_e32 v18, 0x4000, v13
	s_waitcnt lgkmcnt(0)
	s_add_u32 s8, s8, s0
	s_addc_u32 s9, s9, s1
	s_ashr_i32 s19, s3, 31
	v_mov_b32_e32 v5, v10
	v_cmp_gt_i64_e64 s1, s[18:19], v[2:3]
	v_mov_b32_e32 v2, v7
	v_cmp_gt_i64_e64 s0, s[18:19], v[0:1]
	v_ashrrev_i32_e32 v1, 31, v0
	v_lshlrev_b64 v[7:8], 4, v[8:9]
	v_lshlrev_b32_e32 v16, 9, v15
	v_mad_u64_u32 v[11:12], null, s23, v0, v[2:3]
	s_delay_alu instid0(VALU_DEP_4) | instskip(SKIP_2) | instid1(VALU_DEP_1)
	v_lshlrev_b64 v[0:1], 4, v[0:1]
	v_lshlrev_b64 v[2:3], 4, v[4:5]
	v_add_co_u32 v9, s3, s8, v7
	v_add_co_ci_u32_e64 v10, s3, s9, v8, s3
	v_dual_mov_b32 v7, v11 :: v_dual_lshlrev_b32 v4, 4, v15
	s_delay_alu instid0(VALU_DEP_3) | instskip(NEXT) | instid1(VALU_DEP_1)
	v_add_co_u32 v8, s3, v9, v0
	v_add_co_ci_u32_e64 v9, s3, v10, v1, s3
	s_lshl_b64 s[8:9], s[30:31], 4
	s_delay_alu instid0(VALU_DEP_3) | instskip(SKIP_1) | instid1(VALU_DEP_1)
	v_lshlrev_b64 v[0:1], 4, v[6:7]
	v_add_co_u32 v2, s3, v2, s8
	v_add_co_ci_u32_e64 v3, s3, s9, v3, s3
	s_lshl_b64 s[8:9], s[24:25], 4
	v_add_nc_u32_e32 v17, v16, v13
	s_delay_alu instid0(VALU_DEP_4) | instskip(NEXT) | instid1(VALU_DEP_1)
	v_add_co_u32 v0, s3, v0, s8
	v_add_co_ci_u32_e64 v1, s3, s9, v1, s3
	v_add_co_u32 v2, s3, v2, v4
	s_delay_alu instid0(VALU_DEP_1) | instskip(NEXT) | instid1(VALU_DEP_4)
	v_add_co_ci_u32_e64 v3, s3, 0, v3, s3
	v_add_co_u32 v0, s3, v0, v13
	s_delay_alu instid0(VALU_DEP_1) | instskip(NEXT) | instid1(VALU_DEP_4)
	;; [unrolled: 3-line block ×5, first 2 shown]
	v_add_co_ci_u32_e64 v11, s3, 0, v3, s3
	v_add_co_u32 v12, s3, v0, 8
	v_add_nc_u32_e32 v19, v18, v16
	v_add_co_ci_u32_e64 v13, s3, 0, v1, s3
	s_and_b32 s8, s2, vcc_lo
	s_mov_b64 s[2:3], 0
	s_branch .LBB1693_5
.LBB1693_4:                             ;   in Loop: Header=BB1693_5 Depth=1
	s_or_b32 exec_lo, exec_lo, s9
	s_add_u32 s2, s2, 32
	s_addc_u32 s3, s3, 0
	v_add_co_u32 v10, vcc_lo, 0x200, v10
	v_cmp_lt_i64_e64 s9, s[2:3], s[16:17]
	v_add_co_ci_u32_e32 v11, vcc_lo, 0, v11, vcc_lo
	v_add_co_u32 v12, vcc_lo, 0x200, v12
	v_add_co_ci_u32_e32 v13, vcc_lo, 0, v13, vcc_lo
	s_delay_alu instid0(VALU_DEP_4)
	s_and_b32 vcc_lo, exec_lo, s9
	s_waitcnt_vscnt null, 0x0
	s_barrier
	buffer_gl0_inv
	s_cbranch_vccz .LBB1693_11
.LBB1693_5:                             ; =>This Inner Loop Header: Depth=1
	v_add_co_u32 v2, s9, v14, s2
	s_delay_alu instid0(VALU_DEP_1) | instskip(SKIP_2) | instid1(VALU_DEP_3)
	v_add_co_ci_u32_e64 v3, null, 0, s3, s9
	v_mov_b32_e32 v0, 0
	v_mov_b32_e32 v1, 0
	v_cmp_gt_i64_e32 vcc_lo, s[16:17], v[2:3]
	s_delay_alu instid0(VALU_DEP_2) | instskip(SKIP_2) | instid1(SALU_CYCLE_1)
	v_dual_mov_b32 v5, v1 :: v_dual_mov_b32 v4, v0
	v_dual_mov_b32 v7, v1 :: v_dual_mov_b32 v6, v0
	s_and_b32 s10, s0, vcc_lo
	s_and_saveexec_b32 s9, s10
	s_cbranch_execz .LBB1693_7
; %bb.6:                                ;   in Loop: Header=BB1693_5 Depth=1
	global_load_b128 v[4:7], v[12:13], off offset:-8
.LBB1693_7:                             ;   in Loop: Header=BB1693_5 Depth=1
	s_or_b32 exec_lo, exec_lo, s9
	v_add_co_u32 v2, s9, v15, s2
	s_delay_alu instid0(VALU_DEP_1)
	v_add_co_ci_u32_e64 v3, null, 0, s3, s9
	s_waitcnt vmcnt(0)
	ds_store_b128 v17, v[4:7]
	v_cmp_gt_i64_e32 vcc_lo, s[16:17], v[2:3]
	v_dual_mov_b32 v3, v1 :: v_dual_mov_b32 v2, v0
	s_and_b32 s10, s1, vcc_lo
	s_delay_alu instid0(SALU_CYCLE_1)
	s_and_saveexec_b32 s9, s10
	s_cbranch_execz .LBB1693_9
; %bb.8:                                ;   in Loop: Header=BB1693_5 Depth=1
	global_load_b128 v[0:3], v[10:11], off offset:-8
.LBB1693_9:                             ;   in Loop: Header=BB1693_5 Depth=1
	s_or_b32 exec_lo, exec_lo, s9
	s_waitcnt vmcnt(0)
	ds_store_b128 v19, v[0:3]
	s_waitcnt lgkmcnt(0)
	s_barrier
	buffer_gl0_inv
	s_and_saveexec_b32 s9, s8
	s_cbranch_execz .LBB1693_4
; %bb.10:                               ;   in Loop: Header=BB1693_5 Depth=1
	ds_load_b128 v[0:3], v18
	ds_load_b128 v[4:7], v16
	ds_load_b128 v[20:23], v16 offset:16
	ds_load_b128 v[24:27], v18 offset:512
	s_waitcnt lgkmcnt(2)
	v_mul_f64 v[28:29], v[0:1], v[6:7]
	v_mul_f64 v[6:7], v[2:3], v[6:7]
	s_waitcnt lgkmcnt(0)
	v_mul_f64 v[36:37], v[26:27], v[22:23]
	v_mul_f64 v[22:23], v[24:25], v[22:23]
	s_delay_alu instid0(VALU_DEP_4) | instskip(NEXT) | instid1(VALU_DEP_4)
	v_fma_f64 v[38:39], v[2:3], v[4:5], v[28:29]
	v_fma_f64 v[40:41], v[0:1], v[4:5], -v[6:7]
	ds_load_b128 v[0:3], v18 offset:1024
	ds_load_b128 v[4:7], v16 offset:32
	;; [unrolled: 1-line block ×4, first 2 shown]
	v_fma_f64 v[24:25], v[24:25], v[20:21], -v[36:37]
	v_fma_f64 v[20:21], v[26:27], v[20:21], v[22:23]
	s_waitcnt lgkmcnt(2)
	v_mul_f64 v[42:43], v[2:3], v[6:7]
	v_mul_f64 v[6:7], v[0:1], v[6:7]
	s_waitcnt lgkmcnt(0)
	v_mul_f64 v[36:37], v[34:35], v[30:31]
	v_mul_f64 v[30:31], v[32:33], v[30:31]
	v_add_f64 v[22:23], v[38:39], 0
	v_add_f64 v[26:27], v[40:41], 0
	v_fma_f64 v[38:39], v[0:1], v[4:5], -v[42:43]
	v_fma_f64 v[40:41], v[2:3], v[4:5], v[6:7]
	v_fma_f64 v[32:33], v[32:33], v[28:29], -v[36:37]
	v_fma_f64 v[28:29], v[34:35], v[28:29], v[30:31]
	v_add_f64 v[42:43], v[22:23], v[20:21]
	v_add_f64 v[44:45], v[26:27], v[24:25]
	ds_load_b128 v[0:3], v16 offset:64
	ds_load_b128 v[4:7], v18 offset:2048
	ds_load_b128 v[20:23], v18 offset:2560
	ds_load_b128 v[24:27], v16 offset:80
	s_waitcnt lgkmcnt(2)
	v_mul_f64 v[46:47], v[6:7], v[2:3]
	v_mul_f64 v[2:3], v[4:5], v[2:3]
	s_waitcnt lgkmcnt(0)
	v_mul_f64 v[36:37], v[22:23], v[26:27]
	v_add_f64 v[30:31], v[42:43], v[40:41]
	v_add_f64 v[34:35], v[44:45], v[38:39]
	v_mul_f64 v[38:39], v[20:21], v[26:27]
	v_fma_f64 v[40:41], v[4:5], v[0:1], -v[46:47]
	v_fma_f64 v[42:43], v[6:7], v[0:1], v[2:3]
	v_fma_f64 v[20:21], v[20:21], v[24:25], -v[36:37]
	v_add_f64 v[44:45], v[30:31], v[28:29]
	v_add_f64 v[34:35], v[34:35], v[32:33]
	ds_load_b128 v[0:3], v16 offset:96
	ds_load_b128 v[4:7], v18 offset:3072
	ds_load_b128 v[26:29], v18 offset:3584
	ds_load_b128 v[30:33], v16 offset:112
	v_fma_f64 v[22:23], v[22:23], v[24:25], v[38:39]
	s_waitcnt lgkmcnt(2)
	v_mul_f64 v[46:47], v[6:7], v[2:3]
	v_mul_f64 v[2:3], v[4:5], v[2:3]
	s_waitcnt lgkmcnt(0)
	v_mul_f64 v[36:37], v[28:29], v[32:33]
	v_mul_f64 v[38:39], v[26:27], v[32:33]
	v_add_f64 v[24:25], v[44:45], v[42:43]
	v_add_f64 v[34:35], v[34:35], v[40:41]
	v_fma_f64 v[40:41], v[4:5], v[0:1], -v[46:47]
	v_fma_f64 v[42:43], v[6:7], v[0:1], v[2:3]
	v_fma_f64 v[26:27], v[26:27], v[30:31], -v[36:37]
	v_fma_f64 v[28:29], v[28:29], v[30:31], v[38:39]
	v_add_f64 v[24:25], v[24:25], v[22:23]
	v_add_f64 v[44:45], v[34:35], v[20:21]
	ds_load_b128 v[0:3], v16 offset:128
	ds_load_b128 v[4:7], v18 offset:4096
	ds_load_b128 v[20:23], v18 offset:4608
	ds_load_b128 v[32:35], v16 offset:144
	s_waitcnt lgkmcnt(2)
	v_mul_f64 v[46:47], v[6:7], v[2:3]
	v_mul_f64 v[2:3], v[4:5], v[2:3]
	s_waitcnt lgkmcnt(0)
	v_mul_f64 v[36:37], v[22:23], v[34:35]
	v_mul_f64 v[34:35], v[20:21], v[34:35]
	v_add_f64 v[24:25], v[24:25], v[42:43]
	v_add_f64 v[30:31], v[44:45], v[40:41]
	v_fma_f64 v[38:39], v[4:5], v[0:1], -v[46:47]
	v_fma_f64 v[40:41], v[6:7], v[0:1], v[2:3]
	v_fma_f64 v[20:21], v[20:21], v[32:33], -v[36:37]
	v_fma_f64 v[22:23], v[22:23], v[32:33], v[34:35]
	v_add_f64 v[42:43], v[24:25], v[28:29]
	v_add_f64 v[44:45], v[30:31], v[26:27]
	ds_load_b128 v[0:3], v16 offset:160
	ds_load_b128 v[4:7], v18 offset:5120
	ds_load_b128 v[24:27], v18 offset:5632
	ds_load_b128 v[28:31], v16 offset:176
	s_waitcnt lgkmcnt(2)
	v_mul_f64 v[46:47], v[6:7], v[2:3]
	v_mul_f64 v[2:3], v[4:5], v[2:3]
	s_waitcnt lgkmcnt(0)
	v_mul_f64 v[36:37], v[26:27], v[30:31]
	v_add_f64 v[32:33], v[42:43], v[40:41]
	v_add_f64 v[34:35], v[44:45], v[38:39]
	v_mul_f64 v[38:39], v[24:25], v[30:31]
	v_fma_f64 v[40:41], v[4:5], v[0:1], -v[46:47]
	v_fma_f64 v[42:43], v[6:7], v[0:1], v[2:3]
	v_fma_f64 v[24:25], v[24:25], v[28:29], -v[36:37]
	v_add_f64 v[44:45], v[32:33], v[22:23]
	v_add_f64 v[34:35], v[34:35], v[20:21]
	ds_load_b128 v[0:3], v16 offset:192
	ds_load_b128 v[4:7], v18 offset:6144
	ds_load_b128 v[20:23], v18 offset:6656
	ds_load_b128 v[30:33], v16 offset:208
	v_fma_f64 v[26:27], v[26:27], v[28:29], v[38:39]
	s_waitcnt lgkmcnt(2)
	v_mul_f64 v[46:47], v[6:7], v[2:3]
	v_mul_f64 v[2:3], v[4:5], v[2:3]
	s_waitcnt lgkmcnt(0)
	v_mul_f64 v[36:37], v[22:23], v[32:33]
	v_mul_f64 v[38:39], v[20:21], v[32:33]
	v_add_f64 v[28:29], v[44:45], v[42:43]
	v_add_f64 v[34:35], v[34:35], v[40:41]
	v_fma_f64 v[40:41], v[4:5], v[0:1], -v[46:47]
	v_fma_f64 v[42:43], v[6:7], v[0:1], v[2:3]
	v_fma_f64 v[20:21], v[20:21], v[30:31], -v[36:37]
	v_fma_f64 v[22:23], v[22:23], v[30:31], v[38:39]
	v_add_f64 v[28:29], v[28:29], v[26:27]
	v_add_f64 v[44:45], v[34:35], v[24:25]
	ds_load_b128 v[0:3], v16 offset:224
	ds_load_b128 v[4:7], v18 offset:7168
	ds_load_b128 v[24:27], v18 offset:7680
	ds_load_b128 v[32:35], v16 offset:240
	;; [unrolled: 54-line block ×4, first 2 shown]
	s_waitcnt lgkmcnt(2)
	v_mul_f64 v[46:47], v[6:7], v[2:3]
	v_mul_f64 v[2:3], v[4:5], v[2:3]
	s_waitcnt lgkmcnt(0)
	v_mul_f64 v[38:39], v[26:27], v[34:35]
	v_add_f64 v[28:29], v[28:29], v[42:43]
	v_add_f64 v[30:31], v[44:45], v[40:41]
	v_mul_f64 v[40:41], v[24:25], v[34:35]
	v_fma_f64 v[42:43], v[4:5], v[0:1], -v[46:47]
	v_fma_f64 v[44:45], v[6:7], v[0:1], v[2:3]
	ds_load_b128 v[0:3], v16 offset:448
	ds_load_b128 v[4:7], v18 offset:14336
	v_fma_f64 v[24:25], v[24:25], v[32:33], -v[38:39]
	v_add_f64 v[46:47], v[28:29], v[22:23]
	v_add_f64 v[48:49], v[30:31], v[20:21]
	global_load_b128 v[20:23], v[8:9], off
	v_fma_f64 v[26:27], v[26:27], v[32:33], v[40:41]
	s_waitcnt lgkmcnt(0)
	v_mul_f64 v[50:51], v[6:7], v[2:3]
	v_mul_f64 v[2:3], v[4:5], v[2:3]
	ds_load_b128 v[28:31], v18 offset:14848
	ds_load_b128 v[34:37], v16 offset:464
	s_waitcnt lgkmcnt(0)
	v_mul_f64 v[40:41], v[30:31], v[36:37]
	v_add_f64 v[32:33], v[46:47], v[44:45]
	v_add_f64 v[38:39], v[48:49], v[42:43]
	v_mul_f64 v[42:43], v[28:29], v[36:37]
	v_fma_f64 v[44:45], v[4:5], v[0:1], -v[50:51]
	v_fma_f64 v[46:47], v[6:7], v[0:1], v[2:3]
	v_fma_f64 v[28:29], v[28:29], v[34:35], -v[40:41]
	v_add_f64 v[32:33], v[32:33], v[26:27]
	v_add_f64 v[48:49], v[38:39], v[24:25]
	ds_load_b128 v[0:3], v16 offset:480
	ds_load_b128 v[4:7], v18 offset:15360
	;; [unrolled: 1-line block ×4, first 2 shown]
	v_fma_f64 v[30:31], v[30:31], v[34:35], v[42:43]
	s_waitcnt lgkmcnt(2)
	v_mul_f64 v[50:51], v[6:7], v[2:3]
	v_mul_f64 v[2:3], v[4:5], v[2:3]
	s_waitcnt lgkmcnt(0)
	v_mul_f64 v[40:41], v[26:27], v[38:39]
	v_mul_f64 v[38:39], v[24:25], v[38:39]
	v_add_f64 v[32:33], v[32:33], v[46:47]
	v_add_f64 v[34:35], v[48:49], v[44:45]
	v_fma_f64 v[4:5], v[4:5], v[0:1], -v[50:51]
	v_fma_f64 v[0:1], v[6:7], v[0:1], v[2:3]
	v_fma_f64 v[24:25], v[24:25], v[36:37], -v[40:41]
	v_fma_f64 v[26:27], v[26:27], v[36:37], v[38:39]
	v_add_f64 v[2:3], v[32:33], v[30:31]
	v_add_f64 v[6:7], v[34:35], v[28:29]
	s_delay_alu instid0(VALU_DEP_2) | instskip(NEXT) | instid1(VALU_DEP_2)
	v_add_f64 v[0:1], v[2:3], v[0:1]
	v_add_f64 v[2:3], v[6:7], v[4:5]
	s_delay_alu instid0(VALU_DEP_2) | instskip(NEXT) | instid1(VALU_DEP_2)
	;; [unrolled: 3-line block ×3, first 2 shown]
	v_mul_f64 v[4:5], s[6:7], v[0:1]
	v_mul_f64 v[6:7], s[6:7], v[2:3]
	s_delay_alu instid0(VALU_DEP_2) | instskip(NEXT) | instid1(VALU_DEP_2)
	v_fma_f64 v[2:3], s[4:5], v[2:3], -v[4:5]
	v_fma_f64 v[4:5], s[4:5], v[0:1], v[6:7]
	s_waitcnt vmcnt(0)
	s_delay_alu instid0(VALU_DEP_2) | instskip(NEXT) | instid1(VALU_DEP_2)
	v_add_f64 v[0:1], v[20:21], v[2:3]
	v_add_f64 v[2:3], v[22:23], v[4:5]
	global_store_b128 v[8:9], v[0:3], off
	s_branch .LBB1693_4
.LBB1693_11:
	s_endpgm
	.section	.rodata,"a",@progbits
	.p2align	6, 0x0
	.amdhsa_kernel _ZL26rocblas_syr2k_her2k_kernelIlLb0ELb0ELb1ELi32EPK19rocblas_complex_numIdEPKS3_PKPS1_EvbiT_T4_T5_S9_lSB_S9_lT6_S9_li
		.amdhsa_group_segment_fixed_size 32768
		.amdhsa_private_segment_fixed_size 0
		.amdhsa_kernarg_size 100
		.amdhsa_user_sgpr_count 13
		.amdhsa_user_sgpr_dispatch_ptr 0
		.amdhsa_user_sgpr_queue_ptr 0
		.amdhsa_user_sgpr_kernarg_segment_ptr 1
		.amdhsa_user_sgpr_dispatch_id 0
		.amdhsa_user_sgpr_private_segment_size 0
		.amdhsa_wavefront_size32 1
		.amdhsa_uses_dynamic_stack 0
		.amdhsa_enable_private_segment 0
		.amdhsa_system_sgpr_workgroup_id_x 1
		.amdhsa_system_sgpr_workgroup_id_y 1
		.amdhsa_system_sgpr_workgroup_id_z 1
		.amdhsa_system_sgpr_workgroup_info 0
		.amdhsa_system_vgpr_workitem_id 1
		.amdhsa_next_free_vgpr 52
		.amdhsa_next_free_sgpr 32
		.amdhsa_reserve_vcc 1
		.amdhsa_float_round_mode_32 0
		.amdhsa_float_round_mode_16_64 0
		.amdhsa_float_denorm_mode_32 3
		.amdhsa_float_denorm_mode_16_64 3
		.amdhsa_dx10_clamp 1
		.amdhsa_ieee_mode 1
		.amdhsa_fp16_overflow 0
		.amdhsa_workgroup_processor_mode 1
		.amdhsa_memory_ordered 1
		.amdhsa_forward_progress 0
		.amdhsa_shared_vgpr_count 0
		.amdhsa_exception_fp_ieee_invalid_op 0
		.amdhsa_exception_fp_denorm_src 0
		.amdhsa_exception_fp_ieee_div_zero 0
		.amdhsa_exception_fp_ieee_overflow 0
		.amdhsa_exception_fp_ieee_underflow 0
		.amdhsa_exception_fp_ieee_inexact 0
		.amdhsa_exception_int_div_zero 0
	.end_amdhsa_kernel
	.section	.text._ZL26rocblas_syr2k_her2k_kernelIlLb0ELb0ELb1ELi32EPK19rocblas_complex_numIdEPKS3_PKPS1_EvbiT_T4_T5_S9_lSB_S9_lT6_S9_li,"axG",@progbits,_ZL26rocblas_syr2k_her2k_kernelIlLb0ELb0ELb1ELi32EPK19rocblas_complex_numIdEPKS3_PKPS1_EvbiT_T4_T5_S9_lSB_S9_lT6_S9_li,comdat
.Lfunc_end1693:
	.size	_ZL26rocblas_syr2k_her2k_kernelIlLb0ELb0ELb1ELi32EPK19rocblas_complex_numIdEPKS3_PKPS1_EvbiT_T4_T5_S9_lSB_S9_lT6_S9_li, .Lfunc_end1693-_ZL26rocblas_syr2k_her2k_kernelIlLb0ELb0ELb1ELi32EPK19rocblas_complex_numIdEPKS3_PKPS1_EvbiT_T4_T5_S9_lSB_S9_lT6_S9_li
                                        ; -- End function
	.section	.AMDGPU.csdata,"",@progbits
; Kernel info:
; codeLenInByte = 3232
; NumSgprs: 34
; NumVgprs: 52
; ScratchSize: 0
; MemoryBound: 1
; FloatMode: 240
; IeeeMode: 1
; LDSByteSize: 32768 bytes/workgroup (compile time only)
; SGPRBlocks: 4
; VGPRBlocks: 6
; NumSGPRsForWavesPerEU: 34
; NumVGPRsForWavesPerEU: 52
; Occupancy: 16
; WaveLimiterHint : 1
; COMPUTE_PGM_RSRC2:SCRATCH_EN: 0
; COMPUTE_PGM_RSRC2:USER_SGPR: 13
; COMPUTE_PGM_RSRC2:TRAP_HANDLER: 0
; COMPUTE_PGM_RSRC2:TGID_X_EN: 1
; COMPUTE_PGM_RSRC2:TGID_Y_EN: 1
; COMPUTE_PGM_RSRC2:TGID_Z_EN: 1
; COMPUTE_PGM_RSRC2:TIDIG_COMP_CNT: 1
	.section	.text._ZL26rocblas_syr2k_her2k_kernelIlLb0ELb1ELb0ELi32E19rocblas_complex_numIfEPKPKS1_PKPS1_EvbiT_T4_T5_S9_lSB_S9_lT6_S9_li,"axG",@progbits,_ZL26rocblas_syr2k_her2k_kernelIlLb0ELb1ELb0ELi32E19rocblas_complex_numIfEPKPKS1_PKPS1_EvbiT_T4_T5_S9_lSB_S9_lT6_S9_li,comdat
	.globl	_ZL26rocblas_syr2k_her2k_kernelIlLb0ELb1ELb0ELi32E19rocblas_complex_numIfEPKPKS1_PKPS1_EvbiT_T4_T5_S9_lSB_S9_lT6_S9_li ; -- Begin function _ZL26rocblas_syr2k_her2k_kernelIlLb0ELb1ELb0ELi32E19rocblas_complex_numIfEPKPKS1_PKPS1_EvbiT_T4_T5_S9_lSB_S9_lT6_S9_li
	.p2align	8
	.type	_ZL26rocblas_syr2k_her2k_kernelIlLb0ELb1ELb0ELi32E19rocblas_complex_numIfEPKPKS1_PKPS1_EvbiT_T4_T5_S9_lSB_S9_lT6_S9_li,@function
_ZL26rocblas_syr2k_her2k_kernelIlLb0ELb1ELb0ELi32E19rocblas_complex_numIfEPKPKS1_PKPS1_EvbiT_T4_T5_S9_lSB_S9_lT6_S9_li: ; @_ZL26rocblas_syr2k_her2k_kernelIlLb0ELb1ELb0ELi32E19rocblas_complex_numIfEPKPKS1_PKPS1_EvbiT_T4_T5_S9_lSB_S9_lT6_S9_li
; %bb.0:
	s_load_b64 s[20:21], s[0:1], 0x10
	s_waitcnt lgkmcnt(0)
	v_cmp_eq_f32_e64 s2, s20, 0
	v_cmp_eq_f32_e64 s3, s21, 0
	s_delay_alu instid0(VALU_DEP_1) | instskip(NEXT) | instid1(SALU_CYCLE_1)
	s_and_b32 s2, s2, s3
	s_and_b32 vcc_lo, exec_lo, s2
	s_cbranch_vccnz .LBB1694_13
; %bb.1:
	s_load_b64 s[2:3], s[0:1], 0x0
	s_lshl_b32 s26, s14, 5
	s_lshl_b32 s27, s13, 5
	s_waitcnt lgkmcnt(0)
	s_and_b32 s2, 1, s2
	s_delay_alu instid0(SALU_CYCLE_1) | instskip(SKIP_1) | instid1(SALU_CYCLE_1)
	s_cmp_eq_u32 s2, 1
	s_cselect_b32 s2, -1, 0
	s_and_b32 s4, s2, exec_lo
	s_cselect_b32 s4, s27, s26
	s_cselect_b32 s5, s26, s27
	s_delay_alu instid0(SALU_CYCLE_1)
	s_cmp_gt_i32 s4, s5
	s_cbranch_scc1 .LBB1694_13
; %bb.2:
	s_mov_b32 s24, s15
	s_load_b512 s[4:19], s[0:1], 0x18
	s_mov_b32 s25, 0
	s_load_b64 s[22:23], s[0:1], 0x8
	s_lshl_b64 s[24:25], s[24:25], 3
	s_load_b64 s[0:1], s[0:1], 0x58
	v_and_b32_e32 v14, 0x3ff, v0
	v_bfe_u32 v15, v0, 10, 10
	s_delay_alu instid0(VALU_DEP_2) | instskip(NEXT) | instid1(VALU_DEP_2)
	v_add_nc_u32_e32 v0, s27, v14
	v_add_nc_u32_e32 v4, s26, v15
	s_delay_alu instid0(VALU_DEP_2)
	v_ashrrev_i32_e32 v3, 31, v0
	s_waitcnt lgkmcnt(0)
	s_add_u32 s16, s16, s24
	s_addc_u32 s17, s17, s25
	v_cmp_lt_i64_e64 s28, s[22:23], 1
	s_load_b64 s[16:17], s[16:17], 0x0
	s_lshl_b64 s[0:1], s[0:1], 3
	s_waitcnt lgkmcnt(0)
	s_add_u32 s16, s16, s0
	s_addc_u32 s17, s17, s1
	s_and_b32 vcc_lo, exec_lo, s28
	s_cbranch_vccnz .LBB1694_11
; %bb.3:
	v_ashrrev_i32_e32 v8, 31, v4
	v_mul_lo_u32 v20, v4, s19
	v_mad_u64_u32 v[6:7], null, s12, v14, 0
	v_dual_mov_b32 v1, 0 :: v_dual_lshlrev_b32 v2, 3, v15
	s_delay_alu instid0(VALU_DEP_4) | instskip(SKIP_1) | instid1(VALU_DEP_3)
	v_mul_lo_u32 v21, v8, s18
	v_mad_u64_u32 v[8:9], null, v4, s18, 0
	v_dual_mov_b32 v5, v1 :: v_dual_lshlrev_b32 v16, 8, v14
	v_mad_u64_u32 v[10:11], null, s6, v15, 0
	v_cndmask_b32_e64 v12, v0, v4, s2
	v_cndmask_b32_e64 v13, v4, v0, s2
	v_add3_u32 v9, v9, v20, v21
	v_add_nc_u32_e32 v17, v16, v2
	v_or_b32_e32 v18, 0x2000, v2
	v_mov_b32_e32 v2, v7
	v_cmp_le_i32_e64 s2, v13, v12
	v_lshlrev_b64 v[8:9], 3, v[8:9]
	v_mov_b32_e32 v7, v11
	v_max_i32_e32 v22, v0, v4
	v_mad_u64_u32 v[12:13], null, s13, v14, v[2:3]
	v_dual_mov_b32 v2, v0 :: v_dual_add_nc_u32 v19, v18, v16
	s_delay_alu instid0(VALU_DEP_4) | instskip(NEXT) | instid1(VALU_DEP_4)
	v_mad_u64_u32 v[20:21], null, s7, v15, v[7:8]
	v_cmp_gt_i32_e32 vcc_lo, s3, v22
	s_add_u32 s0, s4, s24
	s_delay_alu instid0(VALU_DEP_4)
	v_mov_b32_e32 v7, v12
	s_addc_u32 s1, s5, s25
	s_add_u32 s10, s10, s24
	v_lshlrev_b64 v[21:22], 3, v[2:3]
	s_addc_u32 s11, s11, s25
	s_and_b32 s2, s2, vcc_lo
	v_add_co_u32 v2, vcc_lo, s16, v8
	s_load_b64 s[4:5], s[0:1], 0x0
	s_load_b64 s[10:11], s[10:11], 0x0
	v_add_co_ci_u32_e32 v12, vcc_lo, s17, v9, vcc_lo
	v_lshlrev_b64 v[8:9], 3, v[6:7]
	v_mov_b32_e32 v11, v20
	v_add_co_u32 v6, vcc_lo, v2, v21
	s_lshl_b64 s[14:15], s[14:15], 3
	v_add_co_ci_u32_e32 v7, vcc_lo, v12, v22, vcc_lo
	s_delay_alu instid0(VALU_DEP_3)
	v_lshlrev_b64 v[10:11], 3, v[10:11]
	v_add_co_u32 v12, vcc_lo, v8, s14
	v_add_co_ci_u32_e32 v13, vcc_lo, s15, v9, vcc_lo
	v_lshlrev_b64 v[8:9], 3, v[4:5]
	s_ashr_i32 s25, s3, 31
	s_mov_b32 s24, s3
	s_lshl_b64 s[8:9], s[8:9], 3
	v_cmp_gt_i64_e64 s0, s[24:25], v[0:1]
	v_cmp_gt_i64_e64 s1, s[24:25], v[4:5]
	v_add_co_u32 v5, vcc_lo, v10, s8
	v_lshlrev_b64 v[1:2], 3, v[0:1]
	v_add_co_ci_u32_e32 v10, vcc_lo, s9, v11, vcc_lo
	v_add_co_u32 v8, vcc_lo, v12, v8
	v_add_co_ci_u32_e32 v9, vcc_lo, v13, v9, vcc_lo
	s_delay_alu instid0(VALU_DEP_4) | instskip(NEXT) | instid1(VALU_DEP_4)
	v_add_co_u32 v1, vcc_lo, v5, v1
	v_add_co_ci_u32_e32 v2, vcc_lo, v10, v2, vcc_lo
	s_waitcnt lgkmcnt(0)
	v_add_co_u32 v5, vcc_lo, v8, s10
	v_add_co_ci_u32_e32 v8, vcc_lo, s11, v9, vcc_lo
	v_add_co_u32 v9, vcc_lo, v1, s4
	v_add_co_ci_u32_e32 v10, vcc_lo, s5, v2, vcc_lo
	s_delay_alu instid0(VALU_DEP_4) | instskip(NEXT) | instid1(VALU_DEP_4)
	v_add_co_u32 v1, vcc_lo, v5, 4
	v_add_co_ci_u32_e32 v2, vcc_lo, 0, v8, vcc_lo
	s_delay_alu instid0(VALU_DEP_4) | instskip(NEXT) | instid1(VALU_DEP_4)
	v_add_co_u32 v8, vcc_lo, v9, 4
	v_add_co_ci_u32_e32 v9, vcc_lo, 0, v10, vcc_lo
	v_add_nc_u32_e32 v5, 0x800, v18
	v_add_nc_u32_e32 v20, 0x1000, v18
	v_add_nc_u32_e32 v21, 0x1800, v18
	s_lshl_b64 s[4:5], s[12:13], 8
	s_lshl_b64 s[6:7], s[6:7], 8
	s_mov_b64 s[8:9], 0
	s_branch .LBB1694_5
.LBB1694_4:                             ;   in Loop: Header=BB1694_5 Depth=1
	s_or_b32 exec_lo, exec_lo, s10
	s_add_u32 s8, s8, 32
	s_addc_u32 s9, s9, 0
	v_add_co_u32 v1, vcc_lo, v1, s4
	v_cmp_ge_i64_e64 s10, s[8:9], s[22:23]
	v_add_co_ci_u32_e32 v2, vcc_lo, s5, v2, vcc_lo
	v_add_co_u32 v8, vcc_lo, v8, s6
	v_add_co_ci_u32_e32 v9, vcc_lo, s7, v9, vcc_lo
	s_delay_alu instid0(VALU_DEP_4)
	s_and_b32 vcc_lo, exec_lo, s10
	s_waitcnt_vscnt null, 0x0
	s_barrier
	buffer_gl0_inv
	s_cbranch_vccnz .LBB1694_11
.LBB1694_5:                             ; =>This Inner Loop Header: Depth=1
	v_add_co_u32 v10, s10, v15, s8
	s_delay_alu instid0(VALU_DEP_1) | instskip(NEXT) | instid1(VALU_DEP_1)
	v_add_co_ci_u32_e64 v11, null, 0, s9, s10
	v_cmp_gt_i64_e32 vcc_lo, s[22:23], v[10:11]
	v_dual_mov_b32 v10, 0 :: v_dual_mov_b32 v11, 0
	s_and_b32 s11, s0, vcc_lo
	s_delay_alu instid0(SALU_CYCLE_1)
	s_and_saveexec_b32 s10, s11
	s_cbranch_execz .LBB1694_7
; %bb.6:                                ;   in Loop: Header=BB1694_5 Depth=1
	global_load_b64 v[10:11], v[8:9], off offset:-4
.LBB1694_7:                             ;   in Loop: Header=BB1694_5 Depth=1
	s_or_b32 exec_lo, exec_lo, s10
	v_add_co_u32 v12, s10, v14, s8
	s_delay_alu instid0(VALU_DEP_1)
	v_add_co_ci_u32_e64 v13, null, 0, s9, s10
	s_waitcnt vmcnt(0)
	ds_store_b64 v17, v[10:11]
	v_cmp_gt_i64_e32 vcc_lo, s[22:23], v[12:13]
	v_dual_mov_b32 v12, 0 :: v_dual_mov_b32 v13, 0
	s_and_b32 s11, s1, vcc_lo
	s_delay_alu instid0(SALU_CYCLE_1)
	s_and_saveexec_b32 s10, s11
	s_cbranch_execz .LBB1694_9
; %bb.8:                                ;   in Loop: Header=BB1694_5 Depth=1
	global_load_b64 v[12:13], v[1:2], off offset:-4
	s_waitcnt vmcnt(0)
	v_xor_b32_e32 v13, 0x80000000, v13
.LBB1694_9:                             ;   in Loop: Header=BB1694_5 Depth=1
	s_or_b32 exec_lo, exec_lo, s10
	ds_store_b64 v19, v[12:13]
	s_waitcnt lgkmcnt(0)
	s_barrier
	buffer_gl0_inv
	s_and_saveexec_b32 s10, s2
	s_cbranch_execz .LBB1694_4
; %bb.10:                               ;   in Loop: Header=BB1694_5 Depth=1
	global_load_b64 v[10:11], v[6:7], off
	ds_load_2addr_b64 v[22:25], v18 offset1:32
	ds_load_b128 v[26:29], v16
	ds_load_b128 v[30:33], v16 offset:16
	ds_load_b128 v[34:37], v16 offset:32
	;; [unrolled: 1-line block ×3, first 2 shown]
	ds_load_2addr_b64 v[42:45], v18 offset0:64 offset1:96
	ds_load_2addr_b64 v[46:49], v18 offset0:128 offset1:160
	;; [unrolled: 1-line block ×3, first 2 shown]
	ds_load_2addr_b64 v[54:57], v5 offset1:32
	ds_load_b128 v[58:61], v16 offset:64
	ds_load_b128 v[62:65], v16 offset:80
	ds_load_2addr_b64 v[66:69], v5 offset0:64 offset1:96
	ds_load_2addr_b64 v[70:73], v5 offset0:128 offset1:160
	ds_load_b128 v[74:77], v16 offset:96
	ds_load_b128 v[78:81], v16 offset:112
	ds_load_2addr_b64 v[82:85], v5 offset0:192 offset1:224
	ds_load_2addr_b64 v[86:89], v20 offset1:32
	ds_load_b128 v[90:93], v16 offset:128
	ds_load_b128 v[94:97], v16 offset:144
	s_waitcnt lgkmcnt(17)
	v_mul_f32_e32 v12, v23, v27
	v_dual_mul_f32 v13, v22, v27 :: v_dual_mul_f32 v98, v24, v29
	s_waitcnt lgkmcnt(13)
	v_dual_mul_f32 v27, v25, v29 :: v_dual_mul_f32 v100, v42, v31
	v_mul_f32_e32 v101, v44, v33
	v_fma_f32 v12, v22, v26, -v12
	v_dual_fmac_f32 v13, v23, v26 :: v_dual_fmac_f32 v98, v25, v28
	s_delay_alu instid0(VALU_DEP_4)
	v_fma_f32 v99, v24, v28, -v27
	v_dual_mul_f32 v26, v43, v31 :: v_dual_mul_f32 v27, v45, v33
	s_waitcnt lgkmcnt(12)
	v_dual_mul_f32 v102, v46, v35 :: v_dual_mul_f32 v33, v49, v37
	v_mul_f32_e32 v105, v48, v37
	v_dual_add_f32 v13, 0, v13 :: v_dual_add_f32 v12, 0, v12
	v_mul_f32_e32 v31, v47, v35
	v_fma_f32 v103, v42, v30, -v26
	s_delay_alu instid0(VALU_DEP_4)
	v_dual_fmac_f32 v102, v47, v34 :: v_dual_fmac_f32 v105, v49, v36
	s_waitcnt lgkmcnt(11)
	v_dual_mul_f32 v42, v51, v39 :: v_dual_add_f32 v13, v13, v98
	v_dual_mul_f32 v98, v52, v41 :: v_dual_mul_f32 v107, v50, v39
	v_dual_mul_f32 v39, v53, v41 :: v_dual_add_f32 v12, v12, v99
	v_dual_fmac_f32 v100, v43, v30 :: v_dual_fmac_f32 v101, v45, v32
	v_fma_f32 v104, v44, v32, -v27
	v_fma_f32 v46, v46, v34, -v31
	s_delay_alu instid0(VALU_DEP_3) | instskip(SKIP_3) | instid1(VALU_DEP_3)
	v_dual_add_f32 v12, v12, v103 :: v_dual_add_f32 v13, v13, v100
	s_waitcnt lgkmcnt(9)
	v_dual_mul_f32 v100, v56, v61 :: v_dual_mul_f32 v47, v55, v59
	v_fma_f32 v106, v48, v36, -v33
	v_dual_add_f32 v12, v12, v104 :: v_dual_add_f32 v13, v13, v101
	v_fma_f32 v108, v50, v38, -v42
	s_delay_alu instid0(VALU_DEP_4) | instskip(SKIP_1) | instid1(VALU_DEP_3)
	v_dual_mul_f32 v99, v54, v59 :: v_dual_fmac_f32 v100, v57, v60
	s_waitcnt lgkmcnt(7)
	v_dual_add_f32 v12, v12, v46 :: v_dual_mul_f32 v101, v66, v63
	v_fma_f32 v109, v52, v40, -v39
	v_mul_f32_e32 v59, v67, v63
	v_add_f32_e32 v13, v13, v102
	s_delay_alu instid0(VALU_DEP_4) | instskip(SKIP_2) | instid1(VALU_DEP_3)
	v_add_f32_e32 v12, v12, v106
	v_dual_fmac_f32 v99, v55, v58 :: v_dual_fmac_f32 v98, v53, v40
	v_dual_fmac_f32 v107, v51, v38 :: v_dual_mul_f32 v48, v57, v61
	v_add_f32_e32 v12, v12, v108
	v_fma_f32 v63, v54, v58, -v47
	v_mul_f32_e32 v54, v69, v65
	v_fma_f32 v104, v66, v62, -v59
	v_fmac_f32_e32 v101, v67, v62
	s_waitcnt lgkmcnt(5)
	v_mul_f32_e32 v62, v71, v75
	v_dual_mul_f32 v75, v70, v75 :: v_dual_add_f32 v12, v12, v109
	v_add_f32_e32 v13, v13, v105
	v_fma_f32 v102, v56, v60, -v48
	v_mul_f32_e32 v103, v68, v65
	v_fma_f32 v105, v68, v64, -v54
	v_add_f32_e32 v12, v12, v63
	v_add_f32_e32 v13, v13, v107
	v_fmac_f32_e32 v75, v71, v74
	ds_load_2addr_b64 v[22:25], v20 offset0:64 offset1:96
	ds_load_2addr_b64 v[26:29], v20 offset0:128 offset1:160
	v_add_f32_e32 v12, v12, v102
	s_waitcnt lgkmcnt(5)
	v_dual_add_f32 v13, v13, v98 :: v_dual_mul_f32 v98, v83, v79
	v_fmac_f32_e32 v103, v69, v64
	v_mul_f32_e32 v64, v73, v77
	v_mul_f32_e32 v77, v72, v77
	s_delay_alu instid0(VALU_DEP_4) | instskip(SKIP_1) | instid1(VALU_DEP_4)
	v_dual_add_f32 v13, v13, v99 :: v_dual_add_f32 v12, v12, v104
	v_fma_f32 v99, v70, v74, -v62
	v_fma_f32 v74, v72, v76, -v64
	s_delay_alu instid0(VALU_DEP_4)
	v_fmac_f32_e32 v77, v73, v76
	v_dual_mul_f32 v79, v82, v79 :: v_dual_mul_f32 v70, v85, v81
	v_dual_add_f32 v12, v12, v105 :: v_dual_add_f32 v13, v13, v100
	v_mul_f32_e32 v76, v84, v81
	v_fma_f32 v81, v82, v78, -v98
	ds_load_b128 v[30:33], v16 offset:160
	ds_load_b128 v[34:37], v16 offset:176
	v_dual_add_f32 v12, v12, v99 :: v_dual_add_f32 v13, v13, v101
	ds_load_2addr_b64 v[38:41], v20 offset0:192 offset1:224
	v_fmac_f32_e32 v79, v83, v78
	v_fma_f32 v78, v84, v80, -v70
	s_waitcnt lgkmcnt(6)
	v_mul_f32_e32 v84, v89, v93
	v_dual_add_f32 v12, v12, v74 :: v_dual_add_f32 v13, v13, v103
	v_mul_f32_e32 v82, v86, v91
	ds_load_2addr_b64 v[42:45], v21 offset1:32
	v_fmac_f32_e32 v76, v85, v80
	v_dual_add_f32 v12, v12, v81 :: v_dual_add_f32 v13, v13, v75
	v_mul_f32_e32 v80, v87, v91
	ds_load_b128 v[46:49], v16 offset:192
	ds_load_b128 v[50:53], v16 offset:208
	s_waitcnt lgkmcnt(7)
	v_dual_mul_f32 v85, v23, v95 :: v_dual_add_f32 v12, v12, v78
	v_add_f32_e32 v13, v13, v77
	ds_load_2addr_b64 v[54:57], v21 offset0:64 offset1:96
	v_dual_mul_f32 v91, v22, v95 :: v_dual_fmac_f32 v82, v87, v90
	v_mul_f32_e32 v75, v25, v97
	v_add_f32_e32 v13, v13, v79
	v_fma_f32 v79, v86, v90, -v80
	v_fma_f32 v80, v88, v92, -v84
	ds_load_2addr_b64 v[58:61], v21 offset0:128 offset1:160
	s_waitcnt lgkmcnt(5)
	v_dual_mul_f32 v83, v88, v93 :: v_dual_mul_f32 v74, v39, v35
	v_add_f32_e32 v12, v12, v79
	v_mul_f32_e32 v95, v27, v31
	v_add_f32_e32 v13, v13, v76
	v_mul_f32_e32 v76, v41, v37
	v_fma_f32 v22, v22, v94, -v85
	v_add_f32_e32 v12, v12, v80
	v_mul_f32_e32 v93, v24, v97
	v_mul_f32_e32 v31, v26, v31
	s_waitcnt lgkmcnt(3)
	v_mul_f32_e32 v78, v43, v47
	v_fma_f32 v24, v24, v96, -v75
	v_add_f32_e32 v12, v12, v22
	ds_load_b128 v[62:65], v16 offset:224
	ds_load_b128 v[66:69], v16 offset:240
	v_mul_f32_e32 v77, v29, v33
	v_fma_f32 v26, v26, v30, -v95
	ds_load_2addr_b64 v[70:73], v21 offset0:192 offset1:224
	v_dual_add_f32 v12, v12, v24 :: v_dual_fmac_f32 v31, v27, v30
	v_fma_f32 v27, v28, v32, -v77
	v_mul_f32_e32 v33, v28, v33
	v_fma_f32 v28, v38, v34, -v74
	s_delay_alu instid0(VALU_DEP_4) | instskip(SKIP_3) | instid1(VALU_DEP_3)
	v_add_f32_e32 v12, v12, v26
	s_waitcnt lgkmcnt(4)
	v_dual_mul_f32 v26, v56, v53 :: v_dual_add_f32 v13, v13, v82
	v_dual_mul_f32 v35, v38, v35 :: v_dual_mul_f32 v24, v57, v53
	v_add_f32_e32 v12, v12, v27
	v_mul_f32_e32 v47, v42, v47
	v_fma_f32 v30, v42, v46, -v78
	v_dual_fmac_f32 v91, v23, v94 :: v_dual_fmac_f32 v26, v57, v52
	s_delay_alu instid0(VALU_DEP_4)
	v_add_f32_e32 v12, v12, v28
	s_waitcnt lgkmcnt(2)
	v_dual_mul_f32 v28, v58, v63 :: v_dual_fmac_f32 v33, v29, v32
	v_fma_f32 v29, v40, v36, -v76
	v_dual_fmac_f32 v83, v89, v92 :: v_dual_mul_f32 v22, v54, v51
	v_fma_f32 v24, v56, v52, -v24
	s_delay_alu instid0(VALU_DEP_4) | instskip(NEXT) | instid1(VALU_DEP_4)
	v_fmac_f32_e32 v28, v59, v62
	v_add_f32_e32 v12, v12, v29
	v_mul_f32_e32 v81, v45, v49
	v_add_f32_e32 v13, v13, v83
	v_dual_mul_f32 v37, v40, v37 :: v_dual_fmac_f32 v22, v55, v50
	s_delay_alu instid0(VALU_DEP_4) | instskip(SKIP_1) | instid1(VALU_DEP_3)
	v_dual_add_f32 v12, v12, v30 :: v_dual_fmac_f32 v93, v25, v96
	v_mul_f32_e32 v25, v55, v51
	v_fmac_f32_e32 v37, v41, v36
	v_mul_f32_e32 v23, v44, v49
	v_fmac_f32_e32 v47, v43, v46
	v_mul_f32_e32 v27, v59, v63
	v_fma_f32 v25, v54, v50, -v25
	v_add_f32_e32 v13, v13, v91
	v_fmac_f32_e32 v23, v45, v48
	v_mul_f32_e32 v29, v61, v65
	s_delay_alu instid0(VALU_DEP_3) | instskip(NEXT) | instid1(VALU_DEP_1)
	v_add_f32_e32 v13, v13, v93
	v_add_f32_e32 v13, v13, v31
	v_fma_f32 v31, v44, v48, -v81
	s_delay_alu instid0(VALU_DEP_1) | instskip(SKIP_1) | instid1(VALU_DEP_1)
	v_dual_add_f32 v13, v13, v33 :: v_dual_add_f32 v12, v12, v31
	s_waitcnt lgkmcnt(0)
	v_dual_add_f32 v12, v12, v25 :: v_dual_mul_f32 v25, v70, v67
	s_delay_alu instid0(VALU_DEP_1) | instskip(SKIP_1) | instid1(VALU_DEP_1)
	v_add_f32_e32 v12, v12, v24
	v_dual_mul_f32 v24, v72, v69 :: v_dual_fmac_f32 v35, v39, v34
	v_dual_fmac_f32 v25, v71, v66 :: v_dual_fmac_f32 v24, v73, v68
	s_delay_alu instid0(VALU_DEP_2) | instskip(NEXT) | instid1(VALU_DEP_1)
	v_add_f32_e32 v13, v13, v35
	v_add_f32_e32 v13, v13, v37
	s_delay_alu instid0(VALU_DEP_1) | instskip(NEXT) | instid1(VALU_DEP_1)
	v_add_f32_e32 v13, v13, v47
	v_add_f32_e32 v13, v13, v23
	v_mul_f32_e32 v23, v60, v65
	s_delay_alu instid0(VALU_DEP_2) | instskip(NEXT) | instid1(VALU_DEP_2)
	v_add_f32_e32 v13, v13, v22
	v_dual_fmac_f32 v23, v61, v64 :: v_dual_mul_f32 v22, v71, v67
	s_delay_alu instid0(VALU_DEP_2) | instskip(SKIP_2) | instid1(VALU_DEP_4)
	v_add_f32_e32 v13, v13, v26
	v_fma_f32 v26, v58, v62, -v27
	v_fma_f32 v27, v60, v64, -v29
	v_fma_f32 v22, v70, v66, -v22
	s_delay_alu instid0(VALU_DEP_3) | instskip(NEXT) | instid1(VALU_DEP_1)
	v_dual_add_f32 v13, v13, v28 :: v_dual_add_f32 v12, v12, v26
	v_add_f32_e32 v13, v13, v23
	s_delay_alu instid0(VALU_DEP_2) | instskip(NEXT) | instid1(VALU_DEP_2)
	v_dual_mul_f32 v23, v73, v69 :: v_dual_add_f32 v12, v12, v27
	v_add_f32_e32 v13, v13, v25
	s_delay_alu instid0(VALU_DEP_2) | instskip(NEXT) | instid1(VALU_DEP_2)
	v_fma_f32 v23, v72, v68, -v23
	v_dual_add_f32 v12, v12, v22 :: v_dual_add_f32 v13, v13, v24
	s_delay_alu instid0(VALU_DEP_1) | instskip(NEXT) | instid1(VALU_DEP_2)
	v_add_f32_e32 v12, v12, v23
	v_mul_f32_e32 v22, s21, v13
	v_mul_f32_e32 v13, s20, v13
	s_delay_alu instid0(VALU_DEP_2) | instskip(SKIP_1) | instid1(VALU_DEP_1)
	v_fma_f32 v22, s20, v12, -v22
	s_waitcnt vmcnt(0)
	v_dual_fmac_f32 v13, s21, v12 :: v_dual_add_f32 v10, v10, v22
	s_delay_alu instid0(VALU_DEP_1)
	v_add_f32_e32 v11, v11, v13
	global_store_b64 v[6:7], v[10:11], off
	s_branch .LBB1694_4
.LBB1694_11:
	v_cmp_eq_u32_e32 vcc_lo, v0, v4
	v_cmp_gt_i32_e64 s0, s3, v0
	s_delay_alu instid0(VALU_DEP_1) | instskip(NEXT) | instid1(SALU_CYCLE_1)
	s_and_b32 s0, vcc_lo, s0
	s_and_saveexec_b32 s1, s0
	s_cbranch_execz .LBB1694_13
; %bb.12:
	v_mul_lo_u32 v1, v0, s19
	v_mul_lo_u32 v2, v3, s18
	v_mad_u64_u32 v[4:5], null, v0, s18, 0
	s_delay_alu instid0(VALU_DEP_1) | instskip(SKIP_1) | instid1(VALU_DEP_2)
	v_add3_u32 v5, v5, v1, v2
	v_mov_b32_e32 v1, v3
	v_lshlrev_b64 v[2:3], 3, v[4:5]
	s_delay_alu instid0(VALU_DEP_2) | instskip(NEXT) | instid1(VALU_DEP_2)
	v_lshlrev_b64 v[0:1], 3, v[0:1]
	v_add_co_u32 v2, vcc_lo, s16, v2
	s_delay_alu instid0(VALU_DEP_3) | instskip(NEXT) | instid1(VALU_DEP_2)
	v_add_co_ci_u32_e32 v3, vcc_lo, s17, v3, vcc_lo
	v_add_co_u32 v0, vcc_lo, v2, v0
	v_mov_b32_e32 v2, 0
	s_delay_alu instid0(VALU_DEP_3)
	v_add_co_ci_u32_e32 v1, vcc_lo, v3, v1, vcc_lo
	global_store_b32 v[0:1], v2, off offset:4
.LBB1694_13:
	s_nop 0
	s_sendmsg sendmsg(MSG_DEALLOC_VGPRS)
	s_endpgm
	.section	.rodata,"a",@progbits
	.p2align	6, 0x0
	.amdhsa_kernel _ZL26rocblas_syr2k_her2k_kernelIlLb0ELb1ELb0ELi32E19rocblas_complex_numIfEPKPKS1_PKPS1_EvbiT_T4_T5_S9_lSB_S9_lT6_S9_li
		.amdhsa_group_segment_fixed_size 16384
		.amdhsa_private_segment_fixed_size 0
		.amdhsa_kernarg_size 100
		.amdhsa_user_sgpr_count 13
		.amdhsa_user_sgpr_dispatch_ptr 0
		.amdhsa_user_sgpr_queue_ptr 0
		.amdhsa_user_sgpr_kernarg_segment_ptr 1
		.amdhsa_user_sgpr_dispatch_id 0
		.amdhsa_user_sgpr_private_segment_size 0
		.amdhsa_wavefront_size32 1
		.amdhsa_uses_dynamic_stack 0
		.amdhsa_enable_private_segment 0
		.amdhsa_system_sgpr_workgroup_id_x 1
		.amdhsa_system_sgpr_workgroup_id_y 1
		.amdhsa_system_sgpr_workgroup_id_z 1
		.amdhsa_system_sgpr_workgroup_info 0
		.amdhsa_system_vgpr_workitem_id 1
		.amdhsa_next_free_vgpr 110
		.amdhsa_next_free_sgpr 29
		.amdhsa_reserve_vcc 1
		.amdhsa_float_round_mode_32 0
		.amdhsa_float_round_mode_16_64 0
		.amdhsa_float_denorm_mode_32 3
		.amdhsa_float_denorm_mode_16_64 3
		.amdhsa_dx10_clamp 1
		.amdhsa_ieee_mode 1
		.amdhsa_fp16_overflow 0
		.amdhsa_workgroup_processor_mode 1
		.amdhsa_memory_ordered 1
		.amdhsa_forward_progress 0
		.amdhsa_shared_vgpr_count 0
		.amdhsa_exception_fp_ieee_invalid_op 0
		.amdhsa_exception_fp_denorm_src 0
		.amdhsa_exception_fp_ieee_div_zero 0
		.amdhsa_exception_fp_ieee_overflow 0
		.amdhsa_exception_fp_ieee_underflow 0
		.amdhsa_exception_fp_ieee_inexact 0
		.amdhsa_exception_int_div_zero 0
	.end_amdhsa_kernel
	.section	.text._ZL26rocblas_syr2k_her2k_kernelIlLb0ELb1ELb0ELi32E19rocblas_complex_numIfEPKPKS1_PKPS1_EvbiT_T4_T5_S9_lSB_S9_lT6_S9_li,"axG",@progbits,_ZL26rocblas_syr2k_her2k_kernelIlLb0ELb1ELb0ELi32E19rocblas_complex_numIfEPKPKS1_PKPS1_EvbiT_T4_T5_S9_lSB_S9_lT6_S9_li,comdat
.Lfunc_end1694:
	.size	_ZL26rocblas_syr2k_her2k_kernelIlLb0ELb1ELb0ELi32E19rocblas_complex_numIfEPKPKS1_PKPS1_EvbiT_T4_T5_S9_lSB_S9_lT6_S9_li, .Lfunc_end1694-_ZL26rocblas_syr2k_her2k_kernelIlLb0ELb1ELb0ELi32E19rocblas_complex_numIfEPKPKS1_PKPS1_EvbiT_T4_T5_S9_lSB_S9_lT6_S9_li
                                        ; -- End function
	.section	.AMDGPU.csdata,"",@progbits
; Kernel info:
; codeLenInByte = 2440
; NumSgprs: 31
; NumVgprs: 110
; ScratchSize: 0
; MemoryBound: 0
; FloatMode: 240
; IeeeMode: 1
; LDSByteSize: 16384 bytes/workgroup (compile time only)
; SGPRBlocks: 3
; VGPRBlocks: 13
; NumSGPRsForWavesPerEU: 31
; NumVGPRsForWavesPerEU: 110
; Occupancy: 12
; WaveLimiterHint : 1
; COMPUTE_PGM_RSRC2:SCRATCH_EN: 0
; COMPUTE_PGM_RSRC2:USER_SGPR: 13
; COMPUTE_PGM_RSRC2:TRAP_HANDLER: 0
; COMPUTE_PGM_RSRC2:TGID_X_EN: 1
; COMPUTE_PGM_RSRC2:TGID_Y_EN: 1
; COMPUTE_PGM_RSRC2:TGID_Z_EN: 1
; COMPUTE_PGM_RSRC2:TIDIG_COMP_CNT: 1
	.section	.text._ZL26rocblas_syr2k_her2k_kernelIlLb0ELb1ELb1ELi32E19rocblas_complex_numIfEPKPKS1_PKPS1_EvbiT_T4_T5_S9_lSB_S9_lT6_S9_li,"axG",@progbits,_ZL26rocblas_syr2k_her2k_kernelIlLb0ELb1ELb1ELi32E19rocblas_complex_numIfEPKPKS1_PKPS1_EvbiT_T4_T5_S9_lSB_S9_lT6_S9_li,comdat
	.globl	_ZL26rocblas_syr2k_her2k_kernelIlLb0ELb1ELb1ELi32E19rocblas_complex_numIfEPKPKS1_PKPS1_EvbiT_T4_T5_S9_lSB_S9_lT6_S9_li ; -- Begin function _ZL26rocblas_syr2k_her2k_kernelIlLb0ELb1ELb1ELi32E19rocblas_complex_numIfEPKPKS1_PKPS1_EvbiT_T4_T5_S9_lSB_S9_lT6_S9_li
	.p2align	8
	.type	_ZL26rocblas_syr2k_her2k_kernelIlLb0ELb1ELb1ELi32E19rocblas_complex_numIfEPKPKS1_PKPS1_EvbiT_T4_T5_S9_lSB_S9_lT6_S9_li,@function
_ZL26rocblas_syr2k_her2k_kernelIlLb0ELb1ELb1ELi32E19rocblas_complex_numIfEPKPKS1_PKPS1_EvbiT_T4_T5_S9_lSB_S9_lT6_S9_li: ; @_ZL26rocblas_syr2k_her2k_kernelIlLb0ELb1ELb1ELi32E19rocblas_complex_numIfEPKPKS1_PKPS1_EvbiT_T4_T5_S9_lSB_S9_lT6_S9_li
; %bb.0:
	s_load_b64 s[20:21], s[0:1], 0x10
	s_waitcnt lgkmcnt(0)
	v_cmp_eq_f32_e64 s2, s20, 0
	v_cmp_eq_f32_e64 s3, s21, 0
	s_delay_alu instid0(VALU_DEP_1) | instskip(NEXT) | instid1(SALU_CYCLE_1)
	s_and_b32 s2, s2, s3
	s_and_b32 vcc_lo, exec_lo, s2
	s_cbranch_vccnz .LBB1695_13
; %bb.1:
	s_load_b64 s[22:23], s[0:1], 0x0
	s_lshl_b32 s3, s14, 5
	s_waitcnt lgkmcnt(0)
	s_and_b32 s2, 1, s22
	s_lshl_b32 s22, s13, 5
	s_cmp_eq_u32 s2, 1
	s_cselect_b32 s2, -1, 0
	s_delay_alu instid0(SALU_CYCLE_1) | instskip(SKIP_2) | instid1(SALU_CYCLE_1)
	s_and_b32 s4, s2, exec_lo
	s_cselect_b32 s4, s22, s3
	s_cselect_b32 s5, s3, s22
	s_cmp_gt_i32 s4, s5
	s_cbranch_scc1 .LBB1695_13
; %bb.2:
	s_mov_b32 s26, s15
	s_load_b512 s[4:19], s[0:1], 0x18
	s_mov_b32 s27, 0
	s_load_b64 s[24:25], s[0:1], 0x8
	s_lshl_b64 s[26:27], s[26:27], 3
	s_load_b64 s[0:1], s[0:1], 0x58
	v_and_b32_e32 v14, 0x3ff, v0
	v_bfe_u32 v15, v0, 10, 10
	s_delay_alu instid0(VALU_DEP_2) | instskip(NEXT) | instid1(VALU_DEP_2)
	v_add_nc_u32_e32 v0, s22, v14
	v_add_nc_u32_e32 v2, s3, v15
	s_delay_alu instid0(VALU_DEP_2)
	v_ashrrev_i32_e32 v13, 31, v0
	s_waitcnt lgkmcnt(0)
	s_add_u32 s16, s16, s26
	s_addc_u32 s17, s17, s27
	v_cmp_lt_i64_e64 s28, s[24:25], 1
	s_load_b64 s[16:17], s[16:17], 0x0
	s_lshl_b64 s[0:1], s[0:1], 3
	s_waitcnt lgkmcnt(0)
	s_add_u32 s16, s16, s0
	s_addc_u32 s17, s17, s1
	s_and_b32 vcc_lo, exec_lo, s28
	s_cbranch_vccnz .LBB1695_11
; %bb.3:
	s_add_u32 s0, s4, s26
	v_dual_mov_b32 v1, 0 :: v_dual_lshlrev_b32 v22, 3, v15
	s_addc_u32 s1, s5, s27
	s_add_u32 s10, s10, s26
	s_addc_u32 s11, s11, s27
	s_ashr_i32 s27, s23, 31
	s_mov_b32 s26, s23
	s_load_b64 s[4:5], s[0:1], 0x0
	s_load_b64 s[10:11], s[10:11], 0x0
	v_dual_mov_b32 v3, v1 :: v_dual_lshlrev_b32 v16, 8, v14
	v_cmp_gt_i64_e64 s0, s[26:27], v[0:1]
	v_ashrrev_i32_e32 v1, 31, v2
	v_mad_u64_u32 v[4:5], null, s12, v2, 0
	v_mul_lo_u32 v10, v2, s19
	v_mad_u64_u32 v[6:7], null, v2, s18, 0
	s_delay_alu instid0(VALU_DEP_4)
	v_mul_lo_u32 v11, v1, s18
	v_mad_u64_u32 v[8:9], null, s6, v0, 0
	v_mov_b32_e32 v1, v5
	v_cndmask_b32_e64 v12, v0, v2, s2
	v_cndmask_b32_e64 v20, v2, v0, s2
	v_or_b32_e32 v18, 0x2000, v22
	v_cmp_gt_i64_e64 s1, s[26:27], v[2:3]
	v_add3_u32 v7, v7, v10, v11
	v_mov_b32_e32 v3, v9
	v_mad_u64_u32 v[10:11], null, s13, v2, v[1:2]
	v_max_i32_e32 v21, v0, v2
	v_mov_b32_e32 v1, v13
	v_cmp_le_i32_e64 s2, v20, v12
	v_lshlrev_b64 v[6:7], 3, v[6:7]
	v_mad_u64_u32 v[11:12], null, s7, v0, v[3:4]
	v_mov_b32_e32 v5, v10
	v_cmp_gt_i32_e32 vcc_lo, s23, v21
	v_lshlrev_b64 v[20:21], 3, v[0:1]
	v_add_co_u32 v1, s3, s16, v6
	s_delay_alu instid0(VALU_DEP_1) | instskip(SKIP_2) | instid1(VALU_DEP_4)
	v_add_co_ci_u32_e64 v7, s3, s17, v7, s3
	v_mov_b32_e32 v9, v11
	v_lshlrev_b64 v[5:6], 3, v[4:5]
	v_add_co_u32 v3, s3, v1, v20
	v_add_nc_u32_e32 v20, 0x1000, v18
	v_add_co_ci_u32_e64 v4, s3, v7, v21, s3
	s_lshl_b64 s[6:7], s[14:15], 3
	v_lshlrev_b64 v[7:8], 3, v[8:9]
	v_add_co_u32 v1, s3, v5, s6
	s_delay_alu instid0(VALU_DEP_1) | instskip(SKIP_4) | instid1(VALU_DEP_1)
	v_add_co_ci_u32_e64 v5, s3, s7, v6, s3
	v_lshlrev_b32_e32 v6, 3, v14
	s_lshl_b64 s[6:7], s[8:9], 3
	v_add_nc_u32_e32 v17, v16, v22
	v_add_co_u32 v7, s3, v7, s6
	v_add_co_ci_u32_e64 v8, s3, s7, v8, s3
	v_add_co_u32 v1, s3, v1, v6
	s_delay_alu instid0(VALU_DEP_1) | instskip(NEXT) | instid1(VALU_DEP_4)
	v_add_co_ci_u32_e64 v5, s3, 0, v5, s3
	v_add_co_u32 v6, s3, v7, v22
	s_delay_alu instid0(VALU_DEP_1) | instskip(SKIP_2) | instid1(VALU_DEP_1)
	v_add_co_ci_u32_e64 v7, s3, 0, v8, s3
	s_waitcnt lgkmcnt(0)
	v_add_co_u32 v1, s3, v1, s10
	v_add_co_ci_u32_e64 v8, s3, s11, v5, s3
	v_add_co_u32 v9, s3, v6, s4
	s_delay_alu instid0(VALU_DEP_1) | instskip(NEXT) | instid1(VALU_DEP_4)
	v_add_co_ci_u32_e64 v10, s3, s5, v7, s3
	v_add_co_u32 v5, s3, v1, 4
	s_delay_alu instid0(VALU_DEP_1) | instskip(NEXT) | instid1(VALU_DEP_4)
	v_add_co_ci_u32_e64 v6, s3, 0, v8, s3
	v_add_co_u32 v7, s3, v9, 4
	v_add_nc_u32_e32 v19, v18, v16
	v_add_co_ci_u32_e64 v8, s3, 0, v10, s3
	v_add_nc_u32_e32 v1, 0x800, v18
	v_add_nc_u32_e32 v21, 0x1800, v18
	s_and_b32 s4, s2, vcc_lo
	s_mov_b64 s[2:3], 0
	s_branch .LBB1695_5
.LBB1695_4:                             ;   in Loop: Header=BB1695_5 Depth=1
	s_or_b32 exec_lo, exec_lo, s5
	s_add_u32 s2, s2, 32
	s_addc_u32 s3, s3, 0
	v_add_co_u32 v5, vcc_lo, 0x100, v5
	v_cmp_ge_i64_e64 s5, s[2:3], s[24:25]
	v_add_co_ci_u32_e32 v6, vcc_lo, 0, v6, vcc_lo
	v_add_co_u32 v7, vcc_lo, 0x100, v7
	v_add_co_ci_u32_e32 v8, vcc_lo, 0, v8, vcc_lo
	s_delay_alu instid0(VALU_DEP_4)
	s_and_b32 vcc_lo, exec_lo, s5
	s_waitcnt_vscnt null, 0x0
	s_barrier
	buffer_gl0_inv
	s_cbranch_vccnz .LBB1695_11
.LBB1695_5:                             ; =>This Inner Loop Header: Depth=1
	v_add_co_u32 v9, s5, v15, s2
	s_delay_alu instid0(VALU_DEP_1) | instskip(NEXT) | instid1(VALU_DEP_1)
	v_add_co_ci_u32_e64 v10, null, 0, s3, s5
	v_cmp_gt_i64_e32 vcc_lo, s[24:25], v[9:10]
	v_dual_mov_b32 v9, 0 :: v_dual_mov_b32 v10, 0
	s_and_b32 s6, s0, vcc_lo
	s_delay_alu instid0(SALU_CYCLE_1)
	s_and_saveexec_b32 s5, s6
	s_cbranch_execz .LBB1695_7
; %bb.6:                                ;   in Loop: Header=BB1695_5 Depth=1
	global_load_b64 v[9:10], v[7:8], off offset:-4
	s_waitcnt vmcnt(0)
	v_xor_b32_e32 v10, 0x80000000, v10
.LBB1695_7:                             ;   in Loop: Header=BB1695_5 Depth=1
	s_or_b32 exec_lo, exec_lo, s5
	v_add_co_u32 v11, s5, v14, s2
	s_delay_alu instid0(VALU_DEP_1) | instskip(SKIP_4) | instid1(SALU_CYCLE_1)
	v_add_co_ci_u32_e64 v12, null, 0, s3, s5
	ds_store_b64 v17, v[9:10]
	v_cmp_gt_i64_e32 vcc_lo, s[24:25], v[11:12]
	v_dual_mov_b32 v11, 0 :: v_dual_mov_b32 v12, 0
	s_and_b32 s6, s1, vcc_lo
	s_and_saveexec_b32 s5, s6
	s_cbranch_execz .LBB1695_9
; %bb.8:                                ;   in Loop: Header=BB1695_5 Depth=1
	global_load_b64 v[11:12], v[5:6], off offset:-4
.LBB1695_9:                             ;   in Loop: Header=BB1695_5 Depth=1
	s_or_b32 exec_lo, exec_lo, s5
	s_waitcnt vmcnt(0)
	ds_store_b64 v19, v[11:12]
	s_waitcnt lgkmcnt(0)
	s_barrier
	buffer_gl0_inv
	s_and_saveexec_b32 s5, s4
	s_cbranch_execz .LBB1695_4
; %bb.10:                               ;   in Loop: Header=BB1695_5 Depth=1
	global_load_b64 v[9:10], v[3:4], off
	ds_load_2addr_b64 v[22:25], v18 offset1:32
	ds_load_b128 v[26:29], v16
	ds_load_b128 v[30:33], v16 offset:16
	ds_load_b128 v[34:37], v16 offset:32
	;; [unrolled: 1-line block ×3, first 2 shown]
	ds_load_2addr_b64 v[42:45], v18 offset0:64 offset1:96
	ds_load_2addr_b64 v[46:49], v18 offset0:128 offset1:160
	;; [unrolled: 1-line block ×3, first 2 shown]
	ds_load_2addr_b64 v[54:57], v1 offset1:32
	ds_load_b128 v[58:61], v16 offset:64
	ds_load_b128 v[62:65], v16 offset:80
	ds_load_2addr_b64 v[66:69], v1 offset0:64 offset1:96
	ds_load_2addr_b64 v[70:73], v1 offset0:128 offset1:160
	ds_load_b128 v[74:77], v16 offset:96
	ds_load_b128 v[78:81], v16 offset:112
	ds_load_2addr_b64 v[82:85], v1 offset0:192 offset1:224
	ds_load_2addr_b64 v[86:89], v20 offset1:32
	ds_load_b128 v[90:93], v16 offset:128
	ds_load_b128 v[94:97], v16 offset:144
	s_waitcnt lgkmcnt(17)
	v_mul_f32_e32 v12, v22, v27
	v_dual_mul_f32 v11, v23, v27 :: v_dual_mul_f32 v98, v24, v29
	v_mul_f32_e32 v27, v25, v29
	s_waitcnt lgkmcnt(13)
	s_delay_alu instid0(VALU_DEP_3) | instskip(NEXT) | instid1(VALU_DEP_3)
	v_dual_mul_f32 v101, v44, v33 :: v_dual_fmac_f32 v12, v23, v26
	v_fma_f32 v11, v22, v26, -v11
	v_fmac_f32_e32 v98, v25, v28
	v_fma_f32 v99, v24, v28, -v27
	v_mul_f32_e32 v26, v43, v31
	v_dual_mul_f32 v100, v42, v31 :: v_dual_fmac_f32 v101, v45, v32
	v_mul_f32_e32 v27, v45, v33
	s_waitcnt lgkmcnt(12)
	v_dual_mul_f32 v31, v47, v35 :: v_dual_add_f32 v12, 0, v12
	v_dual_mul_f32 v102, v46, v35 :: v_dual_mul_f32 v105, v48, v37
	s_waitcnt lgkmcnt(11)
	v_dual_fmac_f32 v100, v43, v30 :: v_dual_mul_f32 v107, v50, v39
	s_delay_alu instid0(VALU_DEP_3) | instskip(NEXT) | instid1(VALU_DEP_3)
	v_dual_add_f32 v12, v12, v98 :: v_dual_add_f32 v11, 0, v11
	v_fmac_f32_e32 v102, v47, v34
	s_delay_alu instid0(VALU_DEP_3) | instskip(SKIP_3) | instid1(VALU_DEP_4)
	v_dual_mul_f32 v98, v52, v41 :: v_dual_fmac_f32 v107, v51, v38
	v_mul_f32_e32 v33, v49, v37
	v_fma_f32 v103, v42, v30, -v26
	v_fmac_f32_e32 v105, v49, v36
	v_dual_fmac_f32 v98, v53, v40 :: v_dual_add_f32 v11, v11, v99
	s_waitcnt lgkmcnt(9)
	v_dual_add_f32 v12, v12, v100 :: v_dual_mul_f32 v47, v55, v59
	v_fma_f32 v104, v44, v32, -v27
	v_fma_f32 v46, v46, v34, -v31
	s_delay_alu instid0(VALU_DEP_3) | instskip(SKIP_3) | instid1(VALU_DEP_3)
	v_dual_add_f32 v11, v11, v103 :: v_dual_add_f32 v12, v12, v101
	v_dual_mul_f32 v99, v54, v59 :: v_dual_mul_f32 v100, v56, v61
	s_waitcnt lgkmcnt(7)
	v_mul_f32_e32 v59, v67, v63
	v_dual_add_f32 v11, v11, v104 :: v_dual_add_f32 v12, v12, v102
	s_delay_alu instid0(VALU_DEP_3) | instskip(SKIP_1) | instid1(VALU_DEP_3)
	v_dual_mul_f32 v101, v66, v63 :: v_dual_fmac_f32 v100, v57, v60
	v_fma_f32 v106, v48, v36, -v33
	v_dual_add_f32 v11, v11, v46 :: v_dual_add_f32 v12, v12, v105
	v_dual_mul_f32 v42, v51, v39 :: v_dual_mul_f32 v39, v53, v41
	v_mul_f32_e32 v103, v68, v65
	s_delay_alu instid0(VALU_DEP_3) | instskip(NEXT) | instid1(VALU_DEP_3)
	v_dual_fmac_f32 v101, v67, v62 :: v_dual_add_f32 v12, v12, v107
	v_fma_f32 v108, v50, v38, -v42
	v_mul_f32_e32 v48, v57, v61
	v_fma_f32 v63, v54, v58, -v47
	v_dual_fmac_f32 v99, v55, v58 :: v_dual_mul_f32 v54, v69, v65
	v_fma_f32 v104, v66, v62, -v59
	v_add_f32_e32 v11, v11, v106
	s_waitcnt lgkmcnt(5)
	v_dual_mul_f32 v62, v71, v75 :: v_dual_fmac_f32 v103, v69, v64
	v_add_f32_e32 v12, v12, v98
	v_fma_f32 v109, v52, v40, -v39
	v_fma_f32 v105, v68, v64, -v54
	v_dual_mul_f32 v64, v73, v77 :: v_dual_add_f32 v11, v11, v108
	s_delay_alu instid0(VALU_DEP_4)
	v_add_f32_e32 v12, v12, v99
	ds_load_2addr_b64 v[22:25], v20 offset0:64 offset1:96
	s_waitcnt lgkmcnt(4)
	v_dual_mul_f32 v77, v72, v77 :: v_dual_mul_f32 v98, v83, v79
	v_dual_add_f32 v11, v11, v109 :: v_dual_add_f32 v12, v12, v100
	v_fma_f32 v102, v56, v60, -v48
	v_mul_f32_e32 v75, v70, v75
	v_mul_f32_e32 v79, v82, v79
	v_fma_f32 v99, v70, v74, -v62
	v_dual_fmac_f32 v77, v73, v76 :: v_dual_add_f32 v12, v12, v101
	v_dual_mul_f32 v70, v85, v81 :: v_dual_add_f32 v11, v11, v63
	v_fmac_f32_e32 v75, v71, v74
	v_fma_f32 v74, v72, v76, -v64
	v_mul_f32_e32 v76, v84, v81
	v_fma_f32 v81, v82, v78, -v98
	s_waitcnt lgkmcnt(2)
	v_dual_fmac_f32 v79, v83, v78 :: v_dual_mul_f32 v82, v86, v91
	v_fma_f32 v78, v84, v80, -v70
	v_add_f32_e32 v12, v12, v103
	v_dual_mul_f32 v84, v89, v93 :: v_dual_add_f32 v11, v11, v102
	ds_load_2addr_b64 v[26:29], v20 offset0:128 offset1:160
	v_fmac_f32_e32 v76, v85, v80
	v_add_f32_e32 v12, v12, v75
	ds_load_b128 v[30:33], v16 offset:160
	ds_load_b128 v[34:37], v16 offset:176
	v_add_f32_e32 v11, v11, v104
	s_waitcnt lgkmcnt(3)
	v_mul_f32_e32 v85, v23, v95
	v_dual_mul_f32 v80, v87, v91 :: v_dual_mul_f32 v83, v88, v93
	v_add_f32_e32 v12, v12, v77
	v_add_f32_e32 v11, v11, v105
	v_dual_mul_f32 v91, v22, v95 :: v_dual_fmac_f32 v82, v87, v90
	ds_load_2addr_b64 v[38:41], v20 offset0:192 offset1:224
	v_add_f32_e32 v12, v12, v79
	v_add_f32_e32 v11, v11, v99
	ds_load_2addr_b64 v[42:45], v21 offset1:32
	ds_load_b128 v[46:49], v16 offset:192
	ds_load_b128 v[50:53], v16 offset:208
	ds_load_2addr_b64 v[54:57], v21 offset0:64 offset1:96
	v_add_f32_e32 v12, v12, v76
	v_fmac_f32_e32 v83, v89, v92
	v_fmac_f32_e32 v91, v23, v94
	v_fma_f32 v79, v86, v90, -v80
	s_waitcnt lgkmcnt(6)
	v_mul_f32_e32 v95, v27, v31
	v_dual_mul_f32 v31, v26, v31 :: v_dual_add_f32 v12, v12, v82
	v_mul_f32_e32 v77, v29, v33
	v_fma_f32 v80, v88, v92, -v84
	v_mul_f32_e32 v75, v25, v97
	s_delay_alu instid0(VALU_DEP_4)
	v_dual_fmac_f32 v31, v27, v30 :: v_dual_add_f32 v12, v12, v83
	v_add_f32_e32 v11, v11, v74
	v_mul_f32_e32 v93, v24, v97
	v_fma_f32 v22, v22, v94, -v85
	ds_load_2addr_b64 v[58:61], v21 offset0:128 offset1:160
	v_dual_add_f32 v12, v12, v91 :: v_dual_add_f32 v11, v11, v81
	ds_load_b128 v[62:65], v16 offset:224
	ds_load_b128 v[66:69], v16 offset:240
	ds_load_2addr_b64 v[70:73], v21 offset0:192 offset1:224
	s_waitcnt lgkmcnt(8)
	v_mul_f32_e32 v74, v39, v35
	v_fma_f32 v24, v24, v96, -v75
	v_add_f32_e32 v11, v11, v78
	s_waitcnt lgkmcnt(6)
	v_dual_mul_f32 v78, v43, v47 :: v_dual_fmac_f32 v93, v25, v96
	v_mul_f32_e32 v33, v28, v33
	v_mul_f32_e32 v35, v38, v35
	v_dual_add_f32 v11, v11, v79 :: v_dual_mul_f32 v76, v41, v37
	s_delay_alu instid0(VALU_DEP_4) | instskip(SKIP_2) | instid1(VALU_DEP_4)
	v_add_f32_e32 v12, v12, v93
	v_fma_f32 v26, v26, v30, -v95
	v_fma_f32 v27, v28, v32, -v77
	v_add_f32_e32 v11, v11, v80
	v_mul_f32_e32 v37, v40, v37
	v_dual_add_f32 v12, v12, v31 :: v_dual_fmac_f32 v35, v39, v34
	v_fma_f32 v28, v38, v34, -v74
	s_waitcnt lgkmcnt(4)
	v_dual_add_f32 v11, v11, v22 :: v_dual_mul_f32 v22, v54, v51
	v_fmac_f32_e32 v33, v29, v32
	v_mul_f32_e32 v47, v42, v47
	v_mul_f32_e32 v23, v44, v49
	s_delay_alu instid0(VALU_DEP_4)
	v_add_f32_e32 v11, v11, v24
	v_fma_f32 v29, v40, v36, -v76
	v_add_f32_e32 v12, v12, v33
	v_mul_f32_e32 v81, v45, v49
	v_fmac_f32_e32 v47, v43, v46
	v_add_f32_e32 v11, v11, v26
	v_fmac_f32_e32 v22, v55, v50
	v_dual_add_f32 v12, v12, v35 :: v_dual_fmac_f32 v23, v45, v48
	s_delay_alu instid0(VALU_DEP_3) | instskip(SKIP_3) | instid1(VALU_DEP_4)
	v_dual_mul_f32 v26, v56, v53 :: v_dual_add_f32 v11, v11, v27
	v_fma_f32 v30, v42, v46, -v78
	v_fma_f32 v31, v44, v48, -v81
	v_mul_f32_e32 v24, v57, v53
	v_fmac_f32_e32 v26, v57, v52
	s_waitcnt lgkmcnt(2)
	v_dual_add_f32 v11, v11, v28 :: v_dual_mul_f32 v28, v58, v63
	v_fmac_f32_e32 v37, v41, v36
	v_fma_f32 v24, v56, v52, -v24
	s_delay_alu instid0(VALU_DEP_3) | instskip(NEXT) | instid1(VALU_DEP_4)
	v_add_f32_e32 v11, v11, v29
	v_fmac_f32_e32 v28, v59, v62
	s_delay_alu instid0(VALU_DEP_4) | instskip(SKIP_1) | instid1(VALU_DEP_2)
	v_add_f32_e32 v12, v12, v37
	v_mul_f32_e32 v29, v61, v65
	v_dual_add_f32 v11, v11, v30 :: v_dual_add_f32 v12, v12, v47
	s_delay_alu instid0(VALU_DEP_1) | instskip(NEXT) | instid1(VALU_DEP_2)
	v_add_f32_e32 v11, v11, v31
	v_add_f32_e32 v12, v12, v23
	v_mul_f32_e32 v25, v55, v51
	v_mul_f32_e32 v23, v60, v65
	s_delay_alu instid0(VALU_DEP_3) | instskip(NEXT) | instid1(VALU_DEP_3)
	v_add_f32_e32 v12, v12, v22
	v_fma_f32 v25, v54, v50, -v25
	s_waitcnt lgkmcnt(0)
	s_delay_alu instid0(VALU_DEP_3) | instskip(NEXT) | instid1(VALU_DEP_2)
	v_dual_fmac_f32 v23, v61, v64 :: v_dual_mul_f32 v22, v71, v67
	v_dual_add_f32 v12, v12, v26 :: v_dual_add_f32 v11, v11, v25
	v_mul_f32_e32 v25, v70, v67
	s_delay_alu instid0(VALU_DEP_3) | instskip(NEXT) | instid1(VALU_DEP_3)
	v_fma_f32 v22, v70, v66, -v22
	v_add_f32_e32 v12, v12, v28
	s_delay_alu instid0(VALU_DEP_4) | instskip(NEXT) | instid1(VALU_DEP_2)
	v_dual_add_f32 v11, v11, v24 :: v_dual_mul_f32 v24, v72, v69
	v_dual_fmac_f32 v25, v71, v66 :: v_dual_add_f32 v12, v12, v23
	v_mul_f32_e32 v23, v73, v69
	s_delay_alu instid0(VALU_DEP_3) | instskip(NEXT) | instid1(VALU_DEP_3)
	v_fmac_f32_e32 v24, v73, v68
	v_dual_add_f32 v12, v12, v25 :: v_dual_mul_f32 v27, v59, v63
	s_delay_alu instid0(VALU_DEP_3) | instskip(NEXT) | instid1(VALU_DEP_2)
	v_fma_f32 v23, v72, v68, -v23
	v_add_f32_e32 v12, v12, v24
	s_delay_alu instid0(VALU_DEP_3) | instskip(SKIP_1) | instid1(VALU_DEP_2)
	v_fma_f32 v26, v58, v62, -v27
	v_fma_f32 v27, v60, v64, -v29
	v_add_f32_e32 v11, v11, v26
	s_delay_alu instid0(VALU_DEP_1) | instskip(NEXT) | instid1(VALU_DEP_1)
	v_add_f32_e32 v11, v11, v27
	v_dual_add_f32 v11, v11, v22 :: v_dual_mul_f32 v22, s21, v12
	s_delay_alu instid0(VALU_DEP_1) | instskip(NEXT) | instid1(VALU_DEP_1)
	v_dual_mul_f32 v12, s20, v12 :: v_dual_add_f32 v11, v11, v23
	v_fma_f32 v22, s20, v11, -v22
	s_waitcnt vmcnt(0)
	s_delay_alu instid0(VALU_DEP_1) | instskip(NEXT) | instid1(VALU_DEP_1)
	v_dual_fmac_f32 v12, s21, v11 :: v_dual_add_f32 v9, v9, v22
	v_add_f32_e32 v10, v10, v12
	global_store_b64 v[3:4], v[9:10], off
	s_branch .LBB1695_4
.LBB1695_11:
	v_cmp_eq_u32_e32 vcc_lo, v0, v2
	v_cmp_gt_i32_e64 s0, s23, v0
	s_delay_alu instid0(VALU_DEP_1) | instskip(NEXT) | instid1(SALU_CYCLE_1)
	s_and_b32 s0, vcc_lo, s0
	s_and_saveexec_b32 s1, s0
	s_cbranch_execz .LBB1695_13
; %bb.12:
	v_mul_lo_u32 v1, v0, s19
	v_mul_lo_u32 v4, v13, s18
	v_mad_u64_u32 v[2:3], null, v0, s18, 0
	s_delay_alu instid0(VALU_DEP_1) | instskip(SKIP_1) | instid1(VALU_DEP_2)
	v_add3_u32 v3, v3, v1, v4
	v_mov_b32_e32 v1, v13
	v_lshlrev_b64 v[2:3], 3, v[2:3]
	s_delay_alu instid0(VALU_DEP_2) | instskip(NEXT) | instid1(VALU_DEP_2)
	v_lshlrev_b64 v[0:1], 3, v[0:1]
	v_add_co_u32 v2, vcc_lo, s16, v2
	s_delay_alu instid0(VALU_DEP_3) | instskip(NEXT) | instid1(VALU_DEP_2)
	v_add_co_ci_u32_e32 v3, vcc_lo, s17, v3, vcc_lo
	v_add_co_u32 v0, vcc_lo, v2, v0
	v_mov_b32_e32 v2, 0
	s_delay_alu instid0(VALU_DEP_3)
	v_add_co_ci_u32_e32 v1, vcc_lo, v3, v1, vcc_lo
	global_store_b32 v[0:1], v2, off offset:4
.LBB1695_13:
	s_nop 0
	s_sendmsg sendmsg(MSG_DEALLOC_VGPRS)
	s_endpgm
	.section	.rodata,"a",@progbits
	.p2align	6, 0x0
	.amdhsa_kernel _ZL26rocblas_syr2k_her2k_kernelIlLb0ELb1ELb1ELi32E19rocblas_complex_numIfEPKPKS1_PKPS1_EvbiT_T4_T5_S9_lSB_S9_lT6_S9_li
		.amdhsa_group_segment_fixed_size 16384
		.amdhsa_private_segment_fixed_size 0
		.amdhsa_kernarg_size 100
		.amdhsa_user_sgpr_count 13
		.amdhsa_user_sgpr_dispatch_ptr 0
		.amdhsa_user_sgpr_queue_ptr 0
		.amdhsa_user_sgpr_kernarg_segment_ptr 1
		.amdhsa_user_sgpr_dispatch_id 0
		.amdhsa_user_sgpr_private_segment_size 0
		.amdhsa_wavefront_size32 1
		.amdhsa_uses_dynamic_stack 0
		.amdhsa_enable_private_segment 0
		.amdhsa_system_sgpr_workgroup_id_x 1
		.amdhsa_system_sgpr_workgroup_id_y 1
		.amdhsa_system_sgpr_workgroup_id_z 1
		.amdhsa_system_sgpr_workgroup_info 0
		.amdhsa_system_vgpr_workitem_id 1
		.amdhsa_next_free_vgpr 110
		.amdhsa_next_free_sgpr 29
		.amdhsa_reserve_vcc 1
		.amdhsa_float_round_mode_32 0
		.amdhsa_float_round_mode_16_64 0
		.amdhsa_float_denorm_mode_32 3
		.amdhsa_float_denorm_mode_16_64 3
		.amdhsa_dx10_clamp 1
		.amdhsa_ieee_mode 1
		.amdhsa_fp16_overflow 0
		.amdhsa_workgroup_processor_mode 1
		.amdhsa_memory_ordered 1
		.amdhsa_forward_progress 0
		.amdhsa_shared_vgpr_count 0
		.amdhsa_exception_fp_ieee_invalid_op 0
		.amdhsa_exception_fp_denorm_src 0
		.amdhsa_exception_fp_ieee_div_zero 0
		.amdhsa_exception_fp_ieee_overflow 0
		.amdhsa_exception_fp_ieee_underflow 0
		.amdhsa_exception_fp_ieee_inexact 0
		.amdhsa_exception_int_div_zero 0
	.end_amdhsa_kernel
	.section	.text._ZL26rocblas_syr2k_her2k_kernelIlLb0ELb1ELb1ELi32E19rocblas_complex_numIfEPKPKS1_PKPS1_EvbiT_T4_T5_S9_lSB_S9_lT6_S9_li,"axG",@progbits,_ZL26rocblas_syr2k_her2k_kernelIlLb0ELb1ELb1ELi32E19rocblas_complex_numIfEPKPKS1_PKPS1_EvbiT_T4_T5_S9_lSB_S9_lT6_S9_li,comdat
.Lfunc_end1695:
	.size	_ZL26rocblas_syr2k_her2k_kernelIlLb0ELb1ELb1ELi32E19rocblas_complex_numIfEPKPKS1_PKPS1_EvbiT_T4_T5_S9_lSB_S9_lT6_S9_li, .Lfunc_end1695-_ZL26rocblas_syr2k_her2k_kernelIlLb0ELb1ELb1ELi32E19rocblas_complex_numIfEPKPKS1_PKPS1_EvbiT_T4_T5_S9_lSB_S9_lT6_S9_li
                                        ; -- End function
	.section	.AMDGPU.csdata,"",@progbits
; Kernel info:
; codeLenInByte = 2464
; NumSgprs: 31
; NumVgprs: 110
; ScratchSize: 0
; MemoryBound: 0
; FloatMode: 240
; IeeeMode: 1
; LDSByteSize: 16384 bytes/workgroup (compile time only)
; SGPRBlocks: 3
; VGPRBlocks: 13
; NumSGPRsForWavesPerEU: 31
; NumVGPRsForWavesPerEU: 110
; Occupancy: 12
; WaveLimiterHint : 1
; COMPUTE_PGM_RSRC2:SCRATCH_EN: 0
; COMPUTE_PGM_RSRC2:USER_SGPR: 13
; COMPUTE_PGM_RSRC2:TRAP_HANDLER: 0
; COMPUTE_PGM_RSRC2:TGID_X_EN: 1
; COMPUTE_PGM_RSRC2:TGID_Y_EN: 1
; COMPUTE_PGM_RSRC2:TGID_Z_EN: 1
; COMPUTE_PGM_RSRC2:TIDIG_COMP_CNT: 1
	.section	.text._ZL37rocblas_syrkx_herkx_restricted_kernelIl19rocblas_complex_numIfELi16ELi32ELi8ELi1ELi1ELb1ELc84ELc76EKPKS1_KPS1_EviT_PT9_S7_lS9_S7_lPT10_S7_li,"axG",@progbits,_ZL37rocblas_syrkx_herkx_restricted_kernelIl19rocblas_complex_numIfELi16ELi32ELi8ELi1ELi1ELb1ELc84ELc76EKPKS1_KPS1_EviT_PT9_S7_lS9_S7_lPT10_S7_li,comdat
	.globl	_ZL37rocblas_syrkx_herkx_restricted_kernelIl19rocblas_complex_numIfELi16ELi32ELi8ELi1ELi1ELb1ELc84ELc76EKPKS1_KPS1_EviT_PT9_S7_lS9_S7_lPT10_S7_li ; -- Begin function _ZL37rocblas_syrkx_herkx_restricted_kernelIl19rocblas_complex_numIfELi16ELi32ELi8ELi1ELi1ELb1ELc84ELc76EKPKS1_KPS1_EviT_PT9_S7_lS9_S7_lPT10_S7_li
	.p2align	8
	.type	_ZL37rocblas_syrkx_herkx_restricted_kernelIl19rocblas_complex_numIfELi16ELi32ELi8ELi1ELi1ELb1ELc84ELc76EKPKS1_KPS1_EviT_PT9_S7_lS9_S7_lPT10_S7_li,@function
_ZL37rocblas_syrkx_herkx_restricted_kernelIl19rocblas_complex_numIfELi16ELi32ELi8ELi1ELi1ELb1ELc84ELc76EKPKS1_KPS1_EviT_PT9_S7_lS9_S7_lPT10_S7_li: ; @_ZL37rocblas_syrkx_herkx_restricted_kernelIl19rocblas_complex_numIfELi16ELi32ELi8ELi1ELi1ELb1ELc84ELc76EKPKS1_KPS1_EviT_PT9_S7_lS9_S7_lPT10_S7_li
; %bb.0:
	s_clause 0x1
	s_load_b128 s[4:7], s[0:1], 0x40
	s_load_b128 s[8:11], s[0:1], 0x8
	s_mov_b32 s2, s15
	s_mov_b32 s3, 0
	v_dual_mov_b32 v17, 0 :: v_dual_and_b32 v6, 0x3ff, v0
	s_lshl_b64 s[16:17], s[2:3], 3
	v_bfe_u32 v7, v0, 10, 10
	v_dual_mov_b32 v16, 0 :: v_dual_mov_b32 v11, 0
	v_dual_mov_b32 v10, 0 :: v_dual_mov_b32 v9, 0
	;; [unrolled: 1-line block ×3, first 2 shown]
	v_mov_b32_e32 v0, 0
	s_waitcnt lgkmcnt(0)
	s_add_u32 s2, s4, s16
	s_addc_u32 s3, s5, s17
	v_cmp_lt_i64_e64 s4, s[8:9], 1
	s_load_b64 s[2:3], s[2:3], 0x0
	s_lshl_b32 s18, s13, 5
	s_lshl_b32 s19, s14, 5
	s_delay_alu instid0(VALU_DEP_1)
	s_and_b32 vcc_lo, exec_lo, s4
	s_cbranch_vccnz .LBB1696_3
; %bb.1:
	s_clause 0x1
	s_load_b128 s[12:15], s[0:1], 0x28
	s_load_b64 s[4:5], s[0:1], 0x18
	v_lshl_add_u32 v2, v7, 4, v6
	v_dual_mov_b32 v1, 0 :: v_dual_and_b32 v0, 7, v6
	s_add_u32 s10, s10, s16
	s_addc_u32 s11, s11, s17
	s_delay_alu instid0(VALU_DEP_2)
	v_lshrrev_b32_e32 v10, 3, v2
	v_and_b32_e32 v11, 31, v2
	v_lshrrev_b32_e32 v2, 5, v2
	v_mov_b32_e32 v3, v1
	s_load_b64 s[10:11], s[10:11], 0x0
	v_add_nc_u32_e32 v12, s19, v10
	v_add_nc_u32_e32 v8, s18, v11
	v_dual_mov_b32 v16, v1 :: v_dual_lshlrev_b32 v11, 3, v11
	v_mov_b32_e32 v17, v1
	s_delay_alu instid0(VALU_DEP_4) | instskip(NEXT) | instid1(VALU_DEP_4)
	v_ashrrev_i32_e32 v4, 31, v12
	v_ashrrev_i32_e32 v5, 31, v8
	s_waitcnt lgkmcnt(0)
	s_add_u32 s12, s12, s16
	s_addc_u32 s13, s13, s17
	v_mul_lo_u32 v13, v4, s14
	v_mul_lo_u32 v14, s4, v5
	v_mad_u64_u32 v[4:5], null, s4, v8, v[2:3]
	v_mul_lo_u32 v3, s5, v8
	s_load_b64 s[4:5], s[12:13], 0x0
	v_mul_lo_u32 v15, v12, s15
	v_mad_u64_u32 v[8:9], null, v12, s14, v[0:1]
	v_lshlrev_b32_e32 v0, 3, v0
	v_lshlrev_b32_e32 v12, 3, v6
	v_add3_u32 v5, v3, v5, v14
	v_lshl_or_b32 v14, v2, 8, v11
	v_mov_b32_e32 v11, v1
	v_add3_u32 v9, v13, v9, v15
	v_lshl_or_b32 v0, v10, 6, v0
	v_lshlrev_b64 v[3:4], 3, v[4:5]
	v_lshl_add_u32 v13, v7, 6, 0x800
	v_mov_b32_e32 v10, v1
	v_lshlrev_b64 v[8:9], 3, v[8:9]
	v_add_nc_u32_e32 v15, 0x800, v0
	v_add_co_u32 v0, vcc_lo, v3, s10
	v_add_co_ci_u32_e32 v3, vcc_lo, s11, v4, vcc_lo
	s_waitcnt lgkmcnt(0)
	s_delay_alu instid0(VALU_DEP_4) | instskip(SKIP_3) | instid1(VALU_DEP_4)
	v_add_co_u32 v4, vcc_lo, v8, s4
	v_add_co_ci_u32_e32 v5, vcc_lo, s5, v9, vcc_lo
	v_add_co_u32 v2, vcc_lo, v0, 4
	v_add_co_ci_u32_e32 v3, vcc_lo, 0, v3, vcc_lo
	v_add_co_u32 v4, vcc_lo, v4, 4
	s_delay_alu instid0(VALU_DEP_4)
	v_add_co_ci_u32_e32 v5, vcc_lo, 0, v5, vcc_lo
	v_mov_b32_e32 v0, v1
	v_mov_b32_e32 v8, v1
	;; [unrolled: 1-line block ×3, first 2 shown]
	s_mov_b64 s[4:5], 0
.LBB1696_2:                             ; =>This Inner Loop Header: Depth=1
	global_load_b64 v[18:19], v[2:3], off offset:-4
	global_load_b64 v[20:21], v[4:5], off offset:-4
	s_add_u32 s4, s4, 8
	v_add_co_u32 v2, vcc_lo, v2, 64
	s_addc_u32 s5, s5, 0
	v_add_co_ci_u32_e32 v3, vcc_lo, 0, v3, vcc_lo
	v_cmp_ge_u64_e64 s10, s[4:5], s[8:9]
	v_add_co_u32 v4, vcc_lo, v4, 64
	v_add_co_ci_u32_e32 v5, vcc_lo, 0, v5, vcc_lo
	s_waitcnt vmcnt(1)
	ds_store_b64 v14, v[18:19]
	s_waitcnt vmcnt(0)
	ds_store_b64 v15, v[20:21]
	s_waitcnt lgkmcnt(0)
	s_barrier
	buffer_gl0_inv
	ds_load_2addr_b64 v[18:21], v12 offset1:16
	ds_load_b128 v[22:25], v13
	ds_load_b128 v[26:29], v13 offset:1024
	ds_load_b128 v[30:33], v13 offset:16
	;; [unrolled: 1-line block ×4, first 2 shown]
	ds_load_2addr_b64 v[42:45], v12 offset0:32 offset1:48
	ds_load_2addr_b64 v[46:49], v12 offset0:64 offset1:80
	ds_load_b128 v[50:53], v13 offset:1040
	ds_load_2addr_b64 v[54:57], v12 offset0:96 offset1:112
	ds_load_2addr_b64 v[58:61], v12 offset0:128 offset1:144
	;; [unrolled: 1-line block ×4, first 2 shown]
	ds_load_b128 v[70:73], v13 offset:1056
	ds_load_b128 v[74:77], v13 offset:1072
	ds_load_2addr_b64 v[78:81], v12 offset0:224 offset1:240
	s_and_b32 vcc_lo, exec_lo, s10
	s_waitcnt lgkmcnt(0)
	s_barrier
	buffer_gl0_inv
	v_dual_mul_f32 v82, v23, v19 :: v_dual_mul_f32 v85, v22, v21
	v_dual_mul_f32 v83, v22, v19 :: v_dual_mul_f32 v84, v23, v21
	v_mul_f32_e32 v86, v27, v19
	v_dual_mul_f32 v19, v26, v19 :: v_dual_mul_f32 v90, v25, v45
	v_dual_mul_f32 v87, v27, v21 :: v_dual_mul_f32 v88, v25, v43
	v_mul_f32_e32 v21, v26, v21
	v_fma_f32 v82, v22, v18, -v82
	v_fmac_f32_e32 v83, v23, v18
	v_fma_f32 v22, v22, v20, -v84
	v_fmac_f32_e32 v85, v23, v20
	v_fma_f32 v23, v26, v18, -v86
	v_dual_fmac_f32 v19, v27, v18 :: v_dual_mul_f32 v86, v30, v47
	v_fma_f32 v18, v26, v20, -v87
	v_dual_fmac_f32 v21, v27, v20 :: v_dual_mul_f32 v20, v24, v45
	v_mul_f32_e32 v89, v24, v43
	v_mul_f32_e32 v26, v29, v43
	;; [unrolled: 1-line block ×4, first 2 shown]
	v_fmac_f32_e32 v20, v25, v44
	v_fmac_f32_e32 v89, v25, v42
	v_dual_mul_f32 v25, v28, v45 :: v_dual_fmac_f32 v86, v31, v46
	v_fma_f32 v84, v24, v42, -v88
	v_fma_f32 v24, v24, v44, -v90
	v_dual_mul_f32 v45, v31, v47 :: v_dual_mul_f32 v90, v33, v57
	v_fma_f32 v26, v28, v42, -v26
	v_fma_f32 v28, v28, v44, -v43
	v_fmac_f32_e32 v25, v29, v44
	v_dual_mul_f32 v43, v50, v47 :: v_dual_mul_f32 v44, v51, v49
	v_dual_fmac_f32 v27, v29, v42 :: v_dual_mul_f32 v42, v51, v47
	v_dual_mul_f32 v88, v32, v55 :: v_dual_mul_f32 v29, v30, v49
	v_mul_f32_e32 v87, v31, v49
	v_fma_f32 v45, v30, v46, -v45
	v_add_f32_e32 v10, v10, v85
	s_delay_alu instid0(VALU_DEP_4)
	v_dual_fmac_f32 v88, v33, v54 :: v_dual_fmac_f32 v29, v31, v48
	v_fma_f32 v31, v50, v46, -v42
	v_fma_f32 v42, v50, v48, -v44
	v_mul_f32_e32 v44, v32, v57
	v_mul_f32_e32 v47, v50, v49
	v_dual_mul_f32 v50, v53, v57 :: v_dual_fmac_f32 v43, v51, v46
	v_mul_f32_e32 v46, v53, v55
	v_mul_f32_e32 v49, v33, v55
	v_fma_f32 v30, v30, v48, -v87
	v_fmac_f32_e32 v44, v33, v56
	v_dual_fmac_f32 v47, v51, v48 :: v_dual_mul_f32 v48, v52, v55
	v_mul_f32_e32 v33, v52, v57
	v_fma_f32 v46, v52, v54, -v46
	v_fma_f32 v50, v52, v56, -v50
	v_mul_f32_e32 v52, v34, v61
	v_fma_f32 v49, v32, v54, -v49
	v_fma_f32 v32, v32, v56, -v90
	v_dual_mul_f32 v51, v35, v59 :: v_dual_fmac_f32 v48, v53, v54
	v_mul_f32_e32 v54, v70, v59
	v_dual_mul_f32 v55, v34, v59 :: v_dual_fmac_f32 v52, v35, v60
	v_fmac_f32_e32 v33, v53, v56
	v_mul_f32_e32 v53, v71, v59
	v_mul_f32_e32 v56, v71, v61
	;; [unrolled: 1-line block ×3, first 2 shown]
	v_fmac_f32_e32 v54, v71, v58
	v_fmac_f32_e32 v55, v35, v58
	v_fma_f32 v35, v70, v58, -v53
	v_fma_f32 v53, v70, v60, -v56
	v_mul_f32_e32 v56, v36, v65
	v_mul_f32_e32 v59, v70, v61
	v_fma_f32 v51, v34, v58, -v51
	v_mul_f32_e32 v58, v72, v63
	v_mul_f32_e32 v87, v36, v63
	;; [unrolled: 1-line block ×4, first 2 shown]
	v_fma_f32 v34, v34, v60, -v57
	v_mul_f32_e32 v57, v73, v63
	v_fmac_f32_e32 v56, v37, v64
	v_dual_fmac_f32 v59, v71, v60 :: v_dual_mul_f32 v60, v73, v65
	v_mul_f32_e32 v63, v39, v67
	v_mul_f32_e32 v70, v39, v69
	v_fmac_f32_e32 v58, v73, v62
	v_fmac_f32_e32 v87, v37, v62
	v_mul_f32_e32 v37, v72, v65
	v_fma_f32 v61, v36, v62, -v61
	v_fma_f32 v36, v36, v64, -v90
	v_mul_f32_e32 v65, v38, v67
	v_fma_f32 v57, v72, v62, -v57
	v_fma_f32 v60, v72, v64, -v60
	v_dual_fmac_f32 v37, v73, v64 :: v_dual_mul_f32 v62, v38, v69
	v_mul_f32_e32 v64, v75, v67
	v_mul_f32_e32 v73, v40, v79
	v_fma_f32 v63, v38, v66, -v63
	v_fma_f32 v38, v38, v68, -v70
	v_mul_f32_e32 v70, v76, v79
	v_mul_f32_e32 v67, v74, v67
	v_dual_mul_f32 v71, v75, v69 :: v_dual_add_f32 v16, v16, v82
	v_dual_mul_f32 v69, v74, v69 :: v_dual_add_f32 v8, v8, v19
	v_fmac_f32_e32 v65, v39, v66
	v_fmac_f32_e32 v62, v39, v68
	s_delay_alu instid0(VALU_DEP_4)
	v_add_f32_e32 v16, v16, v84
	v_fma_f32 v39, v74, v66, -v64
	v_fmac_f32_e32 v70, v77, v78
	v_dual_fmac_f32 v67, v75, v66 :: v_dual_add_f32 v10, v10, v20
	v_mul_f32_e32 v66, v40, v81
	v_mul_f32_e32 v72, v41, v79
	;; [unrolled: 1-line block ×3, first 2 shown]
	v_fma_f32 v64, v74, v68, -v71
	v_dual_fmac_f32 v69, v75, v68 :: v_dual_add_f32 v0, v0, v18
	v_dual_mul_f32 v71, v77, v81 :: v_dual_add_f32 v8, v8, v27
	v_fmac_f32_e32 v73, v41, v78
	v_fmac_f32_e32 v66, v41, v80
	s_delay_alu instid0(VALU_DEP_4) | instskip(SKIP_3) | instid1(VALU_DEP_4)
	v_dual_add_f32 v0, v0, v28 :: v_dual_add_f32 v17, v17, v83
	v_add_f32_e32 v10, v10, v29
	v_mul_f32_e32 v41, v76, v81
	v_dual_add_f32 v11, v11, v22 :: v_dual_add_f32 v8, v8, v43
	v_dual_add_f32 v9, v9, v23 :: v_dual_add_f32 v0, v0, v42
	v_add_f32_e32 v1, v1, v21
	v_add_f32_e32 v16, v16, v45
	s_delay_alu instid0(VALU_DEP_4)
	v_add_f32_e32 v8, v8, v48
	v_add_f32_e32 v10, v10, v44
	v_fmac_f32_e32 v41, v77, v80
	v_dual_add_f32 v17, v17, v89 :: v_dual_add_f32 v0, v0, v50
	v_dual_add_f32 v11, v11, v24 :: v_dual_add_f32 v16, v16, v49
	v_add_f32_e32 v9, v9, v26
	v_dual_add_f32 v1, v1, v25 :: v_dual_add_f32 v10, v10, v52
	s_delay_alu instid0(VALU_DEP_4) | instskip(NEXT) | instid1(VALU_DEP_4)
	v_dual_add_f32 v17, v17, v86 :: v_dual_add_f32 v0, v0, v53
	v_dual_add_f32 v16, v16, v51 :: v_dual_add_f32 v11, v11, v30
	s_delay_alu instid0(VALU_DEP_4) | instskip(NEXT) | instid1(VALU_DEP_4)
	v_dual_add_f32 v9, v9, v31 :: v_dual_add_f32 v8, v8, v54
	v_dual_add_f32 v1, v1, v47 :: v_dual_add_f32 v10, v10, v56
	s_delay_alu instid0(VALU_DEP_4) | instskip(NEXT) | instid1(VALU_DEP_3)
	v_add_f32_e32 v17, v17, v88
	v_dual_add_f32 v9, v9, v46 :: v_dual_add_f32 v0, v0, v60
	s_delay_alu instid0(VALU_DEP_3) | instskip(SKIP_2) | instid1(VALU_DEP_3)
	v_dual_add_f32 v1, v1, v33 :: v_dual_add_f32 v10, v10, v62
	v_dual_add_f32 v16, v16, v61 :: v_dual_add_f32 v11, v11, v32
	v_fma_f32 v72, v40, v78, -v72
	v_dual_add_f32 v1, v1, v59 :: v_dual_add_f32 v10, v10, v66
	v_dual_add_f32 v8, v8, v58 :: v_dual_add_f32 v17, v17, v55
	v_add_f32_e32 v0, v0, v64
	v_dual_add_f32 v16, v16, v63 :: v_dual_add_f32 v11, v11, v34
	s_delay_alu instid0(VALU_DEP_3) | instskip(SKIP_2) | instid1(VALU_DEP_4)
	v_add_f32_e32 v8, v8, v67
	v_add_f32_e32 v9, v9, v35
	v_mul_f32_e32 v68, v77, v79
	v_add_f32_e32 v16, v16, v72
	v_fma_f32 v71, v76, v80, -v71
	v_dual_add_f32 v17, v17, v87 :: v_dual_add_f32 v8, v8, v70
	v_add_f32_e32 v11, v11, v36
	s_delay_alu instid0(VALU_DEP_3)
	v_dual_add_f32 v9, v9, v57 :: v_dual_add_f32 v0, v0, v71
	v_add_f32_e32 v1, v1, v37
	v_fma_f32 v40, v40, v80, -v90
	v_fma_f32 v68, v76, v78, -v68
	v_add_f32_e32 v17, v17, v65
	v_add_f32_e32 v11, v11, v38
	;; [unrolled: 1-line block ×4, first 2 shown]
	s_delay_alu instid0(VALU_DEP_4) | instskip(NEXT) | instid1(VALU_DEP_4)
	v_add_f32_e32 v17, v17, v73
	v_add_f32_e32 v11, v11, v40
	s_delay_alu instid0(VALU_DEP_4) | instskip(NEXT) | instid1(VALU_DEP_4)
	v_add_f32_e32 v9, v9, v68
	v_add_f32_e32 v1, v1, v41
	s_cbranch_vccz .LBB1696_2
.LBB1696_3:
	v_add_nc_u32_e32 v7, s19, v7
	s_load_b32 s4, s[0:1], 0x0
	s_delay_alu instid0(VALU_DEP_1) | instskip(SKIP_2) | instid1(VALU_DEP_3)
	v_ashrrev_i32_e32 v2, 31, v7
	v_mul_lo_u32 v5, v7, s7
	v_mad_u64_u32 v[3:4], null, v7, s6, 0
	v_mul_lo_u32 v2, v2, s6
	s_delay_alu instid0(VALU_DEP_1) | instskip(SKIP_1) | instid1(VALU_DEP_2)
	v_add3_u32 v4, v4, v5, v2
	v_add_nc_u32_e32 v2, s18, v6
	v_lshlrev_b64 v[3:4], 3, v[3:4]
	s_delay_alu instid0(VALU_DEP_2) | instskip(SKIP_2) | instid1(VALU_DEP_3)
	v_cmp_le_i32_e64 s0, v7, v2
	s_waitcnt lgkmcnt(0)
	v_cmp_gt_i32_e32 vcc_lo, s4, v2
	v_add_co_u32 v6, s1, s2, v3
	s_delay_alu instid0(VALU_DEP_1) | instskip(SKIP_1) | instid1(SALU_CYCLE_1)
	v_add_co_ci_u32_e64 v12, s1, s3, v4, s1
	s_and_b32 s0, s0, vcc_lo
	s_and_saveexec_b32 s1, s0
	s_cbranch_execz .LBB1696_6
; %bb.4:
	v_ashrrev_i32_e32 v3, 31, v2
	s_delay_alu instid0(VALU_DEP_1) | instskip(NEXT) | instid1(VALU_DEP_1)
	v_lshlrev_b64 v[3:4], 3, v[2:3]
	v_add_co_u32 v3, s0, v6, v3
	s_delay_alu instid0(VALU_DEP_1)
	v_add_co_ci_u32_e64 v4, s0, v12, v4, s0
	v_cmp_eq_u32_e64 s0, v7, v2
	global_load_b64 v[13:14], v[3:4], off
	s_waitcnt vmcnt(0)
	v_dual_add_f32 v13, v16, v13 :: v_dual_add_f32 v14, v17, v14
	global_store_b64 v[3:4], v[13:14], off
	s_and_b32 exec_lo, exec_lo, s0
	s_cbranch_execz .LBB1696_6
; %bb.5:
	v_mov_b32_e32 v5, 0
	global_store_b32 v[3:4], v5, off offset:4
.LBB1696_6:
	s_or_b32 exec_lo, exec_lo, s1
	v_add_nc_u32_e32 v4, 16, v2
	s_delay_alu instid0(VALU_DEP_1) | instskip(SKIP_1) | instid1(VALU_DEP_1)
	v_cmp_le_i32_e64 s1, v7, v4
	v_cmp_gt_i32_e64 s0, s4, v4
	s_and_b32 s1, s1, s0
	s_delay_alu instid0(SALU_CYCLE_1)
	s_and_saveexec_b32 s4, s1
	s_cbranch_execz .LBB1696_9
; %bb.7:
	v_ashrrev_i32_e32 v5, 31, v4
	s_delay_alu instid0(VALU_DEP_1) | instskip(NEXT) | instid1(VALU_DEP_1)
	v_lshlrev_b64 v[13:14], 3, v[4:5]
	v_add_co_u32 v5, s1, v6, v13
	s_delay_alu instid0(VALU_DEP_1)
	v_add_co_ci_u32_e64 v6, s1, v12, v14, s1
	v_cmp_eq_u32_e64 s1, v7, v4
	global_load_b64 v[12:13], v[5:6], off
	s_waitcnt vmcnt(0)
	v_dual_add_f32 v11, v11, v12 :: v_dual_add_f32 v12, v10, v13
	global_store_b64 v[5:6], v[11:12], off
	s_and_b32 exec_lo, exec_lo, s1
	s_cbranch_execz .LBB1696_9
; %bb.8:
	v_mov_b32_e32 v3, 0
	global_store_b32 v[5:6], v3, off offset:4
.LBB1696_9:
	s_or_b32 exec_lo, exec_lo, s4
	v_add_nc_u32_e32 v10, 16, v7
	s_delay_alu instid0(VALU_DEP_1) | instskip(SKIP_3) | instid1(VALU_DEP_4)
	v_ashrrev_i32_e32 v3, 31, v10
	v_mul_lo_u32 v11, v10, s7
	v_mad_u64_u32 v[5:6], null, v10, s6, 0
	v_cmp_le_i32_e64 s1, v10, v2
	v_mul_lo_u32 v3, v3, s6
	s_delay_alu instid0(VALU_DEP_1) | instskip(NEXT) | instid1(VALU_DEP_1)
	v_add3_u32 v6, v6, v11, v3
	v_lshlrev_b64 v[5:6], 3, v[5:6]
	s_delay_alu instid0(VALU_DEP_1) | instskip(NEXT) | instid1(VALU_DEP_1)
	v_add_co_u32 v11, s2, s2, v5
	v_add_co_ci_u32_e64 v12, s2, s3, v6, s2
	s_and_b32 s2, s1, vcc_lo
	s_delay_alu instid0(SALU_CYCLE_1)
	s_and_saveexec_b32 s1, s2
	s_cbranch_execz .LBB1696_12
; %bb.10:
	v_ashrrev_i32_e32 v3, 31, v2
	s_delay_alu instid0(VALU_DEP_1) | instskip(NEXT) | instid1(VALU_DEP_1)
	v_lshlrev_b64 v[5:6], 3, v[2:3]
	v_add_co_u32 v5, vcc_lo, v11, v5
	s_delay_alu instid0(VALU_DEP_2)
	v_add_co_ci_u32_e32 v6, vcc_lo, v12, v6, vcc_lo
	v_cmp_eq_u32_e32 vcc_lo, v10, v2
	global_load_b64 v[13:14], v[5:6], off
	s_waitcnt vmcnt(0)
	v_dual_add_f32 v13, v9, v13 :: v_dual_add_f32 v14, v8, v14
	global_store_b64 v[5:6], v[13:14], off
	s_and_b32 exec_lo, exec_lo, vcc_lo
	s_cbranch_execz .LBB1696_12
; %bb.11:
	v_mov_b32_e32 v3, 0
	global_store_b32 v[5:6], v3, off offset:4
.LBB1696_12:
	s_or_b32 exec_lo, exec_lo, s1
	v_cmp_le_i32_e32 vcc_lo, v10, v4
	s_and_b32 s0, vcc_lo, s0
	s_delay_alu instid0(SALU_CYCLE_1)
	s_and_saveexec_b32 s1, s0
	s_cbranch_execz .LBB1696_15
; %bb.13:
	v_ashrrev_i32_e32 v5, 31, v4
	s_delay_alu instid0(VALU_DEP_1) | instskip(NEXT) | instid1(VALU_DEP_1)
	v_lshlrev_b64 v[3:4], 3, v[4:5]
	v_add_co_u32 v3, vcc_lo, v11, v3
	s_delay_alu instid0(VALU_DEP_2)
	v_add_co_ci_u32_e32 v4, vcc_lo, v12, v4, vcc_lo
	v_cmp_eq_u32_e32 vcc_lo, v7, v2
	global_load_b64 v[5:6], v[3:4], off
	s_waitcnt vmcnt(0)
	v_dual_add_f32 v0, v0, v5 :: v_dual_add_f32 v1, v1, v6
	global_store_b64 v[3:4], v[0:1], off
	s_and_b32 exec_lo, exec_lo, vcc_lo
	s_cbranch_execz .LBB1696_15
; %bb.14:
	v_mov_b32_e32 v0, 0
	global_store_b32 v[3:4], v0, off offset:4
.LBB1696_15:
	s_nop 0
	s_sendmsg sendmsg(MSG_DEALLOC_VGPRS)
	s_endpgm
	.section	.rodata,"a",@progbits
	.p2align	6, 0x0
	.amdhsa_kernel _ZL37rocblas_syrkx_herkx_restricted_kernelIl19rocblas_complex_numIfELi16ELi32ELi8ELi1ELi1ELb1ELc84ELc76EKPKS1_KPS1_EviT_PT9_S7_lS9_S7_lPT10_S7_li
		.amdhsa_group_segment_fixed_size 4096
		.amdhsa_private_segment_fixed_size 0
		.amdhsa_kernarg_size 92
		.amdhsa_user_sgpr_count 13
		.amdhsa_user_sgpr_dispatch_ptr 0
		.amdhsa_user_sgpr_queue_ptr 0
		.amdhsa_user_sgpr_kernarg_segment_ptr 1
		.amdhsa_user_sgpr_dispatch_id 0
		.amdhsa_user_sgpr_private_segment_size 0
		.amdhsa_wavefront_size32 1
		.amdhsa_uses_dynamic_stack 0
		.amdhsa_enable_private_segment 0
		.amdhsa_system_sgpr_workgroup_id_x 1
		.amdhsa_system_sgpr_workgroup_id_y 1
		.amdhsa_system_sgpr_workgroup_id_z 1
		.amdhsa_system_sgpr_workgroup_info 0
		.amdhsa_system_vgpr_workitem_id 1
		.amdhsa_next_free_vgpr 91
		.amdhsa_next_free_sgpr 20
		.amdhsa_reserve_vcc 1
		.amdhsa_float_round_mode_32 0
		.amdhsa_float_round_mode_16_64 0
		.amdhsa_float_denorm_mode_32 3
		.amdhsa_float_denorm_mode_16_64 3
		.amdhsa_dx10_clamp 1
		.amdhsa_ieee_mode 1
		.amdhsa_fp16_overflow 0
		.amdhsa_workgroup_processor_mode 1
		.amdhsa_memory_ordered 1
		.amdhsa_forward_progress 0
		.amdhsa_shared_vgpr_count 0
		.amdhsa_exception_fp_ieee_invalid_op 0
		.amdhsa_exception_fp_denorm_src 0
		.amdhsa_exception_fp_ieee_div_zero 0
		.amdhsa_exception_fp_ieee_overflow 0
		.amdhsa_exception_fp_ieee_underflow 0
		.amdhsa_exception_fp_ieee_inexact 0
		.amdhsa_exception_int_div_zero 0
	.end_amdhsa_kernel
	.section	.text._ZL37rocblas_syrkx_herkx_restricted_kernelIl19rocblas_complex_numIfELi16ELi32ELi8ELi1ELi1ELb1ELc84ELc76EKPKS1_KPS1_EviT_PT9_S7_lS9_S7_lPT10_S7_li,"axG",@progbits,_ZL37rocblas_syrkx_herkx_restricted_kernelIl19rocblas_complex_numIfELi16ELi32ELi8ELi1ELi1ELb1ELc84ELc76EKPKS1_KPS1_EviT_PT9_S7_lS9_S7_lPT10_S7_li,comdat
.Lfunc_end1696:
	.size	_ZL37rocblas_syrkx_herkx_restricted_kernelIl19rocblas_complex_numIfELi16ELi32ELi8ELi1ELi1ELb1ELc84ELc76EKPKS1_KPS1_EviT_PT9_S7_lS9_S7_lPT10_S7_li, .Lfunc_end1696-_ZL37rocblas_syrkx_herkx_restricted_kernelIl19rocblas_complex_numIfELi16ELi32ELi8ELi1ELi1ELb1ELc84ELc76EKPKS1_KPS1_EviT_PT9_S7_lS9_S7_lPT10_S7_li
                                        ; -- End function
	.section	.AMDGPU.csdata,"",@progbits
; Kernel info:
; codeLenInByte = 2308
; NumSgprs: 22
; NumVgprs: 91
; ScratchSize: 0
; MemoryBound: 0
; FloatMode: 240
; IeeeMode: 1
; LDSByteSize: 4096 bytes/workgroup (compile time only)
; SGPRBlocks: 2
; VGPRBlocks: 11
; NumSGPRsForWavesPerEU: 22
; NumVGPRsForWavesPerEU: 91
; Occupancy: 16
; WaveLimiterHint : 1
; COMPUTE_PGM_RSRC2:SCRATCH_EN: 0
; COMPUTE_PGM_RSRC2:USER_SGPR: 13
; COMPUTE_PGM_RSRC2:TRAP_HANDLER: 0
; COMPUTE_PGM_RSRC2:TGID_X_EN: 1
; COMPUTE_PGM_RSRC2:TGID_Y_EN: 1
; COMPUTE_PGM_RSRC2:TGID_Z_EN: 1
; COMPUTE_PGM_RSRC2:TIDIG_COMP_CNT: 1
	.section	.text._ZL37rocblas_syrkx_herkx_restricted_kernelIl19rocblas_complex_numIfELi16ELi32ELi8ELi1ELi1ELb1ELc67ELc76EKPKS1_KPS1_EviT_PT9_S7_lS9_S7_lPT10_S7_li,"axG",@progbits,_ZL37rocblas_syrkx_herkx_restricted_kernelIl19rocblas_complex_numIfELi16ELi32ELi8ELi1ELi1ELb1ELc67ELc76EKPKS1_KPS1_EviT_PT9_S7_lS9_S7_lPT10_S7_li,comdat
	.globl	_ZL37rocblas_syrkx_herkx_restricted_kernelIl19rocblas_complex_numIfELi16ELi32ELi8ELi1ELi1ELb1ELc67ELc76EKPKS1_KPS1_EviT_PT9_S7_lS9_S7_lPT10_S7_li ; -- Begin function _ZL37rocblas_syrkx_herkx_restricted_kernelIl19rocblas_complex_numIfELi16ELi32ELi8ELi1ELi1ELb1ELc67ELc76EKPKS1_KPS1_EviT_PT9_S7_lS9_S7_lPT10_S7_li
	.p2align	8
	.type	_ZL37rocblas_syrkx_herkx_restricted_kernelIl19rocblas_complex_numIfELi16ELi32ELi8ELi1ELi1ELb1ELc67ELc76EKPKS1_KPS1_EviT_PT9_S7_lS9_S7_lPT10_S7_li,@function
_ZL37rocblas_syrkx_herkx_restricted_kernelIl19rocblas_complex_numIfELi16ELi32ELi8ELi1ELi1ELb1ELc67ELc76EKPKS1_KPS1_EviT_PT9_S7_lS9_S7_lPT10_S7_li: ; @_ZL37rocblas_syrkx_herkx_restricted_kernelIl19rocblas_complex_numIfELi16ELi32ELi8ELi1ELi1ELb1ELc67ELc76EKPKS1_KPS1_EviT_PT9_S7_lS9_S7_lPT10_S7_li
; %bb.0:
	s_clause 0x1
	s_load_b128 s[4:7], s[0:1], 0x40
	s_load_b128 s[8:11], s[0:1], 0x8
	s_mov_b32 s2, s15
	s_mov_b32 s3, 0
	v_dual_mov_b32 v17, 0 :: v_dual_and_b32 v6, 0x3ff, v0
	s_lshl_b64 s[16:17], s[2:3], 3
	v_bfe_u32 v7, v0, 10, 10
	v_dual_mov_b32 v16, 0 :: v_dual_mov_b32 v11, 0
	v_dual_mov_b32 v10, 0 :: v_dual_mov_b32 v9, 0
	;; [unrolled: 1-line block ×3, first 2 shown]
	v_mov_b32_e32 v0, 0
	s_waitcnt lgkmcnt(0)
	s_add_u32 s2, s4, s16
	s_addc_u32 s3, s5, s17
	v_cmp_lt_i64_e64 s4, s[8:9], 1
	s_load_b64 s[2:3], s[2:3], 0x0
	s_lshl_b32 s18, s13, 5
	s_lshl_b32 s19, s14, 5
	s_delay_alu instid0(VALU_DEP_1)
	s_and_b32 vcc_lo, exec_lo, s4
	s_cbranch_vccnz .LBB1697_3
; %bb.1:
	s_clause 0x1
	s_load_b128 s[12:15], s[0:1], 0x28
	s_load_b64 s[4:5], s[0:1], 0x18
	v_lshl_add_u32 v2, v7, 4, v6
	v_dual_mov_b32 v1, 0 :: v_dual_and_b32 v0, 7, v6
	s_add_u32 s10, s10, s16
	s_addc_u32 s11, s11, s17
	s_delay_alu instid0(VALU_DEP_2)
	v_lshrrev_b32_e32 v10, 3, v2
	v_and_b32_e32 v11, 31, v2
	v_lshrrev_b32_e32 v2, 5, v2
	v_mov_b32_e32 v3, v1
	s_load_b64 s[10:11], s[10:11], 0x0
	v_add_nc_u32_e32 v12, s19, v10
	v_add_nc_u32_e32 v8, s18, v11
	v_dual_mov_b32 v16, v1 :: v_dual_lshlrev_b32 v11, 3, v11
	v_mov_b32_e32 v17, v1
	s_delay_alu instid0(VALU_DEP_4) | instskip(NEXT) | instid1(VALU_DEP_4)
	v_ashrrev_i32_e32 v4, 31, v12
	v_ashrrev_i32_e32 v5, 31, v8
	s_waitcnt lgkmcnt(0)
	s_add_u32 s12, s12, s16
	s_addc_u32 s13, s13, s17
	v_mul_lo_u32 v13, v4, s14
	v_mul_lo_u32 v14, s4, v5
	v_mad_u64_u32 v[4:5], null, s4, v8, v[2:3]
	v_mul_lo_u32 v3, s5, v8
	s_load_b64 s[4:5], s[12:13], 0x0
	v_mul_lo_u32 v15, v12, s15
	v_mad_u64_u32 v[8:9], null, v12, s14, v[0:1]
	v_lshlrev_b32_e32 v0, 3, v0
	v_lshlrev_b32_e32 v12, 3, v6
	v_add3_u32 v5, v3, v5, v14
	v_lshl_or_b32 v14, v2, 8, v11
	v_mov_b32_e32 v11, v1
	v_add3_u32 v9, v13, v9, v15
	v_lshl_or_b32 v0, v10, 6, v0
	v_lshlrev_b64 v[3:4], 3, v[4:5]
	v_lshl_add_u32 v13, v7, 6, 0x800
	v_mov_b32_e32 v10, v1
	v_lshlrev_b64 v[8:9], 3, v[8:9]
	v_add_nc_u32_e32 v15, 0x800, v0
	v_add_co_u32 v0, vcc_lo, v3, s10
	v_add_co_ci_u32_e32 v3, vcc_lo, s11, v4, vcc_lo
	s_waitcnt lgkmcnt(0)
	s_delay_alu instid0(VALU_DEP_4) | instskip(SKIP_3) | instid1(VALU_DEP_4)
	v_add_co_u32 v4, vcc_lo, v8, s4
	v_add_co_ci_u32_e32 v5, vcc_lo, s5, v9, vcc_lo
	v_add_co_u32 v2, vcc_lo, v0, 4
	v_add_co_ci_u32_e32 v3, vcc_lo, 0, v3, vcc_lo
	v_add_co_u32 v4, vcc_lo, v4, 4
	s_delay_alu instid0(VALU_DEP_4)
	v_add_co_ci_u32_e32 v5, vcc_lo, 0, v5, vcc_lo
	v_mov_b32_e32 v0, v1
	v_mov_b32_e32 v8, v1
	;; [unrolled: 1-line block ×3, first 2 shown]
	s_mov_b64 s[4:5], 0
.LBB1697_2:                             ; =>This Inner Loop Header: Depth=1
	global_load_b64 v[18:19], v[2:3], off offset:-4
	global_load_b64 v[20:21], v[4:5], off offset:-4
	s_add_u32 s4, s4, 8
	v_add_co_u32 v2, vcc_lo, v2, 64
	s_addc_u32 s5, s5, 0
	v_add_co_ci_u32_e32 v3, vcc_lo, 0, v3, vcc_lo
	v_cmp_ge_u64_e64 s10, s[4:5], s[8:9]
	v_add_co_u32 v4, vcc_lo, v4, 64
	v_add_co_ci_u32_e32 v5, vcc_lo, 0, v5, vcc_lo
	s_delay_alu instid0(VALU_DEP_3)
	s_and_b32 vcc_lo, exec_lo, s10
	s_waitcnt vmcnt(1)
	v_xor_b32_e32 v19, 0x80000000, v19
	ds_store_b64 v14, v[18:19]
	s_waitcnt vmcnt(0)
	ds_store_b64 v15, v[20:21]
	s_waitcnt lgkmcnt(0)
	s_barrier
	buffer_gl0_inv
	ds_load_2addr_b64 v[18:21], v12 offset1:16
	ds_load_b128 v[22:25], v13
	ds_load_b128 v[26:29], v13 offset:1024
	ds_load_b128 v[30:33], v13 offset:16
	;; [unrolled: 1-line block ×4, first 2 shown]
	ds_load_2addr_b64 v[42:45], v12 offset0:32 offset1:48
	ds_load_2addr_b64 v[46:49], v12 offset0:64 offset1:80
	ds_load_b128 v[50:53], v13 offset:1040
	ds_load_2addr_b64 v[54:57], v12 offset0:96 offset1:112
	ds_load_2addr_b64 v[58:61], v12 offset0:128 offset1:144
	;; [unrolled: 1-line block ×4, first 2 shown]
	ds_load_b128 v[70:73], v13 offset:1056
	ds_load_b128 v[74:77], v13 offset:1072
	ds_load_2addr_b64 v[78:81], v12 offset0:224 offset1:240
	s_waitcnt lgkmcnt(0)
	s_barrier
	buffer_gl0_inv
	v_dual_mul_f32 v82, v23, v19 :: v_dual_mul_f32 v85, v22, v21
	v_dual_mul_f32 v83, v22, v19 :: v_dual_mul_f32 v84, v23, v21
	v_mul_f32_e32 v86, v27, v19
	v_dual_mul_f32 v19, v26, v19 :: v_dual_mul_f32 v90, v25, v45
	v_dual_mul_f32 v87, v27, v21 :: v_dual_mul_f32 v88, v25, v43
	v_mul_f32_e32 v21, v26, v21
	v_fma_f32 v82, v22, v18, -v82
	v_fmac_f32_e32 v83, v23, v18
	v_fma_f32 v22, v22, v20, -v84
	v_fmac_f32_e32 v85, v23, v20
	v_fma_f32 v23, v26, v18, -v86
	v_dual_fmac_f32 v19, v27, v18 :: v_dual_mul_f32 v86, v30, v47
	v_fma_f32 v18, v26, v20, -v87
	v_dual_fmac_f32 v21, v27, v20 :: v_dual_mul_f32 v20, v24, v45
	v_mul_f32_e32 v89, v24, v43
	v_mul_f32_e32 v26, v29, v43
	;; [unrolled: 1-line block ×4, first 2 shown]
	v_fmac_f32_e32 v20, v25, v44
	v_fmac_f32_e32 v89, v25, v42
	v_dual_mul_f32 v25, v28, v45 :: v_dual_fmac_f32 v86, v31, v46
	v_fma_f32 v84, v24, v42, -v88
	v_fma_f32 v24, v24, v44, -v90
	v_dual_mul_f32 v45, v31, v47 :: v_dual_mul_f32 v90, v33, v57
	v_fma_f32 v26, v28, v42, -v26
	v_fma_f32 v28, v28, v44, -v43
	v_fmac_f32_e32 v25, v29, v44
	v_dual_mul_f32 v43, v50, v47 :: v_dual_mul_f32 v44, v51, v49
	v_dual_fmac_f32 v27, v29, v42 :: v_dual_mul_f32 v42, v51, v47
	v_dual_mul_f32 v88, v32, v55 :: v_dual_mul_f32 v29, v30, v49
	v_mul_f32_e32 v87, v31, v49
	v_fma_f32 v45, v30, v46, -v45
	v_add_f32_e32 v10, v10, v85
	s_delay_alu instid0(VALU_DEP_4)
	v_dual_fmac_f32 v88, v33, v54 :: v_dual_fmac_f32 v29, v31, v48
	v_fma_f32 v31, v50, v46, -v42
	v_fma_f32 v42, v50, v48, -v44
	v_mul_f32_e32 v44, v32, v57
	v_mul_f32_e32 v47, v50, v49
	v_dual_mul_f32 v50, v53, v57 :: v_dual_fmac_f32 v43, v51, v46
	v_mul_f32_e32 v46, v53, v55
	v_mul_f32_e32 v49, v33, v55
	v_fma_f32 v30, v30, v48, -v87
	v_fmac_f32_e32 v44, v33, v56
	v_dual_fmac_f32 v47, v51, v48 :: v_dual_mul_f32 v48, v52, v55
	v_mul_f32_e32 v33, v52, v57
	v_fma_f32 v46, v52, v54, -v46
	v_fma_f32 v50, v52, v56, -v50
	v_mul_f32_e32 v52, v34, v61
	v_fma_f32 v49, v32, v54, -v49
	v_fma_f32 v32, v32, v56, -v90
	v_dual_mul_f32 v51, v35, v59 :: v_dual_fmac_f32 v48, v53, v54
	v_mul_f32_e32 v54, v70, v59
	v_dual_mul_f32 v55, v34, v59 :: v_dual_fmac_f32 v52, v35, v60
	v_fmac_f32_e32 v33, v53, v56
	v_mul_f32_e32 v53, v71, v59
	v_mul_f32_e32 v56, v71, v61
	;; [unrolled: 1-line block ×3, first 2 shown]
	v_fmac_f32_e32 v54, v71, v58
	v_fmac_f32_e32 v55, v35, v58
	v_fma_f32 v35, v70, v58, -v53
	v_fma_f32 v53, v70, v60, -v56
	v_mul_f32_e32 v56, v36, v65
	v_mul_f32_e32 v59, v70, v61
	v_fma_f32 v51, v34, v58, -v51
	v_mul_f32_e32 v58, v72, v63
	v_mul_f32_e32 v87, v36, v63
	;; [unrolled: 1-line block ×4, first 2 shown]
	v_fma_f32 v34, v34, v60, -v57
	v_mul_f32_e32 v57, v73, v63
	v_fmac_f32_e32 v56, v37, v64
	v_dual_fmac_f32 v59, v71, v60 :: v_dual_mul_f32 v60, v73, v65
	v_mul_f32_e32 v63, v39, v67
	v_mul_f32_e32 v70, v39, v69
	v_fmac_f32_e32 v58, v73, v62
	v_fmac_f32_e32 v87, v37, v62
	v_mul_f32_e32 v37, v72, v65
	v_fma_f32 v61, v36, v62, -v61
	v_fma_f32 v36, v36, v64, -v90
	v_mul_f32_e32 v65, v38, v67
	v_fma_f32 v57, v72, v62, -v57
	v_fma_f32 v60, v72, v64, -v60
	v_dual_fmac_f32 v37, v73, v64 :: v_dual_mul_f32 v62, v38, v69
	v_mul_f32_e32 v64, v75, v67
	v_mul_f32_e32 v73, v40, v79
	v_fma_f32 v63, v38, v66, -v63
	v_fma_f32 v38, v38, v68, -v70
	v_mul_f32_e32 v70, v76, v79
	v_mul_f32_e32 v67, v74, v67
	v_dual_mul_f32 v71, v75, v69 :: v_dual_add_f32 v16, v16, v82
	v_dual_mul_f32 v69, v74, v69 :: v_dual_add_f32 v8, v8, v19
	v_fmac_f32_e32 v65, v39, v66
	v_fmac_f32_e32 v62, v39, v68
	s_delay_alu instid0(VALU_DEP_4)
	v_add_f32_e32 v16, v16, v84
	v_fma_f32 v39, v74, v66, -v64
	v_fmac_f32_e32 v70, v77, v78
	v_dual_fmac_f32 v67, v75, v66 :: v_dual_add_f32 v10, v10, v20
	v_mul_f32_e32 v66, v40, v81
	v_mul_f32_e32 v72, v41, v79
	;; [unrolled: 1-line block ×3, first 2 shown]
	v_fma_f32 v64, v74, v68, -v71
	v_dual_fmac_f32 v69, v75, v68 :: v_dual_add_f32 v0, v0, v18
	v_dual_mul_f32 v71, v77, v81 :: v_dual_add_f32 v8, v8, v27
	v_fmac_f32_e32 v73, v41, v78
	v_fmac_f32_e32 v66, v41, v80
	s_delay_alu instid0(VALU_DEP_4) | instskip(SKIP_3) | instid1(VALU_DEP_4)
	v_dual_add_f32 v0, v0, v28 :: v_dual_add_f32 v17, v17, v83
	v_add_f32_e32 v10, v10, v29
	v_mul_f32_e32 v41, v76, v81
	v_dual_add_f32 v11, v11, v22 :: v_dual_add_f32 v8, v8, v43
	v_dual_add_f32 v9, v9, v23 :: v_dual_add_f32 v0, v0, v42
	v_add_f32_e32 v1, v1, v21
	v_add_f32_e32 v16, v16, v45
	s_delay_alu instid0(VALU_DEP_4)
	v_add_f32_e32 v8, v8, v48
	v_add_f32_e32 v10, v10, v44
	v_fmac_f32_e32 v41, v77, v80
	v_dual_add_f32 v17, v17, v89 :: v_dual_add_f32 v0, v0, v50
	v_dual_add_f32 v11, v11, v24 :: v_dual_add_f32 v16, v16, v49
	v_add_f32_e32 v9, v9, v26
	v_dual_add_f32 v1, v1, v25 :: v_dual_add_f32 v10, v10, v52
	s_delay_alu instid0(VALU_DEP_4) | instskip(NEXT) | instid1(VALU_DEP_4)
	v_dual_add_f32 v17, v17, v86 :: v_dual_add_f32 v0, v0, v53
	v_dual_add_f32 v16, v16, v51 :: v_dual_add_f32 v11, v11, v30
	s_delay_alu instid0(VALU_DEP_4) | instskip(NEXT) | instid1(VALU_DEP_4)
	v_dual_add_f32 v9, v9, v31 :: v_dual_add_f32 v8, v8, v54
	v_dual_add_f32 v1, v1, v47 :: v_dual_add_f32 v10, v10, v56
	s_delay_alu instid0(VALU_DEP_4) | instskip(NEXT) | instid1(VALU_DEP_3)
	v_add_f32_e32 v17, v17, v88
	v_dual_add_f32 v9, v9, v46 :: v_dual_add_f32 v0, v0, v60
	s_delay_alu instid0(VALU_DEP_3) | instskip(SKIP_2) | instid1(VALU_DEP_3)
	v_dual_add_f32 v1, v1, v33 :: v_dual_add_f32 v10, v10, v62
	v_dual_add_f32 v16, v16, v61 :: v_dual_add_f32 v11, v11, v32
	v_fma_f32 v72, v40, v78, -v72
	v_dual_add_f32 v1, v1, v59 :: v_dual_add_f32 v10, v10, v66
	v_dual_add_f32 v8, v8, v58 :: v_dual_add_f32 v17, v17, v55
	v_add_f32_e32 v0, v0, v64
	v_dual_add_f32 v16, v16, v63 :: v_dual_add_f32 v11, v11, v34
	s_delay_alu instid0(VALU_DEP_3) | instskip(SKIP_2) | instid1(VALU_DEP_4)
	v_add_f32_e32 v8, v8, v67
	v_add_f32_e32 v9, v9, v35
	v_mul_f32_e32 v68, v77, v79
	v_add_f32_e32 v16, v16, v72
	v_fma_f32 v71, v76, v80, -v71
	v_dual_add_f32 v17, v17, v87 :: v_dual_add_f32 v8, v8, v70
	v_add_f32_e32 v11, v11, v36
	s_delay_alu instid0(VALU_DEP_3)
	v_dual_add_f32 v9, v9, v57 :: v_dual_add_f32 v0, v0, v71
	v_add_f32_e32 v1, v1, v37
	v_fma_f32 v40, v40, v80, -v90
	v_fma_f32 v68, v76, v78, -v68
	v_add_f32_e32 v17, v17, v65
	v_add_f32_e32 v11, v11, v38
	;; [unrolled: 1-line block ×4, first 2 shown]
	s_delay_alu instid0(VALU_DEP_4) | instskip(NEXT) | instid1(VALU_DEP_4)
	v_add_f32_e32 v17, v17, v73
	v_add_f32_e32 v11, v11, v40
	s_delay_alu instid0(VALU_DEP_4) | instskip(NEXT) | instid1(VALU_DEP_4)
	v_add_f32_e32 v9, v9, v68
	v_add_f32_e32 v1, v1, v41
	s_cbranch_vccz .LBB1697_2
.LBB1697_3:
	v_add_nc_u32_e32 v7, s19, v7
	s_load_b32 s4, s[0:1], 0x0
	s_delay_alu instid0(VALU_DEP_1) | instskip(SKIP_2) | instid1(VALU_DEP_3)
	v_ashrrev_i32_e32 v2, 31, v7
	v_mul_lo_u32 v5, v7, s7
	v_mad_u64_u32 v[3:4], null, v7, s6, 0
	v_mul_lo_u32 v2, v2, s6
	s_delay_alu instid0(VALU_DEP_1) | instskip(SKIP_1) | instid1(VALU_DEP_2)
	v_add3_u32 v4, v4, v5, v2
	v_add_nc_u32_e32 v2, s18, v6
	v_lshlrev_b64 v[3:4], 3, v[3:4]
	s_delay_alu instid0(VALU_DEP_2) | instskip(SKIP_2) | instid1(VALU_DEP_3)
	v_cmp_le_i32_e64 s0, v7, v2
	s_waitcnt lgkmcnt(0)
	v_cmp_gt_i32_e32 vcc_lo, s4, v2
	v_add_co_u32 v6, s1, s2, v3
	s_delay_alu instid0(VALU_DEP_1) | instskip(SKIP_1) | instid1(SALU_CYCLE_1)
	v_add_co_ci_u32_e64 v12, s1, s3, v4, s1
	s_and_b32 s0, s0, vcc_lo
	s_and_saveexec_b32 s1, s0
	s_cbranch_execz .LBB1697_6
; %bb.4:
	v_ashrrev_i32_e32 v3, 31, v2
	s_delay_alu instid0(VALU_DEP_1) | instskip(NEXT) | instid1(VALU_DEP_1)
	v_lshlrev_b64 v[3:4], 3, v[2:3]
	v_add_co_u32 v3, s0, v6, v3
	s_delay_alu instid0(VALU_DEP_1)
	v_add_co_ci_u32_e64 v4, s0, v12, v4, s0
	v_cmp_eq_u32_e64 s0, v7, v2
	global_load_b64 v[13:14], v[3:4], off
	s_waitcnt vmcnt(0)
	v_dual_add_f32 v13, v16, v13 :: v_dual_add_f32 v14, v17, v14
	global_store_b64 v[3:4], v[13:14], off
	s_and_b32 exec_lo, exec_lo, s0
	s_cbranch_execz .LBB1697_6
; %bb.5:
	v_mov_b32_e32 v5, 0
	global_store_b32 v[3:4], v5, off offset:4
.LBB1697_6:
	s_or_b32 exec_lo, exec_lo, s1
	v_add_nc_u32_e32 v4, 16, v2
	s_delay_alu instid0(VALU_DEP_1) | instskip(SKIP_1) | instid1(VALU_DEP_1)
	v_cmp_le_i32_e64 s1, v7, v4
	v_cmp_gt_i32_e64 s0, s4, v4
	s_and_b32 s1, s1, s0
	s_delay_alu instid0(SALU_CYCLE_1)
	s_and_saveexec_b32 s4, s1
	s_cbranch_execz .LBB1697_9
; %bb.7:
	v_ashrrev_i32_e32 v5, 31, v4
	s_delay_alu instid0(VALU_DEP_1) | instskip(NEXT) | instid1(VALU_DEP_1)
	v_lshlrev_b64 v[13:14], 3, v[4:5]
	v_add_co_u32 v5, s1, v6, v13
	s_delay_alu instid0(VALU_DEP_1)
	v_add_co_ci_u32_e64 v6, s1, v12, v14, s1
	v_cmp_eq_u32_e64 s1, v7, v4
	global_load_b64 v[12:13], v[5:6], off
	s_waitcnt vmcnt(0)
	v_dual_add_f32 v11, v11, v12 :: v_dual_add_f32 v12, v10, v13
	global_store_b64 v[5:6], v[11:12], off
	s_and_b32 exec_lo, exec_lo, s1
	s_cbranch_execz .LBB1697_9
; %bb.8:
	v_mov_b32_e32 v3, 0
	global_store_b32 v[5:6], v3, off offset:4
.LBB1697_9:
	s_or_b32 exec_lo, exec_lo, s4
	v_add_nc_u32_e32 v10, 16, v7
	s_delay_alu instid0(VALU_DEP_1) | instskip(SKIP_3) | instid1(VALU_DEP_4)
	v_ashrrev_i32_e32 v3, 31, v10
	v_mul_lo_u32 v11, v10, s7
	v_mad_u64_u32 v[5:6], null, v10, s6, 0
	v_cmp_le_i32_e64 s1, v10, v2
	v_mul_lo_u32 v3, v3, s6
	s_delay_alu instid0(VALU_DEP_1) | instskip(NEXT) | instid1(VALU_DEP_1)
	v_add3_u32 v6, v6, v11, v3
	v_lshlrev_b64 v[5:6], 3, v[5:6]
	s_delay_alu instid0(VALU_DEP_1) | instskip(NEXT) | instid1(VALU_DEP_1)
	v_add_co_u32 v11, s2, s2, v5
	v_add_co_ci_u32_e64 v12, s2, s3, v6, s2
	s_and_b32 s2, s1, vcc_lo
	s_delay_alu instid0(SALU_CYCLE_1)
	s_and_saveexec_b32 s1, s2
	s_cbranch_execz .LBB1697_12
; %bb.10:
	v_ashrrev_i32_e32 v3, 31, v2
	s_delay_alu instid0(VALU_DEP_1) | instskip(NEXT) | instid1(VALU_DEP_1)
	v_lshlrev_b64 v[5:6], 3, v[2:3]
	v_add_co_u32 v5, vcc_lo, v11, v5
	s_delay_alu instid0(VALU_DEP_2)
	v_add_co_ci_u32_e32 v6, vcc_lo, v12, v6, vcc_lo
	v_cmp_eq_u32_e32 vcc_lo, v10, v2
	global_load_b64 v[13:14], v[5:6], off
	s_waitcnt vmcnt(0)
	v_dual_add_f32 v13, v9, v13 :: v_dual_add_f32 v14, v8, v14
	global_store_b64 v[5:6], v[13:14], off
	s_and_b32 exec_lo, exec_lo, vcc_lo
	s_cbranch_execz .LBB1697_12
; %bb.11:
	v_mov_b32_e32 v3, 0
	global_store_b32 v[5:6], v3, off offset:4
.LBB1697_12:
	s_or_b32 exec_lo, exec_lo, s1
	v_cmp_le_i32_e32 vcc_lo, v10, v4
	s_and_b32 s0, vcc_lo, s0
	s_delay_alu instid0(SALU_CYCLE_1)
	s_and_saveexec_b32 s1, s0
	s_cbranch_execz .LBB1697_15
; %bb.13:
	v_ashrrev_i32_e32 v5, 31, v4
	s_delay_alu instid0(VALU_DEP_1) | instskip(NEXT) | instid1(VALU_DEP_1)
	v_lshlrev_b64 v[3:4], 3, v[4:5]
	v_add_co_u32 v3, vcc_lo, v11, v3
	s_delay_alu instid0(VALU_DEP_2)
	v_add_co_ci_u32_e32 v4, vcc_lo, v12, v4, vcc_lo
	v_cmp_eq_u32_e32 vcc_lo, v7, v2
	global_load_b64 v[5:6], v[3:4], off
	s_waitcnt vmcnt(0)
	v_dual_add_f32 v0, v0, v5 :: v_dual_add_f32 v1, v1, v6
	global_store_b64 v[3:4], v[0:1], off
	s_and_b32 exec_lo, exec_lo, vcc_lo
	s_cbranch_execz .LBB1697_15
; %bb.14:
	v_mov_b32_e32 v0, 0
	global_store_b32 v[3:4], v0, off offset:4
.LBB1697_15:
	s_nop 0
	s_sendmsg sendmsg(MSG_DEALLOC_VGPRS)
	s_endpgm
	.section	.rodata,"a",@progbits
	.p2align	6, 0x0
	.amdhsa_kernel _ZL37rocblas_syrkx_herkx_restricted_kernelIl19rocblas_complex_numIfELi16ELi32ELi8ELi1ELi1ELb1ELc67ELc76EKPKS1_KPS1_EviT_PT9_S7_lS9_S7_lPT10_S7_li
		.amdhsa_group_segment_fixed_size 4096
		.amdhsa_private_segment_fixed_size 0
		.amdhsa_kernarg_size 92
		.amdhsa_user_sgpr_count 13
		.amdhsa_user_sgpr_dispatch_ptr 0
		.amdhsa_user_sgpr_queue_ptr 0
		.amdhsa_user_sgpr_kernarg_segment_ptr 1
		.amdhsa_user_sgpr_dispatch_id 0
		.amdhsa_user_sgpr_private_segment_size 0
		.amdhsa_wavefront_size32 1
		.amdhsa_uses_dynamic_stack 0
		.amdhsa_enable_private_segment 0
		.amdhsa_system_sgpr_workgroup_id_x 1
		.amdhsa_system_sgpr_workgroup_id_y 1
		.amdhsa_system_sgpr_workgroup_id_z 1
		.amdhsa_system_sgpr_workgroup_info 0
		.amdhsa_system_vgpr_workitem_id 1
		.amdhsa_next_free_vgpr 91
		.amdhsa_next_free_sgpr 20
		.amdhsa_reserve_vcc 1
		.amdhsa_float_round_mode_32 0
		.amdhsa_float_round_mode_16_64 0
		.amdhsa_float_denorm_mode_32 3
		.amdhsa_float_denorm_mode_16_64 3
		.amdhsa_dx10_clamp 1
		.amdhsa_ieee_mode 1
		.amdhsa_fp16_overflow 0
		.amdhsa_workgroup_processor_mode 1
		.amdhsa_memory_ordered 1
		.amdhsa_forward_progress 0
		.amdhsa_shared_vgpr_count 0
		.amdhsa_exception_fp_ieee_invalid_op 0
		.amdhsa_exception_fp_denorm_src 0
		.amdhsa_exception_fp_ieee_div_zero 0
		.amdhsa_exception_fp_ieee_overflow 0
		.amdhsa_exception_fp_ieee_underflow 0
		.amdhsa_exception_fp_ieee_inexact 0
		.amdhsa_exception_int_div_zero 0
	.end_amdhsa_kernel
	.section	.text._ZL37rocblas_syrkx_herkx_restricted_kernelIl19rocblas_complex_numIfELi16ELi32ELi8ELi1ELi1ELb1ELc67ELc76EKPKS1_KPS1_EviT_PT9_S7_lS9_S7_lPT10_S7_li,"axG",@progbits,_ZL37rocblas_syrkx_herkx_restricted_kernelIl19rocblas_complex_numIfELi16ELi32ELi8ELi1ELi1ELb1ELc67ELc76EKPKS1_KPS1_EviT_PT9_S7_lS9_S7_lPT10_S7_li,comdat
.Lfunc_end1697:
	.size	_ZL37rocblas_syrkx_herkx_restricted_kernelIl19rocblas_complex_numIfELi16ELi32ELi8ELi1ELi1ELb1ELc67ELc76EKPKS1_KPS1_EviT_PT9_S7_lS9_S7_lPT10_S7_li, .Lfunc_end1697-_ZL37rocblas_syrkx_herkx_restricted_kernelIl19rocblas_complex_numIfELi16ELi32ELi8ELi1ELi1ELb1ELc67ELc76EKPKS1_KPS1_EviT_PT9_S7_lS9_S7_lPT10_S7_li
                                        ; -- End function
	.section	.AMDGPU.csdata,"",@progbits
; Kernel info:
; codeLenInByte = 2320
; NumSgprs: 22
; NumVgprs: 91
; ScratchSize: 0
; MemoryBound: 0
; FloatMode: 240
; IeeeMode: 1
; LDSByteSize: 4096 bytes/workgroup (compile time only)
; SGPRBlocks: 2
; VGPRBlocks: 11
; NumSGPRsForWavesPerEU: 22
; NumVGPRsForWavesPerEU: 91
; Occupancy: 16
; WaveLimiterHint : 1
; COMPUTE_PGM_RSRC2:SCRATCH_EN: 0
; COMPUTE_PGM_RSRC2:USER_SGPR: 13
; COMPUTE_PGM_RSRC2:TRAP_HANDLER: 0
; COMPUTE_PGM_RSRC2:TGID_X_EN: 1
; COMPUTE_PGM_RSRC2:TGID_Y_EN: 1
; COMPUTE_PGM_RSRC2:TGID_Z_EN: 1
; COMPUTE_PGM_RSRC2:TIDIG_COMP_CNT: 1
	.section	.text._ZL37rocblas_syrkx_herkx_restricted_kernelIl19rocblas_complex_numIfELi16ELi32ELi8ELi1ELi1ELb1ELc78ELc76EKPKS1_KPS1_EviT_PT9_S7_lS9_S7_lPT10_S7_li,"axG",@progbits,_ZL37rocblas_syrkx_herkx_restricted_kernelIl19rocblas_complex_numIfELi16ELi32ELi8ELi1ELi1ELb1ELc78ELc76EKPKS1_KPS1_EviT_PT9_S7_lS9_S7_lPT10_S7_li,comdat
	.globl	_ZL37rocblas_syrkx_herkx_restricted_kernelIl19rocblas_complex_numIfELi16ELi32ELi8ELi1ELi1ELb1ELc78ELc76EKPKS1_KPS1_EviT_PT9_S7_lS9_S7_lPT10_S7_li ; -- Begin function _ZL37rocblas_syrkx_herkx_restricted_kernelIl19rocblas_complex_numIfELi16ELi32ELi8ELi1ELi1ELb1ELc78ELc76EKPKS1_KPS1_EviT_PT9_S7_lS9_S7_lPT10_S7_li
	.p2align	8
	.type	_ZL37rocblas_syrkx_herkx_restricted_kernelIl19rocblas_complex_numIfELi16ELi32ELi8ELi1ELi1ELb1ELc78ELc76EKPKS1_KPS1_EviT_PT9_S7_lS9_S7_lPT10_S7_li,@function
_ZL37rocblas_syrkx_herkx_restricted_kernelIl19rocblas_complex_numIfELi16ELi32ELi8ELi1ELi1ELb1ELc78ELc76EKPKS1_KPS1_EviT_PT9_S7_lS9_S7_lPT10_S7_li: ; @_ZL37rocblas_syrkx_herkx_restricted_kernelIl19rocblas_complex_numIfELi16ELi32ELi8ELi1ELi1ELb1ELc78ELc76EKPKS1_KPS1_EviT_PT9_S7_lS9_S7_lPT10_S7_li
; %bb.0:
	s_clause 0x1
	s_load_b128 s[4:7], s[0:1], 0x40
	s_load_b128 s[8:11], s[0:1], 0x8
	s_mov_b32 s2, s15
	s_mov_b32 s3, 0
	v_dual_mov_b32 v15, 0 :: v_dual_and_b32 v4, 0x3ff, v0
	s_lshl_b64 s[16:17], s[2:3], 3
	v_bfe_u32 v6, v0, 10, 10
	v_dual_mov_b32 v16, 0 :: v_dual_mov_b32 v13, 0
	v_dual_mov_b32 v12, 0 :: v_dual_mov_b32 v9, 0
	;; [unrolled: 1-line block ×3, first 2 shown]
	v_mov_b32_e32 v5, 0
	s_waitcnt lgkmcnt(0)
	s_add_u32 s2, s4, s16
	s_addc_u32 s3, s5, s17
	v_cmp_lt_i64_e64 s4, s[8:9], 1
	s_load_b64 s[2:3], s[2:3], 0x0
	s_lshl_b32 s18, s13, 5
	s_lshl_b32 s19, s14, 5
	s_delay_alu instid0(VALU_DEP_1)
	s_and_b32 vcc_lo, exec_lo, s4
	s_cbranch_vccnz .LBB1698_3
; %bb.1:
	v_lshl_add_u32 v1, v6, 4, v4
	s_clause 0x1
	s_load_b64 s[4:5], s[0:1], 0x18
	s_load_b128 s[12:15], s[0:1], 0x28
	s_add_u32 s10, s10, s16
	s_addc_u32 s11, s11, s17
	v_lshl_add_u32 v11, v6, 6, 0x800
	v_dual_mov_b32 v5, 0 :: v_dual_and_b32 v14, 31, v1
	v_lshrrev_b32_e32 v15, 3, v1
	v_lshrrev_b32_e32 v16, 5, v1
	s_load_b64 s[10:11], s[10:11], 0x0
	s_delay_alu instid0(VALU_DEP_3) | instskip(SKIP_2) | instid1(VALU_DEP_3)
	v_add_nc_u32_e32 v0, s18, v14
	v_lshlrev_b32_e32 v14, 3, v14
	v_add_nc_u32_e32 v2, s19, v15
	v_ashrrev_i32_e32 v1, 31, v0
	s_delay_alu instid0(VALU_DEP_2) | instskip(SKIP_1) | instid1(VALU_DEP_2)
	v_ashrrev_i32_e32 v3, 31, v2
	s_waitcnt lgkmcnt(0)
	v_mad_u64_u32 v[12:13], null, v16, s4, v[0:1]
	v_and_b32_e32 v7, 7, v4
	s_add_u32 s12, s12, s16
	s_addc_u32 s13, s13, s17
	s_load_b64 s[12:13], s[12:13], 0x0
	s_delay_alu instid0(VALU_DEP_1) | instskip(NEXT) | instid1(VALU_DEP_3)
	v_mad_u64_u32 v[0:1], null, v7, s14, v[2:3]
	v_mov_b32_e32 v2, v13
	s_delay_alu instid0(VALU_DEP_1) | instskip(NEXT) | instid1(VALU_DEP_3)
	v_mad_u64_u32 v[8:9], null, v16, s5, v[2:3]
	v_mad_u64_u32 v[2:3], null, v7, s15, v[1:2]
	v_lshlrev_b32_e32 v1, 3, v7
	v_dual_mov_b32 v7, 0 :: v_dual_lshlrev_b32 v10, 3, v4
	v_mov_b32_e32 v9, 0
	v_dual_mov_b32 v13, v8 :: v_dual_mov_b32 v8, 0
	s_delay_alu instid0(VALU_DEP_4) | instskip(SKIP_2) | instid1(VALU_DEP_4)
	v_lshl_or_b32 v15, v15, 6, v1
	v_mov_b32_e32 v1, v2
	v_lshl_or_b32 v14, v16, 8, v14
	v_lshlrev_b64 v[2:3], 3, v[12:13]
	s_lshl_b64 s[4:5], s[4:5], 6
	v_add_nc_u32_e32 v17, 0x800, v15
	v_lshlrev_b64 v[0:1], 3, v[0:1]
	v_dual_mov_b32 v15, 0 :: v_dual_mov_b32 v16, 0
	s_delay_alu instid0(VALU_DEP_4) | instskip(SKIP_2) | instid1(VALU_DEP_4)
	v_add_co_u32 v2, vcc_lo, v2, s10
	v_add_co_ci_u32_e32 v3, vcc_lo, s11, v3, vcc_lo
	s_waitcnt lgkmcnt(0)
	v_add_co_u32 v12, vcc_lo, v0, s12
	v_add_co_ci_u32_e32 v13, vcc_lo, s13, v1, vcc_lo
	v_add_co_u32 v0, vcc_lo, v2, 4
	v_add_co_ci_u32_e32 v1, vcc_lo, 0, v3, vcc_lo
	s_delay_alu instid0(VALU_DEP_4)
	v_add_co_u32 v2, vcc_lo, v12, 4
	v_mov_b32_e32 v12, 0
	v_add_co_ci_u32_e32 v3, vcc_lo, 0, v13, vcc_lo
	v_mov_b32_e32 v13, 0
	s_lshl_b64 s[10:11], s[14:15], 6
	s_mov_b64 s[12:13], 0
.LBB1698_2:                             ; =>This Inner Loop Header: Depth=1
	global_load_b64 v[18:19], v[2:3], off offset:-4
	global_load_b64 v[20:21], v[0:1], off offset:-4
	s_add_u32 s12, s12, 8
	v_add_co_u32 v0, vcc_lo, v0, s4
	s_addc_u32 s13, s13, 0
	v_add_co_ci_u32_e32 v1, vcc_lo, s5, v1, vcc_lo
	v_cmp_ge_u64_e64 s14, s[12:13], s[8:9]
	v_add_co_u32 v2, vcc_lo, v2, s10
	v_add_co_ci_u32_e32 v3, vcc_lo, s11, v3, vcc_lo
	s_delay_alu instid0(VALU_DEP_3)
	s_and_b32 vcc_lo, exec_lo, s14
	s_waitcnt vmcnt(1)
	v_xor_b32_e32 v19, 0x80000000, v19
	s_waitcnt vmcnt(0)
	ds_store_b64 v14, v[20:21]
	ds_store_b64 v17, v[18:19]
	s_waitcnt lgkmcnt(0)
	s_barrier
	buffer_gl0_inv
	ds_load_2addr_b64 v[18:21], v10 offset1:16
	ds_load_b128 v[22:25], v11
	ds_load_b128 v[26:29], v11 offset:1024
	ds_load_b128 v[30:33], v11 offset:16
	;; [unrolled: 1-line block ×4, first 2 shown]
	ds_load_2addr_b64 v[42:45], v10 offset0:32 offset1:48
	ds_load_2addr_b64 v[46:49], v10 offset0:64 offset1:80
	ds_load_b128 v[50:53], v11 offset:1040
	ds_load_2addr_b64 v[54:57], v10 offset0:96 offset1:112
	ds_load_2addr_b64 v[58:61], v10 offset0:128 offset1:144
	;; [unrolled: 1-line block ×4, first 2 shown]
	ds_load_b128 v[70:73], v11 offset:1056
	ds_load_b128 v[74:77], v11 offset:1072
	ds_load_2addr_b64 v[78:81], v10 offset0:224 offset1:240
	s_waitcnt lgkmcnt(0)
	s_barrier
	buffer_gl0_inv
	v_dual_mul_f32 v82, v23, v19 :: v_dual_mul_f32 v85, v22, v21
	v_dual_mul_f32 v83, v22, v19 :: v_dual_mul_f32 v84, v23, v21
	v_mul_f32_e32 v86, v27, v19
	v_dual_mul_f32 v19, v26, v19 :: v_dual_mul_f32 v90, v25, v45
	v_dual_mul_f32 v87, v27, v21 :: v_dual_mul_f32 v88, v25, v43
	v_mul_f32_e32 v21, v26, v21
	v_mul_f32_e32 v89, v24, v43
	;; [unrolled: 1-line block ×3, first 2 shown]
	v_fma_f32 v82, v22, v18, -v82
	v_fmac_f32_e32 v83, v23, v18
	v_fma_f32 v22, v22, v20, -v84
	v_dual_fmac_f32 v85, v23, v20 :: v_dual_mul_f32 v84, v30, v47
	v_fma_f32 v23, v26, v18, -v86
	v_fmac_f32_e32 v19, v27, v18
	v_fma_f32 v18, v26, v20, -v87
	v_dual_mul_f32 v26, v28, v43 :: v_dual_fmac_f32 v21, v27, v20
	v_mul_f32_e32 v20, v29, v43
	v_mul_f32_e32 v27, v29, v45
	v_dual_mul_f32 v43, v28, v45 :: v_dual_fmac_f32 v84, v31, v46
	v_fma_f32 v45, v24, v42, -v88
	v_fma_f32 v24, v24, v44, -v90
	v_dual_fmac_f32 v91, v25, v44 :: v_dual_mul_f32 v90, v32, v57
	v_dual_mul_f32 v86, v31, v49 :: v_dual_fmac_f32 v89, v25, v42
	v_dual_mul_f32 v25, v31, v47 :: v_dual_mul_f32 v88, v33, v57
	v_fma_f32 v20, v28, v42, -v20
	v_fmac_f32_e32 v26, v29, v42
	v_fma_f32 v27, v28, v44, -v27
	v_dual_fmac_f32 v43, v29, v44 :: v_dual_mul_f32 v28, v51, v47
	v_dual_mul_f32 v29, v50, v47 :: v_dual_mul_f32 v42, v51, v49
	v_mul_f32_e32 v44, v50, v49
	v_mul_f32_e32 v87, v30, v49
	;; [unrolled: 1-line block ×3, first 2 shown]
	v_dual_mul_f32 v49, v32, v55 :: v_dual_fmac_f32 v90, v33, v56
	v_fma_f32 v25, v30, v46, -v25
	v_fma_f32 v30, v30, v48, -v86
	;; [unrolled: 1-line block ×3, first 2 shown]
	v_fmac_f32_e32 v44, v51, v48
	v_fmac_f32_e32 v87, v31, v48
	v_fma_f32 v31, v50, v48, -v42
	v_mul_f32_e32 v42, v53, v55
	v_mul_f32_e32 v48, v53, v57
	v_dual_mul_f32 v50, v52, v57 :: v_dual_fmac_f32 v29, v51, v46
	v_mul_f32_e32 v46, v52, v55
	v_fma_f32 v47, v32, v54, -v47
	v_fmac_f32_e32 v49, v33, v54
	v_fma_f32 v32, v32, v56, -v88
	s_delay_alu instid0(VALU_DEP_4)
	v_dual_mul_f32 v33, v35, v59 :: v_dual_fmac_f32 v46, v53, v54
	v_mul_f32_e32 v51, v34, v59
	v_mul_f32_e32 v55, v35, v61
	v_fma_f32 v42, v52, v54, -v42
	v_fma_f32 v48, v52, v56, -v48
	v_fmac_f32_e32 v50, v53, v56
	v_mul_f32_e32 v52, v71, v59
	v_dual_mul_f32 v53, v70, v59 :: v_dual_mul_f32 v86, v37, v65
	v_mul_f32_e32 v54, v71, v61
	v_dual_mul_f32 v56, v70, v61 :: v_dual_mul_f32 v59, v37, v63
	v_mul_f32_e32 v57, v34, v61
	v_mul_f32_e32 v61, v36, v63
	v_dual_mul_f32 v88, v36, v65 :: v_dual_fmac_f32 v51, v35, v58
	v_fma_f32 v33, v34, v58, -v33
	v_fmac_f32_e32 v53, v71, v58
	v_fmac_f32_e32 v56, v71, v60
	s_delay_alu instid0(VALU_DEP_4)
	v_fmac_f32_e32 v88, v37, v64
	v_fmac_f32_e32 v57, v35, v60
	v_fma_f32 v35, v70, v58, -v52
	v_fma_f32 v52, v70, v60, -v54
	v_mul_f32_e32 v54, v73, v63
	v_fma_f32 v34, v34, v60, -v55
	v_mul_f32_e32 v60, v72, v65
	v_dual_mul_f32 v55, v72, v63 :: v_dual_mul_f32 v70, v38, v69
	v_mul_f32_e32 v58, v73, v65
	v_fma_f32 v59, v36, v62, -v59
	v_fmac_f32_e32 v61, v37, v62
	v_fma_f32 v36, v36, v64, -v86
	v_dual_mul_f32 v37, v39, v67 :: v_dual_fmac_f32 v60, v73, v64
	v_dual_mul_f32 v63, v38, v67 :: v_dual_mul_f32 v86, v40, v81
	v_mul_f32_e32 v65, v39, v69
	v_fma_f32 v54, v72, v62, -v54
	v_fmac_f32_e32 v55, v73, v62
	v_fma_f32 v58, v72, v64, -v58
	v_mul_f32_e32 v72, v40, v79
	v_mul_f32_e32 v62, v75, v67
	v_dual_mul_f32 v64, v74, v67 :: v_dual_mul_f32 v67, v75, v69
	v_dual_mul_f32 v69, v74, v69 :: v_dual_fmac_f32 v70, v39, v68
	s_delay_alu instid0(VALU_DEP_2)
	v_dual_mul_f32 v71, v41, v79 :: v_dual_fmac_f32 v64, v75, v66
	v_dual_mul_f32 v73, v41, v81 :: v_dual_add_f32 v16, v16, v83
	v_fma_f32 v37, v38, v66, -v37
	v_fmac_f32_e32 v63, v39, v66
	v_fma_f32 v38, v38, v68, -v65
	v_fma_f32 v39, v74, v66, -v62
	v_dual_fmac_f32 v69, v75, v68 :: v_dual_fmac_f32 v72, v41, v78
	v_dual_mul_f32 v65, v77, v79 :: v_dual_add_f32 v12, v12, v85
	v_mul_f32_e32 v66, v76, v79
	v_fma_f32 v62, v74, v68, -v67
	v_dual_mul_f32 v67, v77, v81 :: v_dual_add_f32 v8, v8, v19
	v_mul_f32_e32 v68, v76, v81
	v_dual_fmac_f32 v86, v41, v80 :: v_dual_add_f32 v15, v15, v82
	v_dual_add_f32 v13, v13, v22 :: v_dual_add_f32 v16, v16, v89
	s_delay_alu instid0(VALU_DEP_3) | instskip(SKIP_4) | instid1(VALU_DEP_4)
	v_dual_fmac_f32 v68, v77, v80 :: v_dual_add_f32 v7, v7, v18
	v_dual_add_f32 v9, v9, v23 :: v_dual_add_f32 v8, v8, v26
	v_dual_add_f32 v5, v5, v21 :: v_dual_add_f32 v12, v12, v91
	v_dual_fmac_f32 v66, v77, v78 :: v_dual_add_f32 v15, v15, v45
	v_add_f32_e32 v13, v13, v24
	v_dual_add_f32 v9, v9, v20 :: v_dual_add_f32 v8, v8, v29
	v_dual_add_f32 v7, v7, v27 :: v_dual_add_f32 v16, v16, v84
	v_add_f32_e32 v12, v12, v87
	v_add_f32_e32 v5, v5, v43
	v_add_f32_e32 v15, v15, v25
	v_dual_add_f32 v9, v9, v28 :: v_dual_add_f32 v8, v8, v46
	v_add_f32_e32 v16, v16, v49
	v_add_f32_e32 v12, v12, v90
	;; [unrolled: 1-line block ×4, first 2 shown]
	v_dual_add_f32 v5, v5, v44 :: v_dual_add_f32 v8, v8, v53
	v_add_f32_e32 v16, v16, v51
	v_dual_add_f32 v12, v12, v57 :: v_dual_add_f32 v15, v15, v47
	s_delay_alu instid0(VALU_DEP_3) | instskip(NEXT) | instid1(VALU_DEP_2)
	v_dual_add_f32 v13, v13, v32 :: v_dual_add_f32 v8, v8, v55
	v_dual_add_f32 v9, v9, v42 :: v_dual_add_f32 v12, v12, v88
	s_delay_alu instid0(VALU_DEP_4) | instskip(NEXT) | instid1(VALU_DEP_3)
	v_dual_add_f32 v5, v5, v50 :: v_dual_add_f32 v16, v16, v61
	v_add_f32_e32 v8, v8, v64
	v_add_f32_e32 v7, v7, v48
	s_delay_alu instid0(VALU_DEP_4)
	v_dual_add_f32 v15, v15, v33 :: v_dual_add_f32 v12, v12, v70
	v_add_f32_e32 v9, v9, v35
	v_dual_add_f32 v5, v5, v56 :: v_dual_add_f32 v16, v16, v63
	v_add_f32_e32 v13, v13, v34
	v_dual_add_f32 v7, v7, v52 :: v_dual_add_f32 v8, v8, v66
	v_add_f32_e32 v15, v15, v59
	s_delay_alu instid0(VALU_DEP_4)
	v_add_f32_e32 v5, v5, v60
	v_add_f32_e32 v16, v16, v72
	;; [unrolled: 1-line block ×6, first 2 shown]
	v_fma_f32 v71, v40, v78, -v71
	v_fma_f32 v40, v40, v80, -v73
	;; [unrolled: 1-line block ×4, first 2 shown]
	v_add_f32_e32 v15, v15, v37
	v_add_f32_e32 v13, v13, v38
	;; [unrolled: 1-line block ×10, first 2 shown]
	s_cbranch_vccz .LBB1698_2
.LBB1698_3:
	v_add_nc_u32_e32 v6, s19, v6
	s_load_b32 s4, s[0:1], 0x0
	s_delay_alu instid0(VALU_DEP_1) | instskip(SKIP_2) | instid1(VALU_DEP_3)
	v_ashrrev_i32_e32 v0, 31, v6
	v_mul_lo_u32 v3, v6, s7
	v_mad_u64_u32 v[1:2], null, v6, s6, 0
	v_mul_lo_u32 v0, v0, s6
	s_delay_alu instid0(VALU_DEP_1) | instskip(SKIP_1) | instid1(VALU_DEP_2)
	v_add3_u32 v2, v2, v3, v0
	v_add_nc_u32_e32 v0, s18, v4
	v_lshlrev_b64 v[1:2], 3, v[1:2]
	s_delay_alu instid0(VALU_DEP_2) | instskip(SKIP_2) | instid1(VALU_DEP_3)
	v_cmp_le_i32_e64 s0, v6, v0
	s_waitcnt lgkmcnt(0)
	v_cmp_gt_i32_e32 vcc_lo, s4, v0
	v_add_co_u32 v4, s1, s2, v1
	s_delay_alu instid0(VALU_DEP_1) | instskip(SKIP_1) | instid1(SALU_CYCLE_1)
	v_add_co_ci_u32_e64 v10, s1, s3, v2, s1
	s_and_b32 s0, s0, vcc_lo
	s_and_saveexec_b32 s1, s0
	s_cbranch_execz .LBB1698_6
; %bb.4:
	v_ashrrev_i32_e32 v1, 31, v0
	s_delay_alu instid0(VALU_DEP_1) | instskip(NEXT) | instid1(VALU_DEP_1)
	v_lshlrev_b64 v[1:2], 3, v[0:1]
	v_add_co_u32 v1, s0, v4, v1
	s_delay_alu instid0(VALU_DEP_1)
	v_add_co_ci_u32_e64 v2, s0, v10, v2, s0
	v_cmp_eq_u32_e64 s0, v6, v0
	global_load_b64 v[17:18], v[1:2], off
	s_waitcnt vmcnt(0)
	v_dual_add_f32 v14, v15, v17 :: v_dual_add_f32 v15, v16, v18
	global_store_b64 v[1:2], v[14:15], off
	s_and_b32 exec_lo, exec_lo, s0
	s_cbranch_execz .LBB1698_6
; %bb.5:
	v_mov_b32_e32 v3, 0
	global_store_b32 v[1:2], v3, off offset:4
.LBB1698_6:
	s_or_b32 exec_lo, exec_lo, s1
	v_add_nc_u32_e32 v2, 16, v0
	s_delay_alu instid0(VALU_DEP_1) | instskip(SKIP_1) | instid1(VALU_DEP_1)
	v_cmp_le_i32_e64 s1, v6, v2
	v_cmp_gt_i32_e64 s0, s4, v2
	s_and_b32 s1, s1, s0
	s_delay_alu instid0(SALU_CYCLE_1)
	s_and_saveexec_b32 s4, s1
	s_cbranch_execz .LBB1698_9
; %bb.7:
	v_ashrrev_i32_e32 v3, 31, v2
	s_delay_alu instid0(VALU_DEP_1) | instskip(NEXT) | instid1(VALU_DEP_1)
	v_lshlrev_b64 v[14:15], 3, v[2:3]
	v_add_co_u32 v3, s1, v4, v14
	s_delay_alu instid0(VALU_DEP_1)
	v_add_co_ci_u32_e64 v4, s1, v10, v15, s1
	v_cmp_eq_u32_e64 s1, v6, v2
	global_load_b64 v[10:11], v[3:4], off
	s_waitcnt vmcnt(0)
	v_dual_add_f32 v10, v13, v10 :: v_dual_add_f32 v11, v12, v11
	global_store_b64 v[3:4], v[10:11], off
	s_and_b32 exec_lo, exec_lo, s1
	s_cbranch_execz .LBB1698_9
; %bb.8:
	v_mov_b32_e32 v1, 0
	global_store_b32 v[3:4], v1, off offset:4
.LBB1698_9:
	s_or_b32 exec_lo, exec_lo, s4
	v_add_nc_u32_e32 v10, 16, v6
	s_delay_alu instid0(VALU_DEP_1) | instskip(SKIP_3) | instid1(VALU_DEP_4)
	v_ashrrev_i32_e32 v1, 31, v10
	v_mul_lo_u32 v11, v10, s7
	v_mad_u64_u32 v[3:4], null, v10, s6, 0
	v_cmp_le_i32_e64 s1, v10, v0
	v_mul_lo_u32 v1, v1, s6
	s_delay_alu instid0(VALU_DEP_1) | instskip(NEXT) | instid1(VALU_DEP_1)
	v_add3_u32 v4, v4, v11, v1
	v_lshlrev_b64 v[3:4], 3, v[3:4]
	s_delay_alu instid0(VALU_DEP_1) | instskip(NEXT) | instid1(VALU_DEP_1)
	v_add_co_u32 v11, s2, s2, v3
	v_add_co_ci_u32_e64 v12, s2, s3, v4, s2
	s_and_b32 s2, s1, vcc_lo
	s_delay_alu instid0(SALU_CYCLE_1)
	s_and_saveexec_b32 s1, s2
	s_cbranch_execz .LBB1698_12
; %bb.10:
	v_ashrrev_i32_e32 v1, 31, v0
	s_delay_alu instid0(VALU_DEP_1) | instskip(NEXT) | instid1(VALU_DEP_1)
	v_lshlrev_b64 v[3:4], 3, v[0:1]
	v_add_co_u32 v3, vcc_lo, v11, v3
	s_delay_alu instid0(VALU_DEP_2)
	v_add_co_ci_u32_e32 v4, vcc_lo, v12, v4, vcc_lo
	v_cmp_eq_u32_e32 vcc_lo, v10, v0
	global_load_b64 v[13:14], v[3:4], off
	s_waitcnt vmcnt(0)
	v_dual_add_f32 v13, v9, v13 :: v_dual_add_f32 v14, v8, v14
	global_store_b64 v[3:4], v[13:14], off
	s_and_b32 exec_lo, exec_lo, vcc_lo
	s_cbranch_execz .LBB1698_12
; %bb.11:
	v_mov_b32_e32 v1, 0
	global_store_b32 v[3:4], v1, off offset:4
.LBB1698_12:
	s_or_b32 exec_lo, exec_lo, s1
	v_cmp_le_i32_e32 vcc_lo, v10, v2
	s_and_b32 s0, vcc_lo, s0
	s_delay_alu instid0(SALU_CYCLE_1)
	s_and_saveexec_b32 s1, s0
	s_cbranch_execz .LBB1698_15
; %bb.13:
	v_ashrrev_i32_e32 v3, 31, v2
	s_delay_alu instid0(VALU_DEP_1) | instskip(NEXT) | instid1(VALU_DEP_1)
	v_lshlrev_b64 v[1:2], 3, v[2:3]
	v_add_co_u32 v1, vcc_lo, v11, v1
	s_delay_alu instid0(VALU_DEP_2)
	v_add_co_ci_u32_e32 v2, vcc_lo, v12, v2, vcc_lo
	v_cmp_eq_u32_e32 vcc_lo, v6, v0
	global_load_b64 v[3:4], v[1:2], off
	s_waitcnt vmcnt(0)
	v_dual_add_f32 v3, v7, v3 :: v_dual_add_f32 v4, v5, v4
	global_store_b64 v[1:2], v[3:4], off
	s_and_b32 exec_lo, exec_lo, vcc_lo
	s_cbranch_execz .LBB1698_15
; %bb.14:
	v_mov_b32_e32 v0, 0
	global_store_b32 v[1:2], v0, off offset:4
.LBB1698_15:
	s_nop 0
	s_sendmsg sendmsg(MSG_DEALLOC_VGPRS)
	s_endpgm
	.section	.rodata,"a",@progbits
	.p2align	6, 0x0
	.amdhsa_kernel _ZL37rocblas_syrkx_herkx_restricted_kernelIl19rocblas_complex_numIfELi16ELi32ELi8ELi1ELi1ELb1ELc78ELc76EKPKS1_KPS1_EviT_PT9_S7_lS9_S7_lPT10_S7_li
		.amdhsa_group_segment_fixed_size 4096
		.amdhsa_private_segment_fixed_size 0
		.amdhsa_kernarg_size 92
		.amdhsa_user_sgpr_count 13
		.amdhsa_user_sgpr_dispatch_ptr 0
		.amdhsa_user_sgpr_queue_ptr 0
		.amdhsa_user_sgpr_kernarg_segment_ptr 1
		.amdhsa_user_sgpr_dispatch_id 0
		.amdhsa_user_sgpr_private_segment_size 0
		.amdhsa_wavefront_size32 1
		.amdhsa_uses_dynamic_stack 0
		.amdhsa_enable_private_segment 0
		.amdhsa_system_sgpr_workgroup_id_x 1
		.amdhsa_system_sgpr_workgroup_id_y 1
		.amdhsa_system_sgpr_workgroup_id_z 1
		.amdhsa_system_sgpr_workgroup_info 0
		.amdhsa_system_vgpr_workitem_id 1
		.amdhsa_next_free_vgpr 92
		.amdhsa_next_free_sgpr 20
		.amdhsa_reserve_vcc 1
		.amdhsa_float_round_mode_32 0
		.amdhsa_float_round_mode_16_64 0
		.amdhsa_float_denorm_mode_32 3
		.amdhsa_float_denorm_mode_16_64 3
		.amdhsa_dx10_clamp 1
		.amdhsa_ieee_mode 1
		.amdhsa_fp16_overflow 0
		.amdhsa_workgroup_processor_mode 1
		.amdhsa_memory_ordered 1
		.amdhsa_forward_progress 0
		.amdhsa_shared_vgpr_count 0
		.amdhsa_exception_fp_ieee_invalid_op 0
		.amdhsa_exception_fp_denorm_src 0
		.amdhsa_exception_fp_ieee_div_zero 0
		.amdhsa_exception_fp_ieee_overflow 0
		.amdhsa_exception_fp_ieee_underflow 0
		.amdhsa_exception_fp_ieee_inexact 0
		.amdhsa_exception_int_div_zero 0
	.end_amdhsa_kernel
	.section	.text._ZL37rocblas_syrkx_herkx_restricted_kernelIl19rocblas_complex_numIfELi16ELi32ELi8ELi1ELi1ELb1ELc78ELc76EKPKS1_KPS1_EviT_PT9_S7_lS9_S7_lPT10_S7_li,"axG",@progbits,_ZL37rocblas_syrkx_herkx_restricted_kernelIl19rocblas_complex_numIfELi16ELi32ELi8ELi1ELi1ELb1ELc78ELc76EKPKS1_KPS1_EviT_PT9_S7_lS9_S7_lPT10_S7_li,comdat
.Lfunc_end1698:
	.size	_ZL37rocblas_syrkx_herkx_restricted_kernelIl19rocblas_complex_numIfELi16ELi32ELi8ELi1ELi1ELb1ELc78ELc76EKPKS1_KPS1_EviT_PT9_S7_lS9_S7_lPT10_S7_li, .Lfunc_end1698-_ZL37rocblas_syrkx_herkx_restricted_kernelIl19rocblas_complex_numIfELi16ELi32ELi8ELi1ELi1ELb1ELc78ELc76EKPKS1_KPS1_EviT_PT9_S7_lS9_S7_lPT10_S7_li
                                        ; -- End function
	.section	.AMDGPU.csdata,"",@progbits
; Kernel info:
; codeLenInByte = 2300
; NumSgprs: 22
; NumVgprs: 92
; ScratchSize: 0
; MemoryBound: 0
; FloatMode: 240
; IeeeMode: 1
; LDSByteSize: 4096 bytes/workgroup (compile time only)
; SGPRBlocks: 2
; VGPRBlocks: 11
; NumSGPRsForWavesPerEU: 22
; NumVGPRsForWavesPerEU: 92
; Occupancy: 16
; WaveLimiterHint : 1
; COMPUTE_PGM_RSRC2:SCRATCH_EN: 0
; COMPUTE_PGM_RSRC2:USER_SGPR: 13
; COMPUTE_PGM_RSRC2:TRAP_HANDLER: 0
; COMPUTE_PGM_RSRC2:TGID_X_EN: 1
; COMPUTE_PGM_RSRC2:TGID_Y_EN: 1
; COMPUTE_PGM_RSRC2:TGID_Z_EN: 1
; COMPUTE_PGM_RSRC2:TIDIG_COMP_CNT: 1
	.section	.text._ZL37rocblas_syrkx_herkx_restricted_kernelIl19rocblas_complex_numIfELi16ELi32ELi8ELi1ELi1ELb1ELc84ELc85EKPKS1_KPS1_EviT_PT9_S7_lS9_S7_lPT10_S7_li,"axG",@progbits,_ZL37rocblas_syrkx_herkx_restricted_kernelIl19rocblas_complex_numIfELi16ELi32ELi8ELi1ELi1ELb1ELc84ELc85EKPKS1_KPS1_EviT_PT9_S7_lS9_S7_lPT10_S7_li,comdat
	.globl	_ZL37rocblas_syrkx_herkx_restricted_kernelIl19rocblas_complex_numIfELi16ELi32ELi8ELi1ELi1ELb1ELc84ELc85EKPKS1_KPS1_EviT_PT9_S7_lS9_S7_lPT10_S7_li ; -- Begin function _ZL37rocblas_syrkx_herkx_restricted_kernelIl19rocblas_complex_numIfELi16ELi32ELi8ELi1ELi1ELb1ELc84ELc85EKPKS1_KPS1_EviT_PT9_S7_lS9_S7_lPT10_S7_li
	.p2align	8
	.type	_ZL37rocblas_syrkx_herkx_restricted_kernelIl19rocblas_complex_numIfELi16ELi32ELi8ELi1ELi1ELb1ELc84ELc85EKPKS1_KPS1_EviT_PT9_S7_lS9_S7_lPT10_S7_li,@function
_ZL37rocblas_syrkx_herkx_restricted_kernelIl19rocblas_complex_numIfELi16ELi32ELi8ELi1ELi1ELb1ELc84ELc85EKPKS1_KPS1_EviT_PT9_S7_lS9_S7_lPT10_S7_li: ; @_ZL37rocblas_syrkx_herkx_restricted_kernelIl19rocblas_complex_numIfELi16ELi32ELi8ELi1ELi1ELb1ELc84ELc85EKPKS1_KPS1_EviT_PT9_S7_lS9_S7_lPT10_S7_li
; %bb.0:
	s_clause 0x1
	s_load_b128 s[4:7], s[0:1], 0x40
	s_load_b128 s[8:11], s[0:1], 0x8
	s_mov_b32 s2, s15
	s_mov_b32 s3, 0
	v_dual_mov_b32 v17, 0 :: v_dual_and_b32 v6, 0x3ff, v0
	s_lshl_b64 s[16:17], s[2:3], 3
	v_bfe_u32 v7, v0, 10, 10
	v_dual_mov_b32 v16, 0 :: v_dual_mov_b32 v11, 0
	v_dual_mov_b32 v10, 0 :: v_dual_mov_b32 v9, 0
	;; [unrolled: 1-line block ×3, first 2 shown]
	v_mov_b32_e32 v0, 0
	s_waitcnt lgkmcnt(0)
	s_add_u32 s2, s4, s16
	s_addc_u32 s3, s5, s17
	v_cmp_lt_i64_e64 s4, s[8:9], 1
	s_load_b64 s[2:3], s[2:3], 0x0
	s_lshl_b32 s18, s13, 5
	s_lshl_b32 s19, s14, 5
	s_delay_alu instid0(VALU_DEP_1)
	s_and_b32 vcc_lo, exec_lo, s4
	s_cbranch_vccnz .LBB1699_3
; %bb.1:
	s_clause 0x1
	s_load_b128 s[12:15], s[0:1], 0x28
	s_load_b64 s[4:5], s[0:1], 0x18
	v_lshl_add_u32 v2, v7, 4, v6
	v_dual_mov_b32 v1, 0 :: v_dual_and_b32 v0, 7, v6
	s_add_u32 s10, s10, s16
	s_addc_u32 s11, s11, s17
	s_delay_alu instid0(VALU_DEP_2)
	v_lshrrev_b32_e32 v10, 3, v2
	v_and_b32_e32 v11, 31, v2
	v_lshrrev_b32_e32 v2, 5, v2
	v_mov_b32_e32 v3, v1
	s_load_b64 s[10:11], s[10:11], 0x0
	v_add_nc_u32_e32 v12, s19, v10
	v_add_nc_u32_e32 v8, s18, v11
	v_dual_mov_b32 v16, v1 :: v_dual_lshlrev_b32 v11, 3, v11
	v_mov_b32_e32 v17, v1
	s_delay_alu instid0(VALU_DEP_4) | instskip(NEXT) | instid1(VALU_DEP_4)
	v_ashrrev_i32_e32 v4, 31, v12
	v_ashrrev_i32_e32 v5, 31, v8
	s_waitcnt lgkmcnt(0)
	s_add_u32 s12, s12, s16
	s_addc_u32 s13, s13, s17
	v_mul_lo_u32 v13, v4, s14
	v_mul_lo_u32 v14, s4, v5
	v_mad_u64_u32 v[4:5], null, s4, v8, v[2:3]
	v_mul_lo_u32 v3, s5, v8
	s_load_b64 s[4:5], s[12:13], 0x0
	v_mul_lo_u32 v15, v12, s15
	v_mad_u64_u32 v[8:9], null, v12, s14, v[0:1]
	v_lshlrev_b32_e32 v0, 3, v0
	v_lshlrev_b32_e32 v12, 3, v6
	v_add3_u32 v5, v3, v5, v14
	v_lshl_or_b32 v14, v2, 8, v11
	v_mov_b32_e32 v11, v1
	v_add3_u32 v9, v13, v9, v15
	v_lshl_or_b32 v0, v10, 6, v0
	v_lshlrev_b64 v[3:4], 3, v[4:5]
	v_lshl_add_u32 v13, v7, 6, 0x800
	v_mov_b32_e32 v10, v1
	v_lshlrev_b64 v[8:9], 3, v[8:9]
	v_add_nc_u32_e32 v15, 0x800, v0
	v_add_co_u32 v0, vcc_lo, v3, s10
	v_add_co_ci_u32_e32 v3, vcc_lo, s11, v4, vcc_lo
	s_waitcnt lgkmcnt(0)
	s_delay_alu instid0(VALU_DEP_4) | instskip(SKIP_3) | instid1(VALU_DEP_4)
	v_add_co_u32 v4, vcc_lo, v8, s4
	v_add_co_ci_u32_e32 v5, vcc_lo, s5, v9, vcc_lo
	v_add_co_u32 v2, vcc_lo, v0, 4
	v_add_co_ci_u32_e32 v3, vcc_lo, 0, v3, vcc_lo
	v_add_co_u32 v4, vcc_lo, v4, 4
	s_delay_alu instid0(VALU_DEP_4)
	v_add_co_ci_u32_e32 v5, vcc_lo, 0, v5, vcc_lo
	v_mov_b32_e32 v0, v1
	v_mov_b32_e32 v8, v1
	;; [unrolled: 1-line block ×3, first 2 shown]
	s_mov_b64 s[4:5], 0
.LBB1699_2:                             ; =>This Inner Loop Header: Depth=1
	global_load_b64 v[18:19], v[2:3], off offset:-4
	global_load_b64 v[20:21], v[4:5], off offset:-4
	s_add_u32 s4, s4, 8
	v_add_co_u32 v2, vcc_lo, v2, 64
	s_addc_u32 s5, s5, 0
	v_add_co_ci_u32_e32 v3, vcc_lo, 0, v3, vcc_lo
	v_cmp_ge_u64_e64 s10, s[4:5], s[8:9]
	v_add_co_u32 v4, vcc_lo, v4, 64
	v_add_co_ci_u32_e32 v5, vcc_lo, 0, v5, vcc_lo
	s_waitcnt vmcnt(1)
	ds_store_b64 v14, v[18:19]
	s_waitcnt vmcnt(0)
	ds_store_b64 v15, v[20:21]
	s_waitcnt lgkmcnt(0)
	s_barrier
	buffer_gl0_inv
	ds_load_2addr_b64 v[18:21], v12 offset1:16
	ds_load_b128 v[22:25], v13
	ds_load_b128 v[26:29], v13 offset:1024
	ds_load_b128 v[30:33], v13 offset:16
	;; [unrolled: 1-line block ×4, first 2 shown]
	ds_load_2addr_b64 v[42:45], v12 offset0:32 offset1:48
	ds_load_2addr_b64 v[46:49], v12 offset0:64 offset1:80
	ds_load_b128 v[50:53], v13 offset:1040
	ds_load_2addr_b64 v[54:57], v12 offset0:96 offset1:112
	ds_load_2addr_b64 v[58:61], v12 offset0:128 offset1:144
	;; [unrolled: 1-line block ×4, first 2 shown]
	ds_load_b128 v[70:73], v13 offset:1056
	ds_load_b128 v[74:77], v13 offset:1072
	ds_load_2addr_b64 v[78:81], v12 offset0:224 offset1:240
	s_and_b32 vcc_lo, exec_lo, s10
	s_waitcnt lgkmcnt(0)
	s_barrier
	buffer_gl0_inv
	v_dual_mul_f32 v82, v23, v19 :: v_dual_mul_f32 v85, v22, v21
	v_dual_mul_f32 v83, v22, v19 :: v_dual_mul_f32 v84, v23, v21
	v_mul_f32_e32 v86, v27, v19
	v_dual_mul_f32 v19, v26, v19 :: v_dual_mul_f32 v90, v25, v45
	v_dual_mul_f32 v87, v27, v21 :: v_dual_mul_f32 v88, v25, v43
	v_mul_f32_e32 v21, v26, v21
	v_fma_f32 v82, v22, v18, -v82
	v_fmac_f32_e32 v83, v23, v18
	v_fma_f32 v22, v22, v20, -v84
	v_fmac_f32_e32 v85, v23, v20
	v_fma_f32 v23, v26, v18, -v86
	v_dual_fmac_f32 v19, v27, v18 :: v_dual_mul_f32 v86, v30, v47
	v_fma_f32 v18, v26, v20, -v87
	v_dual_fmac_f32 v21, v27, v20 :: v_dual_mul_f32 v20, v24, v45
	v_mul_f32_e32 v89, v24, v43
	v_mul_f32_e32 v26, v29, v43
	;; [unrolled: 1-line block ×4, first 2 shown]
	v_fmac_f32_e32 v20, v25, v44
	v_fmac_f32_e32 v89, v25, v42
	v_dual_mul_f32 v25, v28, v45 :: v_dual_fmac_f32 v86, v31, v46
	v_fma_f32 v84, v24, v42, -v88
	v_fma_f32 v24, v24, v44, -v90
	v_dual_mul_f32 v45, v31, v47 :: v_dual_mul_f32 v90, v33, v57
	v_fma_f32 v26, v28, v42, -v26
	v_fma_f32 v28, v28, v44, -v43
	v_fmac_f32_e32 v25, v29, v44
	v_dual_mul_f32 v43, v50, v47 :: v_dual_mul_f32 v44, v51, v49
	v_dual_fmac_f32 v27, v29, v42 :: v_dual_mul_f32 v42, v51, v47
	v_dual_mul_f32 v88, v32, v55 :: v_dual_mul_f32 v29, v30, v49
	v_mul_f32_e32 v87, v31, v49
	v_fma_f32 v45, v30, v46, -v45
	v_add_f32_e32 v10, v10, v85
	s_delay_alu instid0(VALU_DEP_4)
	v_dual_fmac_f32 v88, v33, v54 :: v_dual_fmac_f32 v29, v31, v48
	v_fma_f32 v31, v50, v46, -v42
	v_fma_f32 v42, v50, v48, -v44
	v_mul_f32_e32 v44, v32, v57
	v_mul_f32_e32 v47, v50, v49
	v_dual_mul_f32 v50, v53, v57 :: v_dual_fmac_f32 v43, v51, v46
	v_mul_f32_e32 v46, v53, v55
	v_mul_f32_e32 v49, v33, v55
	v_fma_f32 v30, v30, v48, -v87
	v_fmac_f32_e32 v44, v33, v56
	v_dual_fmac_f32 v47, v51, v48 :: v_dual_mul_f32 v48, v52, v55
	v_mul_f32_e32 v33, v52, v57
	v_fma_f32 v46, v52, v54, -v46
	v_fma_f32 v50, v52, v56, -v50
	v_mul_f32_e32 v52, v34, v61
	v_fma_f32 v49, v32, v54, -v49
	v_fma_f32 v32, v32, v56, -v90
	v_dual_mul_f32 v51, v35, v59 :: v_dual_fmac_f32 v48, v53, v54
	v_mul_f32_e32 v54, v70, v59
	v_dual_mul_f32 v55, v34, v59 :: v_dual_fmac_f32 v52, v35, v60
	v_fmac_f32_e32 v33, v53, v56
	v_mul_f32_e32 v53, v71, v59
	v_mul_f32_e32 v56, v71, v61
	;; [unrolled: 1-line block ×3, first 2 shown]
	v_fmac_f32_e32 v54, v71, v58
	v_fmac_f32_e32 v55, v35, v58
	v_fma_f32 v35, v70, v58, -v53
	v_fma_f32 v53, v70, v60, -v56
	v_mul_f32_e32 v56, v36, v65
	v_mul_f32_e32 v59, v70, v61
	v_fma_f32 v51, v34, v58, -v51
	v_mul_f32_e32 v58, v72, v63
	v_mul_f32_e32 v87, v36, v63
	;; [unrolled: 1-line block ×4, first 2 shown]
	v_fma_f32 v34, v34, v60, -v57
	v_mul_f32_e32 v57, v73, v63
	v_fmac_f32_e32 v56, v37, v64
	v_dual_fmac_f32 v59, v71, v60 :: v_dual_mul_f32 v60, v73, v65
	v_mul_f32_e32 v63, v39, v67
	v_mul_f32_e32 v70, v39, v69
	v_fmac_f32_e32 v58, v73, v62
	v_fmac_f32_e32 v87, v37, v62
	v_mul_f32_e32 v37, v72, v65
	v_fma_f32 v61, v36, v62, -v61
	v_fma_f32 v36, v36, v64, -v90
	v_mul_f32_e32 v65, v38, v67
	v_fma_f32 v57, v72, v62, -v57
	v_fma_f32 v60, v72, v64, -v60
	v_dual_fmac_f32 v37, v73, v64 :: v_dual_mul_f32 v62, v38, v69
	v_mul_f32_e32 v64, v75, v67
	v_mul_f32_e32 v73, v40, v79
	v_fma_f32 v63, v38, v66, -v63
	v_fma_f32 v38, v38, v68, -v70
	v_mul_f32_e32 v70, v76, v79
	v_mul_f32_e32 v67, v74, v67
	v_dual_mul_f32 v71, v75, v69 :: v_dual_add_f32 v16, v16, v82
	v_dual_mul_f32 v69, v74, v69 :: v_dual_add_f32 v8, v8, v19
	v_fmac_f32_e32 v65, v39, v66
	v_fmac_f32_e32 v62, v39, v68
	s_delay_alu instid0(VALU_DEP_4)
	v_add_f32_e32 v16, v16, v84
	v_fma_f32 v39, v74, v66, -v64
	v_fmac_f32_e32 v70, v77, v78
	v_dual_fmac_f32 v67, v75, v66 :: v_dual_add_f32 v10, v10, v20
	v_mul_f32_e32 v66, v40, v81
	v_mul_f32_e32 v72, v41, v79
	;; [unrolled: 1-line block ×3, first 2 shown]
	v_fma_f32 v64, v74, v68, -v71
	v_dual_fmac_f32 v69, v75, v68 :: v_dual_add_f32 v0, v0, v18
	v_dual_mul_f32 v71, v77, v81 :: v_dual_add_f32 v8, v8, v27
	v_fmac_f32_e32 v73, v41, v78
	v_fmac_f32_e32 v66, v41, v80
	s_delay_alu instid0(VALU_DEP_4) | instskip(SKIP_3) | instid1(VALU_DEP_4)
	v_dual_add_f32 v0, v0, v28 :: v_dual_add_f32 v17, v17, v83
	v_add_f32_e32 v10, v10, v29
	v_mul_f32_e32 v41, v76, v81
	v_dual_add_f32 v11, v11, v22 :: v_dual_add_f32 v8, v8, v43
	v_dual_add_f32 v9, v9, v23 :: v_dual_add_f32 v0, v0, v42
	v_add_f32_e32 v1, v1, v21
	v_add_f32_e32 v16, v16, v45
	s_delay_alu instid0(VALU_DEP_4)
	v_add_f32_e32 v8, v8, v48
	v_add_f32_e32 v10, v10, v44
	v_fmac_f32_e32 v41, v77, v80
	v_dual_add_f32 v17, v17, v89 :: v_dual_add_f32 v0, v0, v50
	v_dual_add_f32 v11, v11, v24 :: v_dual_add_f32 v16, v16, v49
	v_add_f32_e32 v9, v9, v26
	v_dual_add_f32 v1, v1, v25 :: v_dual_add_f32 v10, v10, v52
	s_delay_alu instid0(VALU_DEP_4) | instskip(NEXT) | instid1(VALU_DEP_4)
	v_dual_add_f32 v17, v17, v86 :: v_dual_add_f32 v0, v0, v53
	v_dual_add_f32 v16, v16, v51 :: v_dual_add_f32 v11, v11, v30
	s_delay_alu instid0(VALU_DEP_4) | instskip(NEXT) | instid1(VALU_DEP_4)
	v_dual_add_f32 v9, v9, v31 :: v_dual_add_f32 v8, v8, v54
	v_dual_add_f32 v1, v1, v47 :: v_dual_add_f32 v10, v10, v56
	s_delay_alu instid0(VALU_DEP_4) | instskip(NEXT) | instid1(VALU_DEP_3)
	v_add_f32_e32 v17, v17, v88
	v_dual_add_f32 v9, v9, v46 :: v_dual_add_f32 v0, v0, v60
	s_delay_alu instid0(VALU_DEP_3) | instskip(SKIP_2) | instid1(VALU_DEP_3)
	v_dual_add_f32 v1, v1, v33 :: v_dual_add_f32 v10, v10, v62
	v_dual_add_f32 v16, v16, v61 :: v_dual_add_f32 v11, v11, v32
	v_fma_f32 v72, v40, v78, -v72
	v_dual_add_f32 v1, v1, v59 :: v_dual_add_f32 v10, v10, v66
	v_dual_add_f32 v8, v8, v58 :: v_dual_add_f32 v17, v17, v55
	v_add_f32_e32 v0, v0, v64
	v_dual_add_f32 v16, v16, v63 :: v_dual_add_f32 v11, v11, v34
	s_delay_alu instid0(VALU_DEP_3) | instskip(SKIP_2) | instid1(VALU_DEP_4)
	v_add_f32_e32 v8, v8, v67
	v_add_f32_e32 v9, v9, v35
	v_mul_f32_e32 v68, v77, v79
	v_add_f32_e32 v16, v16, v72
	v_fma_f32 v71, v76, v80, -v71
	v_dual_add_f32 v17, v17, v87 :: v_dual_add_f32 v8, v8, v70
	v_add_f32_e32 v11, v11, v36
	s_delay_alu instid0(VALU_DEP_3)
	v_dual_add_f32 v9, v9, v57 :: v_dual_add_f32 v0, v0, v71
	v_add_f32_e32 v1, v1, v37
	v_fma_f32 v40, v40, v80, -v90
	v_fma_f32 v68, v76, v78, -v68
	v_add_f32_e32 v17, v17, v65
	v_add_f32_e32 v11, v11, v38
	;; [unrolled: 1-line block ×4, first 2 shown]
	s_delay_alu instid0(VALU_DEP_4) | instskip(NEXT) | instid1(VALU_DEP_4)
	v_add_f32_e32 v17, v17, v73
	v_add_f32_e32 v11, v11, v40
	s_delay_alu instid0(VALU_DEP_4) | instskip(NEXT) | instid1(VALU_DEP_4)
	v_add_f32_e32 v9, v9, v68
	v_add_f32_e32 v1, v1, v41
	s_cbranch_vccz .LBB1699_2
.LBB1699_3:
	v_add_nc_u32_e32 v7, s19, v7
	s_load_b32 s4, s[0:1], 0x0
	s_delay_alu instid0(VALU_DEP_1) | instskip(SKIP_2) | instid1(VALU_DEP_3)
	v_ashrrev_i32_e32 v2, 31, v7
	v_mul_lo_u32 v5, v7, s7
	v_mad_u64_u32 v[3:4], null, v7, s6, 0
	v_mul_lo_u32 v2, v2, s6
	s_delay_alu instid0(VALU_DEP_1) | instskip(SKIP_3) | instid1(VALU_DEP_3)
	v_add3_u32 v4, v4, v5, v2
	v_add_nc_u32_e32 v2, s18, v6
	s_waitcnt lgkmcnt(0)
	v_cmp_gt_i32_e32 vcc_lo, s4, v7
	v_lshlrev_b64 v[3:4], 3, v[3:4]
	s_delay_alu instid0(VALU_DEP_3) | instskip(NEXT) | instid1(VALU_DEP_1)
	v_cmp_le_i32_e64 s0, v2, v7
	s_and_b32 s0, vcc_lo, s0
	s_delay_alu instid0(VALU_DEP_2) | instskip(NEXT) | instid1(VALU_DEP_1)
	v_add_co_u32 v6, s1, s2, v3
	v_add_co_ci_u32_e64 v12, s1, s3, v4, s1
	s_and_saveexec_b32 s1, s0
	s_cbranch_execz .LBB1699_6
; %bb.4:
	v_ashrrev_i32_e32 v3, 31, v2
	s_delay_alu instid0(VALU_DEP_1) | instskip(NEXT) | instid1(VALU_DEP_1)
	v_lshlrev_b64 v[3:4], 3, v[2:3]
	v_add_co_u32 v3, s0, v6, v3
	s_delay_alu instid0(VALU_DEP_1)
	v_add_co_ci_u32_e64 v4, s0, v12, v4, s0
	v_cmp_eq_u32_e64 s0, v7, v2
	global_load_b64 v[13:14], v[3:4], off
	s_waitcnt vmcnt(0)
	v_dual_add_f32 v13, v16, v13 :: v_dual_add_f32 v14, v17, v14
	global_store_b64 v[3:4], v[13:14], off
	s_and_b32 exec_lo, exec_lo, s0
	s_cbranch_execz .LBB1699_6
; %bb.5:
	v_mov_b32_e32 v5, 0
	global_store_b32 v[3:4], v5, off offset:4
.LBB1699_6:
	s_or_b32 exec_lo, exec_lo, s1
	v_add_nc_u32_e32 v4, 16, v2
	s_delay_alu instid0(VALU_DEP_1) | instskip(NEXT) | instid1(VALU_DEP_1)
	v_cmp_le_i32_e64 s0, v4, v7
	s_and_b32 s1, vcc_lo, s0
	s_delay_alu instid0(SALU_CYCLE_1)
	s_and_saveexec_b32 s0, s1
	s_cbranch_execz .LBB1699_9
; %bb.7:
	v_ashrrev_i32_e32 v5, 31, v4
	s_delay_alu instid0(VALU_DEP_1) | instskip(NEXT) | instid1(VALU_DEP_1)
	v_lshlrev_b64 v[13:14], 3, v[4:5]
	v_add_co_u32 v5, vcc_lo, v6, v13
	s_delay_alu instid0(VALU_DEP_2)
	v_add_co_ci_u32_e32 v6, vcc_lo, v12, v14, vcc_lo
	v_cmp_eq_u32_e32 vcc_lo, v7, v4
	global_load_b64 v[12:13], v[5:6], off
	s_waitcnt vmcnt(0)
	v_dual_add_f32 v11, v11, v12 :: v_dual_add_f32 v12, v10, v13
	global_store_b64 v[5:6], v[11:12], off
	s_and_b32 exec_lo, exec_lo, vcc_lo
	s_cbranch_execz .LBB1699_9
; %bb.8:
	v_mov_b32_e32 v3, 0
	global_store_b32 v[5:6], v3, off offset:4
.LBB1699_9:
	s_or_b32 exec_lo, exec_lo, s0
	v_add_nc_u32_e32 v10, 16, v7
	s_delay_alu instid0(VALU_DEP_1) | instskip(SKIP_3) | instid1(VALU_DEP_4)
	v_ashrrev_i32_e32 v3, 31, v10
	v_mul_lo_u32 v11, v10, s7
	v_mad_u64_u32 v[5:6], null, v10, s6, 0
	v_cmp_gt_i32_e32 vcc_lo, s4, v10
	v_mul_lo_u32 v3, v3, s6
	v_cmp_le_i32_e64 s0, v2, v10
	s_delay_alu instid0(VALU_DEP_1) | instskip(NEXT) | instid1(VALU_DEP_2)
	s_and_b32 s0, vcc_lo, s0
	v_add3_u32 v6, v6, v11, v3
	s_delay_alu instid0(VALU_DEP_1) | instskip(NEXT) | instid1(VALU_DEP_1)
	v_lshlrev_b64 v[5:6], 3, v[5:6]
	v_add_co_u32 v11, s1, s2, v5
	s_delay_alu instid0(VALU_DEP_1)
	v_add_co_ci_u32_e64 v12, s1, s3, v6, s1
	s_and_saveexec_b32 s1, s0
	s_cbranch_execz .LBB1699_12
; %bb.10:
	v_ashrrev_i32_e32 v3, 31, v2
	s_delay_alu instid0(VALU_DEP_1) | instskip(NEXT) | instid1(VALU_DEP_1)
	v_lshlrev_b64 v[5:6], 3, v[2:3]
	v_add_co_u32 v5, s0, v11, v5
	s_delay_alu instid0(VALU_DEP_1)
	v_add_co_ci_u32_e64 v6, s0, v12, v6, s0
	v_cmp_eq_u32_e64 s0, v10, v2
	global_load_b64 v[13:14], v[5:6], off
	s_waitcnt vmcnt(0)
	v_dual_add_f32 v13, v9, v13 :: v_dual_add_f32 v14, v8, v14
	global_store_b64 v[5:6], v[13:14], off
	s_and_b32 exec_lo, exec_lo, s0
	s_cbranch_execz .LBB1699_12
; %bb.11:
	v_mov_b32_e32 v3, 0
	global_store_b32 v[5:6], v3, off offset:4
.LBB1699_12:
	s_or_b32 exec_lo, exec_lo, s1
	v_cmp_le_i32_e64 s0, v4, v10
	s_delay_alu instid0(VALU_DEP_1) | instskip(NEXT) | instid1(SALU_CYCLE_1)
	s_and_b32 s0, vcc_lo, s0
	s_and_saveexec_b32 s1, s0
	s_cbranch_execz .LBB1699_15
; %bb.13:
	v_ashrrev_i32_e32 v5, 31, v4
	s_delay_alu instid0(VALU_DEP_1) | instskip(NEXT) | instid1(VALU_DEP_1)
	v_lshlrev_b64 v[3:4], 3, v[4:5]
	v_add_co_u32 v3, vcc_lo, v11, v3
	s_delay_alu instid0(VALU_DEP_2)
	v_add_co_ci_u32_e32 v4, vcc_lo, v12, v4, vcc_lo
	v_cmp_eq_u32_e32 vcc_lo, v7, v2
	global_load_b64 v[5:6], v[3:4], off
	s_waitcnt vmcnt(0)
	v_dual_add_f32 v0, v0, v5 :: v_dual_add_f32 v1, v1, v6
	global_store_b64 v[3:4], v[0:1], off
	s_and_b32 exec_lo, exec_lo, vcc_lo
	s_cbranch_execz .LBB1699_15
; %bb.14:
	v_mov_b32_e32 v0, 0
	global_store_b32 v[3:4], v0, off offset:4
.LBB1699_15:
	s_nop 0
	s_sendmsg sendmsg(MSG_DEALLOC_VGPRS)
	s_endpgm
	.section	.rodata,"a",@progbits
	.p2align	6, 0x0
	.amdhsa_kernel _ZL37rocblas_syrkx_herkx_restricted_kernelIl19rocblas_complex_numIfELi16ELi32ELi8ELi1ELi1ELb1ELc84ELc85EKPKS1_KPS1_EviT_PT9_S7_lS9_S7_lPT10_S7_li
		.amdhsa_group_segment_fixed_size 4096
		.amdhsa_private_segment_fixed_size 0
		.amdhsa_kernarg_size 92
		.amdhsa_user_sgpr_count 13
		.amdhsa_user_sgpr_dispatch_ptr 0
		.amdhsa_user_sgpr_queue_ptr 0
		.amdhsa_user_sgpr_kernarg_segment_ptr 1
		.amdhsa_user_sgpr_dispatch_id 0
		.amdhsa_user_sgpr_private_segment_size 0
		.amdhsa_wavefront_size32 1
		.amdhsa_uses_dynamic_stack 0
		.amdhsa_enable_private_segment 0
		.amdhsa_system_sgpr_workgroup_id_x 1
		.amdhsa_system_sgpr_workgroup_id_y 1
		.amdhsa_system_sgpr_workgroup_id_z 1
		.amdhsa_system_sgpr_workgroup_info 0
		.amdhsa_system_vgpr_workitem_id 1
		.amdhsa_next_free_vgpr 91
		.amdhsa_next_free_sgpr 20
		.amdhsa_reserve_vcc 1
		.amdhsa_float_round_mode_32 0
		.amdhsa_float_round_mode_16_64 0
		.amdhsa_float_denorm_mode_32 3
		.amdhsa_float_denorm_mode_16_64 3
		.amdhsa_dx10_clamp 1
		.amdhsa_ieee_mode 1
		.amdhsa_fp16_overflow 0
		.amdhsa_workgroup_processor_mode 1
		.amdhsa_memory_ordered 1
		.amdhsa_forward_progress 0
		.amdhsa_shared_vgpr_count 0
		.amdhsa_exception_fp_ieee_invalid_op 0
		.amdhsa_exception_fp_denorm_src 0
		.amdhsa_exception_fp_ieee_div_zero 0
		.amdhsa_exception_fp_ieee_overflow 0
		.amdhsa_exception_fp_ieee_underflow 0
		.amdhsa_exception_fp_ieee_inexact 0
		.amdhsa_exception_int_div_zero 0
	.end_amdhsa_kernel
	.section	.text._ZL37rocblas_syrkx_herkx_restricted_kernelIl19rocblas_complex_numIfELi16ELi32ELi8ELi1ELi1ELb1ELc84ELc85EKPKS1_KPS1_EviT_PT9_S7_lS9_S7_lPT10_S7_li,"axG",@progbits,_ZL37rocblas_syrkx_herkx_restricted_kernelIl19rocblas_complex_numIfELi16ELi32ELi8ELi1ELi1ELb1ELc84ELc85EKPKS1_KPS1_EviT_PT9_S7_lS9_S7_lPT10_S7_li,comdat
.Lfunc_end1699:
	.size	_ZL37rocblas_syrkx_herkx_restricted_kernelIl19rocblas_complex_numIfELi16ELi32ELi8ELi1ELi1ELb1ELc84ELc85EKPKS1_KPS1_EviT_PT9_S7_lS9_S7_lPT10_S7_li, .Lfunc_end1699-_ZL37rocblas_syrkx_herkx_restricted_kernelIl19rocblas_complex_numIfELi16ELi32ELi8ELi1ELi1ELb1ELc84ELc85EKPKS1_KPS1_EviT_PT9_S7_lS9_S7_lPT10_S7_li
                                        ; -- End function
	.section	.AMDGPU.csdata,"",@progbits
; Kernel info:
; codeLenInByte = 2308
; NumSgprs: 22
; NumVgprs: 91
; ScratchSize: 0
; MemoryBound: 0
; FloatMode: 240
; IeeeMode: 1
; LDSByteSize: 4096 bytes/workgroup (compile time only)
; SGPRBlocks: 2
; VGPRBlocks: 11
; NumSGPRsForWavesPerEU: 22
; NumVGPRsForWavesPerEU: 91
; Occupancy: 16
; WaveLimiterHint : 1
; COMPUTE_PGM_RSRC2:SCRATCH_EN: 0
; COMPUTE_PGM_RSRC2:USER_SGPR: 13
; COMPUTE_PGM_RSRC2:TRAP_HANDLER: 0
; COMPUTE_PGM_RSRC2:TGID_X_EN: 1
; COMPUTE_PGM_RSRC2:TGID_Y_EN: 1
; COMPUTE_PGM_RSRC2:TGID_Z_EN: 1
; COMPUTE_PGM_RSRC2:TIDIG_COMP_CNT: 1
	.section	.text._ZL37rocblas_syrkx_herkx_restricted_kernelIl19rocblas_complex_numIfELi16ELi32ELi8ELi1ELi1ELb1ELc67ELc85EKPKS1_KPS1_EviT_PT9_S7_lS9_S7_lPT10_S7_li,"axG",@progbits,_ZL37rocblas_syrkx_herkx_restricted_kernelIl19rocblas_complex_numIfELi16ELi32ELi8ELi1ELi1ELb1ELc67ELc85EKPKS1_KPS1_EviT_PT9_S7_lS9_S7_lPT10_S7_li,comdat
	.globl	_ZL37rocblas_syrkx_herkx_restricted_kernelIl19rocblas_complex_numIfELi16ELi32ELi8ELi1ELi1ELb1ELc67ELc85EKPKS1_KPS1_EviT_PT9_S7_lS9_S7_lPT10_S7_li ; -- Begin function _ZL37rocblas_syrkx_herkx_restricted_kernelIl19rocblas_complex_numIfELi16ELi32ELi8ELi1ELi1ELb1ELc67ELc85EKPKS1_KPS1_EviT_PT9_S7_lS9_S7_lPT10_S7_li
	.p2align	8
	.type	_ZL37rocblas_syrkx_herkx_restricted_kernelIl19rocblas_complex_numIfELi16ELi32ELi8ELi1ELi1ELb1ELc67ELc85EKPKS1_KPS1_EviT_PT9_S7_lS9_S7_lPT10_S7_li,@function
_ZL37rocblas_syrkx_herkx_restricted_kernelIl19rocblas_complex_numIfELi16ELi32ELi8ELi1ELi1ELb1ELc67ELc85EKPKS1_KPS1_EviT_PT9_S7_lS9_S7_lPT10_S7_li: ; @_ZL37rocblas_syrkx_herkx_restricted_kernelIl19rocblas_complex_numIfELi16ELi32ELi8ELi1ELi1ELb1ELc67ELc85EKPKS1_KPS1_EviT_PT9_S7_lS9_S7_lPT10_S7_li
; %bb.0:
	s_clause 0x1
	s_load_b128 s[4:7], s[0:1], 0x40
	s_load_b128 s[8:11], s[0:1], 0x8
	s_mov_b32 s2, s15
	s_mov_b32 s3, 0
	v_dual_mov_b32 v17, 0 :: v_dual_and_b32 v6, 0x3ff, v0
	s_lshl_b64 s[16:17], s[2:3], 3
	v_bfe_u32 v7, v0, 10, 10
	v_dual_mov_b32 v16, 0 :: v_dual_mov_b32 v11, 0
	v_dual_mov_b32 v10, 0 :: v_dual_mov_b32 v9, 0
	v_dual_mov_b32 v8, 0 :: v_dual_mov_b32 v1, 0
	v_mov_b32_e32 v0, 0
	s_waitcnt lgkmcnt(0)
	s_add_u32 s2, s4, s16
	s_addc_u32 s3, s5, s17
	v_cmp_lt_i64_e64 s4, s[8:9], 1
	s_load_b64 s[2:3], s[2:3], 0x0
	s_lshl_b32 s18, s13, 5
	s_lshl_b32 s19, s14, 5
	s_delay_alu instid0(VALU_DEP_1)
	s_and_b32 vcc_lo, exec_lo, s4
	s_cbranch_vccnz .LBB1700_3
; %bb.1:
	s_clause 0x1
	s_load_b128 s[12:15], s[0:1], 0x28
	s_load_b64 s[4:5], s[0:1], 0x18
	v_lshl_add_u32 v2, v7, 4, v6
	v_dual_mov_b32 v1, 0 :: v_dual_and_b32 v0, 7, v6
	s_add_u32 s10, s10, s16
	s_addc_u32 s11, s11, s17
	s_delay_alu instid0(VALU_DEP_2)
	v_lshrrev_b32_e32 v10, 3, v2
	v_and_b32_e32 v11, 31, v2
	v_lshrrev_b32_e32 v2, 5, v2
	v_mov_b32_e32 v3, v1
	s_load_b64 s[10:11], s[10:11], 0x0
	v_add_nc_u32_e32 v12, s19, v10
	v_add_nc_u32_e32 v8, s18, v11
	v_dual_mov_b32 v16, v1 :: v_dual_lshlrev_b32 v11, 3, v11
	v_mov_b32_e32 v17, v1
	s_delay_alu instid0(VALU_DEP_4) | instskip(NEXT) | instid1(VALU_DEP_4)
	v_ashrrev_i32_e32 v4, 31, v12
	v_ashrrev_i32_e32 v5, 31, v8
	s_waitcnt lgkmcnt(0)
	s_add_u32 s12, s12, s16
	s_addc_u32 s13, s13, s17
	v_mul_lo_u32 v13, v4, s14
	v_mul_lo_u32 v14, s4, v5
	v_mad_u64_u32 v[4:5], null, s4, v8, v[2:3]
	v_mul_lo_u32 v3, s5, v8
	s_load_b64 s[4:5], s[12:13], 0x0
	v_mul_lo_u32 v15, v12, s15
	v_mad_u64_u32 v[8:9], null, v12, s14, v[0:1]
	v_lshlrev_b32_e32 v0, 3, v0
	v_lshlrev_b32_e32 v12, 3, v6
	v_add3_u32 v5, v3, v5, v14
	v_lshl_or_b32 v14, v2, 8, v11
	v_mov_b32_e32 v11, v1
	v_add3_u32 v9, v13, v9, v15
	v_lshl_or_b32 v0, v10, 6, v0
	v_lshlrev_b64 v[3:4], 3, v[4:5]
	v_lshl_add_u32 v13, v7, 6, 0x800
	v_mov_b32_e32 v10, v1
	v_lshlrev_b64 v[8:9], 3, v[8:9]
	v_add_nc_u32_e32 v15, 0x800, v0
	v_add_co_u32 v0, vcc_lo, v3, s10
	v_add_co_ci_u32_e32 v3, vcc_lo, s11, v4, vcc_lo
	s_waitcnt lgkmcnt(0)
	s_delay_alu instid0(VALU_DEP_4) | instskip(SKIP_3) | instid1(VALU_DEP_4)
	v_add_co_u32 v4, vcc_lo, v8, s4
	v_add_co_ci_u32_e32 v5, vcc_lo, s5, v9, vcc_lo
	v_add_co_u32 v2, vcc_lo, v0, 4
	v_add_co_ci_u32_e32 v3, vcc_lo, 0, v3, vcc_lo
	v_add_co_u32 v4, vcc_lo, v4, 4
	s_delay_alu instid0(VALU_DEP_4)
	v_add_co_ci_u32_e32 v5, vcc_lo, 0, v5, vcc_lo
	v_mov_b32_e32 v0, v1
	v_mov_b32_e32 v8, v1
	v_mov_b32_e32 v9, v1
	s_mov_b64 s[4:5], 0
.LBB1700_2:                             ; =>This Inner Loop Header: Depth=1
	global_load_b64 v[18:19], v[2:3], off offset:-4
	global_load_b64 v[20:21], v[4:5], off offset:-4
	s_add_u32 s4, s4, 8
	v_add_co_u32 v2, vcc_lo, v2, 64
	s_addc_u32 s5, s5, 0
	v_add_co_ci_u32_e32 v3, vcc_lo, 0, v3, vcc_lo
	v_cmp_ge_u64_e64 s10, s[4:5], s[8:9]
	v_add_co_u32 v4, vcc_lo, v4, 64
	v_add_co_ci_u32_e32 v5, vcc_lo, 0, v5, vcc_lo
	s_delay_alu instid0(VALU_DEP_3)
	s_and_b32 vcc_lo, exec_lo, s10
	s_waitcnt vmcnt(1)
	v_xor_b32_e32 v19, 0x80000000, v19
	ds_store_b64 v14, v[18:19]
	s_waitcnt vmcnt(0)
	ds_store_b64 v15, v[20:21]
	s_waitcnt lgkmcnt(0)
	s_barrier
	buffer_gl0_inv
	ds_load_2addr_b64 v[18:21], v12 offset1:16
	ds_load_b128 v[22:25], v13
	ds_load_b128 v[26:29], v13 offset:1024
	ds_load_b128 v[30:33], v13 offset:16
	;; [unrolled: 1-line block ×4, first 2 shown]
	ds_load_2addr_b64 v[42:45], v12 offset0:32 offset1:48
	ds_load_2addr_b64 v[46:49], v12 offset0:64 offset1:80
	ds_load_b128 v[50:53], v13 offset:1040
	ds_load_2addr_b64 v[54:57], v12 offset0:96 offset1:112
	ds_load_2addr_b64 v[58:61], v12 offset0:128 offset1:144
	ds_load_2addr_b64 v[62:65], v12 offset0:160 offset1:176
	ds_load_2addr_b64 v[66:69], v12 offset0:192 offset1:208
	ds_load_b128 v[70:73], v13 offset:1056
	ds_load_b128 v[74:77], v13 offset:1072
	ds_load_2addr_b64 v[78:81], v12 offset0:224 offset1:240
	s_waitcnt lgkmcnt(0)
	s_barrier
	buffer_gl0_inv
	v_dual_mul_f32 v82, v23, v19 :: v_dual_mul_f32 v85, v22, v21
	v_dual_mul_f32 v83, v22, v19 :: v_dual_mul_f32 v84, v23, v21
	v_mul_f32_e32 v86, v27, v19
	v_dual_mul_f32 v19, v26, v19 :: v_dual_mul_f32 v90, v25, v45
	v_dual_mul_f32 v87, v27, v21 :: v_dual_mul_f32 v88, v25, v43
	v_mul_f32_e32 v21, v26, v21
	v_fma_f32 v82, v22, v18, -v82
	v_fmac_f32_e32 v83, v23, v18
	v_fma_f32 v22, v22, v20, -v84
	v_fmac_f32_e32 v85, v23, v20
	v_fma_f32 v23, v26, v18, -v86
	v_dual_fmac_f32 v19, v27, v18 :: v_dual_mul_f32 v86, v30, v47
	v_fma_f32 v18, v26, v20, -v87
	v_dual_fmac_f32 v21, v27, v20 :: v_dual_mul_f32 v20, v24, v45
	v_mul_f32_e32 v89, v24, v43
	v_mul_f32_e32 v26, v29, v43
	;; [unrolled: 1-line block ×4, first 2 shown]
	v_fmac_f32_e32 v20, v25, v44
	v_fmac_f32_e32 v89, v25, v42
	v_dual_mul_f32 v25, v28, v45 :: v_dual_fmac_f32 v86, v31, v46
	v_fma_f32 v84, v24, v42, -v88
	v_fma_f32 v24, v24, v44, -v90
	v_dual_mul_f32 v45, v31, v47 :: v_dual_mul_f32 v90, v33, v57
	v_fma_f32 v26, v28, v42, -v26
	v_fma_f32 v28, v28, v44, -v43
	v_fmac_f32_e32 v25, v29, v44
	v_dual_mul_f32 v43, v50, v47 :: v_dual_mul_f32 v44, v51, v49
	v_dual_fmac_f32 v27, v29, v42 :: v_dual_mul_f32 v42, v51, v47
	v_dual_mul_f32 v88, v32, v55 :: v_dual_mul_f32 v29, v30, v49
	v_mul_f32_e32 v87, v31, v49
	v_fma_f32 v45, v30, v46, -v45
	v_add_f32_e32 v10, v10, v85
	s_delay_alu instid0(VALU_DEP_4)
	v_dual_fmac_f32 v88, v33, v54 :: v_dual_fmac_f32 v29, v31, v48
	v_fma_f32 v31, v50, v46, -v42
	v_fma_f32 v42, v50, v48, -v44
	v_mul_f32_e32 v44, v32, v57
	v_mul_f32_e32 v47, v50, v49
	v_dual_mul_f32 v50, v53, v57 :: v_dual_fmac_f32 v43, v51, v46
	v_mul_f32_e32 v46, v53, v55
	v_mul_f32_e32 v49, v33, v55
	v_fma_f32 v30, v30, v48, -v87
	v_fmac_f32_e32 v44, v33, v56
	v_dual_fmac_f32 v47, v51, v48 :: v_dual_mul_f32 v48, v52, v55
	v_mul_f32_e32 v33, v52, v57
	v_fma_f32 v46, v52, v54, -v46
	v_fma_f32 v50, v52, v56, -v50
	v_mul_f32_e32 v52, v34, v61
	v_fma_f32 v49, v32, v54, -v49
	v_fma_f32 v32, v32, v56, -v90
	v_dual_mul_f32 v51, v35, v59 :: v_dual_fmac_f32 v48, v53, v54
	v_mul_f32_e32 v54, v70, v59
	v_dual_mul_f32 v55, v34, v59 :: v_dual_fmac_f32 v52, v35, v60
	v_fmac_f32_e32 v33, v53, v56
	v_mul_f32_e32 v53, v71, v59
	v_mul_f32_e32 v56, v71, v61
	;; [unrolled: 1-line block ×3, first 2 shown]
	v_fmac_f32_e32 v54, v71, v58
	v_fmac_f32_e32 v55, v35, v58
	v_fma_f32 v35, v70, v58, -v53
	v_fma_f32 v53, v70, v60, -v56
	v_mul_f32_e32 v56, v36, v65
	v_mul_f32_e32 v59, v70, v61
	v_fma_f32 v51, v34, v58, -v51
	v_mul_f32_e32 v58, v72, v63
	v_mul_f32_e32 v87, v36, v63
	;; [unrolled: 1-line block ×4, first 2 shown]
	v_fma_f32 v34, v34, v60, -v57
	v_mul_f32_e32 v57, v73, v63
	v_fmac_f32_e32 v56, v37, v64
	v_dual_fmac_f32 v59, v71, v60 :: v_dual_mul_f32 v60, v73, v65
	v_mul_f32_e32 v63, v39, v67
	v_mul_f32_e32 v70, v39, v69
	v_fmac_f32_e32 v58, v73, v62
	v_fmac_f32_e32 v87, v37, v62
	v_mul_f32_e32 v37, v72, v65
	v_fma_f32 v61, v36, v62, -v61
	v_fma_f32 v36, v36, v64, -v90
	v_mul_f32_e32 v65, v38, v67
	v_fma_f32 v57, v72, v62, -v57
	v_fma_f32 v60, v72, v64, -v60
	v_dual_fmac_f32 v37, v73, v64 :: v_dual_mul_f32 v62, v38, v69
	v_mul_f32_e32 v64, v75, v67
	v_mul_f32_e32 v73, v40, v79
	v_fma_f32 v63, v38, v66, -v63
	v_fma_f32 v38, v38, v68, -v70
	v_mul_f32_e32 v70, v76, v79
	v_mul_f32_e32 v67, v74, v67
	v_dual_mul_f32 v71, v75, v69 :: v_dual_add_f32 v16, v16, v82
	v_dual_mul_f32 v69, v74, v69 :: v_dual_add_f32 v8, v8, v19
	v_fmac_f32_e32 v65, v39, v66
	v_fmac_f32_e32 v62, v39, v68
	s_delay_alu instid0(VALU_DEP_4)
	v_add_f32_e32 v16, v16, v84
	v_fma_f32 v39, v74, v66, -v64
	v_fmac_f32_e32 v70, v77, v78
	v_dual_fmac_f32 v67, v75, v66 :: v_dual_add_f32 v10, v10, v20
	v_mul_f32_e32 v66, v40, v81
	v_mul_f32_e32 v72, v41, v79
	;; [unrolled: 1-line block ×3, first 2 shown]
	v_fma_f32 v64, v74, v68, -v71
	v_dual_fmac_f32 v69, v75, v68 :: v_dual_add_f32 v0, v0, v18
	v_dual_mul_f32 v71, v77, v81 :: v_dual_add_f32 v8, v8, v27
	v_fmac_f32_e32 v73, v41, v78
	v_fmac_f32_e32 v66, v41, v80
	s_delay_alu instid0(VALU_DEP_4) | instskip(SKIP_3) | instid1(VALU_DEP_4)
	v_dual_add_f32 v0, v0, v28 :: v_dual_add_f32 v17, v17, v83
	v_add_f32_e32 v10, v10, v29
	v_mul_f32_e32 v41, v76, v81
	v_dual_add_f32 v11, v11, v22 :: v_dual_add_f32 v8, v8, v43
	v_dual_add_f32 v9, v9, v23 :: v_dual_add_f32 v0, v0, v42
	v_add_f32_e32 v1, v1, v21
	v_add_f32_e32 v16, v16, v45
	s_delay_alu instid0(VALU_DEP_4)
	v_add_f32_e32 v8, v8, v48
	v_add_f32_e32 v10, v10, v44
	v_fmac_f32_e32 v41, v77, v80
	v_dual_add_f32 v17, v17, v89 :: v_dual_add_f32 v0, v0, v50
	v_dual_add_f32 v11, v11, v24 :: v_dual_add_f32 v16, v16, v49
	v_add_f32_e32 v9, v9, v26
	v_dual_add_f32 v1, v1, v25 :: v_dual_add_f32 v10, v10, v52
	s_delay_alu instid0(VALU_DEP_4) | instskip(NEXT) | instid1(VALU_DEP_4)
	v_dual_add_f32 v17, v17, v86 :: v_dual_add_f32 v0, v0, v53
	v_dual_add_f32 v16, v16, v51 :: v_dual_add_f32 v11, v11, v30
	s_delay_alu instid0(VALU_DEP_4) | instskip(NEXT) | instid1(VALU_DEP_4)
	v_dual_add_f32 v9, v9, v31 :: v_dual_add_f32 v8, v8, v54
	v_dual_add_f32 v1, v1, v47 :: v_dual_add_f32 v10, v10, v56
	s_delay_alu instid0(VALU_DEP_4) | instskip(NEXT) | instid1(VALU_DEP_3)
	v_add_f32_e32 v17, v17, v88
	v_dual_add_f32 v9, v9, v46 :: v_dual_add_f32 v0, v0, v60
	s_delay_alu instid0(VALU_DEP_3) | instskip(SKIP_2) | instid1(VALU_DEP_3)
	v_dual_add_f32 v1, v1, v33 :: v_dual_add_f32 v10, v10, v62
	v_dual_add_f32 v16, v16, v61 :: v_dual_add_f32 v11, v11, v32
	v_fma_f32 v72, v40, v78, -v72
	v_dual_add_f32 v1, v1, v59 :: v_dual_add_f32 v10, v10, v66
	v_dual_add_f32 v8, v8, v58 :: v_dual_add_f32 v17, v17, v55
	v_add_f32_e32 v0, v0, v64
	v_dual_add_f32 v16, v16, v63 :: v_dual_add_f32 v11, v11, v34
	s_delay_alu instid0(VALU_DEP_3) | instskip(SKIP_2) | instid1(VALU_DEP_4)
	v_add_f32_e32 v8, v8, v67
	v_add_f32_e32 v9, v9, v35
	v_mul_f32_e32 v68, v77, v79
	v_add_f32_e32 v16, v16, v72
	v_fma_f32 v71, v76, v80, -v71
	v_dual_add_f32 v17, v17, v87 :: v_dual_add_f32 v8, v8, v70
	v_add_f32_e32 v11, v11, v36
	s_delay_alu instid0(VALU_DEP_3)
	v_dual_add_f32 v9, v9, v57 :: v_dual_add_f32 v0, v0, v71
	v_add_f32_e32 v1, v1, v37
	v_fma_f32 v40, v40, v80, -v90
	v_fma_f32 v68, v76, v78, -v68
	v_add_f32_e32 v17, v17, v65
	v_add_f32_e32 v11, v11, v38
	;; [unrolled: 1-line block ×4, first 2 shown]
	s_delay_alu instid0(VALU_DEP_4) | instskip(NEXT) | instid1(VALU_DEP_4)
	v_add_f32_e32 v17, v17, v73
	v_add_f32_e32 v11, v11, v40
	s_delay_alu instid0(VALU_DEP_4) | instskip(NEXT) | instid1(VALU_DEP_4)
	v_add_f32_e32 v9, v9, v68
	v_add_f32_e32 v1, v1, v41
	s_cbranch_vccz .LBB1700_2
.LBB1700_3:
	v_add_nc_u32_e32 v7, s19, v7
	s_load_b32 s4, s[0:1], 0x0
	s_delay_alu instid0(VALU_DEP_1) | instskip(SKIP_2) | instid1(VALU_DEP_3)
	v_ashrrev_i32_e32 v2, 31, v7
	v_mul_lo_u32 v5, v7, s7
	v_mad_u64_u32 v[3:4], null, v7, s6, 0
	v_mul_lo_u32 v2, v2, s6
	s_delay_alu instid0(VALU_DEP_1) | instskip(SKIP_3) | instid1(VALU_DEP_3)
	v_add3_u32 v4, v4, v5, v2
	v_add_nc_u32_e32 v2, s18, v6
	s_waitcnt lgkmcnt(0)
	v_cmp_gt_i32_e32 vcc_lo, s4, v7
	v_lshlrev_b64 v[3:4], 3, v[3:4]
	s_delay_alu instid0(VALU_DEP_3) | instskip(NEXT) | instid1(VALU_DEP_1)
	v_cmp_le_i32_e64 s0, v2, v7
	s_and_b32 s0, vcc_lo, s0
	s_delay_alu instid0(VALU_DEP_2) | instskip(NEXT) | instid1(VALU_DEP_1)
	v_add_co_u32 v6, s1, s2, v3
	v_add_co_ci_u32_e64 v12, s1, s3, v4, s1
	s_and_saveexec_b32 s1, s0
	s_cbranch_execz .LBB1700_6
; %bb.4:
	v_ashrrev_i32_e32 v3, 31, v2
	s_delay_alu instid0(VALU_DEP_1) | instskip(NEXT) | instid1(VALU_DEP_1)
	v_lshlrev_b64 v[3:4], 3, v[2:3]
	v_add_co_u32 v3, s0, v6, v3
	s_delay_alu instid0(VALU_DEP_1)
	v_add_co_ci_u32_e64 v4, s0, v12, v4, s0
	v_cmp_eq_u32_e64 s0, v7, v2
	global_load_b64 v[13:14], v[3:4], off
	s_waitcnt vmcnt(0)
	v_dual_add_f32 v13, v16, v13 :: v_dual_add_f32 v14, v17, v14
	global_store_b64 v[3:4], v[13:14], off
	s_and_b32 exec_lo, exec_lo, s0
	s_cbranch_execz .LBB1700_6
; %bb.5:
	v_mov_b32_e32 v5, 0
	global_store_b32 v[3:4], v5, off offset:4
.LBB1700_6:
	s_or_b32 exec_lo, exec_lo, s1
	v_add_nc_u32_e32 v4, 16, v2
	s_delay_alu instid0(VALU_DEP_1) | instskip(NEXT) | instid1(VALU_DEP_1)
	v_cmp_le_i32_e64 s0, v4, v7
	s_and_b32 s1, vcc_lo, s0
	s_delay_alu instid0(SALU_CYCLE_1)
	s_and_saveexec_b32 s0, s1
	s_cbranch_execz .LBB1700_9
; %bb.7:
	v_ashrrev_i32_e32 v5, 31, v4
	s_delay_alu instid0(VALU_DEP_1) | instskip(NEXT) | instid1(VALU_DEP_1)
	v_lshlrev_b64 v[13:14], 3, v[4:5]
	v_add_co_u32 v5, vcc_lo, v6, v13
	s_delay_alu instid0(VALU_DEP_2)
	v_add_co_ci_u32_e32 v6, vcc_lo, v12, v14, vcc_lo
	v_cmp_eq_u32_e32 vcc_lo, v7, v4
	global_load_b64 v[12:13], v[5:6], off
	s_waitcnt vmcnt(0)
	v_dual_add_f32 v11, v11, v12 :: v_dual_add_f32 v12, v10, v13
	global_store_b64 v[5:6], v[11:12], off
	s_and_b32 exec_lo, exec_lo, vcc_lo
	s_cbranch_execz .LBB1700_9
; %bb.8:
	v_mov_b32_e32 v3, 0
	global_store_b32 v[5:6], v3, off offset:4
.LBB1700_9:
	s_or_b32 exec_lo, exec_lo, s0
	v_add_nc_u32_e32 v10, 16, v7
	s_delay_alu instid0(VALU_DEP_1) | instskip(SKIP_3) | instid1(VALU_DEP_4)
	v_ashrrev_i32_e32 v3, 31, v10
	v_mul_lo_u32 v11, v10, s7
	v_mad_u64_u32 v[5:6], null, v10, s6, 0
	v_cmp_gt_i32_e32 vcc_lo, s4, v10
	v_mul_lo_u32 v3, v3, s6
	v_cmp_le_i32_e64 s0, v2, v10
	s_delay_alu instid0(VALU_DEP_1) | instskip(NEXT) | instid1(VALU_DEP_2)
	s_and_b32 s0, vcc_lo, s0
	v_add3_u32 v6, v6, v11, v3
	s_delay_alu instid0(VALU_DEP_1) | instskip(NEXT) | instid1(VALU_DEP_1)
	v_lshlrev_b64 v[5:6], 3, v[5:6]
	v_add_co_u32 v11, s1, s2, v5
	s_delay_alu instid0(VALU_DEP_1)
	v_add_co_ci_u32_e64 v12, s1, s3, v6, s1
	s_and_saveexec_b32 s1, s0
	s_cbranch_execz .LBB1700_12
; %bb.10:
	v_ashrrev_i32_e32 v3, 31, v2
	s_delay_alu instid0(VALU_DEP_1) | instskip(NEXT) | instid1(VALU_DEP_1)
	v_lshlrev_b64 v[5:6], 3, v[2:3]
	v_add_co_u32 v5, s0, v11, v5
	s_delay_alu instid0(VALU_DEP_1)
	v_add_co_ci_u32_e64 v6, s0, v12, v6, s0
	v_cmp_eq_u32_e64 s0, v10, v2
	global_load_b64 v[13:14], v[5:6], off
	s_waitcnt vmcnt(0)
	v_dual_add_f32 v13, v9, v13 :: v_dual_add_f32 v14, v8, v14
	global_store_b64 v[5:6], v[13:14], off
	s_and_b32 exec_lo, exec_lo, s0
	s_cbranch_execz .LBB1700_12
; %bb.11:
	v_mov_b32_e32 v3, 0
	global_store_b32 v[5:6], v3, off offset:4
.LBB1700_12:
	s_or_b32 exec_lo, exec_lo, s1
	v_cmp_le_i32_e64 s0, v4, v10
	s_delay_alu instid0(VALU_DEP_1) | instskip(NEXT) | instid1(SALU_CYCLE_1)
	s_and_b32 s0, vcc_lo, s0
	s_and_saveexec_b32 s1, s0
	s_cbranch_execz .LBB1700_15
; %bb.13:
	v_ashrrev_i32_e32 v5, 31, v4
	s_delay_alu instid0(VALU_DEP_1) | instskip(NEXT) | instid1(VALU_DEP_1)
	v_lshlrev_b64 v[3:4], 3, v[4:5]
	v_add_co_u32 v3, vcc_lo, v11, v3
	s_delay_alu instid0(VALU_DEP_2)
	v_add_co_ci_u32_e32 v4, vcc_lo, v12, v4, vcc_lo
	v_cmp_eq_u32_e32 vcc_lo, v7, v2
	global_load_b64 v[5:6], v[3:4], off
	s_waitcnt vmcnt(0)
	v_dual_add_f32 v0, v0, v5 :: v_dual_add_f32 v1, v1, v6
	global_store_b64 v[3:4], v[0:1], off
	s_and_b32 exec_lo, exec_lo, vcc_lo
	s_cbranch_execz .LBB1700_15
; %bb.14:
	v_mov_b32_e32 v0, 0
	global_store_b32 v[3:4], v0, off offset:4
.LBB1700_15:
	s_nop 0
	s_sendmsg sendmsg(MSG_DEALLOC_VGPRS)
	s_endpgm
	.section	.rodata,"a",@progbits
	.p2align	6, 0x0
	.amdhsa_kernel _ZL37rocblas_syrkx_herkx_restricted_kernelIl19rocblas_complex_numIfELi16ELi32ELi8ELi1ELi1ELb1ELc67ELc85EKPKS1_KPS1_EviT_PT9_S7_lS9_S7_lPT10_S7_li
		.amdhsa_group_segment_fixed_size 4096
		.amdhsa_private_segment_fixed_size 0
		.amdhsa_kernarg_size 92
		.amdhsa_user_sgpr_count 13
		.amdhsa_user_sgpr_dispatch_ptr 0
		.amdhsa_user_sgpr_queue_ptr 0
		.amdhsa_user_sgpr_kernarg_segment_ptr 1
		.amdhsa_user_sgpr_dispatch_id 0
		.amdhsa_user_sgpr_private_segment_size 0
		.amdhsa_wavefront_size32 1
		.amdhsa_uses_dynamic_stack 0
		.amdhsa_enable_private_segment 0
		.amdhsa_system_sgpr_workgroup_id_x 1
		.amdhsa_system_sgpr_workgroup_id_y 1
		.amdhsa_system_sgpr_workgroup_id_z 1
		.amdhsa_system_sgpr_workgroup_info 0
		.amdhsa_system_vgpr_workitem_id 1
		.amdhsa_next_free_vgpr 91
		.amdhsa_next_free_sgpr 20
		.amdhsa_reserve_vcc 1
		.amdhsa_float_round_mode_32 0
		.amdhsa_float_round_mode_16_64 0
		.amdhsa_float_denorm_mode_32 3
		.amdhsa_float_denorm_mode_16_64 3
		.amdhsa_dx10_clamp 1
		.amdhsa_ieee_mode 1
		.amdhsa_fp16_overflow 0
		.amdhsa_workgroup_processor_mode 1
		.amdhsa_memory_ordered 1
		.amdhsa_forward_progress 0
		.amdhsa_shared_vgpr_count 0
		.amdhsa_exception_fp_ieee_invalid_op 0
		.amdhsa_exception_fp_denorm_src 0
		.amdhsa_exception_fp_ieee_div_zero 0
		.amdhsa_exception_fp_ieee_overflow 0
		.amdhsa_exception_fp_ieee_underflow 0
		.amdhsa_exception_fp_ieee_inexact 0
		.amdhsa_exception_int_div_zero 0
	.end_amdhsa_kernel
	.section	.text._ZL37rocblas_syrkx_herkx_restricted_kernelIl19rocblas_complex_numIfELi16ELi32ELi8ELi1ELi1ELb1ELc67ELc85EKPKS1_KPS1_EviT_PT9_S7_lS9_S7_lPT10_S7_li,"axG",@progbits,_ZL37rocblas_syrkx_herkx_restricted_kernelIl19rocblas_complex_numIfELi16ELi32ELi8ELi1ELi1ELb1ELc67ELc85EKPKS1_KPS1_EviT_PT9_S7_lS9_S7_lPT10_S7_li,comdat
.Lfunc_end1700:
	.size	_ZL37rocblas_syrkx_herkx_restricted_kernelIl19rocblas_complex_numIfELi16ELi32ELi8ELi1ELi1ELb1ELc67ELc85EKPKS1_KPS1_EviT_PT9_S7_lS9_S7_lPT10_S7_li, .Lfunc_end1700-_ZL37rocblas_syrkx_herkx_restricted_kernelIl19rocblas_complex_numIfELi16ELi32ELi8ELi1ELi1ELb1ELc67ELc85EKPKS1_KPS1_EviT_PT9_S7_lS9_S7_lPT10_S7_li
                                        ; -- End function
	.section	.AMDGPU.csdata,"",@progbits
; Kernel info:
; codeLenInByte = 2320
; NumSgprs: 22
; NumVgprs: 91
; ScratchSize: 0
; MemoryBound: 0
; FloatMode: 240
; IeeeMode: 1
; LDSByteSize: 4096 bytes/workgroup (compile time only)
; SGPRBlocks: 2
; VGPRBlocks: 11
; NumSGPRsForWavesPerEU: 22
; NumVGPRsForWavesPerEU: 91
; Occupancy: 16
; WaveLimiterHint : 1
; COMPUTE_PGM_RSRC2:SCRATCH_EN: 0
; COMPUTE_PGM_RSRC2:USER_SGPR: 13
; COMPUTE_PGM_RSRC2:TRAP_HANDLER: 0
; COMPUTE_PGM_RSRC2:TGID_X_EN: 1
; COMPUTE_PGM_RSRC2:TGID_Y_EN: 1
; COMPUTE_PGM_RSRC2:TGID_Z_EN: 1
; COMPUTE_PGM_RSRC2:TIDIG_COMP_CNT: 1
	.section	.text._ZL37rocblas_syrkx_herkx_restricted_kernelIl19rocblas_complex_numIfELi16ELi32ELi8ELi1ELi1ELb1ELc78ELc85EKPKS1_KPS1_EviT_PT9_S7_lS9_S7_lPT10_S7_li,"axG",@progbits,_ZL37rocblas_syrkx_herkx_restricted_kernelIl19rocblas_complex_numIfELi16ELi32ELi8ELi1ELi1ELb1ELc78ELc85EKPKS1_KPS1_EviT_PT9_S7_lS9_S7_lPT10_S7_li,comdat
	.globl	_ZL37rocblas_syrkx_herkx_restricted_kernelIl19rocblas_complex_numIfELi16ELi32ELi8ELi1ELi1ELb1ELc78ELc85EKPKS1_KPS1_EviT_PT9_S7_lS9_S7_lPT10_S7_li ; -- Begin function _ZL37rocblas_syrkx_herkx_restricted_kernelIl19rocblas_complex_numIfELi16ELi32ELi8ELi1ELi1ELb1ELc78ELc85EKPKS1_KPS1_EviT_PT9_S7_lS9_S7_lPT10_S7_li
	.p2align	8
	.type	_ZL37rocblas_syrkx_herkx_restricted_kernelIl19rocblas_complex_numIfELi16ELi32ELi8ELi1ELi1ELb1ELc78ELc85EKPKS1_KPS1_EviT_PT9_S7_lS9_S7_lPT10_S7_li,@function
_ZL37rocblas_syrkx_herkx_restricted_kernelIl19rocblas_complex_numIfELi16ELi32ELi8ELi1ELi1ELb1ELc78ELc85EKPKS1_KPS1_EviT_PT9_S7_lS9_S7_lPT10_S7_li: ; @_ZL37rocblas_syrkx_herkx_restricted_kernelIl19rocblas_complex_numIfELi16ELi32ELi8ELi1ELi1ELb1ELc78ELc85EKPKS1_KPS1_EviT_PT9_S7_lS9_S7_lPT10_S7_li
; %bb.0:
	s_clause 0x1
	s_load_b128 s[4:7], s[0:1], 0x40
	s_load_b128 s[8:11], s[0:1], 0x8
	s_mov_b32 s2, s15
	s_mov_b32 s3, 0
	v_dual_mov_b32 v15, 0 :: v_dual_and_b32 v4, 0x3ff, v0
	s_lshl_b64 s[16:17], s[2:3], 3
	v_bfe_u32 v6, v0, 10, 10
	v_dual_mov_b32 v14, 0 :: v_dual_mov_b32 v13, 0
	v_dual_mov_b32 v12, 0 :: v_dual_mov_b32 v9, 0
	;; [unrolled: 1-line block ×3, first 2 shown]
	v_mov_b32_e32 v5, 0
	s_waitcnt lgkmcnt(0)
	s_add_u32 s2, s4, s16
	s_addc_u32 s3, s5, s17
	v_cmp_lt_i64_e64 s4, s[8:9], 1
	s_load_b64 s[2:3], s[2:3], 0x0
	s_lshl_b32 s18, s13, 5
	s_lshl_b32 s19, s14, 5
	s_delay_alu instid0(VALU_DEP_1)
	s_and_b32 vcc_lo, exec_lo, s4
	s_cbranch_vccnz .LBB1701_3
; %bb.1:
	v_lshl_add_u32 v1, v6, 4, v4
	s_clause 0x1
	s_load_b64 s[4:5], s[0:1], 0x18
	s_load_b128 s[12:15], s[0:1], 0x28
	s_add_u32 s10, s10, s16
	s_addc_u32 s11, s11, s17
	v_lshl_add_u32 v11, v6, 6, 0x800
	v_dual_mov_b32 v5, 0 :: v_dual_and_b32 v14, 31, v1
	v_lshrrev_b32_e32 v15, 3, v1
	v_lshrrev_b32_e32 v16, 5, v1
	s_load_b64 s[10:11], s[10:11], 0x0
	s_delay_alu instid0(VALU_DEP_3) | instskip(SKIP_2) | instid1(VALU_DEP_3)
	v_add_nc_u32_e32 v0, s18, v14
	v_lshlrev_b32_e32 v14, 3, v14
	v_add_nc_u32_e32 v2, s19, v15
	v_ashrrev_i32_e32 v1, 31, v0
	s_delay_alu instid0(VALU_DEP_2) | instskip(SKIP_1) | instid1(VALU_DEP_2)
	v_ashrrev_i32_e32 v3, 31, v2
	s_waitcnt lgkmcnt(0)
	v_mad_u64_u32 v[12:13], null, v16, s4, v[0:1]
	v_and_b32_e32 v7, 7, v4
	s_add_u32 s12, s12, s16
	s_addc_u32 s13, s13, s17
	s_load_b64 s[12:13], s[12:13], 0x0
	s_delay_alu instid0(VALU_DEP_1) | instskip(NEXT) | instid1(VALU_DEP_3)
	v_mad_u64_u32 v[0:1], null, v7, s14, v[2:3]
	v_mov_b32_e32 v2, v13
	s_delay_alu instid0(VALU_DEP_1) | instskip(NEXT) | instid1(VALU_DEP_3)
	v_mad_u64_u32 v[8:9], null, v16, s5, v[2:3]
	v_mad_u64_u32 v[2:3], null, v7, s15, v[1:2]
	v_lshlrev_b32_e32 v1, 3, v7
	v_dual_mov_b32 v7, 0 :: v_dual_lshlrev_b32 v10, 3, v4
	v_mov_b32_e32 v9, 0
	v_dual_mov_b32 v13, v8 :: v_dual_mov_b32 v8, 0
	s_delay_alu instid0(VALU_DEP_4) | instskip(SKIP_2) | instid1(VALU_DEP_4)
	v_lshl_or_b32 v15, v15, 6, v1
	v_mov_b32_e32 v1, v2
	v_lshl_or_b32 v16, v16, 8, v14
	v_lshlrev_b64 v[2:3], 3, v[12:13]
	s_lshl_b64 s[4:5], s[4:5], 6
	v_add_nc_u32_e32 v17, 0x800, v15
	v_lshlrev_b64 v[0:1], 3, v[0:1]
	v_dual_mov_b32 v15, 0 :: v_dual_mov_b32 v14, 0
	s_delay_alu instid0(VALU_DEP_4) | instskip(SKIP_2) | instid1(VALU_DEP_4)
	v_add_co_u32 v2, vcc_lo, v2, s10
	v_add_co_ci_u32_e32 v3, vcc_lo, s11, v3, vcc_lo
	s_waitcnt lgkmcnt(0)
	v_add_co_u32 v12, vcc_lo, v0, s12
	v_add_co_ci_u32_e32 v13, vcc_lo, s13, v1, vcc_lo
	v_add_co_u32 v0, vcc_lo, v2, 4
	v_add_co_ci_u32_e32 v1, vcc_lo, 0, v3, vcc_lo
	s_delay_alu instid0(VALU_DEP_4)
	v_add_co_u32 v2, vcc_lo, v12, 4
	v_mov_b32_e32 v12, 0
	v_add_co_ci_u32_e32 v3, vcc_lo, 0, v13, vcc_lo
	v_mov_b32_e32 v13, 0
	s_lshl_b64 s[10:11], s[14:15], 6
	s_mov_b64 s[12:13], 0
.LBB1701_2:                             ; =>This Inner Loop Header: Depth=1
	global_load_b64 v[18:19], v[2:3], off offset:-4
	global_load_b64 v[20:21], v[0:1], off offset:-4
	s_add_u32 s12, s12, 8
	v_add_co_u32 v0, vcc_lo, v0, s4
	s_addc_u32 s13, s13, 0
	v_add_co_ci_u32_e32 v1, vcc_lo, s5, v1, vcc_lo
	v_cmp_ge_u64_e64 s14, s[12:13], s[8:9]
	v_add_co_u32 v2, vcc_lo, v2, s10
	v_add_co_ci_u32_e32 v3, vcc_lo, s11, v3, vcc_lo
	s_delay_alu instid0(VALU_DEP_3)
	s_and_b32 vcc_lo, exec_lo, s14
	s_waitcnt vmcnt(1)
	v_xor_b32_e32 v19, 0x80000000, v19
	s_waitcnt vmcnt(0)
	ds_store_b64 v16, v[20:21]
	ds_store_b64 v17, v[18:19]
	s_waitcnt lgkmcnt(0)
	s_barrier
	buffer_gl0_inv
	ds_load_2addr_b64 v[18:21], v10 offset1:16
	ds_load_b128 v[22:25], v11
	ds_load_b128 v[26:29], v11 offset:1024
	ds_load_b128 v[30:33], v11 offset:16
	;; [unrolled: 1-line block ×4, first 2 shown]
	ds_load_2addr_b64 v[42:45], v10 offset0:32 offset1:48
	ds_load_2addr_b64 v[46:49], v10 offset0:64 offset1:80
	ds_load_b128 v[50:53], v11 offset:1040
	ds_load_2addr_b64 v[54:57], v10 offset0:96 offset1:112
	ds_load_2addr_b64 v[58:61], v10 offset0:128 offset1:144
	;; [unrolled: 1-line block ×4, first 2 shown]
	ds_load_b128 v[70:73], v11 offset:1056
	ds_load_b128 v[74:77], v11 offset:1072
	ds_load_2addr_b64 v[78:81], v10 offset0:224 offset1:240
	s_waitcnt lgkmcnt(0)
	s_barrier
	buffer_gl0_inv
	v_dual_mul_f32 v82, v23, v19 :: v_dual_mul_f32 v85, v22, v21
	v_dual_mul_f32 v83, v22, v19 :: v_dual_mul_f32 v84, v23, v21
	v_mul_f32_e32 v86, v27, v19
	v_dual_mul_f32 v19, v26, v19 :: v_dual_mul_f32 v90, v25, v45
	v_dual_mul_f32 v87, v27, v21 :: v_dual_mul_f32 v88, v25, v43
	v_mul_f32_e32 v21, v26, v21
	v_mul_f32_e32 v89, v24, v43
	;; [unrolled: 1-line block ×3, first 2 shown]
	v_fma_f32 v82, v22, v18, -v82
	v_fmac_f32_e32 v83, v23, v18
	v_fma_f32 v22, v22, v20, -v84
	v_dual_fmac_f32 v85, v23, v20 :: v_dual_mul_f32 v84, v30, v47
	v_fma_f32 v23, v26, v18, -v86
	v_fmac_f32_e32 v19, v27, v18
	v_fma_f32 v18, v26, v20, -v87
	v_dual_mul_f32 v26, v28, v43 :: v_dual_fmac_f32 v21, v27, v20
	v_mul_f32_e32 v20, v29, v43
	v_mul_f32_e32 v27, v29, v45
	v_dual_mul_f32 v43, v28, v45 :: v_dual_fmac_f32 v84, v31, v46
	v_fma_f32 v45, v24, v42, -v88
	v_fma_f32 v24, v24, v44, -v90
	v_dual_fmac_f32 v91, v25, v44 :: v_dual_mul_f32 v90, v32, v57
	v_dual_mul_f32 v86, v31, v49 :: v_dual_fmac_f32 v89, v25, v42
	v_dual_mul_f32 v25, v31, v47 :: v_dual_mul_f32 v88, v33, v57
	v_fma_f32 v20, v28, v42, -v20
	v_fmac_f32_e32 v26, v29, v42
	v_fma_f32 v27, v28, v44, -v27
	v_dual_fmac_f32 v43, v29, v44 :: v_dual_mul_f32 v28, v51, v47
	v_dual_mul_f32 v29, v50, v47 :: v_dual_mul_f32 v42, v51, v49
	v_mul_f32_e32 v44, v50, v49
	v_mul_f32_e32 v87, v30, v49
	;; [unrolled: 1-line block ×3, first 2 shown]
	v_dual_mul_f32 v49, v32, v55 :: v_dual_fmac_f32 v90, v33, v56
	v_fma_f32 v25, v30, v46, -v25
	v_fma_f32 v30, v30, v48, -v86
	;; [unrolled: 1-line block ×3, first 2 shown]
	v_fmac_f32_e32 v44, v51, v48
	v_fmac_f32_e32 v87, v31, v48
	v_fma_f32 v31, v50, v48, -v42
	v_mul_f32_e32 v42, v53, v55
	v_mul_f32_e32 v48, v53, v57
	v_dual_mul_f32 v50, v52, v57 :: v_dual_fmac_f32 v29, v51, v46
	v_mul_f32_e32 v46, v52, v55
	v_fma_f32 v47, v32, v54, -v47
	v_fmac_f32_e32 v49, v33, v54
	v_fma_f32 v32, v32, v56, -v88
	s_delay_alu instid0(VALU_DEP_4)
	v_dual_mul_f32 v33, v35, v59 :: v_dual_fmac_f32 v46, v53, v54
	v_mul_f32_e32 v51, v34, v59
	v_mul_f32_e32 v55, v35, v61
	v_fma_f32 v42, v52, v54, -v42
	v_fma_f32 v48, v52, v56, -v48
	v_fmac_f32_e32 v50, v53, v56
	v_mul_f32_e32 v52, v71, v59
	v_dual_mul_f32 v53, v70, v59 :: v_dual_mul_f32 v86, v37, v65
	v_mul_f32_e32 v54, v71, v61
	v_dual_mul_f32 v56, v70, v61 :: v_dual_mul_f32 v59, v37, v63
	v_mul_f32_e32 v57, v34, v61
	v_mul_f32_e32 v61, v36, v63
	v_dual_mul_f32 v88, v36, v65 :: v_dual_fmac_f32 v51, v35, v58
	v_fma_f32 v33, v34, v58, -v33
	v_fmac_f32_e32 v53, v71, v58
	v_fmac_f32_e32 v56, v71, v60
	s_delay_alu instid0(VALU_DEP_4)
	v_fmac_f32_e32 v88, v37, v64
	v_fmac_f32_e32 v57, v35, v60
	v_fma_f32 v35, v70, v58, -v52
	v_fma_f32 v52, v70, v60, -v54
	v_mul_f32_e32 v54, v73, v63
	v_fma_f32 v34, v34, v60, -v55
	v_mul_f32_e32 v60, v72, v65
	v_dual_mul_f32 v55, v72, v63 :: v_dual_mul_f32 v70, v38, v69
	v_mul_f32_e32 v58, v73, v65
	v_fma_f32 v59, v36, v62, -v59
	v_fmac_f32_e32 v61, v37, v62
	v_fma_f32 v36, v36, v64, -v86
	v_dual_mul_f32 v37, v39, v67 :: v_dual_fmac_f32 v60, v73, v64
	v_dual_mul_f32 v63, v38, v67 :: v_dual_mul_f32 v86, v40, v81
	v_mul_f32_e32 v65, v39, v69
	v_fma_f32 v54, v72, v62, -v54
	v_fmac_f32_e32 v55, v73, v62
	v_fma_f32 v58, v72, v64, -v58
	v_mul_f32_e32 v72, v40, v79
	v_mul_f32_e32 v62, v75, v67
	v_dual_mul_f32 v64, v74, v67 :: v_dual_mul_f32 v67, v75, v69
	v_dual_mul_f32 v69, v74, v69 :: v_dual_fmac_f32 v70, v39, v68
	s_delay_alu instid0(VALU_DEP_2)
	v_dual_mul_f32 v71, v41, v79 :: v_dual_fmac_f32 v64, v75, v66
	v_dual_mul_f32 v73, v41, v81 :: v_dual_add_f32 v14, v14, v82
	v_fma_f32 v37, v38, v66, -v37
	v_fmac_f32_e32 v63, v39, v66
	v_fma_f32 v38, v38, v68, -v65
	v_fma_f32 v39, v74, v66, -v62
	v_dual_fmac_f32 v69, v75, v68 :: v_dual_fmac_f32 v72, v41, v78
	v_dual_mul_f32 v65, v77, v79 :: v_dual_add_f32 v12, v12, v85
	v_mul_f32_e32 v66, v76, v79
	v_fma_f32 v62, v74, v68, -v67
	v_dual_mul_f32 v67, v77, v81 :: v_dual_add_f32 v8, v8, v19
	v_mul_f32_e32 v68, v76, v81
	v_dual_fmac_f32 v86, v41, v80 :: v_dual_add_f32 v15, v15, v83
	v_dual_add_f32 v13, v13, v22 :: v_dual_add_f32 v14, v14, v45
	s_delay_alu instid0(VALU_DEP_3) | instskip(SKIP_4) | instid1(VALU_DEP_3)
	v_dual_fmac_f32 v68, v77, v80 :: v_dual_add_f32 v7, v7, v18
	v_dual_add_f32 v9, v9, v23 :: v_dual_add_f32 v8, v8, v26
	v_dual_add_f32 v5, v5, v21 :: v_dual_add_f32 v12, v12, v91
	v_dual_fmac_f32 v66, v77, v78 :: v_dual_add_f32 v15, v15, v89
	v_dual_add_f32 v13, v13, v24 :: v_dual_add_f32 v14, v14, v25
	v_dual_add_f32 v9, v9, v20 :: v_dual_add_f32 v12, v12, v87
	;; [unrolled: 1-line block ×3, first 2 shown]
	v_add_f32_e32 v5, v5, v43
	s_delay_alu instid0(VALU_DEP_4) | instskip(NEXT) | instid1(VALU_DEP_3)
	v_dual_add_f32 v15, v15, v84 :: v_dual_add_f32 v14, v14, v47
	v_dual_add_f32 v9, v9, v28 :: v_dual_add_f32 v8, v8, v46
	v_add_f32_e32 v12, v12, v90
	s_delay_alu instid0(VALU_DEP_3) | instskip(SKIP_1) | instid1(VALU_DEP_4)
	v_dual_add_f32 v13, v13, v30 :: v_dual_add_f32 v14, v14, v33
	v_add_f32_e32 v7, v7, v31
	v_dual_add_f32 v5, v5, v44 :: v_dual_add_f32 v8, v8, v53
	s_delay_alu instid0(VALU_DEP_4) | instskip(NEXT) | instid1(VALU_DEP_4)
	v_add_f32_e32 v12, v12, v57
	v_dual_add_f32 v15, v15, v49 :: v_dual_add_f32 v14, v14, v59
	s_delay_alu instid0(VALU_DEP_3) | instskip(NEXT) | instid1(VALU_DEP_3)
	v_dual_add_f32 v13, v13, v32 :: v_dual_add_f32 v8, v8, v55
	v_dual_add_f32 v9, v9, v42 :: v_dual_add_f32 v12, v12, v88
	s_delay_alu instid0(VALU_DEP_3) | instskip(NEXT) | instid1(VALU_DEP_3)
	v_dual_add_f32 v7, v7, v48 :: v_dual_add_f32 v14, v14, v37
	v_dual_add_f32 v5, v5, v50 :: v_dual_add_f32 v8, v8, v64
	v_fma_f32 v71, v40, v78, -v71
	s_delay_alu instid0(VALU_DEP_4)
	v_dual_add_f32 v15, v15, v51 :: v_dual_add_f32 v12, v12, v70
	v_add_f32_e32 v13, v13, v34
	v_add_f32_e32 v9, v9, v35
	v_dual_add_f32 v7, v7, v52 :: v_dual_add_f32 v8, v8, v66
	v_add_f32_e32 v5, v5, v56
	v_dual_add_f32 v15, v15, v61 :: v_dual_add_f32 v14, v14, v71
	v_add_f32_e32 v13, v13, v36
	s_delay_alu instid0(VALU_DEP_4) | instskip(NEXT) | instid1(VALU_DEP_4)
	v_add_f32_e32 v7, v7, v58
	v_dual_add_f32 v5, v5, v60 :: v_dual_add_f32 v12, v12, v86
	v_add_f32_e32 v9, v9, v54
	v_fma_f32 v40, v40, v80, -v73
	v_fma_f32 v41, v76, v78, -v65
	;; [unrolled: 1-line block ×3, first 2 shown]
	v_add_f32_e32 v15, v15, v63
	v_add_f32_e32 v13, v13, v38
	;; [unrolled: 1-line block ×10, first 2 shown]
	s_cbranch_vccz .LBB1701_2
.LBB1701_3:
	v_add_nc_u32_e32 v6, s19, v6
	s_load_b32 s4, s[0:1], 0x0
	s_delay_alu instid0(VALU_DEP_1) | instskip(SKIP_2) | instid1(VALU_DEP_3)
	v_ashrrev_i32_e32 v0, 31, v6
	v_mul_lo_u32 v3, v6, s7
	v_mad_u64_u32 v[1:2], null, v6, s6, 0
	v_mul_lo_u32 v0, v0, s6
	s_delay_alu instid0(VALU_DEP_1) | instskip(SKIP_3) | instid1(VALU_DEP_3)
	v_add3_u32 v2, v2, v3, v0
	v_add_nc_u32_e32 v0, s18, v4
	s_waitcnt lgkmcnt(0)
	v_cmp_gt_i32_e32 vcc_lo, s4, v6
	v_lshlrev_b64 v[1:2], 3, v[1:2]
	s_delay_alu instid0(VALU_DEP_3) | instskip(NEXT) | instid1(VALU_DEP_1)
	v_cmp_le_i32_e64 s0, v0, v6
	s_and_b32 s0, vcc_lo, s0
	s_delay_alu instid0(VALU_DEP_2) | instskip(NEXT) | instid1(VALU_DEP_1)
	v_add_co_u32 v4, s1, s2, v1
	v_add_co_ci_u32_e64 v10, s1, s3, v2, s1
	s_and_saveexec_b32 s1, s0
	s_cbranch_execz .LBB1701_6
; %bb.4:
	v_ashrrev_i32_e32 v1, 31, v0
	s_delay_alu instid0(VALU_DEP_1) | instskip(NEXT) | instid1(VALU_DEP_1)
	v_lshlrev_b64 v[1:2], 3, v[0:1]
	v_add_co_u32 v1, s0, v4, v1
	s_delay_alu instid0(VALU_DEP_1)
	v_add_co_ci_u32_e64 v2, s0, v10, v2, s0
	v_cmp_eq_u32_e64 s0, v6, v0
	global_load_b64 v[16:17], v[1:2], off
	s_waitcnt vmcnt(0)
	v_dual_add_f32 v14, v14, v16 :: v_dual_add_f32 v15, v15, v17
	global_store_b64 v[1:2], v[14:15], off
	s_and_b32 exec_lo, exec_lo, s0
	s_cbranch_execz .LBB1701_6
; %bb.5:
	v_mov_b32_e32 v3, 0
	global_store_b32 v[1:2], v3, off offset:4
.LBB1701_6:
	s_or_b32 exec_lo, exec_lo, s1
	v_add_nc_u32_e32 v2, 16, v0
	s_delay_alu instid0(VALU_DEP_1) | instskip(NEXT) | instid1(VALU_DEP_1)
	v_cmp_le_i32_e64 s0, v2, v6
	s_and_b32 s1, vcc_lo, s0
	s_delay_alu instid0(SALU_CYCLE_1)
	s_and_saveexec_b32 s0, s1
	s_cbranch_execz .LBB1701_9
; %bb.7:
	v_ashrrev_i32_e32 v3, 31, v2
	s_delay_alu instid0(VALU_DEP_1) | instskip(NEXT) | instid1(VALU_DEP_1)
	v_lshlrev_b64 v[14:15], 3, v[2:3]
	v_add_co_u32 v3, vcc_lo, v4, v14
	s_delay_alu instid0(VALU_DEP_2)
	v_add_co_ci_u32_e32 v4, vcc_lo, v10, v15, vcc_lo
	v_cmp_eq_u32_e32 vcc_lo, v6, v2
	global_load_b64 v[10:11], v[3:4], off
	s_waitcnt vmcnt(0)
	v_dual_add_f32 v10, v13, v10 :: v_dual_add_f32 v11, v12, v11
	global_store_b64 v[3:4], v[10:11], off
	s_and_b32 exec_lo, exec_lo, vcc_lo
	s_cbranch_execz .LBB1701_9
; %bb.8:
	v_mov_b32_e32 v1, 0
	global_store_b32 v[3:4], v1, off offset:4
.LBB1701_9:
	s_or_b32 exec_lo, exec_lo, s0
	v_add_nc_u32_e32 v10, 16, v6
	s_delay_alu instid0(VALU_DEP_1) | instskip(SKIP_3) | instid1(VALU_DEP_4)
	v_ashrrev_i32_e32 v1, 31, v10
	v_mul_lo_u32 v11, v10, s7
	v_mad_u64_u32 v[3:4], null, v10, s6, 0
	v_cmp_gt_i32_e32 vcc_lo, s4, v10
	v_mul_lo_u32 v1, v1, s6
	v_cmp_le_i32_e64 s0, v0, v10
	s_delay_alu instid0(VALU_DEP_1) | instskip(NEXT) | instid1(VALU_DEP_2)
	s_and_b32 s0, vcc_lo, s0
	v_add3_u32 v4, v4, v11, v1
	s_delay_alu instid0(VALU_DEP_1) | instskip(NEXT) | instid1(VALU_DEP_1)
	v_lshlrev_b64 v[3:4], 3, v[3:4]
	v_add_co_u32 v11, s1, s2, v3
	s_delay_alu instid0(VALU_DEP_1)
	v_add_co_ci_u32_e64 v12, s1, s3, v4, s1
	s_and_saveexec_b32 s1, s0
	s_cbranch_execz .LBB1701_12
; %bb.10:
	v_ashrrev_i32_e32 v1, 31, v0
	s_delay_alu instid0(VALU_DEP_1) | instskip(NEXT) | instid1(VALU_DEP_1)
	v_lshlrev_b64 v[3:4], 3, v[0:1]
	v_add_co_u32 v3, s0, v11, v3
	s_delay_alu instid0(VALU_DEP_1)
	v_add_co_ci_u32_e64 v4, s0, v12, v4, s0
	v_cmp_eq_u32_e64 s0, v10, v0
	global_load_b64 v[13:14], v[3:4], off
	s_waitcnt vmcnt(0)
	v_dual_add_f32 v13, v9, v13 :: v_dual_add_f32 v14, v8, v14
	global_store_b64 v[3:4], v[13:14], off
	s_and_b32 exec_lo, exec_lo, s0
	s_cbranch_execz .LBB1701_12
; %bb.11:
	v_mov_b32_e32 v1, 0
	global_store_b32 v[3:4], v1, off offset:4
.LBB1701_12:
	s_or_b32 exec_lo, exec_lo, s1
	v_cmp_le_i32_e64 s0, v2, v10
	s_delay_alu instid0(VALU_DEP_1) | instskip(NEXT) | instid1(SALU_CYCLE_1)
	s_and_b32 s0, vcc_lo, s0
	s_and_saveexec_b32 s1, s0
	s_cbranch_execz .LBB1701_15
; %bb.13:
	v_ashrrev_i32_e32 v3, 31, v2
	s_delay_alu instid0(VALU_DEP_1) | instskip(NEXT) | instid1(VALU_DEP_1)
	v_lshlrev_b64 v[1:2], 3, v[2:3]
	v_add_co_u32 v1, vcc_lo, v11, v1
	s_delay_alu instid0(VALU_DEP_2)
	v_add_co_ci_u32_e32 v2, vcc_lo, v12, v2, vcc_lo
	v_cmp_eq_u32_e32 vcc_lo, v6, v0
	global_load_b64 v[3:4], v[1:2], off
	s_waitcnt vmcnt(0)
	v_dual_add_f32 v3, v7, v3 :: v_dual_add_f32 v4, v5, v4
	global_store_b64 v[1:2], v[3:4], off
	s_and_b32 exec_lo, exec_lo, vcc_lo
	s_cbranch_execz .LBB1701_15
; %bb.14:
	v_mov_b32_e32 v0, 0
	global_store_b32 v[1:2], v0, off offset:4
.LBB1701_15:
	s_nop 0
	s_sendmsg sendmsg(MSG_DEALLOC_VGPRS)
	s_endpgm
	.section	.rodata,"a",@progbits
	.p2align	6, 0x0
	.amdhsa_kernel _ZL37rocblas_syrkx_herkx_restricted_kernelIl19rocblas_complex_numIfELi16ELi32ELi8ELi1ELi1ELb1ELc78ELc85EKPKS1_KPS1_EviT_PT9_S7_lS9_S7_lPT10_S7_li
		.amdhsa_group_segment_fixed_size 4096
		.amdhsa_private_segment_fixed_size 0
		.amdhsa_kernarg_size 92
		.amdhsa_user_sgpr_count 13
		.amdhsa_user_sgpr_dispatch_ptr 0
		.amdhsa_user_sgpr_queue_ptr 0
		.amdhsa_user_sgpr_kernarg_segment_ptr 1
		.amdhsa_user_sgpr_dispatch_id 0
		.amdhsa_user_sgpr_private_segment_size 0
		.amdhsa_wavefront_size32 1
		.amdhsa_uses_dynamic_stack 0
		.amdhsa_enable_private_segment 0
		.amdhsa_system_sgpr_workgroup_id_x 1
		.amdhsa_system_sgpr_workgroup_id_y 1
		.amdhsa_system_sgpr_workgroup_id_z 1
		.amdhsa_system_sgpr_workgroup_info 0
		.amdhsa_system_vgpr_workitem_id 1
		.amdhsa_next_free_vgpr 92
		.amdhsa_next_free_sgpr 20
		.amdhsa_reserve_vcc 1
		.amdhsa_float_round_mode_32 0
		.amdhsa_float_round_mode_16_64 0
		.amdhsa_float_denorm_mode_32 3
		.amdhsa_float_denorm_mode_16_64 3
		.amdhsa_dx10_clamp 1
		.amdhsa_ieee_mode 1
		.amdhsa_fp16_overflow 0
		.amdhsa_workgroup_processor_mode 1
		.amdhsa_memory_ordered 1
		.amdhsa_forward_progress 0
		.amdhsa_shared_vgpr_count 0
		.amdhsa_exception_fp_ieee_invalid_op 0
		.amdhsa_exception_fp_denorm_src 0
		.amdhsa_exception_fp_ieee_div_zero 0
		.amdhsa_exception_fp_ieee_overflow 0
		.amdhsa_exception_fp_ieee_underflow 0
		.amdhsa_exception_fp_ieee_inexact 0
		.amdhsa_exception_int_div_zero 0
	.end_amdhsa_kernel
	.section	.text._ZL37rocblas_syrkx_herkx_restricted_kernelIl19rocblas_complex_numIfELi16ELi32ELi8ELi1ELi1ELb1ELc78ELc85EKPKS1_KPS1_EviT_PT9_S7_lS9_S7_lPT10_S7_li,"axG",@progbits,_ZL37rocblas_syrkx_herkx_restricted_kernelIl19rocblas_complex_numIfELi16ELi32ELi8ELi1ELi1ELb1ELc78ELc85EKPKS1_KPS1_EviT_PT9_S7_lS9_S7_lPT10_S7_li,comdat
.Lfunc_end1701:
	.size	_ZL37rocblas_syrkx_herkx_restricted_kernelIl19rocblas_complex_numIfELi16ELi32ELi8ELi1ELi1ELb1ELc78ELc85EKPKS1_KPS1_EviT_PT9_S7_lS9_S7_lPT10_S7_li, .Lfunc_end1701-_ZL37rocblas_syrkx_herkx_restricted_kernelIl19rocblas_complex_numIfELi16ELi32ELi8ELi1ELi1ELb1ELc78ELc85EKPKS1_KPS1_EviT_PT9_S7_lS9_S7_lPT10_S7_li
                                        ; -- End function
	.section	.AMDGPU.csdata,"",@progbits
; Kernel info:
; codeLenInByte = 2312
; NumSgprs: 22
; NumVgprs: 92
; ScratchSize: 0
; MemoryBound: 0
; FloatMode: 240
; IeeeMode: 1
; LDSByteSize: 4096 bytes/workgroup (compile time only)
; SGPRBlocks: 2
; VGPRBlocks: 11
; NumSGPRsForWavesPerEU: 22
; NumVGPRsForWavesPerEU: 92
; Occupancy: 16
; WaveLimiterHint : 1
; COMPUTE_PGM_RSRC2:SCRATCH_EN: 0
; COMPUTE_PGM_RSRC2:USER_SGPR: 13
; COMPUTE_PGM_RSRC2:TRAP_HANDLER: 0
; COMPUTE_PGM_RSRC2:TGID_X_EN: 1
; COMPUTE_PGM_RSRC2:TGID_Y_EN: 1
; COMPUTE_PGM_RSRC2:TGID_Z_EN: 1
; COMPUTE_PGM_RSRC2:TIDIG_COMP_CNT: 1
	.section	.text._ZL37rocblas_syrkx_herkx_restricted_kernelIl19rocblas_complex_numIfELi16ELi32ELi8ELi1ELin1ELb1ELc84ELc76EKPKS1_KPS1_EviT_PT9_S7_lS9_S7_lPT10_S7_li,"axG",@progbits,_ZL37rocblas_syrkx_herkx_restricted_kernelIl19rocblas_complex_numIfELi16ELi32ELi8ELi1ELin1ELb1ELc84ELc76EKPKS1_KPS1_EviT_PT9_S7_lS9_S7_lPT10_S7_li,comdat
	.globl	_ZL37rocblas_syrkx_herkx_restricted_kernelIl19rocblas_complex_numIfELi16ELi32ELi8ELi1ELin1ELb1ELc84ELc76EKPKS1_KPS1_EviT_PT9_S7_lS9_S7_lPT10_S7_li ; -- Begin function _ZL37rocblas_syrkx_herkx_restricted_kernelIl19rocblas_complex_numIfELi16ELi32ELi8ELi1ELin1ELb1ELc84ELc76EKPKS1_KPS1_EviT_PT9_S7_lS9_S7_lPT10_S7_li
	.p2align	8
	.type	_ZL37rocblas_syrkx_herkx_restricted_kernelIl19rocblas_complex_numIfELi16ELi32ELi8ELi1ELin1ELb1ELc84ELc76EKPKS1_KPS1_EviT_PT9_S7_lS9_S7_lPT10_S7_li,@function
_ZL37rocblas_syrkx_herkx_restricted_kernelIl19rocblas_complex_numIfELi16ELi32ELi8ELi1ELin1ELb1ELc84ELc76EKPKS1_KPS1_EviT_PT9_S7_lS9_S7_lPT10_S7_li: ; @_ZL37rocblas_syrkx_herkx_restricted_kernelIl19rocblas_complex_numIfELi16ELi32ELi8ELi1ELin1ELb1ELc84ELc76EKPKS1_KPS1_EviT_PT9_S7_lS9_S7_lPT10_S7_li
; %bb.0:
	s_clause 0x1
	s_load_b128 s[4:7], s[0:1], 0x40
	s_load_b128 s[8:11], s[0:1], 0x8
	s_mov_b32 s2, s15
	s_mov_b32 s3, 0
	v_dual_mov_b32 v17, 0 :: v_dual_and_b32 v6, 0x3ff, v0
	s_lshl_b64 s[16:17], s[2:3], 3
	v_bfe_u32 v7, v0, 10, 10
	v_dual_mov_b32 v16, 0 :: v_dual_mov_b32 v11, 0
	v_dual_mov_b32 v10, 0 :: v_dual_mov_b32 v9, 0
	;; [unrolled: 1-line block ×3, first 2 shown]
	v_mov_b32_e32 v0, 0
	s_waitcnt lgkmcnt(0)
	s_add_u32 s2, s4, s16
	s_addc_u32 s3, s5, s17
	v_cmp_lt_i64_e64 s4, s[8:9], 1
	s_load_b64 s[2:3], s[2:3], 0x0
	s_lshl_b32 s18, s13, 5
	s_lshl_b32 s19, s14, 5
	s_delay_alu instid0(VALU_DEP_1)
	s_and_b32 vcc_lo, exec_lo, s4
	s_cbranch_vccnz .LBB1702_3
; %bb.1:
	s_clause 0x1
	s_load_b128 s[12:15], s[0:1], 0x28
	s_load_b64 s[4:5], s[0:1], 0x18
	v_lshl_add_u32 v2, v7, 4, v6
	v_dual_mov_b32 v1, 0 :: v_dual_and_b32 v0, 7, v6
	s_add_u32 s10, s10, s16
	s_addc_u32 s11, s11, s17
	s_delay_alu instid0(VALU_DEP_2)
	v_lshrrev_b32_e32 v10, 3, v2
	v_and_b32_e32 v11, 31, v2
	v_lshrrev_b32_e32 v2, 5, v2
	v_mov_b32_e32 v3, v1
	s_load_b64 s[10:11], s[10:11], 0x0
	v_add_nc_u32_e32 v12, s19, v10
	v_add_nc_u32_e32 v8, s18, v11
	v_dual_mov_b32 v16, v1 :: v_dual_lshlrev_b32 v11, 3, v11
	v_mov_b32_e32 v17, v1
	s_delay_alu instid0(VALU_DEP_4) | instskip(NEXT) | instid1(VALU_DEP_4)
	v_ashrrev_i32_e32 v4, 31, v12
	v_ashrrev_i32_e32 v5, 31, v8
	s_waitcnt lgkmcnt(0)
	s_add_u32 s12, s12, s16
	s_addc_u32 s13, s13, s17
	v_mul_lo_u32 v13, v4, s14
	v_mul_lo_u32 v14, s4, v5
	v_mad_u64_u32 v[4:5], null, s4, v8, v[2:3]
	v_mul_lo_u32 v3, s5, v8
	s_load_b64 s[4:5], s[12:13], 0x0
	v_mul_lo_u32 v15, v12, s15
	v_mad_u64_u32 v[8:9], null, v12, s14, v[0:1]
	v_lshlrev_b32_e32 v0, 3, v0
	v_lshlrev_b32_e32 v12, 3, v6
	v_add3_u32 v5, v3, v5, v14
	v_lshl_or_b32 v14, v2, 8, v11
	v_mov_b32_e32 v11, v1
	v_add3_u32 v9, v13, v9, v15
	v_lshl_or_b32 v0, v10, 6, v0
	v_lshlrev_b64 v[3:4], 3, v[4:5]
	v_lshl_add_u32 v13, v7, 6, 0x800
	v_mov_b32_e32 v10, v1
	v_lshlrev_b64 v[8:9], 3, v[8:9]
	v_add_nc_u32_e32 v15, 0x800, v0
	v_add_co_u32 v0, vcc_lo, v3, s10
	v_add_co_ci_u32_e32 v3, vcc_lo, s11, v4, vcc_lo
	s_waitcnt lgkmcnt(0)
	s_delay_alu instid0(VALU_DEP_4) | instskip(SKIP_3) | instid1(VALU_DEP_4)
	v_add_co_u32 v4, vcc_lo, v8, s4
	v_add_co_ci_u32_e32 v5, vcc_lo, s5, v9, vcc_lo
	v_add_co_u32 v2, vcc_lo, v0, 4
	v_add_co_ci_u32_e32 v3, vcc_lo, 0, v3, vcc_lo
	v_add_co_u32 v4, vcc_lo, v4, 4
	s_delay_alu instid0(VALU_DEP_4)
	v_add_co_ci_u32_e32 v5, vcc_lo, 0, v5, vcc_lo
	v_mov_b32_e32 v0, v1
	v_mov_b32_e32 v8, v1
	;; [unrolled: 1-line block ×3, first 2 shown]
	s_mov_b64 s[4:5], 0
.LBB1702_2:                             ; =>This Inner Loop Header: Depth=1
	global_load_b64 v[18:19], v[2:3], off offset:-4
	global_load_b64 v[20:21], v[4:5], off offset:-4
	s_add_u32 s4, s4, 8
	v_add_co_u32 v2, vcc_lo, v2, 64
	s_addc_u32 s5, s5, 0
	v_add_co_ci_u32_e32 v3, vcc_lo, 0, v3, vcc_lo
	v_cmp_ge_u64_e64 s10, s[4:5], s[8:9]
	v_add_co_u32 v4, vcc_lo, v4, 64
	v_add_co_ci_u32_e32 v5, vcc_lo, 0, v5, vcc_lo
	s_waitcnt vmcnt(1)
	ds_store_b64 v14, v[18:19]
	s_waitcnt vmcnt(0)
	ds_store_b64 v15, v[20:21]
	s_waitcnt lgkmcnt(0)
	s_barrier
	buffer_gl0_inv
	ds_load_2addr_b64 v[18:21], v12 offset1:16
	ds_load_b128 v[22:25], v13
	ds_load_b128 v[26:29], v13 offset:1024
	ds_load_b128 v[30:33], v13 offset:16
	;; [unrolled: 1-line block ×4, first 2 shown]
	ds_load_2addr_b64 v[42:45], v12 offset0:32 offset1:48
	ds_load_2addr_b64 v[46:49], v12 offset0:64 offset1:80
	ds_load_b128 v[50:53], v13 offset:1040
	ds_load_2addr_b64 v[54:57], v12 offset0:96 offset1:112
	ds_load_2addr_b64 v[58:61], v12 offset0:128 offset1:144
	ds_load_2addr_b64 v[62:65], v12 offset0:160 offset1:176
	ds_load_2addr_b64 v[66:69], v12 offset0:192 offset1:208
	ds_load_b128 v[70:73], v13 offset:1056
	ds_load_b128 v[74:77], v13 offset:1072
	ds_load_2addr_b64 v[78:81], v12 offset0:224 offset1:240
	s_and_b32 vcc_lo, exec_lo, s10
	s_waitcnt lgkmcnt(0)
	s_barrier
	buffer_gl0_inv
	v_dual_mul_f32 v82, v23, v19 :: v_dual_mul_f32 v85, v22, v21
	v_dual_mul_f32 v83, v22, v19 :: v_dual_mul_f32 v84, v23, v21
	v_mul_f32_e32 v86, v27, v19
	v_dual_mul_f32 v19, v26, v19 :: v_dual_mul_f32 v90, v25, v45
	v_dual_mul_f32 v87, v27, v21 :: v_dual_mul_f32 v88, v25, v43
	v_mul_f32_e32 v21, v26, v21
	v_fma_f32 v82, v22, v18, -v82
	v_fmac_f32_e32 v83, v23, v18
	v_fma_f32 v22, v22, v20, -v84
	v_fmac_f32_e32 v85, v23, v20
	v_fma_f32 v23, v26, v18, -v86
	v_dual_fmac_f32 v19, v27, v18 :: v_dual_mul_f32 v86, v30, v47
	v_fma_f32 v18, v26, v20, -v87
	v_dual_fmac_f32 v21, v27, v20 :: v_dual_mul_f32 v20, v24, v45
	v_mul_f32_e32 v89, v24, v43
	v_mul_f32_e32 v26, v29, v43
	;; [unrolled: 1-line block ×4, first 2 shown]
	v_fmac_f32_e32 v20, v25, v44
	v_fmac_f32_e32 v89, v25, v42
	v_dual_mul_f32 v25, v28, v45 :: v_dual_fmac_f32 v86, v31, v46
	v_fma_f32 v84, v24, v42, -v88
	v_fma_f32 v24, v24, v44, -v90
	v_dual_mul_f32 v45, v31, v47 :: v_dual_mul_f32 v90, v33, v57
	v_fma_f32 v26, v28, v42, -v26
	v_fma_f32 v28, v28, v44, -v43
	v_fmac_f32_e32 v25, v29, v44
	v_dual_mul_f32 v43, v50, v47 :: v_dual_mul_f32 v44, v51, v49
	v_dual_fmac_f32 v27, v29, v42 :: v_dual_mul_f32 v42, v51, v47
	v_dual_mul_f32 v88, v32, v55 :: v_dual_mul_f32 v29, v30, v49
	v_mul_f32_e32 v87, v31, v49
	v_fma_f32 v45, v30, v46, -v45
	v_add_f32_e32 v10, v10, v85
	s_delay_alu instid0(VALU_DEP_4)
	v_dual_fmac_f32 v88, v33, v54 :: v_dual_fmac_f32 v29, v31, v48
	v_fma_f32 v31, v50, v46, -v42
	v_fma_f32 v42, v50, v48, -v44
	v_mul_f32_e32 v44, v32, v57
	v_mul_f32_e32 v47, v50, v49
	v_dual_mul_f32 v50, v53, v57 :: v_dual_fmac_f32 v43, v51, v46
	v_mul_f32_e32 v46, v53, v55
	v_mul_f32_e32 v49, v33, v55
	v_fma_f32 v30, v30, v48, -v87
	v_fmac_f32_e32 v44, v33, v56
	v_dual_fmac_f32 v47, v51, v48 :: v_dual_mul_f32 v48, v52, v55
	v_mul_f32_e32 v33, v52, v57
	v_fma_f32 v46, v52, v54, -v46
	v_fma_f32 v50, v52, v56, -v50
	v_mul_f32_e32 v52, v34, v61
	v_fma_f32 v49, v32, v54, -v49
	v_fma_f32 v32, v32, v56, -v90
	v_dual_mul_f32 v51, v35, v59 :: v_dual_fmac_f32 v48, v53, v54
	v_mul_f32_e32 v54, v70, v59
	v_dual_mul_f32 v55, v34, v59 :: v_dual_fmac_f32 v52, v35, v60
	v_fmac_f32_e32 v33, v53, v56
	v_mul_f32_e32 v53, v71, v59
	v_mul_f32_e32 v56, v71, v61
	;; [unrolled: 1-line block ×3, first 2 shown]
	v_fmac_f32_e32 v54, v71, v58
	v_fmac_f32_e32 v55, v35, v58
	v_fma_f32 v35, v70, v58, -v53
	v_fma_f32 v53, v70, v60, -v56
	v_mul_f32_e32 v56, v36, v65
	v_mul_f32_e32 v59, v70, v61
	v_fma_f32 v51, v34, v58, -v51
	v_mul_f32_e32 v58, v72, v63
	v_mul_f32_e32 v87, v36, v63
	;; [unrolled: 1-line block ×4, first 2 shown]
	v_fma_f32 v34, v34, v60, -v57
	v_mul_f32_e32 v57, v73, v63
	v_fmac_f32_e32 v56, v37, v64
	v_dual_fmac_f32 v59, v71, v60 :: v_dual_mul_f32 v60, v73, v65
	v_mul_f32_e32 v63, v39, v67
	v_mul_f32_e32 v70, v39, v69
	v_fmac_f32_e32 v58, v73, v62
	v_fmac_f32_e32 v87, v37, v62
	v_mul_f32_e32 v37, v72, v65
	v_fma_f32 v61, v36, v62, -v61
	v_fma_f32 v36, v36, v64, -v90
	v_mul_f32_e32 v65, v38, v67
	v_fma_f32 v57, v72, v62, -v57
	v_fma_f32 v60, v72, v64, -v60
	v_dual_fmac_f32 v37, v73, v64 :: v_dual_mul_f32 v62, v38, v69
	v_mul_f32_e32 v64, v75, v67
	v_mul_f32_e32 v73, v40, v79
	v_fma_f32 v63, v38, v66, -v63
	v_fma_f32 v38, v38, v68, -v70
	v_mul_f32_e32 v70, v76, v79
	v_mul_f32_e32 v67, v74, v67
	v_dual_mul_f32 v71, v75, v69 :: v_dual_add_f32 v16, v16, v82
	v_dual_mul_f32 v69, v74, v69 :: v_dual_add_f32 v8, v8, v19
	v_fmac_f32_e32 v65, v39, v66
	v_fmac_f32_e32 v62, v39, v68
	s_delay_alu instid0(VALU_DEP_4)
	v_add_f32_e32 v16, v16, v84
	v_fma_f32 v39, v74, v66, -v64
	v_fmac_f32_e32 v70, v77, v78
	v_dual_fmac_f32 v67, v75, v66 :: v_dual_add_f32 v10, v10, v20
	v_mul_f32_e32 v66, v40, v81
	v_mul_f32_e32 v72, v41, v79
	;; [unrolled: 1-line block ×3, first 2 shown]
	v_fma_f32 v64, v74, v68, -v71
	v_dual_fmac_f32 v69, v75, v68 :: v_dual_add_f32 v0, v0, v18
	v_dual_mul_f32 v71, v77, v81 :: v_dual_add_f32 v8, v8, v27
	v_fmac_f32_e32 v73, v41, v78
	v_fmac_f32_e32 v66, v41, v80
	s_delay_alu instid0(VALU_DEP_4) | instskip(SKIP_3) | instid1(VALU_DEP_4)
	v_dual_add_f32 v0, v0, v28 :: v_dual_add_f32 v17, v17, v83
	v_add_f32_e32 v10, v10, v29
	v_mul_f32_e32 v41, v76, v81
	v_dual_add_f32 v11, v11, v22 :: v_dual_add_f32 v8, v8, v43
	v_dual_add_f32 v9, v9, v23 :: v_dual_add_f32 v0, v0, v42
	v_add_f32_e32 v1, v1, v21
	v_add_f32_e32 v16, v16, v45
	s_delay_alu instid0(VALU_DEP_4)
	v_add_f32_e32 v8, v8, v48
	v_add_f32_e32 v10, v10, v44
	v_fmac_f32_e32 v41, v77, v80
	v_dual_add_f32 v17, v17, v89 :: v_dual_add_f32 v0, v0, v50
	v_dual_add_f32 v11, v11, v24 :: v_dual_add_f32 v16, v16, v49
	v_add_f32_e32 v9, v9, v26
	v_dual_add_f32 v1, v1, v25 :: v_dual_add_f32 v10, v10, v52
	s_delay_alu instid0(VALU_DEP_4) | instskip(NEXT) | instid1(VALU_DEP_4)
	v_dual_add_f32 v17, v17, v86 :: v_dual_add_f32 v0, v0, v53
	v_dual_add_f32 v16, v16, v51 :: v_dual_add_f32 v11, v11, v30
	s_delay_alu instid0(VALU_DEP_4) | instskip(NEXT) | instid1(VALU_DEP_4)
	v_dual_add_f32 v9, v9, v31 :: v_dual_add_f32 v8, v8, v54
	v_dual_add_f32 v1, v1, v47 :: v_dual_add_f32 v10, v10, v56
	s_delay_alu instid0(VALU_DEP_4) | instskip(NEXT) | instid1(VALU_DEP_3)
	v_add_f32_e32 v17, v17, v88
	v_dual_add_f32 v9, v9, v46 :: v_dual_add_f32 v0, v0, v60
	s_delay_alu instid0(VALU_DEP_3) | instskip(SKIP_2) | instid1(VALU_DEP_3)
	v_dual_add_f32 v1, v1, v33 :: v_dual_add_f32 v10, v10, v62
	v_dual_add_f32 v16, v16, v61 :: v_dual_add_f32 v11, v11, v32
	v_fma_f32 v72, v40, v78, -v72
	v_dual_add_f32 v1, v1, v59 :: v_dual_add_f32 v10, v10, v66
	v_dual_add_f32 v8, v8, v58 :: v_dual_add_f32 v17, v17, v55
	v_add_f32_e32 v0, v0, v64
	v_dual_add_f32 v16, v16, v63 :: v_dual_add_f32 v11, v11, v34
	s_delay_alu instid0(VALU_DEP_3) | instskip(SKIP_2) | instid1(VALU_DEP_4)
	v_add_f32_e32 v8, v8, v67
	v_add_f32_e32 v9, v9, v35
	v_mul_f32_e32 v68, v77, v79
	v_add_f32_e32 v16, v16, v72
	v_fma_f32 v71, v76, v80, -v71
	v_dual_add_f32 v17, v17, v87 :: v_dual_add_f32 v8, v8, v70
	v_add_f32_e32 v11, v11, v36
	s_delay_alu instid0(VALU_DEP_3)
	v_dual_add_f32 v9, v9, v57 :: v_dual_add_f32 v0, v0, v71
	v_add_f32_e32 v1, v1, v37
	v_fma_f32 v40, v40, v80, -v90
	v_fma_f32 v68, v76, v78, -v68
	v_add_f32_e32 v17, v17, v65
	v_add_f32_e32 v11, v11, v38
	;; [unrolled: 1-line block ×4, first 2 shown]
	s_delay_alu instid0(VALU_DEP_4) | instskip(NEXT) | instid1(VALU_DEP_4)
	v_add_f32_e32 v17, v17, v73
	v_add_f32_e32 v11, v11, v40
	s_delay_alu instid0(VALU_DEP_4) | instskip(NEXT) | instid1(VALU_DEP_4)
	v_add_f32_e32 v9, v9, v68
	v_add_f32_e32 v1, v1, v41
	s_cbranch_vccz .LBB1702_2
.LBB1702_3:
	v_add_nc_u32_e32 v7, s19, v7
	s_load_b32 s4, s[0:1], 0x0
	s_delay_alu instid0(VALU_DEP_1) | instskip(SKIP_2) | instid1(VALU_DEP_3)
	v_ashrrev_i32_e32 v2, 31, v7
	v_mul_lo_u32 v5, v7, s7
	v_mad_u64_u32 v[3:4], null, v7, s6, 0
	v_mul_lo_u32 v2, v2, s6
	s_delay_alu instid0(VALU_DEP_1) | instskip(SKIP_1) | instid1(VALU_DEP_2)
	v_add3_u32 v4, v4, v5, v2
	v_add_nc_u32_e32 v2, s18, v6
	v_lshlrev_b64 v[3:4], 3, v[3:4]
	s_delay_alu instid0(VALU_DEP_2) | instskip(SKIP_2) | instid1(VALU_DEP_3)
	v_cmp_le_i32_e64 s0, v7, v2
	s_waitcnt lgkmcnt(0)
	v_cmp_gt_i32_e32 vcc_lo, s4, v2
	v_add_co_u32 v6, s1, s2, v3
	s_delay_alu instid0(VALU_DEP_1) | instskip(SKIP_1) | instid1(SALU_CYCLE_1)
	v_add_co_ci_u32_e64 v12, s1, s3, v4, s1
	s_and_b32 s0, s0, vcc_lo
	s_and_saveexec_b32 s1, s0
	s_cbranch_execz .LBB1702_6
; %bb.4:
	v_ashrrev_i32_e32 v3, 31, v2
	s_delay_alu instid0(VALU_DEP_1) | instskip(NEXT) | instid1(VALU_DEP_1)
	v_lshlrev_b64 v[3:4], 3, v[2:3]
	v_add_co_u32 v3, s0, v6, v3
	s_delay_alu instid0(VALU_DEP_1)
	v_add_co_ci_u32_e64 v4, s0, v12, v4, s0
	v_cmp_eq_u32_e64 s0, v7, v2
	global_load_b64 v[13:14], v[3:4], off
	s_waitcnt vmcnt(0)
	v_dual_sub_f32 v13, v16, v13 :: v_dual_sub_f32 v14, v17, v14
	global_store_b64 v[3:4], v[13:14], off
	s_and_b32 exec_lo, exec_lo, s0
	s_cbranch_execz .LBB1702_6
; %bb.5:
	v_mov_b32_e32 v5, 0
	global_store_b32 v[3:4], v5, off offset:4
.LBB1702_6:
	s_or_b32 exec_lo, exec_lo, s1
	v_add_nc_u32_e32 v4, 16, v2
	s_delay_alu instid0(VALU_DEP_1) | instskip(SKIP_1) | instid1(VALU_DEP_1)
	v_cmp_le_i32_e64 s1, v7, v4
	v_cmp_gt_i32_e64 s0, s4, v4
	s_and_b32 s1, s1, s0
	s_delay_alu instid0(SALU_CYCLE_1)
	s_and_saveexec_b32 s4, s1
	s_cbranch_execz .LBB1702_9
; %bb.7:
	v_ashrrev_i32_e32 v5, 31, v4
	s_delay_alu instid0(VALU_DEP_1) | instskip(NEXT) | instid1(VALU_DEP_1)
	v_lshlrev_b64 v[13:14], 3, v[4:5]
	v_add_co_u32 v5, s1, v6, v13
	s_delay_alu instid0(VALU_DEP_1)
	v_add_co_ci_u32_e64 v6, s1, v12, v14, s1
	v_cmp_eq_u32_e64 s1, v7, v4
	global_load_b64 v[12:13], v[5:6], off
	s_waitcnt vmcnt(0)
	v_dual_sub_f32 v11, v11, v12 :: v_dual_sub_f32 v12, v10, v13
	global_store_b64 v[5:6], v[11:12], off
	s_and_b32 exec_lo, exec_lo, s1
	s_cbranch_execz .LBB1702_9
; %bb.8:
	v_mov_b32_e32 v3, 0
	global_store_b32 v[5:6], v3, off offset:4
.LBB1702_9:
	s_or_b32 exec_lo, exec_lo, s4
	v_add_nc_u32_e32 v10, 16, v7
	s_delay_alu instid0(VALU_DEP_1) | instskip(SKIP_3) | instid1(VALU_DEP_4)
	v_ashrrev_i32_e32 v3, 31, v10
	v_mul_lo_u32 v11, v10, s7
	v_mad_u64_u32 v[5:6], null, v10, s6, 0
	v_cmp_le_i32_e64 s1, v10, v2
	v_mul_lo_u32 v3, v3, s6
	s_delay_alu instid0(VALU_DEP_1) | instskip(NEXT) | instid1(VALU_DEP_1)
	v_add3_u32 v6, v6, v11, v3
	v_lshlrev_b64 v[5:6], 3, v[5:6]
	s_delay_alu instid0(VALU_DEP_1) | instskip(NEXT) | instid1(VALU_DEP_1)
	v_add_co_u32 v11, s2, s2, v5
	v_add_co_ci_u32_e64 v12, s2, s3, v6, s2
	s_and_b32 s2, s1, vcc_lo
	s_delay_alu instid0(SALU_CYCLE_1)
	s_and_saveexec_b32 s1, s2
	s_cbranch_execz .LBB1702_12
; %bb.10:
	v_ashrrev_i32_e32 v3, 31, v2
	s_delay_alu instid0(VALU_DEP_1) | instskip(NEXT) | instid1(VALU_DEP_1)
	v_lshlrev_b64 v[5:6], 3, v[2:3]
	v_add_co_u32 v5, vcc_lo, v11, v5
	s_delay_alu instid0(VALU_DEP_2)
	v_add_co_ci_u32_e32 v6, vcc_lo, v12, v6, vcc_lo
	v_cmp_eq_u32_e32 vcc_lo, v10, v2
	global_load_b64 v[13:14], v[5:6], off
	s_waitcnt vmcnt(0)
	v_dual_sub_f32 v13, v9, v13 :: v_dual_sub_f32 v14, v8, v14
	global_store_b64 v[5:6], v[13:14], off
	s_and_b32 exec_lo, exec_lo, vcc_lo
	s_cbranch_execz .LBB1702_12
; %bb.11:
	v_mov_b32_e32 v3, 0
	global_store_b32 v[5:6], v3, off offset:4
.LBB1702_12:
	s_or_b32 exec_lo, exec_lo, s1
	v_cmp_le_i32_e32 vcc_lo, v10, v4
	s_and_b32 s0, vcc_lo, s0
	s_delay_alu instid0(SALU_CYCLE_1)
	s_and_saveexec_b32 s1, s0
	s_cbranch_execz .LBB1702_15
; %bb.13:
	v_ashrrev_i32_e32 v5, 31, v4
	s_delay_alu instid0(VALU_DEP_1) | instskip(NEXT) | instid1(VALU_DEP_1)
	v_lshlrev_b64 v[3:4], 3, v[4:5]
	v_add_co_u32 v3, vcc_lo, v11, v3
	s_delay_alu instid0(VALU_DEP_2)
	v_add_co_ci_u32_e32 v4, vcc_lo, v12, v4, vcc_lo
	v_cmp_eq_u32_e32 vcc_lo, v7, v2
	global_load_b64 v[5:6], v[3:4], off
	s_waitcnt vmcnt(0)
	v_dual_sub_f32 v0, v0, v5 :: v_dual_sub_f32 v1, v1, v6
	global_store_b64 v[3:4], v[0:1], off
	s_and_b32 exec_lo, exec_lo, vcc_lo
	s_cbranch_execz .LBB1702_15
; %bb.14:
	v_mov_b32_e32 v0, 0
	global_store_b32 v[3:4], v0, off offset:4
.LBB1702_15:
	s_nop 0
	s_sendmsg sendmsg(MSG_DEALLOC_VGPRS)
	s_endpgm
	.section	.rodata,"a",@progbits
	.p2align	6, 0x0
	.amdhsa_kernel _ZL37rocblas_syrkx_herkx_restricted_kernelIl19rocblas_complex_numIfELi16ELi32ELi8ELi1ELin1ELb1ELc84ELc76EKPKS1_KPS1_EviT_PT9_S7_lS9_S7_lPT10_S7_li
		.amdhsa_group_segment_fixed_size 4096
		.amdhsa_private_segment_fixed_size 0
		.amdhsa_kernarg_size 92
		.amdhsa_user_sgpr_count 13
		.amdhsa_user_sgpr_dispatch_ptr 0
		.amdhsa_user_sgpr_queue_ptr 0
		.amdhsa_user_sgpr_kernarg_segment_ptr 1
		.amdhsa_user_sgpr_dispatch_id 0
		.amdhsa_user_sgpr_private_segment_size 0
		.amdhsa_wavefront_size32 1
		.amdhsa_uses_dynamic_stack 0
		.amdhsa_enable_private_segment 0
		.amdhsa_system_sgpr_workgroup_id_x 1
		.amdhsa_system_sgpr_workgroup_id_y 1
		.amdhsa_system_sgpr_workgroup_id_z 1
		.amdhsa_system_sgpr_workgroup_info 0
		.amdhsa_system_vgpr_workitem_id 1
		.amdhsa_next_free_vgpr 91
		.amdhsa_next_free_sgpr 20
		.amdhsa_reserve_vcc 1
		.amdhsa_float_round_mode_32 0
		.amdhsa_float_round_mode_16_64 0
		.amdhsa_float_denorm_mode_32 3
		.amdhsa_float_denorm_mode_16_64 3
		.amdhsa_dx10_clamp 1
		.amdhsa_ieee_mode 1
		.amdhsa_fp16_overflow 0
		.amdhsa_workgroup_processor_mode 1
		.amdhsa_memory_ordered 1
		.amdhsa_forward_progress 0
		.amdhsa_shared_vgpr_count 0
		.amdhsa_exception_fp_ieee_invalid_op 0
		.amdhsa_exception_fp_denorm_src 0
		.amdhsa_exception_fp_ieee_div_zero 0
		.amdhsa_exception_fp_ieee_overflow 0
		.amdhsa_exception_fp_ieee_underflow 0
		.amdhsa_exception_fp_ieee_inexact 0
		.amdhsa_exception_int_div_zero 0
	.end_amdhsa_kernel
	.section	.text._ZL37rocblas_syrkx_herkx_restricted_kernelIl19rocblas_complex_numIfELi16ELi32ELi8ELi1ELin1ELb1ELc84ELc76EKPKS1_KPS1_EviT_PT9_S7_lS9_S7_lPT10_S7_li,"axG",@progbits,_ZL37rocblas_syrkx_herkx_restricted_kernelIl19rocblas_complex_numIfELi16ELi32ELi8ELi1ELin1ELb1ELc84ELc76EKPKS1_KPS1_EviT_PT9_S7_lS9_S7_lPT10_S7_li,comdat
.Lfunc_end1702:
	.size	_ZL37rocblas_syrkx_herkx_restricted_kernelIl19rocblas_complex_numIfELi16ELi32ELi8ELi1ELin1ELb1ELc84ELc76EKPKS1_KPS1_EviT_PT9_S7_lS9_S7_lPT10_S7_li, .Lfunc_end1702-_ZL37rocblas_syrkx_herkx_restricted_kernelIl19rocblas_complex_numIfELi16ELi32ELi8ELi1ELin1ELb1ELc84ELc76EKPKS1_KPS1_EviT_PT9_S7_lS9_S7_lPT10_S7_li
                                        ; -- End function
	.section	.AMDGPU.csdata,"",@progbits
; Kernel info:
; codeLenInByte = 2308
; NumSgprs: 22
; NumVgprs: 91
; ScratchSize: 0
; MemoryBound: 0
; FloatMode: 240
; IeeeMode: 1
; LDSByteSize: 4096 bytes/workgroup (compile time only)
; SGPRBlocks: 2
; VGPRBlocks: 11
; NumSGPRsForWavesPerEU: 22
; NumVGPRsForWavesPerEU: 91
; Occupancy: 16
; WaveLimiterHint : 1
; COMPUTE_PGM_RSRC2:SCRATCH_EN: 0
; COMPUTE_PGM_RSRC2:USER_SGPR: 13
; COMPUTE_PGM_RSRC2:TRAP_HANDLER: 0
; COMPUTE_PGM_RSRC2:TGID_X_EN: 1
; COMPUTE_PGM_RSRC2:TGID_Y_EN: 1
; COMPUTE_PGM_RSRC2:TGID_Z_EN: 1
; COMPUTE_PGM_RSRC2:TIDIG_COMP_CNT: 1
	.section	.text._ZL37rocblas_syrkx_herkx_restricted_kernelIl19rocblas_complex_numIfELi16ELi32ELi8ELi1ELin1ELb1ELc67ELc76EKPKS1_KPS1_EviT_PT9_S7_lS9_S7_lPT10_S7_li,"axG",@progbits,_ZL37rocblas_syrkx_herkx_restricted_kernelIl19rocblas_complex_numIfELi16ELi32ELi8ELi1ELin1ELb1ELc67ELc76EKPKS1_KPS1_EviT_PT9_S7_lS9_S7_lPT10_S7_li,comdat
	.globl	_ZL37rocblas_syrkx_herkx_restricted_kernelIl19rocblas_complex_numIfELi16ELi32ELi8ELi1ELin1ELb1ELc67ELc76EKPKS1_KPS1_EviT_PT9_S7_lS9_S7_lPT10_S7_li ; -- Begin function _ZL37rocblas_syrkx_herkx_restricted_kernelIl19rocblas_complex_numIfELi16ELi32ELi8ELi1ELin1ELb1ELc67ELc76EKPKS1_KPS1_EviT_PT9_S7_lS9_S7_lPT10_S7_li
	.p2align	8
	.type	_ZL37rocblas_syrkx_herkx_restricted_kernelIl19rocblas_complex_numIfELi16ELi32ELi8ELi1ELin1ELb1ELc67ELc76EKPKS1_KPS1_EviT_PT9_S7_lS9_S7_lPT10_S7_li,@function
_ZL37rocblas_syrkx_herkx_restricted_kernelIl19rocblas_complex_numIfELi16ELi32ELi8ELi1ELin1ELb1ELc67ELc76EKPKS1_KPS1_EviT_PT9_S7_lS9_S7_lPT10_S7_li: ; @_ZL37rocblas_syrkx_herkx_restricted_kernelIl19rocblas_complex_numIfELi16ELi32ELi8ELi1ELin1ELb1ELc67ELc76EKPKS1_KPS1_EviT_PT9_S7_lS9_S7_lPT10_S7_li
; %bb.0:
	s_clause 0x1
	s_load_b128 s[4:7], s[0:1], 0x40
	s_load_b128 s[8:11], s[0:1], 0x8
	s_mov_b32 s2, s15
	s_mov_b32 s3, 0
	v_dual_mov_b32 v17, 0 :: v_dual_and_b32 v6, 0x3ff, v0
	s_lshl_b64 s[16:17], s[2:3], 3
	v_bfe_u32 v7, v0, 10, 10
	v_dual_mov_b32 v16, 0 :: v_dual_mov_b32 v11, 0
	v_dual_mov_b32 v10, 0 :: v_dual_mov_b32 v9, 0
	;; [unrolled: 1-line block ×3, first 2 shown]
	v_mov_b32_e32 v0, 0
	s_waitcnt lgkmcnt(0)
	s_add_u32 s2, s4, s16
	s_addc_u32 s3, s5, s17
	v_cmp_lt_i64_e64 s4, s[8:9], 1
	s_load_b64 s[2:3], s[2:3], 0x0
	s_lshl_b32 s18, s13, 5
	s_lshl_b32 s19, s14, 5
	s_delay_alu instid0(VALU_DEP_1)
	s_and_b32 vcc_lo, exec_lo, s4
	s_cbranch_vccnz .LBB1703_3
; %bb.1:
	s_clause 0x1
	s_load_b128 s[12:15], s[0:1], 0x28
	s_load_b64 s[4:5], s[0:1], 0x18
	v_lshl_add_u32 v2, v7, 4, v6
	v_dual_mov_b32 v1, 0 :: v_dual_and_b32 v0, 7, v6
	s_add_u32 s10, s10, s16
	s_addc_u32 s11, s11, s17
	s_delay_alu instid0(VALU_DEP_2)
	v_lshrrev_b32_e32 v10, 3, v2
	v_and_b32_e32 v11, 31, v2
	v_lshrrev_b32_e32 v2, 5, v2
	v_mov_b32_e32 v3, v1
	s_load_b64 s[10:11], s[10:11], 0x0
	v_add_nc_u32_e32 v12, s19, v10
	v_add_nc_u32_e32 v8, s18, v11
	v_dual_mov_b32 v16, v1 :: v_dual_lshlrev_b32 v11, 3, v11
	v_mov_b32_e32 v17, v1
	s_delay_alu instid0(VALU_DEP_4) | instskip(NEXT) | instid1(VALU_DEP_4)
	v_ashrrev_i32_e32 v4, 31, v12
	v_ashrrev_i32_e32 v5, 31, v8
	s_waitcnt lgkmcnt(0)
	s_add_u32 s12, s12, s16
	s_addc_u32 s13, s13, s17
	v_mul_lo_u32 v13, v4, s14
	v_mul_lo_u32 v14, s4, v5
	v_mad_u64_u32 v[4:5], null, s4, v8, v[2:3]
	v_mul_lo_u32 v3, s5, v8
	s_load_b64 s[4:5], s[12:13], 0x0
	v_mul_lo_u32 v15, v12, s15
	v_mad_u64_u32 v[8:9], null, v12, s14, v[0:1]
	v_lshlrev_b32_e32 v0, 3, v0
	v_lshlrev_b32_e32 v12, 3, v6
	v_add3_u32 v5, v3, v5, v14
	v_lshl_or_b32 v14, v2, 8, v11
	v_mov_b32_e32 v11, v1
	v_add3_u32 v9, v13, v9, v15
	v_lshl_or_b32 v0, v10, 6, v0
	v_lshlrev_b64 v[3:4], 3, v[4:5]
	v_lshl_add_u32 v13, v7, 6, 0x800
	v_mov_b32_e32 v10, v1
	v_lshlrev_b64 v[8:9], 3, v[8:9]
	v_add_nc_u32_e32 v15, 0x800, v0
	v_add_co_u32 v0, vcc_lo, v3, s10
	v_add_co_ci_u32_e32 v3, vcc_lo, s11, v4, vcc_lo
	s_waitcnt lgkmcnt(0)
	s_delay_alu instid0(VALU_DEP_4) | instskip(SKIP_3) | instid1(VALU_DEP_4)
	v_add_co_u32 v4, vcc_lo, v8, s4
	v_add_co_ci_u32_e32 v5, vcc_lo, s5, v9, vcc_lo
	v_add_co_u32 v2, vcc_lo, v0, 4
	v_add_co_ci_u32_e32 v3, vcc_lo, 0, v3, vcc_lo
	v_add_co_u32 v4, vcc_lo, v4, 4
	s_delay_alu instid0(VALU_DEP_4)
	v_add_co_ci_u32_e32 v5, vcc_lo, 0, v5, vcc_lo
	v_mov_b32_e32 v0, v1
	v_mov_b32_e32 v8, v1
	;; [unrolled: 1-line block ×3, first 2 shown]
	s_mov_b64 s[4:5], 0
.LBB1703_2:                             ; =>This Inner Loop Header: Depth=1
	global_load_b64 v[18:19], v[2:3], off offset:-4
	global_load_b64 v[20:21], v[4:5], off offset:-4
	s_add_u32 s4, s4, 8
	v_add_co_u32 v2, vcc_lo, v2, 64
	s_addc_u32 s5, s5, 0
	v_add_co_ci_u32_e32 v3, vcc_lo, 0, v3, vcc_lo
	v_cmp_ge_u64_e64 s10, s[4:5], s[8:9]
	v_add_co_u32 v4, vcc_lo, v4, 64
	v_add_co_ci_u32_e32 v5, vcc_lo, 0, v5, vcc_lo
	s_delay_alu instid0(VALU_DEP_3)
	s_and_b32 vcc_lo, exec_lo, s10
	s_waitcnt vmcnt(1)
	v_xor_b32_e32 v19, 0x80000000, v19
	ds_store_b64 v14, v[18:19]
	s_waitcnt vmcnt(0)
	ds_store_b64 v15, v[20:21]
	s_waitcnt lgkmcnt(0)
	s_barrier
	buffer_gl0_inv
	ds_load_2addr_b64 v[18:21], v12 offset1:16
	ds_load_b128 v[22:25], v13
	ds_load_b128 v[26:29], v13 offset:1024
	ds_load_b128 v[30:33], v13 offset:16
	;; [unrolled: 1-line block ×4, first 2 shown]
	ds_load_2addr_b64 v[42:45], v12 offset0:32 offset1:48
	ds_load_2addr_b64 v[46:49], v12 offset0:64 offset1:80
	ds_load_b128 v[50:53], v13 offset:1040
	ds_load_2addr_b64 v[54:57], v12 offset0:96 offset1:112
	ds_load_2addr_b64 v[58:61], v12 offset0:128 offset1:144
	;; [unrolled: 1-line block ×4, first 2 shown]
	ds_load_b128 v[70:73], v13 offset:1056
	ds_load_b128 v[74:77], v13 offset:1072
	ds_load_2addr_b64 v[78:81], v12 offset0:224 offset1:240
	s_waitcnt lgkmcnt(0)
	s_barrier
	buffer_gl0_inv
	v_dual_mul_f32 v82, v23, v19 :: v_dual_mul_f32 v85, v22, v21
	v_dual_mul_f32 v83, v22, v19 :: v_dual_mul_f32 v84, v23, v21
	v_mul_f32_e32 v86, v27, v19
	v_dual_mul_f32 v19, v26, v19 :: v_dual_mul_f32 v90, v25, v45
	v_dual_mul_f32 v87, v27, v21 :: v_dual_mul_f32 v88, v25, v43
	v_mul_f32_e32 v21, v26, v21
	v_fma_f32 v82, v22, v18, -v82
	v_fmac_f32_e32 v83, v23, v18
	v_fma_f32 v22, v22, v20, -v84
	v_fmac_f32_e32 v85, v23, v20
	v_fma_f32 v23, v26, v18, -v86
	v_dual_fmac_f32 v19, v27, v18 :: v_dual_mul_f32 v86, v30, v47
	v_fma_f32 v18, v26, v20, -v87
	v_dual_fmac_f32 v21, v27, v20 :: v_dual_mul_f32 v20, v24, v45
	v_mul_f32_e32 v89, v24, v43
	v_mul_f32_e32 v26, v29, v43
	;; [unrolled: 1-line block ×4, first 2 shown]
	v_fmac_f32_e32 v20, v25, v44
	v_fmac_f32_e32 v89, v25, v42
	v_dual_mul_f32 v25, v28, v45 :: v_dual_fmac_f32 v86, v31, v46
	v_fma_f32 v84, v24, v42, -v88
	v_fma_f32 v24, v24, v44, -v90
	v_dual_mul_f32 v45, v31, v47 :: v_dual_mul_f32 v90, v33, v57
	v_fma_f32 v26, v28, v42, -v26
	v_fma_f32 v28, v28, v44, -v43
	v_fmac_f32_e32 v25, v29, v44
	v_dual_mul_f32 v43, v50, v47 :: v_dual_mul_f32 v44, v51, v49
	v_dual_fmac_f32 v27, v29, v42 :: v_dual_mul_f32 v42, v51, v47
	v_dual_mul_f32 v88, v32, v55 :: v_dual_mul_f32 v29, v30, v49
	v_mul_f32_e32 v87, v31, v49
	v_fma_f32 v45, v30, v46, -v45
	v_add_f32_e32 v10, v10, v85
	s_delay_alu instid0(VALU_DEP_4)
	v_dual_fmac_f32 v88, v33, v54 :: v_dual_fmac_f32 v29, v31, v48
	v_fma_f32 v31, v50, v46, -v42
	v_fma_f32 v42, v50, v48, -v44
	v_mul_f32_e32 v44, v32, v57
	v_mul_f32_e32 v47, v50, v49
	v_dual_mul_f32 v50, v53, v57 :: v_dual_fmac_f32 v43, v51, v46
	v_mul_f32_e32 v46, v53, v55
	v_mul_f32_e32 v49, v33, v55
	v_fma_f32 v30, v30, v48, -v87
	v_fmac_f32_e32 v44, v33, v56
	v_dual_fmac_f32 v47, v51, v48 :: v_dual_mul_f32 v48, v52, v55
	v_mul_f32_e32 v33, v52, v57
	v_fma_f32 v46, v52, v54, -v46
	v_fma_f32 v50, v52, v56, -v50
	v_mul_f32_e32 v52, v34, v61
	v_fma_f32 v49, v32, v54, -v49
	v_fma_f32 v32, v32, v56, -v90
	v_dual_mul_f32 v51, v35, v59 :: v_dual_fmac_f32 v48, v53, v54
	v_mul_f32_e32 v54, v70, v59
	v_dual_mul_f32 v55, v34, v59 :: v_dual_fmac_f32 v52, v35, v60
	v_fmac_f32_e32 v33, v53, v56
	v_mul_f32_e32 v53, v71, v59
	v_mul_f32_e32 v56, v71, v61
	;; [unrolled: 1-line block ×3, first 2 shown]
	v_fmac_f32_e32 v54, v71, v58
	v_fmac_f32_e32 v55, v35, v58
	v_fma_f32 v35, v70, v58, -v53
	v_fma_f32 v53, v70, v60, -v56
	v_mul_f32_e32 v56, v36, v65
	v_mul_f32_e32 v59, v70, v61
	v_fma_f32 v51, v34, v58, -v51
	v_mul_f32_e32 v58, v72, v63
	v_mul_f32_e32 v87, v36, v63
	;; [unrolled: 1-line block ×4, first 2 shown]
	v_fma_f32 v34, v34, v60, -v57
	v_mul_f32_e32 v57, v73, v63
	v_fmac_f32_e32 v56, v37, v64
	v_dual_fmac_f32 v59, v71, v60 :: v_dual_mul_f32 v60, v73, v65
	v_mul_f32_e32 v63, v39, v67
	v_mul_f32_e32 v70, v39, v69
	v_fmac_f32_e32 v58, v73, v62
	v_fmac_f32_e32 v87, v37, v62
	v_mul_f32_e32 v37, v72, v65
	v_fma_f32 v61, v36, v62, -v61
	v_fma_f32 v36, v36, v64, -v90
	v_mul_f32_e32 v65, v38, v67
	v_fma_f32 v57, v72, v62, -v57
	v_fma_f32 v60, v72, v64, -v60
	v_dual_fmac_f32 v37, v73, v64 :: v_dual_mul_f32 v62, v38, v69
	v_mul_f32_e32 v64, v75, v67
	v_mul_f32_e32 v73, v40, v79
	v_fma_f32 v63, v38, v66, -v63
	v_fma_f32 v38, v38, v68, -v70
	v_mul_f32_e32 v70, v76, v79
	v_mul_f32_e32 v67, v74, v67
	v_dual_mul_f32 v71, v75, v69 :: v_dual_add_f32 v16, v16, v82
	v_dual_mul_f32 v69, v74, v69 :: v_dual_add_f32 v8, v8, v19
	v_fmac_f32_e32 v65, v39, v66
	v_fmac_f32_e32 v62, v39, v68
	s_delay_alu instid0(VALU_DEP_4)
	v_add_f32_e32 v16, v16, v84
	v_fma_f32 v39, v74, v66, -v64
	v_fmac_f32_e32 v70, v77, v78
	v_dual_fmac_f32 v67, v75, v66 :: v_dual_add_f32 v10, v10, v20
	v_mul_f32_e32 v66, v40, v81
	v_mul_f32_e32 v72, v41, v79
	;; [unrolled: 1-line block ×3, first 2 shown]
	v_fma_f32 v64, v74, v68, -v71
	v_dual_fmac_f32 v69, v75, v68 :: v_dual_add_f32 v0, v0, v18
	v_dual_mul_f32 v71, v77, v81 :: v_dual_add_f32 v8, v8, v27
	v_fmac_f32_e32 v73, v41, v78
	v_fmac_f32_e32 v66, v41, v80
	s_delay_alu instid0(VALU_DEP_4) | instskip(SKIP_3) | instid1(VALU_DEP_4)
	v_dual_add_f32 v0, v0, v28 :: v_dual_add_f32 v17, v17, v83
	v_add_f32_e32 v10, v10, v29
	v_mul_f32_e32 v41, v76, v81
	v_dual_add_f32 v11, v11, v22 :: v_dual_add_f32 v8, v8, v43
	v_dual_add_f32 v9, v9, v23 :: v_dual_add_f32 v0, v0, v42
	v_add_f32_e32 v1, v1, v21
	v_add_f32_e32 v16, v16, v45
	s_delay_alu instid0(VALU_DEP_4)
	v_add_f32_e32 v8, v8, v48
	v_add_f32_e32 v10, v10, v44
	v_fmac_f32_e32 v41, v77, v80
	v_dual_add_f32 v17, v17, v89 :: v_dual_add_f32 v0, v0, v50
	v_dual_add_f32 v11, v11, v24 :: v_dual_add_f32 v16, v16, v49
	v_add_f32_e32 v9, v9, v26
	v_dual_add_f32 v1, v1, v25 :: v_dual_add_f32 v10, v10, v52
	s_delay_alu instid0(VALU_DEP_4) | instskip(NEXT) | instid1(VALU_DEP_4)
	v_dual_add_f32 v17, v17, v86 :: v_dual_add_f32 v0, v0, v53
	v_dual_add_f32 v16, v16, v51 :: v_dual_add_f32 v11, v11, v30
	s_delay_alu instid0(VALU_DEP_4) | instskip(NEXT) | instid1(VALU_DEP_4)
	v_dual_add_f32 v9, v9, v31 :: v_dual_add_f32 v8, v8, v54
	v_dual_add_f32 v1, v1, v47 :: v_dual_add_f32 v10, v10, v56
	s_delay_alu instid0(VALU_DEP_4) | instskip(NEXT) | instid1(VALU_DEP_3)
	v_add_f32_e32 v17, v17, v88
	v_dual_add_f32 v9, v9, v46 :: v_dual_add_f32 v0, v0, v60
	s_delay_alu instid0(VALU_DEP_3) | instskip(SKIP_2) | instid1(VALU_DEP_3)
	v_dual_add_f32 v1, v1, v33 :: v_dual_add_f32 v10, v10, v62
	v_dual_add_f32 v16, v16, v61 :: v_dual_add_f32 v11, v11, v32
	v_fma_f32 v72, v40, v78, -v72
	v_dual_add_f32 v1, v1, v59 :: v_dual_add_f32 v10, v10, v66
	v_dual_add_f32 v8, v8, v58 :: v_dual_add_f32 v17, v17, v55
	v_add_f32_e32 v0, v0, v64
	v_dual_add_f32 v16, v16, v63 :: v_dual_add_f32 v11, v11, v34
	s_delay_alu instid0(VALU_DEP_3) | instskip(SKIP_2) | instid1(VALU_DEP_4)
	v_add_f32_e32 v8, v8, v67
	v_add_f32_e32 v9, v9, v35
	v_mul_f32_e32 v68, v77, v79
	v_add_f32_e32 v16, v16, v72
	v_fma_f32 v71, v76, v80, -v71
	v_dual_add_f32 v17, v17, v87 :: v_dual_add_f32 v8, v8, v70
	v_add_f32_e32 v11, v11, v36
	s_delay_alu instid0(VALU_DEP_3)
	v_dual_add_f32 v9, v9, v57 :: v_dual_add_f32 v0, v0, v71
	v_add_f32_e32 v1, v1, v37
	v_fma_f32 v40, v40, v80, -v90
	v_fma_f32 v68, v76, v78, -v68
	v_add_f32_e32 v17, v17, v65
	v_add_f32_e32 v11, v11, v38
	;; [unrolled: 1-line block ×4, first 2 shown]
	s_delay_alu instid0(VALU_DEP_4) | instskip(NEXT) | instid1(VALU_DEP_4)
	v_add_f32_e32 v17, v17, v73
	v_add_f32_e32 v11, v11, v40
	s_delay_alu instid0(VALU_DEP_4) | instskip(NEXT) | instid1(VALU_DEP_4)
	v_add_f32_e32 v9, v9, v68
	v_add_f32_e32 v1, v1, v41
	s_cbranch_vccz .LBB1703_2
.LBB1703_3:
	v_add_nc_u32_e32 v7, s19, v7
	s_load_b32 s4, s[0:1], 0x0
	s_delay_alu instid0(VALU_DEP_1) | instskip(SKIP_2) | instid1(VALU_DEP_3)
	v_ashrrev_i32_e32 v2, 31, v7
	v_mul_lo_u32 v5, v7, s7
	v_mad_u64_u32 v[3:4], null, v7, s6, 0
	v_mul_lo_u32 v2, v2, s6
	s_delay_alu instid0(VALU_DEP_1) | instskip(SKIP_1) | instid1(VALU_DEP_2)
	v_add3_u32 v4, v4, v5, v2
	v_add_nc_u32_e32 v2, s18, v6
	v_lshlrev_b64 v[3:4], 3, v[3:4]
	s_delay_alu instid0(VALU_DEP_2) | instskip(SKIP_2) | instid1(VALU_DEP_3)
	v_cmp_le_i32_e64 s0, v7, v2
	s_waitcnt lgkmcnt(0)
	v_cmp_gt_i32_e32 vcc_lo, s4, v2
	v_add_co_u32 v6, s1, s2, v3
	s_delay_alu instid0(VALU_DEP_1) | instskip(SKIP_1) | instid1(SALU_CYCLE_1)
	v_add_co_ci_u32_e64 v12, s1, s3, v4, s1
	s_and_b32 s0, s0, vcc_lo
	s_and_saveexec_b32 s1, s0
	s_cbranch_execz .LBB1703_6
; %bb.4:
	v_ashrrev_i32_e32 v3, 31, v2
	s_delay_alu instid0(VALU_DEP_1) | instskip(NEXT) | instid1(VALU_DEP_1)
	v_lshlrev_b64 v[3:4], 3, v[2:3]
	v_add_co_u32 v3, s0, v6, v3
	s_delay_alu instid0(VALU_DEP_1)
	v_add_co_ci_u32_e64 v4, s0, v12, v4, s0
	v_cmp_eq_u32_e64 s0, v7, v2
	global_load_b64 v[13:14], v[3:4], off
	s_waitcnt vmcnt(0)
	v_dual_sub_f32 v13, v16, v13 :: v_dual_sub_f32 v14, v17, v14
	global_store_b64 v[3:4], v[13:14], off
	s_and_b32 exec_lo, exec_lo, s0
	s_cbranch_execz .LBB1703_6
; %bb.5:
	v_mov_b32_e32 v5, 0
	global_store_b32 v[3:4], v5, off offset:4
.LBB1703_6:
	s_or_b32 exec_lo, exec_lo, s1
	v_add_nc_u32_e32 v4, 16, v2
	s_delay_alu instid0(VALU_DEP_1) | instskip(SKIP_1) | instid1(VALU_DEP_1)
	v_cmp_le_i32_e64 s1, v7, v4
	v_cmp_gt_i32_e64 s0, s4, v4
	s_and_b32 s1, s1, s0
	s_delay_alu instid0(SALU_CYCLE_1)
	s_and_saveexec_b32 s4, s1
	s_cbranch_execz .LBB1703_9
; %bb.7:
	v_ashrrev_i32_e32 v5, 31, v4
	s_delay_alu instid0(VALU_DEP_1) | instskip(NEXT) | instid1(VALU_DEP_1)
	v_lshlrev_b64 v[13:14], 3, v[4:5]
	v_add_co_u32 v5, s1, v6, v13
	s_delay_alu instid0(VALU_DEP_1)
	v_add_co_ci_u32_e64 v6, s1, v12, v14, s1
	v_cmp_eq_u32_e64 s1, v7, v4
	global_load_b64 v[12:13], v[5:6], off
	s_waitcnt vmcnt(0)
	v_dual_sub_f32 v11, v11, v12 :: v_dual_sub_f32 v12, v10, v13
	global_store_b64 v[5:6], v[11:12], off
	s_and_b32 exec_lo, exec_lo, s1
	s_cbranch_execz .LBB1703_9
; %bb.8:
	v_mov_b32_e32 v3, 0
	global_store_b32 v[5:6], v3, off offset:4
.LBB1703_9:
	s_or_b32 exec_lo, exec_lo, s4
	v_add_nc_u32_e32 v10, 16, v7
	s_delay_alu instid0(VALU_DEP_1) | instskip(SKIP_3) | instid1(VALU_DEP_4)
	v_ashrrev_i32_e32 v3, 31, v10
	v_mul_lo_u32 v11, v10, s7
	v_mad_u64_u32 v[5:6], null, v10, s6, 0
	v_cmp_le_i32_e64 s1, v10, v2
	v_mul_lo_u32 v3, v3, s6
	s_delay_alu instid0(VALU_DEP_1) | instskip(NEXT) | instid1(VALU_DEP_1)
	v_add3_u32 v6, v6, v11, v3
	v_lshlrev_b64 v[5:6], 3, v[5:6]
	s_delay_alu instid0(VALU_DEP_1) | instskip(NEXT) | instid1(VALU_DEP_1)
	v_add_co_u32 v11, s2, s2, v5
	v_add_co_ci_u32_e64 v12, s2, s3, v6, s2
	s_and_b32 s2, s1, vcc_lo
	s_delay_alu instid0(SALU_CYCLE_1)
	s_and_saveexec_b32 s1, s2
	s_cbranch_execz .LBB1703_12
; %bb.10:
	v_ashrrev_i32_e32 v3, 31, v2
	s_delay_alu instid0(VALU_DEP_1) | instskip(NEXT) | instid1(VALU_DEP_1)
	v_lshlrev_b64 v[5:6], 3, v[2:3]
	v_add_co_u32 v5, vcc_lo, v11, v5
	s_delay_alu instid0(VALU_DEP_2)
	v_add_co_ci_u32_e32 v6, vcc_lo, v12, v6, vcc_lo
	v_cmp_eq_u32_e32 vcc_lo, v10, v2
	global_load_b64 v[13:14], v[5:6], off
	s_waitcnt vmcnt(0)
	v_dual_sub_f32 v13, v9, v13 :: v_dual_sub_f32 v14, v8, v14
	global_store_b64 v[5:6], v[13:14], off
	s_and_b32 exec_lo, exec_lo, vcc_lo
	s_cbranch_execz .LBB1703_12
; %bb.11:
	v_mov_b32_e32 v3, 0
	global_store_b32 v[5:6], v3, off offset:4
.LBB1703_12:
	s_or_b32 exec_lo, exec_lo, s1
	v_cmp_le_i32_e32 vcc_lo, v10, v4
	s_and_b32 s0, vcc_lo, s0
	s_delay_alu instid0(SALU_CYCLE_1)
	s_and_saveexec_b32 s1, s0
	s_cbranch_execz .LBB1703_15
; %bb.13:
	v_ashrrev_i32_e32 v5, 31, v4
	s_delay_alu instid0(VALU_DEP_1) | instskip(NEXT) | instid1(VALU_DEP_1)
	v_lshlrev_b64 v[3:4], 3, v[4:5]
	v_add_co_u32 v3, vcc_lo, v11, v3
	s_delay_alu instid0(VALU_DEP_2)
	v_add_co_ci_u32_e32 v4, vcc_lo, v12, v4, vcc_lo
	v_cmp_eq_u32_e32 vcc_lo, v7, v2
	global_load_b64 v[5:6], v[3:4], off
	s_waitcnt vmcnt(0)
	v_dual_sub_f32 v0, v0, v5 :: v_dual_sub_f32 v1, v1, v6
	global_store_b64 v[3:4], v[0:1], off
	s_and_b32 exec_lo, exec_lo, vcc_lo
	s_cbranch_execz .LBB1703_15
; %bb.14:
	v_mov_b32_e32 v0, 0
	global_store_b32 v[3:4], v0, off offset:4
.LBB1703_15:
	s_nop 0
	s_sendmsg sendmsg(MSG_DEALLOC_VGPRS)
	s_endpgm
	.section	.rodata,"a",@progbits
	.p2align	6, 0x0
	.amdhsa_kernel _ZL37rocblas_syrkx_herkx_restricted_kernelIl19rocblas_complex_numIfELi16ELi32ELi8ELi1ELin1ELb1ELc67ELc76EKPKS1_KPS1_EviT_PT9_S7_lS9_S7_lPT10_S7_li
		.amdhsa_group_segment_fixed_size 4096
		.amdhsa_private_segment_fixed_size 0
		.amdhsa_kernarg_size 92
		.amdhsa_user_sgpr_count 13
		.amdhsa_user_sgpr_dispatch_ptr 0
		.amdhsa_user_sgpr_queue_ptr 0
		.amdhsa_user_sgpr_kernarg_segment_ptr 1
		.amdhsa_user_sgpr_dispatch_id 0
		.amdhsa_user_sgpr_private_segment_size 0
		.amdhsa_wavefront_size32 1
		.amdhsa_uses_dynamic_stack 0
		.amdhsa_enable_private_segment 0
		.amdhsa_system_sgpr_workgroup_id_x 1
		.amdhsa_system_sgpr_workgroup_id_y 1
		.amdhsa_system_sgpr_workgroup_id_z 1
		.amdhsa_system_sgpr_workgroup_info 0
		.amdhsa_system_vgpr_workitem_id 1
		.amdhsa_next_free_vgpr 91
		.amdhsa_next_free_sgpr 20
		.amdhsa_reserve_vcc 1
		.amdhsa_float_round_mode_32 0
		.amdhsa_float_round_mode_16_64 0
		.amdhsa_float_denorm_mode_32 3
		.amdhsa_float_denorm_mode_16_64 3
		.amdhsa_dx10_clamp 1
		.amdhsa_ieee_mode 1
		.amdhsa_fp16_overflow 0
		.amdhsa_workgroup_processor_mode 1
		.amdhsa_memory_ordered 1
		.amdhsa_forward_progress 0
		.amdhsa_shared_vgpr_count 0
		.amdhsa_exception_fp_ieee_invalid_op 0
		.amdhsa_exception_fp_denorm_src 0
		.amdhsa_exception_fp_ieee_div_zero 0
		.amdhsa_exception_fp_ieee_overflow 0
		.amdhsa_exception_fp_ieee_underflow 0
		.amdhsa_exception_fp_ieee_inexact 0
		.amdhsa_exception_int_div_zero 0
	.end_amdhsa_kernel
	.section	.text._ZL37rocblas_syrkx_herkx_restricted_kernelIl19rocblas_complex_numIfELi16ELi32ELi8ELi1ELin1ELb1ELc67ELc76EKPKS1_KPS1_EviT_PT9_S7_lS9_S7_lPT10_S7_li,"axG",@progbits,_ZL37rocblas_syrkx_herkx_restricted_kernelIl19rocblas_complex_numIfELi16ELi32ELi8ELi1ELin1ELb1ELc67ELc76EKPKS1_KPS1_EviT_PT9_S7_lS9_S7_lPT10_S7_li,comdat
.Lfunc_end1703:
	.size	_ZL37rocblas_syrkx_herkx_restricted_kernelIl19rocblas_complex_numIfELi16ELi32ELi8ELi1ELin1ELb1ELc67ELc76EKPKS1_KPS1_EviT_PT9_S7_lS9_S7_lPT10_S7_li, .Lfunc_end1703-_ZL37rocblas_syrkx_herkx_restricted_kernelIl19rocblas_complex_numIfELi16ELi32ELi8ELi1ELin1ELb1ELc67ELc76EKPKS1_KPS1_EviT_PT9_S7_lS9_S7_lPT10_S7_li
                                        ; -- End function
	.section	.AMDGPU.csdata,"",@progbits
; Kernel info:
; codeLenInByte = 2320
; NumSgprs: 22
; NumVgprs: 91
; ScratchSize: 0
; MemoryBound: 0
; FloatMode: 240
; IeeeMode: 1
; LDSByteSize: 4096 bytes/workgroup (compile time only)
; SGPRBlocks: 2
; VGPRBlocks: 11
; NumSGPRsForWavesPerEU: 22
; NumVGPRsForWavesPerEU: 91
; Occupancy: 16
; WaveLimiterHint : 1
; COMPUTE_PGM_RSRC2:SCRATCH_EN: 0
; COMPUTE_PGM_RSRC2:USER_SGPR: 13
; COMPUTE_PGM_RSRC2:TRAP_HANDLER: 0
; COMPUTE_PGM_RSRC2:TGID_X_EN: 1
; COMPUTE_PGM_RSRC2:TGID_Y_EN: 1
; COMPUTE_PGM_RSRC2:TGID_Z_EN: 1
; COMPUTE_PGM_RSRC2:TIDIG_COMP_CNT: 1
	.section	.text._ZL37rocblas_syrkx_herkx_restricted_kernelIl19rocblas_complex_numIfELi16ELi32ELi8ELi1ELin1ELb1ELc78ELc76EKPKS1_KPS1_EviT_PT9_S7_lS9_S7_lPT10_S7_li,"axG",@progbits,_ZL37rocblas_syrkx_herkx_restricted_kernelIl19rocblas_complex_numIfELi16ELi32ELi8ELi1ELin1ELb1ELc78ELc76EKPKS1_KPS1_EviT_PT9_S7_lS9_S7_lPT10_S7_li,comdat
	.globl	_ZL37rocblas_syrkx_herkx_restricted_kernelIl19rocblas_complex_numIfELi16ELi32ELi8ELi1ELin1ELb1ELc78ELc76EKPKS1_KPS1_EviT_PT9_S7_lS9_S7_lPT10_S7_li ; -- Begin function _ZL37rocblas_syrkx_herkx_restricted_kernelIl19rocblas_complex_numIfELi16ELi32ELi8ELi1ELin1ELb1ELc78ELc76EKPKS1_KPS1_EviT_PT9_S7_lS9_S7_lPT10_S7_li
	.p2align	8
	.type	_ZL37rocblas_syrkx_herkx_restricted_kernelIl19rocblas_complex_numIfELi16ELi32ELi8ELi1ELin1ELb1ELc78ELc76EKPKS1_KPS1_EviT_PT9_S7_lS9_S7_lPT10_S7_li,@function
_ZL37rocblas_syrkx_herkx_restricted_kernelIl19rocblas_complex_numIfELi16ELi32ELi8ELi1ELin1ELb1ELc78ELc76EKPKS1_KPS1_EviT_PT9_S7_lS9_S7_lPT10_S7_li: ; @_ZL37rocblas_syrkx_herkx_restricted_kernelIl19rocblas_complex_numIfELi16ELi32ELi8ELi1ELin1ELb1ELc78ELc76EKPKS1_KPS1_EviT_PT9_S7_lS9_S7_lPT10_S7_li
; %bb.0:
	s_clause 0x1
	s_load_b128 s[4:7], s[0:1], 0x40
	s_load_b128 s[8:11], s[0:1], 0x8
	s_mov_b32 s2, s15
	s_mov_b32 s3, 0
	v_dual_mov_b32 v15, 0 :: v_dual_and_b32 v4, 0x3ff, v0
	s_lshl_b64 s[16:17], s[2:3], 3
	v_bfe_u32 v6, v0, 10, 10
	v_dual_mov_b32 v16, 0 :: v_dual_mov_b32 v13, 0
	v_dual_mov_b32 v12, 0 :: v_dual_mov_b32 v9, 0
	;; [unrolled: 1-line block ×3, first 2 shown]
	v_mov_b32_e32 v5, 0
	s_waitcnt lgkmcnt(0)
	s_add_u32 s2, s4, s16
	s_addc_u32 s3, s5, s17
	v_cmp_lt_i64_e64 s4, s[8:9], 1
	s_load_b64 s[2:3], s[2:3], 0x0
	s_lshl_b32 s18, s13, 5
	s_lshl_b32 s19, s14, 5
	s_delay_alu instid0(VALU_DEP_1)
	s_and_b32 vcc_lo, exec_lo, s4
	s_cbranch_vccnz .LBB1704_3
; %bb.1:
	v_lshl_add_u32 v1, v6, 4, v4
	s_clause 0x1
	s_load_b64 s[4:5], s[0:1], 0x18
	s_load_b128 s[12:15], s[0:1], 0x28
	s_add_u32 s10, s10, s16
	s_addc_u32 s11, s11, s17
	v_lshl_add_u32 v11, v6, 6, 0x800
	v_dual_mov_b32 v5, 0 :: v_dual_and_b32 v14, 31, v1
	v_lshrrev_b32_e32 v15, 3, v1
	v_lshrrev_b32_e32 v16, 5, v1
	s_load_b64 s[10:11], s[10:11], 0x0
	s_delay_alu instid0(VALU_DEP_3) | instskip(SKIP_2) | instid1(VALU_DEP_3)
	v_add_nc_u32_e32 v0, s18, v14
	v_lshlrev_b32_e32 v14, 3, v14
	v_add_nc_u32_e32 v2, s19, v15
	v_ashrrev_i32_e32 v1, 31, v0
	s_delay_alu instid0(VALU_DEP_2) | instskip(SKIP_1) | instid1(VALU_DEP_2)
	v_ashrrev_i32_e32 v3, 31, v2
	s_waitcnt lgkmcnt(0)
	v_mad_u64_u32 v[12:13], null, v16, s4, v[0:1]
	v_and_b32_e32 v7, 7, v4
	s_add_u32 s12, s12, s16
	s_addc_u32 s13, s13, s17
	s_load_b64 s[12:13], s[12:13], 0x0
	s_delay_alu instid0(VALU_DEP_1) | instskip(NEXT) | instid1(VALU_DEP_3)
	v_mad_u64_u32 v[0:1], null, v7, s14, v[2:3]
	v_mov_b32_e32 v2, v13
	s_delay_alu instid0(VALU_DEP_1) | instskip(NEXT) | instid1(VALU_DEP_3)
	v_mad_u64_u32 v[8:9], null, v16, s5, v[2:3]
	v_mad_u64_u32 v[2:3], null, v7, s15, v[1:2]
	v_lshlrev_b32_e32 v1, 3, v7
	v_dual_mov_b32 v7, 0 :: v_dual_lshlrev_b32 v10, 3, v4
	v_mov_b32_e32 v9, 0
	v_dual_mov_b32 v13, v8 :: v_dual_mov_b32 v8, 0
	s_delay_alu instid0(VALU_DEP_4) | instskip(SKIP_2) | instid1(VALU_DEP_4)
	v_lshl_or_b32 v15, v15, 6, v1
	v_mov_b32_e32 v1, v2
	v_lshl_or_b32 v14, v16, 8, v14
	v_lshlrev_b64 v[2:3], 3, v[12:13]
	s_lshl_b64 s[4:5], s[4:5], 6
	v_add_nc_u32_e32 v17, 0x800, v15
	v_lshlrev_b64 v[0:1], 3, v[0:1]
	v_dual_mov_b32 v15, 0 :: v_dual_mov_b32 v16, 0
	s_delay_alu instid0(VALU_DEP_4) | instskip(SKIP_2) | instid1(VALU_DEP_4)
	v_add_co_u32 v2, vcc_lo, v2, s10
	v_add_co_ci_u32_e32 v3, vcc_lo, s11, v3, vcc_lo
	s_waitcnt lgkmcnt(0)
	v_add_co_u32 v12, vcc_lo, v0, s12
	v_add_co_ci_u32_e32 v13, vcc_lo, s13, v1, vcc_lo
	v_add_co_u32 v0, vcc_lo, v2, 4
	v_add_co_ci_u32_e32 v1, vcc_lo, 0, v3, vcc_lo
	s_delay_alu instid0(VALU_DEP_4)
	v_add_co_u32 v2, vcc_lo, v12, 4
	v_mov_b32_e32 v12, 0
	v_add_co_ci_u32_e32 v3, vcc_lo, 0, v13, vcc_lo
	v_mov_b32_e32 v13, 0
	s_lshl_b64 s[10:11], s[14:15], 6
	s_mov_b64 s[12:13], 0
.LBB1704_2:                             ; =>This Inner Loop Header: Depth=1
	global_load_b64 v[18:19], v[2:3], off offset:-4
	global_load_b64 v[20:21], v[0:1], off offset:-4
	s_add_u32 s12, s12, 8
	v_add_co_u32 v0, vcc_lo, v0, s4
	s_addc_u32 s13, s13, 0
	v_add_co_ci_u32_e32 v1, vcc_lo, s5, v1, vcc_lo
	v_cmp_ge_u64_e64 s14, s[12:13], s[8:9]
	v_add_co_u32 v2, vcc_lo, v2, s10
	v_add_co_ci_u32_e32 v3, vcc_lo, s11, v3, vcc_lo
	s_delay_alu instid0(VALU_DEP_3)
	s_and_b32 vcc_lo, exec_lo, s14
	s_waitcnt vmcnt(1)
	v_xor_b32_e32 v19, 0x80000000, v19
	s_waitcnt vmcnt(0)
	ds_store_b64 v14, v[20:21]
	ds_store_b64 v17, v[18:19]
	s_waitcnt lgkmcnt(0)
	s_barrier
	buffer_gl0_inv
	ds_load_2addr_b64 v[18:21], v10 offset1:16
	ds_load_b128 v[22:25], v11
	ds_load_b128 v[26:29], v11 offset:1024
	ds_load_b128 v[30:33], v11 offset:16
	;; [unrolled: 1-line block ×4, first 2 shown]
	ds_load_2addr_b64 v[42:45], v10 offset0:32 offset1:48
	ds_load_2addr_b64 v[46:49], v10 offset0:64 offset1:80
	ds_load_b128 v[50:53], v11 offset:1040
	ds_load_2addr_b64 v[54:57], v10 offset0:96 offset1:112
	ds_load_2addr_b64 v[58:61], v10 offset0:128 offset1:144
	;; [unrolled: 1-line block ×4, first 2 shown]
	ds_load_b128 v[70:73], v11 offset:1056
	ds_load_b128 v[74:77], v11 offset:1072
	ds_load_2addr_b64 v[78:81], v10 offset0:224 offset1:240
	s_waitcnt lgkmcnt(0)
	s_barrier
	buffer_gl0_inv
	v_dual_mul_f32 v82, v23, v19 :: v_dual_mul_f32 v85, v22, v21
	v_dual_mul_f32 v83, v22, v19 :: v_dual_mul_f32 v84, v23, v21
	v_mul_f32_e32 v86, v27, v19
	v_dual_mul_f32 v19, v26, v19 :: v_dual_mul_f32 v90, v25, v45
	v_dual_mul_f32 v87, v27, v21 :: v_dual_mul_f32 v88, v25, v43
	v_mul_f32_e32 v21, v26, v21
	v_mul_f32_e32 v89, v24, v43
	;; [unrolled: 1-line block ×3, first 2 shown]
	v_fma_f32 v82, v22, v18, -v82
	v_fmac_f32_e32 v83, v23, v18
	v_fma_f32 v22, v22, v20, -v84
	v_dual_fmac_f32 v85, v23, v20 :: v_dual_mul_f32 v84, v30, v47
	v_fma_f32 v23, v26, v18, -v86
	v_fmac_f32_e32 v19, v27, v18
	v_fma_f32 v18, v26, v20, -v87
	v_dual_mul_f32 v26, v28, v43 :: v_dual_fmac_f32 v21, v27, v20
	v_mul_f32_e32 v20, v29, v43
	v_mul_f32_e32 v27, v29, v45
	v_dual_mul_f32 v43, v28, v45 :: v_dual_fmac_f32 v84, v31, v46
	v_fma_f32 v45, v24, v42, -v88
	v_fma_f32 v24, v24, v44, -v90
	v_dual_fmac_f32 v91, v25, v44 :: v_dual_mul_f32 v90, v32, v57
	v_dual_mul_f32 v86, v31, v49 :: v_dual_fmac_f32 v89, v25, v42
	v_dual_mul_f32 v25, v31, v47 :: v_dual_mul_f32 v88, v33, v57
	v_fma_f32 v20, v28, v42, -v20
	v_fmac_f32_e32 v26, v29, v42
	v_fma_f32 v27, v28, v44, -v27
	v_dual_fmac_f32 v43, v29, v44 :: v_dual_mul_f32 v28, v51, v47
	v_dual_mul_f32 v29, v50, v47 :: v_dual_mul_f32 v42, v51, v49
	v_mul_f32_e32 v44, v50, v49
	v_mul_f32_e32 v87, v30, v49
	;; [unrolled: 1-line block ×3, first 2 shown]
	v_dual_mul_f32 v49, v32, v55 :: v_dual_fmac_f32 v90, v33, v56
	v_fma_f32 v25, v30, v46, -v25
	v_fma_f32 v30, v30, v48, -v86
	;; [unrolled: 1-line block ×3, first 2 shown]
	v_fmac_f32_e32 v44, v51, v48
	v_fmac_f32_e32 v87, v31, v48
	v_fma_f32 v31, v50, v48, -v42
	v_mul_f32_e32 v42, v53, v55
	v_mul_f32_e32 v48, v53, v57
	v_dual_mul_f32 v50, v52, v57 :: v_dual_fmac_f32 v29, v51, v46
	v_mul_f32_e32 v46, v52, v55
	v_fma_f32 v47, v32, v54, -v47
	v_fmac_f32_e32 v49, v33, v54
	v_fma_f32 v32, v32, v56, -v88
	s_delay_alu instid0(VALU_DEP_4)
	v_dual_mul_f32 v33, v35, v59 :: v_dual_fmac_f32 v46, v53, v54
	v_mul_f32_e32 v51, v34, v59
	v_mul_f32_e32 v55, v35, v61
	v_fma_f32 v42, v52, v54, -v42
	v_fma_f32 v48, v52, v56, -v48
	v_fmac_f32_e32 v50, v53, v56
	v_mul_f32_e32 v52, v71, v59
	v_dual_mul_f32 v53, v70, v59 :: v_dual_mul_f32 v86, v37, v65
	v_mul_f32_e32 v54, v71, v61
	v_dual_mul_f32 v56, v70, v61 :: v_dual_mul_f32 v59, v37, v63
	v_mul_f32_e32 v57, v34, v61
	v_mul_f32_e32 v61, v36, v63
	v_dual_mul_f32 v88, v36, v65 :: v_dual_fmac_f32 v51, v35, v58
	v_fma_f32 v33, v34, v58, -v33
	v_fmac_f32_e32 v53, v71, v58
	v_fmac_f32_e32 v56, v71, v60
	s_delay_alu instid0(VALU_DEP_4)
	v_fmac_f32_e32 v88, v37, v64
	v_fmac_f32_e32 v57, v35, v60
	v_fma_f32 v35, v70, v58, -v52
	v_fma_f32 v52, v70, v60, -v54
	v_mul_f32_e32 v54, v73, v63
	v_fma_f32 v34, v34, v60, -v55
	v_mul_f32_e32 v60, v72, v65
	v_dual_mul_f32 v55, v72, v63 :: v_dual_mul_f32 v70, v38, v69
	v_mul_f32_e32 v58, v73, v65
	v_fma_f32 v59, v36, v62, -v59
	v_fmac_f32_e32 v61, v37, v62
	v_fma_f32 v36, v36, v64, -v86
	v_dual_mul_f32 v37, v39, v67 :: v_dual_fmac_f32 v60, v73, v64
	v_dual_mul_f32 v63, v38, v67 :: v_dual_mul_f32 v86, v40, v81
	v_mul_f32_e32 v65, v39, v69
	v_fma_f32 v54, v72, v62, -v54
	v_fmac_f32_e32 v55, v73, v62
	v_fma_f32 v58, v72, v64, -v58
	v_mul_f32_e32 v72, v40, v79
	v_mul_f32_e32 v62, v75, v67
	v_dual_mul_f32 v64, v74, v67 :: v_dual_mul_f32 v67, v75, v69
	v_dual_mul_f32 v69, v74, v69 :: v_dual_fmac_f32 v70, v39, v68
	s_delay_alu instid0(VALU_DEP_2)
	v_dual_mul_f32 v71, v41, v79 :: v_dual_fmac_f32 v64, v75, v66
	v_dual_mul_f32 v73, v41, v81 :: v_dual_add_f32 v16, v16, v83
	v_fma_f32 v37, v38, v66, -v37
	v_fmac_f32_e32 v63, v39, v66
	v_fma_f32 v38, v38, v68, -v65
	v_fma_f32 v39, v74, v66, -v62
	v_dual_fmac_f32 v69, v75, v68 :: v_dual_fmac_f32 v72, v41, v78
	v_dual_mul_f32 v65, v77, v79 :: v_dual_add_f32 v12, v12, v85
	v_mul_f32_e32 v66, v76, v79
	v_fma_f32 v62, v74, v68, -v67
	v_dual_mul_f32 v67, v77, v81 :: v_dual_add_f32 v8, v8, v19
	v_mul_f32_e32 v68, v76, v81
	v_dual_fmac_f32 v86, v41, v80 :: v_dual_add_f32 v15, v15, v82
	v_dual_add_f32 v13, v13, v22 :: v_dual_add_f32 v16, v16, v89
	s_delay_alu instid0(VALU_DEP_3) | instskip(SKIP_4) | instid1(VALU_DEP_4)
	v_dual_fmac_f32 v68, v77, v80 :: v_dual_add_f32 v7, v7, v18
	v_dual_add_f32 v9, v9, v23 :: v_dual_add_f32 v8, v8, v26
	v_dual_add_f32 v5, v5, v21 :: v_dual_add_f32 v12, v12, v91
	v_dual_fmac_f32 v66, v77, v78 :: v_dual_add_f32 v15, v15, v45
	v_add_f32_e32 v13, v13, v24
	v_dual_add_f32 v9, v9, v20 :: v_dual_add_f32 v8, v8, v29
	v_dual_add_f32 v7, v7, v27 :: v_dual_add_f32 v16, v16, v84
	v_add_f32_e32 v12, v12, v87
	v_add_f32_e32 v5, v5, v43
	;; [unrolled: 1-line block ×3, first 2 shown]
	v_dual_add_f32 v9, v9, v28 :: v_dual_add_f32 v8, v8, v46
	v_add_f32_e32 v16, v16, v49
	v_add_f32_e32 v12, v12, v90
	;; [unrolled: 1-line block ×4, first 2 shown]
	v_dual_add_f32 v5, v5, v44 :: v_dual_add_f32 v8, v8, v53
	v_add_f32_e32 v16, v16, v51
	v_dual_add_f32 v12, v12, v57 :: v_dual_add_f32 v15, v15, v47
	s_delay_alu instid0(VALU_DEP_3) | instskip(NEXT) | instid1(VALU_DEP_2)
	v_dual_add_f32 v13, v13, v32 :: v_dual_add_f32 v8, v8, v55
	v_dual_add_f32 v9, v9, v42 :: v_dual_add_f32 v12, v12, v88
	s_delay_alu instid0(VALU_DEP_4) | instskip(NEXT) | instid1(VALU_DEP_3)
	v_dual_add_f32 v5, v5, v50 :: v_dual_add_f32 v16, v16, v61
	v_add_f32_e32 v8, v8, v64
	v_add_f32_e32 v7, v7, v48
	s_delay_alu instid0(VALU_DEP_4)
	v_dual_add_f32 v15, v15, v33 :: v_dual_add_f32 v12, v12, v70
	v_add_f32_e32 v9, v9, v35
	v_dual_add_f32 v5, v5, v56 :: v_dual_add_f32 v16, v16, v63
	v_add_f32_e32 v13, v13, v34
	;; [unrolled: 2-line block ×3, first 2 shown]
	s_delay_alu instid0(VALU_DEP_4)
	v_add_f32_e32 v5, v5, v60
	v_add_f32_e32 v16, v16, v72
	;; [unrolled: 1-line block ×6, first 2 shown]
	v_fma_f32 v71, v40, v78, -v71
	v_fma_f32 v40, v40, v80, -v73
	;; [unrolled: 1-line block ×4, first 2 shown]
	v_add_f32_e32 v15, v15, v37
	v_add_f32_e32 v13, v13, v38
	;; [unrolled: 1-line block ×10, first 2 shown]
	s_cbranch_vccz .LBB1704_2
.LBB1704_3:
	v_add_nc_u32_e32 v6, s19, v6
	s_load_b32 s4, s[0:1], 0x0
	s_delay_alu instid0(VALU_DEP_1) | instskip(SKIP_2) | instid1(VALU_DEP_3)
	v_ashrrev_i32_e32 v0, 31, v6
	v_mul_lo_u32 v3, v6, s7
	v_mad_u64_u32 v[1:2], null, v6, s6, 0
	v_mul_lo_u32 v0, v0, s6
	s_delay_alu instid0(VALU_DEP_1) | instskip(SKIP_1) | instid1(VALU_DEP_2)
	v_add3_u32 v2, v2, v3, v0
	v_add_nc_u32_e32 v0, s18, v4
	v_lshlrev_b64 v[1:2], 3, v[1:2]
	s_delay_alu instid0(VALU_DEP_2) | instskip(SKIP_2) | instid1(VALU_DEP_3)
	v_cmp_le_i32_e64 s0, v6, v0
	s_waitcnt lgkmcnt(0)
	v_cmp_gt_i32_e32 vcc_lo, s4, v0
	v_add_co_u32 v4, s1, s2, v1
	s_delay_alu instid0(VALU_DEP_1) | instskip(SKIP_1) | instid1(SALU_CYCLE_1)
	v_add_co_ci_u32_e64 v10, s1, s3, v2, s1
	s_and_b32 s0, s0, vcc_lo
	s_and_saveexec_b32 s1, s0
	s_cbranch_execz .LBB1704_6
; %bb.4:
	v_ashrrev_i32_e32 v1, 31, v0
	s_delay_alu instid0(VALU_DEP_1) | instskip(NEXT) | instid1(VALU_DEP_1)
	v_lshlrev_b64 v[1:2], 3, v[0:1]
	v_add_co_u32 v1, s0, v4, v1
	s_delay_alu instid0(VALU_DEP_1)
	v_add_co_ci_u32_e64 v2, s0, v10, v2, s0
	v_cmp_eq_u32_e64 s0, v6, v0
	global_load_b64 v[17:18], v[1:2], off
	s_waitcnt vmcnt(0)
	v_dual_sub_f32 v14, v15, v17 :: v_dual_sub_f32 v15, v16, v18
	global_store_b64 v[1:2], v[14:15], off
	s_and_b32 exec_lo, exec_lo, s0
	s_cbranch_execz .LBB1704_6
; %bb.5:
	v_mov_b32_e32 v3, 0
	global_store_b32 v[1:2], v3, off offset:4
.LBB1704_6:
	s_or_b32 exec_lo, exec_lo, s1
	v_add_nc_u32_e32 v2, 16, v0
	s_delay_alu instid0(VALU_DEP_1) | instskip(SKIP_1) | instid1(VALU_DEP_1)
	v_cmp_le_i32_e64 s1, v6, v2
	v_cmp_gt_i32_e64 s0, s4, v2
	s_and_b32 s1, s1, s0
	s_delay_alu instid0(SALU_CYCLE_1)
	s_and_saveexec_b32 s4, s1
	s_cbranch_execz .LBB1704_9
; %bb.7:
	v_ashrrev_i32_e32 v3, 31, v2
	s_delay_alu instid0(VALU_DEP_1) | instskip(NEXT) | instid1(VALU_DEP_1)
	v_lshlrev_b64 v[14:15], 3, v[2:3]
	v_add_co_u32 v3, s1, v4, v14
	s_delay_alu instid0(VALU_DEP_1)
	v_add_co_ci_u32_e64 v4, s1, v10, v15, s1
	v_cmp_eq_u32_e64 s1, v6, v2
	global_load_b64 v[10:11], v[3:4], off
	s_waitcnt vmcnt(0)
	v_dual_sub_f32 v10, v13, v10 :: v_dual_sub_f32 v11, v12, v11
	global_store_b64 v[3:4], v[10:11], off
	s_and_b32 exec_lo, exec_lo, s1
	s_cbranch_execz .LBB1704_9
; %bb.8:
	v_mov_b32_e32 v1, 0
	global_store_b32 v[3:4], v1, off offset:4
.LBB1704_9:
	s_or_b32 exec_lo, exec_lo, s4
	v_add_nc_u32_e32 v10, 16, v6
	s_delay_alu instid0(VALU_DEP_1) | instskip(SKIP_3) | instid1(VALU_DEP_4)
	v_ashrrev_i32_e32 v1, 31, v10
	v_mul_lo_u32 v11, v10, s7
	v_mad_u64_u32 v[3:4], null, v10, s6, 0
	v_cmp_le_i32_e64 s1, v10, v0
	v_mul_lo_u32 v1, v1, s6
	s_delay_alu instid0(VALU_DEP_1) | instskip(NEXT) | instid1(VALU_DEP_1)
	v_add3_u32 v4, v4, v11, v1
	v_lshlrev_b64 v[3:4], 3, v[3:4]
	s_delay_alu instid0(VALU_DEP_1) | instskip(NEXT) | instid1(VALU_DEP_1)
	v_add_co_u32 v11, s2, s2, v3
	v_add_co_ci_u32_e64 v12, s2, s3, v4, s2
	s_and_b32 s2, s1, vcc_lo
	s_delay_alu instid0(SALU_CYCLE_1)
	s_and_saveexec_b32 s1, s2
	s_cbranch_execz .LBB1704_12
; %bb.10:
	v_ashrrev_i32_e32 v1, 31, v0
	s_delay_alu instid0(VALU_DEP_1) | instskip(NEXT) | instid1(VALU_DEP_1)
	v_lshlrev_b64 v[3:4], 3, v[0:1]
	v_add_co_u32 v3, vcc_lo, v11, v3
	s_delay_alu instid0(VALU_DEP_2)
	v_add_co_ci_u32_e32 v4, vcc_lo, v12, v4, vcc_lo
	v_cmp_eq_u32_e32 vcc_lo, v10, v0
	global_load_b64 v[13:14], v[3:4], off
	s_waitcnt vmcnt(0)
	v_dual_sub_f32 v13, v9, v13 :: v_dual_sub_f32 v14, v8, v14
	global_store_b64 v[3:4], v[13:14], off
	s_and_b32 exec_lo, exec_lo, vcc_lo
	s_cbranch_execz .LBB1704_12
; %bb.11:
	v_mov_b32_e32 v1, 0
	global_store_b32 v[3:4], v1, off offset:4
.LBB1704_12:
	s_or_b32 exec_lo, exec_lo, s1
	v_cmp_le_i32_e32 vcc_lo, v10, v2
	s_and_b32 s0, vcc_lo, s0
	s_delay_alu instid0(SALU_CYCLE_1)
	s_and_saveexec_b32 s1, s0
	s_cbranch_execz .LBB1704_15
; %bb.13:
	v_ashrrev_i32_e32 v3, 31, v2
	s_delay_alu instid0(VALU_DEP_1) | instskip(NEXT) | instid1(VALU_DEP_1)
	v_lshlrev_b64 v[1:2], 3, v[2:3]
	v_add_co_u32 v1, vcc_lo, v11, v1
	s_delay_alu instid0(VALU_DEP_2)
	v_add_co_ci_u32_e32 v2, vcc_lo, v12, v2, vcc_lo
	v_cmp_eq_u32_e32 vcc_lo, v6, v0
	global_load_b64 v[3:4], v[1:2], off
	s_waitcnt vmcnt(0)
	v_dual_sub_f32 v3, v7, v3 :: v_dual_sub_f32 v4, v5, v4
	global_store_b64 v[1:2], v[3:4], off
	s_and_b32 exec_lo, exec_lo, vcc_lo
	s_cbranch_execz .LBB1704_15
; %bb.14:
	v_mov_b32_e32 v0, 0
	global_store_b32 v[1:2], v0, off offset:4
.LBB1704_15:
	s_nop 0
	s_sendmsg sendmsg(MSG_DEALLOC_VGPRS)
	s_endpgm
	.section	.rodata,"a",@progbits
	.p2align	6, 0x0
	.amdhsa_kernel _ZL37rocblas_syrkx_herkx_restricted_kernelIl19rocblas_complex_numIfELi16ELi32ELi8ELi1ELin1ELb1ELc78ELc76EKPKS1_KPS1_EviT_PT9_S7_lS9_S7_lPT10_S7_li
		.amdhsa_group_segment_fixed_size 4096
		.amdhsa_private_segment_fixed_size 0
		.amdhsa_kernarg_size 92
		.amdhsa_user_sgpr_count 13
		.amdhsa_user_sgpr_dispatch_ptr 0
		.amdhsa_user_sgpr_queue_ptr 0
		.amdhsa_user_sgpr_kernarg_segment_ptr 1
		.amdhsa_user_sgpr_dispatch_id 0
		.amdhsa_user_sgpr_private_segment_size 0
		.amdhsa_wavefront_size32 1
		.amdhsa_uses_dynamic_stack 0
		.amdhsa_enable_private_segment 0
		.amdhsa_system_sgpr_workgroup_id_x 1
		.amdhsa_system_sgpr_workgroup_id_y 1
		.amdhsa_system_sgpr_workgroup_id_z 1
		.amdhsa_system_sgpr_workgroup_info 0
		.amdhsa_system_vgpr_workitem_id 1
		.amdhsa_next_free_vgpr 92
		.amdhsa_next_free_sgpr 20
		.amdhsa_reserve_vcc 1
		.amdhsa_float_round_mode_32 0
		.amdhsa_float_round_mode_16_64 0
		.amdhsa_float_denorm_mode_32 3
		.amdhsa_float_denorm_mode_16_64 3
		.amdhsa_dx10_clamp 1
		.amdhsa_ieee_mode 1
		.amdhsa_fp16_overflow 0
		.amdhsa_workgroup_processor_mode 1
		.amdhsa_memory_ordered 1
		.amdhsa_forward_progress 0
		.amdhsa_shared_vgpr_count 0
		.amdhsa_exception_fp_ieee_invalid_op 0
		.amdhsa_exception_fp_denorm_src 0
		.amdhsa_exception_fp_ieee_div_zero 0
		.amdhsa_exception_fp_ieee_overflow 0
		.amdhsa_exception_fp_ieee_underflow 0
		.amdhsa_exception_fp_ieee_inexact 0
		.amdhsa_exception_int_div_zero 0
	.end_amdhsa_kernel
	.section	.text._ZL37rocblas_syrkx_herkx_restricted_kernelIl19rocblas_complex_numIfELi16ELi32ELi8ELi1ELin1ELb1ELc78ELc76EKPKS1_KPS1_EviT_PT9_S7_lS9_S7_lPT10_S7_li,"axG",@progbits,_ZL37rocblas_syrkx_herkx_restricted_kernelIl19rocblas_complex_numIfELi16ELi32ELi8ELi1ELin1ELb1ELc78ELc76EKPKS1_KPS1_EviT_PT9_S7_lS9_S7_lPT10_S7_li,comdat
.Lfunc_end1704:
	.size	_ZL37rocblas_syrkx_herkx_restricted_kernelIl19rocblas_complex_numIfELi16ELi32ELi8ELi1ELin1ELb1ELc78ELc76EKPKS1_KPS1_EviT_PT9_S7_lS9_S7_lPT10_S7_li, .Lfunc_end1704-_ZL37rocblas_syrkx_herkx_restricted_kernelIl19rocblas_complex_numIfELi16ELi32ELi8ELi1ELin1ELb1ELc78ELc76EKPKS1_KPS1_EviT_PT9_S7_lS9_S7_lPT10_S7_li
                                        ; -- End function
	.section	.AMDGPU.csdata,"",@progbits
; Kernel info:
; codeLenInByte = 2300
; NumSgprs: 22
; NumVgprs: 92
; ScratchSize: 0
; MemoryBound: 0
; FloatMode: 240
; IeeeMode: 1
; LDSByteSize: 4096 bytes/workgroup (compile time only)
; SGPRBlocks: 2
; VGPRBlocks: 11
; NumSGPRsForWavesPerEU: 22
; NumVGPRsForWavesPerEU: 92
; Occupancy: 16
; WaveLimiterHint : 1
; COMPUTE_PGM_RSRC2:SCRATCH_EN: 0
; COMPUTE_PGM_RSRC2:USER_SGPR: 13
; COMPUTE_PGM_RSRC2:TRAP_HANDLER: 0
; COMPUTE_PGM_RSRC2:TGID_X_EN: 1
; COMPUTE_PGM_RSRC2:TGID_Y_EN: 1
; COMPUTE_PGM_RSRC2:TGID_Z_EN: 1
; COMPUTE_PGM_RSRC2:TIDIG_COMP_CNT: 1
	.section	.text._ZL37rocblas_syrkx_herkx_restricted_kernelIl19rocblas_complex_numIfELi16ELi32ELi8ELi1ELin1ELb1ELc84ELc85EKPKS1_KPS1_EviT_PT9_S7_lS9_S7_lPT10_S7_li,"axG",@progbits,_ZL37rocblas_syrkx_herkx_restricted_kernelIl19rocblas_complex_numIfELi16ELi32ELi8ELi1ELin1ELb1ELc84ELc85EKPKS1_KPS1_EviT_PT9_S7_lS9_S7_lPT10_S7_li,comdat
	.globl	_ZL37rocblas_syrkx_herkx_restricted_kernelIl19rocblas_complex_numIfELi16ELi32ELi8ELi1ELin1ELb1ELc84ELc85EKPKS1_KPS1_EviT_PT9_S7_lS9_S7_lPT10_S7_li ; -- Begin function _ZL37rocblas_syrkx_herkx_restricted_kernelIl19rocblas_complex_numIfELi16ELi32ELi8ELi1ELin1ELb1ELc84ELc85EKPKS1_KPS1_EviT_PT9_S7_lS9_S7_lPT10_S7_li
	.p2align	8
	.type	_ZL37rocblas_syrkx_herkx_restricted_kernelIl19rocblas_complex_numIfELi16ELi32ELi8ELi1ELin1ELb1ELc84ELc85EKPKS1_KPS1_EviT_PT9_S7_lS9_S7_lPT10_S7_li,@function
_ZL37rocblas_syrkx_herkx_restricted_kernelIl19rocblas_complex_numIfELi16ELi32ELi8ELi1ELin1ELb1ELc84ELc85EKPKS1_KPS1_EviT_PT9_S7_lS9_S7_lPT10_S7_li: ; @_ZL37rocblas_syrkx_herkx_restricted_kernelIl19rocblas_complex_numIfELi16ELi32ELi8ELi1ELin1ELb1ELc84ELc85EKPKS1_KPS1_EviT_PT9_S7_lS9_S7_lPT10_S7_li
; %bb.0:
	s_clause 0x1
	s_load_b128 s[4:7], s[0:1], 0x40
	s_load_b128 s[8:11], s[0:1], 0x8
	s_mov_b32 s2, s15
	s_mov_b32 s3, 0
	v_dual_mov_b32 v17, 0 :: v_dual_and_b32 v6, 0x3ff, v0
	s_lshl_b64 s[16:17], s[2:3], 3
	v_bfe_u32 v7, v0, 10, 10
	v_dual_mov_b32 v16, 0 :: v_dual_mov_b32 v11, 0
	v_dual_mov_b32 v10, 0 :: v_dual_mov_b32 v9, 0
	;; [unrolled: 1-line block ×3, first 2 shown]
	v_mov_b32_e32 v0, 0
	s_waitcnt lgkmcnt(0)
	s_add_u32 s2, s4, s16
	s_addc_u32 s3, s5, s17
	v_cmp_lt_i64_e64 s4, s[8:9], 1
	s_load_b64 s[2:3], s[2:3], 0x0
	s_lshl_b32 s18, s13, 5
	s_lshl_b32 s19, s14, 5
	s_delay_alu instid0(VALU_DEP_1)
	s_and_b32 vcc_lo, exec_lo, s4
	s_cbranch_vccnz .LBB1705_3
; %bb.1:
	s_clause 0x1
	s_load_b128 s[12:15], s[0:1], 0x28
	s_load_b64 s[4:5], s[0:1], 0x18
	v_lshl_add_u32 v2, v7, 4, v6
	v_dual_mov_b32 v1, 0 :: v_dual_and_b32 v0, 7, v6
	s_add_u32 s10, s10, s16
	s_addc_u32 s11, s11, s17
	s_delay_alu instid0(VALU_DEP_2)
	v_lshrrev_b32_e32 v10, 3, v2
	v_and_b32_e32 v11, 31, v2
	v_lshrrev_b32_e32 v2, 5, v2
	v_mov_b32_e32 v3, v1
	s_load_b64 s[10:11], s[10:11], 0x0
	v_add_nc_u32_e32 v12, s19, v10
	v_add_nc_u32_e32 v8, s18, v11
	v_dual_mov_b32 v16, v1 :: v_dual_lshlrev_b32 v11, 3, v11
	v_mov_b32_e32 v17, v1
	s_delay_alu instid0(VALU_DEP_4) | instskip(NEXT) | instid1(VALU_DEP_4)
	v_ashrrev_i32_e32 v4, 31, v12
	v_ashrrev_i32_e32 v5, 31, v8
	s_waitcnt lgkmcnt(0)
	s_add_u32 s12, s12, s16
	s_addc_u32 s13, s13, s17
	v_mul_lo_u32 v13, v4, s14
	v_mul_lo_u32 v14, s4, v5
	v_mad_u64_u32 v[4:5], null, s4, v8, v[2:3]
	v_mul_lo_u32 v3, s5, v8
	s_load_b64 s[4:5], s[12:13], 0x0
	v_mul_lo_u32 v15, v12, s15
	v_mad_u64_u32 v[8:9], null, v12, s14, v[0:1]
	v_lshlrev_b32_e32 v0, 3, v0
	v_lshlrev_b32_e32 v12, 3, v6
	v_add3_u32 v5, v3, v5, v14
	v_lshl_or_b32 v14, v2, 8, v11
	v_mov_b32_e32 v11, v1
	v_add3_u32 v9, v13, v9, v15
	v_lshl_or_b32 v0, v10, 6, v0
	v_lshlrev_b64 v[3:4], 3, v[4:5]
	v_lshl_add_u32 v13, v7, 6, 0x800
	v_mov_b32_e32 v10, v1
	v_lshlrev_b64 v[8:9], 3, v[8:9]
	v_add_nc_u32_e32 v15, 0x800, v0
	v_add_co_u32 v0, vcc_lo, v3, s10
	v_add_co_ci_u32_e32 v3, vcc_lo, s11, v4, vcc_lo
	s_waitcnt lgkmcnt(0)
	s_delay_alu instid0(VALU_DEP_4) | instskip(SKIP_3) | instid1(VALU_DEP_4)
	v_add_co_u32 v4, vcc_lo, v8, s4
	v_add_co_ci_u32_e32 v5, vcc_lo, s5, v9, vcc_lo
	v_add_co_u32 v2, vcc_lo, v0, 4
	v_add_co_ci_u32_e32 v3, vcc_lo, 0, v3, vcc_lo
	v_add_co_u32 v4, vcc_lo, v4, 4
	s_delay_alu instid0(VALU_DEP_4)
	v_add_co_ci_u32_e32 v5, vcc_lo, 0, v5, vcc_lo
	v_mov_b32_e32 v0, v1
	v_mov_b32_e32 v8, v1
	;; [unrolled: 1-line block ×3, first 2 shown]
	s_mov_b64 s[4:5], 0
.LBB1705_2:                             ; =>This Inner Loop Header: Depth=1
	global_load_b64 v[18:19], v[2:3], off offset:-4
	global_load_b64 v[20:21], v[4:5], off offset:-4
	s_add_u32 s4, s4, 8
	v_add_co_u32 v2, vcc_lo, v2, 64
	s_addc_u32 s5, s5, 0
	v_add_co_ci_u32_e32 v3, vcc_lo, 0, v3, vcc_lo
	v_cmp_ge_u64_e64 s10, s[4:5], s[8:9]
	v_add_co_u32 v4, vcc_lo, v4, 64
	v_add_co_ci_u32_e32 v5, vcc_lo, 0, v5, vcc_lo
	s_waitcnt vmcnt(1)
	ds_store_b64 v14, v[18:19]
	s_waitcnt vmcnt(0)
	ds_store_b64 v15, v[20:21]
	s_waitcnt lgkmcnt(0)
	s_barrier
	buffer_gl0_inv
	ds_load_2addr_b64 v[18:21], v12 offset1:16
	ds_load_b128 v[22:25], v13
	ds_load_b128 v[26:29], v13 offset:1024
	ds_load_b128 v[30:33], v13 offset:16
	;; [unrolled: 1-line block ×4, first 2 shown]
	ds_load_2addr_b64 v[42:45], v12 offset0:32 offset1:48
	ds_load_2addr_b64 v[46:49], v12 offset0:64 offset1:80
	ds_load_b128 v[50:53], v13 offset:1040
	ds_load_2addr_b64 v[54:57], v12 offset0:96 offset1:112
	ds_load_2addr_b64 v[58:61], v12 offset0:128 offset1:144
	;; [unrolled: 1-line block ×4, first 2 shown]
	ds_load_b128 v[70:73], v13 offset:1056
	ds_load_b128 v[74:77], v13 offset:1072
	ds_load_2addr_b64 v[78:81], v12 offset0:224 offset1:240
	s_and_b32 vcc_lo, exec_lo, s10
	s_waitcnt lgkmcnt(0)
	s_barrier
	buffer_gl0_inv
	v_dual_mul_f32 v82, v23, v19 :: v_dual_mul_f32 v85, v22, v21
	v_dual_mul_f32 v83, v22, v19 :: v_dual_mul_f32 v84, v23, v21
	v_mul_f32_e32 v86, v27, v19
	v_dual_mul_f32 v19, v26, v19 :: v_dual_mul_f32 v90, v25, v45
	v_dual_mul_f32 v87, v27, v21 :: v_dual_mul_f32 v88, v25, v43
	v_mul_f32_e32 v21, v26, v21
	v_fma_f32 v82, v22, v18, -v82
	v_fmac_f32_e32 v83, v23, v18
	v_fma_f32 v22, v22, v20, -v84
	v_fmac_f32_e32 v85, v23, v20
	v_fma_f32 v23, v26, v18, -v86
	v_dual_fmac_f32 v19, v27, v18 :: v_dual_mul_f32 v86, v30, v47
	v_fma_f32 v18, v26, v20, -v87
	v_dual_fmac_f32 v21, v27, v20 :: v_dual_mul_f32 v20, v24, v45
	v_mul_f32_e32 v89, v24, v43
	v_mul_f32_e32 v26, v29, v43
	;; [unrolled: 1-line block ×4, first 2 shown]
	v_fmac_f32_e32 v20, v25, v44
	v_fmac_f32_e32 v89, v25, v42
	v_dual_mul_f32 v25, v28, v45 :: v_dual_fmac_f32 v86, v31, v46
	v_fma_f32 v84, v24, v42, -v88
	v_fma_f32 v24, v24, v44, -v90
	v_dual_mul_f32 v45, v31, v47 :: v_dual_mul_f32 v90, v33, v57
	v_fma_f32 v26, v28, v42, -v26
	v_fma_f32 v28, v28, v44, -v43
	v_fmac_f32_e32 v25, v29, v44
	v_dual_mul_f32 v43, v50, v47 :: v_dual_mul_f32 v44, v51, v49
	v_dual_fmac_f32 v27, v29, v42 :: v_dual_mul_f32 v42, v51, v47
	v_dual_mul_f32 v88, v32, v55 :: v_dual_mul_f32 v29, v30, v49
	v_mul_f32_e32 v87, v31, v49
	v_fma_f32 v45, v30, v46, -v45
	v_add_f32_e32 v10, v10, v85
	s_delay_alu instid0(VALU_DEP_4)
	v_dual_fmac_f32 v88, v33, v54 :: v_dual_fmac_f32 v29, v31, v48
	v_fma_f32 v31, v50, v46, -v42
	v_fma_f32 v42, v50, v48, -v44
	v_mul_f32_e32 v44, v32, v57
	v_mul_f32_e32 v47, v50, v49
	v_dual_mul_f32 v50, v53, v57 :: v_dual_fmac_f32 v43, v51, v46
	v_mul_f32_e32 v46, v53, v55
	v_mul_f32_e32 v49, v33, v55
	v_fma_f32 v30, v30, v48, -v87
	v_fmac_f32_e32 v44, v33, v56
	v_dual_fmac_f32 v47, v51, v48 :: v_dual_mul_f32 v48, v52, v55
	v_mul_f32_e32 v33, v52, v57
	v_fma_f32 v46, v52, v54, -v46
	v_fma_f32 v50, v52, v56, -v50
	v_mul_f32_e32 v52, v34, v61
	v_fma_f32 v49, v32, v54, -v49
	v_fma_f32 v32, v32, v56, -v90
	v_dual_mul_f32 v51, v35, v59 :: v_dual_fmac_f32 v48, v53, v54
	v_mul_f32_e32 v54, v70, v59
	v_dual_mul_f32 v55, v34, v59 :: v_dual_fmac_f32 v52, v35, v60
	v_fmac_f32_e32 v33, v53, v56
	v_mul_f32_e32 v53, v71, v59
	v_mul_f32_e32 v56, v71, v61
	;; [unrolled: 1-line block ×3, first 2 shown]
	v_fmac_f32_e32 v54, v71, v58
	v_fmac_f32_e32 v55, v35, v58
	v_fma_f32 v35, v70, v58, -v53
	v_fma_f32 v53, v70, v60, -v56
	v_mul_f32_e32 v56, v36, v65
	v_mul_f32_e32 v59, v70, v61
	v_fma_f32 v51, v34, v58, -v51
	v_mul_f32_e32 v58, v72, v63
	v_mul_f32_e32 v87, v36, v63
	;; [unrolled: 1-line block ×4, first 2 shown]
	v_fma_f32 v34, v34, v60, -v57
	v_mul_f32_e32 v57, v73, v63
	v_fmac_f32_e32 v56, v37, v64
	v_dual_fmac_f32 v59, v71, v60 :: v_dual_mul_f32 v60, v73, v65
	v_mul_f32_e32 v63, v39, v67
	v_mul_f32_e32 v70, v39, v69
	v_fmac_f32_e32 v58, v73, v62
	v_fmac_f32_e32 v87, v37, v62
	v_mul_f32_e32 v37, v72, v65
	v_fma_f32 v61, v36, v62, -v61
	v_fma_f32 v36, v36, v64, -v90
	v_mul_f32_e32 v65, v38, v67
	v_fma_f32 v57, v72, v62, -v57
	v_fma_f32 v60, v72, v64, -v60
	v_dual_fmac_f32 v37, v73, v64 :: v_dual_mul_f32 v62, v38, v69
	v_mul_f32_e32 v64, v75, v67
	v_mul_f32_e32 v73, v40, v79
	v_fma_f32 v63, v38, v66, -v63
	v_fma_f32 v38, v38, v68, -v70
	v_mul_f32_e32 v70, v76, v79
	v_mul_f32_e32 v67, v74, v67
	v_dual_mul_f32 v71, v75, v69 :: v_dual_add_f32 v16, v16, v82
	v_dual_mul_f32 v69, v74, v69 :: v_dual_add_f32 v8, v8, v19
	v_fmac_f32_e32 v65, v39, v66
	v_fmac_f32_e32 v62, v39, v68
	s_delay_alu instid0(VALU_DEP_4)
	v_add_f32_e32 v16, v16, v84
	v_fma_f32 v39, v74, v66, -v64
	v_fmac_f32_e32 v70, v77, v78
	v_dual_fmac_f32 v67, v75, v66 :: v_dual_add_f32 v10, v10, v20
	v_mul_f32_e32 v66, v40, v81
	v_mul_f32_e32 v72, v41, v79
	;; [unrolled: 1-line block ×3, first 2 shown]
	v_fma_f32 v64, v74, v68, -v71
	v_dual_fmac_f32 v69, v75, v68 :: v_dual_add_f32 v0, v0, v18
	v_dual_mul_f32 v71, v77, v81 :: v_dual_add_f32 v8, v8, v27
	v_fmac_f32_e32 v73, v41, v78
	v_fmac_f32_e32 v66, v41, v80
	s_delay_alu instid0(VALU_DEP_4) | instskip(SKIP_3) | instid1(VALU_DEP_4)
	v_dual_add_f32 v0, v0, v28 :: v_dual_add_f32 v17, v17, v83
	v_add_f32_e32 v10, v10, v29
	v_mul_f32_e32 v41, v76, v81
	v_dual_add_f32 v11, v11, v22 :: v_dual_add_f32 v8, v8, v43
	v_dual_add_f32 v9, v9, v23 :: v_dual_add_f32 v0, v0, v42
	v_add_f32_e32 v1, v1, v21
	v_add_f32_e32 v16, v16, v45
	s_delay_alu instid0(VALU_DEP_4)
	v_add_f32_e32 v8, v8, v48
	v_add_f32_e32 v10, v10, v44
	v_fmac_f32_e32 v41, v77, v80
	v_dual_add_f32 v17, v17, v89 :: v_dual_add_f32 v0, v0, v50
	v_dual_add_f32 v11, v11, v24 :: v_dual_add_f32 v16, v16, v49
	v_add_f32_e32 v9, v9, v26
	v_dual_add_f32 v1, v1, v25 :: v_dual_add_f32 v10, v10, v52
	s_delay_alu instid0(VALU_DEP_4) | instskip(NEXT) | instid1(VALU_DEP_4)
	v_dual_add_f32 v17, v17, v86 :: v_dual_add_f32 v0, v0, v53
	v_dual_add_f32 v16, v16, v51 :: v_dual_add_f32 v11, v11, v30
	s_delay_alu instid0(VALU_DEP_4) | instskip(NEXT) | instid1(VALU_DEP_4)
	v_dual_add_f32 v9, v9, v31 :: v_dual_add_f32 v8, v8, v54
	v_dual_add_f32 v1, v1, v47 :: v_dual_add_f32 v10, v10, v56
	s_delay_alu instid0(VALU_DEP_4) | instskip(NEXT) | instid1(VALU_DEP_3)
	v_add_f32_e32 v17, v17, v88
	v_dual_add_f32 v9, v9, v46 :: v_dual_add_f32 v0, v0, v60
	s_delay_alu instid0(VALU_DEP_3) | instskip(SKIP_2) | instid1(VALU_DEP_3)
	v_dual_add_f32 v1, v1, v33 :: v_dual_add_f32 v10, v10, v62
	v_dual_add_f32 v16, v16, v61 :: v_dual_add_f32 v11, v11, v32
	v_fma_f32 v72, v40, v78, -v72
	v_dual_add_f32 v1, v1, v59 :: v_dual_add_f32 v10, v10, v66
	v_dual_add_f32 v8, v8, v58 :: v_dual_add_f32 v17, v17, v55
	v_add_f32_e32 v0, v0, v64
	v_dual_add_f32 v16, v16, v63 :: v_dual_add_f32 v11, v11, v34
	s_delay_alu instid0(VALU_DEP_3) | instskip(SKIP_2) | instid1(VALU_DEP_4)
	v_add_f32_e32 v8, v8, v67
	v_add_f32_e32 v9, v9, v35
	v_mul_f32_e32 v68, v77, v79
	v_add_f32_e32 v16, v16, v72
	v_fma_f32 v71, v76, v80, -v71
	v_dual_add_f32 v17, v17, v87 :: v_dual_add_f32 v8, v8, v70
	v_add_f32_e32 v11, v11, v36
	s_delay_alu instid0(VALU_DEP_3)
	v_dual_add_f32 v9, v9, v57 :: v_dual_add_f32 v0, v0, v71
	v_add_f32_e32 v1, v1, v37
	v_fma_f32 v40, v40, v80, -v90
	v_fma_f32 v68, v76, v78, -v68
	v_add_f32_e32 v17, v17, v65
	v_add_f32_e32 v11, v11, v38
	;; [unrolled: 1-line block ×4, first 2 shown]
	s_delay_alu instid0(VALU_DEP_4) | instskip(NEXT) | instid1(VALU_DEP_4)
	v_add_f32_e32 v17, v17, v73
	v_add_f32_e32 v11, v11, v40
	s_delay_alu instid0(VALU_DEP_4) | instskip(NEXT) | instid1(VALU_DEP_4)
	v_add_f32_e32 v9, v9, v68
	v_add_f32_e32 v1, v1, v41
	s_cbranch_vccz .LBB1705_2
.LBB1705_3:
	v_add_nc_u32_e32 v7, s19, v7
	s_load_b32 s4, s[0:1], 0x0
	s_delay_alu instid0(VALU_DEP_1) | instskip(SKIP_2) | instid1(VALU_DEP_3)
	v_ashrrev_i32_e32 v2, 31, v7
	v_mul_lo_u32 v5, v7, s7
	v_mad_u64_u32 v[3:4], null, v7, s6, 0
	v_mul_lo_u32 v2, v2, s6
	s_delay_alu instid0(VALU_DEP_1) | instskip(SKIP_3) | instid1(VALU_DEP_3)
	v_add3_u32 v4, v4, v5, v2
	v_add_nc_u32_e32 v2, s18, v6
	s_waitcnt lgkmcnt(0)
	v_cmp_gt_i32_e32 vcc_lo, s4, v7
	v_lshlrev_b64 v[3:4], 3, v[3:4]
	s_delay_alu instid0(VALU_DEP_3) | instskip(NEXT) | instid1(VALU_DEP_1)
	v_cmp_le_i32_e64 s0, v2, v7
	s_and_b32 s0, vcc_lo, s0
	s_delay_alu instid0(VALU_DEP_2) | instskip(NEXT) | instid1(VALU_DEP_1)
	v_add_co_u32 v6, s1, s2, v3
	v_add_co_ci_u32_e64 v12, s1, s3, v4, s1
	s_and_saveexec_b32 s1, s0
	s_cbranch_execz .LBB1705_6
; %bb.4:
	v_ashrrev_i32_e32 v3, 31, v2
	s_delay_alu instid0(VALU_DEP_1) | instskip(NEXT) | instid1(VALU_DEP_1)
	v_lshlrev_b64 v[3:4], 3, v[2:3]
	v_add_co_u32 v3, s0, v6, v3
	s_delay_alu instid0(VALU_DEP_1)
	v_add_co_ci_u32_e64 v4, s0, v12, v4, s0
	v_cmp_eq_u32_e64 s0, v7, v2
	global_load_b64 v[13:14], v[3:4], off
	s_waitcnt vmcnt(0)
	v_dual_sub_f32 v13, v16, v13 :: v_dual_sub_f32 v14, v17, v14
	global_store_b64 v[3:4], v[13:14], off
	s_and_b32 exec_lo, exec_lo, s0
	s_cbranch_execz .LBB1705_6
; %bb.5:
	v_mov_b32_e32 v5, 0
	global_store_b32 v[3:4], v5, off offset:4
.LBB1705_6:
	s_or_b32 exec_lo, exec_lo, s1
	v_add_nc_u32_e32 v4, 16, v2
	s_delay_alu instid0(VALU_DEP_1) | instskip(NEXT) | instid1(VALU_DEP_1)
	v_cmp_le_i32_e64 s0, v4, v7
	s_and_b32 s1, vcc_lo, s0
	s_delay_alu instid0(SALU_CYCLE_1)
	s_and_saveexec_b32 s0, s1
	s_cbranch_execz .LBB1705_9
; %bb.7:
	v_ashrrev_i32_e32 v5, 31, v4
	s_delay_alu instid0(VALU_DEP_1) | instskip(NEXT) | instid1(VALU_DEP_1)
	v_lshlrev_b64 v[13:14], 3, v[4:5]
	v_add_co_u32 v5, vcc_lo, v6, v13
	s_delay_alu instid0(VALU_DEP_2)
	v_add_co_ci_u32_e32 v6, vcc_lo, v12, v14, vcc_lo
	v_cmp_eq_u32_e32 vcc_lo, v7, v4
	global_load_b64 v[12:13], v[5:6], off
	s_waitcnt vmcnt(0)
	v_dual_sub_f32 v11, v11, v12 :: v_dual_sub_f32 v12, v10, v13
	global_store_b64 v[5:6], v[11:12], off
	s_and_b32 exec_lo, exec_lo, vcc_lo
	s_cbranch_execz .LBB1705_9
; %bb.8:
	v_mov_b32_e32 v3, 0
	global_store_b32 v[5:6], v3, off offset:4
.LBB1705_9:
	s_or_b32 exec_lo, exec_lo, s0
	v_add_nc_u32_e32 v10, 16, v7
	s_delay_alu instid0(VALU_DEP_1) | instskip(SKIP_3) | instid1(VALU_DEP_4)
	v_ashrrev_i32_e32 v3, 31, v10
	v_mul_lo_u32 v11, v10, s7
	v_mad_u64_u32 v[5:6], null, v10, s6, 0
	v_cmp_gt_i32_e32 vcc_lo, s4, v10
	v_mul_lo_u32 v3, v3, s6
	v_cmp_le_i32_e64 s0, v2, v10
	s_delay_alu instid0(VALU_DEP_1) | instskip(NEXT) | instid1(VALU_DEP_2)
	s_and_b32 s0, vcc_lo, s0
	v_add3_u32 v6, v6, v11, v3
	s_delay_alu instid0(VALU_DEP_1) | instskip(NEXT) | instid1(VALU_DEP_1)
	v_lshlrev_b64 v[5:6], 3, v[5:6]
	v_add_co_u32 v11, s1, s2, v5
	s_delay_alu instid0(VALU_DEP_1)
	v_add_co_ci_u32_e64 v12, s1, s3, v6, s1
	s_and_saveexec_b32 s1, s0
	s_cbranch_execz .LBB1705_12
; %bb.10:
	v_ashrrev_i32_e32 v3, 31, v2
	s_delay_alu instid0(VALU_DEP_1) | instskip(NEXT) | instid1(VALU_DEP_1)
	v_lshlrev_b64 v[5:6], 3, v[2:3]
	v_add_co_u32 v5, s0, v11, v5
	s_delay_alu instid0(VALU_DEP_1)
	v_add_co_ci_u32_e64 v6, s0, v12, v6, s0
	v_cmp_eq_u32_e64 s0, v10, v2
	global_load_b64 v[13:14], v[5:6], off
	s_waitcnt vmcnt(0)
	v_dual_sub_f32 v13, v9, v13 :: v_dual_sub_f32 v14, v8, v14
	global_store_b64 v[5:6], v[13:14], off
	s_and_b32 exec_lo, exec_lo, s0
	s_cbranch_execz .LBB1705_12
; %bb.11:
	v_mov_b32_e32 v3, 0
	global_store_b32 v[5:6], v3, off offset:4
.LBB1705_12:
	s_or_b32 exec_lo, exec_lo, s1
	v_cmp_le_i32_e64 s0, v4, v10
	s_delay_alu instid0(VALU_DEP_1) | instskip(NEXT) | instid1(SALU_CYCLE_1)
	s_and_b32 s0, vcc_lo, s0
	s_and_saveexec_b32 s1, s0
	s_cbranch_execz .LBB1705_15
; %bb.13:
	v_ashrrev_i32_e32 v5, 31, v4
	s_delay_alu instid0(VALU_DEP_1) | instskip(NEXT) | instid1(VALU_DEP_1)
	v_lshlrev_b64 v[3:4], 3, v[4:5]
	v_add_co_u32 v3, vcc_lo, v11, v3
	s_delay_alu instid0(VALU_DEP_2)
	v_add_co_ci_u32_e32 v4, vcc_lo, v12, v4, vcc_lo
	v_cmp_eq_u32_e32 vcc_lo, v7, v2
	global_load_b64 v[5:6], v[3:4], off
	s_waitcnt vmcnt(0)
	v_dual_sub_f32 v0, v0, v5 :: v_dual_sub_f32 v1, v1, v6
	global_store_b64 v[3:4], v[0:1], off
	s_and_b32 exec_lo, exec_lo, vcc_lo
	s_cbranch_execz .LBB1705_15
; %bb.14:
	v_mov_b32_e32 v0, 0
	global_store_b32 v[3:4], v0, off offset:4
.LBB1705_15:
	s_nop 0
	s_sendmsg sendmsg(MSG_DEALLOC_VGPRS)
	s_endpgm
	.section	.rodata,"a",@progbits
	.p2align	6, 0x0
	.amdhsa_kernel _ZL37rocblas_syrkx_herkx_restricted_kernelIl19rocblas_complex_numIfELi16ELi32ELi8ELi1ELin1ELb1ELc84ELc85EKPKS1_KPS1_EviT_PT9_S7_lS9_S7_lPT10_S7_li
		.amdhsa_group_segment_fixed_size 4096
		.amdhsa_private_segment_fixed_size 0
		.amdhsa_kernarg_size 92
		.amdhsa_user_sgpr_count 13
		.amdhsa_user_sgpr_dispatch_ptr 0
		.amdhsa_user_sgpr_queue_ptr 0
		.amdhsa_user_sgpr_kernarg_segment_ptr 1
		.amdhsa_user_sgpr_dispatch_id 0
		.amdhsa_user_sgpr_private_segment_size 0
		.amdhsa_wavefront_size32 1
		.amdhsa_uses_dynamic_stack 0
		.amdhsa_enable_private_segment 0
		.amdhsa_system_sgpr_workgroup_id_x 1
		.amdhsa_system_sgpr_workgroup_id_y 1
		.amdhsa_system_sgpr_workgroup_id_z 1
		.amdhsa_system_sgpr_workgroup_info 0
		.amdhsa_system_vgpr_workitem_id 1
		.amdhsa_next_free_vgpr 91
		.amdhsa_next_free_sgpr 20
		.amdhsa_reserve_vcc 1
		.amdhsa_float_round_mode_32 0
		.amdhsa_float_round_mode_16_64 0
		.amdhsa_float_denorm_mode_32 3
		.amdhsa_float_denorm_mode_16_64 3
		.amdhsa_dx10_clamp 1
		.amdhsa_ieee_mode 1
		.amdhsa_fp16_overflow 0
		.amdhsa_workgroup_processor_mode 1
		.amdhsa_memory_ordered 1
		.amdhsa_forward_progress 0
		.amdhsa_shared_vgpr_count 0
		.amdhsa_exception_fp_ieee_invalid_op 0
		.amdhsa_exception_fp_denorm_src 0
		.amdhsa_exception_fp_ieee_div_zero 0
		.amdhsa_exception_fp_ieee_overflow 0
		.amdhsa_exception_fp_ieee_underflow 0
		.amdhsa_exception_fp_ieee_inexact 0
		.amdhsa_exception_int_div_zero 0
	.end_amdhsa_kernel
	.section	.text._ZL37rocblas_syrkx_herkx_restricted_kernelIl19rocblas_complex_numIfELi16ELi32ELi8ELi1ELin1ELb1ELc84ELc85EKPKS1_KPS1_EviT_PT9_S7_lS9_S7_lPT10_S7_li,"axG",@progbits,_ZL37rocblas_syrkx_herkx_restricted_kernelIl19rocblas_complex_numIfELi16ELi32ELi8ELi1ELin1ELb1ELc84ELc85EKPKS1_KPS1_EviT_PT9_S7_lS9_S7_lPT10_S7_li,comdat
.Lfunc_end1705:
	.size	_ZL37rocblas_syrkx_herkx_restricted_kernelIl19rocblas_complex_numIfELi16ELi32ELi8ELi1ELin1ELb1ELc84ELc85EKPKS1_KPS1_EviT_PT9_S7_lS9_S7_lPT10_S7_li, .Lfunc_end1705-_ZL37rocblas_syrkx_herkx_restricted_kernelIl19rocblas_complex_numIfELi16ELi32ELi8ELi1ELin1ELb1ELc84ELc85EKPKS1_KPS1_EviT_PT9_S7_lS9_S7_lPT10_S7_li
                                        ; -- End function
	.section	.AMDGPU.csdata,"",@progbits
; Kernel info:
; codeLenInByte = 2308
; NumSgprs: 22
; NumVgprs: 91
; ScratchSize: 0
; MemoryBound: 0
; FloatMode: 240
; IeeeMode: 1
; LDSByteSize: 4096 bytes/workgroup (compile time only)
; SGPRBlocks: 2
; VGPRBlocks: 11
; NumSGPRsForWavesPerEU: 22
; NumVGPRsForWavesPerEU: 91
; Occupancy: 16
; WaveLimiterHint : 1
; COMPUTE_PGM_RSRC2:SCRATCH_EN: 0
; COMPUTE_PGM_RSRC2:USER_SGPR: 13
; COMPUTE_PGM_RSRC2:TRAP_HANDLER: 0
; COMPUTE_PGM_RSRC2:TGID_X_EN: 1
; COMPUTE_PGM_RSRC2:TGID_Y_EN: 1
; COMPUTE_PGM_RSRC2:TGID_Z_EN: 1
; COMPUTE_PGM_RSRC2:TIDIG_COMP_CNT: 1
	.section	.text._ZL37rocblas_syrkx_herkx_restricted_kernelIl19rocblas_complex_numIfELi16ELi32ELi8ELi1ELin1ELb1ELc67ELc85EKPKS1_KPS1_EviT_PT9_S7_lS9_S7_lPT10_S7_li,"axG",@progbits,_ZL37rocblas_syrkx_herkx_restricted_kernelIl19rocblas_complex_numIfELi16ELi32ELi8ELi1ELin1ELb1ELc67ELc85EKPKS1_KPS1_EviT_PT9_S7_lS9_S7_lPT10_S7_li,comdat
	.globl	_ZL37rocblas_syrkx_herkx_restricted_kernelIl19rocblas_complex_numIfELi16ELi32ELi8ELi1ELin1ELb1ELc67ELc85EKPKS1_KPS1_EviT_PT9_S7_lS9_S7_lPT10_S7_li ; -- Begin function _ZL37rocblas_syrkx_herkx_restricted_kernelIl19rocblas_complex_numIfELi16ELi32ELi8ELi1ELin1ELb1ELc67ELc85EKPKS1_KPS1_EviT_PT9_S7_lS9_S7_lPT10_S7_li
	.p2align	8
	.type	_ZL37rocblas_syrkx_herkx_restricted_kernelIl19rocblas_complex_numIfELi16ELi32ELi8ELi1ELin1ELb1ELc67ELc85EKPKS1_KPS1_EviT_PT9_S7_lS9_S7_lPT10_S7_li,@function
_ZL37rocblas_syrkx_herkx_restricted_kernelIl19rocblas_complex_numIfELi16ELi32ELi8ELi1ELin1ELb1ELc67ELc85EKPKS1_KPS1_EviT_PT9_S7_lS9_S7_lPT10_S7_li: ; @_ZL37rocblas_syrkx_herkx_restricted_kernelIl19rocblas_complex_numIfELi16ELi32ELi8ELi1ELin1ELb1ELc67ELc85EKPKS1_KPS1_EviT_PT9_S7_lS9_S7_lPT10_S7_li
; %bb.0:
	s_clause 0x1
	s_load_b128 s[4:7], s[0:1], 0x40
	s_load_b128 s[8:11], s[0:1], 0x8
	s_mov_b32 s2, s15
	s_mov_b32 s3, 0
	v_dual_mov_b32 v17, 0 :: v_dual_and_b32 v6, 0x3ff, v0
	s_lshl_b64 s[16:17], s[2:3], 3
	v_bfe_u32 v7, v0, 10, 10
	v_dual_mov_b32 v16, 0 :: v_dual_mov_b32 v11, 0
	v_dual_mov_b32 v10, 0 :: v_dual_mov_b32 v9, 0
	;; [unrolled: 1-line block ×3, first 2 shown]
	v_mov_b32_e32 v0, 0
	s_waitcnt lgkmcnt(0)
	s_add_u32 s2, s4, s16
	s_addc_u32 s3, s5, s17
	v_cmp_lt_i64_e64 s4, s[8:9], 1
	s_load_b64 s[2:3], s[2:3], 0x0
	s_lshl_b32 s18, s13, 5
	s_lshl_b32 s19, s14, 5
	s_delay_alu instid0(VALU_DEP_1)
	s_and_b32 vcc_lo, exec_lo, s4
	s_cbranch_vccnz .LBB1706_3
; %bb.1:
	s_clause 0x1
	s_load_b128 s[12:15], s[0:1], 0x28
	s_load_b64 s[4:5], s[0:1], 0x18
	v_lshl_add_u32 v2, v7, 4, v6
	v_dual_mov_b32 v1, 0 :: v_dual_and_b32 v0, 7, v6
	s_add_u32 s10, s10, s16
	s_addc_u32 s11, s11, s17
	s_delay_alu instid0(VALU_DEP_2)
	v_lshrrev_b32_e32 v10, 3, v2
	v_and_b32_e32 v11, 31, v2
	v_lshrrev_b32_e32 v2, 5, v2
	v_mov_b32_e32 v3, v1
	s_load_b64 s[10:11], s[10:11], 0x0
	v_add_nc_u32_e32 v12, s19, v10
	v_add_nc_u32_e32 v8, s18, v11
	v_dual_mov_b32 v16, v1 :: v_dual_lshlrev_b32 v11, 3, v11
	v_mov_b32_e32 v17, v1
	s_delay_alu instid0(VALU_DEP_4) | instskip(NEXT) | instid1(VALU_DEP_4)
	v_ashrrev_i32_e32 v4, 31, v12
	v_ashrrev_i32_e32 v5, 31, v8
	s_waitcnt lgkmcnt(0)
	s_add_u32 s12, s12, s16
	s_addc_u32 s13, s13, s17
	v_mul_lo_u32 v13, v4, s14
	v_mul_lo_u32 v14, s4, v5
	v_mad_u64_u32 v[4:5], null, s4, v8, v[2:3]
	v_mul_lo_u32 v3, s5, v8
	s_load_b64 s[4:5], s[12:13], 0x0
	v_mul_lo_u32 v15, v12, s15
	v_mad_u64_u32 v[8:9], null, v12, s14, v[0:1]
	v_lshlrev_b32_e32 v0, 3, v0
	v_lshlrev_b32_e32 v12, 3, v6
	v_add3_u32 v5, v3, v5, v14
	v_lshl_or_b32 v14, v2, 8, v11
	v_mov_b32_e32 v11, v1
	v_add3_u32 v9, v13, v9, v15
	v_lshl_or_b32 v0, v10, 6, v0
	v_lshlrev_b64 v[3:4], 3, v[4:5]
	v_lshl_add_u32 v13, v7, 6, 0x800
	v_mov_b32_e32 v10, v1
	v_lshlrev_b64 v[8:9], 3, v[8:9]
	v_add_nc_u32_e32 v15, 0x800, v0
	v_add_co_u32 v0, vcc_lo, v3, s10
	v_add_co_ci_u32_e32 v3, vcc_lo, s11, v4, vcc_lo
	s_waitcnt lgkmcnt(0)
	s_delay_alu instid0(VALU_DEP_4) | instskip(SKIP_3) | instid1(VALU_DEP_4)
	v_add_co_u32 v4, vcc_lo, v8, s4
	v_add_co_ci_u32_e32 v5, vcc_lo, s5, v9, vcc_lo
	v_add_co_u32 v2, vcc_lo, v0, 4
	v_add_co_ci_u32_e32 v3, vcc_lo, 0, v3, vcc_lo
	v_add_co_u32 v4, vcc_lo, v4, 4
	s_delay_alu instid0(VALU_DEP_4)
	v_add_co_ci_u32_e32 v5, vcc_lo, 0, v5, vcc_lo
	v_mov_b32_e32 v0, v1
	v_mov_b32_e32 v8, v1
	;; [unrolled: 1-line block ×3, first 2 shown]
	s_mov_b64 s[4:5], 0
.LBB1706_2:                             ; =>This Inner Loop Header: Depth=1
	global_load_b64 v[18:19], v[2:3], off offset:-4
	global_load_b64 v[20:21], v[4:5], off offset:-4
	s_add_u32 s4, s4, 8
	v_add_co_u32 v2, vcc_lo, v2, 64
	s_addc_u32 s5, s5, 0
	v_add_co_ci_u32_e32 v3, vcc_lo, 0, v3, vcc_lo
	v_cmp_ge_u64_e64 s10, s[4:5], s[8:9]
	v_add_co_u32 v4, vcc_lo, v4, 64
	v_add_co_ci_u32_e32 v5, vcc_lo, 0, v5, vcc_lo
	s_delay_alu instid0(VALU_DEP_3)
	s_and_b32 vcc_lo, exec_lo, s10
	s_waitcnt vmcnt(1)
	v_xor_b32_e32 v19, 0x80000000, v19
	ds_store_b64 v14, v[18:19]
	s_waitcnt vmcnt(0)
	ds_store_b64 v15, v[20:21]
	s_waitcnt lgkmcnt(0)
	s_barrier
	buffer_gl0_inv
	ds_load_2addr_b64 v[18:21], v12 offset1:16
	ds_load_b128 v[22:25], v13
	ds_load_b128 v[26:29], v13 offset:1024
	ds_load_b128 v[30:33], v13 offset:16
	;; [unrolled: 1-line block ×4, first 2 shown]
	ds_load_2addr_b64 v[42:45], v12 offset0:32 offset1:48
	ds_load_2addr_b64 v[46:49], v12 offset0:64 offset1:80
	ds_load_b128 v[50:53], v13 offset:1040
	ds_load_2addr_b64 v[54:57], v12 offset0:96 offset1:112
	ds_load_2addr_b64 v[58:61], v12 offset0:128 offset1:144
	;; [unrolled: 1-line block ×4, first 2 shown]
	ds_load_b128 v[70:73], v13 offset:1056
	ds_load_b128 v[74:77], v13 offset:1072
	ds_load_2addr_b64 v[78:81], v12 offset0:224 offset1:240
	s_waitcnt lgkmcnt(0)
	s_barrier
	buffer_gl0_inv
	v_dual_mul_f32 v82, v23, v19 :: v_dual_mul_f32 v85, v22, v21
	v_dual_mul_f32 v83, v22, v19 :: v_dual_mul_f32 v84, v23, v21
	v_mul_f32_e32 v86, v27, v19
	v_dual_mul_f32 v19, v26, v19 :: v_dual_mul_f32 v90, v25, v45
	v_dual_mul_f32 v87, v27, v21 :: v_dual_mul_f32 v88, v25, v43
	v_mul_f32_e32 v21, v26, v21
	v_fma_f32 v82, v22, v18, -v82
	v_fmac_f32_e32 v83, v23, v18
	v_fma_f32 v22, v22, v20, -v84
	v_fmac_f32_e32 v85, v23, v20
	v_fma_f32 v23, v26, v18, -v86
	v_dual_fmac_f32 v19, v27, v18 :: v_dual_mul_f32 v86, v30, v47
	v_fma_f32 v18, v26, v20, -v87
	v_dual_fmac_f32 v21, v27, v20 :: v_dual_mul_f32 v20, v24, v45
	v_mul_f32_e32 v89, v24, v43
	v_mul_f32_e32 v26, v29, v43
	;; [unrolled: 1-line block ×4, first 2 shown]
	v_fmac_f32_e32 v20, v25, v44
	v_fmac_f32_e32 v89, v25, v42
	v_dual_mul_f32 v25, v28, v45 :: v_dual_fmac_f32 v86, v31, v46
	v_fma_f32 v84, v24, v42, -v88
	v_fma_f32 v24, v24, v44, -v90
	v_dual_mul_f32 v45, v31, v47 :: v_dual_mul_f32 v90, v33, v57
	v_fma_f32 v26, v28, v42, -v26
	v_fma_f32 v28, v28, v44, -v43
	v_fmac_f32_e32 v25, v29, v44
	v_dual_mul_f32 v43, v50, v47 :: v_dual_mul_f32 v44, v51, v49
	v_dual_fmac_f32 v27, v29, v42 :: v_dual_mul_f32 v42, v51, v47
	v_dual_mul_f32 v88, v32, v55 :: v_dual_mul_f32 v29, v30, v49
	v_mul_f32_e32 v87, v31, v49
	v_fma_f32 v45, v30, v46, -v45
	v_add_f32_e32 v10, v10, v85
	s_delay_alu instid0(VALU_DEP_4)
	v_dual_fmac_f32 v88, v33, v54 :: v_dual_fmac_f32 v29, v31, v48
	v_fma_f32 v31, v50, v46, -v42
	v_fma_f32 v42, v50, v48, -v44
	v_mul_f32_e32 v44, v32, v57
	v_mul_f32_e32 v47, v50, v49
	v_dual_mul_f32 v50, v53, v57 :: v_dual_fmac_f32 v43, v51, v46
	v_mul_f32_e32 v46, v53, v55
	v_mul_f32_e32 v49, v33, v55
	v_fma_f32 v30, v30, v48, -v87
	v_fmac_f32_e32 v44, v33, v56
	v_dual_fmac_f32 v47, v51, v48 :: v_dual_mul_f32 v48, v52, v55
	v_mul_f32_e32 v33, v52, v57
	v_fma_f32 v46, v52, v54, -v46
	v_fma_f32 v50, v52, v56, -v50
	v_mul_f32_e32 v52, v34, v61
	v_fma_f32 v49, v32, v54, -v49
	v_fma_f32 v32, v32, v56, -v90
	v_dual_mul_f32 v51, v35, v59 :: v_dual_fmac_f32 v48, v53, v54
	v_mul_f32_e32 v54, v70, v59
	v_dual_mul_f32 v55, v34, v59 :: v_dual_fmac_f32 v52, v35, v60
	v_fmac_f32_e32 v33, v53, v56
	v_mul_f32_e32 v53, v71, v59
	v_mul_f32_e32 v56, v71, v61
	;; [unrolled: 1-line block ×3, first 2 shown]
	v_fmac_f32_e32 v54, v71, v58
	v_fmac_f32_e32 v55, v35, v58
	v_fma_f32 v35, v70, v58, -v53
	v_fma_f32 v53, v70, v60, -v56
	v_mul_f32_e32 v56, v36, v65
	v_mul_f32_e32 v59, v70, v61
	v_fma_f32 v51, v34, v58, -v51
	v_mul_f32_e32 v58, v72, v63
	v_mul_f32_e32 v87, v36, v63
	;; [unrolled: 1-line block ×4, first 2 shown]
	v_fma_f32 v34, v34, v60, -v57
	v_mul_f32_e32 v57, v73, v63
	v_fmac_f32_e32 v56, v37, v64
	v_dual_fmac_f32 v59, v71, v60 :: v_dual_mul_f32 v60, v73, v65
	v_mul_f32_e32 v63, v39, v67
	v_mul_f32_e32 v70, v39, v69
	v_fmac_f32_e32 v58, v73, v62
	v_fmac_f32_e32 v87, v37, v62
	v_mul_f32_e32 v37, v72, v65
	v_fma_f32 v61, v36, v62, -v61
	v_fma_f32 v36, v36, v64, -v90
	v_mul_f32_e32 v65, v38, v67
	v_fma_f32 v57, v72, v62, -v57
	v_fma_f32 v60, v72, v64, -v60
	v_dual_fmac_f32 v37, v73, v64 :: v_dual_mul_f32 v62, v38, v69
	v_mul_f32_e32 v64, v75, v67
	v_mul_f32_e32 v73, v40, v79
	v_fma_f32 v63, v38, v66, -v63
	v_fma_f32 v38, v38, v68, -v70
	v_mul_f32_e32 v70, v76, v79
	v_mul_f32_e32 v67, v74, v67
	v_dual_mul_f32 v71, v75, v69 :: v_dual_add_f32 v16, v16, v82
	v_dual_mul_f32 v69, v74, v69 :: v_dual_add_f32 v8, v8, v19
	v_fmac_f32_e32 v65, v39, v66
	v_fmac_f32_e32 v62, v39, v68
	s_delay_alu instid0(VALU_DEP_4)
	v_add_f32_e32 v16, v16, v84
	v_fma_f32 v39, v74, v66, -v64
	v_fmac_f32_e32 v70, v77, v78
	v_dual_fmac_f32 v67, v75, v66 :: v_dual_add_f32 v10, v10, v20
	v_mul_f32_e32 v66, v40, v81
	v_mul_f32_e32 v72, v41, v79
	;; [unrolled: 1-line block ×3, first 2 shown]
	v_fma_f32 v64, v74, v68, -v71
	v_dual_fmac_f32 v69, v75, v68 :: v_dual_add_f32 v0, v0, v18
	v_dual_mul_f32 v71, v77, v81 :: v_dual_add_f32 v8, v8, v27
	v_fmac_f32_e32 v73, v41, v78
	v_fmac_f32_e32 v66, v41, v80
	s_delay_alu instid0(VALU_DEP_4) | instskip(SKIP_3) | instid1(VALU_DEP_4)
	v_dual_add_f32 v0, v0, v28 :: v_dual_add_f32 v17, v17, v83
	v_add_f32_e32 v10, v10, v29
	v_mul_f32_e32 v41, v76, v81
	v_dual_add_f32 v11, v11, v22 :: v_dual_add_f32 v8, v8, v43
	v_dual_add_f32 v9, v9, v23 :: v_dual_add_f32 v0, v0, v42
	v_add_f32_e32 v1, v1, v21
	v_add_f32_e32 v16, v16, v45
	s_delay_alu instid0(VALU_DEP_4)
	v_add_f32_e32 v8, v8, v48
	v_add_f32_e32 v10, v10, v44
	v_fmac_f32_e32 v41, v77, v80
	v_dual_add_f32 v17, v17, v89 :: v_dual_add_f32 v0, v0, v50
	v_dual_add_f32 v11, v11, v24 :: v_dual_add_f32 v16, v16, v49
	v_add_f32_e32 v9, v9, v26
	v_dual_add_f32 v1, v1, v25 :: v_dual_add_f32 v10, v10, v52
	s_delay_alu instid0(VALU_DEP_4) | instskip(NEXT) | instid1(VALU_DEP_4)
	v_dual_add_f32 v17, v17, v86 :: v_dual_add_f32 v0, v0, v53
	v_dual_add_f32 v16, v16, v51 :: v_dual_add_f32 v11, v11, v30
	s_delay_alu instid0(VALU_DEP_4) | instskip(NEXT) | instid1(VALU_DEP_4)
	v_dual_add_f32 v9, v9, v31 :: v_dual_add_f32 v8, v8, v54
	v_dual_add_f32 v1, v1, v47 :: v_dual_add_f32 v10, v10, v56
	s_delay_alu instid0(VALU_DEP_4) | instskip(NEXT) | instid1(VALU_DEP_3)
	v_add_f32_e32 v17, v17, v88
	v_dual_add_f32 v9, v9, v46 :: v_dual_add_f32 v0, v0, v60
	s_delay_alu instid0(VALU_DEP_3) | instskip(SKIP_2) | instid1(VALU_DEP_3)
	v_dual_add_f32 v1, v1, v33 :: v_dual_add_f32 v10, v10, v62
	v_dual_add_f32 v16, v16, v61 :: v_dual_add_f32 v11, v11, v32
	v_fma_f32 v72, v40, v78, -v72
	v_dual_add_f32 v1, v1, v59 :: v_dual_add_f32 v10, v10, v66
	v_dual_add_f32 v8, v8, v58 :: v_dual_add_f32 v17, v17, v55
	v_add_f32_e32 v0, v0, v64
	v_dual_add_f32 v16, v16, v63 :: v_dual_add_f32 v11, v11, v34
	s_delay_alu instid0(VALU_DEP_3) | instskip(SKIP_2) | instid1(VALU_DEP_4)
	v_add_f32_e32 v8, v8, v67
	v_add_f32_e32 v9, v9, v35
	v_mul_f32_e32 v68, v77, v79
	v_add_f32_e32 v16, v16, v72
	v_fma_f32 v71, v76, v80, -v71
	v_dual_add_f32 v17, v17, v87 :: v_dual_add_f32 v8, v8, v70
	v_add_f32_e32 v11, v11, v36
	s_delay_alu instid0(VALU_DEP_3)
	v_dual_add_f32 v9, v9, v57 :: v_dual_add_f32 v0, v0, v71
	v_add_f32_e32 v1, v1, v37
	v_fma_f32 v40, v40, v80, -v90
	v_fma_f32 v68, v76, v78, -v68
	v_add_f32_e32 v17, v17, v65
	v_add_f32_e32 v11, v11, v38
	;; [unrolled: 1-line block ×4, first 2 shown]
	s_delay_alu instid0(VALU_DEP_4) | instskip(NEXT) | instid1(VALU_DEP_4)
	v_add_f32_e32 v17, v17, v73
	v_add_f32_e32 v11, v11, v40
	s_delay_alu instid0(VALU_DEP_4) | instskip(NEXT) | instid1(VALU_DEP_4)
	v_add_f32_e32 v9, v9, v68
	v_add_f32_e32 v1, v1, v41
	s_cbranch_vccz .LBB1706_2
.LBB1706_3:
	v_add_nc_u32_e32 v7, s19, v7
	s_load_b32 s4, s[0:1], 0x0
	s_delay_alu instid0(VALU_DEP_1) | instskip(SKIP_2) | instid1(VALU_DEP_3)
	v_ashrrev_i32_e32 v2, 31, v7
	v_mul_lo_u32 v5, v7, s7
	v_mad_u64_u32 v[3:4], null, v7, s6, 0
	v_mul_lo_u32 v2, v2, s6
	s_delay_alu instid0(VALU_DEP_1) | instskip(SKIP_3) | instid1(VALU_DEP_3)
	v_add3_u32 v4, v4, v5, v2
	v_add_nc_u32_e32 v2, s18, v6
	s_waitcnt lgkmcnt(0)
	v_cmp_gt_i32_e32 vcc_lo, s4, v7
	v_lshlrev_b64 v[3:4], 3, v[3:4]
	s_delay_alu instid0(VALU_DEP_3) | instskip(NEXT) | instid1(VALU_DEP_1)
	v_cmp_le_i32_e64 s0, v2, v7
	s_and_b32 s0, vcc_lo, s0
	s_delay_alu instid0(VALU_DEP_2) | instskip(NEXT) | instid1(VALU_DEP_1)
	v_add_co_u32 v6, s1, s2, v3
	v_add_co_ci_u32_e64 v12, s1, s3, v4, s1
	s_and_saveexec_b32 s1, s0
	s_cbranch_execz .LBB1706_6
; %bb.4:
	v_ashrrev_i32_e32 v3, 31, v2
	s_delay_alu instid0(VALU_DEP_1) | instskip(NEXT) | instid1(VALU_DEP_1)
	v_lshlrev_b64 v[3:4], 3, v[2:3]
	v_add_co_u32 v3, s0, v6, v3
	s_delay_alu instid0(VALU_DEP_1)
	v_add_co_ci_u32_e64 v4, s0, v12, v4, s0
	v_cmp_eq_u32_e64 s0, v7, v2
	global_load_b64 v[13:14], v[3:4], off
	s_waitcnt vmcnt(0)
	v_dual_sub_f32 v13, v16, v13 :: v_dual_sub_f32 v14, v17, v14
	global_store_b64 v[3:4], v[13:14], off
	s_and_b32 exec_lo, exec_lo, s0
	s_cbranch_execz .LBB1706_6
; %bb.5:
	v_mov_b32_e32 v5, 0
	global_store_b32 v[3:4], v5, off offset:4
.LBB1706_6:
	s_or_b32 exec_lo, exec_lo, s1
	v_add_nc_u32_e32 v4, 16, v2
	s_delay_alu instid0(VALU_DEP_1) | instskip(NEXT) | instid1(VALU_DEP_1)
	v_cmp_le_i32_e64 s0, v4, v7
	s_and_b32 s1, vcc_lo, s0
	s_delay_alu instid0(SALU_CYCLE_1)
	s_and_saveexec_b32 s0, s1
	s_cbranch_execz .LBB1706_9
; %bb.7:
	v_ashrrev_i32_e32 v5, 31, v4
	s_delay_alu instid0(VALU_DEP_1) | instskip(NEXT) | instid1(VALU_DEP_1)
	v_lshlrev_b64 v[13:14], 3, v[4:5]
	v_add_co_u32 v5, vcc_lo, v6, v13
	s_delay_alu instid0(VALU_DEP_2)
	v_add_co_ci_u32_e32 v6, vcc_lo, v12, v14, vcc_lo
	v_cmp_eq_u32_e32 vcc_lo, v7, v4
	global_load_b64 v[12:13], v[5:6], off
	s_waitcnt vmcnt(0)
	v_dual_sub_f32 v11, v11, v12 :: v_dual_sub_f32 v12, v10, v13
	global_store_b64 v[5:6], v[11:12], off
	s_and_b32 exec_lo, exec_lo, vcc_lo
	s_cbranch_execz .LBB1706_9
; %bb.8:
	v_mov_b32_e32 v3, 0
	global_store_b32 v[5:6], v3, off offset:4
.LBB1706_9:
	s_or_b32 exec_lo, exec_lo, s0
	v_add_nc_u32_e32 v10, 16, v7
	s_delay_alu instid0(VALU_DEP_1) | instskip(SKIP_3) | instid1(VALU_DEP_4)
	v_ashrrev_i32_e32 v3, 31, v10
	v_mul_lo_u32 v11, v10, s7
	v_mad_u64_u32 v[5:6], null, v10, s6, 0
	v_cmp_gt_i32_e32 vcc_lo, s4, v10
	v_mul_lo_u32 v3, v3, s6
	v_cmp_le_i32_e64 s0, v2, v10
	s_delay_alu instid0(VALU_DEP_1) | instskip(NEXT) | instid1(VALU_DEP_2)
	s_and_b32 s0, vcc_lo, s0
	v_add3_u32 v6, v6, v11, v3
	s_delay_alu instid0(VALU_DEP_1) | instskip(NEXT) | instid1(VALU_DEP_1)
	v_lshlrev_b64 v[5:6], 3, v[5:6]
	v_add_co_u32 v11, s1, s2, v5
	s_delay_alu instid0(VALU_DEP_1)
	v_add_co_ci_u32_e64 v12, s1, s3, v6, s1
	s_and_saveexec_b32 s1, s0
	s_cbranch_execz .LBB1706_12
; %bb.10:
	v_ashrrev_i32_e32 v3, 31, v2
	s_delay_alu instid0(VALU_DEP_1) | instskip(NEXT) | instid1(VALU_DEP_1)
	v_lshlrev_b64 v[5:6], 3, v[2:3]
	v_add_co_u32 v5, s0, v11, v5
	s_delay_alu instid0(VALU_DEP_1)
	v_add_co_ci_u32_e64 v6, s0, v12, v6, s0
	v_cmp_eq_u32_e64 s0, v10, v2
	global_load_b64 v[13:14], v[5:6], off
	s_waitcnt vmcnt(0)
	v_dual_sub_f32 v13, v9, v13 :: v_dual_sub_f32 v14, v8, v14
	global_store_b64 v[5:6], v[13:14], off
	s_and_b32 exec_lo, exec_lo, s0
	s_cbranch_execz .LBB1706_12
; %bb.11:
	v_mov_b32_e32 v3, 0
	global_store_b32 v[5:6], v3, off offset:4
.LBB1706_12:
	s_or_b32 exec_lo, exec_lo, s1
	v_cmp_le_i32_e64 s0, v4, v10
	s_delay_alu instid0(VALU_DEP_1) | instskip(NEXT) | instid1(SALU_CYCLE_1)
	s_and_b32 s0, vcc_lo, s0
	s_and_saveexec_b32 s1, s0
	s_cbranch_execz .LBB1706_15
; %bb.13:
	v_ashrrev_i32_e32 v5, 31, v4
	s_delay_alu instid0(VALU_DEP_1) | instskip(NEXT) | instid1(VALU_DEP_1)
	v_lshlrev_b64 v[3:4], 3, v[4:5]
	v_add_co_u32 v3, vcc_lo, v11, v3
	s_delay_alu instid0(VALU_DEP_2)
	v_add_co_ci_u32_e32 v4, vcc_lo, v12, v4, vcc_lo
	v_cmp_eq_u32_e32 vcc_lo, v7, v2
	global_load_b64 v[5:6], v[3:4], off
	s_waitcnt vmcnt(0)
	v_dual_sub_f32 v0, v0, v5 :: v_dual_sub_f32 v1, v1, v6
	global_store_b64 v[3:4], v[0:1], off
	s_and_b32 exec_lo, exec_lo, vcc_lo
	s_cbranch_execz .LBB1706_15
; %bb.14:
	v_mov_b32_e32 v0, 0
	global_store_b32 v[3:4], v0, off offset:4
.LBB1706_15:
	s_nop 0
	s_sendmsg sendmsg(MSG_DEALLOC_VGPRS)
	s_endpgm
	.section	.rodata,"a",@progbits
	.p2align	6, 0x0
	.amdhsa_kernel _ZL37rocblas_syrkx_herkx_restricted_kernelIl19rocblas_complex_numIfELi16ELi32ELi8ELi1ELin1ELb1ELc67ELc85EKPKS1_KPS1_EviT_PT9_S7_lS9_S7_lPT10_S7_li
		.amdhsa_group_segment_fixed_size 4096
		.amdhsa_private_segment_fixed_size 0
		.amdhsa_kernarg_size 92
		.amdhsa_user_sgpr_count 13
		.amdhsa_user_sgpr_dispatch_ptr 0
		.amdhsa_user_sgpr_queue_ptr 0
		.amdhsa_user_sgpr_kernarg_segment_ptr 1
		.amdhsa_user_sgpr_dispatch_id 0
		.amdhsa_user_sgpr_private_segment_size 0
		.amdhsa_wavefront_size32 1
		.amdhsa_uses_dynamic_stack 0
		.amdhsa_enable_private_segment 0
		.amdhsa_system_sgpr_workgroup_id_x 1
		.amdhsa_system_sgpr_workgroup_id_y 1
		.amdhsa_system_sgpr_workgroup_id_z 1
		.amdhsa_system_sgpr_workgroup_info 0
		.amdhsa_system_vgpr_workitem_id 1
		.amdhsa_next_free_vgpr 91
		.amdhsa_next_free_sgpr 20
		.amdhsa_reserve_vcc 1
		.amdhsa_float_round_mode_32 0
		.amdhsa_float_round_mode_16_64 0
		.amdhsa_float_denorm_mode_32 3
		.amdhsa_float_denorm_mode_16_64 3
		.amdhsa_dx10_clamp 1
		.amdhsa_ieee_mode 1
		.amdhsa_fp16_overflow 0
		.amdhsa_workgroup_processor_mode 1
		.amdhsa_memory_ordered 1
		.amdhsa_forward_progress 0
		.amdhsa_shared_vgpr_count 0
		.amdhsa_exception_fp_ieee_invalid_op 0
		.amdhsa_exception_fp_denorm_src 0
		.amdhsa_exception_fp_ieee_div_zero 0
		.amdhsa_exception_fp_ieee_overflow 0
		.amdhsa_exception_fp_ieee_underflow 0
		.amdhsa_exception_fp_ieee_inexact 0
		.amdhsa_exception_int_div_zero 0
	.end_amdhsa_kernel
	.section	.text._ZL37rocblas_syrkx_herkx_restricted_kernelIl19rocblas_complex_numIfELi16ELi32ELi8ELi1ELin1ELb1ELc67ELc85EKPKS1_KPS1_EviT_PT9_S7_lS9_S7_lPT10_S7_li,"axG",@progbits,_ZL37rocblas_syrkx_herkx_restricted_kernelIl19rocblas_complex_numIfELi16ELi32ELi8ELi1ELin1ELb1ELc67ELc85EKPKS1_KPS1_EviT_PT9_S7_lS9_S7_lPT10_S7_li,comdat
.Lfunc_end1706:
	.size	_ZL37rocblas_syrkx_herkx_restricted_kernelIl19rocblas_complex_numIfELi16ELi32ELi8ELi1ELin1ELb1ELc67ELc85EKPKS1_KPS1_EviT_PT9_S7_lS9_S7_lPT10_S7_li, .Lfunc_end1706-_ZL37rocblas_syrkx_herkx_restricted_kernelIl19rocblas_complex_numIfELi16ELi32ELi8ELi1ELin1ELb1ELc67ELc85EKPKS1_KPS1_EviT_PT9_S7_lS9_S7_lPT10_S7_li
                                        ; -- End function
	.section	.AMDGPU.csdata,"",@progbits
; Kernel info:
; codeLenInByte = 2320
; NumSgprs: 22
; NumVgprs: 91
; ScratchSize: 0
; MemoryBound: 0
; FloatMode: 240
; IeeeMode: 1
; LDSByteSize: 4096 bytes/workgroup (compile time only)
; SGPRBlocks: 2
; VGPRBlocks: 11
; NumSGPRsForWavesPerEU: 22
; NumVGPRsForWavesPerEU: 91
; Occupancy: 16
; WaveLimiterHint : 1
; COMPUTE_PGM_RSRC2:SCRATCH_EN: 0
; COMPUTE_PGM_RSRC2:USER_SGPR: 13
; COMPUTE_PGM_RSRC2:TRAP_HANDLER: 0
; COMPUTE_PGM_RSRC2:TGID_X_EN: 1
; COMPUTE_PGM_RSRC2:TGID_Y_EN: 1
; COMPUTE_PGM_RSRC2:TGID_Z_EN: 1
; COMPUTE_PGM_RSRC2:TIDIG_COMP_CNT: 1
	.section	.text._ZL37rocblas_syrkx_herkx_restricted_kernelIl19rocblas_complex_numIfELi16ELi32ELi8ELi1ELin1ELb1ELc78ELc85EKPKS1_KPS1_EviT_PT9_S7_lS9_S7_lPT10_S7_li,"axG",@progbits,_ZL37rocblas_syrkx_herkx_restricted_kernelIl19rocblas_complex_numIfELi16ELi32ELi8ELi1ELin1ELb1ELc78ELc85EKPKS1_KPS1_EviT_PT9_S7_lS9_S7_lPT10_S7_li,comdat
	.globl	_ZL37rocblas_syrkx_herkx_restricted_kernelIl19rocblas_complex_numIfELi16ELi32ELi8ELi1ELin1ELb1ELc78ELc85EKPKS1_KPS1_EviT_PT9_S7_lS9_S7_lPT10_S7_li ; -- Begin function _ZL37rocblas_syrkx_herkx_restricted_kernelIl19rocblas_complex_numIfELi16ELi32ELi8ELi1ELin1ELb1ELc78ELc85EKPKS1_KPS1_EviT_PT9_S7_lS9_S7_lPT10_S7_li
	.p2align	8
	.type	_ZL37rocblas_syrkx_herkx_restricted_kernelIl19rocblas_complex_numIfELi16ELi32ELi8ELi1ELin1ELb1ELc78ELc85EKPKS1_KPS1_EviT_PT9_S7_lS9_S7_lPT10_S7_li,@function
_ZL37rocblas_syrkx_herkx_restricted_kernelIl19rocblas_complex_numIfELi16ELi32ELi8ELi1ELin1ELb1ELc78ELc85EKPKS1_KPS1_EviT_PT9_S7_lS9_S7_lPT10_S7_li: ; @_ZL37rocblas_syrkx_herkx_restricted_kernelIl19rocblas_complex_numIfELi16ELi32ELi8ELi1ELin1ELb1ELc78ELc85EKPKS1_KPS1_EviT_PT9_S7_lS9_S7_lPT10_S7_li
; %bb.0:
	s_clause 0x1
	s_load_b128 s[4:7], s[0:1], 0x40
	s_load_b128 s[8:11], s[0:1], 0x8
	s_mov_b32 s2, s15
	s_mov_b32 s3, 0
	v_dual_mov_b32 v15, 0 :: v_dual_and_b32 v4, 0x3ff, v0
	s_lshl_b64 s[16:17], s[2:3], 3
	v_bfe_u32 v6, v0, 10, 10
	v_dual_mov_b32 v14, 0 :: v_dual_mov_b32 v13, 0
	v_dual_mov_b32 v12, 0 :: v_dual_mov_b32 v9, 0
	;; [unrolled: 1-line block ×3, first 2 shown]
	v_mov_b32_e32 v5, 0
	s_waitcnt lgkmcnt(0)
	s_add_u32 s2, s4, s16
	s_addc_u32 s3, s5, s17
	v_cmp_lt_i64_e64 s4, s[8:9], 1
	s_load_b64 s[2:3], s[2:3], 0x0
	s_lshl_b32 s18, s13, 5
	s_lshl_b32 s19, s14, 5
	s_delay_alu instid0(VALU_DEP_1)
	s_and_b32 vcc_lo, exec_lo, s4
	s_cbranch_vccnz .LBB1707_3
; %bb.1:
	v_lshl_add_u32 v1, v6, 4, v4
	s_clause 0x1
	s_load_b64 s[4:5], s[0:1], 0x18
	s_load_b128 s[12:15], s[0:1], 0x28
	s_add_u32 s10, s10, s16
	s_addc_u32 s11, s11, s17
	v_lshl_add_u32 v11, v6, 6, 0x800
	v_dual_mov_b32 v5, 0 :: v_dual_and_b32 v14, 31, v1
	v_lshrrev_b32_e32 v15, 3, v1
	v_lshrrev_b32_e32 v16, 5, v1
	s_load_b64 s[10:11], s[10:11], 0x0
	s_delay_alu instid0(VALU_DEP_3) | instskip(SKIP_2) | instid1(VALU_DEP_3)
	v_add_nc_u32_e32 v0, s18, v14
	v_lshlrev_b32_e32 v14, 3, v14
	v_add_nc_u32_e32 v2, s19, v15
	v_ashrrev_i32_e32 v1, 31, v0
	s_delay_alu instid0(VALU_DEP_2) | instskip(SKIP_1) | instid1(VALU_DEP_2)
	v_ashrrev_i32_e32 v3, 31, v2
	s_waitcnt lgkmcnt(0)
	v_mad_u64_u32 v[12:13], null, v16, s4, v[0:1]
	v_and_b32_e32 v7, 7, v4
	s_add_u32 s12, s12, s16
	s_addc_u32 s13, s13, s17
	s_load_b64 s[12:13], s[12:13], 0x0
	s_delay_alu instid0(VALU_DEP_1) | instskip(NEXT) | instid1(VALU_DEP_3)
	v_mad_u64_u32 v[0:1], null, v7, s14, v[2:3]
	v_mov_b32_e32 v2, v13
	s_delay_alu instid0(VALU_DEP_1) | instskip(NEXT) | instid1(VALU_DEP_3)
	v_mad_u64_u32 v[8:9], null, v16, s5, v[2:3]
	v_mad_u64_u32 v[2:3], null, v7, s15, v[1:2]
	v_lshlrev_b32_e32 v1, 3, v7
	v_dual_mov_b32 v7, 0 :: v_dual_lshlrev_b32 v10, 3, v4
	v_mov_b32_e32 v9, 0
	v_dual_mov_b32 v13, v8 :: v_dual_mov_b32 v8, 0
	s_delay_alu instid0(VALU_DEP_4) | instskip(SKIP_2) | instid1(VALU_DEP_4)
	v_lshl_or_b32 v15, v15, 6, v1
	v_mov_b32_e32 v1, v2
	v_lshl_or_b32 v16, v16, 8, v14
	v_lshlrev_b64 v[2:3], 3, v[12:13]
	s_lshl_b64 s[4:5], s[4:5], 6
	v_add_nc_u32_e32 v17, 0x800, v15
	v_lshlrev_b64 v[0:1], 3, v[0:1]
	v_dual_mov_b32 v15, 0 :: v_dual_mov_b32 v14, 0
	s_delay_alu instid0(VALU_DEP_4) | instskip(SKIP_2) | instid1(VALU_DEP_4)
	v_add_co_u32 v2, vcc_lo, v2, s10
	v_add_co_ci_u32_e32 v3, vcc_lo, s11, v3, vcc_lo
	s_waitcnt lgkmcnt(0)
	v_add_co_u32 v12, vcc_lo, v0, s12
	v_add_co_ci_u32_e32 v13, vcc_lo, s13, v1, vcc_lo
	v_add_co_u32 v0, vcc_lo, v2, 4
	v_add_co_ci_u32_e32 v1, vcc_lo, 0, v3, vcc_lo
	s_delay_alu instid0(VALU_DEP_4)
	v_add_co_u32 v2, vcc_lo, v12, 4
	v_mov_b32_e32 v12, 0
	v_add_co_ci_u32_e32 v3, vcc_lo, 0, v13, vcc_lo
	v_mov_b32_e32 v13, 0
	s_lshl_b64 s[10:11], s[14:15], 6
	s_mov_b64 s[12:13], 0
.LBB1707_2:                             ; =>This Inner Loop Header: Depth=1
	global_load_b64 v[18:19], v[2:3], off offset:-4
	global_load_b64 v[20:21], v[0:1], off offset:-4
	s_add_u32 s12, s12, 8
	v_add_co_u32 v0, vcc_lo, v0, s4
	s_addc_u32 s13, s13, 0
	v_add_co_ci_u32_e32 v1, vcc_lo, s5, v1, vcc_lo
	v_cmp_ge_u64_e64 s14, s[12:13], s[8:9]
	v_add_co_u32 v2, vcc_lo, v2, s10
	v_add_co_ci_u32_e32 v3, vcc_lo, s11, v3, vcc_lo
	s_delay_alu instid0(VALU_DEP_3)
	s_and_b32 vcc_lo, exec_lo, s14
	s_waitcnt vmcnt(1)
	v_xor_b32_e32 v19, 0x80000000, v19
	s_waitcnt vmcnt(0)
	ds_store_b64 v16, v[20:21]
	ds_store_b64 v17, v[18:19]
	s_waitcnt lgkmcnt(0)
	s_barrier
	buffer_gl0_inv
	ds_load_2addr_b64 v[18:21], v10 offset1:16
	ds_load_b128 v[22:25], v11
	ds_load_b128 v[26:29], v11 offset:1024
	ds_load_b128 v[30:33], v11 offset:16
	;; [unrolled: 1-line block ×4, first 2 shown]
	ds_load_2addr_b64 v[42:45], v10 offset0:32 offset1:48
	ds_load_2addr_b64 v[46:49], v10 offset0:64 offset1:80
	ds_load_b128 v[50:53], v11 offset:1040
	ds_load_2addr_b64 v[54:57], v10 offset0:96 offset1:112
	ds_load_2addr_b64 v[58:61], v10 offset0:128 offset1:144
	;; [unrolled: 1-line block ×4, first 2 shown]
	ds_load_b128 v[70:73], v11 offset:1056
	ds_load_b128 v[74:77], v11 offset:1072
	ds_load_2addr_b64 v[78:81], v10 offset0:224 offset1:240
	s_waitcnt lgkmcnt(0)
	s_barrier
	buffer_gl0_inv
	v_dual_mul_f32 v82, v23, v19 :: v_dual_mul_f32 v85, v22, v21
	v_dual_mul_f32 v83, v22, v19 :: v_dual_mul_f32 v84, v23, v21
	v_mul_f32_e32 v86, v27, v19
	v_dual_mul_f32 v19, v26, v19 :: v_dual_mul_f32 v90, v25, v45
	v_dual_mul_f32 v87, v27, v21 :: v_dual_mul_f32 v88, v25, v43
	v_mul_f32_e32 v21, v26, v21
	v_mul_f32_e32 v89, v24, v43
	;; [unrolled: 1-line block ×3, first 2 shown]
	v_fma_f32 v82, v22, v18, -v82
	v_fmac_f32_e32 v83, v23, v18
	v_fma_f32 v22, v22, v20, -v84
	v_dual_fmac_f32 v85, v23, v20 :: v_dual_mul_f32 v84, v30, v47
	v_fma_f32 v23, v26, v18, -v86
	v_fmac_f32_e32 v19, v27, v18
	v_fma_f32 v18, v26, v20, -v87
	v_dual_mul_f32 v26, v28, v43 :: v_dual_fmac_f32 v21, v27, v20
	v_mul_f32_e32 v20, v29, v43
	v_mul_f32_e32 v27, v29, v45
	v_dual_mul_f32 v43, v28, v45 :: v_dual_fmac_f32 v84, v31, v46
	v_fma_f32 v45, v24, v42, -v88
	v_fma_f32 v24, v24, v44, -v90
	v_dual_fmac_f32 v91, v25, v44 :: v_dual_mul_f32 v90, v32, v57
	v_dual_mul_f32 v86, v31, v49 :: v_dual_fmac_f32 v89, v25, v42
	v_dual_mul_f32 v25, v31, v47 :: v_dual_mul_f32 v88, v33, v57
	v_fma_f32 v20, v28, v42, -v20
	v_fmac_f32_e32 v26, v29, v42
	v_fma_f32 v27, v28, v44, -v27
	v_dual_fmac_f32 v43, v29, v44 :: v_dual_mul_f32 v28, v51, v47
	v_dual_mul_f32 v29, v50, v47 :: v_dual_mul_f32 v42, v51, v49
	v_mul_f32_e32 v44, v50, v49
	v_mul_f32_e32 v87, v30, v49
	;; [unrolled: 1-line block ×3, first 2 shown]
	v_dual_mul_f32 v49, v32, v55 :: v_dual_fmac_f32 v90, v33, v56
	v_fma_f32 v25, v30, v46, -v25
	v_fma_f32 v30, v30, v48, -v86
	;; [unrolled: 1-line block ×3, first 2 shown]
	v_fmac_f32_e32 v44, v51, v48
	v_fmac_f32_e32 v87, v31, v48
	v_fma_f32 v31, v50, v48, -v42
	v_mul_f32_e32 v42, v53, v55
	v_mul_f32_e32 v48, v53, v57
	v_dual_mul_f32 v50, v52, v57 :: v_dual_fmac_f32 v29, v51, v46
	v_mul_f32_e32 v46, v52, v55
	v_fma_f32 v47, v32, v54, -v47
	v_fmac_f32_e32 v49, v33, v54
	v_fma_f32 v32, v32, v56, -v88
	s_delay_alu instid0(VALU_DEP_4)
	v_dual_mul_f32 v33, v35, v59 :: v_dual_fmac_f32 v46, v53, v54
	v_mul_f32_e32 v51, v34, v59
	v_mul_f32_e32 v55, v35, v61
	v_fma_f32 v42, v52, v54, -v42
	v_fma_f32 v48, v52, v56, -v48
	v_fmac_f32_e32 v50, v53, v56
	v_mul_f32_e32 v52, v71, v59
	v_dual_mul_f32 v53, v70, v59 :: v_dual_mul_f32 v86, v37, v65
	v_mul_f32_e32 v54, v71, v61
	v_dual_mul_f32 v56, v70, v61 :: v_dual_mul_f32 v59, v37, v63
	v_mul_f32_e32 v57, v34, v61
	v_mul_f32_e32 v61, v36, v63
	v_dual_mul_f32 v88, v36, v65 :: v_dual_fmac_f32 v51, v35, v58
	v_fma_f32 v33, v34, v58, -v33
	v_fmac_f32_e32 v53, v71, v58
	v_fmac_f32_e32 v56, v71, v60
	s_delay_alu instid0(VALU_DEP_4)
	v_fmac_f32_e32 v88, v37, v64
	v_fmac_f32_e32 v57, v35, v60
	v_fma_f32 v35, v70, v58, -v52
	v_fma_f32 v52, v70, v60, -v54
	v_mul_f32_e32 v54, v73, v63
	v_fma_f32 v34, v34, v60, -v55
	v_mul_f32_e32 v60, v72, v65
	v_dual_mul_f32 v55, v72, v63 :: v_dual_mul_f32 v70, v38, v69
	v_mul_f32_e32 v58, v73, v65
	v_fma_f32 v59, v36, v62, -v59
	v_fmac_f32_e32 v61, v37, v62
	v_fma_f32 v36, v36, v64, -v86
	v_dual_mul_f32 v37, v39, v67 :: v_dual_fmac_f32 v60, v73, v64
	v_dual_mul_f32 v63, v38, v67 :: v_dual_mul_f32 v86, v40, v81
	v_mul_f32_e32 v65, v39, v69
	v_fma_f32 v54, v72, v62, -v54
	v_fmac_f32_e32 v55, v73, v62
	v_fma_f32 v58, v72, v64, -v58
	v_mul_f32_e32 v72, v40, v79
	v_mul_f32_e32 v62, v75, v67
	v_dual_mul_f32 v64, v74, v67 :: v_dual_mul_f32 v67, v75, v69
	v_dual_mul_f32 v69, v74, v69 :: v_dual_fmac_f32 v70, v39, v68
	s_delay_alu instid0(VALU_DEP_2)
	v_dual_mul_f32 v71, v41, v79 :: v_dual_fmac_f32 v64, v75, v66
	v_dual_mul_f32 v73, v41, v81 :: v_dual_add_f32 v14, v14, v82
	v_fma_f32 v37, v38, v66, -v37
	v_fmac_f32_e32 v63, v39, v66
	v_fma_f32 v38, v38, v68, -v65
	v_fma_f32 v39, v74, v66, -v62
	v_dual_fmac_f32 v69, v75, v68 :: v_dual_fmac_f32 v72, v41, v78
	v_dual_mul_f32 v65, v77, v79 :: v_dual_add_f32 v12, v12, v85
	v_mul_f32_e32 v66, v76, v79
	v_fma_f32 v62, v74, v68, -v67
	v_dual_mul_f32 v67, v77, v81 :: v_dual_add_f32 v8, v8, v19
	v_mul_f32_e32 v68, v76, v81
	v_dual_fmac_f32 v86, v41, v80 :: v_dual_add_f32 v15, v15, v83
	v_dual_add_f32 v13, v13, v22 :: v_dual_add_f32 v14, v14, v45
	s_delay_alu instid0(VALU_DEP_3) | instskip(SKIP_4) | instid1(VALU_DEP_3)
	v_dual_fmac_f32 v68, v77, v80 :: v_dual_add_f32 v7, v7, v18
	v_dual_add_f32 v9, v9, v23 :: v_dual_add_f32 v8, v8, v26
	v_dual_add_f32 v5, v5, v21 :: v_dual_add_f32 v12, v12, v91
	v_dual_fmac_f32 v66, v77, v78 :: v_dual_add_f32 v15, v15, v89
	v_dual_add_f32 v13, v13, v24 :: v_dual_add_f32 v14, v14, v25
	v_dual_add_f32 v9, v9, v20 :: v_dual_add_f32 v12, v12, v87
	;; [unrolled: 1-line block ×3, first 2 shown]
	v_add_f32_e32 v5, v5, v43
	s_delay_alu instid0(VALU_DEP_4) | instskip(NEXT) | instid1(VALU_DEP_3)
	v_dual_add_f32 v15, v15, v84 :: v_dual_add_f32 v14, v14, v47
	v_dual_add_f32 v9, v9, v28 :: v_dual_add_f32 v8, v8, v46
	v_add_f32_e32 v12, v12, v90
	s_delay_alu instid0(VALU_DEP_3) | instskip(SKIP_1) | instid1(VALU_DEP_4)
	v_dual_add_f32 v13, v13, v30 :: v_dual_add_f32 v14, v14, v33
	v_add_f32_e32 v7, v7, v31
	v_dual_add_f32 v5, v5, v44 :: v_dual_add_f32 v8, v8, v53
	s_delay_alu instid0(VALU_DEP_4) | instskip(NEXT) | instid1(VALU_DEP_4)
	v_add_f32_e32 v12, v12, v57
	v_dual_add_f32 v15, v15, v49 :: v_dual_add_f32 v14, v14, v59
	s_delay_alu instid0(VALU_DEP_3) | instskip(NEXT) | instid1(VALU_DEP_3)
	v_dual_add_f32 v13, v13, v32 :: v_dual_add_f32 v8, v8, v55
	v_dual_add_f32 v9, v9, v42 :: v_dual_add_f32 v12, v12, v88
	s_delay_alu instid0(VALU_DEP_3) | instskip(NEXT) | instid1(VALU_DEP_3)
	v_dual_add_f32 v7, v7, v48 :: v_dual_add_f32 v14, v14, v37
	v_dual_add_f32 v5, v5, v50 :: v_dual_add_f32 v8, v8, v64
	v_fma_f32 v71, v40, v78, -v71
	s_delay_alu instid0(VALU_DEP_4)
	v_dual_add_f32 v15, v15, v51 :: v_dual_add_f32 v12, v12, v70
	v_add_f32_e32 v13, v13, v34
	v_add_f32_e32 v9, v9, v35
	v_dual_add_f32 v7, v7, v52 :: v_dual_add_f32 v8, v8, v66
	v_add_f32_e32 v5, v5, v56
	v_dual_add_f32 v15, v15, v61 :: v_dual_add_f32 v14, v14, v71
	v_add_f32_e32 v13, v13, v36
	s_delay_alu instid0(VALU_DEP_4) | instskip(NEXT) | instid1(VALU_DEP_4)
	v_add_f32_e32 v7, v7, v58
	v_dual_add_f32 v5, v5, v60 :: v_dual_add_f32 v12, v12, v86
	v_add_f32_e32 v9, v9, v54
	v_fma_f32 v40, v40, v80, -v73
	v_fma_f32 v41, v76, v78, -v65
	;; [unrolled: 1-line block ×3, first 2 shown]
	v_add_f32_e32 v15, v15, v63
	v_add_f32_e32 v13, v13, v38
	;; [unrolled: 1-line block ×10, first 2 shown]
	s_cbranch_vccz .LBB1707_2
.LBB1707_3:
	v_add_nc_u32_e32 v6, s19, v6
	s_load_b32 s4, s[0:1], 0x0
	s_delay_alu instid0(VALU_DEP_1) | instskip(SKIP_2) | instid1(VALU_DEP_3)
	v_ashrrev_i32_e32 v0, 31, v6
	v_mul_lo_u32 v3, v6, s7
	v_mad_u64_u32 v[1:2], null, v6, s6, 0
	v_mul_lo_u32 v0, v0, s6
	s_delay_alu instid0(VALU_DEP_1) | instskip(SKIP_3) | instid1(VALU_DEP_3)
	v_add3_u32 v2, v2, v3, v0
	v_add_nc_u32_e32 v0, s18, v4
	s_waitcnt lgkmcnt(0)
	v_cmp_gt_i32_e32 vcc_lo, s4, v6
	v_lshlrev_b64 v[1:2], 3, v[1:2]
	s_delay_alu instid0(VALU_DEP_3) | instskip(NEXT) | instid1(VALU_DEP_1)
	v_cmp_le_i32_e64 s0, v0, v6
	s_and_b32 s0, vcc_lo, s0
	s_delay_alu instid0(VALU_DEP_2) | instskip(NEXT) | instid1(VALU_DEP_1)
	v_add_co_u32 v4, s1, s2, v1
	v_add_co_ci_u32_e64 v10, s1, s3, v2, s1
	s_and_saveexec_b32 s1, s0
	s_cbranch_execz .LBB1707_6
; %bb.4:
	v_ashrrev_i32_e32 v1, 31, v0
	s_delay_alu instid0(VALU_DEP_1) | instskip(NEXT) | instid1(VALU_DEP_1)
	v_lshlrev_b64 v[1:2], 3, v[0:1]
	v_add_co_u32 v1, s0, v4, v1
	s_delay_alu instid0(VALU_DEP_1)
	v_add_co_ci_u32_e64 v2, s0, v10, v2, s0
	v_cmp_eq_u32_e64 s0, v6, v0
	global_load_b64 v[16:17], v[1:2], off
	s_waitcnt vmcnt(0)
	v_dual_sub_f32 v14, v14, v16 :: v_dual_sub_f32 v15, v15, v17
	global_store_b64 v[1:2], v[14:15], off
	s_and_b32 exec_lo, exec_lo, s0
	s_cbranch_execz .LBB1707_6
; %bb.5:
	v_mov_b32_e32 v3, 0
	global_store_b32 v[1:2], v3, off offset:4
.LBB1707_6:
	s_or_b32 exec_lo, exec_lo, s1
	v_add_nc_u32_e32 v2, 16, v0
	s_delay_alu instid0(VALU_DEP_1) | instskip(NEXT) | instid1(VALU_DEP_1)
	v_cmp_le_i32_e64 s0, v2, v6
	s_and_b32 s1, vcc_lo, s0
	s_delay_alu instid0(SALU_CYCLE_1)
	s_and_saveexec_b32 s0, s1
	s_cbranch_execz .LBB1707_9
; %bb.7:
	v_ashrrev_i32_e32 v3, 31, v2
	s_delay_alu instid0(VALU_DEP_1) | instskip(NEXT) | instid1(VALU_DEP_1)
	v_lshlrev_b64 v[14:15], 3, v[2:3]
	v_add_co_u32 v3, vcc_lo, v4, v14
	s_delay_alu instid0(VALU_DEP_2)
	v_add_co_ci_u32_e32 v4, vcc_lo, v10, v15, vcc_lo
	v_cmp_eq_u32_e32 vcc_lo, v6, v2
	global_load_b64 v[10:11], v[3:4], off
	s_waitcnt vmcnt(0)
	v_dual_sub_f32 v10, v13, v10 :: v_dual_sub_f32 v11, v12, v11
	global_store_b64 v[3:4], v[10:11], off
	s_and_b32 exec_lo, exec_lo, vcc_lo
	s_cbranch_execz .LBB1707_9
; %bb.8:
	v_mov_b32_e32 v1, 0
	global_store_b32 v[3:4], v1, off offset:4
.LBB1707_9:
	s_or_b32 exec_lo, exec_lo, s0
	v_add_nc_u32_e32 v10, 16, v6
	s_delay_alu instid0(VALU_DEP_1) | instskip(SKIP_3) | instid1(VALU_DEP_4)
	v_ashrrev_i32_e32 v1, 31, v10
	v_mul_lo_u32 v11, v10, s7
	v_mad_u64_u32 v[3:4], null, v10, s6, 0
	v_cmp_gt_i32_e32 vcc_lo, s4, v10
	v_mul_lo_u32 v1, v1, s6
	v_cmp_le_i32_e64 s0, v0, v10
	s_delay_alu instid0(VALU_DEP_1) | instskip(NEXT) | instid1(VALU_DEP_2)
	s_and_b32 s0, vcc_lo, s0
	v_add3_u32 v4, v4, v11, v1
	s_delay_alu instid0(VALU_DEP_1) | instskip(NEXT) | instid1(VALU_DEP_1)
	v_lshlrev_b64 v[3:4], 3, v[3:4]
	v_add_co_u32 v11, s1, s2, v3
	s_delay_alu instid0(VALU_DEP_1)
	v_add_co_ci_u32_e64 v12, s1, s3, v4, s1
	s_and_saveexec_b32 s1, s0
	s_cbranch_execz .LBB1707_12
; %bb.10:
	v_ashrrev_i32_e32 v1, 31, v0
	s_delay_alu instid0(VALU_DEP_1) | instskip(NEXT) | instid1(VALU_DEP_1)
	v_lshlrev_b64 v[3:4], 3, v[0:1]
	v_add_co_u32 v3, s0, v11, v3
	s_delay_alu instid0(VALU_DEP_1)
	v_add_co_ci_u32_e64 v4, s0, v12, v4, s0
	v_cmp_eq_u32_e64 s0, v10, v0
	global_load_b64 v[13:14], v[3:4], off
	s_waitcnt vmcnt(0)
	v_dual_sub_f32 v13, v9, v13 :: v_dual_sub_f32 v14, v8, v14
	global_store_b64 v[3:4], v[13:14], off
	s_and_b32 exec_lo, exec_lo, s0
	s_cbranch_execz .LBB1707_12
; %bb.11:
	v_mov_b32_e32 v1, 0
	global_store_b32 v[3:4], v1, off offset:4
.LBB1707_12:
	s_or_b32 exec_lo, exec_lo, s1
	v_cmp_le_i32_e64 s0, v2, v10
	s_delay_alu instid0(VALU_DEP_1) | instskip(NEXT) | instid1(SALU_CYCLE_1)
	s_and_b32 s0, vcc_lo, s0
	s_and_saveexec_b32 s1, s0
	s_cbranch_execz .LBB1707_15
; %bb.13:
	v_ashrrev_i32_e32 v3, 31, v2
	s_delay_alu instid0(VALU_DEP_1) | instskip(NEXT) | instid1(VALU_DEP_1)
	v_lshlrev_b64 v[1:2], 3, v[2:3]
	v_add_co_u32 v1, vcc_lo, v11, v1
	s_delay_alu instid0(VALU_DEP_2)
	v_add_co_ci_u32_e32 v2, vcc_lo, v12, v2, vcc_lo
	v_cmp_eq_u32_e32 vcc_lo, v6, v0
	global_load_b64 v[3:4], v[1:2], off
	s_waitcnt vmcnt(0)
	v_dual_sub_f32 v3, v7, v3 :: v_dual_sub_f32 v4, v5, v4
	global_store_b64 v[1:2], v[3:4], off
	s_and_b32 exec_lo, exec_lo, vcc_lo
	s_cbranch_execz .LBB1707_15
; %bb.14:
	v_mov_b32_e32 v0, 0
	global_store_b32 v[1:2], v0, off offset:4
.LBB1707_15:
	s_nop 0
	s_sendmsg sendmsg(MSG_DEALLOC_VGPRS)
	s_endpgm
	.section	.rodata,"a",@progbits
	.p2align	6, 0x0
	.amdhsa_kernel _ZL37rocblas_syrkx_herkx_restricted_kernelIl19rocblas_complex_numIfELi16ELi32ELi8ELi1ELin1ELb1ELc78ELc85EKPKS1_KPS1_EviT_PT9_S7_lS9_S7_lPT10_S7_li
		.amdhsa_group_segment_fixed_size 4096
		.amdhsa_private_segment_fixed_size 0
		.amdhsa_kernarg_size 92
		.amdhsa_user_sgpr_count 13
		.amdhsa_user_sgpr_dispatch_ptr 0
		.amdhsa_user_sgpr_queue_ptr 0
		.amdhsa_user_sgpr_kernarg_segment_ptr 1
		.amdhsa_user_sgpr_dispatch_id 0
		.amdhsa_user_sgpr_private_segment_size 0
		.amdhsa_wavefront_size32 1
		.amdhsa_uses_dynamic_stack 0
		.amdhsa_enable_private_segment 0
		.amdhsa_system_sgpr_workgroup_id_x 1
		.amdhsa_system_sgpr_workgroup_id_y 1
		.amdhsa_system_sgpr_workgroup_id_z 1
		.amdhsa_system_sgpr_workgroup_info 0
		.amdhsa_system_vgpr_workitem_id 1
		.amdhsa_next_free_vgpr 92
		.amdhsa_next_free_sgpr 20
		.amdhsa_reserve_vcc 1
		.amdhsa_float_round_mode_32 0
		.amdhsa_float_round_mode_16_64 0
		.amdhsa_float_denorm_mode_32 3
		.amdhsa_float_denorm_mode_16_64 3
		.amdhsa_dx10_clamp 1
		.amdhsa_ieee_mode 1
		.amdhsa_fp16_overflow 0
		.amdhsa_workgroup_processor_mode 1
		.amdhsa_memory_ordered 1
		.amdhsa_forward_progress 0
		.amdhsa_shared_vgpr_count 0
		.amdhsa_exception_fp_ieee_invalid_op 0
		.amdhsa_exception_fp_denorm_src 0
		.amdhsa_exception_fp_ieee_div_zero 0
		.amdhsa_exception_fp_ieee_overflow 0
		.amdhsa_exception_fp_ieee_underflow 0
		.amdhsa_exception_fp_ieee_inexact 0
		.amdhsa_exception_int_div_zero 0
	.end_amdhsa_kernel
	.section	.text._ZL37rocblas_syrkx_herkx_restricted_kernelIl19rocblas_complex_numIfELi16ELi32ELi8ELi1ELin1ELb1ELc78ELc85EKPKS1_KPS1_EviT_PT9_S7_lS9_S7_lPT10_S7_li,"axG",@progbits,_ZL37rocblas_syrkx_herkx_restricted_kernelIl19rocblas_complex_numIfELi16ELi32ELi8ELi1ELin1ELb1ELc78ELc85EKPKS1_KPS1_EviT_PT9_S7_lS9_S7_lPT10_S7_li,comdat
.Lfunc_end1707:
	.size	_ZL37rocblas_syrkx_herkx_restricted_kernelIl19rocblas_complex_numIfELi16ELi32ELi8ELi1ELin1ELb1ELc78ELc85EKPKS1_KPS1_EviT_PT9_S7_lS9_S7_lPT10_S7_li, .Lfunc_end1707-_ZL37rocblas_syrkx_herkx_restricted_kernelIl19rocblas_complex_numIfELi16ELi32ELi8ELi1ELin1ELb1ELc78ELc85EKPKS1_KPS1_EviT_PT9_S7_lS9_S7_lPT10_S7_li
                                        ; -- End function
	.section	.AMDGPU.csdata,"",@progbits
; Kernel info:
; codeLenInByte = 2312
; NumSgprs: 22
; NumVgprs: 92
; ScratchSize: 0
; MemoryBound: 0
; FloatMode: 240
; IeeeMode: 1
; LDSByteSize: 4096 bytes/workgroup (compile time only)
; SGPRBlocks: 2
; VGPRBlocks: 11
; NumSGPRsForWavesPerEU: 22
; NumVGPRsForWavesPerEU: 92
; Occupancy: 16
; WaveLimiterHint : 1
; COMPUTE_PGM_RSRC2:SCRATCH_EN: 0
; COMPUTE_PGM_RSRC2:USER_SGPR: 13
; COMPUTE_PGM_RSRC2:TRAP_HANDLER: 0
; COMPUTE_PGM_RSRC2:TGID_X_EN: 1
; COMPUTE_PGM_RSRC2:TGID_Y_EN: 1
; COMPUTE_PGM_RSRC2:TGID_Z_EN: 1
; COMPUTE_PGM_RSRC2:TIDIG_COMP_CNT: 1
	.section	.text._ZL37rocblas_syrkx_herkx_restricted_kernelIl19rocblas_complex_numIfELi16ELi32ELi8ELi1ELi0ELb1ELc84ELc76EKPKS1_KPS1_EviT_PT9_S7_lS9_S7_lPT10_S7_li,"axG",@progbits,_ZL37rocblas_syrkx_herkx_restricted_kernelIl19rocblas_complex_numIfELi16ELi32ELi8ELi1ELi0ELb1ELc84ELc76EKPKS1_KPS1_EviT_PT9_S7_lS9_S7_lPT10_S7_li,comdat
	.globl	_ZL37rocblas_syrkx_herkx_restricted_kernelIl19rocblas_complex_numIfELi16ELi32ELi8ELi1ELi0ELb1ELc84ELc76EKPKS1_KPS1_EviT_PT9_S7_lS9_S7_lPT10_S7_li ; -- Begin function _ZL37rocblas_syrkx_herkx_restricted_kernelIl19rocblas_complex_numIfELi16ELi32ELi8ELi1ELi0ELb1ELc84ELc76EKPKS1_KPS1_EviT_PT9_S7_lS9_S7_lPT10_S7_li
	.p2align	8
	.type	_ZL37rocblas_syrkx_herkx_restricted_kernelIl19rocblas_complex_numIfELi16ELi32ELi8ELi1ELi0ELb1ELc84ELc76EKPKS1_KPS1_EviT_PT9_S7_lS9_S7_lPT10_S7_li,@function
_ZL37rocblas_syrkx_herkx_restricted_kernelIl19rocblas_complex_numIfELi16ELi32ELi8ELi1ELi0ELb1ELc84ELc76EKPKS1_KPS1_EviT_PT9_S7_lS9_S7_lPT10_S7_li: ; @_ZL37rocblas_syrkx_herkx_restricted_kernelIl19rocblas_complex_numIfELi16ELi32ELi8ELi1ELi0ELb1ELc84ELc76EKPKS1_KPS1_EviT_PT9_S7_lS9_S7_lPT10_S7_li
; %bb.0:
	s_clause 0x1
	s_load_b128 s[4:7], s[0:1], 0x40
	s_load_b128 s[8:11], s[0:1], 0x8
	s_mov_b32 s2, s15
	s_mov_b32 s3, 0
	v_dual_mov_b32 v4, 0 :: v_dual_and_b32 v9, 0x3ff, v0
	s_lshl_b64 s[16:17], s[2:3], 3
	v_bfe_u32 v10, v0, 10, 10
	v_dual_mov_b32 v17, 0 :: v_dual_mov_b32 v12, 0
	v_dual_mov_b32 v3, 0 :: v_dual_mov_b32 v2, 0
	;; [unrolled: 1-line block ×3, first 2 shown]
	v_mov_b32_e32 v1, 0
	s_waitcnt lgkmcnt(0)
	s_add_u32 s2, s4, s16
	s_addc_u32 s3, s5, s17
	v_cmp_lt_i64_e64 s4, s[8:9], 1
	s_load_b64 s[2:3], s[2:3], 0x0
	s_lshl_b32 s18, s13, 5
	s_lshl_b32 s19, s14, 5
	s_delay_alu instid0(VALU_DEP_1)
	s_and_b32 vcc_lo, exec_lo, s4
	s_cbranch_vccnz .LBB1708_3
; %bb.1:
	s_clause 0x1
	s_load_b128 s[12:15], s[0:1], 0x28
	s_load_b64 s[4:5], s[0:1], 0x18
	v_lshl_add_u32 v2, v10, 4, v9
	v_dual_mov_b32 v1, 0 :: v_dual_and_b32 v0, 7, v9
	s_add_u32 s10, s10, s16
	s_addc_u32 s11, s11, s17
	s_delay_alu instid0(VALU_DEP_2)
	v_lshrrev_b32_e32 v8, 3, v2
	v_and_b32_e32 v11, 31, v2
	v_lshrrev_b32_e32 v2, 5, v2
	v_mov_b32_e32 v3, v1
	s_load_b64 s[10:11], s[10:11], 0x0
	v_add_nc_u32_e32 v12, s19, v8
	v_add_nc_u32_e32 v6, s18, v11
	v_lshlrev_b32_e32 v11, 3, v11
	v_mov_b32_e32 v17, v1
	s_delay_alu instid0(VALU_DEP_4) | instskip(NEXT) | instid1(VALU_DEP_4)
	v_ashrrev_i32_e32 v4, 31, v12
	v_ashrrev_i32_e32 v5, 31, v6
	s_waitcnt lgkmcnt(0)
	s_add_u32 s12, s12, s16
	s_addc_u32 s13, s13, s17
	v_mul_lo_u32 v14, v4, s14
	v_mul_lo_u32 v13, s4, v5
	v_mad_u64_u32 v[4:5], null, s4, v6, v[2:3]
	v_mul_lo_u32 v3, s5, v6
	s_load_b64 s[4:5], s[12:13], 0x0
	v_mul_lo_u32 v15, v12, s15
	v_mad_u64_u32 v[6:7], null, v12, s14, v[0:1]
	v_mov_b32_e32 v12, v1
	v_lshlrev_b32_e32 v0, 3, v0
	v_add3_u32 v5, v3, v5, v13
	v_lshlrev_b32_e32 v13, 3, v9
	v_add3_u32 v7, v14, v7, v15
	s_delay_alu instid0(VALU_DEP_4) | instskip(NEXT) | instid1(VALU_DEP_4)
	v_lshl_or_b32 v0, v8, 6, v0
	v_lshlrev_b64 v[3:4], 3, v[4:5]
	v_lshl_or_b32 v15, v2, 8, v11
	v_lshl_add_u32 v14, v10, 6, 0x800
	v_lshlrev_b64 v[5:6], 3, v[6:7]
	v_dual_mov_b32 v11, v1 :: v_dual_add_nc_u32 v16, 0x800, v0
	v_add_co_u32 v0, vcc_lo, v3, s10
	v_add_co_ci_u32_e32 v2, vcc_lo, s11, v4, vcc_lo
	s_waitcnt lgkmcnt(0)
	s_delay_alu instid0(VALU_DEP_4) | instskip(SKIP_3) | instid1(VALU_DEP_4)
	v_add_co_u32 v3, vcc_lo, v5, s4
	v_add_co_ci_u32_e32 v4, vcc_lo, s5, v6, vcc_lo
	v_add_co_u32 v5, vcc_lo, v0, 4
	v_add_co_ci_u32_e32 v6, vcc_lo, 0, v2, vcc_lo
	v_add_co_u32 v7, vcc_lo, v3, 4
	s_delay_alu instid0(VALU_DEP_4)
	v_add_co_ci_u32_e32 v8, vcc_lo, 0, v4, vcc_lo
	v_mov_b32_e32 v0, v1
	v_mov_b32_e32 v2, v1
	;; [unrolled: 1-line block ×4, first 2 shown]
	s_mov_b64 s[4:5], 0
.LBB1708_2:                             ; =>This Inner Loop Header: Depth=1
	global_load_b64 v[18:19], v[5:6], off offset:-4
	global_load_b64 v[20:21], v[7:8], off offset:-4
	s_add_u32 s4, s4, 8
	v_add_co_u32 v5, vcc_lo, v5, 64
	s_addc_u32 s5, s5, 0
	v_add_co_ci_u32_e32 v6, vcc_lo, 0, v6, vcc_lo
	v_cmp_ge_u64_e64 s10, s[4:5], s[8:9]
	v_add_co_u32 v7, vcc_lo, v7, 64
	v_add_co_ci_u32_e32 v8, vcc_lo, 0, v8, vcc_lo
	s_waitcnt vmcnt(1)
	ds_store_b64 v15, v[18:19]
	s_waitcnt vmcnt(0)
	ds_store_b64 v16, v[20:21]
	s_waitcnt lgkmcnt(0)
	s_barrier
	buffer_gl0_inv
	ds_load_2addr_b64 v[18:21], v13 offset1:16
	ds_load_b128 v[22:25], v14
	ds_load_b128 v[26:29], v14 offset:1024
	ds_load_2addr_b64 v[30:33], v13 offset0:32 offset1:48
	ds_load_b128 v[34:37], v14 offset:16
	ds_load_b128 v[38:41], v14 offset:32
	;; [unrolled: 1-line block ×3, first 2 shown]
	ds_load_2addr_b64 v[46:49], v13 offset0:64 offset1:80
	ds_load_b128 v[50:53], v14 offset:1040
	ds_load_2addr_b64 v[54:57], v13 offset0:96 offset1:112
	ds_load_2addr_b64 v[58:61], v13 offset0:128 offset1:144
	;; [unrolled: 1-line block ×4, first 2 shown]
	ds_load_b128 v[70:73], v14 offset:1056
	ds_load_b128 v[74:77], v14 offset:1072
	s_and_b32 vcc_lo, exec_lo, s10
	s_waitcnt lgkmcnt(13)
	v_dual_mul_f32 v78, v23, v19 :: v_dual_mul_f32 v81, v22, v21
	s_waitcnt lgkmcnt(11)
	v_dual_mul_f32 v83, v26, v19 :: v_dual_mul_f32 v86, v25, v33
	v_mul_f32_e32 v84, v26, v21
	v_dual_mul_f32 v79, v22, v19 :: v_dual_mul_f32 v80, v23, v21
	v_mul_f32_e32 v82, v27, v19
	v_mul_f32_e32 v19, v27, v21
	v_mul_f32_e32 v21, v25, v31
	v_dual_mul_f32 v85, v24, v31 :: v_dual_fmac_f32 v84, v27, v20
	v_fmac_f32_e32 v83, v27, v18
	v_mul_f32_e32 v27, v24, v33
	v_fma_f32 v78, v22, v18, -v78
	v_fmac_f32_e32 v79, v23, v18
	v_fmac_f32_e32 v81, v23, v20
	v_fma_f32 v23, v26, v18, -v82
	v_mul_f32_e32 v18, v29, v31
	v_fma_f32 v26, v26, v20, -v19
	v_mul_f32_e32 v31, v28, v31
	v_mul_f32_e32 v19, v29, v33
	v_fmac_f32_e32 v85, v25, v30
	v_fmac_f32_e32 v27, v25, v32
	v_mul_f32_e32 v25, v28, v33
	v_fma_f32 v22, v22, v20, -v80
	v_fma_f32 v80, v24, v30, -v21
	;; [unrolled: 1-line block ×3, first 2 shown]
	s_waitcnt lgkmcnt(7)
	v_mul_f32_e32 v20, v35, v47
	v_mul_f32_e32 v33, v34, v47
	;; [unrolled: 1-line block ×3, first 2 shown]
	v_fma_f32 v82, v28, v30, -v18
	v_fmac_f32_e32 v31, v29, v30
	v_fma_f32 v28, v28, v32, -v19
	v_fmac_f32_e32 v25, v29, v32
	s_waitcnt lgkmcnt(6)
	v_dual_mul_f32 v29, v34, v49 :: v_dual_mul_f32 v18, v51, v47
	v_dual_mul_f32 v30, v50, v47 :: v_dual_mul_f32 v19, v51, v49
	s_waitcnt lgkmcnt(5)
	v_dual_mul_f32 v32, v50, v49 :: v_dual_mul_f32 v49, v36, v55
	v_fma_f32 v87, v34, v46, -v20
	v_fmac_f32_e32 v33, v35, v46
	v_fmac_f32_e32 v29, v35, v48
	v_fma_f32 v35, v50, v46, -v18
	v_fmac_f32_e32 v30, v51, v46
	v_fma_f32 v46, v50, v48, -v19
	v_fmac_f32_e32 v32, v51, v48
	v_mul_f32_e32 v18, v53, v55
	v_fma_f32 v34, v34, v48, -v21
	v_dual_mul_f32 v48, v36, v57 :: v_dual_mul_f32 v47, v37, v55
	v_mul_f32_e32 v86, v37, v57
	v_dual_mul_f32 v50, v52, v55 :: v_dual_mul_f32 v19, v53, v57
	v_fmac_f32_e32 v49, v37, v54
	s_delay_alu instid0(VALU_DEP_4)
	v_dual_fmac_f32 v48, v37, v56 :: v_dual_mul_f32 v37, v52, v57
	v_fma_f32 v47, v36, v54, -v47
	v_fma_f32 v36, v36, v56, -v86
	s_waitcnt lgkmcnt(4)
	v_mul_f32_e32 v20, v39, v59
	v_mul_f32_e32 v51, v38, v59
	;; [unrolled: 1-line block ×3, first 2 shown]
	v_fma_f32 v55, v52, v54, -v18
	v_fmac_f32_e32 v50, v53, v54
	v_fmac_f32_e32 v37, v53, v56
	s_waitcnt lgkmcnt(1)
	v_dual_mul_f32 v53, v38, v61 :: v_dual_mul_f32 v18, v71, v59
	v_fma_f32 v52, v52, v56, -v19
	v_dual_mul_f32 v54, v70, v59 :: v_dual_mul_f32 v19, v71, v61
	v_dual_mul_f32 v56, v70, v61 :: v_dual_mul_f32 v57, v41, v63
	v_mul_f32_e32 v59, v40, v63
	v_dual_mul_f32 v61, v41, v65 :: v_dual_add_f32 v4, v4, v78
	v_fma_f32 v86, v38, v58, -v20
	v_fmac_f32_e32 v51, v39, v58
	v_fma_f32 v38, v38, v60, -v21
	v_dual_fmac_f32 v53, v39, v60 :: v_dual_add_f32 v12, v12, v81
	v_fma_f32 v39, v70, v58, -v18
	v_fmac_f32_e32 v54, v71, v58
	v_fma_f32 v58, v70, v60, -v19
	v_fmac_f32_e32 v56, v71, v60
	v_mul_f32_e32 v60, v40, v65
	v_dual_mul_f32 v19, v73, v65 :: v_dual_add_f32 v2, v2, v23
	v_mul_f32_e32 v18, v73, v63
	v_mul_f32_e32 v63, v72, v63
	v_fma_f32 v57, v40, v62, -v57
	v_dual_fmac_f32 v59, v41, v62 :: v_dual_add_f32 v4, v4, v80
	v_fma_f32 v40, v40, v64, -v61
	v_dual_fmac_f32 v60, v41, v64 :: v_dual_mul_f32 v61, v42, v67
	v_add_f32_e32 v0, v0, v26
	v_dual_add_f32 v2, v2, v82 :: v_dual_mul_f32 v41, v72, v65
	v_mul_f32_e32 v20, v43, v67
	v_dual_mul_f32 v21, v43, v69 :: v_dual_add_f32 v12, v12, v27
	v_fma_f32 v65, v72, v62, -v18
	v_dual_fmac_f32 v63, v73, v62 :: v_dual_add_f32 v0, v0, v28
	v_fma_f32 v62, v72, v64, -v19
	s_waitcnt lgkmcnt(0)
	v_mul_f32_e32 v18, v75, v67
	v_dual_mul_f32 v67, v74, v67 :: v_dual_add_f32 v12, v12, v29
	v_dual_mul_f32 v19, v75, v69 :: v_dual_add_f32 v0, v0, v46
	v_dual_add_f32 v2, v2, v35 :: v_dual_fmac_f32 v41, v73, v64
	v_add_f32_e32 v4, v4, v87
	v_mul_f32_e32 v64, v42, v69
	v_fma_f32 v70, v42, v66, -v20
	v_dual_fmac_f32 v61, v43, v66 :: v_dual_add_f32 v12, v12, v48
	v_fma_f32 v42, v42, v68, -v21
	s_delay_alu instid0(VALU_DEP_4)
	v_fmac_f32_e32 v64, v43, v68
	v_fma_f32 v43, v74, v66, -v18
	v_dual_fmac_f32 v67, v75, v66 :: v_dual_add_f32 v2, v2, v55
	v_fma_f32 v66, v74, v68, -v19
	ds_load_2addr_b64 v[18:21], v13 offset0:224 offset1:240
	v_dual_mul_f32 v69, v74, v69 :: v_dual_add_f32 v4, v4, v47
	v_add_f32_e32 v2, v2, v39
	v_add_f32_e32 v0, v0, v52
	s_delay_alu instid0(VALU_DEP_3) | instskip(NEXT) | instid1(VALU_DEP_4)
	v_dual_add_f32 v12, v12, v53 :: v_dual_fmac_f32 v69, v75, v68
	v_add_f32_e32 v4, v4, v86
	s_delay_alu instid0(VALU_DEP_4) | instskip(NEXT) | instid1(VALU_DEP_4)
	v_add_f32_e32 v2, v2, v65
	v_dual_add_f32 v0, v0, v58 :: v_dual_add_f32 v17, v17, v79
	s_delay_alu instid0(VALU_DEP_4) | instskip(NEXT) | instid1(VALU_DEP_3)
	v_dual_add_f32 v12, v12, v60 :: v_dual_add_f32 v3, v3, v22
	v_add_f32_e32 v2, v2, v43
	s_delay_alu instid0(VALU_DEP_3) | instskip(SKIP_1) | instid1(VALU_DEP_4)
	v_dual_add_f32 v11, v11, v83 :: v_dual_add_f32 v0, v0, v62
	v_dual_add_f32 v4, v4, v57 :: v_dual_add_f32 v1, v1, v84
	;; [unrolled: 1-line block ×3, first 2 shown]
	s_delay_alu instid0(VALU_DEP_3) | instskip(SKIP_4) | instid1(VALU_DEP_3)
	v_add_f32_e32 v0, v0, v66
	s_waitcnt lgkmcnt(0)
	v_mul_f32_e32 v68, v45, v19
	v_dual_mul_f32 v72, v45, v21 :: v_dual_mul_f32 v71, v44, v19
	v_dual_mul_f32 v73, v77, v21 :: v_dual_add_f32 v4, v4, v70
	v_fma_f32 v68, v44, v18, -v68
	s_delay_alu instid0(VALU_DEP_3) | instskip(NEXT) | instid1(VALU_DEP_4)
	v_fma_f32 v72, v44, v20, -v72
	v_dual_mul_f32 v44, v44, v21 :: v_dual_fmac_f32 v71, v45, v18
	v_mul_f32_e32 v21, v76, v21
	s_delay_alu instid0(VALU_DEP_4) | instskip(NEXT) | instid1(VALU_DEP_3)
	v_dual_add_f32 v11, v11, v31 :: v_dual_add_f32 v4, v4, v68
	v_fmac_f32_e32 v44, v45, v20
	v_mul_f32_e32 v45, v77, v19
	s_delay_alu instid0(VALU_DEP_4) | instskip(SKIP_1) | instid1(VALU_DEP_4)
	v_fmac_f32_e32 v21, v77, v20
	v_add_f32_e32 v1, v1, v25
	v_dual_add_f32 v17, v17, v33 :: v_dual_add_f32 v12, v12, v44
	s_delay_alu instid0(VALU_DEP_4) | instskip(SKIP_4) | instid1(VALU_DEP_4)
	v_fma_f32 v45, v76, v18, -v45
	v_mul_f32_e32 v19, v76, v19
	v_add_f32_e32 v11, v11, v30
	v_add_f32_e32 v1, v1, v32
	;; [unrolled: 1-line block ×3, first 2 shown]
	v_dual_add_f32 v2, v2, v45 :: v_dual_fmac_f32 v19, v77, v18
	v_fma_f32 v18, v76, v20, -v73
	v_add_f32_e32 v3, v3, v24
	v_add_f32_e32 v11, v11, v50
	v_add_f32_e32 v1, v1, v37
	s_delay_alu instid0(VALU_DEP_4) | instskip(NEXT) | instid1(VALU_DEP_4)
	v_dual_add_f32 v17, v17, v51 :: v_dual_add_f32 v0, v0, v18
	v_add_f32_e32 v3, v3, v34
	s_delay_alu instid0(VALU_DEP_4) | instskip(NEXT) | instid1(VALU_DEP_4)
	v_add_f32_e32 v11, v11, v54
	v_add_f32_e32 v1, v1, v56
	s_delay_alu instid0(VALU_DEP_4) | instskip(NEXT) | instid1(VALU_DEP_4)
	v_add_f32_e32 v17, v17, v59
	v_add_f32_e32 v3, v3, v36
	s_delay_alu instid0(VALU_DEP_4) | instskip(NEXT) | instid1(VALU_DEP_4)
	v_add_f32_e32 v11, v11, v63
	v_add_f32_e32 v1, v1, v41
	s_delay_alu instid0(VALU_DEP_4)
	v_add_f32_e32 v17, v17, v61
	s_barrier
	v_add_f32_e32 v3, v3, v38
	v_add_f32_e32 v11, v11, v67
	;; [unrolled: 1-line block ×4, first 2 shown]
	buffer_gl0_inv
	v_add_f32_e32 v3, v3, v40
	v_add_f32_e32 v11, v11, v19
	;; [unrolled: 1-line block ×3, first 2 shown]
	s_delay_alu instid0(VALU_DEP_3) | instskip(NEXT) | instid1(VALU_DEP_1)
	v_add_f32_e32 v3, v3, v42
	v_add_f32_e32 v3, v3, v72
	s_cbranch_vccz .LBB1708_2
.LBB1708_3:
	v_add_nc_u32_e32 v10, s19, v10
	s_load_b32 s4, s[0:1], 0x0
	s_delay_alu instid0(VALU_DEP_1) | instskip(SKIP_2) | instid1(VALU_DEP_3)
	v_ashrrev_i32_e32 v5, 31, v10
	v_mul_lo_u32 v6, v10, s7
	v_mad_u64_u32 v[7:8], null, v10, s6, 0
	v_mul_lo_u32 v5, v5, s6
	s_delay_alu instid0(VALU_DEP_1) | instskip(SKIP_1) | instid1(VALU_DEP_2)
	v_add3_u32 v8, v8, v6, v5
	v_add_nc_u32_e32 v6, s18, v9
	v_lshlrev_b64 v[7:8], 3, v[7:8]
	s_delay_alu instid0(VALU_DEP_2) | instskip(SKIP_2) | instid1(VALU_DEP_3)
	v_cmp_le_i32_e64 s0, v10, v6
	s_waitcnt lgkmcnt(0)
	v_cmp_gt_i32_e32 vcc_lo, s4, v6
	v_add_co_u32 v13, s1, s2, v7
	s_delay_alu instid0(VALU_DEP_1) | instskip(SKIP_1) | instid1(SALU_CYCLE_1)
	v_add_co_ci_u32_e64 v14, s1, s3, v8, s1
	s_and_b32 s0, s0, vcc_lo
	s_and_saveexec_b32 s1, s0
	s_cbranch_execz .LBB1708_5
; %bb.4:
	v_ashrrev_i32_e32 v7, 31, v6
	s_delay_alu instid0(VALU_DEP_1) | instskip(NEXT) | instid1(VALU_DEP_1)
	v_lshlrev_b64 v[7:8], 3, v[6:7]
	v_add_co_u32 v7, s0, v13, v7
	s_delay_alu instid0(VALU_DEP_1) | instskip(SKIP_1) | instid1(VALU_DEP_1)
	v_add_co_ci_u32_e64 v8, s0, v14, v8, s0
	v_cmp_ne_u32_e64 s0, v10, v6
	v_cndmask_b32_e64 v5, 0, v17, s0
	global_store_b64 v[7:8], v[4:5], off
.LBB1708_5:
	s_or_b32 exec_lo, exec_lo, s1
	v_add_nc_u32_e32 v8, 16, v6
	s_delay_alu instid0(VALU_DEP_1) | instskip(SKIP_1) | instid1(VALU_DEP_1)
	v_cmp_le_i32_e64 s1, v10, v8
	v_cmp_gt_i32_e64 s0, s4, v8
	s_and_b32 s1, s1, s0
	s_delay_alu instid0(SALU_CYCLE_1)
	s_and_saveexec_b32 s4, s1
	s_cbranch_execz .LBB1708_7
; %bb.6:
	v_ashrrev_i32_e32 v9, 31, v8
	s_delay_alu instid0(VALU_DEP_1) | instskip(NEXT) | instid1(VALU_DEP_1)
	v_lshlrev_b64 v[4:5], 3, v[8:9]
	v_add_co_u32 v13, s1, v13, v4
	s_delay_alu instid0(VALU_DEP_1) | instskip(SKIP_1) | instid1(VALU_DEP_1)
	v_add_co_ci_u32_e64 v14, s1, v14, v5, s1
	v_cmp_ne_u32_e64 s1, v10, v8
	v_cndmask_b32_e64 v4, 0, v12, s1
	global_store_b64 v[13:14], v[3:4], off
.LBB1708_7:
	s_or_b32 exec_lo, exec_lo, s4
	v_add_nc_u32_e32 v4, 16, v10
	s_delay_alu instid0(VALU_DEP_1) | instskip(SKIP_3) | instid1(VALU_DEP_4)
	v_ashrrev_i32_e32 v3, 31, v4
	v_mul_lo_u32 v5, v4, s7
	v_mad_u64_u32 v[12:13], null, v4, s6, 0
	v_cmp_le_i32_e64 s1, v4, v6
	v_mul_lo_u32 v3, v3, s6
	s_delay_alu instid0(VALU_DEP_1) | instskip(NEXT) | instid1(VALU_DEP_1)
	v_add3_u32 v13, v13, v5, v3
	v_lshlrev_b64 v[12:13], 3, v[12:13]
	s_delay_alu instid0(VALU_DEP_1) | instskip(NEXT) | instid1(VALU_DEP_1)
	v_add_co_u32 v5, s2, s2, v12
	v_add_co_ci_u32_e64 v12, s2, s3, v13, s2
	s_and_b32 s2, s1, vcc_lo
	s_delay_alu instid0(SALU_CYCLE_1)
	s_and_saveexec_b32 s1, s2
	s_cbranch_execz .LBB1708_9
; %bb.8:
	v_ashrrev_i32_e32 v7, 31, v6
	s_delay_alu instid0(VALU_DEP_1) | instskip(NEXT) | instid1(VALU_DEP_1)
	v_lshlrev_b64 v[13:14], 3, v[6:7]
	v_add_co_u32 v13, vcc_lo, v5, v13
	s_delay_alu instid0(VALU_DEP_2)
	v_add_co_ci_u32_e32 v14, vcc_lo, v12, v14, vcc_lo
	v_cmp_ne_u32_e32 vcc_lo, v4, v6
	v_cndmask_b32_e32 v3, 0, v11, vcc_lo
	global_store_b64 v[13:14], v[2:3], off
.LBB1708_9:
	s_or_b32 exec_lo, exec_lo, s1
	v_cmp_le_i32_e32 vcc_lo, v4, v8
	s_and_b32 s0, vcc_lo, s0
	s_delay_alu instid0(SALU_CYCLE_1)
	s_and_saveexec_b32 s1, s0
	s_cbranch_execz .LBB1708_11
; %bb.10:
	v_ashrrev_i32_e32 v9, 31, v8
	s_delay_alu instid0(VALU_DEP_1) | instskip(NEXT) | instid1(VALU_DEP_1)
	v_lshlrev_b64 v[2:3], 3, v[8:9]
	v_add_co_u32 v2, vcc_lo, v5, v2
	s_delay_alu instid0(VALU_DEP_2)
	v_add_co_ci_u32_e32 v3, vcc_lo, v12, v3, vcc_lo
	v_cmp_ne_u32_e32 vcc_lo, v10, v6
	v_cndmask_b32_e32 v1, 0, v1, vcc_lo
	global_store_b64 v[2:3], v[0:1], off
.LBB1708_11:
	s_nop 0
	s_sendmsg sendmsg(MSG_DEALLOC_VGPRS)
	s_endpgm
	.section	.rodata,"a",@progbits
	.p2align	6, 0x0
	.amdhsa_kernel _ZL37rocblas_syrkx_herkx_restricted_kernelIl19rocblas_complex_numIfELi16ELi32ELi8ELi1ELi0ELb1ELc84ELc76EKPKS1_KPS1_EviT_PT9_S7_lS9_S7_lPT10_S7_li
		.amdhsa_group_segment_fixed_size 4096
		.amdhsa_private_segment_fixed_size 0
		.amdhsa_kernarg_size 92
		.amdhsa_user_sgpr_count 13
		.amdhsa_user_sgpr_dispatch_ptr 0
		.amdhsa_user_sgpr_queue_ptr 0
		.amdhsa_user_sgpr_kernarg_segment_ptr 1
		.amdhsa_user_sgpr_dispatch_id 0
		.amdhsa_user_sgpr_private_segment_size 0
		.amdhsa_wavefront_size32 1
		.amdhsa_uses_dynamic_stack 0
		.amdhsa_enable_private_segment 0
		.amdhsa_system_sgpr_workgroup_id_x 1
		.amdhsa_system_sgpr_workgroup_id_y 1
		.amdhsa_system_sgpr_workgroup_id_z 1
		.amdhsa_system_sgpr_workgroup_info 0
		.amdhsa_system_vgpr_workitem_id 1
		.amdhsa_next_free_vgpr 88
		.amdhsa_next_free_sgpr 20
		.amdhsa_reserve_vcc 1
		.amdhsa_float_round_mode_32 0
		.amdhsa_float_round_mode_16_64 0
		.amdhsa_float_denorm_mode_32 3
		.amdhsa_float_denorm_mode_16_64 3
		.amdhsa_dx10_clamp 1
		.amdhsa_ieee_mode 1
		.amdhsa_fp16_overflow 0
		.amdhsa_workgroup_processor_mode 1
		.amdhsa_memory_ordered 1
		.amdhsa_forward_progress 0
		.amdhsa_shared_vgpr_count 0
		.amdhsa_exception_fp_ieee_invalid_op 0
		.amdhsa_exception_fp_denorm_src 0
		.amdhsa_exception_fp_ieee_div_zero 0
		.amdhsa_exception_fp_ieee_overflow 0
		.amdhsa_exception_fp_ieee_underflow 0
		.amdhsa_exception_fp_ieee_inexact 0
		.amdhsa_exception_int_div_zero 0
	.end_amdhsa_kernel
	.section	.text._ZL37rocblas_syrkx_herkx_restricted_kernelIl19rocblas_complex_numIfELi16ELi32ELi8ELi1ELi0ELb1ELc84ELc76EKPKS1_KPS1_EviT_PT9_S7_lS9_S7_lPT10_S7_li,"axG",@progbits,_ZL37rocblas_syrkx_herkx_restricted_kernelIl19rocblas_complex_numIfELi16ELi32ELi8ELi1ELi0ELb1ELc84ELc76EKPKS1_KPS1_EviT_PT9_S7_lS9_S7_lPT10_S7_li,comdat
.Lfunc_end1708:
	.size	_ZL37rocblas_syrkx_herkx_restricted_kernelIl19rocblas_complex_numIfELi16ELi32ELi8ELi1ELi0ELb1ELc84ELc76EKPKS1_KPS1_EviT_PT9_S7_lS9_S7_lPT10_S7_li, .Lfunc_end1708-_ZL37rocblas_syrkx_herkx_restricted_kernelIl19rocblas_complex_numIfELi16ELi32ELi8ELi1ELi0ELb1ELc84ELc76EKPKS1_KPS1_EviT_PT9_S7_lS9_S7_lPT10_S7_li
                                        ; -- End function
	.section	.AMDGPU.csdata,"",@progbits
; Kernel info:
; codeLenInByte = 2228
; NumSgprs: 22
; NumVgprs: 88
; ScratchSize: 0
; MemoryBound: 0
; FloatMode: 240
; IeeeMode: 1
; LDSByteSize: 4096 bytes/workgroup (compile time only)
; SGPRBlocks: 2
; VGPRBlocks: 10
; NumSGPRsForWavesPerEU: 22
; NumVGPRsForWavesPerEU: 88
; Occupancy: 16
; WaveLimiterHint : 1
; COMPUTE_PGM_RSRC2:SCRATCH_EN: 0
; COMPUTE_PGM_RSRC2:USER_SGPR: 13
; COMPUTE_PGM_RSRC2:TRAP_HANDLER: 0
; COMPUTE_PGM_RSRC2:TGID_X_EN: 1
; COMPUTE_PGM_RSRC2:TGID_Y_EN: 1
; COMPUTE_PGM_RSRC2:TGID_Z_EN: 1
; COMPUTE_PGM_RSRC2:TIDIG_COMP_CNT: 1
	.section	.text._ZL37rocblas_syrkx_herkx_restricted_kernelIl19rocblas_complex_numIfELi16ELi32ELi8ELi1ELi0ELb1ELc67ELc76EKPKS1_KPS1_EviT_PT9_S7_lS9_S7_lPT10_S7_li,"axG",@progbits,_ZL37rocblas_syrkx_herkx_restricted_kernelIl19rocblas_complex_numIfELi16ELi32ELi8ELi1ELi0ELb1ELc67ELc76EKPKS1_KPS1_EviT_PT9_S7_lS9_S7_lPT10_S7_li,comdat
	.globl	_ZL37rocblas_syrkx_herkx_restricted_kernelIl19rocblas_complex_numIfELi16ELi32ELi8ELi1ELi0ELb1ELc67ELc76EKPKS1_KPS1_EviT_PT9_S7_lS9_S7_lPT10_S7_li ; -- Begin function _ZL37rocblas_syrkx_herkx_restricted_kernelIl19rocblas_complex_numIfELi16ELi32ELi8ELi1ELi0ELb1ELc67ELc76EKPKS1_KPS1_EviT_PT9_S7_lS9_S7_lPT10_S7_li
	.p2align	8
	.type	_ZL37rocblas_syrkx_herkx_restricted_kernelIl19rocblas_complex_numIfELi16ELi32ELi8ELi1ELi0ELb1ELc67ELc76EKPKS1_KPS1_EviT_PT9_S7_lS9_S7_lPT10_S7_li,@function
_ZL37rocblas_syrkx_herkx_restricted_kernelIl19rocblas_complex_numIfELi16ELi32ELi8ELi1ELi0ELb1ELc67ELc76EKPKS1_KPS1_EviT_PT9_S7_lS9_S7_lPT10_S7_li: ; @_ZL37rocblas_syrkx_herkx_restricted_kernelIl19rocblas_complex_numIfELi16ELi32ELi8ELi1ELi0ELb1ELc67ELc76EKPKS1_KPS1_EviT_PT9_S7_lS9_S7_lPT10_S7_li
; %bb.0:
	s_clause 0x1
	s_load_b128 s[4:7], s[0:1], 0x40
	s_load_b128 s[8:11], s[0:1], 0x8
	s_mov_b32 s2, s15
	s_mov_b32 s3, 0
	v_dual_mov_b32 v4, 0 :: v_dual_and_b32 v9, 0x3ff, v0
	s_lshl_b64 s[16:17], s[2:3], 3
	v_bfe_u32 v10, v0, 10, 10
	v_dual_mov_b32 v17, 0 :: v_dual_mov_b32 v12, 0
	v_dual_mov_b32 v3, 0 :: v_dual_mov_b32 v2, 0
	;; [unrolled: 1-line block ×3, first 2 shown]
	v_mov_b32_e32 v1, 0
	s_waitcnt lgkmcnt(0)
	s_add_u32 s2, s4, s16
	s_addc_u32 s3, s5, s17
	v_cmp_lt_i64_e64 s4, s[8:9], 1
	s_load_b64 s[2:3], s[2:3], 0x0
	s_lshl_b32 s18, s13, 5
	s_lshl_b32 s19, s14, 5
	s_delay_alu instid0(VALU_DEP_1)
	s_and_b32 vcc_lo, exec_lo, s4
	s_cbranch_vccnz .LBB1709_3
; %bb.1:
	s_clause 0x1
	s_load_b128 s[12:15], s[0:1], 0x28
	s_load_b64 s[4:5], s[0:1], 0x18
	v_lshl_add_u32 v2, v10, 4, v9
	v_dual_mov_b32 v1, 0 :: v_dual_and_b32 v0, 7, v9
	s_add_u32 s10, s10, s16
	s_addc_u32 s11, s11, s17
	s_delay_alu instid0(VALU_DEP_2)
	v_lshrrev_b32_e32 v8, 3, v2
	v_and_b32_e32 v11, 31, v2
	v_lshrrev_b32_e32 v2, 5, v2
	v_mov_b32_e32 v3, v1
	s_load_b64 s[10:11], s[10:11], 0x0
	v_add_nc_u32_e32 v12, s19, v8
	v_add_nc_u32_e32 v6, s18, v11
	v_lshlrev_b32_e32 v11, 3, v11
	v_mov_b32_e32 v17, v1
	s_delay_alu instid0(VALU_DEP_4) | instskip(NEXT) | instid1(VALU_DEP_4)
	v_ashrrev_i32_e32 v4, 31, v12
	v_ashrrev_i32_e32 v5, 31, v6
	s_waitcnt lgkmcnt(0)
	s_add_u32 s12, s12, s16
	s_addc_u32 s13, s13, s17
	v_mul_lo_u32 v14, v4, s14
	v_mul_lo_u32 v13, s4, v5
	v_mad_u64_u32 v[4:5], null, s4, v6, v[2:3]
	v_mul_lo_u32 v3, s5, v6
	s_load_b64 s[4:5], s[12:13], 0x0
	v_mul_lo_u32 v15, v12, s15
	v_mad_u64_u32 v[6:7], null, v12, s14, v[0:1]
	v_mov_b32_e32 v12, v1
	v_lshlrev_b32_e32 v0, 3, v0
	v_add3_u32 v5, v3, v5, v13
	v_lshlrev_b32_e32 v13, 3, v9
	v_add3_u32 v7, v14, v7, v15
	s_delay_alu instid0(VALU_DEP_4) | instskip(NEXT) | instid1(VALU_DEP_4)
	v_lshl_or_b32 v0, v8, 6, v0
	v_lshlrev_b64 v[3:4], 3, v[4:5]
	v_lshl_or_b32 v15, v2, 8, v11
	v_lshl_add_u32 v14, v10, 6, 0x800
	v_lshlrev_b64 v[5:6], 3, v[6:7]
	v_dual_mov_b32 v11, v1 :: v_dual_add_nc_u32 v16, 0x800, v0
	v_add_co_u32 v0, vcc_lo, v3, s10
	v_add_co_ci_u32_e32 v2, vcc_lo, s11, v4, vcc_lo
	s_waitcnt lgkmcnt(0)
	s_delay_alu instid0(VALU_DEP_4) | instskip(SKIP_3) | instid1(VALU_DEP_4)
	v_add_co_u32 v3, vcc_lo, v5, s4
	v_add_co_ci_u32_e32 v4, vcc_lo, s5, v6, vcc_lo
	v_add_co_u32 v5, vcc_lo, v0, 4
	v_add_co_ci_u32_e32 v6, vcc_lo, 0, v2, vcc_lo
	v_add_co_u32 v7, vcc_lo, v3, 4
	s_delay_alu instid0(VALU_DEP_4)
	v_add_co_ci_u32_e32 v8, vcc_lo, 0, v4, vcc_lo
	v_mov_b32_e32 v0, v1
	v_mov_b32_e32 v2, v1
	;; [unrolled: 1-line block ×4, first 2 shown]
	s_mov_b64 s[4:5], 0
.LBB1709_2:                             ; =>This Inner Loop Header: Depth=1
	global_load_b64 v[18:19], v[5:6], off offset:-4
	global_load_b64 v[20:21], v[7:8], off offset:-4
	s_add_u32 s4, s4, 8
	v_add_co_u32 v5, vcc_lo, v5, 64
	s_addc_u32 s5, s5, 0
	v_add_co_ci_u32_e32 v6, vcc_lo, 0, v6, vcc_lo
	v_cmp_ge_u64_e64 s10, s[4:5], s[8:9]
	v_add_co_u32 v7, vcc_lo, v7, 64
	v_add_co_ci_u32_e32 v8, vcc_lo, 0, v8, vcc_lo
	s_delay_alu instid0(VALU_DEP_3)
	s_and_b32 vcc_lo, exec_lo, s10
	s_waitcnt vmcnt(1)
	v_xor_b32_e32 v19, 0x80000000, v19
	ds_store_b64 v15, v[18:19]
	s_waitcnt vmcnt(0)
	ds_store_b64 v16, v[20:21]
	s_waitcnt lgkmcnt(0)
	s_barrier
	buffer_gl0_inv
	ds_load_2addr_b64 v[18:21], v13 offset1:16
	ds_load_b128 v[22:25], v14
	ds_load_b128 v[26:29], v14 offset:1024
	ds_load_2addr_b64 v[30:33], v13 offset0:32 offset1:48
	ds_load_b128 v[34:37], v14 offset:16
	ds_load_b128 v[38:41], v14 offset:32
	;; [unrolled: 1-line block ×3, first 2 shown]
	ds_load_2addr_b64 v[46:49], v13 offset0:64 offset1:80
	ds_load_b128 v[50:53], v14 offset:1040
	ds_load_2addr_b64 v[54:57], v13 offset0:96 offset1:112
	ds_load_2addr_b64 v[58:61], v13 offset0:128 offset1:144
	ds_load_2addr_b64 v[62:65], v13 offset0:160 offset1:176
	ds_load_2addr_b64 v[66:69], v13 offset0:192 offset1:208
	ds_load_b128 v[70:73], v14 offset:1056
	ds_load_b128 v[74:77], v14 offset:1072
	s_waitcnt lgkmcnt(13)
	v_dual_mul_f32 v78, v23, v19 :: v_dual_mul_f32 v81, v22, v21
	s_waitcnt lgkmcnt(11)
	v_dual_mul_f32 v83, v26, v19 :: v_dual_mul_f32 v86, v25, v33
	v_mul_f32_e32 v84, v26, v21
	v_dual_mul_f32 v79, v22, v19 :: v_dual_mul_f32 v80, v23, v21
	v_mul_f32_e32 v82, v27, v19
	v_mul_f32_e32 v19, v27, v21
	;; [unrolled: 1-line block ×3, first 2 shown]
	v_dual_mul_f32 v85, v24, v31 :: v_dual_fmac_f32 v84, v27, v20
	v_fmac_f32_e32 v83, v27, v18
	v_mul_f32_e32 v27, v24, v33
	v_fma_f32 v78, v22, v18, -v78
	v_fmac_f32_e32 v79, v23, v18
	v_fmac_f32_e32 v81, v23, v20
	v_fma_f32 v23, v26, v18, -v82
	v_mul_f32_e32 v18, v29, v31
	v_fma_f32 v26, v26, v20, -v19
	v_mul_f32_e32 v31, v28, v31
	v_mul_f32_e32 v19, v29, v33
	v_fmac_f32_e32 v85, v25, v30
	v_fmac_f32_e32 v27, v25, v32
	v_mul_f32_e32 v25, v28, v33
	v_fma_f32 v22, v22, v20, -v80
	v_fma_f32 v80, v24, v30, -v21
	;; [unrolled: 1-line block ×3, first 2 shown]
	s_waitcnt lgkmcnt(7)
	v_mul_f32_e32 v20, v35, v47
	v_mul_f32_e32 v33, v34, v47
	;; [unrolled: 1-line block ×3, first 2 shown]
	v_fma_f32 v82, v28, v30, -v18
	v_fmac_f32_e32 v31, v29, v30
	v_fma_f32 v28, v28, v32, -v19
	v_fmac_f32_e32 v25, v29, v32
	s_waitcnt lgkmcnt(6)
	v_dual_mul_f32 v29, v34, v49 :: v_dual_mul_f32 v18, v51, v47
	v_dual_mul_f32 v30, v50, v47 :: v_dual_mul_f32 v19, v51, v49
	s_waitcnt lgkmcnt(5)
	v_dual_mul_f32 v32, v50, v49 :: v_dual_mul_f32 v49, v36, v55
	v_fma_f32 v87, v34, v46, -v20
	v_fmac_f32_e32 v33, v35, v46
	v_fmac_f32_e32 v29, v35, v48
	v_fma_f32 v35, v50, v46, -v18
	v_fmac_f32_e32 v30, v51, v46
	v_fma_f32 v46, v50, v48, -v19
	v_fmac_f32_e32 v32, v51, v48
	v_mul_f32_e32 v18, v53, v55
	v_fma_f32 v34, v34, v48, -v21
	v_dual_mul_f32 v48, v36, v57 :: v_dual_mul_f32 v47, v37, v55
	v_mul_f32_e32 v86, v37, v57
	v_dual_mul_f32 v50, v52, v55 :: v_dual_mul_f32 v19, v53, v57
	v_fmac_f32_e32 v49, v37, v54
	s_delay_alu instid0(VALU_DEP_4)
	v_dual_fmac_f32 v48, v37, v56 :: v_dual_mul_f32 v37, v52, v57
	v_fma_f32 v47, v36, v54, -v47
	v_fma_f32 v36, v36, v56, -v86
	s_waitcnt lgkmcnt(4)
	v_mul_f32_e32 v20, v39, v59
	v_mul_f32_e32 v51, v38, v59
	v_mul_f32_e32 v21, v39, v61
	v_fma_f32 v55, v52, v54, -v18
	v_fmac_f32_e32 v50, v53, v54
	v_fmac_f32_e32 v37, v53, v56
	s_waitcnt lgkmcnt(1)
	v_dual_mul_f32 v53, v38, v61 :: v_dual_mul_f32 v18, v71, v59
	v_fma_f32 v52, v52, v56, -v19
	v_dual_mul_f32 v54, v70, v59 :: v_dual_mul_f32 v19, v71, v61
	v_dual_mul_f32 v56, v70, v61 :: v_dual_mul_f32 v57, v41, v63
	v_mul_f32_e32 v59, v40, v63
	v_dual_mul_f32 v61, v41, v65 :: v_dual_add_f32 v4, v4, v78
	v_fma_f32 v86, v38, v58, -v20
	v_fmac_f32_e32 v51, v39, v58
	v_fma_f32 v38, v38, v60, -v21
	v_dual_fmac_f32 v53, v39, v60 :: v_dual_add_f32 v12, v12, v81
	v_fma_f32 v39, v70, v58, -v18
	v_fmac_f32_e32 v54, v71, v58
	v_fma_f32 v58, v70, v60, -v19
	v_fmac_f32_e32 v56, v71, v60
	v_mul_f32_e32 v60, v40, v65
	v_dual_mul_f32 v19, v73, v65 :: v_dual_add_f32 v2, v2, v23
	v_mul_f32_e32 v18, v73, v63
	v_mul_f32_e32 v63, v72, v63
	v_fma_f32 v57, v40, v62, -v57
	v_dual_fmac_f32 v59, v41, v62 :: v_dual_add_f32 v4, v4, v80
	v_fma_f32 v40, v40, v64, -v61
	v_dual_fmac_f32 v60, v41, v64 :: v_dual_mul_f32 v61, v42, v67
	v_add_f32_e32 v0, v0, v26
	v_dual_add_f32 v2, v2, v82 :: v_dual_mul_f32 v41, v72, v65
	v_mul_f32_e32 v20, v43, v67
	v_dual_mul_f32 v21, v43, v69 :: v_dual_add_f32 v12, v12, v27
	v_fma_f32 v65, v72, v62, -v18
	v_dual_fmac_f32 v63, v73, v62 :: v_dual_add_f32 v0, v0, v28
	v_fma_f32 v62, v72, v64, -v19
	s_waitcnt lgkmcnt(0)
	v_mul_f32_e32 v18, v75, v67
	v_dual_mul_f32 v67, v74, v67 :: v_dual_add_f32 v12, v12, v29
	v_dual_mul_f32 v19, v75, v69 :: v_dual_add_f32 v0, v0, v46
	v_dual_add_f32 v2, v2, v35 :: v_dual_fmac_f32 v41, v73, v64
	v_add_f32_e32 v4, v4, v87
	v_mul_f32_e32 v64, v42, v69
	v_fma_f32 v70, v42, v66, -v20
	v_dual_fmac_f32 v61, v43, v66 :: v_dual_add_f32 v12, v12, v48
	v_fma_f32 v42, v42, v68, -v21
	s_delay_alu instid0(VALU_DEP_4)
	v_fmac_f32_e32 v64, v43, v68
	v_fma_f32 v43, v74, v66, -v18
	v_dual_fmac_f32 v67, v75, v66 :: v_dual_add_f32 v2, v2, v55
	v_fma_f32 v66, v74, v68, -v19
	ds_load_2addr_b64 v[18:21], v13 offset0:224 offset1:240
	v_dual_mul_f32 v69, v74, v69 :: v_dual_add_f32 v4, v4, v47
	v_add_f32_e32 v2, v2, v39
	v_add_f32_e32 v0, v0, v52
	s_delay_alu instid0(VALU_DEP_3) | instskip(NEXT) | instid1(VALU_DEP_4)
	v_dual_add_f32 v12, v12, v53 :: v_dual_fmac_f32 v69, v75, v68
	v_add_f32_e32 v4, v4, v86
	s_delay_alu instid0(VALU_DEP_4) | instskip(NEXT) | instid1(VALU_DEP_4)
	v_add_f32_e32 v2, v2, v65
	v_dual_add_f32 v0, v0, v58 :: v_dual_add_f32 v17, v17, v79
	s_delay_alu instid0(VALU_DEP_4) | instskip(NEXT) | instid1(VALU_DEP_3)
	v_dual_add_f32 v12, v12, v60 :: v_dual_add_f32 v3, v3, v22
	v_add_f32_e32 v2, v2, v43
	s_delay_alu instid0(VALU_DEP_3) | instskip(SKIP_1) | instid1(VALU_DEP_4)
	v_dual_add_f32 v11, v11, v83 :: v_dual_add_f32 v0, v0, v62
	v_dual_add_f32 v4, v4, v57 :: v_dual_add_f32 v1, v1, v84
	;; [unrolled: 1-line block ×3, first 2 shown]
	s_delay_alu instid0(VALU_DEP_3) | instskip(SKIP_4) | instid1(VALU_DEP_3)
	v_add_f32_e32 v0, v0, v66
	s_waitcnt lgkmcnt(0)
	v_mul_f32_e32 v68, v45, v19
	v_dual_mul_f32 v72, v45, v21 :: v_dual_mul_f32 v71, v44, v19
	v_dual_mul_f32 v73, v77, v21 :: v_dual_add_f32 v4, v4, v70
	v_fma_f32 v68, v44, v18, -v68
	s_delay_alu instid0(VALU_DEP_3) | instskip(NEXT) | instid1(VALU_DEP_4)
	v_fma_f32 v72, v44, v20, -v72
	v_dual_mul_f32 v44, v44, v21 :: v_dual_fmac_f32 v71, v45, v18
	v_mul_f32_e32 v21, v76, v21
	s_delay_alu instid0(VALU_DEP_4) | instskip(NEXT) | instid1(VALU_DEP_3)
	v_dual_add_f32 v11, v11, v31 :: v_dual_add_f32 v4, v4, v68
	v_fmac_f32_e32 v44, v45, v20
	v_mul_f32_e32 v45, v77, v19
	s_delay_alu instid0(VALU_DEP_4) | instskip(SKIP_1) | instid1(VALU_DEP_4)
	v_fmac_f32_e32 v21, v77, v20
	v_add_f32_e32 v1, v1, v25
	v_dual_add_f32 v17, v17, v33 :: v_dual_add_f32 v12, v12, v44
	s_delay_alu instid0(VALU_DEP_4) | instskip(SKIP_4) | instid1(VALU_DEP_4)
	v_fma_f32 v45, v76, v18, -v45
	v_mul_f32_e32 v19, v76, v19
	v_add_f32_e32 v11, v11, v30
	v_add_f32_e32 v1, v1, v32
	;; [unrolled: 1-line block ×3, first 2 shown]
	v_dual_add_f32 v2, v2, v45 :: v_dual_fmac_f32 v19, v77, v18
	v_fma_f32 v18, v76, v20, -v73
	v_add_f32_e32 v3, v3, v24
	v_add_f32_e32 v11, v11, v50
	;; [unrolled: 1-line block ×3, first 2 shown]
	s_delay_alu instid0(VALU_DEP_4) | instskip(NEXT) | instid1(VALU_DEP_4)
	v_dual_add_f32 v17, v17, v51 :: v_dual_add_f32 v0, v0, v18
	v_add_f32_e32 v3, v3, v34
	s_delay_alu instid0(VALU_DEP_4) | instskip(NEXT) | instid1(VALU_DEP_4)
	v_add_f32_e32 v11, v11, v54
	v_add_f32_e32 v1, v1, v56
	s_delay_alu instid0(VALU_DEP_4) | instskip(NEXT) | instid1(VALU_DEP_4)
	v_add_f32_e32 v17, v17, v59
	;; [unrolled: 3-line block ×3, first 2 shown]
	v_add_f32_e32 v1, v1, v41
	s_delay_alu instid0(VALU_DEP_4)
	v_add_f32_e32 v17, v17, v61
	s_barrier
	v_add_f32_e32 v3, v3, v38
	v_add_f32_e32 v11, v11, v67
	;; [unrolled: 1-line block ×4, first 2 shown]
	buffer_gl0_inv
	v_add_f32_e32 v3, v3, v40
	v_add_f32_e32 v11, v11, v19
	;; [unrolled: 1-line block ×3, first 2 shown]
	s_delay_alu instid0(VALU_DEP_3) | instskip(NEXT) | instid1(VALU_DEP_1)
	v_add_f32_e32 v3, v3, v42
	v_add_f32_e32 v3, v3, v72
	s_cbranch_vccz .LBB1709_2
.LBB1709_3:
	v_add_nc_u32_e32 v10, s19, v10
	s_load_b32 s4, s[0:1], 0x0
	s_delay_alu instid0(VALU_DEP_1) | instskip(SKIP_2) | instid1(VALU_DEP_3)
	v_ashrrev_i32_e32 v5, 31, v10
	v_mul_lo_u32 v6, v10, s7
	v_mad_u64_u32 v[7:8], null, v10, s6, 0
	v_mul_lo_u32 v5, v5, s6
	s_delay_alu instid0(VALU_DEP_1) | instskip(SKIP_1) | instid1(VALU_DEP_2)
	v_add3_u32 v8, v8, v6, v5
	v_add_nc_u32_e32 v6, s18, v9
	v_lshlrev_b64 v[7:8], 3, v[7:8]
	s_delay_alu instid0(VALU_DEP_2) | instskip(SKIP_2) | instid1(VALU_DEP_3)
	v_cmp_le_i32_e64 s0, v10, v6
	s_waitcnt lgkmcnt(0)
	v_cmp_gt_i32_e32 vcc_lo, s4, v6
	v_add_co_u32 v13, s1, s2, v7
	s_delay_alu instid0(VALU_DEP_1) | instskip(SKIP_1) | instid1(SALU_CYCLE_1)
	v_add_co_ci_u32_e64 v14, s1, s3, v8, s1
	s_and_b32 s0, s0, vcc_lo
	s_and_saveexec_b32 s1, s0
	s_cbranch_execz .LBB1709_5
; %bb.4:
	v_ashrrev_i32_e32 v7, 31, v6
	s_delay_alu instid0(VALU_DEP_1) | instskip(NEXT) | instid1(VALU_DEP_1)
	v_lshlrev_b64 v[7:8], 3, v[6:7]
	v_add_co_u32 v7, s0, v13, v7
	s_delay_alu instid0(VALU_DEP_1) | instskip(SKIP_1) | instid1(VALU_DEP_1)
	v_add_co_ci_u32_e64 v8, s0, v14, v8, s0
	v_cmp_ne_u32_e64 s0, v10, v6
	v_cndmask_b32_e64 v5, 0, v17, s0
	global_store_b64 v[7:8], v[4:5], off
.LBB1709_5:
	s_or_b32 exec_lo, exec_lo, s1
	v_add_nc_u32_e32 v8, 16, v6
	s_delay_alu instid0(VALU_DEP_1) | instskip(SKIP_1) | instid1(VALU_DEP_1)
	v_cmp_le_i32_e64 s1, v10, v8
	v_cmp_gt_i32_e64 s0, s4, v8
	s_and_b32 s1, s1, s0
	s_delay_alu instid0(SALU_CYCLE_1)
	s_and_saveexec_b32 s4, s1
	s_cbranch_execz .LBB1709_7
; %bb.6:
	v_ashrrev_i32_e32 v9, 31, v8
	s_delay_alu instid0(VALU_DEP_1) | instskip(NEXT) | instid1(VALU_DEP_1)
	v_lshlrev_b64 v[4:5], 3, v[8:9]
	v_add_co_u32 v13, s1, v13, v4
	s_delay_alu instid0(VALU_DEP_1) | instskip(SKIP_1) | instid1(VALU_DEP_1)
	v_add_co_ci_u32_e64 v14, s1, v14, v5, s1
	v_cmp_ne_u32_e64 s1, v10, v8
	v_cndmask_b32_e64 v4, 0, v12, s1
	global_store_b64 v[13:14], v[3:4], off
.LBB1709_7:
	s_or_b32 exec_lo, exec_lo, s4
	v_add_nc_u32_e32 v4, 16, v10
	s_delay_alu instid0(VALU_DEP_1) | instskip(SKIP_3) | instid1(VALU_DEP_4)
	v_ashrrev_i32_e32 v3, 31, v4
	v_mul_lo_u32 v5, v4, s7
	v_mad_u64_u32 v[12:13], null, v4, s6, 0
	v_cmp_le_i32_e64 s1, v4, v6
	v_mul_lo_u32 v3, v3, s6
	s_delay_alu instid0(VALU_DEP_1) | instskip(NEXT) | instid1(VALU_DEP_1)
	v_add3_u32 v13, v13, v5, v3
	v_lshlrev_b64 v[12:13], 3, v[12:13]
	s_delay_alu instid0(VALU_DEP_1) | instskip(NEXT) | instid1(VALU_DEP_1)
	v_add_co_u32 v5, s2, s2, v12
	v_add_co_ci_u32_e64 v12, s2, s3, v13, s2
	s_and_b32 s2, s1, vcc_lo
	s_delay_alu instid0(SALU_CYCLE_1)
	s_and_saveexec_b32 s1, s2
	s_cbranch_execz .LBB1709_9
; %bb.8:
	v_ashrrev_i32_e32 v7, 31, v6
	s_delay_alu instid0(VALU_DEP_1) | instskip(NEXT) | instid1(VALU_DEP_1)
	v_lshlrev_b64 v[13:14], 3, v[6:7]
	v_add_co_u32 v13, vcc_lo, v5, v13
	s_delay_alu instid0(VALU_DEP_2)
	v_add_co_ci_u32_e32 v14, vcc_lo, v12, v14, vcc_lo
	v_cmp_ne_u32_e32 vcc_lo, v4, v6
	v_cndmask_b32_e32 v3, 0, v11, vcc_lo
	global_store_b64 v[13:14], v[2:3], off
.LBB1709_9:
	s_or_b32 exec_lo, exec_lo, s1
	v_cmp_le_i32_e32 vcc_lo, v4, v8
	s_and_b32 s0, vcc_lo, s0
	s_delay_alu instid0(SALU_CYCLE_1)
	s_and_saveexec_b32 s1, s0
	s_cbranch_execz .LBB1709_11
; %bb.10:
	v_ashrrev_i32_e32 v9, 31, v8
	s_delay_alu instid0(VALU_DEP_1) | instskip(NEXT) | instid1(VALU_DEP_1)
	v_lshlrev_b64 v[2:3], 3, v[8:9]
	v_add_co_u32 v2, vcc_lo, v5, v2
	s_delay_alu instid0(VALU_DEP_2)
	v_add_co_ci_u32_e32 v3, vcc_lo, v12, v3, vcc_lo
	v_cmp_ne_u32_e32 vcc_lo, v10, v6
	v_cndmask_b32_e32 v1, 0, v1, vcc_lo
	global_store_b64 v[2:3], v[0:1], off
.LBB1709_11:
	s_nop 0
	s_sendmsg sendmsg(MSG_DEALLOC_VGPRS)
	s_endpgm
	.section	.rodata,"a",@progbits
	.p2align	6, 0x0
	.amdhsa_kernel _ZL37rocblas_syrkx_herkx_restricted_kernelIl19rocblas_complex_numIfELi16ELi32ELi8ELi1ELi0ELb1ELc67ELc76EKPKS1_KPS1_EviT_PT9_S7_lS9_S7_lPT10_S7_li
		.amdhsa_group_segment_fixed_size 4096
		.amdhsa_private_segment_fixed_size 0
		.amdhsa_kernarg_size 92
		.amdhsa_user_sgpr_count 13
		.amdhsa_user_sgpr_dispatch_ptr 0
		.amdhsa_user_sgpr_queue_ptr 0
		.amdhsa_user_sgpr_kernarg_segment_ptr 1
		.amdhsa_user_sgpr_dispatch_id 0
		.amdhsa_user_sgpr_private_segment_size 0
		.amdhsa_wavefront_size32 1
		.amdhsa_uses_dynamic_stack 0
		.amdhsa_enable_private_segment 0
		.amdhsa_system_sgpr_workgroup_id_x 1
		.amdhsa_system_sgpr_workgroup_id_y 1
		.amdhsa_system_sgpr_workgroup_id_z 1
		.amdhsa_system_sgpr_workgroup_info 0
		.amdhsa_system_vgpr_workitem_id 1
		.amdhsa_next_free_vgpr 88
		.amdhsa_next_free_sgpr 20
		.amdhsa_reserve_vcc 1
		.amdhsa_float_round_mode_32 0
		.amdhsa_float_round_mode_16_64 0
		.amdhsa_float_denorm_mode_32 3
		.amdhsa_float_denorm_mode_16_64 3
		.amdhsa_dx10_clamp 1
		.amdhsa_ieee_mode 1
		.amdhsa_fp16_overflow 0
		.amdhsa_workgroup_processor_mode 1
		.amdhsa_memory_ordered 1
		.amdhsa_forward_progress 0
		.amdhsa_shared_vgpr_count 0
		.amdhsa_exception_fp_ieee_invalid_op 0
		.amdhsa_exception_fp_denorm_src 0
		.amdhsa_exception_fp_ieee_div_zero 0
		.amdhsa_exception_fp_ieee_overflow 0
		.amdhsa_exception_fp_ieee_underflow 0
		.amdhsa_exception_fp_ieee_inexact 0
		.amdhsa_exception_int_div_zero 0
	.end_amdhsa_kernel
	.section	.text._ZL37rocblas_syrkx_herkx_restricted_kernelIl19rocblas_complex_numIfELi16ELi32ELi8ELi1ELi0ELb1ELc67ELc76EKPKS1_KPS1_EviT_PT9_S7_lS9_S7_lPT10_S7_li,"axG",@progbits,_ZL37rocblas_syrkx_herkx_restricted_kernelIl19rocblas_complex_numIfELi16ELi32ELi8ELi1ELi0ELb1ELc67ELc76EKPKS1_KPS1_EviT_PT9_S7_lS9_S7_lPT10_S7_li,comdat
.Lfunc_end1709:
	.size	_ZL37rocblas_syrkx_herkx_restricted_kernelIl19rocblas_complex_numIfELi16ELi32ELi8ELi1ELi0ELb1ELc67ELc76EKPKS1_KPS1_EviT_PT9_S7_lS9_S7_lPT10_S7_li, .Lfunc_end1709-_ZL37rocblas_syrkx_herkx_restricted_kernelIl19rocblas_complex_numIfELi16ELi32ELi8ELi1ELi0ELb1ELc67ELc76EKPKS1_KPS1_EviT_PT9_S7_lS9_S7_lPT10_S7_li
                                        ; -- End function
	.section	.AMDGPU.csdata,"",@progbits
; Kernel info:
; codeLenInByte = 2240
; NumSgprs: 22
; NumVgprs: 88
; ScratchSize: 0
; MemoryBound: 0
; FloatMode: 240
; IeeeMode: 1
; LDSByteSize: 4096 bytes/workgroup (compile time only)
; SGPRBlocks: 2
; VGPRBlocks: 10
; NumSGPRsForWavesPerEU: 22
; NumVGPRsForWavesPerEU: 88
; Occupancy: 16
; WaveLimiterHint : 1
; COMPUTE_PGM_RSRC2:SCRATCH_EN: 0
; COMPUTE_PGM_RSRC2:USER_SGPR: 13
; COMPUTE_PGM_RSRC2:TRAP_HANDLER: 0
; COMPUTE_PGM_RSRC2:TGID_X_EN: 1
; COMPUTE_PGM_RSRC2:TGID_Y_EN: 1
; COMPUTE_PGM_RSRC2:TGID_Z_EN: 1
; COMPUTE_PGM_RSRC2:TIDIG_COMP_CNT: 1
	.section	.text._ZL37rocblas_syrkx_herkx_restricted_kernelIl19rocblas_complex_numIfELi16ELi32ELi8ELi1ELi0ELb1ELc78ELc76EKPKS1_KPS1_EviT_PT9_S7_lS9_S7_lPT10_S7_li,"axG",@progbits,_ZL37rocblas_syrkx_herkx_restricted_kernelIl19rocblas_complex_numIfELi16ELi32ELi8ELi1ELi0ELb1ELc78ELc76EKPKS1_KPS1_EviT_PT9_S7_lS9_S7_lPT10_S7_li,comdat
	.globl	_ZL37rocblas_syrkx_herkx_restricted_kernelIl19rocblas_complex_numIfELi16ELi32ELi8ELi1ELi0ELb1ELc78ELc76EKPKS1_KPS1_EviT_PT9_S7_lS9_S7_lPT10_S7_li ; -- Begin function _ZL37rocblas_syrkx_herkx_restricted_kernelIl19rocblas_complex_numIfELi16ELi32ELi8ELi1ELi0ELb1ELc78ELc76EKPKS1_KPS1_EviT_PT9_S7_lS9_S7_lPT10_S7_li
	.p2align	8
	.type	_ZL37rocblas_syrkx_herkx_restricted_kernelIl19rocblas_complex_numIfELi16ELi32ELi8ELi1ELi0ELb1ELc78ELc76EKPKS1_KPS1_EviT_PT9_S7_lS9_S7_lPT10_S7_li,@function
_ZL37rocblas_syrkx_herkx_restricted_kernelIl19rocblas_complex_numIfELi16ELi32ELi8ELi1ELi0ELb1ELc78ELc76EKPKS1_KPS1_EviT_PT9_S7_lS9_S7_lPT10_S7_li: ; @_ZL37rocblas_syrkx_herkx_restricted_kernelIl19rocblas_complex_numIfELi16ELi32ELi8ELi1ELi0ELb1ELc78ELc76EKPKS1_KPS1_EviT_PT9_S7_lS9_S7_lPT10_S7_li
; %bb.0:
	s_clause 0x1
	s_load_b128 s[4:7], s[0:1], 0x40
	s_load_b128 s[8:11], s[0:1], 0x8
	s_mov_b32 s2, s15
	s_mov_b32 s3, 0
	v_dual_mov_b32 v3, 0 :: v_dual_and_b32 v8, 0x3ff, v0
	s_lshl_b64 s[16:17], s[2:3], 3
	v_bfe_u32 v9, v0, 10, 10
	v_dual_mov_b32 v15, 0 :: v_dual_mov_b32 v2, 0
	v_dual_mov_b32 v14, 0 :: v_dual_mov_b32 v1, 0
	;; [unrolled: 1-line block ×3, first 2 shown]
	v_mov_b32_e32 v10, 0
	s_waitcnt lgkmcnt(0)
	s_add_u32 s2, s4, s16
	s_addc_u32 s3, s5, s17
	v_cmp_lt_i64_e64 s4, s[8:9], 1
	s_load_b64 s[2:3], s[2:3], 0x0
	s_lshl_b32 s18, s13, 5
	s_lshl_b32 s19, s14, 5
	s_delay_alu instid0(VALU_DEP_1)
	s_and_b32 vcc_lo, exec_lo, s4
	s_cbranch_vccnz .LBB1710_3
; %bb.1:
	v_lshl_add_u32 v1, v9, 4, v8
	s_clause 0x1
	s_load_b64 s[4:5], s[0:1], 0x18
	s_load_b128 s[12:15], s[0:1], 0x28
	v_and_b32_e32 v11, 7, v8
	s_add_u32 s10, s10, s16
	s_addc_u32 s11, s11, s17
	v_lshrrev_b32_e32 v17, 3, v1
	v_lshrrev_b32_e32 v18, 5, v1
	s_load_b64 s[10:11], s[10:11], 0x0
	v_lshl_add_u32 v13, v9, 6, 0x800
	s_delay_alu instid0(VALU_DEP_3) | instskip(NEXT) | instid1(VALU_DEP_1)
	v_add_nc_u32_e32 v2, s19, v17
	v_ashrrev_i32_e32 v3, 31, v2
	s_waitcnt lgkmcnt(0)
	s_delay_alu instid0(VALU_DEP_1) | instskip(SKIP_4) | instid1(VALU_DEP_1)
	v_mad_u64_u32 v[6:7], null, v11, s14, v[2:3]
	v_and_b32_e32 v16, 31, v1
	s_add_u32 s12, s12, s16
	s_addc_u32 s13, s13, s17
	s_load_b64 s[12:13], s[12:13], 0x0
	v_add_nc_u32_e32 v0, s18, v16
	s_delay_alu instid0(VALU_DEP_1) | instskip(NEXT) | instid1(VALU_DEP_1)
	v_ashrrev_i32_e32 v1, 31, v0
	v_mad_u64_u32 v[4:5], null, v18, s4, v[0:1]
	s_delay_alu instid0(VALU_DEP_1) | instskip(SKIP_1) | instid1(VALU_DEP_2)
	v_dual_mov_b32 v1, v7 :: v_dual_mov_b32 v0, v5
	v_mov_b32_e32 v10, 0
	v_mad_u64_u32 v[2:3], null, v18, s5, v[0:1]
	v_mov_b32_e32 v0, 0
	s_lshl_b64 s[4:5], s[4:5], 6
	s_delay_alu instid0(VALU_DEP_2) | instskip(SKIP_4) | instid1(VALU_DEP_4)
	v_mad_u64_u32 v[14:15], null, v11, s15, v[1:2]
	v_lshlrev_b32_e32 v15, 3, v16
	v_dual_mov_b32 v5, v2 :: v_dual_lshlrev_b32 v12, 3, v8
	v_lshlrev_b32_e32 v1, 3, v11
	v_mov_b32_e32 v11, 0
	v_lshl_or_b32 v16, v18, 8, v15
	v_mov_b32_e32 v7, v14
	v_lshlrev_b64 v[2:3], 3, v[4:5]
	v_lshl_or_b32 v17, v17, 6, v1
	v_dual_mov_b32 v1, 0 :: v_dual_mov_b32 v14, 0
	s_delay_alu instid0(VALU_DEP_4) | instskip(SKIP_4) | instid1(VALU_DEP_4)
	v_lshlrev_b64 v[4:5], 3, v[6:7]
	v_mov_b32_e32 v15, 0
	v_add_co_u32 v2, vcc_lo, v2, s10
	v_add_co_ci_u32_e32 v3, vcc_lo, s11, v3, vcc_lo
	s_waitcnt lgkmcnt(0)
	v_add_co_u32 v6, vcc_lo, v4, s12
	v_add_co_ci_u32_e32 v7, vcc_lo, s13, v5, vcc_lo
	v_add_co_u32 v4, vcc_lo, v2, 4
	v_add_co_ci_u32_e32 v5, vcc_lo, 0, v3, vcc_lo
	s_delay_alu instid0(VALU_DEP_4)
	v_add_co_u32 v6, vcc_lo, v6, 4
	v_dual_mov_b32 v2, 0 :: v_dual_add_nc_u32 v17, 0x800, v17
	v_add_co_ci_u32_e32 v7, vcc_lo, 0, v7, vcc_lo
	v_mov_b32_e32 v3, 0
	s_lshl_b64 s[10:11], s[14:15], 6
	s_mov_b64 s[12:13], 0
.LBB1710_2:                             ; =>This Inner Loop Header: Depth=1
	global_load_b64 v[18:19], v[6:7], off offset:-4
	global_load_b64 v[20:21], v[4:5], off offset:-4
	s_add_u32 s12, s12, 8
	v_add_co_u32 v4, vcc_lo, v4, s4
	s_addc_u32 s13, s13, 0
	v_add_co_ci_u32_e32 v5, vcc_lo, s5, v5, vcc_lo
	v_cmp_ge_u64_e64 s14, s[12:13], s[8:9]
	v_add_co_u32 v6, vcc_lo, v6, s10
	v_add_co_ci_u32_e32 v7, vcc_lo, s11, v7, vcc_lo
	s_delay_alu instid0(VALU_DEP_3)
	s_and_b32 vcc_lo, exec_lo, s14
	s_waitcnt vmcnt(1)
	v_xor_b32_e32 v19, 0x80000000, v19
	s_waitcnt vmcnt(0)
	ds_store_b64 v16, v[20:21]
	ds_store_b64 v17, v[18:19]
	s_waitcnt lgkmcnt(0)
	s_barrier
	buffer_gl0_inv
	ds_load_2addr_b64 v[18:21], v12 offset1:16
	ds_load_b128 v[22:25], v13
	ds_load_b128 v[26:29], v13 offset:1024
	ds_load_b128 v[30:33], v13 offset:16
	;; [unrolled: 1-line block ×4, first 2 shown]
	ds_load_2addr_b64 v[42:45], v12 offset0:32 offset1:48
	ds_load_2addr_b64 v[46:49], v12 offset0:64 offset1:80
	ds_load_b128 v[50:53], v13 offset:1040
	ds_load_2addr_b64 v[54:57], v12 offset0:96 offset1:112
	ds_load_2addr_b64 v[58:61], v12 offset0:128 offset1:144
	;; [unrolled: 1-line block ×4, first 2 shown]
	ds_load_b128 v[70:73], v13 offset:1056
	ds_load_b128 v[74:77], v13 offset:1072
	ds_load_2addr_b64 v[78:81], v12 offset0:224 offset1:240
	s_waitcnt lgkmcnt(0)
	s_barrier
	buffer_gl0_inv
	v_dual_mul_f32 v82, v23, v19 :: v_dual_mul_f32 v85, v22, v21
	v_dual_mul_f32 v83, v22, v19 :: v_dual_mul_f32 v84, v23, v21
	v_mul_f32_e32 v86, v27, v19
	v_mul_f32_e32 v19, v26, v19
	;; [unrolled: 1-line block ×4, first 2 shown]
	v_fma_f32 v82, v22, v18, -v82
	v_fmac_f32_e32 v83, v23, v18
	v_fma_f32 v22, v22, v20, -v84
	v_fmac_f32_e32 v85, v23, v20
	v_fma_f32 v23, v26, v18, -v86
	v_dual_fmac_f32 v21, v27, v20 :: v_dual_mul_f32 v84, v24, v45
	v_fmac_f32_e32 v19, v27, v18
	v_fma_f32 v18, v26, v20, -v87
	v_mul_f32_e32 v20, v25, v43
	v_mul_f32_e32 v26, v24, v43
	v_fmac_f32_e32 v84, v25, v44
	v_dual_mul_f32 v27, v25, v45 :: v_dual_mul_f32 v86, v51, v47
	s_delay_alu instid0(VALU_DEP_4) | instskip(NEXT) | instid1(VALU_DEP_4)
	v_fma_f32 v20, v24, v42, -v20
	v_fmac_f32_e32 v26, v25, v42
	v_mul_f32_e32 v25, v29, v43
	s_delay_alu instid0(VALU_DEP_4)
	v_fma_f32 v24, v24, v44, -v27
	v_mul_f32_e32 v27, v28, v43
	v_mul_f32_e32 v43, v29, v45
	;; [unrolled: 1-line block ×3, first 2 shown]
	v_fma_f32 v25, v28, v42, -v25
	v_mul_f32_e32 v87, v51, v49
	v_fmac_f32_e32 v27, v29, v42
	v_fma_f32 v28, v28, v44, -v43
	v_fmac_f32_e32 v45, v29, v44
	v_mul_f32_e32 v29, v31, v47
	v_dual_mul_f32 v42, v30, v47 :: v_dual_mul_f32 v43, v31, v49
	v_mul_f32_e32 v44, v30, v49
	v_mul_f32_e32 v47, v50, v47
	;; [unrolled: 1-line block ×3, first 2 shown]
	v_fma_f32 v29, v30, v46, -v29
	v_fmac_f32_e32 v42, v31, v46
	v_fma_f32 v30, v30, v48, -v43
	v_fmac_f32_e32 v44, v31, v48
	v_fma_f32 v31, v50, v46, -v86
	v_mul_f32_e32 v86, v71, v59
	v_fmac_f32_e32 v47, v51, v46
	v_fma_f32 v43, v50, v48, -v87
	v_dual_fmac_f32 v49, v51, v48 :: v_dual_mul_f32 v46, v33, v55
	v_mul_f32_e32 v48, v32, v55
	v_mul_f32_e32 v50, v33, v57
	;; [unrolled: 1-line block ×4, first 2 shown]
	v_fma_f32 v46, v32, v54, -v46
	v_fmac_f32_e32 v48, v33, v54
	v_fma_f32 v32, v32, v56, -v50
	v_fmac_f32_e32 v51, v33, v56
	v_mul_f32_e32 v33, v53, v55
	v_dual_mul_f32 v50, v52, v55 :: v_dual_mul_f32 v55, v53, v57
	v_dual_mul_f32 v57, v52, v57 :: v_dual_add_f32 v2, v2, v22
	s_delay_alu instid0(VALU_DEP_3) | instskip(NEXT) | instid1(VALU_DEP_3)
	v_fma_f32 v33, v52, v54, -v33
	v_fmac_f32_e32 v50, v53, v54
	s_delay_alu instid0(VALU_DEP_4) | instskip(NEXT) | instid1(VALU_DEP_4)
	v_fma_f32 v52, v52, v56, -v55
	v_fmac_f32_e32 v57, v53, v56
	v_mul_f32_e32 v53, v35, v59
	v_dual_mul_f32 v54, v34, v59 :: v_dual_mul_f32 v55, v35, v61
	v_mul_f32_e32 v56, v34, v61
	v_mul_f32_e32 v59, v70, v59
	;; [unrolled: 1-line block ×3, first 2 shown]
	v_fma_f32 v53, v34, v58, -v53
	v_fmac_f32_e32 v54, v35, v58
	v_fma_f32 v34, v34, v60, -v55
	v_fmac_f32_e32 v56, v35, v60
	v_fma_f32 v35, v70, v58, -v86
	v_mul_f32_e32 v86, v75, v67
	v_fmac_f32_e32 v59, v71, v58
	v_fma_f32 v55, v70, v60, -v87
	v_dual_fmac_f32 v61, v71, v60 :: v_dual_mul_f32 v58, v37, v63
	v_mul_f32_e32 v60, v36, v63
	v_mul_f32_e32 v70, v37, v65
	;; [unrolled: 1-line block ×3, first 2 shown]
	v_add_f32_e32 v0, v0, v18
	v_fma_f32 v58, v36, v62, -v58
	v_fmac_f32_e32 v60, v37, v62
	v_fma_f32 v36, v36, v64, -v70
	v_fmac_f32_e32 v71, v37, v64
	v_mul_f32_e32 v37, v73, v63
	v_dual_mul_f32 v63, v72, v63 :: v_dual_mul_f32 v70, v73, v65
	v_dual_mul_f32 v65, v72, v65 :: v_dual_add_f32 v2, v2, v24
	s_delay_alu instid0(VALU_DEP_3) | instskip(NEXT) | instid1(VALU_DEP_3)
	v_fma_f32 v37, v72, v62, -v37
	v_fmac_f32_e32 v63, v73, v62
	s_delay_alu instid0(VALU_DEP_4) | instskip(NEXT) | instid1(VALU_DEP_4)
	v_fma_f32 v62, v72, v64, -v70
	v_dual_fmac_f32 v65, v73, v64 :: v_dual_add_f32 v14, v14, v85
	v_dual_mul_f32 v73, v38, v69 :: v_dual_mul_f32 v64, v39, v67
	v_mul_f32_e32 v70, v38, v67
	v_dual_mul_f32 v72, v39, v69 :: v_dual_mul_f32 v67, v74, v67
	v_dual_add_f32 v0, v0, v28 :: v_dual_mul_f32 v87, v75, v69
	v_add_f32_e32 v14, v14, v84
	v_mul_f32_e32 v69, v74, v69
	v_dual_fmac_f32 v73, v39, v68 :: v_dual_add_f32 v10, v10, v21
	v_fma_f32 v64, v38, v66, -v64
	v_fmac_f32_e32 v70, v39, v66
	v_fma_f32 v38, v38, v68, -v72
	v_fma_f32 v39, v74, v66, -v86
	v_dual_fmac_f32 v67, v75, v66 :: v_dual_add_f32 v10, v10, v45
	v_fma_f32 v66, v74, v68, -v87
	v_mul_f32_e32 v72, v40, v79
	v_mul_f32_e32 v74, v41, v81
	v_add_f32_e32 v2, v2, v30
	v_dual_add_f32 v0, v0, v43 :: v_dual_fmac_f32 v69, v75, v68
	v_dual_mul_f32 v68, v41, v79 :: v_dual_mul_f32 v75, v40, v81
	v_add_f32_e32 v14, v14, v44
	v_fmac_f32_e32 v72, v41, v78
	v_add_f32_e32 v10, v10, v49
	s_delay_alu instid0(VALU_DEP_4)
	v_fma_f32 v68, v40, v78, -v68
	v_fma_f32 v40, v40, v80, -v74
	v_fmac_f32_e32 v75, v41, v80
	v_dual_mul_f32 v41, v77, v79 :: v_dual_add_f32 v2, v2, v32
	v_dual_mul_f32 v74, v76, v79 :: v_dual_mul_f32 v79, v77, v81
	v_dual_add_f32 v14, v14, v51 :: v_dual_mul_f32 v81, v76, v81
	s_delay_alu instid0(VALU_DEP_3) | instskip(SKIP_1) | instid1(VALU_DEP_3)
	v_add_f32_e32 v2, v2, v34
	v_dual_add_f32 v3, v3, v82 :: v_dual_add_f32 v0, v0, v52
	v_dual_add_f32 v15, v15, v83 :: v_dual_add_f32 v14, v14, v56
	s_delay_alu instid0(VALU_DEP_4)
	v_dual_fmac_f32 v81, v77, v80 :: v_dual_add_f32 v10, v10, v57
	v_add_f32_e32 v1, v1, v23
	v_dual_add_f32 v11, v11, v19 :: v_dual_add_f32 v2, v2, v36
	v_dual_add_f32 v3, v3, v20 :: v_dual_add_f32 v0, v0, v55
	;; [unrolled: 1-line block ×3, first 2 shown]
	v_add_f32_e32 v10, v10, v61
	s_delay_alu instid0(VALU_DEP_3) | instskip(SKIP_3) | instid1(VALU_DEP_4)
	v_dual_add_f32 v1, v1, v25 :: v_dual_add_f32 v0, v0, v62
	v_add_f32_e32 v11, v11, v27
	v_dual_add_f32 v3, v3, v29 :: v_dual_add_f32 v2, v2, v38
	v_dual_add_f32 v15, v15, v42 :: v_dual_add_f32 v14, v14, v73
	;; [unrolled: 1-line block ×3, first 2 shown]
	s_delay_alu instid0(VALU_DEP_4) | instskip(SKIP_4) | instid1(VALU_DEP_3)
	v_dual_add_f32 v10, v10, v65 :: v_dual_add_f32 v11, v11, v47
	v_fma_f32 v41, v76, v78, -v41
	v_fma_f32 v76, v76, v80, -v79
	v_dual_add_f32 v3, v3, v46 :: v_dual_add_f32 v2, v2, v40
	v_dual_add_f32 v15, v15, v48 :: v_dual_add_f32 v14, v14, v75
	;; [unrolled: 1-line block ×4, first 2 shown]
	s_delay_alu instid0(VALU_DEP_4) | instskip(NEXT) | instid1(VALU_DEP_4)
	v_add_f32_e32 v3, v3, v53
	v_add_f32_e32 v15, v15, v54
	s_delay_alu instid0(VALU_DEP_3) | instskip(NEXT) | instid1(VALU_DEP_4)
	v_dual_add_f32 v1, v1, v35 :: v_dual_add_f32 v10, v10, v81
	v_add_f32_e32 v11, v11, v59
	s_delay_alu instid0(VALU_DEP_4) | instskip(NEXT) | instid1(VALU_DEP_4)
	v_add_f32_e32 v3, v3, v58
	v_add_f32_e32 v15, v15, v60
	s_delay_alu instid0(VALU_DEP_4) | instskip(NEXT) | instid1(VALU_DEP_4)
	v_add_f32_e32 v1, v1, v37
	v_dual_fmac_f32 v74, v77, v78 :: v_dual_add_f32 v11, v11, v63
	s_delay_alu instid0(VALU_DEP_4) | instskip(NEXT) | instid1(VALU_DEP_4)
	v_add_f32_e32 v3, v3, v64
	v_add_f32_e32 v15, v15, v70
	s_delay_alu instid0(VALU_DEP_4) | instskip(NEXT) | instid1(VALU_DEP_4)
	v_add_f32_e32 v1, v1, v39
	v_add_f32_e32 v11, v11, v67
	;; [unrolled: 3-line block ×4, first 2 shown]
	s_cbranch_vccz .LBB1710_2
.LBB1710_3:
	v_add_nc_u32_e32 v9, s19, v9
	s_load_b32 s4, s[0:1], 0x0
	s_delay_alu instid0(VALU_DEP_1) | instskip(SKIP_2) | instid1(VALU_DEP_3)
	v_ashrrev_i32_e32 v4, 31, v9
	v_mul_lo_u32 v5, v9, s7
	v_mad_u64_u32 v[6:7], null, v9, s6, 0
	v_mul_lo_u32 v4, v4, s6
	s_delay_alu instid0(VALU_DEP_1) | instskip(SKIP_1) | instid1(VALU_DEP_2)
	v_add3_u32 v7, v7, v5, v4
	v_add_nc_u32_e32 v5, s18, v8
	v_lshlrev_b64 v[6:7], 3, v[6:7]
	s_delay_alu instid0(VALU_DEP_2) | instskip(SKIP_2) | instid1(VALU_DEP_3)
	v_cmp_le_i32_e64 s0, v9, v5
	s_waitcnt lgkmcnt(0)
	v_cmp_gt_i32_e32 vcc_lo, s4, v5
	v_add_co_u32 v12, s1, s2, v6
	s_delay_alu instid0(VALU_DEP_1) | instskip(SKIP_1) | instid1(SALU_CYCLE_1)
	v_add_co_ci_u32_e64 v13, s1, s3, v7, s1
	s_and_b32 s0, s0, vcc_lo
	s_and_saveexec_b32 s1, s0
	s_cbranch_execz .LBB1710_5
; %bb.4:
	v_ashrrev_i32_e32 v6, 31, v5
	s_delay_alu instid0(VALU_DEP_1) | instskip(NEXT) | instid1(VALU_DEP_1)
	v_lshlrev_b64 v[6:7], 3, v[5:6]
	v_add_co_u32 v6, s0, v12, v6
	s_delay_alu instid0(VALU_DEP_1) | instskip(SKIP_1) | instid1(VALU_DEP_1)
	v_add_co_ci_u32_e64 v7, s0, v13, v7, s0
	v_cmp_ne_u32_e64 s0, v9, v5
	v_cndmask_b32_e64 v4, 0, v15, s0
	global_store_b64 v[6:7], v[3:4], off
.LBB1710_5:
	s_or_b32 exec_lo, exec_lo, s1
	v_add_nc_u32_e32 v7, 16, v5
	s_delay_alu instid0(VALU_DEP_1) | instskip(SKIP_1) | instid1(VALU_DEP_1)
	v_cmp_le_i32_e64 s1, v9, v7
	v_cmp_gt_i32_e64 s0, s4, v7
	s_and_b32 s1, s1, s0
	s_delay_alu instid0(SALU_CYCLE_1)
	s_and_saveexec_b32 s4, s1
	s_cbranch_execz .LBB1710_7
; %bb.6:
	v_ashrrev_i32_e32 v8, 31, v7
	s_delay_alu instid0(VALU_DEP_1) | instskip(NEXT) | instid1(VALU_DEP_1)
	v_lshlrev_b64 v[3:4], 3, v[7:8]
	v_add_co_u32 v12, s1, v12, v3
	s_delay_alu instid0(VALU_DEP_1) | instskip(SKIP_1) | instid1(VALU_DEP_1)
	v_add_co_ci_u32_e64 v13, s1, v13, v4, s1
	v_cmp_ne_u32_e64 s1, v9, v7
	v_cndmask_b32_e64 v3, 0, v14, s1
	global_store_b64 v[12:13], v[2:3], off
.LBB1710_7:
	s_or_b32 exec_lo, exec_lo, s4
	v_add_nc_u32_e32 v3, 16, v9
	s_delay_alu instid0(VALU_DEP_1) | instskip(SKIP_3) | instid1(VALU_DEP_4)
	v_ashrrev_i32_e32 v2, 31, v3
	v_mul_lo_u32 v4, v3, s7
	v_mad_u64_u32 v[12:13], null, v3, s6, 0
	v_cmp_le_i32_e64 s1, v3, v5
	v_mul_lo_u32 v2, v2, s6
	s_delay_alu instid0(VALU_DEP_1) | instskip(NEXT) | instid1(VALU_DEP_1)
	v_add3_u32 v13, v13, v4, v2
	v_lshlrev_b64 v[12:13], 3, v[12:13]
	s_delay_alu instid0(VALU_DEP_1) | instskip(NEXT) | instid1(VALU_DEP_1)
	v_add_co_u32 v4, s2, s2, v12
	v_add_co_ci_u32_e64 v12, s2, s3, v13, s2
	s_and_b32 s2, s1, vcc_lo
	s_delay_alu instid0(SALU_CYCLE_1)
	s_and_saveexec_b32 s1, s2
	s_cbranch_execz .LBB1710_9
; %bb.8:
	v_ashrrev_i32_e32 v6, 31, v5
	s_delay_alu instid0(VALU_DEP_1) | instskip(NEXT) | instid1(VALU_DEP_1)
	v_lshlrev_b64 v[13:14], 3, v[5:6]
	v_add_co_u32 v13, vcc_lo, v4, v13
	s_delay_alu instid0(VALU_DEP_2)
	v_add_co_ci_u32_e32 v14, vcc_lo, v12, v14, vcc_lo
	v_cmp_ne_u32_e32 vcc_lo, v3, v5
	v_cndmask_b32_e32 v2, 0, v11, vcc_lo
	global_store_b64 v[13:14], v[1:2], off
.LBB1710_9:
	s_or_b32 exec_lo, exec_lo, s1
	v_cmp_le_i32_e32 vcc_lo, v3, v7
	s_and_b32 s0, vcc_lo, s0
	s_delay_alu instid0(SALU_CYCLE_1)
	s_and_saveexec_b32 s1, s0
	s_cbranch_execz .LBB1710_11
; %bb.10:
	v_ashrrev_i32_e32 v8, 31, v7
	s_delay_alu instid0(VALU_DEP_1) | instskip(NEXT) | instid1(VALU_DEP_1)
	v_lshlrev_b64 v[1:2], 3, v[7:8]
	v_add_co_u32 v3, vcc_lo, v4, v1
	s_delay_alu instid0(VALU_DEP_2)
	v_add_co_ci_u32_e32 v4, vcc_lo, v12, v2, vcc_lo
	v_cmp_ne_u32_e32 vcc_lo, v9, v5
	v_cndmask_b32_e32 v1, 0, v10, vcc_lo
	global_store_b64 v[3:4], v[0:1], off
.LBB1710_11:
	s_nop 0
	s_sendmsg sendmsg(MSG_DEALLOC_VGPRS)
	s_endpgm
	.section	.rodata,"a",@progbits
	.p2align	6, 0x0
	.amdhsa_kernel _ZL37rocblas_syrkx_herkx_restricted_kernelIl19rocblas_complex_numIfELi16ELi32ELi8ELi1ELi0ELb1ELc78ELc76EKPKS1_KPS1_EviT_PT9_S7_lS9_S7_lPT10_S7_li
		.amdhsa_group_segment_fixed_size 4096
		.amdhsa_private_segment_fixed_size 0
		.amdhsa_kernarg_size 92
		.amdhsa_user_sgpr_count 13
		.amdhsa_user_sgpr_dispatch_ptr 0
		.amdhsa_user_sgpr_queue_ptr 0
		.amdhsa_user_sgpr_kernarg_segment_ptr 1
		.amdhsa_user_sgpr_dispatch_id 0
		.amdhsa_user_sgpr_private_segment_size 0
		.amdhsa_wavefront_size32 1
		.amdhsa_uses_dynamic_stack 0
		.amdhsa_enable_private_segment 0
		.amdhsa_system_sgpr_workgroup_id_x 1
		.amdhsa_system_sgpr_workgroup_id_y 1
		.amdhsa_system_sgpr_workgroup_id_z 1
		.amdhsa_system_sgpr_workgroup_info 0
		.amdhsa_system_vgpr_workitem_id 1
		.amdhsa_next_free_vgpr 88
		.amdhsa_next_free_sgpr 20
		.amdhsa_reserve_vcc 1
		.amdhsa_float_round_mode_32 0
		.amdhsa_float_round_mode_16_64 0
		.amdhsa_float_denorm_mode_32 3
		.amdhsa_float_denorm_mode_16_64 3
		.amdhsa_dx10_clamp 1
		.amdhsa_ieee_mode 1
		.amdhsa_fp16_overflow 0
		.amdhsa_workgroup_processor_mode 1
		.amdhsa_memory_ordered 1
		.amdhsa_forward_progress 0
		.amdhsa_shared_vgpr_count 0
		.amdhsa_exception_fp_ieee_invalid_op 0
		.amdhsa_exception_fp_denorm_src 0
		.amdhsa_exception_fp_ieee_div_zero 0
		.amdhsa_exception_fp_ieee_overflow 0
		.amdhsa_exception_fp_ieee_underflow 0
		.amdhsa_exception_fp_ieee_inexact 0
		.amdhsa_exception_int_div_zero 0
	.end_amdhsa_kernel
	.section	.text._ZL37rocblas_syrkx_herkx_restricted_kernelIl19rocblas_complex_numIfELi16ELi32ELi8ELi1ELi0ELb1ELc78ELc76EKPKS1_KPS1_EviT_PT9_S7_lS9_S7_lPT10_S7_li,"axG",@progbits,_ZL37rocblas_syrkx_herkx_restricted_kernelIl19rocblas_complex_numIfELi16ELi32ELi8ELi1ELi0ELb1ELc78ELc76EKPKS1_KPS1_EviT_PT9_S7_lS9_S7_lPT10_S7_li,comdat
.Lfunc_end1710:
	.size	_ZL37rocblas_syrkx_herkx_restricted_kernelIl19rocblas_complex_numIfELi16ELi32ELi8ELi1ELi0ELb1ELc78ELc76EKPKS1_KPS1_EviT_PT9_S7_lS9_S7_lPT10_S7_li, .Lfunc_end1710-_ZL37rocblas_syrkx_herkx_restricted_kernelIl19rocblas_complex_numIfELi16ELi32ELi8ELi1ELi0ELb1ELc78ELc76EKPKS1_KPS1_EviT_PT9_S7_lS9_S7_lPT10_S7_li
                                        ; -- End function
	.section	.AMDGPU.csdata,"",@progbits
; Kernel info:
; codeLenInByte = 2212
; NumSgprs: 22
; NumVgprs: 88
; ScratchSize: 0
; MemoryBound: 0
; FloatMode: 240
; IeeeMode: 1
; LDSByteSize: 4096 bytes/workgroup (compile time only)
; SGPRBlocks: 2
; VGPRBlocks: 10
; NumSGPRsForWavesPerEU: 22
; NumVGPRsForWavesPerEU: 88
; Occupancy: 16
; WaveLimiterHint : 1
; COMPUTE_PGM_RSRC2:SCRATCH_EN: 0
; COMPUTE_PGM_RSRC2:USER_SGPR: 13
; COMPUTE_PGM_RSRC2:TRAP_HANDLER: 0
; COMPUTE_PGM_RSRC2:TGID_X_EN: 1
; COMPUTE_PGM_RSRC2:TGID_Y_EN: 1
; COMPUTE_PGM_RSRC2:TGID_Z_EN: 1
; COMPUTE_PGM_RSRC2:TIDIG_COMP_CNT: 1
	.section	.text._ZL37rocblas_syrkx_herkx_restricted_kernelIl19rocblas_complex_numIfELi16ELi32ELi8ELi1ELi0ELb1ELc84ELc85EKPKS1_KPS1_EviT_PT9_S7_lS9_S7_lPT10_S7_li,"axG",@progbits,_ZL37rocblas_syrkx_herkx_restricted_kernelIl19rocblas_complex_numIfELi16ELi32ELi8ELi1ELi0ELb1ELc84ELc85EKPKS1_KPS1_EviT_PT9_S7_lS9_S7_lPT10_S7_li,comdat
	.globl	_ZL37rocblas_syrkx_herkx_restricted_kernelIl19rocblas_complex_numIfELi16ELi32ELi8ELi1ELi0ELb1ELc84ELc85EKPKS1_KPS1_EviT_PT9_S7_lS9_S7_lPT10_S7_li ; -- Begin function _ZL37rocblas_syrkx_herkx_restricted_kernelIl19rocblas_complex_numIfELi16ELi32ELi8ELi1ELi0ELb1ELc84ELc85EKPKS1_KPS1_EviT_PT9_S7_lS9_S7_lPT10_S7_li
	.p2align	8
	.type	_ZL37rocblas_syrkx_herkx_restricted_kernelIl19rocblas_complex_numIfELi16ELi32ELi8ELi1ELi0ELb1ELc84ELc85EKPKS1_KPS1_EviT_PT9_S7_lS9_S7_lPT10_S7_li,@function
_ZL37rocblas_syrkx_herkx_restricted_kernelIl19rocblas_complex_numIfELi16ELi32ELi8ELi1ELi0ELb1ELc84ELc85EKPKS1_KPS1_EviT_PT9_S7_lS9_S7_lPT10_S7_li: ; @_ZL37rocblas_syrkx_herkx_restricted_kernelIl19rocblas_complex_numIfELi16ELi32ELi8ELi1ELi0ELb1ELc84ELc85EKPKS1_KPS1_EviT_PT9_S7_lS9_S7_lPT10_S7_li
; %bb.0:
	s_clause 0x1
	s_load_b128 s[4:7], s[0:1], 0x40
	s_load_b128 s[8:11], s[0:1], 0x8
	s_mov_b32 s2, s15
	s_mov_b32 s3, 0
	v_dual_mov_b32 v4, 0 :: v_dual_and_b32 v9, 0x3ff, v0
	s_lshl_b64 s[16:17], s[2:3], 3
	v_bfe_u32 v10, v0, 10, 10
	v_dual_mov_b32 v17, 0 :: v_dual_mov_b32 v12, 0
	v_dual_mov_b32 v3, 0 :: v_dual_mov_b32 v2, 0
	;; [unrolled: 1-line block ×3, first 2 shown]
	v_mov_b32_e32 v1, 0
	s_waitcnt lgkmcnt(0)
	s_add_u32 s2, s4, s16
	s_addc_u32 s3, s5, s17
	v_cmp_lt_i64_e64 s4, s[8:9], 1
	s_load_b64 s[2:3], s[2:3], 0x0
	s_lshl_b32 s18, s13, 5
	s_lshl_b32 s19, s14, 5
	s_delay_alu instid0(VALU_DEP_1)
	s_and_b32 vcc_lo, exec_lo, s4
	s_cbranch_vccnz .LBB1711_3
; %bb.1:
	s_clause 0x1
	s_load_b128 s[12:15], s[0:1], 0x28
	s_load_b64 s[4:5], s[0:1], 0x18
	v_lshl_add_u32 v2, v10, 4, v9
	v_dual_mov_b32 v1, 0 :: v_dual_and_b32 v0, 7, v9
	s_add_u32 s10, s10, s16
	s_addc_u32 s11, s11, s17
	s_delay_alu instid0(VALU_DEP_2)
	v_lshrrev_b32_e32 v8, 3, v2
	v_and_b32_e32 v11, 31, v2
	v_lshrrev_b32_e32 v2, 5, v2
	v_mov_b32_e32 v3, v1
	s_load_b64 s[10:11], s[10:11], 0x0
	v_add_nc_u32_e32 v12, s19, v8
	v_add_nc_u32_e32 v6, s18, v11
	v_lshlrev_b32_e32 v11, 3, v11
	v_mov_b32_e32 v17, v1
	s_delay_alu instid0(VALU_DEP_4) | instskip(NEXT) | instid1(VALU_DEP_4)
	v_ashrrev_i32_e32 v4, 31, v12
	v_ashrrev_i32_e32 v5, 31, v6
	s_waitcnt lgkmcnt(0)
	s_add_u32 s12, s12, s16
	s_addc_u32 s13, s13, s17
	v_mul_lo_u32 v14, v4, s14
	v_mul_lo_u32 v13, s4, v5
	v_mad_u64_u32 v[4:5], null, s4, v6, v[2:3]
	v_mul_lo_u32 v3, s5, v6
	s_load_b64 s[4:5], s[12:13], 0x0
	v_mul_lo_u32 v15, v12, s15
	v_mad_u64_u32 v[6:7], null, v12, s14, v[0:1]
	v_mov_b32_e32 v12, v1
	v_lshlrev_b32_e32 v0, 3, v0
	v_add3_u32 v5, v3, v5, v13
	v_lshlrev_b32_e32 v13, 3, v9
	v_add3_u32 v7, v14, v7, v15
	s_delay_alu instid0(VALU_DEP_4) | instskip(NEXT) | instid1(VALU_DEP_4)
	v_lshl_or_b32 v0, v8, 6, v0
	v_lshlrev_b64 v[3:4], 3, v[4:5]
	v_lshl_or_b32 v15, v2, 8, v11
	v_lshl_add_u32 v14, v10, 6, 0x800
	v_lshlrev_b64 v[5:6], 3, v[6:7]
	v_dual_mov_b32 v11, v1 :: v_dual_add_nc_u32 v16, 0x800, v0
	v_add_co_u32 v0, vcc_lo, v3, s10
	v_add_co_ci_u32_e32 v2, vcc_lo, s11, v4, vcc_lo
	s_waitcnt lgkmcnt(0)
	s_delay_alu instid0(VALU_DEP_4) | instskip(SKIP_3) | instid1(VALU_DEP_4)
	v_add_co_u32 v3, vcc_lo, v5, s4
	v_add_co_ci_u32_e32 v4, vcc_lo, s5, v6, vcc_lo
	v_add_co_u32 v5, vcc_lo, v0, 4
	v_add_co_ci_u32_e32 v6, vcc_lo, 0, v2, vcc_lo
	v_add_co_u32 v7, vcc_lo, v3, 4
	s_delay_alu instid0(VALU_DEP_4)
	v_add_co_ci_u32_e32 v8, vcc_lo, 0, v4, vcc_lo
	v_mov_b32_e32 v0, v1
	v_mov_b32_e32 v2, v1
	;; [unrolled: 1-line block ×4, first 2 shown]
	s_mov_b64 s[4:5], 0
.LBB1711_2:                             ; =>This Inner Loop Header: Depth=1
	global_load_b64 v[18:19], v[5:6], off offset:-4
	global_load_b64 v[20:21], v[7:8], off offset:-4
	s_add_u32 s4, s4, 8
	v_add_co_u32 v5, vcc_lo, v5, 64
	s_addc_u32 s5, s5, 0
	v_add_co_ci_u32_e32 v6, vcc_lo, 0, v6, vcc_lo
	v_cmp_ge_u64_e64 s10, s[4:5], s[8:9]
	v_add_co_u32 v7, vcc_lo, v7, 64
	v_add_co_ci_u32_e32 v8, vcc_lo, 0, v8, vcc_lo
	s_waitcnt vmcnt(1)
	ds_store_b64 v15, v[18:19]
	s_waitcnt vmcnt(0)
	ds_store_b64 v16, v[20:21]
	s_waitcnt lgkmcnt(0)
	s_barrier
	buffer_gl0_inv
	ds_load_2addr_b64 v[18:21], v13 offset1:16
	ds_load_b128 v[22:25], v14
	ds_load_b128 v[26:29], v14 offset:1024
	ds_load_2addr_b64 v[30:33], v13 offset0:32 offset1:48
	ds_load_b128 v[34:37], v14 offset:16
	ds_load_b128 v[38:41], v14 offset:32
	;; [unrolled: 1-line block ×3, first 2 shown]
	ds_load_2addr_b64 v[46:49], v13 offset0:64 offset1:80
	ds_load_b128 v[50:53], v14 offset:1040
	ds_load_2addr_b64 v[54:57], v13 offset0:96 offset1:112
	ds_load_2addr_b64 v[58:61], v13 offset0:128 offset1:144
	;; [unrolled: 1-line block ×4, first 2 shown]
	ds_load_b128 v[70:73], v14 offset:1056
	ds_load_b128 v[74:77], v14 offset:1072
	s_and_b32 vcc_lo, exec_lo, s10
	s_waitcnt lgkmcnt(13)
	v_dual_mul_f32 v78, v23, v19 :: v_dual_mul_f32 v81, v22, v21
	s_waitcnt lgkmcnt(11)
	v_dual_mul_f32 v83, v26, v19 :: v_dual_mul_f32 v86, v25, v33
	v_mul_f32_e32 v84, v26, v21
	v_dual_mul_f32 v79, v22, v19 :: v_dual_mul_f32 v80, v23, v21
	v_mul_f32_e32 v82, v27, v19
	v_mul_f32_e32 v19, v27, v21
	;; [unrolled: 1-line block ×3, first 2 shown]
	v_dual_mul_f32 v85, v24, v31 :: v_dual_fmac_f32 v84, v27, v20
	v_fmac_f32_e32 v83, v27, v18
	v_mul_f32_e32 v27, v24, v33
	v_fma_f32 v78, v22, v18, -v78
	v_fmac_f32_e32 v79, v23, v18
	v_fmac_f32_e32 v81, v23, v20
	v_fma_f32 v23, v26, v18, -v82
	v_mul_f32_e32 v18, v29, v31
	v_fma_f32 v26, v26, v20, -v19
	v_mul_f32_e32 v31, v28, v31
	v_mul_f32_e32 v19, v29, v33
	v_fmac_f32_e32 v85, v25, v30
	v_fmac_f32_e32 v27, v25, v32
	v_mul_f32_e32 v25, v28, v33
	v_fma_f32 v22, v22, v20, -v80
	v_fma_f32 v80, v24, v30, -v21
	;; [unrolled: 1-line block ×3, first 2 shown]
	s_waitcnt lgkmcnt(7)
	v_mul_f32_e32 v20, v35, v47
	v_mul_f32_e32 v33, v34, v47
	;; [unrolled: 1-line block ×3, first 2 shown]
	v_fma_f32 v82, v28, v30, -v18
	v_fmac_f32_e32 v31, v29, v30
	v_fma_f32 v28, v28, v32, -v19
	v_fmac_f32_e32 v25, v29, v32
	s_waitcnt lgkmcnt(6)
	v_dual_mul_f32 v29, v34, v49 :: v_dual_mul_f32 v18, v51, v47
	v_dual_mul_f32 v30, v50, v47 :: v_dual_mul_f32 v19, v51, v49
	s_waitcnt lgkmcnt(5)
	v_dual_mul_f32 v32, v50, v49 :: v_dual_mul_f32 v49, v36, v55
	v_fma_f32 v87, v34, v46, -v20
	v_fmac_f32_e32 v33, v35, v46
	v_fmac_f32_e32 v29, v35, v48
	v_fma_f32 v35, v50, v46, -v18
	v_fmac_f32_e32 v30, v51, v46
	v_fma_f32 v46, v50, v48, -v19
	v_fmac_f32_e32 v32, v51, v48
	v_mul_f32_e32 v18, v53, v55
	v_fma_f32 v34, v34, v48, -v21
	v_dual_mul_f32 v48, v36, v57 :: v_dual_mul_f32 v47, v37, v55
	v_mul_f32_e32 v86, v37, v57
	v_dual_mul_f32 v50, v52, v55 :: v_dual_mul_f32 v19, v53, v57
	v_fmac_f32_e32 v49, v37, v54
	s_delay_alu instid0(VALU_DEP_4)
	v_dual_fmac_f32 v48, v37, v56 :: v_dual_mul_f32 v37, v52, v57
	v_fma_f32 v47, v36, v54, -v47
	v_fma_f32 v36, v36, v56, -v86
	s_waitcnt lgkmcnt(4)
	v_mul_f32_e32 v20, v39, v59
	v_mul_f32_e32 v51, v38, v59
	v_mul_f32_e32 v21, v39, v61
	v_fma_f32 v55, v52, v54, -v18
	v_fmac_f32_e32 v50, v53, v54
	v_fmac_f32_e32 v37, v53, v56
	s_waitcnt lgkmcnt(1)
	v_dual_mul_f32 v53, v38, v61 :: v_dual_mul_f32 v18, v71, v59
	v_fma_f32 v52, v52, v56, -v19
	v_dual_mul_f32 v54, v70, v59 :: v_dual_mul_f32 v19, v71, v61
	v_dual_mul_f32 v56, v70, v61 :: v_dual_mul_f32 v57, v41, v63
	v_mul_f32_e32 v59, v40, v63
	v_dual_mul_f32 v61, v41, v65 :: v_dual_add_f32 v4, v4, v78
	v_fma_f32 v86, v38, v58, -v20
	v_fmac_f32_e32 v51, v39, v58
	v_fma_f32 v38, v38, v60, -v21
	v_dual_fmac_f32 v53, v39, v60 :: v_dual_add_f32 v12, v12, v81
	v_fma_f32 v39, v70, v58, -v18
	v_fmac_f32_e32 v54, v71, v58
	v_fma_f32 v58, v70, v60, -v19
	v_fmac_f32_e32 v56, v71, v60
	v_mul_f32_e32 v60, v40, v65
	v_dual_mul_f32 v19, v73, v65 :: v_dual_add_f32 v2, v2, v23
	v_mul_f32_e32 v18, v73, v63
	v_mul_f32_e32 v63, v72, v63
	v_fma_f32 v57, v40, v62, -v57
	v_dual_fmac_f32 v59, v41, v62 :: v_dual_add_f32 v4, v4, v80
	v_fma_f32 v40, v40, v64, -v61
	v_dual_fmac_f32 v60, v41, v64 :: v_dual_mul_f32 v61, v42, v67
	v_add_f32_e32 v0, v0, v26
	v_dual_add_f32 v2, v2, v82 :: v_dual_mul_f32 v41, v72, v65
	v_mul_f32_e32 v20, v43, v67
	v_dual_mul_f32 v21, v43, v69 :: v_dual_add_f32 v12, v12, v27
	v_fma_f32 v65, v72, v62, -v18
	v_dual_fmac_f32 v63, v73, v62 :: v_dual_add_f32 v0, v0, v28
	v_fma_f32 v62, v72, v64, -v19
	s_waitcnt lgkmcnt(0)
	v_mul_f32_e32 v18, v75, v67
	v_dual_mul_f32 v67, v74, v67 :: v_dual_add_f32 v12, v12, v29
	v_dual_mul_f32 v19, v75, v69 :: v_dual_add_f32 v0, v0, v46
	v_dual_add_f32 v2, v2, v35 :: v_dual_fmac_f32 v41, v73, v64
	v_add_f32_e32 v4, v4, v87
	v_mul_f32_e32 v64, v42, v69
	v_fma_f32 v70, v42, v66, -v20
	v_dual_fmac_f32 v61, v43, v66 :: v_dual_add_f32 v12, v12, v48
	v_fma_f32 v42, v42, v68, -v21
	s_delay_alu instid0(VALU_DEP_4)
	v_fmac_f32_e32 v64, v43, v68
	v_fma_f32 v43, v74, v66, -v18
	v_dual_fmac_f32 v67, v75, v66 :: v_dual_add_f32 v2, v2, v55
	v_fma_f32 v66, v74, v68, -v19
	ds_load_2addr_b64 v[18:21], v13 offset0:224 offset1:240
	v_dual_mul_f32 v69, v74, v69 :: v_dual_add_f32 v4, v4, v47
	v_add_f32_e32 v2, v2, v39
	v_add_f32_e32 v0, v0, v52
	s_delay_alu instid0(VALU_DEP_3) | instskip(NEXT) | instid1(VALU_DEP_4)
	v_dual_add_f32 v12, v12, v53 :: v_dual_fmac_f32 v69, v75, v68
	v_add_f32_e32 v4, v4, v86
	s_delay_alu instid0(VALU_DEP_4) | instskip(NEXT) | instid1(VALU_DEP_4)
	v_add_f32_e32 v2, v2, v65
	v_dual_add_f32 v0, v0, v58 :: v_dual_add_f32 v17, v17, v79
	s_delay_alu instid0(VALU_DEP_4) | instskip(NEXT) | instid1(VALU_DEP_3)
	v_dual_add_f32 v12, v12, v60 :: v_dual_add_f32 v3, v3, v22
	v_add_f32_e32 v2, v2, v43
	s_delay_alu instid0(VALU_DEP_3) | instskip(SKIP_1) | instid1(VALU_DEP_4)
	v_dual_add_f32 v11, v11, v83 :: v_dual_add_f32 v0, v0, v62
	v_dual_add_f32 v4, v4, v57 :: v_dual_add_f32 v1, v1, v84
	;; [unrolled: 1-line block ×3, first 2 shown]
	s_delay_alu instid0(VALU_DEP_3) | instskip(SKIP_4) | instid1(VALU_DEP_3)
	v_add_f32_e32 v0, v0, v66
	s_waitcnt lgkmcnt(0)
	v_mul_f32_e32 v68, v45, v19
	v_dual_mul_f32 v72, v45, v21 :: v_dual_mul_f32 v71, v44, v19
	v_dual_mul_f32 v73, v77, v21 :: v_dual_add_f32 v4, v4, v70
	v_fma_f32 v68, v44, v18, -v68
	s_delay_alu instid0(VALU_DEP_3) | instskip(NEXT) | instid1(VALU_DEP_4)
	v_fma_f32 v72, v44, v20, -v72
	v_dual_mul_f32 v44, v44, v21 :: v_dual_fmac_f32 v71, v45, v18
	v_mul_f32_e32 v21, v76, v21
	s_delay_alu instid0(VALU_DEP_4) | instskip(NEXT) | instid1(VALU_DEP_3)
	v_dual_add_f32 v11, v11, v31 :: v_dual_add_f32 v4, v4, v68
	v_fmac_f32_e32 v44, v45, v20
	v_mul_f32_e32 v45, v77, v19
	s_delay_alu instid0(VALU_DEP_4) | instskip(SKIP_1) | instid1(VALU_DEP_4)
	v_fmac_f32_e32 v21, v77, v20
	v_add_f32_e32 v1, v1, v25
	v_dual_add_f32 v17, v17, v33 :: v_dual_add_f32 v12, v12, v44
	s_delay_alu instid0(VALU_DEP_4) | instskip(SKIP_4) | instid1(VALU_DEP_4)
	v_fma_f32 v45, v76, v18, -v45
	v_mul_f32_e32 v19, v76, v19
	v_add_f32_e32 v11, v11, v30
	v_add_f32_e32 v1, v1, v32
	v_add_f32_e32 v17, v17, v49
	v_dual_add_f32 v2, v2, v45 :: v_dual_fmac_f32 v19, v77, v18
	v_fma_f32 v18, v76, v20, -v73
	v_add_f32_e32 v3, v3, v24
	v_add_f32_e32 v11, v11, v50
	;; [unrolled: 1-line block ×3, first 2 shown]
	s_delay_alu instid0(VALU_DEP_4) | instskip(NEXT) | instid1(VALU_DEP_4)
	v_dual_add_f32 v17, v17, v51 :: v_dual_add_f32 v0, v0, v18
	v_add_f32_e32 v3, v3, v34
	s_delay_alu instid0(VALU_DEP_4) | instskip(NEXT) | instid1(VALU_DEP_4)
	v_add_f32_e32 v11, v11, v54
	v_add_f32_e32 v1, v1, v56
	s_delay_alu instid0(VALU_DEP_4) | instskip(NEXT) | instid1(VALU_DEP_4)
	v_add_f32_e32 v17, v17, v59
	;; [unrolled: 3-line block ×3, first 2 shown]
	v_add_f32_e32 v1, v1, v41
	s_delay_alu instid0(VALU_DEP_4)
	v_add_f32_e32 v17, v17, v61
	s_barrier
	v_add_f32_e32 v3, v3, v38
	v_add_f32_e32 v11, v11, v67
	;; [unrolled: 1-line block ×4, first 2 shown]
	buffer_gl0_inv
	v_add_f32_e32 v3, v3, v40
	v_add_f32_e32 v11, v11, v19
	;; [unrolled: 1-line block ×3, first 2 shown]
	s_delay_alu instid0(VALU_DEP_3) | instskip(NEXT) | instid1(VALU_DEP_1)
	v_add_f32_e32 v3, v3, v42
	v_add_f32_e32 v3, v3, v72
	s_cbranch_vccz .LBB1711_2
.LBB1711_3:
	v_add_nc_u32_e32 v10, s19, v10
	s_load_b32 s4, s[0:1], 0x0
	s_delay_alu instid0(VALU_DEP_1) | instskip(SKIP_2) | instid1(VALU_DEP_3)
	v_ashrrev_i32_e32 v5, 31, v10
	v_mul_lo_u32 v6, v10, s7
	v_mad_u64_u32 v[7:8], null, v10, s6, 0
	v_mul_lo_u32 v5, v5, s6
	s_delay_alu instid0(VALU_DEP_1) | instskip(SKIP_3) | instid1(VALU_DEP_3)
	v_add3_u32 v8, v8, v6, v5
	v_add_nc_u32_e32 v6, s18, v9
	s_waitcnt lgkmcnt(0)
	v_cmp_gt_i32_e32 vcc_lo, s4, v10
	v_lshlrev_b64 v[7:8], 3, v[7:8]
	s_delay_alu instid0(VALU_DEP_3) | instskip(NEXT) | instid1(VALU_DEP_1)
	v_cmp_le_i32_e64 s0, v6, v10
	s_and_b32 s0, vcc_lo, s0
	s_delay_alu instid0(VALU_DEP_2) | instskip(NEXT) | instid1(VALU_DEP_1)
	v_add_co_u32 v13, s1, s2, v7
	v_add_co_ci_u32_e64 v14, s1, s3, v8, s1
	s_and_saveexec_b32 s1, s0
	s_cbranch_execz .LBB1711_5
; %bb.4:
	v_ashrrev_i32_e32 v7, 31, v6
	s_delay_alu instid0(VALU_DEP_1) | instskip(NEXT) | instid1(VALU_DEP_1)
	v_lshlrev_b64 v[7:8], 3, v[6:7]
	v_add_co_u32 v7, s0, v13, v7
	s_delay_alu instid0(VALU_DEP_1) | instskip(SKIP_1) | instid1(VALU_DEP_1)
	v_add_co_ci_u32_e64 v8, s0, v14, v8, s0
	v_cmp_ne_u32_e64 s0, v10, v6
	v_cndmask_b32_e64 v5, 0, v17, s0
	global_store_b64 v[7:8], v[4:5], off
.LBB1711_5:
	s_or_b32 exec_lo, exec_lo, s1
	v_add_nc_u32_e32 v8, 16, v6
	s_delay_alu instid0(VALU_DEP_1) | instskip(NEXT) | instid1(VALU_DEP_1)
	v_cmp_le_i32_e64 s0, v8, v10
	s_and_b32 s1, vcc_lo, s0
	s_delay_alu instid0(SALU_CYCLE_1)
	s_and_saveexec_b32 s0, s1
	s_cbranch_execz .LBB1711_7
; %bb.6:
	v_ashrrev_i32_e32 v9, 31, v8
	s_delay_alu instid0(VALU_DEP_1) | instskip(NEXT) | instid1(VALU_DEP_1)
	v_lshlrev_b64 v[4:5], 3, v[8:9]
	v_add_co_u32 v13, vcc_lo, v13, v4
	s_delay_alu instid0(VALU_DEP_2)
	v_add_co_ci_u32_e32 v14, vcc_lo, v14, v5, vcc_lo
	v_cmp_ne_u32_e32 vcc_lo, v10, v8
	v_cndmask_b32_e32 v4, 0, v12, vcc_lo
	global_store_b64 v[13:14], v[3:4], off
.LBB1711_7:
	s_or_b32 exec_lo, exec_lo, s0
	v_add_nc_u32_e32 v4, 16, v10
	s_delay_alu instid0(VALU_DEP_1) | instskip(SKIP_3) | instid1(VALU_DEP_4)
	v_ashrrev_i32_e32 v3, 31, v4
	v_mul_lo_u32 v5, v4, s7
	v_mad_u64_u32 v[12:13], null, v4, s6, 0
	v_cmp_gt_i32_e32 vcc_lo, s4, v4
	v_mul_lo_u32 v3, v3, s6
	v_cmp_le_i32_e64 s0, v6, v4
	s_delay_alu instid0(VALU_DEP_1) | instskip(NEXT) | instid1(VALU_DEP_2)
	s_and_b32 s0, vcc_lo, s0
	v_add3_u32 v13, v13, v5, v3
	s_delay_alu instid0(VALU_DEP_1) | instskip(NEXT) | instid1(VALU_DEP_1)
	v_lshlrev_b64 v[12:13], 3, v[12:13]
	v_add_co_u32 v5, s1, s2, v12
	s_delay_alu instid0(VALU_DEP_1)
	v_add_co_ci_u32_e64 v12, s1, s3, v13, s1
	s_and_saveexec_b32 s1, s0
	s_cbranch_execz .LBB1711_9
; %bb.8:
	v_ashrrev_i32_e32 v7, 31, v6
	s_delay_alu instid0(VALU_DEP_1) | instskip(NEXT) | instid1(VALU_DEP_1)
	v_lshlrev_b64 v[13:14], 3, v[6:7]
	v_add_co_u32 v13, s0, v5, v13
	s_delay_alu instid0(VALU_DEP_1) | instskip(SKIP_1) | instid1(VALU_DEP_1)
	v_add_co_ci_u32_e64 v14, s0, v12, v14, s0
	v_cmp_ne_u32_e64 s0, v4, v6
	v_cndmask_b32_e64 v3, 0, v11, s0
	global_store_b64 v[13:14], v[2:3], off
.LBB1711_9:
	s_or_b32 exec_lo, exec_lo, s1
	v_cmp_le_i32_e64 s0, v8, v4
	s_delay_alu instid0(VALU_DEP_1) | instskip(NEXT) | instid1(SALU_CYCLE_1)
	s_and_b32 s0, vcc_lo, s0
	s_and_saveexec_b32 s1, s0
	s_cbranch_execz .LBB1711_11
; %bb.10:
	v_ashrrev_i32_e32 v9, 31, v8
	s_delay_alu instid0(VALU_DEP_1) | instskip(NEXT) | instid1(VALU_DEP_1)
	v_lshlrev_b64 v[2:3], 3, v[8:9]
	v_add_co_u32 v2, vcc_lo, v5, v2
	s_delay_alu instid0(VALU_DEP_2)
	v_add_co_ci_u32_e32 v3, vcc_lo, v12, v3, vcc_lo
	v_cmp_ne_u32_e32 vcc_lo, v10, v6
	v_cndmask_b32_e32 v1, 0, v1, vcc_lo
	global_store_b64 v[2:3], v[0:1], off
.LBB1711_11:
	s_nop 0
	s_sendmsg sendmsg(MSG_DEALLOC_VGPRS)
	s_endpgm
	.section	.rodata,"a",@progbits
	.p2align	6, 0x0
	.amdhsa_kernel _ZL37rocblas_syrkx_herkx_restricted_kernelIl19rocblas_complex_numIfELi16ELi32ELi8ELi1ELi0ELb1ELc84ELc85EKPKS1_KPS1_EviT_PT9_S7_lS9_S7_lPT10_S7_li
		.amdhsa_group_segment_fixed_size 4096
		.amdhsa_private_segment_fixed_size 0
		.amdhsa_kernarg_size 92
		.amdhsa_user_sgpr_count 13
		.amdhsa_user_sgpr_dispatch_ptr 0
		.amdhsa_user_sgpr_queue_ptr 0
		.amdhsa_user_sgpr_kernarg_segment_ptr 1
		.amdhsa_user_sgpr_dispatch_id 0
		.amdhsa_user_sgpr_private_segment_size 0
		.amdhsa_wavefront_size32 1
		.amdhsa_uses_dynamic_stack 0
		.amdhsa_enable_private_segment 0
		.amdhsa_system_sgpr_workgroup_id_x 1
		.amdhsa_system_sgpr_workgroup_id_y 1
		.amdhsa_system_sgpr_workgroup_id_z 1
		.amdhsa_system_sgpr_workgroup_info 0
		.amdhsa_system_vgpr_workitem_id 1
		.amdhsa_next_free_vgpr 88
		.amdhsa_next_free_sgpr 20
		.amdhsa_reserve_vcc 1
		.amdhsa_float_round_mode_32 0
		.amdhsa_float_round_mode_16_64 0
		.amdhsa_float_denorm_mode_32 3
		.amdhsa_float_denorm_mode_16_64 3
		.amdhsa_dx10_clamp 1
		.amdhsa_ieee_mode 1
		.amdhsa_fp16_overflow 0
		.amdhsa_workgroup_processor_mode 1
		.amdhsa_memory_ordered 1
		.amdhsa_forward_progress 0
		.amdhsa_shared_vgpr_count 0
		.amdhsa_exception_fp_ieee_invalid_op 0
		.amdhsa_exception_fp_denorm_src 0
		.amdhsa_exception_fp_ieee_div_zero 0
		.amdhsa_exception_fp_ieee_overflow 0
		.amdhsa_exception_fp_ieee_underflow 0
		.amdhsa_exception_fp_ieee_inexact 0
		.amdhsa_exception_int_div_zero 0
	.end_amdhsa_kernel
	.section	.text._ZL37rocblas_syrkx_herkx_restricted_kernelIl19rocblas_complex_numIfELi16ELi32ELi8ELi1ELi0ELb1ELc84ELc85EKPKS1_KPS1_EviT_PT9_S7_lS9_S7_lPT10_S7_li,"axG",@progbits,_ZL37rocblas_syrkx_herkx_restricted_kernelIl19rocblas_complex_numIfELi16ELi32ELi8ELi1ELi0ELb1ELc84ELc85EKPKS1_KPS1_EviT_PT9_S7_lS9_S7_lPT10_S7_li,comdat
.Lfunc_end1711:
	.size	_ZL37rocblas_syrkx_herkx_restricted_kernelIl19rocblas_complex_numIfELi16ELi32ELi8ELi1ELi0ELb1ELc84ELc85EKPKS1_KPS1_EviT_PT9_S7_lS9_S7_lPT10_S7_li, .Lfunc_end1711-_ZL37rocblas_syrkx_herkx_restricted_kernelIl19rocblas_complex_numIfELi16ELi32ELi8ELi1ELi0ELb1ELc84ELc85EKPKS1_KPS1_EviT_PT9_S7_lS9_S7_lPT10_S7_li
                                        ; -- End function
	.section	.AMDGPU.csdata,"",@progbits
; Kernel info:
; codeLenInByte = 2228
; NumSgprs: 22
; NumVgprs: 88
; ScratchSize: 0
; MemoryBound: 0
; FloatMode: 240
; IeeeMode: 1
; LDSByteSize: 4096 bytes/workgroup (compile time only)
; SGPRBlocks: 2
; VGPRBlocks: 10
; NumSGPRsForWavesPerEU: 22
; NumVGPRsForWavesPerEU: 88
; Occupancy: 16
; WaveLimiterHint : 1
; COMPUTE_PGM_RSRC2:SCRATCH_EN: 0
; COMPUTE_PGM_RSRC2:USER_SGPR: 13
; COMPUTE_PGM_RSRC2:TRAP_HANDLER: 0
; COMPUTE_PGM_RSRC2:TGID_X_EN: 1
; COMPUTE_PGM_RSRC2:TGID_Y_EN: 1
; COMPUTE_PGM_RSRC2:TGID_Z_EN: 1
; COMPUTE_PGM_RSRC2:TIDIG_COMP_CNT: 1
	.section	.text._ZL37rocblas_syrkx_herkx_restricted_kernelIl19rocblas_complex_numIfELi16ELi32ELi8ELi1ELi0ELb1ELc67ELc85EKPKS1_KPS1_EviT_PT9_S7_lS9_S7_lPT10_S7_li,"axG",@progbits,_ZL37rocblas_syrkx_herkx_restricted_kernelIl19rocblas_complex_numIfELi16ELi32ELi8ELi1ELi0ELb1ELc67ELc85EKPKS1_KPS1_EviT_PT9_S7_lS9_S7_lPT10_S7_li,comdat
	.globl	_ZL37rocblas_syrkx_herkx_restricted_kernelIl19rocblas_complex_numIfELi16ELi32ELi8ELi1ELi0ELb1ELc67ELc85EKPKS1_KPS1_EviT_PT9_S7_lS9_S7_lPT10_S7_li ; -- Begin function _ZL37rocblas_syrkx_herkx_restricted_kernelIl19rocblas_complex_numIfELi16ELi32ELi8ELi1ELi0ELb1ELc67ELc85EKPKS1_KPS1_EviT_PT9_S7_lS9_S7_lPT10_S7_li
	.p2align	8
	.type	_ZL37rocblas_syrkx_herkx_restricted_kernelIl19rocblas_complex_numIfELi16ELi32ELi8ELi1ELi0ELb1ELc67ELc85EKPKS1_KPS1_EviT_PT9_S7_lS9_S7_lPT10_S7_li,@function
_ZL37rocblas_syrkx_herkx_restricted_kernelIl19rocblas_complex_numIfELi16ELi32ELi8ELi1ELi0ELb1ELc67ELc85EKPKS1_KPS1_EviT_PT9_S7_lS9_S7_lPT10_S7_li: ; @_ZL37rocblas_syrkx_herkx_restricted_kernelIl19rocblas_complex_numIfELi16ELi32ELi8ELi1ELi0ELb1ELc67ELc85EKPKS1_KPS1_EviT_PT9_S7_lS9_S7_lPT10_S7_li
; %bb.0:
	s_clause 0x1
	s_load_b128 s[4:7], s[0:1], 0x40
	s_load_b128 s[8:11], s[0:1], 0x8
	s_mov_b32 s2, s15
	s_mov_b32 s3, 0
	v_dual_mov_b32 v4, 0 :: v_dual_and_b32 v9, 0x3ff, v0
	s_lshl_b64 s[16:17], s[2:3], 3
	v_bfe_u32 v10, v0, 10, 10
	v_dual_mov_b32 v17, 0 :: v_dual_mov_b32 v12, 0
	v_dual_mov_b32 v3, 0 :: v_dual_mov_b32 v2, 0
	v_dual_mov_b32 v11, 0 :: v_dual_mov_b32 v0, 0
	v_mov_b32_e32 v1, 0
	s_waitcnt lgkmcnt(0)
	s_add_u32 s2, s4, s16
	s_addc_u32 s3, s5, s17
	v_cmp_lt_i64_e64 s4, s[8:9], 1
	s_load_b64 s[2:3], s[2:3], 0x0
	s_lshl_b32 s18, s13, 5
	s_lshl_b32 s19, s14, 5
	s_delay_alu instid0(VALU_DEP_1)
	s_and_b32 vcc_lo, exec_lo, s4
	s_cbranch_vccnz .LBB1712_3
; %bb.1:
	s_clause 0x1
	s_load_b128 s[12:15], s[0:1], 0x28
	s_load_b64 s[4:5], s[0:1], 0x18
	v_lshl_add_u32 v2, v10, 4, v9
	v_dual_mov_b32 v1, 0 :: v_dual_and_b32 v0, 7, v9
	s_add_u32 s10, s10, s16
	s_addc_u32 s11, s11, s17
	s_delay_alu instid0(VALU_DEP_2)
	v_lshrrev_b32_e32 v8, 3, v2
	v_and_b32_e32 v11, 31, v2
	v_lshrrev_b32_e32 v2, 5, v2
	v_mov_b32_e32 v3, v1
	s_load_b64 s[10:11], s[10:11], 0x0
	v_add_nc_u32_e32 v12, s19, v8
	v_add_nc_u32_e32 v6, s18, v11
	v_lshlrev_b32_e32 v11, 3, v11
	v_mov_b32_e32 v17, v1
	s_delay_alu instid0(VALU_DEP_4) | instskip(NEXT) | instid1(VALU_DEP_4)
	v_ashrrev_i32_e32 v4, 31, v12
	v_ashrrev_i32_e32 v5, 31, v6
	s_waitcnt lgkmcnt(0)
	s_add_u32 s12, s12, s16
	s_addc_u32 s13, s13, s17
	v_mul_lo_u32 v14, v4, s14
	v_mul_lo_u32 v13, s4, v5
	v_mad_u64_u32 v[4:5], null, s4, v6, v[2:3]
	v_mul_lo_u32 v3, s5, v6
	s_load_b64 s[4:5], s[12:13], 0x0
	v_mul_lo_u32 v15, v12, s15
	v_mad_u64_u32 v[6:7], null, v12, s14, v[0:1]
	v_mov_b32_e32 v12, v1
	v_lshlrev_b32_e32 v0, 3, v0
	v_add3_u32 v5, v3, v5, v13
	v_lshlrev_b32_e32 v13, 3, v9
	v_add3_u32 v7, v14, v7, v15
	s_delay_alu instid0(VALU_DEP_4) | instskip(NEXT) | instid1(VALU_DEP_4)
	v_lshl_or_b32 v0, v8, 6, v0
	v_lshlrev_b64 v[3:4], 3, v[4:5]
	v_lshl_or_b32 v15, v2, 8, v11
	v_lshl_add_u32 v14, v10, 6, 0x800
	v_lshlrev_b64 v[5:6], 3, v[6:7]
	v_dual_mov_b32 v11, v1 :: v_dual_add_nc_u32 v16, 0x800, v0
	v_add_co_u32 v0, vcc_lo, v3, s10
	v_add_co_ci_u32_e32 v2, vcc_lo, s11, v4, vcc_lo
	s_waitcnt lgkmcnt(0)
	s_delay_alu instid0(VALU_DEP_4) | instskip(SKIP_3) | instid1(VALU_DEP_4)
	v_add_co_u32 v3, vcc_lo, v5, s4
	v_add_co_ci_u32_e32 v4, vcc_lo, s5, v6, vcc_lo
	v_add_co_u32 v5, vcc_lo, v0, 4
	v_add_co_ci_u32_e32 v6, vcc_lo, 0, v2, vcc_lo
	v_add_co_u32 v7, vcc_lo, v3, 4
	s_delay_alu instid0(VALU_DEP_4)
	v_add_co_ci_u32_e32 v8, vcc_lo, 0, v4, vcc_lo
	v_mov_b32_e32 v0, v1
	v_mov_b32_e32 v2, v1
	;; [unrolled: 1-line block ×4, first 2 shown]
	s_mov_b64 s[4:5], 0
.LBB1712_2:                             ; =>This Inner Loop Header: Depth=1
	global_load_b64 v[18:19], v[5:6], off offset:-4
	global_load_b64 v[20:21], v[7:8], off offset:-4
	s_add_u32 s4, s4, 8
	v_add_co_u32 v5, vcc_lo, v5, 64
	s_addc_u32 s5, s5, 0
	v_add_co_ci_u32_e32 v6, vcc_lo, 0, v6, vcc_lo
	v_cmp_ge_u64_e64 s10, s[4:5], s[8:9]
	v_add_co_u32 v7, vcc_lo, v7, 64
	v_add_co_ci_u32_e32 v8, vcc_lo, 0, v8, vcc_lo
	s_delay_alu instid0(VALU_DEP_3)
	s_and_b32 vcc_lo, exec_lo, s10
	s_waitcnt vmcnt(1)
	v_xor_b32_e32 v19, 0x80000000, v19
	ds_store_b64 v15, v[18:19]
	s_waitcnt vmcnt(0)
	ds_store_b64 v16, v[20:21]
	s_waitcnt lgkmcnt(0)
	s_barrier
	buffer_gl0_inv
	ds_load_2addr_b64 v[18:21], v13 offset1:16
	ds_load_b128 v[22:25], v14
	ds_load_b128 v[26:29], v14 offset:1024
	ds_load_2addr_b64 v[30:33], v13 offset0:32 offset1:48
	ds_load_b128 v[34:37], v14 offset:16
	ds_load_b128 v[38:41], v14 offset:32
	ds_load_b128 v[42:45], v14 offset:48
	ds_load_2addr_b64 v[46:49], v13 offset0:64 offset1:80
	ds_load_b128 v[50:53], v14 offset:1040
	ds_load_2addr_b64 v[54:57], v13 offset0:96 offset1:112
	ds_load_2addr_b64 v[58:61], v13 offset0:128 offset1:144
	;; [unrolled: 1-line block ×4, first 2 shown]
	ds_load_b128 v[70:73], v14 offset:1056
	ds_load_b128 v[74:77], v14 offset:1072
	s_waitcnt lgkmcnt(13)
	v_dual_mul_f32 v78, v23, v19 :: v_dual_mul_f32 v81, v22, v21
	s_waitcnt lgkmcnt(11)
	v_dual_mul_f32 v83, v26, v19 :: v_dual_mul_f32 v86, v25, v33
	v_mul_f32_e32 v84, v26, v21
	v_dual_mul_f32 v79, v22, v19 :: v_dual_mul_f32 v80, v23, v21
	v_mul_f32_e32 v82, v27, v19
	v_mul_f32_e32 v19, v27, v21
	;; [unrolled: 1-line block ×3, first 2 shown]
	v_dual_mul_f32 v85, v24, v31 :: v_dual_fmac_f32 v84, v27, v20
	v_fmac_f32_e32 v83, v27, v18
	v_mul_f32_e32 v27, v24, v33
	v_fma_f32 v78, v22, v18, -v78
	v_fmac_f32_e32 v79, v23, v18
	v_fmac_f32_e32 v81, v23, v20
	v_fma_f32 v23, v26, v18, -v82
	v_mul_f32_e32 v18, v29, v31
	v_fma_f32 v26, v26, v20, -v19
	v_mul_f32_e32 v31, v28, v31
	v_mul_f32_e32 v19, v29, v33
	v_fmac_f32_e32 v85, v25, v30
	v_fmac_f32_e32 v27, v25, v32
	v_mul_f32_e32 v25, v28, v33
	v_fma_f32 v22, v22, v20, -v80
	v_fma_f32 v80, v24, v30, -v21
	;; [unrolled: 1-line block ×3, first 2 shown]
	s_waitcnt lgkmcnt(7)
	v_mul_f32_e32 v20, v35, v47
	v_mul_f32_e32 v33, v34, v47
	;; [unrolled: 1-line block ×3, first 2 shown]
	v_fma_f32 v82, v28, v30, -v18
	v_fmac_f32_e32 v31, v29, v30
	v_fma_f32 v28, v28, v32, -v19
	v_fmac_f32_e32 v25, v29, v32
	s_waitcnt lgkmcnt(6)
	v_dual_mul_f32 v29, v34, v49 :: v_dual_mul_f32 v18, v51, v47
	v_dual_mul_f32 v30, v50, v47 :: v_dual_mul_f32 v19, v51, v49
	s_waitcnt lgkmcnt(5)
	v_dual_mul_f32 v32, v50, v49 :: v_dual_mul_f32 v49, v36, v55
	v_fma_f32 v87, v34, v46, -v20
	v_fmac_f32_e32 v33, v35, v46
	v_fmac_f32_e32 v29, v35, v48
	v_fma_f32 v35, v50, v46, -v18
	v_fmac_f32_e32 v30, v51, v46
	v_fma_f32 v46, v50, v48, -v19
	v_fmac_f32_e32 v32, v51, v48
	v_mul_f32_e32 v18, v53, v55
	v_fma_f32 v34, v34, v48, -v21
	v_dual_mul_f32 v48, v36, v57 :: v_dual_mul_f32 v47, v37, v55
	v_mul_f32_e32 v86, v37, v57
	v_dual_mul_f32 v50, v52, v55 :: v_dual_mul_f32 v19, v53, v57
	v_fmac_f32_e32 v49, v37, v54
	s_delay_alu instid0(VALU_DEP_4)
	v_dual_fmac_f32 v48, v37, v56 :: v_dual_mul_f32 v37, v52, v57
	v_fma_f32 v47, v36, v54, -v47
	v_fma_f32 v36, v36, v56, -v86
	s_waitcnt lgkmcnt(4)
	v_mul_f32_e32 v20, v39, v59
	v_mul_f32_e32 v51, v38, v59
	;; [unrolled: 1-line block ×3, first 2 shown]
	v_fma_f32 v55, v52, v54, -v18
	v_fmac_f32_e32 v50, v53, v54
	v_fmac_f32_e32 v37, v53, v56
	s_waitcnt lgkmcnt(1)
	v_dual_mul_f32 v53, v38, v61 :: v_dual_mul_f32 v18, v71, v59
	v_fma_f32 v52, v52, v56, -v19
	v_dual_mul_f32 v54, v70, v59 :: v_dual_mul_f32 v19, v71, v61
	v_dual_mul_f32 v56, v70, v61 :: v_dual_mul_f32 v57, v41, v63
	v_mul_f32_e32 v59, v40, v63
	v_dual_mul_f32 v61, v41, v65 :: v_dual_add_f32 v4, v4, v78
	v_fma_f32 v86, v38, v58, -v20
	v_fmac_f32_e32 v51, v39, v58
	v_fma_f32 v38, v38, v60, -v21
	v_dual_fmac_f32 v53, v39, v60 :: v_dual_add_f32 v12, v12, v81
	v_fma_f32 v39, v70, v58, -v18
	v_fmac_f32_e32 v54, v71, v58
	v_fma_f32 v58, v70, v60, -v19
	v_fmac_f32_e32 v56, v71, v60
	v_mul_f32_e32 v60, v40, v65
	v_dual_mul_f32 v19, v73, v65 :: v_dual_add_f32 v2, v2, v23
	v_mul_f32_e32 v18, v73, v63
	v_mul_f32_e32 v63, v72, v63
	v_fma_f32 v57, v40, v62, -v57
	v_dual_fmac_f32 v59, v41, v62 :: v_dual_add_f32 v4, v4, v80
	v_fma_f32 v40, v40, v64, -v61
	v_dual_fmac_f32 v60, v41, v64 :: v_dual_mul_f32 v61, v42, v67
	v_add_f32_e32 v0, v0, v26
	v_dual_add_f32 v2, v2, v82 :: v_dual_mul_f32 v41, v72, v65
	v_mul_f32_e32 v20, v43, v67
	v_dual_mul_f32 v21, v43, v69 :: v_dual_add_f32 v12, v12, v27
	v_fma_f32 v65, v72, v62, -v18
	v_dual_fmac_f32 v63, v73, v62 :: v_dual_add_f32 v0, v0, v28
	v_fma_f32 v62, v72, v64, -v19
	s_waitcnt lgkmcnt(0)
	v_mul_f32_e32 v18, v75, v67
	v_dual_mul_f32 v67, v74, v67 :: v_dual_add_f32 v12, v12, v29
	v_dual_mul_f32 v19, v75, v69 :: v_dual_add_f32 v0, v0, v46
	v_dual_add_f32 v2, v2, v35 :: v_dual_fmac_f32 v41, v73, v64
	v_add_f32_e32 v4, v4, v87
	v_mul_f32_e32 v64, v42, v69
	v_fma_f32 v70, v42, v66, -v20
	v_dual_fmac_f32 v61, v43, v66 :: v_dual_add_f32 v12, v12, v48
	v_fma_f32 v42, v42, v68, -v21
	s_delay_alu instid0(VALU_DEP_4)
	v_fmac_f32_e32 v64, v43, v68
	v_fma_f32 v43, v74, v66, -v18
	v_dual_fmac_f32 v67, v75, v66 :: v_dual_add_f32 v2, v2, v55
	v_fma_f32 v66, v74, v68, -v19
	ds_load_2addr_b64 v[18:21], v13 offset0:224 offset1:240
	v_dual_mul_f32 v69, v74, v69 :: v_dual_add_f32 v4, v4, v47
	v_add_f32_e32 v2, v2, v39
	v_add_f32_e32 v0, v0, v52
	s_delay_alu instid0(VALU_DEP_3) | instskip(NEXT) | instid1(VALU_DEP_4)
	v_dual_add_f32 v12, v12, v53 :: v_dual_fmac_f32 v69, v75, v68
	v_add_f32_e32 v4, v4, v86
	s_delay_alu instid0(VALU_DEP_4) | instskip(NEXT) | instid1(VALU_DEP_4)
	v_add_f32_e32 v2, v2, v65
	v_dual_add_f32 v0, v0, v58 :: v_dual_add_f32 v17, v17, v79
	s_delay_alu instid0(VALU_DEP_4) | instskip(NEXT) | instid1(VALU_DEP_3)
	v_dual_add_f32 v12, v12, v60 :: v_dual_add_f32 v3, v3, v22
	v_add_f32_e32 v2, v2, v43
	s_delay_alu instid0(VALU_DEP_3) | instskip(SKIP_1) | instid1(VALU_DEP_4)
	v_dual_add_f32 v11, v11, v83 :: v_dual_add_f32 v0, v0, v62
	v_dual_add_f32 v4, v4, v57 :: v_dual_add_f32 v1, v1, v84
	;; [unrolled: 1-line block ×3, first 2 shown]
	s_delay_alu instid0(VALU_DEP_3) | instskip(SKIP_4) | instid1(VALU_DEP_3)
	v_add_f32_e32 v0, v0, v66
	s_waitcnt lgkmcnt(0)
	v_mul_f32_e32 v68, v45, v19
	v_dual_mul_f32 v72, v45, v21 :: v_dual_mul_f32 v71, v44, v19
	v_dual_mul_f32 v73, v77, v21 :: v_dual_add_f32 v4, v4, v70
	v_fma_f32 v68, v44, v18, -v68
	s_delay_alu instid0(VALU_DEP_3) | instskip(NEXT) | instid1(VALU_DEP_4)
	v_fma_f32 v72, v44, v20, -v72
	v_dual_mul_f32 v44, v44, v21 :: v_dual_fmac_f32 v71, v45, v18
	v_mul_f32_e32 v21, v76, v21
	s_delay_alu instid0(VALU_DEP_4) | instskip(NEXT) | instid1(VALU_DEP_3)
	v_dual_add_f32 v11, v11, v31 :: v_dual_add_f32 v4, v4, v68
	v_fmac_f32_e32 v44, v45, v20
	v_mul_f32_e32 v45, v77, v19
	s_delay_alu instid0(VALU_DEP_4) | instskip(SKIP_1) | instid1(VALU_DEP_4)
	v_fmac_f32_e32 v21, v77, v20
	v_add_f32_e32 v1, v1, v25
	v_dual_add_f32 v17, v17, v33 :: v_dual_add_f32 v12, v12, v44
	s_delay_alu instid0(VALU_DEP_4) | instskip(SKIP_4) | instid1(VALU_DEP_4)
	v_fma_f32 v45, v76, v18, -v45
	v_mul_f32_e32 v19, v76, v19
	v_add_f32_e32 v11, v11, v30
	v_add_f32_e32 v1, v1, v32
	;; [unrolled: 1-line block ×3, first 2 shown]
	v_dual_add_f32 v2, v2, v45 :: v_dual_fmac_f32 v19, v77, v18
	v_fma_f32 v18, v76, v20, -v73
	v_add_f32_e32 v3, v3, v24
	v_add_f32_e32 v11, v11, v50
	;; [unrolled: 1-line block ×3, first 2 shown]
	s_delay_alu instid0(VALU_DEP_4) | instskip(NEXT) | instid1(VALU_DEP_4)
	v_dual_add_f32 v17, v17, v51 :: v_dual_add_f32 v0, v0, v18
	v_add_f32_e32 v3, v3, v34
	s_delay_alu instid0(VALU_DEP_4) | instskip(NEXT) | instid1(VALU_DEP_4)
	v_add_f32_e32 v11, v11, v54
	v_add_f32_e32 v1, v1, v56
	s_delay_alu instid0(VALU_DEP_4) | instskip(NEXT) | instid1(VALU_DEP_4)
	v_add_f32_e32 v17, v17, v59
	;; [unrolled: 3-line block ×3, first 2 shown]
	v_add_f32_e32 v1, v1, v41
	s_delay_alu instid0(VALU_DEP_4)
	v_add_f32_e32 v17, v17, v61
	s_barrier
	v_add_f32_e32 v3, v3, v38
	v_add_f32_e32 v11, v11, v67
	;; [unrolled: 1-line block ×4, first 2 shown]
	buffer_gl0_inv
	v_add_f32_e32 v3, v3, v40
	v_add_f32_e32 v11, v11, v19
	;; [unrolled: 1-line block ×3, first 2 shown]
	s_delay_alu instid0(VALU_DEP_3) | instskip(NEXT) | instid1(VALU_DEP_1)
	v_add_f32_e32 v3, v3, v42
	v_add_f32_e32 v3, v3, v72
	s_cbranch_vccz .LBB1712_2
.LBB1712_3:
	v_add_nc_u32_e32 v10, s19, v10
	s_load_b32 s4, s[0:1], 0x0
	s_delay_alu instid0(VALU_DEP_1) | instskip(SKIP_2) | instid1(VALU_DEP_3)
	v_ashrrev_i32_e32 v5, 31, v10
	v_mul_lo_u32 v6, v10, s7
	v_mad_u64_u32 v[7:8], null, v10, s6, 0
	v_mul_lo_u32 v5, v5, s6
	s_delay_alu instid0(VALU_DEP_1) | instskip(SKIP_3) | instid1(VALU_DEP_3)
	v_add3_u32 v8, v8, v6, v5
	v_add_nc_u32_e32 v6, s18, v9
	s_waitcnt lgkmcnt(0)
	v_cmp_gt_i32_e32 vcc_lo, s4, v10
	v_lshlrev_b64 v[7:8], 3, v[7:8]
	s_delay_alu instid0(VALU_DEP_3) | instskip(NEXT) | instid1(VALU_DEP_1)
	v_cmp_le_i32_e64 s0, v6, v10
	s_and_b32 s0, vcc_lo, s0
	s_delay_alu instid0(VALU_DEP_2) | instskip(NEXT) | instid1(VALU_DEP_1)
	v_add_co_u32 v13, s1, s2, v7
	v_add_co_ci_u32_e64 v14, s1, s3, v8, s1
	s_and_saveexec_b32 s1, s0
	s_cbranch_execz .LBB1712_5
; %bb.4:
	v_ashrrev_i32_e32 v7, 31, v6
	s_delay_alu instid0(VALU_DEP_1) | instskip(NEXT) | instid1(VALU_DEP_1)
	v_lshlrev_b64 v[7:8], 3, v[6:7]
	v_add_co_u32 v7, s0, v13, v7
	s_delay_alu instid0(VALU_DEP_1) | instskip(SKIP_1) | instid1(VALU_DEP_1)
	v_add_co_ci_u32_e64 v8, s0, v14, v8, s0
	v_cmp_ne_u32_e64 s0, v10, v6
	v_cndmask_b32_e64 v5, 0, v17, s0
	global_store_b64 v[7:8], v[4:5], off
.LBB1712_5:
	s_or_b32 exec_lo, exec_lo, s1
	v_add_nc_u32_e32 v8, 16, v6
	s_delay_alu instid0(VALU_DEP_1) | instskip(NEXT) | instid1(VALU_DEP_1)
	v_cmp_le_i32_e64 s0, v8, v10
	s_and_b32 s1, vcc_lo, s0
	s_delay_alu instid0(SALU_CYCLE_1)
	s_and_saveexec_b32 s0, s1
	s_cbranch_execz .LBB1712_7
; %bb.6:
	v_ashrrev_i32_e32 v9, 31, v8
	s_delay_alu instid0(VALU_DEP_1) | instskip(NEXT) | instid1(VALU_DEP_1)
	v_lshlrev_b64 v[4:5], 3, v[8:9]
	v_add_co_u32 v13, vcc_lo, v13, v4
	s_delay_alu instid0(VALU_DEP_2)
	v_add_co_ci_u32_e32 v14, vcc_lo, v14, v5, vcc_lo
	v_cmp_ne_u32_e32 vcc_lo, v10, v8
	v_cndmask_b32_e32 v4, 0, v12, vcc_lo
	global_store_b64 v[13:14], v[3:4], off
.LBB1712_7:
	s_or_b32 exec_lo, exec_lo, s0
	v_add_nc_u32_e32 v4, 16, v10
	s_delay_alu instid0(VALU_DEP_1) | instskip(SKIP_3) | instid1(VALU_DEP_4)
	v_ashrrev_i32_e32 v3, 31, v4
	v_mul_lo_u32 v5, v4, s7
	v_mad_u64_u32 v[12:13], null, v4, s6, 0
	v_cmp_gt_i32_e32 vcc_lo, s4, v4
	v_mul_lo_u32 v3, v3, s6
	v_cmp_le_i32_e64 s0, v6, v4
	s_delay_alu instid0(VALU_DEP_1) | instskip(NEXT) | instid1(VALU_DEP_2)
	s_and_b32 s0, vcc_lo, s0
	v_add3_u32 v13, v13, v5, v3
	s_delay_alu instid0(VALU_DEP_1) | instskip(NEXT) | instid1(VALU_DEP_1)
	v_lshlrev_b64 v[12:13], 3, v[12:13]
	v_add_co_u32 v5, s1, s2, v12
	s_delay_alu instid0(VALU_DEP_1)
	v_add_co_ci_u32_e64 v12, s1, s3, v13, s1
	s_and_saveexec_b32 s1, s0
	s_cbranch_execz .LBB1712_9
; %bb.8:
	v_ashrrev_i32_e32 v7, 31, v6
	s_delay_alu instid0(VALU_DEP_1) | instskip(NEXT) | instid1(VALU_DEP_1)
	v_lshlrev_b64 v[13:14], 3, v[6:7]
	v_add_co_u32 v13, s0, v5, v13
	s_delay_alu instid0(VALU_DEP_1) | instskip(SKIP_1) | instid1(VALU_DEP_1)
	v_add_co_ci_u32_e64 v14, s0, v12, v14, s0
	v_cmp_ne_u32_e64 s0, v4, v6
	v_cndmask_b32_e64 v3, 0, v11, s0
	global_store_b64 v[13:14], v[2:3], off
.LBB1712_9:
	s_or_b32 exec_lo, exec_lo, s1
	v_cmp_le_i32_e64 s0, v8, v4
	s_delay_alu instid0(VALU_DEP_1) | instskip(NEXT) | instid1(SALU_CYCLE_1)
	s_and_b32 s0, vcc_lo, s0
	s_and_saveexec_b32 s1, s0
	s_cbranch_execz .LBB1712_11
; %bb.10:
	v_ashrrev_i32_e32 v9, 31, v8
	s_delay_alu instid0(VALU_DEP_1) | instskip(NEXT) | instid1(VALU_DEP_1)
	v_lshlrev_b64 v[2:3], 3, v[8:9]
	v_add_co_u32 v2, vcc_lo, v5, v2
	s_delay_alu instid0(VALU_DEP_2)
	v_add_co_ci_u32_e32 v3, vcc_lo, v12, v3, vcc_lo
	v_cmp_ne_u32_e32 vcc_lo, v10, v6
	v_cndmask_b32_e32 v1, 0, v1, vcc_lo
	global_store_b64 v[2:3], v[0:1], off
.LBB1712_11:
	s_nop 0
	s_sendmsg sendmsg(MSG_DEALLOC_VGPRS)
	s_endpgm
	.section	.rodata,"a",@progbits
	.p2align	6, 0x0
	.amdhsa_kernel _ZL37rocblas_syrkx_herkx_restricted_kernelIl19rocblas_complex_numIfELi16ELi32ELi8ELi1ELi0ELb1ELc67ELc85EKPKS1_KPS1_EviT_PT9_S7_lS9_S7_lPT10_S7_li
		.amdhsa_group_segment_fixed_size 4096
		.amdhsa_private_segment_fixed_size 0
		.amdhsa_kernarg_size 92
		.amdhsa_user_sgpr_count 13
		.amdhsa_user_sgpr_dispatch_ptr 0
		.amdhsa_user_sgpr_queue_ptr 0
		.amdhsa_user_sgpr_kernarg_segment_ptr 1
		.amdhsa_user_sgpr_dispatch_id 0
		.amdhsa_user_sgpr_private_segment_size 0
		.amdhsa_wavefront_size32 1
		.amdhsa_uses_dynamic_stack 0
		.amdhsa_enable_private_segment 0
		.amdhsa_system_sgpr_workgroup_id_x 1
		.amdhsa_system_sgpr_workgroup_id_y 1
		.amdhsa_system_sgpr_workgroup_id_z 1
		.amdhsa_system_sgpr_workgroup_info 0
		.amdhsa_system_vgpr_workitem_id 1
		.amdhsa_next_free_vgpr 88
		.amdhsa_next_free_sgpr 20
		.amdhsa_reserve_vcc 1
		.amdhsa_float_round_mode_32 0
		.amdhsa_float_round_mode_16_64 0
		.amdhsa_float_denorm_mode_32 3
		.amdhsa_float_denorm_mode_16_64 3
		.amdhsa_dx10_clamp 1
		.amdhsa_ieee_mode 1
		.amdhsa_fp16_overflow 0
		.amdhsa_workgroup_processor_mode 1
		.amdhsa_memory_ordered 1
		.amdhsa_forward_progress 0
		.amdhsa_shared_vgpr_count 0
		.amdhsa_exception_fp_ieee_invalid_op 0
		.amdhsa_exception_fp_denorm_src 0
		.amdhsa_exception_fp_ieee_div_zero 0
		.amdhsa_exception_fp_ieee_overflow 0
		.amdhsa_exception_fp_ieee_underflow 0
		.amdhsa_exception_fp_ieee_inexact 0
		.amdhsa_exception_int_div_zero 0
	.end_amdhsa_kernel
	.section	.text._ZL37rocblas_syrkx_herkx_restricted_kernelIl19rocblas_complex_numIfELi16ELi32ELi8ELi1ELi0ELb1ELc67ELc85EKPKS1_KPS1_EviT_PT9_S7_lS9_S7_lPT10_S7_li,"axG",@progbits,_ZL37rocblas_syrkx_herkx_restricted_kernelIl19rocblas_complex_numIfELi16ELi32ELi8ELi1ELi0ELb1ELc67ELc85EKPKS1_KPS1_EviT_PT9_S7_lS9_S7_lPT10_S7_li,comdat
.Lfunc_end1712:
	.size	_ZL37rocblas_syrkx_herkx_restricted_kernelIl19rocblas_complex_numIfELi16ELi32ELi8ELi1ELi0ELb1ELc67ELc85EKPKS1_KPS1_EviT_PT9_S7_lS9_S7_lPT10_S7_li, .Lfunc_end1712-_ZL37rocblas_syrkx_herkx_restricted_kernelIl19rocblas_complex_numIfELi16ELi32ELi8ELi1ELi0ELb1ELc67ELc85EKPKS1_KPS1_EviT_PT9_S7_lS9_S7_lPT10_S7_li
                                        ; -- End function
	.section	.AMDGPU.csdata,"",@progbits
; Kernel info:
; codeLenInByte = 2240
; NumSgprs: 22
; NumVgprs: 88
; ScratchSize: 0
; MemoryBound: 0
; FloatMode: 240
; IeeeMode: 1
; LDSByteSize: 4096 bytes/workgroup (compile time only)
; SGPRBlocks: 2
; VGPRBlocks: 10
; NumSGPRsForWavesPerEU: 22
; NumVGPRsForWavesPerEU: 88
; Occupancy: 16
; WaveLimiterHint : 1
; COMPUTE_PGM_RSRC2:SCRATCH_EN: 0
; COMPUTE_PGM_RSRC2:USER_SGPR: 13
; COMPUTE_PGM_RSRC2:TRAP_HANDLER: 0
; COMPUTE_PGM_RSRC2:TGID_X_EN: 1
; COMPUTE_PGM_RSRC2:TGID_Y_EN: 1
; COMPUTE_PGM_RSRC2:TGID_Z_EN: 1
; COMPUTE_PGM_RSRC2:TIDIG_COMP_CNT: 1
	.section	.text._ZL37rocblas_syrkx_herkx_restricted_kernelIl19rocblas_complex_numIfELi16ELi32ELi8ELi1ELi0ELb1ELc78ELc85EKPKS1_KPS1_EviT_PT9_S7_lS9_S7_lPT10_S7_li,"axG",@progbits,_ZL37rocblas_syrkx_herkx_restricted_kernelIl19rocblas_complex_numIfELi16ELi32ELi8ELi1ELi0ELb1ELc78ELc85EKPKS1_KPS1_EviT_PT9_S7_lS9_S7_lPT10_S7_li,comdat
	.globl	_ZL37rocblas_syrkx_herkx_restricted_kernelIl19rocblas_complex_numIfELi16ELi32ELi8ELi1ELi0ELb1ELc78ELc85EKPKS1_KPS1_EviT_PT9_S7_lS9_S7_lPT10_S7_li ; -- Begin function _ZL37rocblas_syrkx_herkx_restricted_kernelIl19rocblas_complex_numIfELi16ELi32ELi8ELi1ELi0ELb1ELc78ELc85EKPKS1_KPS1_EviT_PT9_S7_lS9_S7_lPT10_S7_li
	.p2align	8
	.type	_ZL37rocblas_syrkx_herkx_restricted_kernelIl19rocblas_complex_numIfELi16ELi32ELi8ELi1ELi0ELb1ELc78ELc85EKPKS1_KPS1_EviT_PT9_S7_lS9_S7_lPT10_S7_li,@function
_ZL37rocblas_syrkx_herkx_restricted_kernelIl19rocblas_complex_numIfELi16ELi32ELi8ELi1ELi0ELb1ELc78ELc85EKPKS1_KPS1_EviT_PT9_S7_lS9_S7_lPT10_S7_li: ; @_ZL37rocblas_syrkx_herkx_restricted_kernelIl19rocblas_complex_numIfELi16ELi32ELi8ELi1ELi0ELb1ELc78ELc85EKPKS1_KPS1_EviT_PT9_S7_lS9_S7_lPT10_S7_li
; %bb.0:
	s_clause 0x1
	s_load_b128 s[4:7], s[0:1], 0x40
	s_load_b128 s[8:11], s[0:1], 0x8
	s_mov_b32 s2, s15
	s_mov_b32 s3, 0
	v_dual_mov_b32 v3, 0 :: v_dual_and_b32 v8, 0x3ff, v0
	s_lshl_b64 s[16:17], s[2:3], 3
	v_bfe_u32 v9, v0, 10, 10
	v_dual_mov_b32 v15, 0 :: v_dual_mov_b32 v2, 0
	v_dual_mov_b32 v14, 0 :: v_dual_mov_b32 v1, 0
	;; [unrolled: 1-line block ×3, first 2 shown]
	v_mov_b32_e32 v10, 0
	s_waitcnt lgkmcnt(0)
	s_add_u32 s2, s4, s16
	s_addc_u32 s3, s5, s17
	v_cmp_lt_i64_e64 s4, s[8:9], 1
	s_load_b64 s[2:3], s[2:3], 0x0
	s_lshl_b32 s18, s13, 5
	s_lshl_b32 s19, s14, 5
	s_delay_alu instid0(VALU_DEP_1)
	s_and_b32 vcc_lo, exec_lo, s4
	s_cbranch_vccnz .LBB1713_3
; %bb.1:
	v_lshl_add_u32 v1, v9, 4, v8
	s_clause 0x1
	s_load_b64 s[4:5], s[0:1], 0x18
	s_load_b128 s[12:15], s[0:1], 0x28
	v_and_b32_e32 v11, 7, v8
	s_add_u32 s10, s10, s16
	s_addc_u32 s11, s11, s17
	v_lshrrev_b32_e32 v17, 3, v1
	v_lshrrev_b32_e32 v18, 5, v1
	s_load_b64 s[10:11], s[10:11], 0x0
	v_lshl_add_u32 v13, v9, 6, 0x800
	s_delay_alu instid0(VALU_DEP_3) | instskip(NEXT) | instid1(VALU_DEP_1)
	v_add_nc_u32_e32 v2, s19, v17
	v_ashrrev_i32_e32 v3, 31, v2
	s_waitcnt lgkmcnt(0)
	s_delay_alu instid0(VALU_DEP_1) | instskip(SKIP_4) | instid1(VALU_DEP_1)
	v_mad_u64_u32 v[6:7], null, v11, s14, v[2:3]
	v_and_b32_e32 v16, 31, v1
	s_add_u32 s12, s12, s16
	s_addc_u32 s13, s13, s17
	s_load_b64 s[12:13], s[12:13], 0x0
	v_add_nc_u32_e32 v0, s18, v16
	s_delay_alu instid0(VALU_DEP_1) | instskip(NEXT) | instid1(VALU_DEP_1)
	v_ashrrev_i32_e32 v1, 31, v0
	v_mad_u64_u32 v[4:5], null, v18, s4, v[0:1]
	s_delay_alu instid0(VALU_DEP_1) | instskip(SKIP_1) | instid1(VALU_DEP_2)
	v_dual_mov_b32 v1, v7 :: v_dual_mov_b32 v0, v5
	v_mov_b32_e32 v10, 0
	v_mad_u64_u32 v[2:3], null, v18, s5, v[0:1]
	v_mov_b32_e32 v0, 0
	s_lshl_b64 s[4:5], s[4:5], 6
	s_delay_alu instid0(VALU_DEP_2) | instskip(SKIP_4) | instid1(VALU_DEP_4)
	v_mad_u64_u32 v[14:15], null, v11, s15, v[1:2]
	v_lshlrev_b32_e32 v15, 3, v16
	v_dual_mov_b32 v5, v2 :: v_dual_lshlrev_b32 v12, 3, v8
	v_lshlrev_b32_e32 v1, 3, v11
	v_mov_b32_e32 v11, 0
	v_lshl_or_b32 v16, v18, 8, v15
	v_mov_b32_e32 v7, v14
	v_lshlrev_b64 v[2:3], 3, v[4:5]
	v_lshl_or_b32 v17, v17, 6, v1
	v_dual_mov_b32 v1, 0 :: v_dual_mov_b32 v14, 0
	s_delay_alu instid0(VALU_DEP_4) | instskip(SKIP_4) | instid1(VALU_DEP_4)
	v_lshlrev_b64 v[4:5], 3, v[6:7]
	v_mov_b32_e32 v15, 0
	v_add_co_u32 v2, vcc_lo, v2, s10
	v_add_co_ci_u32_e32 v3, vcc_lo, s11, v3, vcc_lo
	s_waitcnt lgkmcnt(0)
	v_add_co_u32 v6, vcc_lo, v4, s12
	v_add_co_ci_u32_e32 v7, vcc_lo, s13, v5, vcc_lo
	v_add_co_u32 v4, vcc_lo, v2, 4
	v_add_co_ci_u32_e32 v5, vcc_lo, 0, v3, vcc_lo
	s_delay_alu instid0(VALU_DEP_4)
	v_add_co_u32 v6, vcc_lo, v6, 4
	v_dual_mov_b32 v2, 0 :: v_dual_add_nc_u32 v17, 0x800, v17
	v_add_co_ci_u32_e32 v7, vcc_lo, 0, v7, vcc_lo
	v_mov_b32_e32 v3, 0
	s_lshl_b64 s[10:11], s[14:15], 6
	s_mov_b64 s[12:13], 0
.LBB1713_2:                             ; =>This Inner Loop Header: Depth=1
	global_load_b64 v[18:19], v[6:7], off offset:-4
	global_load_b64 v[20:21], v[4:5], off offset:-4
	s_add_u32 s12, s12, 8
	v_add_co_u32 v4, vcc_lo, v4, s4
	s_addc_u32 s13, s13, 0
	v_add_co_ci_u32_e32 v5, vcc_lo, s5, v5, vcc_lo
	v_cmp_ge_u64_e64 s14, s[12:13], s[8:9]
	v_add_co_u32 v6, vcc_lo, v6, s10
	v_add_co_ci_u32_e32 v7, vcc_lo, s11, v7, vcc_lo
	s_delay_alu instid0(VALU_DEP_3)
	s_and_b32 vcc_lo, exec_lo, s14
	s_waitcnt vmcnt(1)
	v_xor_b32_e32 v19, 0x80000000, v19
	s_waitcnt vmcnt(0)
	ds_store_b64 v16, v[20:21]
	ds_store_b64 v17, v[18:19]
	s_waitcnt lgkmcnt(0)
	s_barrier
	buffer_gl0_inv
	ds_load_2addr_b64 v[18:21], v12 offset1:16
	ds_load_b128 v[22:25], v13
	ds_load_b128 v[26:29], v13 offset:1024
	ds_load_b128 v[30:33], v13 offset:16
	;; [unrolled: 1-line block ×4, first 2 shown]
	ds_load_2addr_b64 v[42:45], v12 offset0:32 offset1:48
	ds_load_2addr_b64 v[46:49], v12 offset0:64 offset1:80
	ds_load_b128 v[50:53], v13 offset:1040
	ds_load_2addr_b64 v[54:57], v12 offset0:96 offset1:112
	ds_load_2addr_b64 v[58:61], v12 offset0:128 offset1:144
	;; [unrolled: 1-line block ×4, first 2 shown]
	ds_load_b128 v[70:73], v13 offset:1056
	ds_load_b128 v[74:77], v13 offset:1072
	ds_load_2addr_b64 v[78:81], v12 offset0:224 offset1:240
	s_waitcnt lgkmcnt(0)
	s_barrier
	buffer_gl0_inv
	v_dual_mul_f32 v82, v23, v19 :: v_dual_mul_f32 v85, v22, v21
	v_dual_mul_f32 v83, v22, v19 :: v_dual_mul_f32 v84, v23, v21
	v_mul_f32_e32 v86, v27, v19
	v_mul_f32_e32 v19, v26, v19
	;; [unrolled: 1-line block ×4, first 2 shown]
	v_fma_f32 v82, v22, v18, -v82
	v_fmac_f32_e32 v83, v23, v18
	v_fma_f32 v22, v22, v20, -v84
	v_fmac_f32_e32 v85, v23, v20
	v_fma_f32 v23, v26, v18, -v86
	v_dual_fmac_f32 v21, v27, v20 :: v_dual_mul_f32 v84, v24, v45
	v_fmac_f32_e32 v19, v27, v18
	v_fma_f32 v18, v26, v20, -v87
	v_mul_f32_e32 v20, v25, v43
	v_mul_f32_e32 v26, v24, v43
	v_fmac_f32_e32 v84, v25, v44
	v_dual_mul_f32 v27, v25, v45 :: v_dual_mul_f32 v86, v51, v47
	s_delay_alu instid0(VALU_DEP_4) | instskip(NEXT) | instid1(VALU_DEP_4)
	v_fma_f32 v20, v24, v42, -v20
	v_fmac_f32_e32 v26, v25, v42
	v_mul_f32_e32 v25, v29, v43
	s_delay_alu instid0(VALU_DEP_4)
	v_fma_f32 v24, v24, v44, -v27
	v_mul_f32_e32 v27, v28, v43
	v_mul_f32_e32 v43, v29, v45
	;; [unrolled: 1-line block ×3, first 2 shown]
	v_fma_f32 v25, v28, v42, -v25
	v_mul_f32_e32 v87, v51, v49
	v_fmac_f32_e32 v27, v29, v42
	v_fma_f32 v28, v28, v44, -v43
	v_fmac_f32_e32 v45, v29, v44
	v_mul_f32_e32 v29, v31, v47
	v_dual_mul_f32 v42, v30, v47 :: v_dual_mul_f32 v43, v31, v49
	v_mul_f32_e32 v44, v30, v49
	v_mul_f32_e32 v47, v50, v47
	;; [unrolled: 1-line block ×3, first 2 shown]
	v_fma_f32 v29, v30, v46, -v29
	v_fmac_f32_e32 v42, v31, v46
	v_fma_f32 v30, v30, v48, -v43
	v_fmac_f32_e32 v44, v31, v48
	v_fma_f32 v31, v50, v46, -v86
	v_mul_f32_e32 v86, v71, v59
	v_fmac_f32_e32 v47, v51, v46
	v_fma_f32 v43, v50, v48, -v87
	v_dual_fmac_f32 v49, v51, v48 :: v_dual_mul_f32 v46, v33, v55
	v_mul_f32_e32 v48, v32, v55
	v_mul_f32_e32 v50, v33, v57
	;; [unrolled: 1-line block ×4, first 2 shown]
	v_fma_f32 v46, v32, v54, -v46
	v_fmac_f32_e32 v48, v33, v54
	v_fma_f32 v32, v32, v56, -v50
	v_fmac_f32_e32 v51, v33, v56
	v_mul_f32_e32 v33, v53, v55
	v_dual_mul_f32 v50, v52, v55 :: v_dual_mul_f32 v55, v53, v57
	v_dual_mul_f32 v57, v52, v57 :: v_dual_add_f32 v2, v2, v22
	s_delay_alu instid0(VALU_DEP_3) | instskip(NEXT) | instid1(VALU_DEP_3)
	v_fma_f32 v33, v52, v54, -v33
	v_fmac_f32_e32 v50, v53, v54
	s_delay_alu instid0(VALU_DEP_4) | instskip(NEXT) | instid1(VALU_DEP_4)
	v_fma_f32 v52, v52, v56, -v55
	v_fmac_f32_e32 v57, v53, v56
	v_mul_f32_e32 v53, v35, v59
	v_dual_mul_f32 v54, v34, v59 :: v_dual_mul_f32 v55, v35, v61
	v_mul_f32_e32 v56, v34, v61
	v_mul_f32_e32 v59, v70, v59
	;; [unrolled: 1-line block ×3, first 2 shown]
	v_fma_f32 v53, v34, v58, -v53
	v_fmac_f32_e32 v54, v35, v58
	v_fma_f32 v34, v34, v60, -v55
	v_fmac_f32_e32 v56, v35, v60
	v_fma_f32 v35, v70, v58, -v86
	v_mul_f32_e32 v86, v75, v67
	v_fmac_f32_e32 v59, v71, v58
	v_fma_f32 v55, v70, v60, -v87
	v_dual_fmac_f32 v61, v71, v60 :: v_dual_mul_f32 v58, v37, v63
	v_mul_f32_e32 v60, v36, v63
	v_mul_f32_e32 v70, v37, v65
	;; [unrolled: 1-line block ×3, first 2 shown]
	v_add_f32_e32 v0, v0, v18
	v_fma_f32 v58, v36, v62, -v58
	v_fmac_f32_e32 v60, v37, v62
	v_fma_f32 v36, v36, v64, -v70
	v_fmac_f32_e32 v71, v37, v64
	v_mul_f32_e32 v37, v73, v63
	v_dual_mul_f32 v63, v72, v63 :: v_dual_mul_f32 v70, v73, v65
	v_dual_mul_f32 v65, v72, v65 :: v_dual_add_f32 v2, v2, v24
	s_delay_alu instid0(VALU_DEP_3) | instskip(NEXT) | instid1(VALU_DEP_3)
	v_fma_f32 v37, v72, v62, -v37
	v_fmac_f32_e32 v63, v73, v62
	s_delay_alu instid0(VALU_DEP_4) | instskip(NEXT) | instid1(VALU_DEP_4)
	v_fma_f32 v62, v72, v64, -v70
	v_dual_fmac_f32 v65, v73, v64 :: v_dual_add_f32 v14, v14, v85
	v_dual_mul_f32 v73, v38, v69 :: v_dual_mul_f32 v64, v39, v67
	v_mul_f32_e32 v70, v38, v67
	v_dual_mul_f32 v72, v39, v69 :: v_dual_mul_f32 v67, v74, v67
	v_dual_add_f32 v0, v0, v28 :: v_dual_mul_f32 v87, v75, v69
	v_add_f32_e32 v14, v14, v84
	v_mul_f32_e32 v69, v74, v69
	v_dual_fmac_f32 v73, v39, v68 :: v_dual_add_f32 v10, v10, v21
	v_fma_f32 v64, v38, v66, -v64
	v_fmac_f32_e32 v70, v39, v66
	v_fma_f32 v38, v38, v68, -v72
	v_fma_f32 v39, v74, v66, -v86
	v_dual_fmac_f32 v67, v75, v66 :: v_dual_add_f32 v10, v10, v45
	v_fma_f32 v66, v74, v68, -v87
	v_mul_f32_e32 v72, v40, v79
	v_mul_f32_e32 v74, v41, v81
	v_add_f32_e32 v2, v2, v30
	v_dual_add_f32 v0, v0, v43 :: v_dual_fmac_f32 v69, v75, v68
	v_dual_mul_f32 v68, v41, v79 :: v_dual_mul_f32 v75, v40, v81
	v_add_f32_e32 v14, v14, v44
	v_fmac_f32_e32 v72, v41, v78
	v_add_f32_e32 v10, v10, v49
	s_delay_alu instid0(VALU_DEP_4)
	v_fma_f32 v68, v40, v78, -v68
	v_fma_f32 v40, v40, v80, -v74
	v_fmac_f32_e32 v75, v41, v80
	v_dual_mul_f32 v41, v77, v79 :: v_dual_add_f32 v2, v2, v32
	v_dual_mul_f32 v74, v76, v79 :: v_dual_mul_f32 v79, v77, v81
	v_dual_add_f32 v14, v14, v51 :: v_dual_mul_f32 v81, v76, v81
	s_delay_alu instid0(VALU_DEP_3) | instskip(SKIP_1) | instid1(VALU_DEP_3)
	v_add_f32_e32 v2, v2, v34
	v_dual_add_f32 v3, v3, v82 :: v_dual_add_f32 v0, v0, v52
	v_dual_add_f32 v15, v15, v83 :: v_dual_add_f32 v14, v14, v56
	s_delay_alu instid0(VALU_DEP_4)
	v_dual_fmac_f32 v81, v77, v80 :: v_dual_add_f32 v10, v10, v57
	v_add_f32_e32 v1, v1, v23
	v_dual_add_f32 v11, v11, v19 :: v_dual_add_f32 v2, v2, v36
	v_dual_add_f32 v3, v3, v20 :: v_dual_add_f32 v0, v0, v55
	;; [unrolled: 1-line block ×3, first 2 shown]
	v_add_f32_e32 v10, v10, v61
	s_delay_alu instid0(VALU_DEP_3) | instskip(SKIP_3) | instid1(VALU_DEP_4)
	v_dual_add_f32 v1, v1, v25 :: v_dual_add_f32 v0, v0, v62
	v_add_f32_e32 v11, v11, v27
	v_dual_add_f32 v3, v3, v29 :: v_dual_add_f32 v2, v2, v38
	v_dual_add_f32 v15, v15, v42 :: v_dual_add_f32 v14, v14, v73
	;; [unrolled: 1-line block ×3, first 2 shown]
	s_delay_alu instid0(VALU_DEP_4) | instskip(SKIP_4) | instid1(VALU_DEP_3)
	v_dual_add_f32 v10, v10, v65 :: v_dual_add_f32 v11, v11, v47
	v_fma_f32 v41, v76, v78, -v41
	v_fma_f32 v76, v76, v80, -v79
	v_dual_add_f32 v3, v3, v46 :: v_dual_add_f32 v2, v2, v40
	v_dual_add_f32 v15, v15, v48 :: v_dual_add_f32 v14, v14, v75
	;; [unrolled: 1-line block ×4, first 2 shown]
	s_delay_alu instid0(VALU_DEP_4) | instskip(NEXT) | instid1(VALU_DEP_4)
	v_add_f32_e32 v3, v3, v53
	v_add_f32_e32 v15, v15, v54
	s_delay_alu instid0(VALU_DEP_3) | instskip(NEXT) | instid1(VALU_DEP_4)
	v_dual_add_f32 v1, v1, v35 :: v_dual_add_f32 v10, v10, v81
	v_add_f32_e32 v11, v11, v59
	s_delay_alu instid0(VALU_DEP_4) | instskip(NEXT) | instid1(VALU_DEP_4)
	v_add_f32_e32 v3, v3, v58
	v_add_f32_e32 v15, v15, v60
	s_delay_alu instid0(VALU_DEP_4) | instskip(NEXT) | instid1(VALU_DEP_4)
	v_add_f32_e32 v1, v1, v37
	v_dual_fmac_f32 v74, v77, v78 :: v_dual_add_f32 v11, v11, v63
	s_delay_alu instid0(VALU_DEP_4) | instskip(NEXT) | instid1(VALU_DEP_4)
	v_add_f32_e32 v3, v3, v64
	v_add_f32_e32 v15, v15, v70
	s_delay_alu instid0(VALU_DEP_4) | instskip(NEXT) | instid1(VALU_DEP_4)
	v_add_f32_e32 v1, v1, v39
	v_add_f32_e32 v11, v11, v67
	;; [unrolled: 3-line block ×4, first 2 shown]
	s_cbranch_vccz .LBB1713_2
.LBB1713_3:
	v_add_nc_u32_e32 v9, s19, v9
	s_load_b32 s4, s[0:1], 0x0
	s_delay_alu instid0(VALU_DEP_1) | instskip(SKIP_2) | instid1(VALU_DEP_3)
	v_ashrrev_i32_e32 v4, 31, v9
	v_mul_lo_u32 v5, v9, s7
	v_mad_u64_u32 v[6:7], null, v9, s6, 0
	v_mul_lo_u32 v4, v4, s6
	s_delay_alu instid0(VALU_DEP_1) | instskip(SKIP_3) | instid1(VALU_DEP_3)
	v_add3_u32 v7, v7, v5, v4
	v_add_nc_u32_e32 v5, s18, v8
	s_waitcnt lgkmcnt(0)
	v_cmp_gt_i32_e32 vcc_lo, s4, v9
	v_lshlrev_b64 v[6:7], 3, v[6:7]
	s_delay_alu instid0(VALU_DEP_3) | instskip(NEXT) | instid1(VALU_DEP_1)
	v_cmp_le_i32_e64 s0, v5, v9
	s_and_b32 s0, vcc_lo, s0
	s_delay_alu instid0(VALU_DEP_2) | instskip(NEXT) | instid1(VALU_DEP_1)
	v_add_co_u32 v12, s1, s2, v6
	v_add_co_ci_u32_e64 v13, s1, s3, v7, s1
	s_and_saveexec_b32 s1, s0
	s_cbranch_execz .LBB1713_5
; %bb.4:
	v_ashrrev_i32_e32 v6, 31, v5
	s_delay_alu instid0(VALU_DEP_1) | instskip(NEXT) | instid1(VALU_DEP_1)
	v_lshlrev_b64 v[6:7], 3, v[5:6]
	v_add_co_u32 v6, s0, v12, v6
	s_delay_alu instid0(VALU_DEP_1) | instskip(SKIP_1) | instid1(VALU_DEP_1)
	v_add_co_ci_u32_e64 v7, s0, v13, v7, s0
	v_cmp_ne_u32_e64 s0, v9, v5
	v_cndmask_b32_e64 v4, 0, v15, s0
	global_store_b64 v[6:7], v[3:4], off
.LBB1713_5:
	s_or_b32 exec_lo, exec_lo, s1
	v_add_nc_u32_e32 v7, 16, v5
	s_delay_alu instid0(VALU_DEP_1) | instskip(NEXT) | instid1(VALU_DEP_1)
	v_cmp_le_i32_e64 s0, v7, v9
	s_and_b32 s1, vcc_lo, s0
	s_delay_alu instid0(SALU_CYCLE_1)
	s_and_saveexec_b32 s0, s1
	s_cbranch_execz .LBB1713_7
; %bb.6:
	v_ashrrev_i32_e32 v8, 31, v7
	s_delay_alu instid0(VALU_DEP_1) | instskip(NEXT) | instid1(VALU_DEP_1)
	v_lshlrev_b64 v[3:4], 3, v[7:8]
	v_add_co_u32 v12, vcc_lo, v12, v3
	s_delay_alu instid0(VALU_DEP_2)
	v_add_co_ci_u32_e32 v13, vcc_lo, v13, v4, vcc_lo
	v_cmp_ne_u32_e32 vcc_lo, v9, v7
	v_cndmask_b32_e32 v3, 0, v14, vcc_lo
	global_store_b64 v[12:13], v[2:3], off
.LBB1713_7:
	s_or_b32 exec_lo, exec_lo, s0
	v_add_nc_u32_e32 v3, 16, v9
	s_delay_alu instid0(VALU_DEP_1) | instskip(SKIP_3) | instid1(VALU_DEP_4)
	v_ashrrev_i32_e32 v2, 31, v3
	v_mul_lo_u32 v4, v3, s7
	v_mad_u64_u32 v[12:13], null, v3, s6, 0
	v_cmp_gt_i32_e32 vcc_lo, s4, v3
	v_mul_lo_u32 v2, v2, s6
	v_cmp_le_i32_e64 s0, v5, v3
	s_delay_alu instid0(VALU_DEP_1) | instskip(NEXT) | instid1(VALU_DEP_2)
	s_and_b32 s0, vcc_lo, s0
	v_add3_u32 v13, v13, v4, v2
	s_delay_alu instid0(VALU_DEP_1) | instskip(NEXT) | instid1(VALU_DEP_1)
	v_lshlrev_b64 v[12:13], 3, v[12:13]
	v_add_co_u32 v4, s1, s2, v12
	s_delay_alu instid0(VALU_DEP_1)
	v_add_co_ci_u32_e64 v12, s1, s3, v13, s1
	s_and_saveexec_b32 s1, s0
	s_cbranch_execz .LBB1713_9
; %bb.8:
	v_ashrrev_i32_e32 v6, 31, v5
	s_delay_alu instid0(VALU_DEP_1) | instskip(NEXT) | instid1(VALU_DEP_1)
	v_lshlrev_b64 v[13:14], 3, v[5:6]
	v_add_co_u32 v13, s0, v4, v13
	s_delay_alu instid0(VALU_DEP_1) | instskip(SKIP_1) | instid1(VALU_DEP_1)
	v_add_co_ci_u32_e64 v14, s0, v12, v14, s0
	v_cmp_ne_u32_e64 s0, v3, v5
	v_cndmask_b32_e64 v2, 0, v11, s0
	global_store_b64 v[13:14], v[1:2], off
.LBB1713_9:
	s_or_b32 exec_lo, exec_lo, s1
	v_cmp_le_i32_e64 s0, v7, v3
	s_delay_alu instid0(VALU_DEP_1) | instskip(NEXT) | instid1(SALU_CYCLE_1)
	s_and_b32 s0, vcc_lo, s0
	s_and_saveexec_b32 s1, s0
	s_cbranch_execz .LBB1713_11
; %bb.10:
	v_ashrrev_i32_e32 v8, 31, v7
	s_delay_alu instid0(VALU_DEP_1) | instskip(NEXT) | instid1(VALU_DEP_1)
	v_lshlrev_b64 v[1:2], 3, v[7:8]
	v_add_co_u32 v3, vcc_lo, v4, v1
	s_delay_alu instid0(VALU_DEP_2)
	v_add_co_ci_u32_e32 v4, vcc_lo, v12, v2, vcc_lo
	v_cmp_ne_u32_e32 vcc_lo, v9, v5
	v_cndmask_b32_e32 v1, 0, v10, vcc_lo
	global_store_b64 v[3:4], v[0:1], off
.LBB1713_11:
	s_nop 0
	s_sendmsg sendmsg(MSG_DEALLOC_VGPRS)
	s_endpgm
	.section	.rodata,"a",@progbits
	.p2align	6, 0x0
	.amdhsa_kernel _ZL37rocblas_syrkx_herkx_restricted_kernelIl19rocblas_complex_numIfELi16ELi32ELi8ELi1ELi0ELb1ELc78ELc85EKPKS1_KPS1_EviT_PT9_S7_lS9_S7_lPT10_S7_li
		.amdhsa_group_segment_fixed_size 4096
		.amdhsa_private_segment_fixed_size 0
		.amdhsa_kernarg_size 92
		.amdhsa_user_sgpr_count 13
		.amdhsa_user_sgpr_dispatch_ptr 0
		.amdhsa_user_sgpr_queue_ptr 0
		.amdhsa_user_sgpr_kernarg_segment_ptr 1
		.amdhsa_user_sgpr_dispatch_id 0
		.amdhsa_user_sgpr_private_segment_size 0
		.amdhsa_wavefront_size32 1
		.amdhsa_uses_dynamic_stack 0
		.amdhsa_enable_private_segment 0
		.amdhsa_system_sgpr_workgroup_id_x 1
		.amdhsa_system_sgpr_workgroup_id_y 1
		.amdhsa_system_sgpr_workgroup_id_z 1
		.amdhsa_system_sgpr_workgroup_info 0
		.amdhsa_system_vgpr_workitem_id 1
		.amdhsa_next_free_vgpr 88
		.amdhsa_next_free_sgpr 20
		.amdhsa_reserve_vcc 1
		.amdhsa_float_round_mode_32 0
		.amdhsa_float_round_mode_16_64 0
		.amdhsa_float_denorm_mode_32 3
		.amdhsa_float_denorm_mode_16_64 3
		.amdhsa_dx10_clamp 1
		.amdhsa_ieee_mode 1
		.amdhsa_fp16_overflow 0
		.amdhsa_workgroup_processor_mode 1
		.amdhsa_memory_ordered 1
		.amdhsa_forward_progress 0
		.amdhsa_shared_vgpr_count 0
		.amdhsa_exception_fp_ieee_invalid_op 0
		.amdhsa_exception_fp_denorm_src 0
		.amdhsa_exception_fp_ieee_div_zero 0
		.amdhsa_exception_fp_ieee_overflow 0
		.amdhsa_exception_fp_ieee_underflow 0
		.amdhsa_exception_fp_ieee_inexact 0
		.amdhsa_exception_int_div_zero 0
	.end_amdhsa_kernel
	.section	.text._ZL37rocblas_syrkx_herkx_restricted_kernelIl19rocblas_complex_numIfELi16ELi32ELi8ELi1ELi0ELb1ELc78ELc85EKPKS1_KPS1_EviT_PT9_S7_lS9_S7_lPT10_S7_li,"axG",@progbits,_ZL37rocblas_syrkx_herkx_restricted_kernelIl19rocblas_complex_numIfELi16ELi32ELi8ELi1ELi0ELb1ELc78ELc85EKPKS1_KPS1_EviT_PT9_S7_lS9_S7_lPT10_S7_li,comdat
.Lfunc_end1713:
	.size	_ZL37rocblas_syrkx_herkx_restricted_kernelIl19rocblas_complex_numIfELi16ELi32ELi8ELi1ELi0ELb1ELc78ELc85EKPKS1_KPS1_EviT_PT9_S7_lS9_S7_lPT10_S7_li, .Lfunc_end1713-_ZL37rocblas_syrkx_herkx_restricted_kernelIl19rocblas_complex_numIfELi16ELi32ELi8ELi1ELi0ELb1ELc78ELc85EKPKS1_KPS1_EviT_PT9_S7_lS9_S7_lPT10_S7_li
                                        ; -- End function
	.section	.AMDGPU.csdata,"",@progbits
; Kernel info:
; codeLenInByte = 2212
; NumSgprs: 22
; NumVgprs: 88
; ScratchSize: 0
; MemoryBound: 0
; FloatMode: 240
; IeeeMode: 1
; LDSByteSize: 4096 bytes/workgroup (compile time only)
; SGPRBlocks: 2
; VGPRBlocks: 10
; NumSGPRsForWavesPerEU: 22
; NumVGPRsForWavesPerEU: 88
; Occupancy: 16
; WaveLimiterHint : 1
; COMPUTE_PGM_RSRC2:SCRATCH_EN: 0
; COMPUTE_PGM_RSRC2:USER_SGPR: 13
; COMPUTE_PGM_RSRC2:TRAP_HANDLER: 0
; COMPUTE_PGM_RSRC2:TGID_X_EN: 1
; COMPUTE_PGM_RSRC2:TGID_Y_EN: 1
; COMPUTE_PGM_RSRC2:TGID_Z_EN: 1
; COMPUTE_PGM_RSRC2:TIDIG_COMP_CNT: 1
	.section	.text._ZL37rocblas_syrkx_herkx_restricted_kernelIl19rocblas_complex_numIfELi16ELi32ELi8ELin1ELi0ELb1ELc84ELc76EKPKS1_KPS1_EviT_PT9_S7_lS9_S7_lPT10_S7_li,"axG",@progbits,_ZL37rocblas_syrkx_herkx_restricted_kernelIl19rocblas_complex_numIfELi16ELi32ELi8ELin1ELi0ELb1ELc84ELc76EKPKS1_KPS1_EviT_PT9_S7_lS9_S7_lPT10_S7_li,comdat
	.globl	_ZL37rocblas_syrkx_herkx_restricted_kernelIl19rocblas_complex_numIfELi16ELi32ELi8ELin1ELi0ELb1ELc84ELc76EKPKS1_KPS1_EviT_PT9_S7_lS9_S7_lPT10_S7_li ; -- Begin function _ZL37rocblas_syrkx_herkx_restricted_kernelIl19rocblas_complex_numIfELi16ELi32ELi8ELin1ELi0ELb1ELc84ELc76EKPKS1_KPS1_EviT_PT9_S7_lS9_S7_lPT10_S7_li
	.p2align	8
	.type	_ZL37rocblas_syrkx_herkx_restricted_kernelIl19rocblas_complex_numIfELi16ELi32ELi8ELin1ELi0ELb1ELc84ELc76EKPKS1_KPS1_EviT_PT9_S7_lS9_S7_lPT10_S7_li,@function
_ZL37rocblas_syrkx_herkx_restricted_kernelIl19rocblas_complex_numIfELi16ELi32ELi8ELin1ELi0ELb1ELc84ELc76EKPKS1_KPS1_EviT_PT9_S7_lS9_S7_lPT10_S7_li: ; @_ZL37rocblas_syrkx_herkx_restricted_kernelIl19rocblas_complex_numIfELi16ELi32ELi8ELin1ELi0ELb1ELc84ELc76EKPKS1_KPS1_EviT_PT9_S7_lS9_S7_lPT10_S7_li
; %bb.0:
	s_clause 0x1
	s_load_b128 s[4:7], s[0:1], 0x40
	s_load_b128 s[8:11], s[0:1], 0x8
	s_mov_b32 s2, s15
	s_mov_b32 s3, 0
	v_dual_mov_b32 v17, 0 :: v_dual_and_b32 v6, 0x3ff, v0
	s_lshl_b64 s[16:17], s[2:3], 3
	v_bfe_u32 v7, v0, 10, 10
	v_dual_mov_b32 v16, 0 :: v_dual_mov_b32 v11, 0
	v_dual_mov_b32 v10, 0 :: v_dual_mov_b32 v9, 0
	;; [unrolled: 1-line block ×3, first 2 shown]
	v_mov_b32_e32 v0, 0
	s_waitcnt lgkmcnt(0)
	s_add_u32 s2, s4, s16
	s_addc_u32 s3, s5, s17
	v_cmp_lt_i64_e64 s4, s[8:9], 1
	s_load_b64 s[2:3], s[2:3], 0x0
	s_lshl_b32 s18, s13, 5
	s_lshl_b32 s19, s14, 5
	s_delay_alu instid0(VALU_DEP_1)
	s_and_b32 vcc_lo, exec_lo, s4
	s_cbranch_vccnz .LBB1714_3
; %bb.1:
	s_clause 0x1
	s_load_b128 s[12:15], s[0:1], 0x28
	s_load_b64 s[4:5], s[0:1], 0x18
	v_lshl_add_u32 v2, v7, 4, v6
	v_dual_mov_b32 v1, 0 :: v_dual_and_b32 v0, 7, v6
	s_add_u32 s10, s10, s16
	s_addc_u32 s11, s11, s17
	s_delay_alu instid0(VALU_DEP_2)
	v_lshrrev_b32_e32 v10, 3, v2
	v_and_b32_e32 v11, 31, v2
	v_lshrrev_b32_e32 v2, 5, v2
	v_mov_b32_e32 v3, v1
	s_load_b64 s[10:11], s[10:11], 0x0
	v_add_nc_u32_e32 v12, s19, v10
	v_add_nc_u32_e32 v8, s18, v11
	v_dual_mov_b32 v16, v1 :: v_dual_lshlrev_b32 v11, 3, v11
	v_mov_b32_e32 v17, v1
	s_delay_alu instid0(VALU_DEP_4) | instskip(NEXT) | instid1(VALU_DEP_4)
	v_ashrrev_i32_e32 v4, 31, v12
	v_ashrrev_i32_e32 v5, 31, v8
	s_waitcnt lgkmcnt(0)
	s_add_u32 s12, s12, s16
	s_addc_u32 s13, s13, s17
	v_mul_lo_u32 v13, v4, s14
	v_mul_lo_u32 v14, s4, v5
	v_mad_u64_u32 v[4:5], null, s4, v8, v[2:3]
	v_mul_lo_u32 v3, s5, v8
	s_load_b64 s[4:5], s[12:13], 0x0
	v_mul_lo_u32 v15, v12, s15
	v_mad_u64_u32 v[8:9], null, v12, s14, v[0:1]
	v_lshlrev_b32_e32 v0, 3, v0
	v_lshlrev_b32_e32 v12, 3, v6
	v_add3_u32 v5, v3, v5, v14
	v_lshl_or_b32 v14, v2, 8, v11
	v_mov_b32_e32 v11, v1
	v_add3_u32 v9, v13, v9, v15
	v_lshl_or_b32 v0, v10, 6, v0
	v_lshlrev_b64 v[3:4], 3, v[4:5]
	v_lshl_add_u32 v13, v7, 6, 0x800
	v_mov_b32_e32 v10, v1
	v_lshlrev_b64 v[8:9], 3, v[8:9]
	v_add_nc_u32_e32 v15, 0x800, v0
	v_add_co_u32 v0, vcc_lo, v3, s10
	v_add_co_ci_u32_e32 v3, vcc_lo, s11, v4, vcc_lo
	s_waitcnt lgkmcnt(0)
	s_delay_alu instid0(VALU_DEP_4) | instskip(SKIP_3) | instid1(VALU_DEP_4)
	v_add_co_u32 v4, vcc_lo, v8, s4
	v_add_co_ci_u32_e32 v5, vcc_lo, s5, v9, vcc_lo
	v_add_co_u32 v2, vcc_lo, v0, 4
	v_add_co_ci_u32_e32 v3, vcc_lo, 0, v3, vcc_lo
	v_add_co_u32 v4, vcc_lo, v4, 4
	s_delay_alu instid0(VALU_DEP_4)
	v_add_co_ci_u32_e32 v5, vcc_lo, 0, v5, vcc_lo
	v_mov_b32_e32 v0, v1
	v_mov_b32_e32 v8, v1
	;; [unrolled: 1-line block ×3, first 2 shown]
	s_mov_b64 s[4:5], 0
.LBB1714_2:                             ; =>This Inner Loop Header: Depth=1
	global_load_b64 v[18:19], v[2:3], off offset:-4
	global_load_b64 v[20:21], v[4:5], off offset:-4
	s_add_u32 s4, s4, 8
	v_add_co_u32 v2, vcc_lo, v2, 64
	s_addc_u32 s5, s5, 0
	v_add_co_ci_u32_e32 v3, vcc_lo, 0, v3, vcc_lo
	v_cmp_ge_u64_e64 s10, s[4:5], s[8:9]
	v_add_co_u32 v4, vcc_lo, v4, 64
	v_add_co_ci_u32_e32 v5, vcc_lo, 0, v5, vcc_lo
	s_waitcnt vmcnt(1)
	ds_store_b64 v14, v[18:19]
	s_waitcnt vmcnt(0)
	ds_store_b64 v15, v[20:21]
	s_waitcnt lgkmcnt(0)
	s_barrier
	buffer_gl0_inv
	ds_load_2addr_b64 v[18:21], v12 offset1:16
	ds_load_b128 v[22:25], v13
	ds_load_b128 v[26:29], v13 offset:1024
	ds_load_b128 v[30:33], v13 offset:16
	;; [unrolled: 1-line block ×4, first 2 shown]
	ds_load_2addr_b64 v[42:45], v12 offset0:32 offset1:48
	ds_load_2addr_b64 v[46:49], v12 offset0:64 offset1:80
	ds_load_b128 v[50:53], v13 offset:1040
	ds_load_2addr_b64 v[54:57], v12 offset0:96 offset1:112
	ds_load_2addr_b64 v[58:61], v12 offset0:128 offset1:144
	;; [unrolled: 1-line block ×4, first 2 shown]
	ds_load_b128 v[70:73], v13 offset:1056
	ds_load_b128 v[74:77], v13 offset:1072
	ds_load_2addr_b64 v[78:81], v12 offset0:224 offset1:240
	s_and_b32 vcc_lo, exec_lo, s10
	s_waitcnt lgkmcnt(0)
	s_barrier
	buffer_gl0_inv
	v_dual_mul_f32 v82, v23, v19 :: v_dual_mul_f32 v85, v22, v21
	v_dual_mul_f32 v83, v22, v19 :: v_dual_mul_f32 v84, v23, v21
	v_mul_f32_e32 v86, v27, v19
	v_dual_mul_f32 v19, v26, v19 :: v_dual_mul_f32 v90, v25, v45
	v_dual_mul_f32 v87, v27, v21 :: v_dual_mul_f32 v88, v25, v43
	v_mul_f32_e32 v21, v26, v21
	v_fma_f32 v82, v22, v18, -v82
	v_fmac_f32_e32 v83, v23, v18
	v_fma_f32 v22, v22, v20, -v84
	v_fmac_f32_e32 v85, v23, v20
	v_fma_f32 v23, v26, v18, -v86
	v_dual_fmac_f32 v19, v27, v18 :: v_dual_mul_f32 v86, v30, v47
	v_fma_f32 v18, v26, v20, -v87
	v_dual_fmac_f32 v21, v27, v20 :: v_dual_mul_f32 v20, v24, v45
	v_mul_f32_e32 v89, v24, v43
	v_mul_f32_e32 v26, v29, v43
	;; [unrolled: 1-line block ×4, first 2 shown]
	v_fmac_f32_e32 v20, v25, v44
	v_fmac_f32_e32 v89, v25, v42
	v_dual_mul_f32 v25, v28, v45 :: v_dual_fmac_f32 v86, v31, v46
	v_fma_f32 v84, v24, v42, -v88
	v_fma_f32 v24, v24, v44, -v90
	v_dual_mul_f32 v45, v31, v47 :: v_dual_mul_f32 v90, v33, v57
	v_fma_f32 v26, v28, v42, -v26
	v_fma_f32 v28, v28, v44, -v43
	v_fmac_f32_e32 v25, v29, v44
	v_dual_mul_f32 v43, v50, v47 :: v_dual_mul_f32 v44, v51, v49
	v_dual_fmac_f32 v27, v29, v42 :: v_dual_mul_f32 v42, v51, v47
	v_dual_mul_f32 v88, v32, v55 :: v_dual_mul_f32 v29, v30, v49
	v_mul_f32_e32 v87, v31, v49
	v_fma_f32 v45, v30, v46, -v45
	v_add_f32_e32 v10, v10, v85
	s_delay_alu instid0(VALU_DEP_4)
	v_dual_fmac_f32 v88, v33, v54 :: v_dual_fmac_f32 v29, v31, v48
	v_fma_f32 v31, v50, v46, -v42
	v_fma_f32 v42, v50, v48, -v44
	v_mul_f32_e32 v44, v32, v57
	v_mul_f32_e32 v47, v50, v49
	v_dual_mul_f32 v50, v53, v57 :: v_dual_fmac_f32 v43, v51, v46
	v_mul_f32_e32 v46, v53, v55
	v_mul_f32_e32 v49, v33, v55
	v_fma_f32 v30, v30, v48, -v87
	v_fmac_f32_e32 v44, v33, v56
	v_dual_fmac_f32 v47, v51, v48 :: v_dual_mul_f32 v48, v52, v55
	v_mul_f32_e32 v33, v52, v57
	v_fma_f32 v46, v52, v54, -v46
	v_fma_f32 v50, v52, v56, -v50
	v_mul_f32_e32 v52, v34, v61
	v_fma_f32 v49, v32, v54, -v49
	v_fma_f32 v32, v32, v56, -v90
	v_dual_mul_f32 v51, v35, v59 :: v_dual_fmac_f32 v48, v53, v54
	v_mul_f32_e32 v54, v70, v59
	v_dual_mul_f32 v55, v34, v59 :: v_dual_fmac_f32 v52, v35, v60
	v_fmac_f32_e32 v33, v53, v56
	v_mul_f32_e32 v53, v71, v59
	v_mul_f32_e32 v56, v71, v61
	;; [unrolled: 1-line block ×3, first 2 shown]
	v_fmac_f32_e32 v54, v71, v58
	v_fmac_f32_e32 v55, v35, v58
	v_fma_f32 v35, v70, v58, -v53
	v_fma_f32 v53, v70, v60, -v56
	v_mul_f32_e32 v56, v36, v65
	v_mul_f32_e32 v59, v70, v61
	v_fma_f32 v51, v34, v58, -v51
	v_mul_f32_e32 v58, v72, v63
	v_mul_f32_e32 v87, v36, v63
	;; [unrolled: 1-line block ×4, first 2 shown]
	v_fma_f32 v34, v34, v60, -v57
	v_mul_f32_e32 v57, v73, v63
	v_fmac_f32_e32 v56, v37, v64
	v_dual_fmac_f32 v59, v71, v60 :: v_dual_mul_f32 v60, v73, v65
	v_mul_f32_e32 v63, v39, v67
	v_mul_f32_e32 v70, v39, v69
	v_fmac_f32_e32 v58, v73, v62
	v_fmac_f32_e32 v87, v37, v62
	v_mul_f32_e32 v37, v72, v65
	v_fma_f32 v61, v36, v62, -v61
	v_fma_f32 v36, v36, v64, -v90
	v_mul_f32_e32 v65, v38, v67
	v_fma_f32 v57, v72, v62, -v57
	v_fma_f32 v60, v72, v64, -v60
	v_dual_fmac_f32 v37, v73, v64 :: v_dual_mul_f32 v62, v38, v69
	v_mul_f32_e32 v64, v75, v67
	v_mul_f32_e32 v73, v40, v79
	v_fma_f32 v63, v38, v66, -v63
	v_fma_f32 v38, v38, v68, -v70
	v_mul_f32_e32 v70, v76, v79
	v_mul_f32_e32 v67, v74, v67
	v_dual_mul_f32 v71, v75, v69 :: v_dual_add_f32 v16, v16, v82
	v_dual_mul_f32 v69, v74, v69 :: v_dual_add_f32 v8, v8, v19
	v_fmac_f32_e32 v65, v39, v66
	v_fmac_f32_e32 v62, v39, v68
	s_delay_alu instid0(VALU_DEP_4)
	v_add_f32_e32 v16, v16, v84
	v_fma_f32 v39, v74, v66, -v64
	v_fmac_f32_e32 v70, v77, v78
	v_dual_fmac_f32 v67, v75, v66 :: v_dual_add_f32 v10, v10, v20
	v_mul_f32_e32 v66, v40, v81
	v_mul_f32_e32 v72, v41, v79
	;; [unrolled: 1-line block ×3, first 2 shown]
	v_fma_f32 v64, v74, v68, -v71
	v_dual_fmac_f32 v69, v75, v68 :: v_dual_add_f32 v0, v0, v18
	v_dual_mul_f32 v71, v77, v81 :: v_dual_add_f32 v8, v8, v27
	v_fmac_f32_e32 v73, v41, v78
	v_fmac_f32_e32 v66, v41, v80
	s_delay_alu instid0(VALU_DEP_4) | instskip(SKIP_3) | instid1(VALU_DEP_4)
	v_dual_add_f32 v0, v0, v28 :: v_dual_add_f32 v17, v17, v83
	v_add_f32_e32 v10, v10, v29
	v_mul_f32_e32 v41, v76, v81
	v_dual_add_f32 v11, v11, v22 :: v_dual_add_f32 v8, v8, v43
	v_dual_add_f32 v9, v9, v23 :: v_dual_add_f32 v0, v0, v42
	v_add_f32_e32 v1, v1, v21
	v_add_f32_e32 v16, v16, v45
	s_delay_alu instid0(VALU_DEP_4)
	v_add_f32_e32 v8, v8, v48
	v_add_f32_e32 v10, v10, v44
	v_fmac_f32_e32 v41, v77, v80
	v_dual_add_f32 v17, v17, v89 :: v_dual_add_f32 v0, v0, v50
	v_dual_add_f32 v11, v11, v24 :: v_dual_add_f32 v16, v16, v49
	v_add_f32_e32 v9, v9, v26
	v_dual_add_f32 v1, v1, v25 :: v_dual_add_f32 v10, v10, v52
	s_delay_alu instid0(VALU_DEP_4) | instskip(NEXT) | instid1(VALU_DEP_4)
	v_dual_add_f32 v17, v17, v86 :: v_dual_add_f32 v0, v0, v53
	v_dual_add_f32 v16, v16, v51 :: v_dual_add_f32 v11, v11, v30
	s_delay_alu instid0(VALU_DEP_4) | instskip(NEXT) | instid1(VALU_DEP_4)
	v_dual_add_f32 v9, v9, v31 :: v_dual_add_f32 v8, v8, v54
	v_dual_add_f32 v1, v1, v47 :: v_dual_add_f32 v10, v10, v56
	s_delay_alu instid0(VALU_DEP_4) | instskip(NEXT) | instid1(VALU_DEP_3)
	v_add_f32_e32 v17, v17, v88
	v_dual_add_f32 v9, v9, v46 :: v_dual_add_f32 v0, v0, v60
	s_delay_alu instid0(VALU_DEP_3) | instskip(SKIP_2) | instid1(VALU_DEP_3)
	v_dual_add_f32 v1, v1, v33 :: v_dual_add_f32 v10, v10, v62
	v_dual_add_f32 v16, v16, v61 :: v_dual_add_f32 v11, v11, v32
	v_fma_f32 v72, v40, v78, -v72
	v_dual_add_f32 v1, v1, v59 :: v_dual_add_f32 v10, v10, v66
	v_dual_add_f32 v8, v8, v58 :: v_dual_add_f32 v17, v17, v55
	v_add_f32_e32 v0, v0, v64
	v_dual_add_f32 v16, v16, v63 :: v_dual_add_f32 v11, v11, v34
	s_delay_alu instid0(VALU_DEP_3) | instskip(SKIP_2) | instid1(VALU_DEP_4)
	v_add_f32_e32 v8, v8, v67
	v_add_f32_e32 v9, v9, v35
	v_mul_f32_e32 v68, v77, v79
	v_add_f32_e32 v16, v16, v72
	v_fma_f32 v71, v76, v80, -v71
	v_dual_add_f32 v17, v17, v87 :: v_dual_add_f32 v8, v8, v70
	v_add_f32_e32 v11, v11, v36
	s_delay_alu instid0(VALU_DEP_3)
	v_dual_add_f32 v9, v9, v57 :: v_dual_add_f32 v0, v0, v71
	v_add_f32_e32 v1, v1, v37
	v_fma_f32 v40, v40, v80, -v90
	v_fma_f32 v68, v76, v78, -v68
	v_add_f32_e32 v17, v17, v65
	v_add_f32_e32 v11, v11, v38
	;; [unrolled: 1-line block ×4, first 2 shown]
	s_delay_alu instid0(VALU_DEP_4) | instskip(NEXT) | instid1(VALU_DEP_4)
	v_add_f32_e32 v17, v17, v73
	v_add_f32_e32 v11, v11, v40
	s_delay_alu instid0(VALU_DEP_4) | instskip(NEXT) | instid1(VALU_DEP_4)
	v_add_f32_e32 v9, v9, v68
	v_add_f32_e32 v1, v1, v41
	s_cbranch_vccz .LBB1714_2
.LBB1714_3:
	v_add_nc_u32_e32 v7, s19, v7
	s_load_b32 s4, s[0:1], 0x0
	s_delay_alu instid0(VALU_DEP_1) | instskip(SKIP_2) | instid1(VALU_DEP_3)
	v_ashrrev_i32_e32 v2, 31, v7
	v_mul_lo_u32 v5, v7, s7
	v_mad_u64_u32 v[3:4], null, v7, s6, 0
	v_mul_lo_u32 v2, v2, s6
	s_delay_alu instid0(VALU_DEP_1) | instskip(SKIP_1) | instid1(VALU_DEP_2)
	v_add3_u32 v4, v4, v5, v2
	v_add_nc_u32_e32 v2, s18, v6
	v_lshlrev_b64 v[3:4], 3, v[3:4]
	s_delay_alu instid0(VALU_DEP_2) | instskip(SKIP_2) | instid1(VALU_DEP_3)
	v_cmp_le_i32_e64 s0, v7, v2
	s_waitcnt lgkmcnt(0)
	v_cmp_gt_i32_e32 vcc_lo, s4, v2
	v_add_co_u32 v6, s1, s2, v3
	s_delay_alu instid0(VALU_DEP_1) | instskip(SKIP_1) | instid1(SALU_CYCLE_1)
	v_add_co_ci_u32_e64 v12, s1, s3, v4, s1
	s_and_b32 s0, s0, vcc_lo
	s_and_saveexec_b32 s1, s0
	s_cbranch_execz .LBB1714_6
; %bb.4:
	v_ashrrev_i32_e32 v3, 31, v2
	v_xor_b32_e32 v13, 0x80000000, v16
	v_xor_b32_e32 v14, 0x80000000, v17
	s_delay_alu instid0(VALU_DEP_3) | instskip(NEXT) | instid1(VALU_DEP_1)
	v_lshlrev_b64 v[3:4], 3, v[2:3]
	v_add_co_u32 v3, s0, v6, v3
	s_delay_alu instid0(VALU_DEP_1)
	v_add_co_ci_u32_e64 v4, s0, v12, v4, s0
	v_cmp_eq_u32_e64 s0, v7, v2
	global_store_b64 v[3:4], v[13:14], off
	s_and_b32 exec_lo, exec_lo, s0
	s_cbranch_execz .LBB1714_6
; %bb.5:
	v_mov_b32_e32 v5, 0
	global_store_b32 v[3:4], v5, off offset:4
.LBB1714_6:
	s_or_b32 exec_lo, exec_lo, s1
	v_add_nc_u32_e32 v4, 16, v2
	s_delay_alu instid0(VALU_DEP_1) | instskip(SKIP_1) | instid1(VALU_DEP_1)
	v_cmp_le_i32_e64 s1, v7, v4
	v_cmp_gt_i32_e64 s0, s4, v4
	s_and_b32 s1, s1, s0
	s_delay_alu instid0(SALU_CYCLE_1)
	s_and_saveexec_b32 s4, s1
	s_cbranch_execz .LBB1714_9
; %bb.7:
	v_ashrrev_i32_e32 v5, 31, v4
	v_xor_b32_e32 v15, 0x80000000, v11
	v_xor_b32_e32 v16, 0x80000000, v10
	s_delay_alu instid0(VALU_DEP_3) | instskip(NEXT) | instid1(VALU_DEP_1)
	v_lshlrev_b64 v[13:14], 3, v[4:5]
	v_add_co_u32 v5, s1, v6, v13
	s_delay_alu instid0(VALU_DEP_1)
	v_add_co_ci_u32_e64 v6, s1, v12, v14, s1
	v_cmp_eq_u32_e64 s1, v7, v4
	global_store_b64 v[5:6], v[15:16], off
	s_and_b32 exec_lo, exec_lo, s1
	s_cbranch_execz .LBB1714_9
; %bb.8:
	v_mov_b32_e32 v3, 0
	global_store_b32 v[5:6], v3, off offset:4
.LBB1714_9:
	s_or_b32 exec_lo, exec_lo, s4
	v_add_nc_u32_e32 v12, 16, v7
	s_delay_alu instid0(VALU_DEP_1) | instskip(SKIP_3) | instid1(VALU_DEP_4)
	v_ashrrev_i32_e32 v3, 31, v12
	v_mul_lo_u32 v10, v12, s7
	v_mad_u64_u32 v[5:6], null, v12, s6, 0
	v_cmp_le_i32_e64 s1, v12, v2
	v_mul_lo_u32 v3, v3, s6
	s_delay_alu instid0(VALU_DEP_1) | instskip(NEXT) | instid1(VALU_DEP_1)
	v_add3_u32 v6, v6, v10, v3
	v_lshlrev_b64 v[5:6], 3, v[5:6]
	s_delay_alu instid0(VALU_DEP_1) | instskip(NEXT) | instid1(VALU_DEP_1)
	v_add_co_u32 v10, s2, s2, v5
	v_add_co_ci_u32_e64 v11, s2, s3, v6, s2
	s_and_b32 s2, s1, vcc_lo
	s_delay_alu instid0(SALU_CYCLE_1)
	s_and_saveexec_b32 s1, s2
	s_cbranch_execz .LBB1714_12
; %bb.10:
	v_ashrrev_i32_e32 v3, 31, v2
	v_xor_b32_e32 v13, 0x80000000, v9
	v_xor_b32_e32 v14, 0x80000000, v8
	s_delay_alu instid0(VALU_DEP_3) | instskip(NEXT) | instid1(VALU_DEP_1)
	v_lshlrev_b64 v[5:6], 3, v[2:3]
	v_add_co_u32 v5, vcc_lo, v10, v5
	s_delay_alu instid0(VALU_DEP_2)
	v_add_co_ci_u32_e32 v6, vcc_lo, v11, v6, vcc_lo
	v_cmp_eq_u32_e32 vcc_lo, v12, v2
	global_store_b64 v[5:6], v[13:14], off
	s_and_b32 exec_lo, exec_lo, vcc_lo
	s_cbranch_execz .LBB1714_12
; %bb.11:
	v_mov_b32_e32 v3, 0
	global_store_b32 v[5:6], v3, off offset:4
.LBB1714_12:
	s_or_b32 exec_lo, exec_lo, s1
	v_cmp_le_i32_e32 vcc_lo, v12, v4
	s_and_b32 s0, vcc_lo, s0
	s_delay_alu instid0(SALU_CYCLE_1)
	s_and_saveexec_b32 s1, s0
	s_cbranch_execz .LBB1714_15
; %bb.13:
	v_ashrrev_i32_e32 v5, 31, v4
	v_xor_b32_e32 v6, 0x80000000, v1
	s_delay_alu instid0(VALU_DEP_2) | instskip(SKIP_1) | instid1(VALU_DEP_2)
	v_lshlrev_b64 v[3:4], 3, v[4:5]
	v_xor_b32_e32 v5, 0x80000000, v0
	v_add_co_u32 v0, vcc_lo, v10, v3
	s_delay_alu instid0(VALU_DEP_3)
	v_add_co_ci_u32_e32 v1, vcc_lo, v11, v4, vcc_lo
	v_cmp_eq_u32_e32 vcc_lo, v7, v2
	global_store_b64 v[0:1], v[5:6], off
	s_and_b32 exec_lo, exec_lo, vcc_lo
	s_cbranch_execz .LBB1714_15
; %bb.14:
	v_mov_b32_e32 v2, 0
	global_store_b32 v[0:1], v2, off offset:4
.LBB1714_15:
	s_nop 0
	s_sendmsg sendmsg(MSG_DEALLOC_VGPRS)
	s_endpgm
	.section	.rodata,"a",@progbits
	.p2align	6, 0x0
	.amdhsa_kernel _ZL37rocblas_syrkx_herkx_restricted_kernelIl19rocblas_complex_numIfELi16ELi32ELi8ELin1ELi0ELb1ELc84ELc76EKPKS1_KPS1_EviT_PT9_S7_lS9_S7_lPT10_S7_li
		.amdhsa_group_segment_fixed_size 4096
		.amdhsa_private_segment_fixed_size 0
		.amdhsa_kernarg_size 92
		.amdhsa_user_sgpr_count 13
		.amdhsa_user_sgpr_dispatch_ptr 0
		.amdhsa_user_sgpr_queue_ptr 0
		.amdhsa_user_sgpr_kernarg_segment_ptr 1
		.amdhsa_user_sgpr_dispatch_id 0
		.amdhsa_user_sgpr_private_segment_size 0
		.amdhsa_wavefront_size32 1
		.amdhsa_uses_dynamic_stack 0
		.amdhsa_enable_private_segment 0
		.amdhsa_system_sgpr_workgroup_id_x 1
		.amdhsa_system_sgpr_workgroup_id_y 1
		.amdhsa_system_sgpr_workgroup_id_z 1
		.amdhsa_system_sgpr_workgroup_info 0
		.amdhsa_system_vgpr_workitem_id 1
		.amdhsa_next_free_vgpr 91
		.amdhsa_next_free_sgpr 20
		.amdhsa_reserve_vcc 1
		.amdhsa_float_round_mode_32 0
		.amdhsa_float_round_mode_16_64 0
		.amdhsa_float_denorm_mode_32 3
		.amdhsa_float_denorm_mode_16_64 3
		.amdhsa_dx10_clamp 1
		.amdhsa_ieee_mode 1
		.amdhsa_fp16_overflow 0
		.amdhsa_workgroup_processor_mode 1
		.amdhsa_memory_ordered 1
		.amdhsa_forward_progress 0
		.amdhsa_shared_vgpr_count 0
		.amdhsa_exception_fp_ieee_invalid_op 0
		.amdhsa_exception_fp_denorm_src 0
		.amdhsa_exception_fp_ieee_div_zero 0
		.amdhsa_exception_fp_ieee_overflow 0
		.amdhsa_exception_fp_ieee_underflow 0
		.amdhsa_exception_fp_ieee_inexact 0
		.amdhsa_exception_int_div_zero 0
	.end_amdhsa_kernel
	.section	.text._ZL37rocblas_syrkx_herkx_restricted_kernelIl19rocblas_complex_numIfELi16ELi32ELi8ELin1ELi0ELb1ELc84ELc76EKPKS1_KPS1_EviT_PT9_S7_lS9_S7_lPT10_S7_li,"axG",@progbits,_ZL37rocblas_syrkx_herkx_restricted_kernelIl19rocblas_complex_numIfELi16ELi32ELi8ELin1ELi0ELb1ELc84ELc76EKPKS1_KPS1_EviT_PT9_S7_lS9_S7_lPT10_S7_li,comdat
.Lfunc_end1714:
	.size	_ZL37rocblas_syrkx_herkx_restricted_kernelIl19rocblas_complex_numIfELi16ELi32ELi8ELin1ELi0ELb1ELc84ELc76EKPKS1_KPS1_EviT_PT9_S7_lS9_S7_lPT10_S7_li, .Lfunc_end1714-_ZL37rocblas_syrkx_herkx_restricted_kernelIl19rocblas_complex_numIfELi16ELi32ELi8ELin1ELi0ELb1ELc84ELc76EKPKS1_KPS1_EviT_PT9_S7_lS9_S7_lPT10_S7_li
                                        ; -- End function
	.section	.AMDGPU.csdata,"",@progbits
; Kernel info:
; codeLenInByte = 2292
; NumSgprs: 22
; NumVgprs: 91
; ScratchSize: 0
; MemoryBound: 0
; FloatMode: 240
; IeeeMode: 1
; LDSByteSize: 4096 bytes/workgroup (compile time only)
; SGPRBlocks: 2
; VGPRBlocks: 11
; NumSGPRsForWavesPerEU: 22
; NumVGPRsForWavesPerEU: 91
; Occupancy: 16
; WaveLimiterHint : 1
; COMPUTE_PGM_RSRC2:SCRATCH_EN: 0
; COMPUTE_PGM_RSRC2:USER_SGPR: 13
; COMPUTE_PGM_RSRC2:TRAP_HANDLER: 0
; COMPUTE_PGM_RSRC2:TGID_X_EN: 1
; COMPUTE_PGM_RSRC2:TGID_Y_EN: 1
; COMPUTE_PGM_RSRC2:TGID_Z_EN: 1
; COMPUTE_PGM_RSRC2:TIDIG_COMP_CNT: 1
	.section	.text._ZL37rocblas_syrkx_herkx_restricted_kernelIl19rocblas_complex_numIfELi16ELi32ELi8ELin1ELi0ELb1ELc67ELc76EKPKS1_KPS1_EviT_PT9_S7_lS9_S7_lPT10_S7_li,"axG",@progbits,_ZL37rocblas_syrkx_herkx_restricted_kernelIl19rocblas_complex_numIfELi16ELi32ELi8ELin1ELi0ELb1ELc67ELc76EKPKS1_KPS1_EviT_PT9_S7_lS9_S7_lPT10_S7_li,comdat
	.globl	_ZL37rocblas_syrkx_herkx_restricted_kernelIl19rocblas_complex_numIfELi16ELi32ELi8ELin1ELi0ELb1ELc67ELc76EKPKS1_KPS1_EviT_PT9_S7_lS9_S7_lPT10_S7_li ; -- Begin function _ZL37rocblas_syrkx_herkx_restricted_kernelIl19rocblas_complex_numIfELi16ELi32ELi8ELin1ELi0ELb1ELc67ELc76EKPKS1_KPS1_EviT_PT9_S7_lS9_S7_lPT10_S7_li
	.p2align	8
	.type	_ZL37rocblas_syrkx_herkx_restricted_kernelIl19rocblas_complex_numIfELi16ELi32ELi8ELin1ELi0ELb1ELc67ELc76EKPKS1_KPS1_EviT_PT9_S7_lS9_S7_lPT10_S7_li,@function
_ZL37rocblas_syrkx_herkx_restricted_kernelIl19rocblas_complex_numIfELi16ELi32ELi8ELin1ELi0ELb1ELc67ELc76EKPKS1_KPS1_EviT_PT9_S7_lS9_S7_lPT10_S7_li: ; @_ZL37rocblas_syrkx_herkx_restricted_kernelIl19rocblas_complex_numIfELi16ELi32ELi8ELin1ELi0ELb1ELc67ELc76EKPKS1_KPS1_EviT_PT9_S7_lS9_S7_lPT10_S7_li
; %bb.0:
	s_clause 0x1
	s_load_b128 s[4:7], s[0:1], 0x40
	s_load_b128 s[8:11], s[0:1], 0x8
	s_mov_b32 s2, s15
	s_mov_b32 s3, 0
	v_dual_mov_b32 v17, 0 :: v_dual_and_b32 v6, 0x3ff, v0
	s_lshl_b64 s[16:17], s[2:3], 3
	v_bfe_u32 v7, v0, 10, 10
	v_dual_mov_b32 v16, 0 :: v_dual_mov_b32 v11, 0
	v_dual_mov_b32 v10, 0 :: v_dual_mov_b32 v9, 0
	;; [unrolled: 1-line block ×3, first 2 shown]
	v_mov_b32_e32 v0, 0
	s_waitcnt lgkmcnt(0)
	s_add_u32 s2, s4, s16
	s_addc_u32 s3, s5, s17
	v_cmp_lt_i64_e64 s4, s[8:9], 1
	s_load_b64 s[2:3], s[2:3], 0x0
	s_lshl_b32 s18, s13, 5
	s_lshl_b32 s19, s14, 5
	s_delay_alu instid0(VALU_DEP_1)
	s_and_b32 vcc_lo, exec_lo, s4
	s_cbranch_vccnz .LBB1715_3
; %bb.1:
	s_clause 0x1
	s_load_b128 s[12:15], s[0:1], 0x28
	s_load_b64 s[4:5], s[0:1], 0x18
	v_lshl_add_u32 v2, v7, 4, v6
	v_dual_mov_b32 v1, 0 :: v_dual_and_b32 v0, 7, v6
	s_add_u32 s10, s10, s16
	s_addc_u32 s11, s11, s17
	s_delay_alu instid0(VALU_DEP_2)
	v_lshrrev_b32_e32 v10, 3, v2
	v_and_b32_e32 v11, 31, v2
	v_lshrrev_b32_e32 v2, 5, v2
	v_mov_b32_e32 v3, v1
	s_load_b64 s[10:11], s[10:11], 0x0
	v_add_nc_u32_e32 v12, s19, v10
	v_add_nc_u32_e32 v8, s18, v11
	v_dual_mov_b32 v16, v1 :: v_dual_lshlrev_b32 v11, 3, v11
	v_mov_b32_e32 v17, v1
	s_delay_alu instid0(VALU_DEP_4) | instskip(NEXT) | instid1(VALU_DEP_4)
	v_ashrrev_i32_e32 v4, 31, v12
	v_ashrrev_i32_e32 v5, 31, v8
	s_waitcnt lgkmcnt(0)
	s_add_u32 s12, s12, s16
	s_addc_u32 s13, s13, s17
	v_mul_lo_u32 v13, v4, s14
	v_mul_lo_u32 v14, s4, v5
	v_mad_u64_u32 v[4:5], null, s4, v8, v[2:3]
	v_mul_lo_u32 v3, s5, v8
	s_load_b64 s[4:5], s[12:13], 0x0
	v_mul_lo_u32 v15, v12, s15
	v_mad_u64_u32 v[8:9], null, v12, s14, v[0:1]
	v_lshlrev_b32_e32 v0, 3, v0
	v_lshlrev_b32_e32 v12, 3, v6
	v_add3_u32 v5, v3, v5, v14
	v_lshl_or_b32 v14, v2, 8, v11
	v_mov_b32_e32 v11, v1
	v_add3_u32 v9, v13, v9, v15
	v_lshl_or_b32 v0, v10, 6, v0
	v_lshlrev_b64 v[3:4], 3, v[4:5]
	v_lshl_add_u32 v13, v7, 6, 0x800
	v_mov_b32_e32 v10, v1
	v_lshlrev_b64 v[8:9], 3, v[8:9]
	v_add_nc_u32_e32 v15, 0x800, v0
	v_add_co_u32 v0, vcc_lo, v3, s10
	v_add_co_ci_u32_e32 v3, vcc_lo, s11, v4, vcc_lo
	s_waitcnt lgkmcnt(0)
	s_delay_alu instid0(VALU_DEP_4) | instskip(SKIP_3) | instid1(VALU_DEP_4)
	v_add_co_u32 v4, vcc_lo, v8, s4
	v_add_co_ci_u32_e32 v5, vcc_lo, s5, v9, vcc_lo
	v_add_co_u32 v2, vcc_lo, v0, 4
	v_add_co_ci_u32_e32 v3, vcc_lo, 0, v3, vcc_lo
	v_add_co_u32 v4, vcc_lo, v4, 4
	s_delay_alu instid0(VALU_DEP_4)
	v_add_co_ci_u32_e32 v5, vcc_lo, 0, v5, vcc_lo
	v_mov_b32_e32 v0, v1
	v_mov_b32_e32 v8, v1
	v_mov_b32_e32 v9, v1
	s_mov_b64 s[4:5], 0
.LBB1715_2:                             ; =>This Inner Loop Header: Depth=1
	global_load_b64 v[18:19], v[2:3], off offset:-4
	global_load_b64 v[20:21], v[4:5], off offset:-4
	s_add_u32 s4, s4, 8
	v_add_co_u32 v2, vcc_lo, v2, 64
	s_addc_u32 s5, s5, 0
	v_add_co_ci_u32_e32 v3, vcc_lo, 0, v3, vcc_lo
	v_cmp_ge_u64_e64 s10, s[4:5], s[8:9]
	v_add_co_u32 v4, vcc_lo, v4, 64
	v_add_co_ci_u32_e32 v5, vcc_lo, 0, v5, vcc_lo
	s_delay_alu instid0(VALU_DEP_3)
	s_and_b32 vcc_lo, exec_lo, s10
	s_waitcnt vmcnt(1)
	v_xor_b32_e32 v19, 0x80000000, v19
	ds_store_b64 v14, v[18:19]
	s_waitcnt vmcnt(0)
	ds_store_b64 v15, v[20:21]
	s_waitcnt lgkmcnt(0)
	s_barrier
	buffer_gl0_inv
	ds_load_2addr_b64 v[18:21], v12 offset1:16
	ds_load_b128 v[22:25], v13
	ds_load_b128 v[26:29], v13 offset:1024
	ds_load_b128 v[30:33], v13 offset:16
	;; [unrolled: 1-line block ×4, first 2 shown]
	ds_load_2addr_b64 v[42:45], v12 offset0:32 offset1:48
	ds_load_2addr_b64 v[46:49], v12 offset0:64 offset1:80
	ds_load_b128 v[50:53], v13 offset:1040
	ds_load_2addr_b64 v[54:57], v12 offset0:96 offset1:112
	ds_load_2addr_b64 v[58:61], v12 offset0:128 offset1:144
	;; [unrolled: 1-line block ×4, first 2 shown]
	ds_load_b128 v[70:73], v13 offset:1056
	ds_load_b128 v[74:77], v13 offset:1072
	ds_load_2addr_b64 v[78:81], v12 offset0:224 offset1:240
	s_waitcnt lgkmcnt(0)
	s_barrier
	buffer_gl0_inv
	v_dual_mul_f32 v82, v23, v19 :: v_dual_mul_f32 v85, v22, v21
	v_dual_mul_f32 v83, v22, v19 :: v_dual_mul_f32 v84, v23, v21
	v_mul_f32_e32 v86, v27, v19
	v_dual_mul_f32 v19, v26, v19 :: v_dual_mul_f32 v90, v25, v45
	v_dual_mul_f32 v87, v27, v21 :: v_dual_mul_f32 v88, v25, v43
	v_mul_f32_e32 v21, v26, v21
	v_fma_f32 v82, v22, v18, -v82
	v_fmac_f32_e32 v83, v23, v18
	v_fma_f32 v22, v22, v20, -v84
	v_fmac_f32_e32 v85, v23, v20
	v_fma_f32 v23, v26, v18, -v86
	v_dual_fmac_f32 v19, v27, v18 :: v_dual_mul_f32 v86, v30, v47
	v_fma_f32 v18, v26, v20, -v87
	v_dual_fmac_f32 v21, v27, v20 :: v_dual_mul_f32 v20, v24, v45
	v_mul_f32_e32 v89, v24, v43
	v_mul_f32_e32 v26, v29, v43
	;; [unrolled: 1-line block ×4, first 2 shown]
	v_fmac_f32_e32 v20, v25, v44
	v_fmac_f32_e32 v89, v25, v42
	v_dual_mul_f32 v25, v28, v45 :: v_dual_fmac_f32 v86, v31, v46
	v_fma_f32 v84, v24, v42, -v88
	v_fma_f32 v24, v24, v44, -v90
	v_dual_mul_f32 v45, v31, v47 :: v_dual_mul_f32 v90, v33, v57
	v_fma_f32 v26, v28, v42, -v26
	v_fma_f32 v28, v28, v44, -v43
	v_fmac_f32_e32 v25, v29, v44
	v_dual_mul_f32 v43, v50, v47 :: v_dual_mul_f32 v44, v51, v49
	v_dual_fmac_f32 v27, v29, v42 :: v_dual_mul_f32 v42, v51, v47
	v_dual_mul_f32 v88, v32, v55 :: v_dual_mul_f32 v29, v30, v49
	v_mul_f32_e32 v87, v31, v49
	v_fma_f32 v45, v30, v46, -v45
	v_add_f32_e32 v10, v10, v85
	s_delay_alu instid0(VALU_DEP_4)
	v_dual_fmac_f32 v88, v33, v54 :: v_dual_fmac_f32 v29, v31, v48
	v_fma_f32 v31, v50, v46, -v42
	v_fma_f32 v42, v50, v48, -v44
	v_mul_f32_e32 v44, v32, v57
	v_mul_f32_e32 v47, v50, v49
	v_dual_mul_f32 v50, v53, v57 :: v_dual_fmac_f32 v43, v51, v46
	v_mul_f32_e32 v46, v53, v55
	v_mul_f32_e32 v49, v33, v55
	v_fma_f32 v30, v30, v48, -v87
	v_fmac_f32_e32 v44, v33, v56
	v_dual_fmac_f32 v47, v51, v48 :: v_dual_mul_f32 v48, v52, v55
	v_mul_f32_e32 v33, v52, v57
	v_fma_f32 v46, v52, v54, -v46
	v_fma_f32 v50, v52, v56, -v50
	v_mul_f32_e32 v52, v34, v61
	v_fma_f32 v49, v32, v54, -v49
	v_fma_f32 v32, v32, v56, -v90
	v_dual_mul_f32 v51, v35, v59 :: v_dual_fmac_f32 v48, v53, v54
	v_mul_f32_e32 v54, v70, v59
	v_dual_mul_f32 v55, v34, v59 :: v_dual_fmac_f32 v52, v35, v60
	v_fmac_f32_e32 v33, v53, v56
	v_mul_f32_e32 v53, v71, v59
	v_mul_f32_e32 v56, v71, v61
	;; [unrolled: 1-line block ×3, first 2 shown]
	v_fmac_f32_e32 v54, v71, v58
	v_fmac_f32_e32 v55, v35, v58
	v_fma_f32 v35, v70, v58, -v53
	v_fma_f32 v53, v70, v60, -v56
	v_mul_f32_e32 v56, v36, v65
	v_mul_f32_e32 v59, v70, v61
	v_fma_f32 v51, v34, v58, -v51
	v_mul_f32_e32 v58, v72, v63
	v_mul_f32_e32 v87, v36, v63
	;; [unrolled: 1-line block ×4, first 2 shown]
	v_fma_f32 v34, v34, v60, -v57
	v_mul_f32_e32 v57, v73, v63
	v_fmac_f32_e32 v56, v37, v64
	v_dual_fmac_f32 v59, v71, v60 :: v_dual_mul_f32 v60, v73, v65
	v_mul_f32_e32 v63, v39, v67
	v_mul_f32_e32 v70, v39, v69
	v_fmac_f32_e32 v58, v73, v62
	v_fmac_f32_e32 v87, v37, v62
	v_mul_f32_e32 v37, v72, v65
	v_fma_f32 v61, v36, v62, -v61
	v_fma_f32 v36, v36, v64, -v90
	v_mul_f32_e32 v65, v38, v67
	v_fma_f32 v57, v72, v62, -v57
	v_fma_f32 v60, v72, v64, -v60
	v_dual_fmac_f32 v37, v73, v64 :: v_dual_mul_f32 v62, v38, v69
	v_mul_f32_e32 v64, v75, v67
	v_mul_f32_e32 v73, v40, v79
	v_fma_f32 v63, v38, v66, -v63
	v_fma_f32 v38, v38, v68, -v70
	v_mul_f32_e32 v70, v76, v79
	v_mul_f32_e32 v67, v74, v67
	v_dual_mul_f32 v71, v75, v69 :: v_dual_add_f32 v16, v16, v82
	v_dual_mul_f32 v69, v74, v69 :: v_dual_add_f32 v8, v8, v19
	v_fmac_f32_e32 v65, v39, v66
	v_fmac_f32_e32 v62, v39, v68
	s_delay_alu instid0(VALU_DEP_4)
	v_add_f32_e32 v16, v16, v84
	v_fma_f32 v39, v74, v66, -v64
	v_fmac_f32_e32 v70, v77, v78
	v_dual_fmac_f32 v67, v75, v66 :: v_dual_add_f32 v10, v10, v20
	v_mul_f32_e32 v66, v40, v81
	v_mul_f32_e32 v72, v41, v79
	;; [unrolled: 1-line block ×3, first 2 shown]
	v_fma_f32 v64, v74, v68, -v71
	v_dual_fmac_f32 v69, v75, v68 :: v_dual_add_f32 v0, v0, v18
	v_dual_mul_f32 v71, v77, v81 :: v_dual_add_f32 v8, v8, v27
	v_fmac_f32_e32 v73, v41, v78
	v_fmac_f32_e32 v66, v41, v80
	s_delay_alu instid0(VALU_DEP_4) | instskip(SKIP_3) | instid1(VALU_DEP_4)
	v_dual_add_f32 v0, v0, v28 :: v_dual_add_f32 v17, v17, v83
	v_add_f32_e32 v10, v10, v29
	v_mul_f32_e32 v41, v76, v81
	v_dual_add_f32 v11, v11, v22 :: v_dual_add_f32 v8, v8, v43
	v_dual_add_f32 v9, v9, v23 :: v_dual_add_f32 v0, v0, v42
	v_add_f32_e32 v1, v1, v21
	v_add_f32_e32 v16, v16, v45
	s_delay_alu instid0(VALU_DEP_4)
	v_add_f32_e32 v8, v8, v48
	v_add_f32_e32 v10, v10, v44
	v_fmac_f32_e32 v41, v77, v80
	v_dual_add_f32 v17, v17, v89 :: v_dual_add_f32 v0, v0, v50
	v_dual_add_f32 v11, v11, v24 :: v_dual_add_f32 v16, v16, v49
	v_add_f32_e32 v9, v9, v26
	v_dual_add_f32 v1, v1, v25 :: v_dual_add_f32 v10, v10, v52
	s_delay_alu instid0(VALU_DEP_4) | instskip(NEXT) | instid1(VALU_DEP_4)
	v_dual_add_f32 v17, v17, v86 :: v_dual_add_f32 v0, v0, v53
	v_dual_add_f32 v16, v16, v51 :: v_dual_add_f32 v11, v11, v30
	s_delay_alu instid0(VALU_DEP_4) | instskip(NEXT) | instid1(VALU_DEP_4)
	v_dual_add_f32 v9, v9, v31 :: v_dual_add_f32 v8, v8, v54
	v_dual_add_f32 v1, v1, v47 :: v_dual_add_f32 v10, v10, v56
	s_delay_alu instid0(VALU_DEP_4) | instskip(NEXT) | instid1(VALU_DEP_3)
	v_add_f32_e32 v17, v17, v88
	v_dual_add_f32 v9, v9, v46 :: v_dual_add_f32 v0, v0, v60
	s_delay_alu instid0(VALU_DEP_3) | instskip(SKIP_2) | instid1(VALU_DEP_3)
	v_dual_add_f32 v1, v1, v33 :: v_dual_add_f32 v10, v10, v62
	v_dual_add_f32 v16, v16, v61 :: v_dual_add_f32 v11, v11, v32
	v_fma_f32 v72, v40, v78, -v72
	v_dual_add_f32 v1, v1, v59 :: v_dual_add_f32 v10, v10, v66
	v_dual_add_f32 v8, v8, v58 :: v_dual_add_f32 v17, v17, v55
	v_add_f32_e32 v0, v0, v64
	v_dual_add_f32 v16, v16, v63 :: v_dual_add_f32 v11, v11, v34
	s_delay_alu instid0(VALU_DEP_3) | instskip(SKIP_2) | instid1(VALU_DEP_4)
	v_add_f32_e32 v8, v8, v67
	v_add_f32_e32 v9, v9, v35
	v_mul_f32_e32 v68, v77, v79
	v_add_f32_e32 v16, v16, v72
	v_fma_f32 v71, v76, v80, -v71
	v_dual_add_f32 v17, v17, v87 :: v_dual_add_f32 v8, v8, v70
	v_add_f32_e32 v11, v11, v36
	s_delay_alu instid0(VALU_DEP_3)
	v_dual_add_f32 v9, v9, v57 :: v_dual_add_f32 v0, v0, v71
	v_add_f32_e32 v1, v1, v37
	v_fma_f32 v40, v40, v80, -v90
	v_fma_f32 v68, v76, v78, -v68
	v_add_f32_e32 v17, v17, v65
	v_add_f32_e32 v11, v11, v38
	;; [unrolled: 1-line block ×4, first 2 shown]
	s_delay_alu instid0(VALU_DEP_4) | instskip(NEXT) | instid1(VALU_DEP_4)
	v_add_f32_e32 v17, v17, v73
	v_add_f32_e32 v11, v11, v40
	s_delay_alu instid0(VALU_DEP_4) | instskip(NEXT) | instid1(VALU_DEP_4)
	v_add_f32_e32 v9, v9, v68
	v_add_f32_e32 v1, v1, v41
	s_cbranch_vccz .LBB1715_2
.LBB1715_3:
	v_add_nc_u32_e32 v7, s19, v7
	s_load_b32 s4, s[0:1], 0x0
	s_delay_alu instid0(VALU_DEP_1) | instskip(SKIP_2) | instid1(VALU_DEP_3)
	v_ashrrev_i32_e32 v2, 31, v7
	v_mul_lo_u32 v5, v7, s7
	v_mad_u64_u32 v[3:4], null, v7, s6, 0
	v_mul_lo_u32 v2, v2, s6
	s_delay_alu instid0(VALU_DEP_1) | instskip(SKIP_1) | instid1(VALU_DEP_2)
	v_add3_u32 v4, v4, v5, v2
	v_add_nc_u32_e32 v2, s18, v6
	v_lshlrev_b64 v[3:4], 3, v[3:4]
	s_delay_alu instid0(VALU_DEP_2) | instskip(SKIP_2) | instid1(VALU_DEP_3)
	v_cmp_le_i32_e64 s0, v7, v2
	s_waitcnt lgkmcnt(0)
	v_cmp_gt_i32_e32 vcc_lo, s4, v2
	v_add_co_u32 v6, s1, s2, v3
	s_delay_alu instid0(VALU_DEP_1) | instskip(SKIP_1) | instid1(SALU_CYCLE_1)
	v_add_co_ci_u32_e64 v12, s1, s3, v4, s1
	s_and_b32 s0, s0, vcc_lo
	s_and_saveexec_b32 s1, s0
	s_cbranch_execz .LBB1715_6
; %bb.4:
	v_ashrrev_i32_e32 v3, 31, v2
	v_xor_b32_e32 v13, 0x80000000, v16
	v_xor_b32_e32 v14, 0x80000000, v17
	s_delay_alu instid0(VALU_DEP_3) | instskip(NEXT) | instid1(VALU_DEP_1)
	v_lshlrev_b64 v[3:4], 3, v[2:3]
	v_add_co_u32 v3, s0, v6, v3
	s_delay_alu instid0(VALU_DEP_1)
	v_add_co_ci_u32_e64 v4, s0, v12, v4, s0
	v_cmp_eq_u32_e64 s0, v7, v2
	global_store_b64 v[3:4], v[13:14], off
	s_and_b32 exec_lo, exec_lo, s0
	s_cbranch_execz .LBB1715_6
; %bb.5:
	v_mov_b32_e32 v5, 0
	global_store_b32 v[3:4], v5, off offset:4
.LBB1715_6:
	s_or_b32 exec_lo, exec_lo, s1
	v_add_nc_u32_e32 v4, 16, v2
	s_delay_alu instid0(VALU_DEP_1) | instskip(SKIP_1) | instid1(VALU_DEP_1)
	v_cmp_le_i32_e64 s1, v7, v4
	v_cmp_gt_i32_e64 s0, s4, v4
	s_and_b32 s1, s1, s0
	s_delay_alu instid0(SALU_CYCLE_1)
	s_and_saveexec_b32 s4, s1
	s_cbranch_execz .LBB1715_9
; %bb.7:
	v_ashrrev_i32_e32 v5, 31, v4
	v_xor_b32_e32 v15, 0x80000000, v11
	v_xor_b32_e32 v16, 0x80000000, v10
	s_delay_alu instid0(VALU_DEP_3) | instskip(NEXT) | instid1(VALU_DEP_1)
	v_lshlrev_b64 v[13:14], 3, v[4:5]
	v_add_co_u32 v5, s1, v6, v13
	s_delay_alu instid0(VALU_DEP_1)
	v_add_co_ci_u32_e64 v6, s1, v12, v14, s1
	v_cmp_eq_u32_e64 s1, v7, v4
	global_store_b64 v[5:6], v[15:16], off
	s_and_b32 exec_lo, exec_lo, s1
	s_cbranch_execz .LBB1715_9
; %bb.8:
	v_mov_b32_e32 v3, 0
	global_store_b32 v[5:6], v3, off offset:4
.LBB1715_9:
	s_or_b32 exec_lo, exec_lo, s4
	v_add_nc_u32_e32 v12, 16, v7
	s_delay_alu instid0(VALU_DEP_1) | instskip(SKIP_3) | instid1(VALU_DEP_4)
	v_ashrrev_i32_e32 v3, 31, v12
	v_mul_lo_u32 v10, v12, s7
	v_mad_u64_u32 v[5:6], null, v12, s6, 0
	v_cmp_le_i32_e64 s1, v12, v2
	v_mul_lo_u32 v3, v3, s6
	s_delay_alu instid0(VALU_DEP_1) | instskip(NEXT) | instid1(VALU_DEP_1)
	v_add3_u32 v6, v6, v10, v3
	v_lshlrev_b64 v[5:6], 3, v[5:6]
	s_delay_alu instid0(VALU_DEP_1) | instskip(NEXT) | instid1(VALU_DEP_1)
	v_add_co_u32 v10, s2, s2, v5
	v_add_co_ci_u32_e64 v11, s2, s3, v6, s2
	s_and_b32 s2, s1, vcc_lo
	s_delay_alu instid0(SALU_CYCLE_1)
	s_and_saveexec_b32 s1, s2
	s_cbranch_execz .LBB1715_12
; %bb.10:
	v_ashrrev_i32_e32 v3, 31, v2
	v_xor_b32_e32 v13, 0x80000000, v9
	v_xor_b32_e32 v14, 0x80000000, v8
	s_delay_alu instid0(VALU_DEP_3) | instskip(NEXT) | instid1(VALU_DEP_1)
	v_lshlrev_b64 v[5:6], 3, v[2:3]
	v_add_co_u32 v5, vcc_lo, v10, v5
	s_delay_alu instid0(VALU_DEP_2)
	v_add_co_ci_u32_e32 v6, vcc_lo, v11, v6, vcc_lo
	v_cmp_eq_u32_e32 vcc_lo, v12, v2
	global_store_b64 v[5:6], v[13:14], off
	s_and_b32 exec_lo, exec_lo, vcc_lo
	s_cbranch_execz .LBB1715_12
; %bb.11:
	v_mov_b32_e32 v3, 0
	global_store_b32 v[5:6], v3, off offset:4
.LBB1715_12:
	s_or_b32 exec_lo, exec_lo, s1
	v_cmp_le_i32_e32 vcc_lo, v12, v4
	s_and_b32 s0, vcc_lo, s0
	s_delay_alu instid0(SALU_CYCLE_1)
	s_and_saveexec_b32 s1, s0
	s_cbranch_execz .LBB1715_15
; %bb.13:
	v_ashrrev_i32_e32 v5, 31, v4
	v_xor_b32_e32 v6, 0x80000000, v1
	s_delay_alu instid0(VALU_DEP_2) | instskip(SKIP_1) | instid1(VALU_DEP_2)
	v_lshlrev_b64 v[3:4], 3, v[4:5]
	v_xor_b32_e32 v5, 0x80000000, v0
	v_add_co_u32 v0, vcc_lo, v10, v3
	s_delay_alu instid0(VALU_DEP_3)
	v_add_co_ci_u32_e32 v1, vcc_lo, v11, v4, vcc_lo
	v_cmp_eq_u32_e32 vcc_lo, v7, v2
	global_store_b64 v[0:1], v[5:6], off
	s_and_b32 exec_lo, exec_lo, vcc_lo
	s_cbranch_execz .LBB1715_15
; %bb.14:
	v_mov_b32_e32 v2, 0
	global_store_b32 v[0:1], v2, off offset:4
.LBB1715_15:
	s_nop 0
	s_sendmsg sendmsg(MSG_DEALLOC_VGPRS)
	s_endpgm
	.section	.rodata,"a",@progbits
	.p2align	6, 0x0
	.amdhsa_kernel _ZL37rocblas_syrkx_herkx_restricted_kernelIl19rocblas_complex_numIfELi16ELi32ELi8ELin1ELi0ELb1ELc67ELc76EKPKS1_KPS1_EviT_PT9_S7_lS9_S7_lPT10_S7_li
		.amdhsa_group_segment_fixed_size 4096
		.amdhsa_private_segment_fixed_size 0
		.amdhsa_kernarg_size 92
		.amdhsa_user_sgpr_count 13
		.amdhsa_user_sgpr_dispatch_ptr 0
		.amdhsa_user_sgpr_queue_ptr 0
		.amdhsa_user_sgpr_kernarg_segment_ptr 1
		.amdhsa_user_sgpr_dispatch_id 0
		.amdhsa_user_sgpr_private_segment_size 0
		.amdhsa_wavefront_size32 1
		.amdhsa_uses_dynamic_stack 0
		.amdhsa_enable_private_segment 0
		.amdhsa_system_sgpr_workgroup_id_x 1
		.amdhsa_system_sgpr_workgroup_id_y 1
		.amdhsa_system_sgpr_workgroup_id_z 1
		.amdhsa_system_sgpr_workgroup_info 0
		.amdhsa_system_vgpr_workitem_id 1
		.amdhsa_next_free_vgpr 91
		.amdhsa_next_free_sgpr 20
		.amdhsa_reserve_vcc 1
		.amdhsa_float_round_mode_32 0
		.amdhsa_float_round_mode_16_64 0
		.amdhsa_float_denorm_mode_32 3
		.amdhsa_float_denorm_mode_16_64 3
		.amdhsa_dx10_clamp 1
		.amdhsa_ieee_mode 1
		.amdhsa_fp16_overflow 0
		.amdhsa_workgroup_processor_mode 1
		.amdhsa_memory_ordered 1
		.amdhsa_forward_progress 0
		.amdhsa_shared_vgpr_count 0
		.amdhsa_exception_fp_ieee_invalid_op 0
		.amdhsa_exception_fp_denorm_src 0
		.amdhsa_exception_fp_ieee_div_zero 0
		.amdhsa_exception_fp_ieee_overflow 0
		.amdhsa_exception_fp_ieee_underflow 0
		.amdhsa_exception_fp_ieee_inexact 0
		.amdhsa_exception_int_div_zero 0
	.end_amdhsa_kernel
	.section	.text._ZL37rocblas_syrkx_herkx_restricted_kernelIl19rocblas_complex_numIfELi16ELi32ELi8ELin1ELi0ELb1ELc67ELc76EKPKS1_KPS1_EviT_PT9_S7_lS9_S7_lPT10_S7_li,"axG",@progbits,_ZL37rocblas_syrkx_herkx_restricted_kernelIl19rocblas_complex_numIfELi16ELi32ELi8ELin1ELi0ELb1ELc67ELc76EKPKS1_KPS1_EviT_PT9_S7_lS9_S7_lPT10_S7_li,comdat
.Lfunc_end1715:
	.size	_ZL37rocblas_syrkx_herkx_restricted_kernelIl19rocblas_complex_numIfELi16ELi32ELi8ELin1ELi0ELb1ELc67ELc76EKPKS1_KPS1_EviT_PT9_S7_lS9_S7_lPT10_S7_li, .Lfunc_end1715-_ZL37rocblas_syrkx_herkx_restricted_kernelIl19rocblas_complex_numIfELi16ELi32ELi8ELin1ELi0ELb1ELc67ELc76EKPKS1_KPS1_EviT_PT9_S7_lS9_S7_lPT10_S7_li
                                        ; -- End function
	.section	.AMDGPU.csdata,"",@progbits
; Kernel info:
; codeLenInByte = 2304
; NumSgprs: 22
; NumVgprs: 91
; ScratchSize: 0
; MemoryBound: 0
; FloatMode: 240
; IeeeMode: 1
; LDSByteSize: 4096 bytes/workgroup (compile time only)
; SGPRBlocks: 2
; VGPRBlocks: 11
; NumSGPRsForWavesPerEU: 22
; NumVGPRsForWavesPerEU: 91
; Occupancy: 16
; WaveLimiterHint : 1
; COMPUTE_PGM_RSRC2:SCRATCH_EN: 0
; COMPUTE_PGM_RSRC2:USER_SGPR: 13
; COMPUTE_PGM_RSRC2:TRAP_HANDLER: 0
; COMPUTE_PGM_RSRC2:TGID_X_EN: 1
; COMPUTE_PGM_RSRC2:TGID_Y_EN: 1
; COMPUTE_PGM_RSRC2:TGID_Z_EN: 1
; COMPUTE_PGM_RSRC2:TIDIG_COMP_CNT: 1
	.section	.text._ZL37rocblas_syrkx_herkx_restricted_kernelIl19rocblas_complex_numIfELi16ELi32ELi8ELin1ELi0ELb1ELc78ELc76EKPKS1_KPS1_EviT_PT9_S7_lS9_S7_lPT10_S7_li,"axG",@progbits,_ZL37rocblas_syrkx_herkx_restricted_kernelIl19rocblas_complex_numIfELi16ELi32ELi8ELin1ELi0ELb1ELc78ELc76EKPKS1_KPS1_EviT_PT9_S7_lS9_S7_lPT10_S7_li,comdat
	.globl	_ZL37rocblas_syrkx_herkx_restricted_kernelIl19rocblas_complex_numIfELi16ELi32ELi8ELin1ELi0ELb1ELc78ELc76EKPKS1_KPS1_EviT_PT9_S7_lS9_S7_lPT10_S7_li ; -- Begin function _ZL37rocblas_syrkx_herkx_restricted_kernelIl19rocblas_complex_numIfELi16ELi32ELi8ELin1ELi0ELb1ELc78ELc76EKPKS1_KPS1_EviT_PT9_S7_lS9_S7_lPT10_S7_li
	.p2align	8
	.type	_ZL37rocblas_syrkx_herkx_restricted_kernelIl19rocblas_complex_numIfELi16ELi32ELi8ELin1ELi0ELb1ELc78ELc76EKPKS1_KPS1_EviT_PT9_S7_lS9_S7_lPT10_S7_li,@function
_ZL37rocblas_syrkx_herkx_restricted_kernelIl19rocblas_complex_numIfELi16ELi32ELi8ELin1ELi0ELb1ELc78ELc76EKPKS1_KPS1_EviT_PT9_S7_lS9_S7_lPT10_S7_li: ; @_ZL37rocblas_syrkx_herkx_restricted_kernelIl19rocblas_complex_numIfELi16ELi32ELi8ELin1ELi0ELb1ELc78ELc76EKPKS1_KPS1_EviT_PT9_S7_lS9_S7_lPT10_S7_li
; %bb.0:
	s_clause 0x1
	s_load_b128 s[4:7], s[0:1], 0x40
	s_load_b128 s[8:11], s[0:1], 0x8
	s_mov_b32 s2, s15
	s_mov_b32 s3, 0
	v_dual_mov_b32 v17, 0 :: v_dual_and_b32 v4, 0x3ff, v0
	s_lshl_b64 s[16:17], s[2:3], 3
	v_bfe_u32 v6, v0, 10, 10
	v_dual_mov_b32 v16, 0 :: v_dual_mov_b32 v13, 0
	v_dual_mov_b32 v12, 0 :: v_dual_mov_b32 v9, 0
	;; [unrolled: 1-line block ×3, first 2 shown]
	v_mov_b32_e32 v5, 0
	s_waitcnt lgkmcnt(0)
	s_add_u32 s2, s4, s16
	s_addc_u32 s3, s5, s17
	v_cmp_lt_i64_e64 s4, s[8:9], 1
	s_load_b64 s[2:3], s[2:3], 0x0
	s_lshl_b32 s18, s13, 5
	s_lshl_b32 s19, s14, 5
	s_delay_alu instid0(VALU_DEP_1)
	s_and_b32 vcc_lo, exec_lo, s4
	s_cbranch_vccnz .LBB1716_3
; %bb.1:
	v_lshl_add_u32 v1, v6, 4, v4
	s_clause 0x1
	s_load_b64 s[4:5], s[0:1], 0x18
	s_load_b128 s[12:15], s[0:1], 0x28
	s_add_u32 s10, s10, s16
	s_addc_u32 s11, s11, s17
	v_lshl_add_u32 v11, v6, 6, 0x800
	v_dual_mov_b32 v5, 0 :: v_dual_and_b32 v14, 31, v1
	v_lshrrev_b32_e32 v15, 3, v1
	v_lshrrev_b32_e32 v16, 5, v1
	s_load_b64 s[10:11], s[10:11], 0x0
	s_delay_alu instid0(VALU_DEP_3) | instskip(SKIP_2) | instid1(VALU_DEP_3)
	v_add_nc_u32_e32 v0, s18, v14
	v_lshlrev_b32_e32 v14, 3, v14
	v_dual_mov_b32 v17, 0 :: v_dual_add_nc_u32 v2, s19, v15
	v_ashrrev_i32_e32 v1, 31, v0
	s_delay_alu instid0(VALU_DEP_2) | instskip(SKIP_1) | instid1(VALU_DEP_2)
	v_ashrrev_i32_e32 v3, 31, v2
	s_waitcnt lgkmcnt(0)
	v_mad_u64_u32 v[12:13], null, v16, s4, v[0:1]
	v_and_b32_e32 v7, 7, v4
	s_add_u32 s12, s12, s16
	s_addc_u32 s13, s13, s17
	s_load_b64 s[12:13], s[12:13], 0x0
	s_delay_alu instid0(VALU_DEP_1) | instskip(NEXT) | instid1(VALU_DEP_3)
	v_mad_u64_u32 v[0:1], null, v7, s14, v[2:3]
	v_mov_b32_e32 v2, v13
	s_delay_alu instid0(VALU_DEP_1) | instskip(NEXT) | instid1(VALU_DEP_3)
	v_mad_u64_u32 v[8:9], null, v16, s5, v[2:3]
	v_mad_u64_u32 v[2:3], null, v7, s15, v[1:2]
	v_lshlrev_b32_e32 v1, 3, v7
	v_dual_mov_b32 v7, 0 :: v_dual_lshlrev_b32 v10, 3, v4
	v_mov_b32_e32 v9, 0
	v_dual_mov_b32 v13, v8 :: v_dual_mov_b32 v8, 0
	s_delay_alu instid0(VALU_DEP_4) | instskip(SKIP_2) | instid1(VALU_DEP_4)
	v_lshl_or_b32 v15, v15, 6, v1
	v_mov_b32_e32 v1, v2
	v_lshl_or_b32 v14, v16, 8, v14
	v_lshlrev_b64 v[2:3], 3, v[12:13]
	s_lshl_b64 s[4:5], s[4:5], 6
	v_add_nc_u32_e32 v15, 0x800, v15
	v_lshlrev_b64 v[0:1], 3, v[0:1]
	v_mov_b32_e32 v16, 0
	s_delay_alu instid0(VALU_DEP_4) | instskip(SKIP_2) | instid1(VALU_DEP_4)
	v_add_co_u32 v2, vcc_lo, v2, s10
	v_add_co_ci_u32_e32 v3, vcc_lo, s11, v3, vcc_lo
	s_waitcnt lgkmcnt(0)
	v_add_co_u32 v12, vcc_lo, v0, s12
	v_add_co_ci_u32_e32 v13, vcc_lo, s13, v1, vcc_lo
	v_add_co_u32 v0, vcc_lo, v2, 4
	v_add_co_ci_u32_e32 v1, vcc_lo, 0, v3, vcc_lo
	s_delay_alu instid0(VALU_DEP_4)
	v_add_co_u32 v2, vcc_lo, v12, 4
	v_mov_b32_e32 v12, 0
	v_add_co_ci_u32_e32 v3, vcc_lo, 0, v13, vcc_lo
	v_mov_b32_e32 v13, 0
	s_lshl_b64 s[10:11], s[14:15], 6
	s_mov_b64 s[12:13], 0
.LBB1716_2:                             ; =>This Inner Loop Header: Depth=1
	global_load_b64 v[18:19], v[2:3], off offset:-4
	global_load_b64 v[20:21], v[0:1], off offset:-4
	s_add_u32 s12, s12, 8
	v_add_co_u32 v0, vcc_lo, v0, s4
	s_addc_u32 s13, s13, 0
	v_add_co_ci_u32_e32 v1, vcc_lo, s5, v1, vcc_lo
	v_cmp_ge_u64_e64 s14, s[12:13], s[8:9]
	v_add_co_u32 v2, vcc_lo, v2, s10
	v_add_co_ci_u32_e32 v3, vcc_lo, s11, v3, vcc_lo
	s_delay_alu instid0(VALU_DEP_3)
	s_and_b32 vcc_lo, exec_lo, s14
	s_waitcnt vmcnt(1)
	v_xor_b32_e32 v19, 0x80000000, v19
	s_waitcnt vmcnt(0)
	ds_store_b64 v14, v[20:21]
	ds_store_b64 v15, v[18:19]
	s_waitcnt lgkmcnt(0)
	s_barrier
	buffer_gl0_inv
	ds_load_2addr_b64 v[18:21], v10 offset1:16
	ds_load_b128 v[22:25], v11
	ds_load_b128 v[26:29], v11 offset:1024
	ds_load_b128 v[30:33], v11 offset:16
	;; [unrolled: 1-line block ×4, first 2 shown]
	ds_load_2addr_b64 v[42:45], v10 offset0:32 offset1:48
	ds_load_2addr_b64 v[46:49], v10 offset0:64 offset1:80
	ds_load_b128 v[50:53], v11 offset:1040
	ds_load_2addr_b64 v[54:57], v10 offset0:96 offset1:112
	ds_load_2addr_b64 v[58:61], v10 offset0:128 offset1:144
	;; [unrolled: 1-line block ×4, first 2 shown]
	ds_load_b128 v[70:73], v11 offset:1056
	ds_load_b128 v[74:77], v11 offset:1072
	ds_load_2addr_b64 v[78:81], v10 offset0:224 offset1:240
	s_waitcnt lgkmcnt(0)
	s_barrier
	buffer_gl0_inv
	v_dual_mul_f32 v82, v23, v19 :: v_dual_mul_f32 v85, v22, v21
	v_dual_mul_f32 v83, v22, v19 :: v_dual_mul_f32 v84, v23, v21
	v_mul_f32_e32 v86, v27, v19
	v_dual_mul_f32 v19, v26, v19 :: v_dual_mul_f32 v90, v25, v45
	v_dual_mul_f32 v87, v27, v21 :: v_dual_mul_f32 v88, v25, v43
	v_mul_f32_e32 v21, v26, v21
	v_mul_f32_e32 v89, v24, v43
	v_mul_f32_e32 v91, v24, v45
	v_fma_f32 v82, v22, v18, -v82
	v_fmac_f32_e32 v83, v23, v18
	v_fma_f32 v22, v22, v20, -v84
	v_dual_fmac_f32 v85, v23, v20 :: v_dual_mul_f32 v84, v30, v47
	v_fma_f32 v23, v26, v18, -v86
	v_fmac_f32_e32 v19, v27, v18
	v_fma_f32 v18, v26, v20, -v87
	v_dual_mul_f32 v26, v28, v43 :: v_dual_fmac_f32 v21, v27, v20
	v_mul_f32_e32 v20, v29, v43
	v_mul_f32_e32 v27, v29, v45
	v_dual_mul_f32 v43, v28, v45 :: v_dual_fmac_f32 v84, v31, v46
	v_fma_f32 v45, v24, v42, -v88
	v_fma_f32 v24, v24, v44, -v90
	v_dual_fmac_f32 v91, v25, v44 :: v_dual_mul_f32 v90, v32, v57
	v_dual_mul_f32 v86, v31, v49 :: v_dual_fmac_f32 v89, v25, v42
	v_dual_mul_f32 v25, v31, v47 :: v_dual_mul_f32 v88, v33, v57
	v_fma_f32 v20, v28, v42, -v20
	v_fmac_f32_e32 v26, v29, v42
	v_fma_f32 v27, v28, v44, -v27
	v_dual_fmac_f32 v43, v29, v44 :: v_dual_mul_f32 v28, v51, v47
	v_dual_mul_f32 v29, v50, v47 :: v_dual_mul_f32 v42, v51, v49
	v_mul_f32_e32 v44, v50, v49
	v_mul_f32_e32 v87, v30, v49
	;; [unrolled: 1-line block ×3, first 2 shown]
	v_dual_mul_f32 v49, v32, v55 :: v_dual_fmac_f32 v90, v33, v56
	v_fma_f32 v25, v30, v46, -v25
	v_fma_f32 v30, v30, v48, -v86
	;; [unrolled: 1-line block ×3, first 2 shown]
	v_fmac_f32_e32 v44, v51, v48
	v_fmac_f32_e32 v87, v31, v48
	v_fma_f32 v31, v50, v48, -v42
	v_mul_f32_e32 v42, v53, v55
	v_mul_f32_e32 v48, v53, v57
	v_dual_mul_f32 v50, v52, v57 :: v_dual_fmac_f32 v29, v51, v46
	v_mul_f32_e32 v46, v52, v55
	v_fma_f32 v47, v32, v54, -v47
	v_fmac_f32_e32 v49, v33, v54
	v_fma_f32 v32, v32, v56, -v88
	s_delay_alu instid0(VALU_DEP_4)
	v_dual_mul_f32 v33, v35, v59 :: v_dual_fmac_f32 v46, v53, v54
	v_mul_f32_e32 v51, v34, v59
	v_mul_f32_e32 v55, v35, v61
	v_fma_f32 v42, v52, v54, -v42
	v_fma_f32 v48, v52, v56, -v48
	v_fmac_f32_e32 v50, v53, v56
	v_mul_f32_e32 v52, v71, v59
	v_dual_mul_f32 v53, v70, v59 :: v_dual_mul_f32 v86, v37, v65
	v_mul_f32_e32 v54, v71, v61
	v_dual_mul_f32 v56, v70, v61 :: v_dual_mul_f32 v59, v37, v63
	v_mul_f32_e32 v57, v34, v61
	v_mul_f32_e32 v61, v36, v63
	v_dual_mul_f32 v88, v36, v65 :: v_dual_fmac_f32 v51, v35, v58
	v_fma_f32 v33, v34, v58, -v33
	v_fmac_f32_e32 v53, v71, v58
	v_fmac_f32_e32 v56, v71, v60
	s_delay_alu instid0(VALU_DEP_4)
	v_fmac_f32_e32 v88, v37, v64
	v_fmac_f32_e32 v57, v35, v60
	v_fma_f32 v35, v70, v58, -v52
	v_fma_f32 v52, v70, v60, -v54
	v_mul_f32_e32 v54, v73, v63
	v_fma_f32 v34, v34, v60, -v55
	v_mul_f32_e32 v60, v72, v65
	v_dual_mul_f32 v55, v72, v63 :: v_dual_mul_f32 v70, v38, v69
	v_mul_f32_e32 v58, v73, v65
	v_fma_f32 v59, v36, v62, -v59
	v_fmac_f32_e32 v61, v37, v62
	v_fma_f32 v36, v36, v64, -v86
	v_dual_mul_f32 v37, v39, v67 :: v_dual_fmac_f32 v60, v73, v64
	v_dual_mul_f32 v63, v38, v67 :: v_dual_mul_f32 v86, v40, v81
	v_mul_f32_e32 v65, v39, v69
	v_fma_f32 v54, v72, v62, -v54
	v_fmac_f32_e32 v55, v73, v62
	v_fma_f32 v58, v72, v64, -v58
	v_mul_f32_e32 v72, v40, v79
	v_mul_f32_e32 v62, v75, v67
	v_dual_mul_f32 v64, v74, v67 :: v_dual_mul_f32 v67, v75, v69
	v_dual_mul_f32 v69, v74, v69 :: v_dual_fmac_f32 v70, v39, v68
	s_delay_alu instid0(VALU_DEP_2)
	v_dual_mul_f32 v71, v41, v79 :: v_dual_fmac_f32 v64, v75, v66
	v_dual_mul_f32 v73, v41, v81 :: v_dual_add_f32 v16, v16, v82
	v_fma_f32 v37, v38, v66, -v37
	v_fmac_f32_e32 v63, v39, v66
	v_fma_f32 v38, v38, v68, -v65
	v_fma_f32 v39, v74, v66, -v62
	v_dual_mul_f32 v65, v77, v79 :: v_dual_add_f32 v12, v12, v85
	v_mul_f32_e32 v66, v76, v79
	v_fma_f32 v62, v74, v68, -v67
	v_dual_mul_f32 v67, v77, v81 :: v_dual_add_f32 v8, v8, v19
	v_dual_add_f32 v17, v17, v83 :: v_dual_add_f32 v16, v16, v45
	v_dual_add_f32 v13, v13, v22 :: v_dual_add_f32 v12, v12, v91
	s_delay_alu instid0(VALU_DEP_3) | instskip(SKIP_1) | instid1(VALU_DEP_3)
	v_dual_add_f32 v9, v9, v23 :: v_dual_add_f32 v8, v8, v26
	v_dual_fmac_f32 v86, v41, v80 :: v_dual_add_f32 v7, v7, v18
	v_dual_add_f32 v5, v5, v21 :: v_dual_add_f32 v12, v12, v87
	s_delay_alu instid0(VALU_DEP_4)
	v_dual_add_f32 v13, v13, v24 :: v_dual_add_f32 v16, v16, v25
	v_add_f32_e32 v17, v17, v89
	v_dual_add_f32 v9, v9, v20 :: v_dual_add_f32 v8, v8, v29
	v_dual_fmac_f32 v69, v75, v68 :: v_dual_fmac_f32 v72, v41, v78
	v_mul_f32_e32 v68, v76, v81
	v_dual_fmac_f32 v66, v77, v78 :: v_dual_add_f32 v7, v7, v27
	v_dual_add_f32 v5, v5, v43 :: v_dual_add_f32 v12, v12, v90
	v_dual_add_f32 v16, v16, v47 :: v_dual_add_f32 v17, v17, v84
	v_add_f32_e32 v8, v8, v46
	s_delay_alu instid0(VALU_DEP_4) | instskip(NEXT) | instid1(VALU_DEP_3)
	v_dual_fmac_f32 v68, v77, v80 :: v_dual_add_f32 v7, v7, v31
	v_dual_add_f32 v13, v13, v30 :: v_dual_add_f32 v16, v16, v33
	v_dual_add_f32 v9, v9, v28 :: v_dual_add_f32 v12, v12, v57
	s_delay_alu instid0(VALU_DEP_4) | instskip(NEXT) | instid1(VALU_DEP_3)
	v_dual_add_f32 v5, v5, v44 :: v_dual_add_f32 v8, v8, v53
	v_dual_add_f32 v17, v17, v49 :: v_dual_add_f32 v16, v16, v59
	s_delay_alu instid0(VALU_DEP_4) | instskip(NEXT) | instid1(VALU_DEP_4)
	v_add_f32_e32 v13, v13, v32
	v_dual_add_f32 v9, v9, v42 :: v_dual_add_f32 v12, v12, v88
	s_delay_alu instid0(VALU_DEP_3) | instskip(SKIP_2) | instid1(VALU_DEP_4)
	v_dual_add_f32 v7, v7, v48 :: v_dual_add_f32 v16, v16, v37
	v_dual_add_f32 v8, v8, v55 :: v_dual_add_f32 v5, v5, v50
	v_fma_f32 v71, v40, v78, -v71
	v_dual_add_f32 v17, v17, v51 :: v_dual_add_f32 v12, v12, v70
	v_add_f32_e32 v13, v13, v34
	s_delay_alu instid0(VALU_DEP_4) | instskip(SKIP_3) | instid1(VALU_DEP_4)
	v_dual_add_f32 v9, v9, v35 :: v_dual_add_f32 v8, v8, v64
	v_add_f32_e32 v7, v7, v52
	v_add_f32_e32 v5, v5, v56
	v_dual_add_f32 v17, v17, v61 :: v_dual_add_f32 v16, v16, v71
	v_dual_add_f32 v8, v8, v66 :: v_dual_add_f32 v13, v13, v36
	s_delay_alu instid0(VALU_DEP_4) | instskip(NEXT) | instid1(VALU_DEP_4)
	v_add_f32_e32 v7, v7, v58
	v_dual_add_f32 v5, v5, v60 :: v_dual_add_f32 v12, v12, v86
	v_add_f32_e32 v9, v9, v54
	v_fma_f32 v40, v40, v80, -v73
	v_fma_f32 v41, v76, v78, -v65
	v_fma_f32 v65, v76, v80, -v67
	v_add_f32_e32 v17, v17, v63
	v_add_f32_e32 v13, v13, v38
	;; [unrolled: 1-line block ×10, first 2 shown]
	s_cbranch_vccz .LBB1716_2
.LBB1716_3:
	v_add_nc_u32_e32 v6, s19, v6
	s_load_b32 s4, s[0:1], 0x0
	s_delay_alu instid0(VALU_DEP_1) | instskip(SKIP_2) | instid1(VALU_DEP_3)
	v_ashrrev_i32_e32 v0, 31, v6
	v_mul_lo_u32 v3, v6, s7
	v_mad_u64_u32 v[1:2], null, v6, s6, 0
	v_mul_lo_u32 v0, v0, s6
	s_delay_alu instid0(VALU_DEP_1) | instskip(SKIP_1) | instid1(VALU_DEP_2)
	v_add3_u32 v2, v2, v3, v0
	v_add_nc_u32_e32 v0, s18, v4
	v_lshlrev_b64 v[1:2], 3, v[1:2]
	s_delay_alu instid0(VALU_DEP_2) | instskip(SKIP_2) | instid1(VALU_DEP_3)
	v_cmp_le_i32_e64 s0, v6, v0
	s_waitcnt lgkmcnt(0)
	v_cmp_gt_i32_e32 vcc_lo, s4, v0
	v_add_co_u32 v4, s1, s2, v1
	s_delay_alu instid0(VALU_DEP_1) | instskip(SKIP_1) | instid1(SALU_CYCLE_1)
	v_add_co_ci_u32_e64 v10, s1, s3, v2, s1
	s_and_b32 s0, s0, vcc_lo
	s_and_saveexec_b32 s1, s0
	s_cbranch_execz .LBB1716_6
; %bb.4:
	v_ashrrev_i32_e32 v1, 31, v0
	v_xor_b32_e32 v14, 0x80000000, v16
	v_xor_b32_e32 v15, 0x80000000, v17
	s_delay_alu instid0(VALU_DEP_3) | instskip(NEXT) | instid1(VALU_DEP_1)
	v_lshlrev_b64 v[1:2], 3, v[0:1]
	v_add_co_u32 v1, s0, v4, v1
	s_delay_alu instid0(VALU_DEP_1)
	v_add_co_ci_u32_e64 v2, s0, v10, v2, s0
	v_cmp_eq_u32_e64 s0, v6, v0
	global_store_b64 v[1:2], v[14:15], off
	s_and_b32 exec_lo, exec_lo, s0
	s_cbranch_execz .LBB1716_6
; %bb.5:
	v_mov_b32_e32 v3, 0
	global_store_b32 v[1:2], v3, off offset:4
.LBB1716_6:
	s_or_b32 exec_lo, exec_lo, s1
	v_add_nc_u32_e32 v2, 16, v0
	s_delay_alu instid0(VALU_DEP_1) | instskip(SKIP_1) | instid1(VALU_DEP_1)
	v_cmp_le_i32_e64 s1, v6, v2
	v_cmp_gt_i32_e64 s0, s4, v2
	s_and_b32 s1, s1, s0
	s_delay_alu instid0(SALU_CYCLE_1)
	s_and_saveexec_b32 s4, s1
	s_cbranch_execz .LBB1716_9
; %bb.7:
	v_ashrrev_i32_e32 v3, 31, v2
	v_xor_b32_e32 v11, 0x80000000, v13
	v_xor_b32_e32 v12, 0x80000000, v12
	s_delay_alu instid0(VALU_DEP_3) | instskip(NEXT) | instid1(VALU_DEP_1)
	v_lshlrev_b64 v[14:15], 3, v[2:3]
	v_add_co_u32 v3, s1, v4, v14
	s_delay_alu instid0(VALU_DEP_1)
	v_add_co_ci_u32_e64 v4, s1, v10, v15, s1
	v_cmp_eq_u32_e64 s1, v6, v2
	global_store_b64 v[3:4], v[11:12], off
	s_and_b32 exec_lo, exec_lo, s1
	s_cbranch_execz .LBB1716_9
; %bb.8:
	v_mov_b32_e32 v1, 0
	global_store_b32 v[3:4], v1, off offset:4
.LBB1716_9:
	s_or_b32 exec_lo, exec_lo, s4
	v_add_nc_u32_e32 v12, 16, v6
	s_delay_alu instid0(VALU_DEP_1) | instskip(SKIP_3) | instid1(VALU_DEP_4)
	v_ashrrev_i32_e32 v1, 31, v12
	v_mul_lo_u32 v10, v12, s7
	v_mad_u64_u32 v[3:4], null, v12, s6, 0
	v_cmp_le_i32_e64 s1, v12, v0
	v_mul_lo_u32 v1, v1, s6
	s_delay_alu instid0(VALU_DEP_1) | instskip(NEXT) | instid1(VALU_DEP_1)
	v_add3_u32 v4, v4, v10, v1
	v_lshlrev_b64 v[3:4], 3, v[3:4]
	s_delay_alu instid0(VALU_DEP_1) | instskip(NEXT) | instid1(VALU_DEP_1)
	v_add_co_u32 v10, s2, s2, v3
	v_add_co_ci_u32_e64 v11, s2, s3, v4, s2
	s_and_b32 s2, s1, vcc_lo
	s_delay_alu instid0(SALU_CYCLE_1)
	s_and_saveexec_b32 s1, s2
	s_cbranch_execz .LBB1716_12
; %bb.10:
	v_ashrrev_i32_e32 v1, 31, v0
	v_xor_b32_e32 v13, 0x80000000, v9
	v_xor_b32_e32 v14, 0x80000000, v8
	s_delay_alu instid0(VALU_DEP_3) | instskip(NEXT) | instid1(VALU_DEP_1)
	v_lshlrev_b64 v[3:4], 3, v[0:1]
	v_add_co_u32 v3, vcc_lo, v10, v3
	s_delay_alu instid0(VALU_DEP_2)
	v_add_co_ci_u32_e32 v4, vcc_lo, v11, v4, vcc_lo
	v_cmp_eq_u32_e32 vcc_lo, v12, v0
	global_store_b64 v[3:4], v[13:14], off
	s_and_b32 exec_lo, exec_lo, vcc_lo
	s_cbranch_execz .LBB1716_12
; %bb.11:
	v_mov_b32_e32 v1, 0
	global_store_b32 v[3:4], v1, off offset:4
.LBB1716_12:
	s_or_b32 exec_lo, exec_lo, s1
	v_cmp_le_i32_e32 vcc_lo, v12, v2
	s_and_b32 s0, vcc_lo, s0
	s_delay_alu instid0(SALU_CYCLE_1)
	s_and_saveexec_b32 s1, s0
	s_cbranch_execz .LBB1716_15
; %bb.13:
	v_ashrrev_i32_e32 v3, 31, v2
	v_xor_b32_e32 v4, 0x80000000, v5
	s_delay_alu instid0(VALU_DEP_2) | instskip(SKIP_1) | instid1(VALU_DEP_2)
	v_lshlrev_b64 v[1:2], 3, v[2:3]
	v_xor_b32_e32 v3, 0x80000000, v7
	v_add_co_u32 v1, vcc_lo, v10, v1
	s_delay_alu instid0(VALU_DEP_3)
	v_add_co_ci_u32_e32 v2, vcc_lo, v11, v2, vcc_lo
	v_cmp_eq_u32_e32 vcc_lo, v6, v0
	global_store_b64 v[1:2], v[3:4], off
	s_and_b32 exec_lo, exec_lo, vcc_lo
	s_cbranch_execz .LBB1716_15
; %bb.14:
	v_mov_b32_e32 v0, 0
	global_store_b32 v[1:2], v0, off offset:4
.LBB1716_15:
	s_nop 0
	s_sendmsg sendmsg(MSG_DEALLOC_VGPRS)
	s_endpgm
	.section	.rodata,"a",@progbits
	.p2align	6, 0x0
	.amdhsa_kernel _ZL37rocblas_syrkx_herkx_restricted_kernelIl19rocblas_complex_numIfELi16ELi32ELi8ELin1ELi0ELb1ELc78ELc76EKPKS1_KPS1_EviT_PT9_S7_lS9_S7_lPT10_S7_li
		.amdhsa_group_segment_fixed_size 4096
		.amdhsa_private_segment_fixed_size 0
		.amdhsa_kernarg_size 92
		.amdhsa_user_sgpr_count 13
		.amdhsa_user_sgpr_dispatch_ptr 0
		.amdhsa_user_sgpr_queue_ptr 0
		.amdhsa_user_sgpr_kernarg_segment_ptr 1
		.amdhsa_user_sgpr_dispatch_id 0
		.amdhsa_user_sgpr_private_segment_size 0
		.amdhsa_wavefront_size32 1
		.amdhsa_uses_dynamic_stack 0
		.amdhsa_enable_private_segment 0
		.amdhsa_system_sgpr_workgroup_id_x 1
		.amdhsa_system_sgpr_workgroup_id_y 1
		.amdhsa_system_sgpr_workgroup_id_z 1
		.amdhsa_system_sgpr_workgroup_info 0
		.amdhsa_system_vgpr_workitem_id 1
		.amdhsa_next_free_vgpr 92
		.amdhsa_next_free_sgpr 20
		.amdhsa_reserve_vcc 1
		.amdhsa_float_round_mode_32 0
		.amdhsa_float_round_mode_16_64 0
		.amdhsa_float_denorm_mode_32 3
		.amdhsa_float_denorm_mode_16_64 3
		.amdhsa_dx10_clamp 1
		.amdhsa_ieee_mode 1
		.amdhsa_fp16_overflow 0
		.amdhsa_workgroup_processor_mode 1
		.amdhsa_memory_ordered 1
		.amdhsa_forward_progress 0
		.amdhsa_shared_vgpr_count 0
		.amdhsa_exception_fp_ieee_invalid_op 0
		.amdhsa_exception_fp_denorm_src 0
		.amdhsa_exception_fp_ieee_div_zero 0
		.amdhsa_exception_fp_ieee_overflow 0
		.amdhsa_exception_fp_ieee_underflow 0
		.amdhsa_exception_fp_ieee_inexact 0
		.amdhsa_exception_int_div_zero 0
	.end_amdhsa_kernel
	.section	.text._ZL37rocblas_syrkx_herkx_restricted_kernelIl19rocblas_complex_numIfELi16ELi32ELi8ELin1ELi0ELb1ELc78ELc76EKPKS1_KPS1_EviT_PT9_S7_lS9_S7_lPT10_S7_li,"axG",@progbits,_ZL37rocblas_syrkx_herkx_restricted_kernelIl19rocblas_complex_numIfELi16ELi32ELi8ELin1ELi0ELb1ELc78ELc76EKPKS1_KPS1_EviT_PT9_S7_lS9_S7_lPT10_S7_li,comdat
.Lfunc_end1716:
	.size	_ZL37rocblas_syrkx_herkx_restricted_kernelIl19rocblas_complex_numIfELi16ELi32ELi8ELin1ELi0ELb1ELc78ELc76EKPKS1_KPS1_EviT_PT9_S7_lS9_S7_lPT10_S7_li, .Lfunc_end1716-_ZL37rocblas_syrkx_herkx_restricted_kernelIl19rocblas_complex_numIfELi16ELi32ELi8ELin1ELi0ELb1ELc78ELc76EKPKS1_KPS1_EviT_PT9_S7_lS9_S7_lPT10_S7_li
                                        ; -- End function
	.section	.AMDGPU.csdata,"",@progbits
; Kernel info:
; codeLenInByte = 2296
; NumSgprs: 22
; NumVgprs: 92
; ScratchSize: 0
; MemoryBound: 0
; FloatMode: 240
; IeeeMode: 1
; LDSByteSize: 4096 bytes/workgroup (compile time only)
; SGPRBlocks: 2
; VGPRBlocks: 11
; NumSGPRsForWavesPerEU: 22
; NumVGPRsForWavesPerEU: 92
; Occupancy: 16
; WaveLimiterHint : 1
; COMPUTE_PGM_RSRC2:SCRATCH_EN: 0
; COMPUTE_PGM_RSRC2:USER_SGPR: 13
; COMPUTE_PGM_RSRC2:TRAP_HANDLER: 0
; COMPUTE_PGM_RSRC2:TGID_X_EN: 1
; COMPUTE_PGM_RSRC2:TGID_Y_EN: 1
; COMPUTE_PGM_RSRC2:TGID_Z_EN: 1
; COMPUTE_PGM_RSRC2:TIDIG_COMP_CNT: 1
	.section	.text._ZL37rocblas_syrkx_herkx_restricted_kernelIl19rocblas_complex_numIfELi16ELi32ELi8ELin1ELi0ELb1ELc84ELc85EKPKS1_KPS1_EviT_PT9_S7_lS9_S7_lPT10_S7_li,"axG",@progbits,_ZL37rocblas_syrkx_herkx_restricted_kernelIl19rocblas_complex_numIfELi16ELi32ELi8ELin1ELi0ELb1ELc84ELc85EKPKS1_KPS1_EviT_PT9_S7_lS9_S7_lPT10_S7_li,comdat
	.globl	_ZL37rocblas_syrkx_herkx_restricted_kernelIl19rocblas_complex_numIfELi16ELi32ELi8ELin1ELi0ELb1ELc84ELc85EKPKS1_KPS1_EviT_PT9_S7_lS9_S7_lPT10_S7_li ; -- Begin function _ZL37rocblas_syrkx_herkx_restricted_kernelIl19rocblas_complex_numIfELi16ELi32ELi8ELin1ELi0ELb1ELc84ELc85EKPKS1_KPS1_EviT_PT9_S7_lS9_S7_lPT10_S7_li
	.p2align	8
	.type	_ZL37rocblas_syrkx_herkx_restricted_kernelIl19rocblas_complex_numIfELi16ELi32ELi8ELin1ELi0ELb1ELc84ELc85EKPKS1_KPS1_EviT_PT9_S7_lS9_S7_lPT10_S7_li,@function
_ZL37rocblas_syrkx_herkx_restricted_kernelIl19rocblas_complex_numIfELi16ELi32ELi8ELin1ELi0ELb1ELc84ELc85EKPKS1_KPS1_EviT_PT9_S7_lS9_S7_lPT10_S7_li: ; @_ZL37rocblas_syrkx_herkx_restricted_kernelIl19rocblas_complex_numIfELi16ELi32ELi8ELin1ELi0ELb1ELc84ELc85EKPKS1_KPS1_EviT_PT9_S7_lS9_S7_lPT10_S7_li
; %bb.0:
	s_clause 0x1
	s_load_b128 s[4:7], s[0:1], 0x40
	s_load_b128 s[8:11], s[0:1], 0x8
	s_mov_b32 s2, s15
	s_mov_b32 s3, 0
	v_dual_mov_b32 v17, 0 :: v_dual_and_b32 v6, 0x3ff, v0
	s_lshl_b64 s[16:17], s[2:3], 3
	v_bfe_u32 v7, v0, 10, 10
	v_dual_mov_b32 v16, 0 :: v_dual_mov_b32 v11, 0
	v_dual_mov_b32 v10, 0 :: v_dual_mov_b32 v9, 0
	;; [unrolled: 1-line block ×3, first 2 shown]
	v_mov_b32_e32 v0, 0
	s_waitcnt lgkmcnt(0)
	s_add_u32 s2, s4, s16
	s_addc_u32 s3, s5, s17
	v_cmp_lt_i64_e64 s4, s[8:9], 1
	s_load_b64 s[2:3], s[2:3], 0x0
	s_lshl_b32 s18, s13, 5
	s_lshl_b32 s19, s14, 5
	s_delay_alu instid0(VALU_DEP_1)
	s_and_b32 vcc_lo, exec_lo, s4
	s_cbranch_vccnz .LBB1717_3
; %bb.1:
	s_clause 0x1
	s_load_b128 s[12:15], s[0:1], 0x28
	s_load_b64 s[4:5], s[0:1], 0x18
	v_lshl_add_u32 v2, v7, 4, v6
	v_dual_mov_b32 v1, 0 :: v_dual_and_b32 v0, 7, v6
	s_add_u32 s10, s10, s16
	s_addc_u32 s11, s11, s17
	s_delay_alu instid0(VALU_DEP_2)
	v_lshrrev_b32_e32 v10, 3, v2
	v_and_b32_e32 v11, 31, v2
	v_lshrrev_b32_e32 v2, 5, v2
	v_mov_b32_e32 v3, v1
	s_load_b64 s[10:11], s[10:11], 0x0
	v_add_nc_u32_e32 v12, s19, v10
	v_add_nc_u32_e32 v8, s18, v11
	v_dual_mov_b32 v16, v1 :: v_dual_lshlrev_b32 v11, 3, v11
	v_mov_b32_e32 v17, v1
	s_delay_alu instid0(VALU_DEP_4) | instskip(NEXT) | instid1(VALU_DEP_4)
	v_ashrrev_i32_e32 v4, 31, v12
	v_ashrrev_i32_e32 v5, 31, v8
	s_waitcnt lgkmcnt(0)
	s_add_u32 s12, s12, s16
	s_addc_u32 s13, s13, s17
	v_mul_lo_u32 v13, v4, s14
	v_mul_lo_u32 v14, s4, v5
	v_mad_u64_u32 v[4:5], null, s4, v8, v[2:3]
	v_mul_lo_u32 v3, s5, v8
	s_load_b64 s[4:5], s[12:13], 0x0
	v_mul_lo_u32 v15, v12, s15
	v_mad_u64_u32 v[8:9], null, v12, s14, v[0:1]
	v_lshlrev_b32_e32 v0, 3, v0
	v_lshlrev_b32_e32 v12, 3, v6
	v_add3_u32 v5, v3, v5, v14
	v_lshl_or_b32 v14, v2, 8, v11
	v_mov_b32_e32 v11, v1
	v_add3_u32 v9, v13, v9, v15
	v_lshl_or_b32 v0, v10, 6, v0
	v_lshlrev_b64 v[3:4], 3, v[4:5]
	v_lshl_add_u32 v13, v7, 6, 0x800
	v_mov_b32_e32 v10, v1
	v_lshlrev_b64 v[8:9], 3, v[8:9]
	v_add_nc_u32_e32 v15, 0x800, v0
	v_add_co_u32 v0, vcc_lo, v3, s10
	v_add_co_ci_u32_e32 v3, vcc_lo, s11, v4, vcc_lo
	s_waitcnt lgkmcnt(0)
	s_delay_alu instid0(VALU_DEP_4) | instskip(SKIP_3) | instid1(VALU_DEP_4)
	v_add_co_u32 v4, vcc_lo, v8, s4
	v_add_co_ci_u32_e32 v5, vcc_lo, s5, v9, vcc_lo
	v_add_co_u32 v2, vcc_lo, v0, 4
	v_add_co_ci_u32_e32 v3, vcc_lo, 0, v3, vcc_lo
	v_add_co_u32 v4, vcc_lo, v4, 4
	s_delay_alu instid0(VALU_DEP_4)
	v_add_co_ci_u32_e32 v5, vcc_lo, 0, v5, vcc_lo
	v_mov_b32_e32 v0, v1
	v_mov_b32_e32 v8, v1
	;; [unrolled: 1-line block ×3, first 2 shown]
	s_mov_b64 s[4:5], 0
.LBB1717_2:                             ; =>This Inner Loop Header: Depth=1
	global_load_b64 v[18:19], v[2:3], off offset:-4
	global_load_b64 v[20:21], v[4:5], off offset:-4
	s_add_u32 s4, s4, 8
	v_add_co_u32 v2, vcc_lo, v2, 64
	s_addc_u32 s5, s5, 0
	v_add_co_ci_u32_e32 v3, vcc_lo, 0, v3, vcc_lo
	v_cmp_ge_u64_e64 s10, s[4:5], s[8:9]
	v_add_co_u32 v4, vcc_lo, v4, 64
	v_add_co_ci_u32_e32 v5, vcc_lo, 0, v5, vcc_lo
	s_waitcnt vmcnt(1)
	ds_store_b64 v14, v[18:19]
	s_waitcnt vmcnt(0)
	ds_store_b64 v15, v[20:21]
	s_waitcnt lgkmcnt(0)
	s_barrier
	buffer_gl0_inv
	ds_load_2addr_b64 v[18:21], v12 offset1:16
	ds_load_b128 v[22:25], v13
	ds_load_b128 v[26:29], v13 offset:1024
	ds_load_b128 v[30:33], v13 offset:16
	ds_load_b128 v[34:37], v13 offset:32
	ds_load_b128 v[38:41], v13 offset:48
	ds_load_2addr_b64 v[42:45], v12 offset0:32 offset1:48
	ds_load_2addr_b64 v[46:49], v12 offset0:64 offset1:80
	ds_load_b128 v[50:53], v13 offset:1040
	ds_load_2addr_b64 v[54:57], v12 offset0:96 offset1:112
	ds_load_2addr_b64 v[58:61], v12 offset0:128 offset1:144
	;; [unrolled: 1-line block ×4, first 2 shown]
	ds_load_b128 v[70:73], v13 offset:1056
	ds_load_b128 v[74:77], v13 offset:1072
	ds_load_2addr_b64 v[78:81], v12 offset0:224 offset1:240
	s_and_b32 vcc_lo, exec_lo, s10
	s_waitcnt lgkmcnt(0)
	s_barrier
	buffer_gl0_inv
	v_dual_mul_f32 v82, v23, v19 :: v_dual_mul_f32 v85, v22, v21
	v_dual_mul_f32 v83, v22, v19 :: v_dual_mul_f32 v84, v23, v21
	v_mul_f32_e32 v86, v27, v19
	v_dual_mul_f32 v19, v26, v19 :: v_dual_mul_f32 v90, v25, v45
	v_dual_mul_f32 v87, v27, v21 :: v_dual_mul_f32 v88, v25, v43
	v_mul_f32_e32 v21, v26, v21
	v_fma_f32 v82, v22, v18, -v82
	v_fmac_f32_e32 v83, v23, v18
	v_fma_f32 v22, v22, v20, -v84
	v_fmac_f32_e32 v85, v23, v20
	v_fma_f32 v23, v26, v18, -v86
	v_dual_fmac_f32 v19, v27, v18 :: v_dual_mul_f32 v86, v30, v47
	v_fma_f32 v18, v26, v20, -v87
	v_dual_fmac_f32 v21, v27, v20 :: v_dual_mul_f32 v20, v24, v45
	v_mul_f32_e32 v89, v24, v43
	v_mul_f32_e32 v26, v29, v43
	;; [unrolled: 1-line block ×4, first 2 shown]
	v_fmac_f32_e32 v20, v25, v44
	v_fmac_f32_e32 v89, v25, v42
	v_dual_mul_f32 v25, v28, v45 :: v_dual_fmac_f32 v86, v31, v46
	v_fma_f32 v84, v24, v42, -v88
	v_fma_f32 v24, v24, v44, -v90
	v_dual_mul_f32 v45, v31, v47 :: v_dual_mul_f32 v90, v33, v57
	v_fma_f32 v26, v28, v42, -v26
	v_fma_f32 v28, v28, v44, -v43
	v_fmac_f32_e32 v25, v29, v44
	v_dual_mul_f32 v43, v50, v47 :: v_dual_mul_f32 v44, v51, v49
	v_dual_fmac_f32 v27, v29, v42 :: v_dual_mul_f32 v42, v51, v47
	v_dual_mul_f32 v88, v32, v55 :: v_dual_mul_f32 v29, v30, v49
	v_mul_f32_e32 v87, v31, v49
	v_fma_f32 v45, v30, v46, -v45
	v_add_f32_e32 v10, v10, v85
	s_delay_alu instid0(VALU_DEP_4)
	v_dual_fmac_f32 v88, v33, v54 :: v_dual_fmac_f32 v29, v31, v48
	v_fma_f32 v31, v50, v46, -v42
	v_fma_f32 v42, v50, v48, -v44
	v_mul_f32_e32 v44, v32, v57
	v_mul_f32_e32 v47, v50, v49
	v_dual_mul_f32 v50, v53, v57 :: v_dual_fmac_f32 v43, v51, v46
	v_mul_f32_e32 v46, v53, v55
	v_mul_f32_e32 v49, v33, v55
	v_fma_f32 v30, v30, v48, -v87
	v_fmac_f32_e32 v44, v33, v56
	v_dual_fmac_f32 v47, v51, v48 :: v_dual_mul_f32 v48, v52, v55
	v_mul_f32_e32 v33, v52, v57
	v_fma_f32 v46, v52, v54, -v46
	v_fma_f32 v50, v52, v56, -v50
	v_mul_f32_e32 v52, v34, v61
	v_fma_f32 v49, v32, v54, -v49
	v_fma_f32 v32, v32, v56, -v90
	v_dual_mul_f32 v51, v35, v59 :: v_dual_fmac_f32 v48, v53, v54
	v_mul_f32_e32 v54, v70, v59
	v_dual_mul_f32 v55, v34, v59 :: v_dual_fmac_f32 v52, v35, v60
	v_fmac_f32_e32 v33, v53, v56
	v_mul_f32_e32 v53, v71, v59
	v_mul_f32_e32 v56, v71, v61
	;; [unrolled: 1-line block ×3, first 2 shown]
	v_fmac_f32_e32 v54, v71, v58
	v_fmac_f32_e32 v55, v35, v58
	v_fma_f32 v35, v70, v58, -v53
	v_fma_f32 v53, v70, v60, -v56
	v_mul_f32_e32 v56, v36, v65
	v_mul_f32_e32 v59, v70, v61
	v_fma_f32 v51, v34, v58, -v51
	v_mul_f32_e32 v58, v72, v63
	v_mul_f32_e32 v87, v36, v63
	;; [unrolled: 1-line block ×4, first 2 shown]
	v_fma_f32 v34, v34, v60, -v57
	v_mul_f32_e32 v57, v73, v63
	v_fmac_f32_e32 v56, v37, v64
	v_dual_fmac_f32 v59, v71, v60 :: v_dual_mul_f32 v60, v73, v65
	v_mul_f32_e32 v63, v39, v67
	v_mul_f32_e32 v70, v39, v69
	v_fmac_f32_e32 v58, v73, v62
	v_fmac_f32_e32 v87, v37, v62
	v_mul_f32_e32 v37, v72, v65
	v_fma_f32 v61, v36, v62, -v61
	v_fma_f32 v36, v36, v64, -v90
	v_mul_f32_e32 v65, v38, v67
	v_fma_f32 v57, v72, v62, -v57
	v_fma_f32 v60, v72, v64, -v60
	v_dual_fmac_f32 v37, v73, v64 :: v_dual_mul_f32 v62, v38, v69
	v_mul_f32_e32 v64, v75, v67
	v_mul_f32_e32 v73, v40, v79
	v_fma_f32 v63, v38, v66, -v63
	v_fma_f32 v38, v38, v68, -v70
	v_mul_f32_e32 v70, v76, v79
	v_mul_f32_e32 v67, v74, v67
	v_dual_mul_f32 v71, v75, v69 :: v_dual_add_f32 v16, v16, v82
	v_dual_mul_f32 v69, v74, v69 :: v_dual_add_f32 v8, v8, v19
	v_fmac_f32_e32 v65, v39, v66
	v_fmac_f32_e32 v62, v39, v68
	s_delay_alu instid0(VALU_DEP_4)
	v_add_f32_e32 v16, v16, v84
	v_fma_f32 v39, v74, v66, -v64
	v_fmac_f32_e32 v70, v77, v78
	v_dual_fmac_f32 v67, v75, v66 :: v_dual_add_f32 v10, v10, v20
	v_mul_f32_e32 v66, v40, v81
	v_mul_f32_e32 v72, v41, v79
	;; [unrolled: 1-line block ×3, first 2 shown]
	v_fma_f32 v64, v74, v68, -v71
	v_dual_fmac_f32 v69, v75, v68 :: v_dual_add_f32 v0, v0, v18
	v_dual_mul_f32 v71, v77, v81 :: v_dual_add_f32 v8, v8, v27
	v_fmac_f32_e32 v73, v41, v78
	v_fmac_f32_e32 v66, v41, v80
	s_delay_alu instid0(VALU_DEP_4) | instskip(SKIP_3) | instid1(VALU_DEP_4)
	v_dual_add_f32 v0, v0, v28 :: v_dual_add_f32 v17, v17, v83
	v_add_f32_e32 v10, v10, v29
	v_mul_f32_e32 v41, v76, v81
	v_dual_add_f32 v11, v11, v22 :: v_dual_add_f32 v8, v8, v43
	v_dual_add_f32 v9, v9, v23 :: v_dual_add_f32 v0, v0, v42
	v_add_f32_e32 v1, v1, v21
	v_add_f32_e32 v16, v16, v45
	s_delay_alu instid0(VALU_DEP_4)
	v_add_f32_e32 v8, v8, v48
	v_add_f32_e32 v10, v10, v44
	v_fmac_f32_e32 v41, v77, v80
	v_dual_add_f32 v17, v17, v89 :: v_dual_add_f32 v0, v0, v50
	v_dual_add_f32 v11, v11, v24 :: v_dual_add_f32 v16, v16, v49
	v_add_f32_e32 v9, v9, v26
	v_dual_add_f32 v1, v1, v25 :: v_dual_add_f32 v10, v10, v52
	s_delay_alu instid0(VALU_DEP_4) | instskip(NEXT) | instid1(VALU_DEP_4)
	v_dual_add_f32 v17, v17, v86 :: v_dual_add_f32 v0, v0, v53
	v_dual_add_f32 v16, v16, v51 :: v_dual_add_f32 v11, v11, v30
	s_delay_alu instid0(VALU_DEP_4) | instskip(NEXT) | instid1(VALU_DEP_4)
	v_dual_add_f32 v9, v9, v31 :: v_dual_add_f32 v8, v8, v54
	v_dual_add_f32 v1, v1, v47 :: v_dual_add_f32 v10, v10, v56
	s_delay_alu instid0(VALU_DEP_4) | instskip(NEXT) | instid1(VALU_DEP_3)
	v_add_f32_e32 v17, v17, v88
	v_dual_add_f32 v9, v9, v46 :: v_dual_add_f32 v0, v0, v60
	s_delay_alu instid0(VALU_DEP_3) | instskip(SKIP_2) | instid1(VALU_DEP_3)
	v_dual_add_f32 v1, v1, v33 :: v_dual_add_f32 v10, v10, v62
	v_dual_add_f32 v16, v16, v61 :: v_dual_add_f32 v11, v11, v32
	v_fma_f32 v72, v40, v78, -v72
	v_dual_add_f32 v1, v1, v59 :: v_dual_add_f32 v10, v10, v66
	v_dual_add_f32 v8, v8, v58 :: v_dual_add_f32 v17, v17, v55
	v_add_f32_e32 v0, v0, v64
	v_dual_add_f32 v16, v16, v63 :: v_dual_add_f32 v11, v11, v34
	s_delay_alu instid0(VALU_DEP_3) | instskip(SKIP_2) | instid1(VALU_DEP_4)
	v_add_f32_e32 v8, v8, v67
	v_add_f32_e32 v9, v9, v35
	v_mul_f32_e32 v68, v77, v79
	v_add_f32_e32 v16, v16, v72
	v_fma_f32 v71, v76, v80, -v71
	v_dual_add_f32 v17, v17, v87 :: v_dual_add_f32 v8, v8, v70
	v_add_f32_e32 v11, v11, v36
	s_delay_alu instid0(VALU_DEP_3)
	v_dual_add_f32 v9, v9, v57 :: v_dual_add_f32 v0, v0, v71
	v_add_f32_e32 v1, v1, v37
	v_fma_f32 v40, v40, v80, -v90
	v_fma_f32 v68, v76, v78, -v68
	v_add_f32_e32 v17, v17, v65
	v_add_f32_e32 v11, v11, v38
	;; [unrolled: 1-line block ×4, first 2 shown]
	s_delay_alu instid0(VALU_DEP_4) | instskip(NEXT) | instid1(VALU_DEP_4)
	v_add_f32_e32 v17, v17, v73
	v_add_f32_e32 v11, v11, v40
	s_delay_alu instid0(VALU_DEP_4) | instskip(NEXT) | instid1(VALU_DEP_4)
	v_add_f32_e32 v9, v9, v68
	v_add_f32_e32 v1, v1, v41
	s_cbranch_vccz .LBB1717_2
.LBB1717_3:
	v_add_nc_u32_e32 v7, s19, v7
	s_load_b32 s4, s[0:1], 0x0
	s_delay_alu instid0(VALU_DEP_1) | instskip(SKIP_2) | instid1(VALU_DEP_3)
	v_ashrrev_i32_e32 v2, 31, v7
	v_mul_lo_u32 v5, v7, s7
	v_mad_u64_u32 v[3:4], null, v7, s6, 0
	v_mul_lo_u32 v2, v2, s6
	s_delay_alu instid0(VALU_DEP_1) | instskip(SKIP_3) | instid1(VALU_DEP_3)
	v_add3_u32 v4, v4, v5, v2
	v_add_nc_u32_e32 v2, s18, v6
	s_waitcnt lgkmcnt(0)
	v_cmp_gt_i32_e32 vcc_lo, s4, v7
	v_lshlrev_b64 v[3:4], 3, v[3:4]
	s_delay_alu instid0(VALU_DEP_3) | instskip(NEXT) | instid1(VALU_DEP_1)
	v_cmp_le_i32_e64 s0, v2, v7
	s_and_b32 s0, vcc_lo, s0
	s_delay_alu instid0(VALU_DEP_2) | instskip(NEXT) | instid1(VALU_DEP_1)
	v_add_co_u32 v6, s1, s2, v3
	v_add_co_ci_u32_e64 v12, s1, s3, v4, s1
	s_and_saveexec_b32 s1, s0
	s_cbranch_execz .LBB1717_6
; %bb.4:
	v_ashrrev_i32_e32 v3, 31, v2
	v_xor_b32_e32 v13, 0x80000000, v16
	v_xor_b32_e32 v14, 0x80000000, v17
	s_delay_alu instid0(VALU_DEP_3) | instskip(NEXT) | instid1(VALU_DEP_1)
	v_lshlrev_b64 v[3:4], 3, v[2:3]
	v_add_co_u32 v3, s0, v6, v3
	s_delay_alu instid0(VALU_DEP_1)
	v_add_co_ci_u32_e64 v4, s0, v12, v4, s0
	v_cmp_eq_u32_e64 s0, v7, v2
	global_store_b64 v[3:4], v[13:14], off
	s_and_b32 exec_lo, exec_lo, s0
	s_cbranch_execz .LBB1717_6
; %bb.5:
	v_mov_b32_e32 v5, 0
	global_store_b32 v[3:4], v5, off offset:4
.LBB1717_6:
	s_or_b32 exec_lo, exec_lo, s1
	v_add_nc_u32_e32 v4, 16, v2
	s_delay_alu instid0(VALU_DEP_1) | instskip(NEXT) | instid1(VALU_DEP_1)
	v_cmp_le_i32_e64 s0, v4, v7
	s_and_b32 s1, vcc_lo, s0
	s_delay_alu instid0(SALU_CYCLE_1)
	s_and_saveexec_b32 s0, s1
	s_cbranch_execz .LBB1717_9
; %bb.7:
	v_ashrrev_i32_e32 v5, 31, v4
	v_xor_b32_e32 v15, 0x80000000, v11
	v_xor_b32_e32 v16, 0x80000000, v10
	s_delay_alu instid0(VALU_DEP_3) | instskip(NEXT) | instid1(VALU_DEP_1)
	v_lshlrev_b64 v[13:14], 3, v[4:5]
	v_add_co_u32 v5, vcc_lo, v6, v13
	s_delay_alu instid0(VALU_DEP_2)
	v_add_co_ci_u32_e32 v6, vcc_lo, v12, v14, vcc_lo
	v_cmp_eq_u32_e32 vcc_lo, v7, v4
	global_store_b64 v[5:6], v[15:16], off
	s_and_b32 exec_lo, exec_lo, vcc_lo
	s_cbranch_execz .LBB1717_9
; %bb.8:
	v_mov_b32_e32 v3, 0
	global_store_b32 v[5:6], v3, off offset:4
.LBB1717_9:
	s_or_b32 exec_lo, exec_lo, s0
	v_add_nc_u32_e32 v12, 16, v7
	s_delay_alu instid0(VALU_DEP_1) | instskip(SKIP_3) | instid1(VALU_DEP_4)
	v_ashrrev_i32_e32 v3, 31, v12
	v_mul_lo_u32 v10, v12, s7
	v_mad_u64_u32 v[5:6], null, v12, s6, 0
	v_cmp_gt_i32_e32 vcc_lo, s4, v12
	v_mul_lo_u32 v3, v3, s6
	v_cmp_le_i32_e64 s0, v2, v12
	s_delay_alu instid0(VALU_DEP_1) | instskip(NEXT) | instid1(VALU_DEP_2)
	s_and_b32 s0, vcc_lo, s0
	v_add3_u32 v6, v6, v10, v3
	s_delay_alu instid0(VALU_DEP_1) | instskip(NEXT) | instid1(VALU_DEP_1)
	v_lshlrev_b64 v[5:6], 3, v[5:6]
	v_add_co_u32 v10, s1, s2, v5
	s_delay_alu instid0(VALU_DEP_1)
	v_add_co_ci_u32_e64 v11, s1, s3, v6, s1
	s_and_saveexec_b32 s1, s0
	s_cbranch_execz .LBB1717_12
; %bb.10:
	v_ashrrev_i32_e32 v3, 31, v2
	v_xor_b32_e32 v13, 0x80000000, v9
	v_xor_b32_e32 v14, 0x80000000, v8
	s_delay_alu instid0(VALU_DEP_3) | instskip(NEXT) | instid1(VALU_DEP_1)
	v_lshlrev_b64 v[5:6], 3, v[2:3]
	v_add_co_u32 v5, s0, v10, v5
	s_delay_alu instid0(VALU_DEP_1)
	v_add_co_ci_u32_e64 v6, s0, v11, v6, s0
	v_cmp_eq_u32_e64 s0, v12, v2
	global_store_b64 v[5:6], v[13:14], off
	s_and_b32 exec_lo, exec_lo, s0
	s_cbranch_execz .LBB1717_12
; %bb.11:
	v_mov_b32_e32 v3, 0
	global_store_b32 v[5:6], v3, off offset:4
.LBB1717_12:
	s_or_b32 exec_lo, exec_lo, s1
	v_cmp_le_i32_e64 s0, v4, v12
	s_delay_alu instid0(VALU_DEP_1) | instskip(NEXT) | instid1(SALU_CYCLE_1)
	s_and_b32 s0, vcc_lo, s0
	s_and_saveexec_b32 s1, s0
	s_cbranch_execz .LBB1717_15
; %bb.13:
	v_ashrrev_i32_e32 v5, 31, v4
	v_xor_b32_e32 v6, 0x80000000, v1
	s_delay_alu instid0(VALU_DEP_2) | instskip(SKIP_1) | instid1(VALU_DEP_2)
	v_lshlrev_b64 v[3:4], 3, v[4:5]
	v_xor_b32_e32 v5, 0x80000000, v0
	v_add_co_u32 v0, vcc_lo, v10, v3
	s_delay_alu instid0(VALU_DEP_3)
	v_add_co_ci_u32_e32 v1, vcc_lo, v11, v4, vcc_lo
	v_cmp_eq_u32_e32 vcc_lo, v7, v2
	global_store_b64 v[0:1], v[5:6], off
	s_and_b32 exec_lo, exec_lo, vcc_lo
	s_cbranch_execz .LBB1717_15
; %bb.14:
	v_mov_b32_e32 v2, 0
	global_store_b32 v[0:1], v2, off offset:4
.LBB1717_15:
	s_nop 0
	s_sendmsg sendmsg(MSG_DEALLOC_VGPRS)
	s_endpgm
	.section	.rodata,"a",@progbits
	.p2align	6, 0x0
	.amdhsa_kernel _ZL37rocblas_syrkx_herkx_restricted_kernelIl19rocblas_complex_numIfELi16ELi32ELi8ELin1ELi0ELb1ELc84ELc85EKPKS1_KPS1_EviT_PT9_S7_lS9_S7_lPT10_S7_li
		.amdhsa_group_segment_fixed_size 4096
		.amdhsa_private_segment_fixed_size 0
		.amdhsa_kernarg_size 92
		.amdhsa_user_sgpr_count 13
		.amdhsa_user_sgpr_dispatch_ptr 0
		.amdhsa_user_sgpr_queue_ptr 0
		.amdhsa_user_sgpr_kernarg_segment_ptr 1
		.amdhsa_user_sgpr_dispatch_id 0
		.amdhsa_user_sgpr_private_segment_size 0
		.amdhsa_wavefront_size32 1
		.amdhsa_uses_dynamic_stack 0
		.amdhsa_enable_private_segment 0
		.amdhsa_system_sgpr_workgroup_id_x 1
		.amdhsa_system_sgpr_workgroup_id_y 1
		.amdhsa_system_sgpr_workgroup_id_z 1
		.amdhsa_system_sgpr_workgroup_info 0
		.amdhsa_system_vgpr_workitem_id 1
		.amdhsa_next_free_vgpr 91
		.amdhsa_next_free_sgpr 20
		.amdhsa_reserve_vcc 1
		.amdhsa_float_round_mode_32 0
		.amdhsa_float_round_mode_16_64 0
		.amdhsa_float_denorm_mode_32 3
		.amdhsa_float_denorm_mode_16_64 3
		.amdhsa_dx10_clamp 1
		.amdhsa_ieee_mode 1
		.amdhsa_fp16_overflow 0
		.amdhsa_workgroup_processor_mode 1
		.amdhsa_memory_ordered 1
		.amdhsa_forward_progress 0
		.amdhsa_shared_vgpr_count 0
		.amdhsa_exception_fp_ieee_invalid_op 0
		.amdhsa_exception_fp_denorm_src 0
		.amdhsa_exception_fp_ieee_div_zero 0
		.amdhsa_exception_fp_ieee_overflow 0
		.amdhsa_exception_fp_ieee_underflow 0
		.amdhsa_exception_fp_ieee_inexact 0
		.amdhsa_exception_int_div_zero 0
	.end_amdhsa_kernel
	.section	.text._ZL37rocblas_syrkx_herkx_restricted_kernelIl19rocblas_complex_numIfELi16ELi32ELi8ELin1ELi0ELb1ELc84ELc85EKPKS1_KPS1_EviT_PT9_S7_lS9_S7_lPT10_S7_li,"axG",@progbits,_ZL37rocblas_syrkx_herkx_restricted_kernelIl19rocblas_complex_numIfELi16ELi32ELi8ELin1ELi0ELb1ELc84ELc85EKPKS1_KPS1_EviT_PT9_S7_lS9_S7_lPT10_S7_li,comdat
.Lfunc_end1717:
	.size	_ZL37rocblas_syrkx_herkx_restricted_kernelIl19rocblas_complex_numIfELi16ELi32ELi8ELin1ELi0ELb1ELc84ELc85EKPKS1_KPS1_EviT_PT9_S7_lS9_S7_lPT10_S7_li, .Lfunc_end1717-_ZL37rocblas_syrkx_herkx_restricted_kernelIl19rocblas_complex_numIfELi16ELi32ELi8ELin1ELi0ELb1ELc84ELc85EKPKS1_KPS1_EviT_PT9_S7_lS9_S7_lPT10_S7_li
                                        ; -- End function
	.section	.AMDGPU.csdata,"",@progbits
; Kernel info:
; codeLenInByte = 2292
; NumSgprs: 22
; NumVgprs: 91
; ScratchSize: 0
; MemoryBound: 0
; FloatMode: 240
; IeeeMode: 1
; LDSByteSize: 4096 bytes/workgroup (compile time only)
; SGPRBlocks: 2
; VGPRBlocks: 11
; NumSGPRsForWavesPerEU: 22
; NumVGPRsForWavesPerEU: 91
; Occupancy: 16
; WaveLimiterHint : 1
; COMPUTE_PGM_RSRC2:SCRATCH_EN: 0
; COMPUTE_PGM_RSRC2:USER_SGPR: 13
; COMPUTE_PGM_RSRC2:TRAP_HANDLER: 0
; COMPUTE_PGM_RSRC2:TGID_X_EN: 1
; COMPUTE_PGM_RSRC2:TGID_Y_EN: 1
; COMPUTE_PGM_RSRC2:TGID_Z_EN: 1
; COMPUTE_PGM_RSRC2:TIDIG_COMP_CNT: 1
	.section	.text._ZL37rocblas_syrkx_herkx_restricted_kernelIl19rocblas_complex_numIfELi16ELi32ELi8ELin1ELi0ELb1ELc67ELc85EKPKS1_KPS1_EviT_PT9_S7_lS9_S7_lPT10_S7_li,"axG",@progbits,_ZL37rocblas_syrkx_herkx_restricted_kernelIl19rocblas_complex_numIfELi16ELi32ELi8ELin1ELi0ELb1ELc67ELc85EKPKS1_KPS1_EviT_PT9_S7_lS9_S7_lPT10_S7_li,comdat
	.globl	_ZL37rocblas_syrkx_herkx_restricted_kernelIl19rocblas_complex_numIfELi16ELi32ELi8ELin1ELi0ELb1ELc67ELc85EKPKS1_KPS1_EviT_PT9_S7_lS9_S7_lPT10_S7_li ; -- Begin function _ZL37rocblas_syrkx_herkx_restricted_kernelIl19rocblas_complex_numIfELi16ELi32ELi8ELin1ELi0ELb1ELc67ELc85EKPKS1_KPS1_EviT_PT9_S7_lS9_S7_lPT10_S7_li
	.p2align	8
	.type	_ZL37rocblas_syrkx_herkx_restricted_kernelIl19rocblas_complex_numIfELi16ELi32ELi8ELin1ELi0ELb1ELc67ELc85EKPKS1_KPS1_EviT_PT9_S7_lS9_S7_lPT10_S7_li,@function
_ZL37rocblas_syrkx_herkx_restricted_kernelIl19rocblas_complex_numIfELi16ELi32ELi8ELin1ELi0ELb1ELc67ELc85EKPKS1_KPS1_EviT_PT9_S7_lS9_S7_lPT10_S7_li: ; @_ZL37rocblas_syrkx_herkx_restricted_kernelIl19rocblas_complex_numIfELi16ELi32ELi8ELin1ELi0ELb1ELc67ELc85EKPKS1_KPS1_EviT_PT9_S7_lS9_S7_lPT10_S7_li
; %bb.0:
	s_clause 0x1
	s_load_b128 s[4:7], s[0:1], 0x40
	s_load_b128 s[8:11], s[0:1], 0x8
	s_mov_b32 s2, s15
	s_mov_b32 s3, 0
	v_dual_mov_b32 v17, 0 :: v_dual_and_b32 v6, 0x3ff, v0
	s_lshl_b64 s[16:17], s[2:3], 3
	v_bfe_u32 v7, v0, 10, 10
	v_dual_mov_b32 v16, 0 :: v_dual_mov_b32 v11, 0
	v_dual_mov_b32 v10, 0 :: v_dual_mov_b32 v9, 0
	;; [unrolled: 1-line block ×3, first 2 shown]
	v_mov_b32_e32 v0, 0
	s_waitcnt lgkmcnt(0)
	s_add_u32 s2, s4, s16
	s_addc_u32 s3, s5, s17
	v_cmp_lt_i64_e64 s4, s[8:9], 1
	s_load_b64 s[2:3], s[2:3], 0x0
	s_lshl_b32 s18, s13, 5
	s_lshl_b32 s19, s14, 5
	s_delay_alu instid0(VALU_DEP_1)
	s_and_b32 vcc_lo, exec_lo, s4
	s_cbranch_vccnz .LBB1718_3
; %bb.1:
	s_clause 0x1
	s_load_b128 s[12:15], s[0:1], 0x28
	s_load_b64 s[4:5], s[0:1], 0x18
	v_lshl_add_u32 v2, v7, 4, v6
	v_dual_mov_b32 v1, 0 :: v_dual_and_b32 v0, 7, v6
	s_add_u32 s10, s10, s16
	s_addc_u32 s11, s11, s17
	s_delay_alu instid0(VALU_DEP_2)
	v_lshrrev_b32_e32 v10, 3, v2
	v_and_b32_e32 v11, 31, v2
	v_lshrrev_b32_e32 v2, 5, v2
	v_mov_b32_e32 v3, v1
	s_load_b64 s[10:11], s[10:11], 0x0
	v_add_nc_u32_e32 v12, s19, v10
	v_add_nc_u32_e32 v8, s18, v11
	v_dual_mov_b32 v16, v1 :: v_dual_lshlrev_b32 v11, 3, v11
	v_mov_b32_e32 v17, v1
	s_delay_alu instid0(VALU_DEP_4) | instskip(NEXT) | instid1(VALU_DEP_4)
	v_ashrrev_i32_e32 v4, 31, v12
	v_ashrrev_i32_e32 v5, 31, v8
	s_waitcnt lgkmcnt(0)
	s_add_u32 s12, s12, s16
	s_addc_u32 s13, s13, s17
	v_mul_lo_u32 v13, v4, s14
	v_mul_lo_u32 v14, s4, v5
	v_mad_u64_u32 v[4:5], null, s4, v8, v[2:3]
	v_mul_lo_u32 v3, s5, v8
	s_load_b64 s[4:5], s[12:13], 0x0
	v_mul_lo_u32 v15, v12, s15
	v_mad_u64_u32 v[8:9], null, v12, s14, v[0:1]
	v_lshlrev_b32_e32 v0, 3, v0
	v_lshlrev_b32_e32 v12, 3, v6
	v_add3_u32 v5, v3, v5, v14
	v_lshl_or_b32 v14, v2, 8, v11
	v_mov_b32_e32 v11, v1
	v_add3_u32 v9, v13, v9, v15
	v_lshl_or_b32 v0, v10, 6, v0
	v_lshlrev_b64 v[3:4], 3, v[4:5]
	v_lshl_add_u32 v13, v7, 6, 0x800
	v_mov_b32_e32 v10, v1
	v_lshlrev_b64 v[8:9], 3, v[8:9]
	v_add_nc_u32_e32 v15, 0x800, v0
	v_add_co_u32 v0, vcc_lo, v3, s10
	v_add_co_ci_u32_e32 v3, vcc_lo, s11, v4, vcc_lo
	s_waitcnt lgkmcnt(0)
	s_delay_alu instid0(VALU_DEP_4) | instskip(SKIP_3) | instid1(VALU_DEP_4)
	v_add_co_u32 v4, vcc_lo, v8, s4
	v_add_co_ci_u32_e32 v5, vcc_lo, s5, v9, vcc_lo
	v_add_co_u32 v2, vcc_lo, v0, 4
	v_add_co_ci_u32_e32 v3, vcc_lo, 0, v3, vcc_lo
	v_add_co_u32 v4, vcc_lo, v4, 4
	s_delay_alu instid0(VALU_DEP_4)
	v_add_co_ci_u32_e32 v5, vcc_lo, 0, v5, vcc_lo
	v_mov_b32_e32 v0, v1
	v_mov_b32_e32 v8, v1
	;; [unrolled: 1-line block ×3, first 2 shown]
	s_mov_b64 s[4:5], 0
.LBB1718_2:                             ; =>This Inner Loop Header: Depth=1
	global_load_b64 v[18:19], v[2:3], off offset:-4
	global_load_b64 v[20:21], v[4:5], off offset:-4
	s_add_u32 s4, s4, 8
	v_add_co_u32 v2, vcc_lo, v2, 64
	s_addc_u32 s5, s5, 0
	v_add_co_ci_u32_e32 v3, vcc_lo, 0, v3, vcc_lo
	v_cmp_ge_u64_e64 s10, s[4:5], s[8:9]
	v_add_co_u32 v4, vcc_lo, v4, 64
	v_add_co_ci_u32_e32 v5, vcc_lo, 0, v5, vcc_lo
	s_delay_alu instid0(VALU_DEP_3)
	s_and_b32 vcc_lo, exec_lo, s10
	s_waitcnt vmcnt(1)
	v_xor_b32_e32 v19, 0x80000000, v19
	ds_store_b64 v14, v[18:19]
	s_waitcnt vmcnt(0)
	ds_store_b64 v15, v[20:21]
	s_waitcnt lgkmcnt(0)
	s_barrier
	buffer_gl0_inv
	ds_load_2addr_b64 v[18:21], v12 offset1:16
	ds_load_b128 v[22:25], v13
	ds_load_b128 v[26:29], v13 offset:1024
	ds_load_b128 v[30:33], v13 offset:16
	;; [unrolled: 1-line block ×4, first 2 shown]
	ds_load_2addr_b64 v[42:45], v12 offset0:32 offset1:48
	ds_load_2addr_b64 v[46:49], v12 offset0:64 offset1:80
	ds_load_b128 v[50:53], v13 offset:1040
	ds_load_2addr_b64 v[54:57], v12 offset0:96 offset1:112
	ds_load_2addr_b64 v[58:61], v12 offset0:128 offset1:144
	;; [unrolled: 1-line block ×4, first 2 shown]
	ds_load_b128 v[70:73], v13 offset:1056
	ds_load_b128 v[74:77], v13 offset:1072
	ds_load_2addr_b64 v[78:81], v12 offset0:224 offset1:240
	s_waitcnt lgkmcnt(0)
	s_barrier
	buffer_gl0_inv
	v_dual_mul_f32 v82, v23, v19 :: v_dual_mul_f32 v85, v22, v21
	v_dual_mul_f32 v83, v22, v19 :: v_dual_mul_f32 v84, v23, v21
	v_mul_f32_e32 v86, v27, v19
	v_dual_mul_f32 v19, v26, v19 :: v_dual_mul_f32 v90, v25, v45
	v_dual_mul_f32 v87, v27, v21 :: v_dual_mul_f32 v88, v25, v43
	v_mul_f32_e32 v21, v26, v21
	v_fma_f32 v82, v22, v18, -v82
	v_fmac_f32_e32 v83, v23, v18
	v_fma_f32 v22, v22, v20, -v84
	v_fmac_f32_e32 v85, v23, v20
	v_fma_f32 v23, v26, v18, -v86
	v_dual_fmac_f32 v19, v27, v18 :: v_dual_mul_f32 v86, v30, v47
	v_fma_f32 v18, v26, v20, -v87
	v_dual_fmac_f32 v21, v27, v20 :: v_dual_mul_f32 v20, v24, v45
	v_mul_f32_e32 v89, v24, v43
	v_mul_f32_e32 v26, v29, v43
	;; [unrolled: 1-line block ×4, first 2 shown]
	v_fmac_f32_e32 v20, v25, v44
	v_fmac_f32_e32 v89, v25, v42
	v_dual_mul_f32 v25, v28, v45 :: v_dual_fmac_f32 v86, v31, v46
	v_fma_f32 v84, v24, v42, -v88
	v_fma_f32 v24, v24, v44, -v90
	v_dual_mul_f32 v45, v31, v47 :: v_dual_mul_f32 v90, v33, v57
	v_fma_f32 v26, v28, v42, -v26
	v_fma_f32 v28, v28, v44, -v43
	v_fmac_f32_e32 v25, v29, v44
	v_dual_mul_f32 v43, v50, v47 :: v_dual_mul_f32 v44, v51, v49
	v_dual_fmac_f32 v27, v29, v42 :: v_dual_mul_f32 v42, v51, v47
	v_dual_mul_f32 v88, v32, v55 :: v_dual_mul_f32 v29, v30, v49
	v_mul_f32_e32 v87, v31, v49
	v_fma_f32 v45, v30, v46, -v45
	v_add_f32_e32 v10, v10, v85
	s_delay_alu instid0(VALU_DEP_4)
	v_dual_fmac_f32 v88, v33, v54 :: v_dual_fmac_f32 v29, v31, v48
	v_fma_f32 v31, v50, v46, -v42
	v_fma_f32 v42, v50, v48, -v44
	v_mul_f32_e32 v44, v32, v57
	v_mul_f32_e32 v47, v50, v49
	v_dual_mul_f32 v50, v53, v57 :: v_dual_fmac_f32 v43, v51, v46
	v_mul_f32_e32 v46, v53, v55
	v_mul_f32_e32 v49, v33, v55
	v_fma_f32 v30, v30, v48, -v87
	v_fmac_f32_e32 v44, v33, v56
	v_dual_fmac_f32 v47, v51, v48 :: v_dual_mul_f32 v48, v52, v55
	v_mul_f32_e32 v33, v52, v57
	v_fma_f32 v46, v52, v54, -v46
	v_fma_f32 v50, v52, v56, -v50
	v_mul_f32_e32 v52, v34, v61
	v_fma_f32 v49, v32, v54, -v49
	v_fma_f32 v32, v32, v56, -v90
	v_dual_mul_f32 v51, v35, v59 :: v_dual_fmac_f32 v48, v53, v54
	v_mul_f32_e32 v54, v70, v59
	v_dual_mul_f32 v55, v34, v59 :: v_dual_fmac_f32 v52, v35, v60
	v_fmac_f32_e32 v33, v53, v56
	v_mul_f32_e32 v53, v71, v59
	v_mul_f32_e32 v56, v71, v61
	;; [unrolled: 1-line block ×3, first 2 shown]
	v_fmac_f32_e32 v54, v71, v58
	v_fmac_f32_e32 v55, v35, v58
	v_fma_f32 v35, v70, v58, -v53
	v_fma_f32 v53, v70, v60, -v56
	v_mul_f32_e32 v56, v36, v65
	v_mul_f32_e32 v59, v70, v61
	v_fma_f32 v51, v34, v58, -v51
	v_mul_f32_e32 v58, v72, v63
	v_mul_f32_e32 v87, v36, v63
	;; [unrolled: 1-line block ×4, first 2 shown]
	v_fma_f32 v34, v34, v60, -v57
	v_mul_f32_e32 v57, v73, v63
	v_fmac_f32_e32 v56, v37, v64
	v_dual_fmac_f32 v59, v71, v60 :: v_dual_mul_f32 v60, v73, v65
	v_mul_f32_e32 v63, v39, v67
	v_mul_f32_e32 v70, v39, v69
	v_fmac_f32_e32 v58, v73, v62
	v_fmac_f32_e32 v87, v37, v62
	v_mul_f32_e32 v37, v72, v65
	v_fma_f32 v61, v36, v62, -v61
	v_fma_f32 v36, v36, v64, -v90
	v_mul_f32_e32 v65, v38, v67
	v_fma_f32 v57, v72, v62, -v57
	v_fma_f32 v60, v72, v64, -v60
	v_dual_fmac_f32 v37, v73, v64 :: v_dual_mul_f32 v62, v38, v69
	v_mul_f32_e32 v64, v75, v67
	v_mul_f32_e32 v73, v40, v79
	v_fma_f32 v63, v38, v66, -v63
	v_fma_f32 v38, v38, v68, -v70
	v_mul_f32_e32 v70, v76, v79
	v_mul_f32_e32 v67, v74, v67
	v_dual_mul_f32 v71, v75, v69 :: v_dual_add_f32 v16, v16, v82
	v_dual_mul_f32 v69, v74, v69 :: v_dual_add_f32 v8, v8, v19
	v_fmac_f32_e32 v65, v39, v66
	v_fmac_f32_e32 v62, v39, v68
	s_delay_alu instid0(VALU_DEP_4)
	v_add_f32_e32 v16, v16, v84
	v_fma_f32 v39, v74, v66, -v64
	v_fmac_f32_e32 v70, v77, v78
	v_dual_fmac_f32 v67, v75, v66 :: v_dual_add_f32 v10, v10, v20
	v_mul_f32_e32 v66, v40, v81
	v_mul_f32_e32 v72, v41, v79
	;; [unrolled: 1-line block ×3, first 2 shown]
	v_fma_f32 v64, v74, v68, -v71
	v_dual_fmac_f32 v69, v75, v68 :: v_dual_add_f32 v0, v0, v18
	v_dual_mul_f32 v71, v77, v81 :: v_dual_add_f32 v8, v8, v27
	v_fmac_f32_e32 v73, v41, v78
	v_fmac_f32_e32 v66, v41, v80
	s_delay_alu instid0(VALU_DEP_4) | instskip(SKIP_3) | instid1(VALU_DEP_4)
	v_dual_add_f32 v0, v0, v28 :: v_dual_add_f32 v17, v17, v83
	v_add_f32_e32 v10, v10, v29
	v_mul_f32_e32 v41, v76, v81
	v_dual_add_f32 v11, v11, v22 :: v_dual_add_f32 v8, v8, v43
	v_dual_add_f32 v9, v9, v23 :: v_dual_add_f32 v0, v0, v42
	v_add_f32_e32 v1, v1, v21
	v_add_f32_e32 v16, v16, v45
	s_delay_alu instid0(VALU_DEP_4)
	v_add_f32_e32 v8, v8, v48
	v_add_f32_e32 v10, v10, v44
	v_fmac_f32_e32 v41, v77, v80
	v_dual_add_f32 v17, v17, v89 :: v_dual_add_f32 v0, v0, v50
	v_dual_add_f32 v11, v11, v24 :: v_dual_add_f32 v16, v16, v49
	v_add_f32_e32 v9, v9, v26
	v_dual_add_f32 v1, v1, v25 :: v_dual_add_f32 v10, v10, v52
	s_delay_alu instid0(VALU_DEP_4) | instskip(NEXT) | instid1(VALU_DEP_4)
	v_dual_add_f32 v17, v17, v86 :: v_dual_add_f32 v0, v0, v53
	v_dual_add_f32 v16, v16, v51 :: v_dual_add_f32 v11, v11, v30
	s_delay_alu instid0(VALU_DEP_4) | instskip(NEXT) | instid1(VALU_DEP_4)
	v_dual_add_f32 v9, v9, v31 :: v_dual_add_f32 v8, v8, v54
	v_dual_add_f32 v1, v1, v47 :: v_dual_add_f32 v10, v10, v56
	s_delay_alu instid0(VALU_DEP_4) | instskip(NEXT) | instid1(VALU_DEP_3)
	v_add_f32_e32 v17, v17, v88
	v_dual_add_f32 v9, v9, v46 :: v_dual_add_f32 v0, v0, v60
	s_delay_alu instid0(VALU_DEP_3) | instskip(SKIP_2) | instid1(VALU_DEP_3)
	v_dual_add_f32 v1, v1, v33 :: v_dual_add_f32 v10, v10, v62
	v_dual_add_f32 v16, v16, v61 :: v_dual_add_f32 v11, v11, v32
	v_fma_f32 v72, v40, v78, -v72
	v_dual_add_f32 v1, v1, v59 :: v_dual_add_f32 v10, v10, v66
	v_dual_add_f32 v8, v8, v58 :: v_dual_add_f32 v17, v17, v55
	v_add_f32_e32 v0, v0, v64
	v_dual_add_f32 v16, v16, v63 :: v_dual_add_f32 v11, v11, v34
	s_delay_alu instid0(VALU_DEP_3) | instskip(SKIP_2) | instid1(VALU_DEP_4)
	v_add_f32_e32 v8, v8, v67
	v_add_f32_e32 v9, v9, v35
	v_mul_f32_e32 v68, v77, v79
	v_add_f32_e32 v16, v16, v72
	v_fma_f32 v71, v76, v80, -v71
	v_dual_add_f32 v17, v17, v87 :: v_dual_add_f32 v8, v8, v70
	v_add_f32_e32 v11, v11, v36
	s_delay_alu instid0(VALU_DEP_3)
	v_dual_add_f32 v9, v9, v57 :: v_dual_add_f32 v0, v0, v71
	v_add_f32_e32 v1, v1, v37
	v_fma_f32 v40, v40, v80, -v90
	v_fma_f32 v68, v76, v78, -v68
	v_add_f32_e32 v17, v17, v65
	v_add_f32_e32 v11, v11, v38
	;; [unrolled: 1-line block ×4, first 2 shown]
	s_delay_alu instid0(VALU_DEP_4) | instskip(NEXT) | instid1(VALU_DEP_4)
	v_add_f32_e32 v17, v17, v73
	v_add_f32_e32 v11, v11, v40
	s_delay_alu instid0(VALU_DEP_4) | instskip(NEXT) | instid1(VALU_DEP_4)
	v_add_f32_e32 v9, v9, v68
	v_add_f32_e32 v1, v1, v41
	s_cbranch_vccz .LBB1718_2
.LBB1718_3:
	v_add_nc_u32_e32 v7, s19, v7
	s_load_b32 s4, s[0:1], 0x0
	s_delay_alu instid0(VALU_DEP_1) | instskip(SKIP_2) | instid1(VALU_DEP_3)
	v_ashrrev_i32_e32 v2, 31, v7
	v_mul_lo_u32 v5, v7, s7
	v_mad_u64_u32 v[3:4], null, v7, s6, 0
	v_mul_lo_u32 v2, v2, s6
	s_delay_alu instid0(VALU_DEP_1) | instskip(SKIP_3) | instid1(VALU_DEP_3)
	v_add3_u32 v4, v4, v5, v2
	v_add_nc_u32_e32 v2, s18, v6
	s_waitcnt lgkmcnt(0)
	v_cmp_gt_i32_e32 vcc_lo, s4, v7
	v_lshlrev_b64 v[3:4], 3, v[3:4]
	s_delay_alu instid0(VALU_DEP_3) | instskip(NEXT) | instid1(VALU_DEP_1)
	v_cmp_le_i32_e64 s0, v2, v7
	s_and_b32 s0, vcc_lo, s0
	s_delay_alu instid0(VALU_DEP_2) | instskip(NEXT) | instid1(VALU_DEP_1)
	v_add_co_u32 v6, s1, s2, v3
	v_add_co_ci_u32_e64 v12, s1, s3, v4, s1
	s_and_saveexec_b32 s1, s0
	s_cbranch_execz .LBB1718_6
; %bb.4:
	v_ashrrev_i32_e32 v3, 31, v2
	v_xor_b32_e32 v13, 0x80000000, v16
	v_xor_b32_e32 v14, 0x80000000, v17
	s_delay_alu instid0(VALU_DEP_3) | instskip(NEXT) | instid1(VALU_DEP_1)
	v_lshlrev_b64 v[3:4], 3, v[2:3]
	v_add_co_u32 v3, s0, v6, v3
	s_delay_alu instid0(VALU_DEP_1)
	v_add_co_ci_u32_e64 v4, s0, v12, v4, s0
	v_cmp_eq_u32_e64 s0, v7, v2
	global_store_b64 v[3:4], v[13:14], off
	s_and_b32 exec_lo, exec_lo, s0
	s_cbranch_execz .LBB1718_6
; %bb.5:
	v_mov_b32_e32 v5, 0
	global_store_b32 v[3:4], v5, off offset:4
.LBB1718_6:
	s_or_b32 exec_lo, exec_lo, s1
	v_add_nc_u32_e32 v4, 16, v2
	s_delay_alu instid0(VALU_DEP_1) | instskip(NEXT) | instid1(VALU_DEP_1)
	v_cmp_le_i32_e64 s0, v4, v7
	s_and_b32 s1, vcc_lo, s0
	s_delay_alu instid0(SALU_CYCLE_1)
	s_and_saveexec_b32 s0, s1
	s_cbranch_execz .LBB1718_9
; %bb.7:
	v_ashrrev_i32_e32 v5, 31, v4
	v_xor_b32_e32 v15, 0x80000000, v11
	v_xor_b32_e32 v16, 0x80000000, v10
	s_delay_alu instid0(VALU_DEP_3) | instskip(NEXT) | instid1(VALU_DEP_1)
	v_lshlrev_b64 v[13:14], 3, v[4:5]
	v_add_co_u32 v5, vcc_lo, v6, v13
	s_delay_alu instid0(VALU_DEP_2)
	v_add_co_ci_u32_e32 v6, vcc_lo, v12, v14, vcc_lo
	v_cmp_eq_u32_e32 vcc_lo, v7, v4
	global_store_b64 v[5:6], v[15:16], off
	s_and_b32 exec_lo, exec_lo, vcc_lo
	s_cbranch_execz .LBB1718_9
; %bb.8:
	v_mov_b32_e32 v3, 0
	global_store_b32 v[5:6], v3, off offset:4
.LBB1718_9:
	s_or_b32 exec_lo, exec_lo, s0
	v_add_nc_u32_e32 v12, 16, v7
	s_delay_alu instid0(VALU_DEP_1) | instskip(SKIP_3) | instid1(VALU_DEP_4)
	v_ashrrev_i32_e32 v3, 31, v12
	v_mul_lo_u32 v10, v12, s7
	v_mad_u64_u32 v[5:6], null, v12, s6, 0
	v_cmp_gt_i32_e32 vcc_lo, s4, v12
	v_mul_lo_u32 v3, v3, s6
	v_cmp_le_i32_e64 s0, v2, v12
	s_delay_alu instid0(VALU_DEP_1) | instskip(NEXT) | instid1(VALU_DEP_2)
	s_and_b32 s0, vcc_lo, s0
	v_add3_u32 v6, v6, v10, v3
	s_delay_alu instid0(VALU_DEP_1) | instskip(NEXT) | instid1(VALU_DEP_1)
	v_lshlrev_b64 v[5:6], 3, v[5:6]
	v_add_co_u32 v10, s1, s2, v5
	s_delay_alu instid0(VALU_DEP_1)
	v_add_co_ci_u32_e64 v11, s1, s3, v6, s1
	s_and_saveexec_b32 s1, s0
	s_cbranch_execz .LBB1718_12
; %bb.10:
	v_ashrrev_i32_e32 v3, 31, v2
	v_xor_b32_e32 v13, 0x80000000, v9
	v_xor_b32_e32 v14, 0x80000000, v8
	s_delay_alu instid0(VALU_DEP_3) | instskip(NEXT) | instid1(VALU_DEP_1)
	v_lshlrev_b64 v[5:6], 3, v[2:3]
	v_add_co_u32 v5, s0, v10, v5
	s_delay_alu instid0(VALU_DEP_1)
	v_add_co_ci_u32_e64 v6, s0, v11, v6, s0
	v_cmp_eq_u32_e64 s0, v12, v2
	global_store_b64 v[5:6], v[13:14], off
	s_and_b32 exec_lo, exec_lo, s0
	s_cbranch_execz .LBB1718_12
; %bb.11:
	v_mov_b32_e32 v3, 0
	global_store_b32 v[5:6], v3, off offset:4
.LBB1718_12:
	s_or_b32 exec_lo, exec_lo, s1
	v_cmp_le_i32_e64 s0, v4, v12
	s_delay_alu instid0(VALU_DEP_1) | instskip(NEXT) | instid1(SALU_CYCLE_1)
	s_and_b32 s0, vcc_lo, s0
	s_and_saveexec_b32 s1, s0
	s_cbranch_execz .LBB1718_15
; %bb.13:
	v_ashrrev_i32_e32 v5, 31, v4
	v_xor_b32_e32 v6, 0x80000000, v1
	s_delay_alu instid0(VALU_DEP_2) | instskip(SKIP_1) | instid1(VALU_DEP_2)
	v_lshlrev_b64 v[3:4], 3, v[4:5]
	v_xor_b32_e32 v5, 0x80000000, v0
	v_add_co_u32 v0, vcc_lo, v10, v3
	s_delay_alu instid0(VALU_DEP_3)
	v_add_co_ci_u32_e32 v1, vcc_lo, v11, v4, vcc_lo
	v_cmp_eq_u32_e32 vcc_lo, v7, v2
	global_store_b64 v[0:1], v[5:6], off
	s_and_b32 exec_lo, exec_lo, vcc_lo
	s_cbranch_execz .LBB1718_15
; %bb.14:
	v_mov_b32_e32 v2, 0
	global_store_b32 v[0:1], v2, off offset:4
.LBB1718_15:
	s_nop 0
	s_sendmsg sendmsg(MSG_DEALLOC_VGPRS)
	s_endpgm
	.section	.rodata,"a",@progbits
	.p2align	6, 0x0
	.amdhsa_kernel _ZL37rocblas_syrkx_herkx_restricted_kernelIl19rocblas_complex_numIfELi16ELi32ELi8ELin1ELi0ELb1ELc67ELc85EKPKS1_KPS1_EviT_PT9_S7_lS9_S7_lPT10_S7_li
		.amdhsa_group_segment_fixed_size 4096
		.amdhsa_private_segment_fixed_size 0
		.amdhsa_kernarg_size 92
		.amdhsa_user_sgpr_count 13
		.amdhsa_user_sgpr_dispatch_ptr 0
		.amdhsa_user_sgpr_queue_ptr 0
		.amdhsa_user_sgpr_kernarg_segment_ptr 1
		.amdhsa_user_sgpr_dispatch_id 0
		.amdhsa_user_sgpr_private_segment_size 0
		.amdhsa_wavefront_size32 1
		.amdhsa_uses_dynamic_stack 0
		.amdhsa_enable_private_segment 0
		.amdhsa_system_sgpr_workgroup_id_x 1
		.amdhsa_system_sgpr_workgroup_id_y 1
		.amdhsa_system_sgpr_workgroup_id_z 1
		.amdhsa_system_sgpr_workgroup_info 0
		.amdhsa_system_vgpr_workitem_id 1
		.amdhsa_next_free_vgpr 91
		.amdhsa_next_free_sgpr 20
		.amdhsa_reserve_vcc 1
		.amdhsa_float_round_mode_32 0
		.amdhsa_float_round_mode_16_64 0
		.amdhsa_float_denorm_mode_32 3
		.amdhsa_float_denorm_mode_16_64 3
		.amdhsa_dx10_clamp 1
		.amdhsa_ieee_mode 1
		.amdhsa_fp16_overflow 0
		.amdhsa_workgroup_processor_mode 1
		.amdhsa_memory_ordered 1
		.amdhsa_forward_progress 0
		.amdhsa_shared_vgpr_count 0
		.amdhsa_exception_fp_ieee_invalid_op 0
		.amdhsa_exception_fp_denorm_src 0
		.amdhsa_exception_fp_ieee_div_zero 0
		.amdhsa_exception_fp_ieee_overflow 0
		.amdhsa_exception_fp_ieee_underflow 0
		.amdhsa_exception_fp_ieee_inexact 0
		.amdhsa_exception_int_div_zero 0
	.end_amdhsa_kernel
	.section	.text._ZL37rocblas_syrkx_herkx_restricted_kernelIl19rocblas_complex_numIfELi16ELi32ELi8ELin1ELi0ELb1ELc67ELc85EKPKS1_KPS1_EviT_PT9_S7_lS9_S7_lPT10_S7_li,"axG",@progbits,_ZL37rocblas_syrkx_herkx_restricted_kernelIl19rocblas_complex_numIfELi16ELi32ELi8ELin1ELi0ELb1ELc67ELc85EKPKS1_KPS1_EviT_PT9_S7_lS9_S7_lPT10_S7_li,comdat
.Lfunc_end1718:
	.size	_ZL37rocblas_syrkx_herkx_restricted_kernelIl19rocblas_complex_numIfELi16ELi32ELi8ELin1ELi0ELb1ELc67ELc85EKPKS1_KPS1_EviT_PT9_S7_lS9_S7_lPT10_S7_li, .Lfunc_end1718-_ZL37rocblas_syrkx_herkx_restricted_kernelIl19rocblas_complex_numIfELi16ELi32ELi8ELin1ELi0ELb1ELc67ELc85EKPKS1_KPS1_EviT_PT9_S7_lS9_S7_lPT10_S7_li
                                        ; -- End function
	.section	.AMDGPU.csdata,"",@progbits
; Kernel info:
; codeLenInByte = 2304
; NumSgprs: 22
; NumVgprs: 91
; ScratchSize: 0
; MemoryBound: 0
; FloatMode: 240
; IeeeMode: 1
; LDSByteSize: 4096 bytes/workgroup (compile time only)
; SGPRBlocks: 2
; VGPRBlocks: 11
; NumSGPRsForWavesPerEU: 22
; NumVGPRsForWavesPerEU: 91
; Occupancy: 16
; WaveLimiterHint : 1
; COMPUTE_PGM_RSRC2:SCRATCH_EN: 0
; COMPUTE_PGM_RSRC2:USER_SGPR: 13
; COMPUTE_PGM_RSRC2:TRAP_HANDLER: 0
; COMPUTE_PGM_RSRC2:TGID_X_EN: 1
; COMPUTE_PGM_RSRC2:TGID_Y_EN: 1
; COMPUTE_PGM_RSRC2:TGID_Z_EN: 1
; COMPUTE_PGM_RSRC2:TIDIG_COMP_CNT: 1
	.section	.text._ZL37rocblas_syrkx_herkx_restricted_kernelIl19rocblas_complex_numIfELi16ELi32ELi8ELin1ELi0ELb1ELc78ELc85EKPKS1_KPS1_EviT_PT9_S7_lS9_S7_lPT10_S7_li,"axG",@progbits,_ZL37rocblas_syrkx_herkx_restricted_kernelIl19rocblas_complex_numIfELi16ELi32ELi8ELin1ELi0ELb1ELc78ELc85EKPKS1_KPS1_EviT_PT9_S7_lS9_S7_lPT10_S7_li,comdat
	.globl	_ZL37rocblas_syrkx_herkx_restricted_kernelIl19rocblas_complex_numIfELi16ELi32ELi8ELin1ELi0ELb1ELc78ELc85EKPKS1_KPS1_EviT_PT9_S7_lS9_S7_lPT10_S7_li ; -- Begin function _ZL37rocblas_syrkx_herkx_restricted_kernelIl19rocblas_complex_numIfELi16ELi32ELi8ELin1ELi0ELb1ELc78ELc85EKPKS1_KPS1_EviT_PT9_S7_lS9_S7_lPT10_S7_li
	.p2align	8
	.type	_ZL37rocblas_syrkx_herkx_restricted_kernelIl19rocblas_complex_numIfELi16ELi32ELi8ELin1ELi0ELb1ELc78ELc85EKPKS1_KPS1_EviT_PT9_S7_lS9_S7_lPT10_S7_li,@function
_ZL37rocblas_syrkx_herkx_restricted_kernelIl19rocblas_complex_numIfELi16ELi32ELi8ELin1ELi0ELb1ELc78ELc85EKPKS1_KPS1_EviT_PT9_S7_lS9_S7_lPT10_S7_li: ; @_ZL37rocblas_syrkx_herkx_restricted_kernelIl19rocblas_complex_numIfELi16ELi32ELi8ELin1ELi0ELb1ELc78ELc85EKPKS1_KPS1_EviT_PT9_S7_lS9_S7_lPT10_S7_li
; %bb.0:
	s_clause 0x1
	s_load_b128 s[4:7], s[0:1], 0x40
	s_load_b128 s[8:11], s[0:1], 0x8
	s_mov_b32 s2, s15
	s_mov_b32 s3, 0
	v_dual_mov_b32 v17, 0 :: v_dual_and_b32 v4, 0x3ff, v0
	s_lshl_b64 s[16:17], s[2:3], 3
	v_bfe_u32 v6, v0, 10, 10
	v_dual_mov_b32 v16, 0 :: v_dual_mov_b32 v13, 0
	v_dual_mov_b32 v12, 0 :: v_dual_mov_b32 v9, 0
	;; [unrolled: 1-line block ×3, first 2 shown]
	v_mov_b32_e32 v5, 0
	s_waitcnt lgkmcnt(0)
	s_add_u32 s2, s4, s16
	s_addc_u32 s3, s5, s17
	v_cmp_lt_i64_e64 s4, s[8:9], 1
	s_load_b64 s[2:3], s[2:3], 0x0
	s_lshl_b32 s18, s13, 5
	s_lshl_b32 s19, s14, 5
	s_delay_alu instid0(VALU_DEP_1)
	s_and_b32 vcc_lo, exec_lo, s4
	s_cbranch_vccnz .LBB1719_3
; %bb.1:
	v_lshl_add_u32 v1, v6, 4, v4
	s_clause 0x1
	s_load_b64 s[4:5], s[0:1], 0x18
	s_load_b128 s[12:15], s[0:1], 0x28
	s_add_u32 s10, s10, s16
	s_addc_u32 s11, s11, s17
	v_lshl_add_u32 v11, v6, 6, 0x800
	v_dual_mov_b32 v5, 0 :: v_dual_and_b32 v14, 31, v1
	v_lshrrev_b32_e32 v15, 3, v1
	v_lshrrev_b32_e32 v16, 5, v1
	s_load_b64 s[10:11], s[10:11], 0x0
	s_delay_alu instid0(VALU_DEP_3) | instskip(SKIP_2) | instid1(VALU_DEP_3)
	v_add_nc_u32_e32 v0, s18, v14
	v_lshlrev_b32_e32 v14, 3, v14
	v_dual_mov_b32 v17, 0 :: v_dual_add_nc_u32 v2, s19, v15
	v_ashrrev_i32_e32 v1, 31, v0
	s_delay_alu instid0(VALU_DEP_2) | instskip(SKIP_1) | instid1(VALU_DEP_2)
	v_ashrrev_i32_e32 v3, 31, v2
	s_waitcnt lgkmcnt(0)
	v_mad_u64_u32 v[12:13], null, v16, s4, v[0:1]
	v_and_b32_e32 v7, 7, v4
	s_add_u32 s12, s12, s16
	s_addc_u32 s13, s13, s17
	s_load_b64 s[12:13], s[12:13], 0x0
	s_delay_alu instid0(VALU_DEP_1) | instskip(NEXT) | instid1(VALU_DEP_3)
	v_mad_u64_u32 v[0:1], null, v7, s14, v[2:3]
	v_mov_b32_e32 v2, v13
	s_delay_alu instid0(VALU_DEP_1) | instskip(NEXT) | instid1(VALU_DEP_3)
	v_mad_u64_u32 v[8:9], null, v16, s5, v[2:3]
	v_mad_u64_u32 v[2:3], null, v7, s15, v[1:2]
	v_lshlrev_b32_e32 v1, 3, v7
	v_dual_mov_b32 v7, 0 :: v_dual_lshlrev_b32 v10, 3, v4
	v_mov_b32_e32 v9, 0
	v_dual_mov_b32 v13, v8 :: v_dual_mov_b32 v8, 0
	s_delay_alu instid0(VALU_DEP_4) | instskip(SKIP_2) | instid1(VALU_DEP_4)
	v_lshl_or_b32 v15, v15, 6, v1
	v_mov_b32_e32 v1, v2
	v_lshl_or_b32 v14, v16, 8, v14
	v_lshlrev_b64 v[2:3], 3, v[12:13]
	s_lshl_b64 s[4:5], s[4:5], 6
	v_add_nc_u32_e32 v15, 0x800, v15
	v_lshlrev_b64 v[0:1], 3, v[0:1]
	v_mov_b32_e32 v16, 0
	s_delay_alu instid0(VALU_DEP_4) | instskip(SKIP_2) | instid1(VALU_DEP_4)
	v_add_co_u32 v2, vcc_lo, v2, s10
	v_add_co_ci_u32_e32 v3, vcc_lo, s11, v3, vcc_lo
	s_waitcnt lgkmcnt(0)
	v_add_co_u32 v12, vcc_lo, v0, s12
	v_add_co_ci_u32_e32 v13, vcc_lo, s13, v1, vcc_lo
	v_add_co_u32 v0, vcc_lo, v2, 4
	v_add_co_ci_u32_e32 v1, vcc_lo, 0, v3, vcc_lo
	s_delay_alu instid0(VALU_DEP_4)
	v_add_co_u32 v2, vcc_lo, v12, 4
	v_mov_b32_e32 v12, 0
	v_add_co_ci_u32_e32 v3, vcc_lo, 0, v13, vcc_lo
	v_mov_b32_e32 v13, 0
	s_lshl_b64 s[10:11], s[14:15], 6
	s_mov_b64 s[12:13], 0
.LBB1719_2:                             ; =>This Inner Loop Header: Depth=1
	global_load_b64 v[18:19], v[2:3], off offset:-4
	global_load_b64 v[20:21], v[0:1], off offset:-4
	s_add_u32 s12, s12, 8
	v_add_co_u32 v0, vcc_lo, v0, s4
	s_addc_u32 s13, s13, 0
	v_add_co_ci_u32_e32 v1, vcc_lo, s5, v1, vcc_lo
	v_cmp_ge_u64_e64 s14, s[12:13], s[8:9]
	v_add_co_u32 v2, vcc_lo, v2, s10
	v_add_co_ci_u32_e32 v3, vcc_lo, s11, v3, vcc_lo
	s_delay_alu instid0(VALU_DEP_3)
	s_and_b32 vcc_lo, exec_lo, s14
	s_waitcnt vmcnt(1)
	v_xor_b32_e32 v19, 0x80000000, v19
	s_waitcnt vmcnt(0)
	ds_store_b64 v14, v[20:21]
	ds_store_b64 v15, v[18:19]
	s_waitcnt lgkmcnt(0)
	s_barrier
	buffer_gl0_inv
	ds_load_2addr_b64 v[18:21], v10 offset1:16
	ds_load_b128 v[22:25], v11
	ds_load_b128 v[26:29], v11 offset:1024
	ds_load_b128 v[30:33], v11 offset:16
	;; [unrolled: 1-line block ×4, first 2 shown]
	ds_load_2addr_b64 v[42:45], v10 offset0:32 offset1:48
	ds_load_2addr_b64 v[46:49], v10 offset0:64 offset1:80
	ds_load_b128 v[50:53], v11 offset:1040
	ds_load_2addr_b64 v[54:57], v10 offset0:96 offset1:112
	ds_load_2addr_b64 v[58:61], v10 offset0:128 offset1:144
	;; [unrolled: 1-line block ×4, first 2 shown]
	ds_load_b128 v[70:73], v11 offset:1056
	ds_load_b128 v[74:77], v11 offset:1072
	ds_load_2addr_b64 v[78:81], v10 offset0:224 offset1:240
	s_waitcnt lgkmcnt(0)
	s_barrier
	buffer_gl0_inv
	v_dual_mul_f32 v82, v23, v19 :: v_dual_mul_f32 v85, v22, v21
	v_dual_mul_f32 v83, v22, v19 :: v_dual_mul_f32 v84, v23, v21
	v_mul_f32_e32 v86, v27, v19
	v_dual_mul_f32 v19, v26, v19 :: v_dual_mul_f32 v90, v25, v45
	v_dual_mul_f32 v87, v27, v21 :: v_dual_mul_f32 v88, v25, v43
	v_mul_f32_e32 v21, v26, v21
	v_mul_f32_e32 v89, v24, v43
	;; [unrolled: 1-line block ×3, first 2 shown]
	v_fma_f32 v82, v22, v18, -v82
	v_fmac_f32_e32 v83, v23, v18
	v_fma_f32 v22, v22, v20, -v84
	v_dual_fmac_f32 v85, v23, v20 :: v_dual_mul_f32 v84, v30, v47
	v_fma_f32 v23, v26, v18, -v86
	v_fmac_f32_e32 v19, v27, v18
	v_fma_f32 v18, v26, v20, -v87
	v_dual_mul_f32 v26, v28, v43 :: v_dual_fmac_f32 v21, v27, v20
	v_mul_f32_e32 v20, v29, v43
	v_mul_f32_e32 v27, v29, v45
	v_dual_mul_f32 v43, v28, v45 :: v_dual_fmac_f32 v84, v31, v46
	v_fma_f32 v45, v24, v42, -v88
	v_fma_f32 v24, v24, v44, -v90
	v_dual_fmac_f32 v91, v25, v44 :: v_dual_mul_f32 v90, v32, v57
	v_dual_mul_f32 v86, v31, v49 :: v_dual_fmac_f32 v89, v25, v42
	v_dual_mul_f32 v25, v31, v47 :: v_dual_mul_f32 v88, v33, v57
	v_fma_f32 v20, v28, v42, -v20
	v_fmac_f32_e32 v26, v29, v42
	v_fma_f32 v27, v28, v44, -v27
	v_dual_fmac_f32 v43, v29, v44 :: v_dual_mul_f32 v28, v51, v47
	v_dual_mul_f32 v29, v50, v47 :: v_dual_mul_f32 v42, v51, v49
	v_mul_f32_e32 v44, v50, v49
	v_mul_f32_e32 v87, v30, v49
	;; [unrolled: 1-line block ×3, first 2 shown]
	v_dual_mul_f32 v49, v32, v55 :: v_dual_fmac_f32 v90, v33, v56
	v_fma_f32 v25, v30, v46, -v25
	v_fma_f32 v30, v30, v48, -v86
	v_fma_f32 v28, v50, v46, -v28
	v_fmac_f32_e32 v44, v51, v48
	v_fmac_f32_e32 v87, v31, v48
	v_fma_f32 v31, v50, v48, -v42
	v_mul_f32_e32 v42, v53, v55
	v_mul_f32_e32 v48, v53, v57
	v_dual_mul_f32 v50, v52, v57 :: v_dual_fmac_f32 v29, v51, v46
	v_mul_f32_e32 v46, v52, v55
	v_fma_f32 v47, v32, v54, -v47
	v_fmac_f32_e32 v49, v33, v54
	v_fma_f32 v32, v32, v56, -v88
	s_delay_alu instid0(VALU_DEP_4)
	v_dual_mul_f32 v33, v35, v59 :: v_dual_fmac_f32 v46, v53, v54
	v_mul_f32_e32 v51, v34, v59
	v_mul_f32_e32 v55, v35, v61
	v_fma_f32 v42, v52, v54, -v42
	v_fma_f32 v48, v52, v56, -v48
	v_fmac_f32_e32 v50, v53, v56
	v_mul_f32_e32 v52, v71, v59
	v_dual_mul_f32 v53, v70, v59 :: v_dual_mul_f32 v86, v37, v65
	v_mul_f32_e32 v54, v71, v61
	v_dual_mul_f32 v56, v70, v61 :: v_dual_mul_f32 v59, v37, v63
	v_mul_f32_e32 v57, v34, v61
	v_mul_f32_e32 v61, v36, v63
	v_dual_mul_f32 v88, v36, v65 :: v_dual_fmac_f32 v51, v35, v58
	v_fma_f32 v33, v34, v58, -v33
	v_fmac_f32_e32 v53, v71, v58
	v_fmac_f32_e32 v56, v71, v60
	s_delay_alu instid0(VALU_DEP_4)
	v_fmac_f32_e32 v88, v37, v64
	v_fmac_f32_e32 v57, v35, v60
	v_fma_f32 v35, v70, v58, -v52
	v_fma_f32 v52, v70, v60, -v54
	v_mul_f32_e32 v54, v73, v63
	v_fma_f32 v34, v34, v60, -v55
	v_mul_f32_e32 v60, v72, v65
	v_dual_mul_f32 v55, v72, v63 :: v_dual_mul_f32 v70, v38, v69
	v_mul_f32_e32 v58, v73, v65
	v_fma_f32 v59, v36, v62, -v59
	v_fmac_f32_e32 v61, v37, v62
	v_fma_f32 v36, v36, v64, -v86
	v_dual_mul_f32 v37, v39, v67 :: v_dual_fmac_f32 v60, v73, v64
	v_dual_mul_f32 v63, v38, v67 :: v_dual_mul_f32 v86, v40, v81
	v_mul_f32_e32 v65, v39, v69
	v_fma_f32 v54, v72, v62, -v54
	v_fmac_f32_e32 v55, v73, v62
	v_fma_f32 v58, v72, v64, -v58
	v_mul_f32_e32 v72, v40, v79
	v_mul_f32_e32 v62, v75, v67
	v_dual_mul_f32 v64, v74, v67 :: v_dual_mul_f32 v67, v75, v69
	v_dual_mul_f32 v69, v74, v69 :: v_dual_fmac_f32 v70, v39, v68
	s_delay_alu instid0(VALU_DEP_2)
	v_dual_mul_f32 v71, v41, v79 :: v_dual_fmac_f32 v64, v75, v66
	v_dual_mul_f32 v73, v41, v81 :: v_dual_add_f32 v16, v16, v82
	v_fma_f32 v37, v38, v66, -v37
	v_fmac_f32_e32 v63, v39, v66
	v_fma_f32 v38, v38, v68, -v65
	v_fma_f32 v39, v74, v66, -v62
	v_dual_mul_f32 v65, v77, v79 :: v_dual_add_f32 v12, v12, v85
	v_mul_f32_e32 v66, v76, v79
	v_fma_f32 v62, v74, v68, -v67
	v_dual_mul_f32 v67, v77, v81 :: v_dual_add_f32 v8, v8, v19
	v_dual_add_f32 v17, v17, v83 :: v_dual_add_f32 v16, v16, v45
	v_dual_add_f32 v13, v13, v22 :: v_dual_add_f32 v12, v12, v91
	s_delay_alu instid0(VALU_DEP_3) | instskip(SKIP_1) | instid1(VALU_DEP_3)
	v_dual_add_f32 v9, v9, v23 :: v_dual_add_f32 v8, v8, v26
	v_dual_fmac_f32 v86, v41, v80 :: v_dual_add_f32 v7, v7, v18
	v_dual_add_f32 v5, v5, v21 :: v_dual_add_f32 v12, v12, v87
	s_delay_alu instid0(VALU_DEP_4)
	v_dual_add_f32 v13, v13, v24 :: v_dual_add_f32 v16, v16, v25
	v_add_f32_e32 v17, v17, v89
	v_dual_add_f32 v9, v9, v20 :: v_dual_add_f32 v8, v8, v29
	v_dual_fmac_f32 v69, v75, v68 :: v_dual_fmac_f32 v72, v41, v78
	v_mul_f32_e32 v68, v76, v81
	v_dual_fmac_f32 v66, v77, v78 :: v_dual_add_f32 v7, v7, v27
	v_dual_add_f32 v5, v5, v43 :: v_dual_add_f32 v12, v12, v90
	v_dual_add_f32 v16, v16, v47 :: v_dual_add_f32 v17, v17, v84
	v_add_f32_e32 v8, v8, v46
	s_delay_alu instid0(VALU_DEP_4) | instskip(NEXT) | instid1(VALU_DEP_3)
	v_dual_fmac_f32 v68, v77, v80 :: v_dual_add_f32 v7, v7, v31
	v_dual_add_f32 v13, v13, v30 :: v_dual_add_f32 v16, v16, v33
	v_dual_add_f32 v9, v9, v28 :: v_dual_add_f32 v12, v12, v57
	s_delay_alu instid0(VALU_DEP_4) | instskip(NEXT) | instid1(VALU_DEP_3)
	v_dual_add_f32 v5, v5, v44 :: v_dual_add_f32 v8, v8, v53
	v_dual_add_f32 v17, v17, v49 :: v_dual_add_f32 v16, v16, v59
	s_delay_alu instid0(VALU_DEP_4) | instskip(NEXT) | instid1(VALU_DEP_4)
	v_add_f32_e32 v13, v13, v32
	v_dual_add_f32 v9, v9, v42 :: v_dual_add_f32 v12, v12, v88
	s_delay_alu instid0(VALU_DEP_3) | instskip(SKIP_2) | instid1(VALU_DEP_4)
	v_dual_add_f32 v7, v7, v48 :: v_dual_add_f32 v16, v16, v37
	v_dual_add_f32 v8, v8, v55 :: v_dual_add_f32 v5, v5, v50
	v_fma_f32 v71, v40, v78, -v71
	v_dual_add_f32 v17, v17, v51 :: v_dual_add_f32 v12, v12, v70
	v_add_f32_e32 v13, v13, v34
	s_delay_alu instid0(VALU_DEP_4) | instskip(SKIP_3) | instid1(VALU_DEP_4)
	v_dual_add_f32 v9, v9, v35 :: v_dual_add_f32 v8, v8, v64
	v_add_f32_e32 v7, v7, v52
	v_add_f32_e32 v5, v5, v56
	v_dual_add_f32 v17, v17, v61 :: v_dual_add_f32 v16, v16, v71
	v_dual_add_f32 v8, v8, v66 :: v_dual_add_f32 v13, v13, v36
	s_delay_alu instid0(VALU_DEP_4) | instskip(NEXT) | instid1(VALU_DEP_4)
	v_add_f32_e32 v7, v7, v58
	v_dual_add_f32 v5, v5, v60 :: v_dual_add_f32 v12, v12, v86
	v_add_f32_e32 v9, v9, v54
	v_fma_f32 v40, v40, v80, -v73
	v_fma_f32 v41, v76, v78, -v65
	;; [unrolled: 1-line block ×3, first 2 shown]
	v_add_f32_e32 v17, v17, v63
	v_add_f32_e32 v13, v13, v38
	;; [unrolled: 1-line block ×10, first 2 shown]
	s_cbranch_vccz .LBB1719_2
.LBB1719_3:
	v_add_nc_u32_e32 v6, s19, v6
	s_load_b32 s4, s[0:1], 0x0
	s_delay_alu instid0(VALU_DEP_1) | instskip(SKIP_2) | instid1(VALU_DEP_3)
	v_ashrrev_i32_e32 v0, 31, v6
	v_mul_lo_u32 v3, v6, s7
	v_mad_u64_u32 v[1:2], null, v6, s6, 0
	v_mul_lo_u32 v0, v0, s6
	s_delay_alu instid0(VALU_DEP_1) | instskip(SKIP_3) | instid1(VALU_DEP_3)
	v_add3_u32 v2, v2, v3, v0
	v_add_nc_u32_e32 v0, s18, v4
	s_waitcnt lgkmcnt(0)
	v_cmp_gt_i32_e32 vcc_lo, s4, v6
	v_lshlrev_b64 v[1:2], 3, v[1:2]
	s_delay_alu instid0(VALU_DEP_3) | instskip(NEXT) | instid1(VALU_DEP_1)
	v_cmp_le_i32_e64 s0, v0, v6
	s_and_b32 s0, vcc_lo, s0
	s_delay_alu instid0(VALU_DEP_2) | instskip(NEXT) | instid1(VALU_DEP_1)
	v_add_co_u32 v4, s1, s2, v1
	v_add_co_ci_u32_e64 v10, s1, s3, v2, s1
	s_and_saveexec_b32 s1, s0
	s_cbranch_execz .LBB1719_6
; %bb.4:
	v_ashrrev_i32_e32 v1, 31, v0
	v_xor_b32_e32 v14, 0x80000000, v16
	v_xor_b32_e32 v15, 0x80000000, v17
	s_delay_alu instid0(VALU_DEP_3) | instskip(NEXT) | instid1(VALU_DEP_1)
	v_lshlrev_b64 v[1:2], 3, v[0:1]
	v_add_co_u32 v1, s0, v4, v1
	s_delay_alu instid0(VALU_DEP_1)
	v_add_co_ci_u32_e64 v2, s0, v10, v2, s0
	v_cmp_eq_u32_e64 s0, v6, v0
	global_store_b64 v[1:2], v[14:15], off
	s_and_b32 exec_lo, exec_lo, s0
	s_cbranch_execz .LBB1719_6
; %bb.5:
	v_mov_b32_e32 v3, 0
	global_store_b32 v[1:2], v3, off offset:4
.LBB1719_6:
	s_or_b32 exec_lo, exec_lo, s1
	v_add_nc_u32_e32 v2, 16, v0
	s_delay_alu instid0(VALU_DEP_1) | instskip(NEXT) | instid1(VALU_DEP_1)
	v_cmp_le_i32_e64 s0, v2, v6
	s_and_b32 s1, vcc_lo, s0
	s_delay_alu instid0(SALU_CYCLE_1)
	s_and_saveexec_b32 s0, s1
	s_cbranch_execz .LBB1719_9
; %bb.7:
	v_ashrrev_i32_e32 v3, 31, v2
	v_xor_b32_e32 v11, 0x80000000, v13
	v_xor_b32_e32 v12, 0x80000000, v12
	s_delay_alu instid0(VALU_DEP_3) | instskip(NEXT) | instid1(VALU_DEP_1)
	v_lshlrev_b64 v[14:15], 3, v[2:3]
	v_add_co_u32 v3, vcc_lo, v4, v14
	s_delay_alu instid0(VALU_DEP_2)
	v_add_co_ci_u32_e32 v4, vcc_lo, v10, v15, vcc_lo
	v_cmp_eq_u32_e32 vcc_lo, v6, v2
	global_store_b64 v[3:4], v[11:12], off
	s_and_b32 exec_lo, exec_lo, vcc_lo
	s_cbranch_execz .LBB1719_9
; %bb.8:
	v_mov_b32_e32 v1, 0
	global_store_b32 v[3:4], v1, off offset:4
.LBB1719_9:
	s_or_b32 exec_lo, exec_lo, s0
	v_add_nc_u32_e32 v12, 16, v6
	s_delay_alu instid0(VALU_DEP_1) | instskip(SKIP_3) | instid1(VALU_DEP_4)
	v_ashrrev_i32_e32 v1, 31, v12
	v_mul_lo_u32 v10, v12, s7
	v_mad_u64_u32 v[3:4], null, v12, s6, 0
	v_cmp_gt_i32_e32 vcc_lo, s4, v12
	v_mul_lo_u32 v1, v1, s6
	v_cmp_le_i32_e64 s0, v0, v12
	s_delay_alu instid0(VALU_DEP_1) | instskip(NEXT) | instid1(VALU_DEP_2)
	s_and_b32 s0, vcc_lo, s0
	v_add3_u32 v4, v4, v10, v1
	s_delay_alu instid0(VALU_DEP_1) | instskip(NEXT) | instid1(VALU_DEP_1)
	v_lshlrev_b64 v[3:4], 3, v[3:4]
	v_add_co_u32 v10, s1, s2, v3
	s_delay_alu instid0(VALU_DEP_1)
	v_add_co_ci_u32_e64 v11, s1, s3, v4, s1
	s_and_saveexec_b32 s1, s0
	s_cbranch_execz .LBB1719_12
; %bb.10:
	v_ashrrev_i32_e32 v1, 31, v0
	v_xor_b32_e32 v13, 0x80000000, v9
	v_xor_b32_e32 v14, 0x80000000, v8
	s_delay_alu instid0(VALU_DEP_3) | instskip(NEXT) | instid1(VALU_DEP_1)
	v_lshlrev_b64 v[3:4], 3, v[0:1]
	v_add_co_u32 v3, s0, v10, v3
	s_delay_alu instid0(VALU_DEP_1)
	v_add_co_ci_u32_e64 v4, s0, v11, v4, s0
	v_cmp_eq_u32_e64 s0, v12, v0
	global_store_b64 v[3:4], v[13:14], off
	s_and_b32 exec_lo, exec_lo, s0
	s_cbranch_execz .LBB1719_12
; %bb.11:
	v_mov_b32_e32 v1, 0
	global_store_b32 v[3:4], v1, off offset:4
.LBB1719_12:
	s_or_b32 exec_lo, exec_lo, s1
	v_cmp_le_i32_e64 s0, v2, v12
	s_delay_alu instid0(VALU_DEP_1) | instskip(NEXT) | instid1(SALU_CYCLE_1)
	s_and_b32 s0, vcc_lo, s0
	s_and_saveexec_b32 s1, s0
	s_cbranch_execz .LBB1719_15
; %bb.13:
	v_ashrrev_i32_e32 v3, 31, v2
	v_xor_b32_e32 v4, 0x80000000, v5
	s_delay_alu instid0(VALU_DEP_2) | instskip(SKIP_1) | instid1(VALU_DEP_2)
	v_lshlrev_b64 v[1:2], 3, v[2:3]
	v_xor_b32_e32 v3, 0x80000000, v7
	v_add_co_u32 v1, vcc_lo, v10, v1
	s_delay_alu instid0(VALU_DEP_3)
	v_add_co_ci_u32_e32 v2, vcc_lo, v11, v2, vcc_lo
	v_cmp_eq_u32_e32 vcc_lo, v6, v0
	global_store_b64 v[1:2], v[3:4], off
	s_and_b32 exec_lo, exec_lo, vcc_lo
	s_cbranch_execz .LBB1719_15
; %bb.14:
	v_mov_b32_e32 v0, 0
	global_store_b32 v[1:2], v0, off offset:4
.LBB1719_15:
	s_nop 0
	s_sendmsg sendmsg(MSG_DEALLOC_VGPRS)
	s_endpgm
	.section	.rodata,"a",@progbits
	.p2align	6, 0x0
	.amdhsa_kernel _ZL37rocblas_syrkx_herkx_restricted_kernelIl19rocblas_complex_numIfELi16ELi32ELi8ELin1ELi0ELb1ELc78ELc85EKPKS1_KPS1_EviT_PT9_S7_lS9_S7_lPT10_S7_li
		.amdhsa_group_segment_fixed_size 4096
		.amdhsa_private_segment_fixed_size 0
		.amdhsa_kernarg_size 92
		.amdhsa_user_sgpr_count 13
		.amdhsa_user_sgpr_dispatch_ptr 0
		.amdhsa_user_sgpr_queue_ptr 0
		.amdhsa_user_sgpr_kernarg_segment_ptr 1
		.amdhsa_user_sgpr_dispatch_id 0
		.amdhsa_user_sgpr_private_segment_size 0
		.amdhsa_wavefront_size32 1
		.amdhsa_uses_dynamic_stack 0
		.amdhsa_enable_private_segment 0
		.amdhsa_system_sgpr_workgroup_id_x 1
		.amdhsa_system_sgpr_workgroup_id_y 1
		.amdhsa_system_sgpr_workgroup_id_z 1
		.amdhsa_system_sgpr_workgroup_info 0
		.amdhsa_system_vgpr_workitem_id 1
		.amdhsa_next_free_vgpr 92
		.amdhsa_next_free_sgpr 20
		.amdhsa_reserve_vcc 1
		.amdhsa_float_round_mode_32 0
		.amdhsa_float_round_mode_16_64 0
		.amdhsa_float_denorm_mode_32 3
		.amdhsa_float_denorm_mode_16_64 3
		.amdhsa_dx10_clamp 1
		.amdhsa_ieee_mode 1
		.amdhsa_fp16_overflow 0
		.amdhsa_workgroup_processor_mode 1
		.amdhsa_memory_ordered 1
		.amdhsa_forward_progress 0
		.amdhsa_shared_vgpr_count 0
		.amdhsa_exception_fp_ieee_invalid_op 0
		.amdhsa_exception_fp_denorm_src 0
		.amdhsa_exception_fp_ieee_div_zero 0
		.amdhsa_exception_fp_ieee_overflow 0
		.amdhsa_exception_fp_ieee_underflow 0
		.amdhsa_exception_fp_ieee_inexact 0
		.amdhsa_exception_int_div_zero 0
	.end_amdhsa_kernel
	.section	.text._ZL37rocblas_syrkx_herkx_restricted_kernelIl19rocblas_complex_numIfELi16ELi32ELi8ELin1ELi0ELb1ELc78ELc85EKPKS1_KPS1_EviT_PT9_S7_lS9_S7_lPT10_S7_li,"axG",@progbits,_ZL37rocblas_syrkx_herkx_restricted_kernelIl19rocblas_complex_numIfELi16ELi32ELi8ELin1ELi0ELb1ELc78ELc85EKPKS1_KPS1_EviT_PT9_S7_lS9_S7_lPT10_S7_li,comdat
.Lfunc_end1719:
	.size	_ZL37rocblas_syrkx_herkx_restricted_kernelIl19rocblas_complex_numIfELi16ELi32ELi8ELin1ELi0ELb1ELc78ELc85EKPKS1_KPS1_EviT_PT9_S7_lS9_S7_lPT10_S7_li, .Lfunc_end1719-_ZL37rocblas_syrkx_herkx_restricted_kernelIl19rocblas_complex_numIfELi16ELi32ELi8ELin1ELi0ELb1ELc78ELc85EKPKS1_KPS1_EviT_PT9_S7_lS9_S7_lPT10_S7_li
                                        ; -- End function
	.section	.AMDGPU.csdata,"",@progbits
; Kernel info:
; codeLenInByte = 2296
; NumSgprs: 22
; NumVgprs: 92
; ScratchSize: 0
; MemoryBound: 0
; FloatMode: 240
; IeeeMode: 1
; LDSByteSize: 4096 bytes/workgroup (compile time only)
; SGPRBlocks: 2
; VGPRBlocks: 11
; NumSGPRsForWavesPerEU: 22
; NumVGPRsForWavesPerEU: 92
; Occupancy: 16
; WaveLimiterHint : 1
; COMPUTE_PGM_RSRC2:SCRATCH_EN: 0
; COMPUTE_PGM_RSRC2:USER_SGPR: 13
; COMPUTE_PGM_RSRC2:TRAP_HANDLER: 0
; COMPUTE_PGM_RSRC2:TGID_X_EN: 1
; COMPUTE_PGM_RSRC2:TGID_Y_EN: 1
; COMPUTE_PGM_RSRC2:TGID_Z_EN: 1
; COMPUTE_PGM_RSRC2:TIDIG_COMP_CNT: 1
	.section	.text._ZL37rocblas_syrkx_herkx_restricted_kernelIl19rocblas_complex_numIfELi16ELi32ELi8ELb1ELb1ELc84ELc76EKPKS1_KPS1_EviT_T0_PT8_S7_lSA_S7_lS8_PT9_S7_li,"axG",@progbits,_ZL37rocblas_syrkx_herkx_restricted_kernelIl19rocblas_complex_numIfELi16ELi32ELi8ELb1ELb1ELc84ELc76EKPKS1_KPS1_EviT_T0_PT8_S7_lSA_S7_lS8_PT9_S7_li,comdat
	.globl	_ZL37rocblas_syrkx_herkx_restricted_kernelIl19rocblas_complex_numIfELi16ELi32ELi8ELb1ELb1ELc84ELc76EKPKS1_KPS1_EviT_T0_PT8_S7_lSA_S7_lS8_PT9_S7_li ; -- Begin function _ZL37rocblas_syrkx_herkx_restricted_kernelIl19rocblas_complex_numIfELi16ELi32ELi8ELb1ELb1ELc84ELc76EKPKS1_KPS1_EviT_T0_PT8_S7_lSA_S7_lS8_PT9_S7_li
	.p2align	8
	.type	_ZL37rocblas_syrkx_herkx_restricted_kernelIl19rocblas_complex_numIfELi16ELi32ELi8ELb1ELb1ELc84ELc76EKPKS1_KPS1_EviT_T0_PT8_S7_lSA_S7_lS8_PT9_S7_li,@function
_ZL37rocblas_syrkx_herkx_restricted_kernelIl19rocblas_complex_numIfELi16ELi32ELi8ELb1ELb1ELc84ELc76EKPKS1_KPS1_EviT_T0_PT8_S7_lSA_S7_lS8_PT9_S7_li: ; @_ZL37rocblas_syrkx_herkx_restricted_kernelIl19rocblas_complex_numIfELi16ELi32ELi8ELb1ELb1ELc84ELc76EKPKS1_KPS1_EviT_T0_PT8_S7_lSA_S7_lS8_PT9_S7_li
; %bb.0:
	s_clause 0x1
	s_load_b128 s[16:19], s[0:1], 0x50
	s_load_b256 s[4:11], s[0:1], 0x8
	s_mov_b32 s2, s15
	s_mov_b32 s3, 0
	v_dual_mov_b32 v17, 0 :: v_dual_and_b32 v6, 0x3ff, v0
	s_lshl_b64 s[20:21], s[2:3], 3
	v_bfe_u32 v7, v0, 10, 10
	v_dual_mov_b32 v16, 0 :: v_dual_mov_b32 v11, 0
	v_dual_mov_b32 v10, 0 :: v_dual_mov_b32 v9, 0
	;; [unrolled: 1-line block ×3, first 2 shown]
	v_mov_b32_e32 v0, 0
	s_waitcnt lgkmcnt(0)
	s_add_u32 s2, s16, s20
	s_addc_u32 s3, s17, s21
	v_cmp_lt_i64_e64 s12, s[4:5], 1
	s_load_b64 s[2:3], s[2:3], 0x0
	s_lshl_b32 s16, s13, 5
	s_lshl_b32 s17, s14, 5
	s_delay_alu instid0(VALU_DEP_1)
	s_and_b32 vcc_lo, exec_lo, s12
	s_cbranch_vccnz .LBB1720_3
; %bb.1:
	s_load_b128 s[12:15], s[0:1], 0x30
	v_lshl_add_u32 v2, v7, 4, v6
	v_dual_mov_b32 v1, 0 :: v_dual_and_b32 v0, 7, v6
	s_add_u32 s8, s8, s20
	s_addc_u32 s9, s9, s21
	s_delay_alu instid0(VALU_DEP_2) | instskip(SKIP_3) | instid1(VALU_DEP_3)
	v_and_b32_e32 v11, 31, v2
	v_lshrrev_b32_e32 v10, 3, v2
	v_lshrrev_b32_e32 v2, 5, v2
	s_load_b64 s[8:9], s[8:9], 0x0
	v_dual_mov_b32 v3, v1 :: v_dual_add_nc_u32 v8, s16, v11
	s_delay_alu instid0(VALU_DEP_3) | instskip(SKIP_2) | instid1(VALU_DEP_4)
	v_add_nc_u32_e32 v12, s17, v10
	v_dual_mov_b32 v16, v1 :: v_dual_lshlrev_b32 v11, 3, v11
	v_mov_b32_e32 v17, v1
	v_ashrrev_i32_e32 v13, 31, v8
	s_delay_alu instid0(VALU_DEP_4)
	v_ashrrev_i32_e32 v9, 31, v12
	v_mad_u64_u32 v[4:5], null, s10, v8, v[2:3]
	s_waitcnt lgkmcnt(0)
	s_add_u32 s12, s12, s20
	v_mul_lo_u32 v3, s11, v8
	v_mul_lo_u32 v13, s10, v13
	s_addc_u32 s13, s13, s21
	v_mul_lo_u32 v14, v9, s14
	s_load_b64 s[10:11], s[12:13], 0x0
	v_mul_lo_u32 v15, v12, s15
	v_mad_u64_u32 v[8:9], null, v12, s14, v[0:1]
	v_lshlrev_b32_e32 v0, 3, v0
	v_add3_u32 v5, v3, v5, v13
	v_lshlrev_b32_e32 v12, 3, v6
	v_lshl_add_u32 v13, v7, 6, 0x800
	v_add3_u32 v9, v14, v9, v15
	s_delay_alu instid0(VALU_DEP_4) | instskip(SKIP_4) | instid1(VALU_DEP_2)
	v_lshlrev_b64 v[3:4], 3, v[4:5]
	v_lshl_or_b32 v14, v2, 8, v11
	v_mov_b32_e32 v11, v1
	v_lshl_or_b32 v0, v10, 6, v0
	v_lshlrev_b64 v[8:9], 3, v[8:9]
	v_dual_mov_b32 v10, v1 :: v_dual_add_nc_u32 v15, 0x800, v0
	v_add_co_u32 v0, vcc_lo, v3, s8
	v_add_co_ci_u32_e32 v3, vcc_lo, s9, v4, vcc_lo
	s_waitcnt lgkmcnt(0)
	s_delay_alu instid0(VALU_DEP_4) | instskip(SKIP_3) | instid1(VALU_DEP_4)
	v_add_co_u32 v4, vcc_lo, v8, s10
	v_add_co_ci_u32_e32 v5, vcc_lo, s11, v9, vcc_lo
	v_add_co_u32 v2, vcc_lo, v0, 4
	v_add_co_ci_u32_e32 v3, vcc_lo, 0, v3, vcc_lo
	v_add_co_u32 v4, vcc_lo, v4, 4
	s_delay_alu instid0(VALU_DEP_4)
	v_add_co_ci_u32_e32 v5, vcc_lo, 0, v5, vcc_lo
	v_mov_b32_e32 v0, v1
	v_mov_b32_e32 v9, v1
	;; [unrolled: 1-line block ×3, first 2 shown]
	s_mov_b64 s[8:9], 0
.LBB1720_2:                             ; =>This Inner Loop Header: Depth=1
	global_load_b64 v[18:19], v[2:3], off offset:-4
	global_load_b64 v[20:21], v[4:5], off offset:-4
	s_add_u32 s8, s8, 8
	v_add_co_u32 v2, vcc_lo, v2, 64
	s_addc_u32 s9, s9, 0
	v_add_co_ci_u32_e32 v3, vcc_lo, 0, v3, vcc_lo
	v_cmp_ge_u64_e64 s10, s[8:9], s[4:5]
	v_add_co_u32 v4, vcc_lo, v4, 64
	v_add_co_ci_u32_e32 v5, vcc_lo, 0, v5, vcc_lo
	s_waitcnt vmcnt(1)
	ds_store_b64 v14, v[18:19]
	s_waitcnt vmcnt(0)
	ds_store_b64 v15, v[20:21]
	s_waitcnt lgkmcnt(0)
	s_barrier
	buffer_gl0_inv
	ds_load_2addr_b64 v[18:21], v12 offset1:16
	ds_load_b128 v[22:25], v13
	ds_load_b128 v[26:29], v13 offset:1024
	ds_load_b128 v[30:33], v13 offset:16
	;; [unrolled: 1-line block ×4, first 2 shown]
	ds_load_2addr_b64 v[42:45], v12 offset0:32 offset1:48
	ds_load_2addr_b64 v[46:49], v12 offset0:64 offset1:80
	ds_load_b128 v[50:53], v13 offset:1040
	ds_load_2addr_b64 v[54:57], v12 offset0:96 offset1:112
	ds_load_2addr_b64 v[58:61], v12 offset0:128 offset1:144
	;; [unrolled: 1-line block ×4, first 2 shown]
	ds_load_b128 v[70:73], v13 offset:1056
	ds_load_b128 v[74:77], v13 offset:1072
	ds_load_2addr_b64 v[78:81], v12 offset0:224 offset1:240
	s_and_b32 vcc_lo, exec_lo, s10
	s_waitcnt lgkmcnt(0)
	s_barrier
	buffer_gl0_inv
	v_dual_mul_f32 v82, v23, v19 :: v_dual_mul_f32 v85, v22, v21
	v_dual_mul_f32 v83, v22, v19 :: v_dual_mul_f32 v84, v23, v21
	v_mul_f32_e32 v86, v27, v19
	v_dual_mul_f32 v19, v26, v19 :: v_dual_mul_f32 v90, v25, v45
	v_dual_mul_f32 v87, v27, v21 :: v_dual_mul_f32 v88, v25, v43
	v_mul_f32_e32 v21, v26, v21
	v_fma_f32 v82, v22, v18, -v82
	v_fmac_f32_e32 v83, v23, v18
	v_fma_f32 v22, v22, v20, -v84
	v_fmac_f32_e32 v85, v23, v20
	v_fma_f32 v23, v26, v18, -v86
	v_dual_fmac_f32 v19, v27, v18 :: v_dual_mul_f32 v86, v30, v47
	v_fma_f32 v18, v26, v20, -v87
	v_dual_fmac_f32 v21, v27, v20 :: v_dual_mul_f32 v20, v24, v45
	v_mul_f32_e32 v89, v24, v43
	v_mul_f32_e32 v26, v29, v43
	;; [unrolled: 1-line block ×4, first 2 shown]
	v_fmac_f32_e32 v20, v25, v44
	v_fmac_f32_e32 v89, v25, v42
	v_dual_mul_f32 v25, v28, v45 :: v_dual_fmac_f32 v86, v31, v46
	v_fma_f32 v84, v24, v42, -v88
	v_fma_f32 v24, v24, v44, -v90
	v_dual_mul_f32 v45, v31, v47 :: v_dual_mul_f32 v90, v33, v57
	v_fma_f32 v26, v28, v42, -v26
	v_fma_f32 v28, v28, v44, -v43
	v_fmac_f32_e32 v25, v29, v44
	v_dual_mul_f32 v43, v50, v47 :: v_dual_mul_f32 v44, v51, v49
	v_dual_fmac_f32 v27, v29, v42 :: v_dual_mul_f32 v42, v51, v47
	v_dual_mul_f32 v88, v32, v55 :: v_dual_mul_f32 v29, v30, v49
	v_mul_f32_e32 v87, v31, v49
	v_fma_f32 v45, v30, v46, -v45
	v_add_f32_e32 v16, v16, v82
	s_delay_alu instid0(VALU_DEP_4)
	v_dual_fmac_f32 v88, v33, v54 :: v_dual_fmac_f32 v29, v31, v48
	v_fma_f32 v31, v50, v46, -v42
	v_fma_f32 v42, v50, v48, -v44
	v_mul_f32_e32 v44, v32, v57
	v_mul_f32_e32 v47, v50, v49
	v_dual_mul_f32 v50, v53, v57 :: v_dual_fmac_f32 v43, v51, v46
	v_mul_f32_e32 v46, v53, v55
	v_mul_f32_e32 v49, v33, v55
	v_fma_f32 v30, v30, v48, -v87
	v_fmac_f32_e32 v44, v33, v56
	v_dual_fmac_f32 v47, v51, v48 :: v_dual_mul_f32 v48, v52, v55
	v_mul_f32_e32 v33, v52, v57
	v_fma_f32 v46, v52, v54, -v46
	v_fma_f32 v50, v52, v56, -v50
	v_mul_f32_e32 v52, v34, v61
	v_fma_f32 v49, v32, v54, -v49
	v_fma_f32 v32, v32, v56, -v90
	v_dual_mul_f32 v51, v35, v59 :: v_dual_fmac_f32 v48, v53, v54
	v_mul_f32_e32 v54, v70, v59
	v_dual_mul_f32 v55, v34, v59 :: v_dual_fmac_f32 v52, v35, v60
	v_fmac_f32_e32 v33, v53, v56
	v_mul_f32_e32 v53, v71, v59
	v_mul_f32_e32 v56, v71, v61
	;; [unrolled: 1-line block ×3, first 2 shown]
	v_fmac_f32_e32 v54, v71, v58
	v_fmac_f32_e32 v55, v35, v58
	v_fma_f32 v35, v70, v58, -v53
	v_fma_f32 v53, v70, v60, -v56
	v_mul_f32_e32 v56, v36, v65
	v_mul_f32_e32 v59, v70, v61
	v_fma_f32 v51, v34, v58, -v51
	v_mul_f32_e32 v58, v72, v63
	v_mul_f32_e32 v87, v36, v63
	;; [unrolled: 1-line block ×4, first 2 shown]
	v_fma_f32 v34, v34, v60, -v57
	v_mul_f32_e32 v57, v73, v63
	v_fmac_f32_e32 v56, v37, v64
	v_dual_fmac_f32 v59, v71, v60 :: v_dual_mul_f32 v60, v73, v65
	v_mul_f32_e32 v63, v39, v67
	v_mul_f32_e32 v70, v39, v69
	v_fmac_f32_e32 v58, v73, v62
	v_fmac_f32_e32 v87, v37, v62
	v_mul_f32_e32 v37, v72, v65
	v_fma_f32 v61, v36, v62, -v61
	v_fma_f32 v36, v36, v64, -v90
	v_mul_f32_e32 v65, v38, v67
	v_fma_f32 v57, v72, v62, -v57
	v_fma_f32 v60, v72, v64, -v60
	v_dual_fmac_f32 v37, v73, v64 :: v_dual_mul_f32 v62, v38, v69
	v_mul_f32_e32 v64, v75, v67
	v_fma_f32 v63, v38, v66, -v63
	v_fma_f32 v38, v38, v68, -v70
	v_mul_f32_e32 v70, v76, v79
	v_mul_f32_e32 v67, v74, v67
	;; [unrolled: 1-line block ×3, first 2 shown]
	v_dual_mul_f32 v69, v74, v69 :: v_dual_add_f32 v8, v8, v23
	v_dual_mul_f32 v73, v40, v79 :: v_dual_add_f32 v10, v10, v22
	v_dual_fmac_f32 v65, v39, v66 :: v_dual_add_f32 v16, v16, v84
	v_fmac_f32_e32 v62, v39, v68
	v_fma_f32 v39, v74, v66, -v64
	v_fmac_f32_e32 v70, v77, v78
	v_dual_fmac_f32 v67, v75, v66 :: v_dual_add_f32 v10, v10, v24
	v_mul_f32_e32 v66, v40, v81
	v_mul_f32_e32 v72, v41, v79
	v_dual_mul_f32 v90, v41, v81 :: v_dual_fmac_f32 v69, v75, v68
	v_add_f32_e32 v0, v0, v18
	v_fmac_f32_e32 v73, v41, v78
	v_dual_fmac_f32 v66, v41, v80 :: v_dual_mul_f32 v41, v76, v81
	v_add_f32_e32 v10, v10, v30
	v_fma_f32 v64, v74, v68, -v71
	v_dual_mul_f32 v71, v77, v81 :: v_dual_add_f32 v8, v8, v26
	s_delay_alu instid0(VALU_DEP_4)
	v_dual_fmac_f32 v41, v77, v80 :: v_dual_add_f32 v16, v16, v45
	v_add_f32_e32 v11, v11, v85
	v_add_f32_e32 v9, v9, v19
	v_dual_add_f32 v1, v1, v21 :: v_dual_add_f32 v10, v10, v32
	v_dual_add_f32 v0, v0, v28 :: v_dual_add_f32 v17, v17, v83
	v_add_f32_e32 v8, v8, v31
	s_delay_alu instid0(VALU_DEP_4) | instskip(NEXT) | instid1(VALU_DEP_4)
	v_dual_add_f32 v16, v16, v49 :: v_dual_add_f32 v9, v9, v27
	v_dual_add_f32 v10, v10, v34 :: v_dual_add_f32 v1, v1, v25
	s_delay_alu instid0(VALU_DEP_4) | instskip(NEXT) | instid1(VALU_DEP_3)
	v_add_f32_e32 v0, v0, v42
	v_dual_add_f32 v16, v16, v51 :: v_dual_add_f32 v17, v17, v89
	v_dual_add_f32 v8, v8, v46 :: v_dual_add_f32 v11, v11, v20
	s_delay_alu instid0(VALU_DEP_3) | instskip(NEXT) | instid1(VALU_DEP_2)
	v_dual_add_f32 v0, v0, v50 :: v_dual_add_f32 v9, v9, v43
	v_dual_add_f32 v17, v17, v86 :: v_dual_add_f32 v8, v8, v35
	s_delay_alu instid0(VALU_DEP_3) | instskip(SKIP_1) | instid1(VALU_DEP_3)
	v_dual_add_f32 v11, v11, v29 :: v_dual_add_f32 v10, v10, v36
	v_dual_add_f32 v1, v1, v47 :: v_dual_add_f32 v16, v16, v61
	;; [unrolled: 1-line block ×3, first 2 shown]
	s_delay_alu instid0(VALU_DEP_3) | instskip(NEXT) | instid1(VALU_DEP_3)
	v_dual_add_f32 v11, v11, v44 :: v_dual_add_f32 v0, v0, v53
	v_dual_add_f32 v16, v16, v63 :: v_dual_add_f32 v9, v9, v48
	s_delay_alu instid0(VALU_DEP_4) | instskip(NEXT) | instid1(VALU_DEP_3)
	v_dual_add_f32 v10, v10, v38 :: v_dual_add_f32 v1, v1, v33
	v_add_f32_e32 v0, v0, v60
	v_mul_f32_e32 v68, v77, v79
	v_fma_f32 v72, v40, v78, -v72
	v_fma_f32 v40, v40, v80, -v90
	s_delay_alu instid0(VALU_DEP_4) | instskip(SKIP_1) | instid1(VALU_DEP_4)
	v_dual_add_f32 v17, v17, v55 :: v_dual_add_f32 v0, v0, v64
	v_dual_add_f32 v11, v11, v52 :: v_dual_add_f32 v8, v8, v39
	;; [unrolled: 1-line block ×3, first 2 shown]
	s_delay_alu instid0(VALU_DEP_4)
	v_dual_add_f32 v1, v1, v59 :: v_dual_add_f32 v10, v10, v40
	v_fma_f32 v68, v76, v78, -v68
	v_fma_f32 v71, v76, v80, -v71
	v_add_f32_e32 v17, v17, v87
	v_add_f32_e32 v11, v11, v56
	;; [unrolled: 1-line block ×3, first 2 shown]
	s_delay_alu instid0(VALU_DEP_4) | instskip(NEXT) | instid1(VALU_DEP_4)
	v_dual_add_f32 v1, v1, v37 :: v_dual_add_f32 v0, v0, v71
	v_dual_add_f32 v8, v8, v68 :: v_dual_add_f32 v17, v17, v65
	s_delay_alu instid0(VALU_DEP_4) | instskip(NEXT) | instid1(VALU_DEP_4)
	v_add_f32_e32 v11, v11, v62
	v_add_f32_e32 v9, v9, v67
	s_delay_alu instid0(VALU_DEP_4) | instskip(NEXT) | instid1(VALU_DEP_4)
	v_add_f32_e32 v1, v1, v69
	v_add_f32_e32 v17, v17, v73
	;; [unrolled: 3-line block ×3, first 2 shown]
	s_delay_alu instid0(VALU_DEP_4)
	v_add_f32_e32 v1, v1, v41
	s_cbranch_vccz .LBB1720_2
.LBB1720_3:
	v_add_nc_u32_e32 v7, s17, v7
	s_load_b32 s4, s[0:1], 0x0
	s_delay_alu instid0(VALU_DEP_1) | instskip(SKIP_2) | instid1(VALU_DEP_3)
	v_ashrrev_i32_e32 v2, 31, v7
	v_mul_lo_u32 v5, v7, s19
	v_mad_u64_u32 v[3:4], null, v7, s18, 0
	v_mul_lo_u32 v2, v2, s18
	s_delay_alu instid0(VALU_DEP_1) | instskip(SKIP_1) | instid1(VALU_DEP_2)
	v_add3_u32 v4, v4, v5, v2
	v_add_nc_u32_e32 v2, s16, v6
	v_lshlrev_b64 v[3:4], 3, v[3:4]
	s_delay_alu instid0(VALU_DEP_2) | instskip(SKIP_2) | instid1(VALU_DEP_3)
	v_cmp_le_i32_e64 s0, v7, v2
	s_waitcnt lgkmcnt(0)
	v_cmp_gt_i32_e32 vcc_lo, s4, v2
	v_add_co_u32 v6, s1, s2, v3
	s_delay_alu instid0(VALU_DEP_1) | instskip(SKIP_1) | instid1(SALU_CYCLE_1)
	v_add_co_ci_u32_e64 v12, s1, s3, v4, s1
	s_and_b32 s0, s0, vcc_lo
	s_and_saveexec_b32 s1, s0
	s_cbranch_execz .LBB1720_6
; %bb.4:
	v_ashrrev_i32_e32 v3, 31, v2
	v_mul_f32_e32 v14, s6, v17
	v_mul_f32_e32 v5, s7, v17
	s_delay_alu instid0(VALU_DEP_3) | instskip(NEXT) | instid1(VALU_DEP_3)
	v_lshlrev_b64 v[3:4], 3, v[2:3]
	v_fmac_f32_e32 v14, s7, v16
	s_delay_alu instid0(VALU_DEP_3) | instskip(NEXT) | instid1(VALU_DEP_3)
	v_fma_f32 v13, v16, s6, -v5
	v_add_co_u32 v3, s0, v6, v3
	s_delay_alu instid0(VALU_DEP_1)
	v_add_co_ci_u32_e64 v4, s0, v12, v4, s0
	v_cmp_eq_u32_e64 s0, v7, v2
	global_store_b64 v[3:4], v[13:14], off
	s_and_b32 exec_lo, exec_lo, s0
	s_cbranch_execz .LBB1720_6
; %bb.5:
	v_mov_b32_e32 v5, 0
	global_store_b32 v[3:4], v5, off offset:4
.LBB1720_6:
	s_or_b32 exec_lo, exec_lo, s1
	v_add_nc_u32_e32 v4, 16, v2
	s_delay_alu instid0(VALU_DEP_1) | instskip(SKIP_1) | instid1(VALU_DEP_1)
	v_cmp_le_i32_e64 s1, v7, v4
	v_cmp_gt_i32_e64 s0, s4, v4
	s_and_b32 s1, s1, s0
	s_delay_alu instid0(SALU_CYCLE_1)
	s_and_saveexec_b32 s4, s1
	s_cbranch_execz .LBB1720_9
; %bb.7:
	v_ashrrev_i32_e32 v5, 31, v4
	v_mul_f32_e32 v14, s6, v11
	v_mul_f32_e32 v3, s7, v11
	s_delay_alu instid0(VALU_DEP_3) | instskip(NEXT) | instid1(VALU_DEP_3)
	v_lshlrev_b64 v[15:16], 3, v[4:5]
	v_fmac_f32_e32 v14, s7, v10
	s_delay_alu instid0(VALU_DEP_3) | instskip(NEXT) | instid1(VALU_DEP_3)
	v_fma_f32 v13, v10, s6, -v3
	v_add_co_u32 v5, s1, v6, v15
	s_delay_alu instid0(VALU_DEP_1)
	v_add_co_ci_u32_e64 v6, s1, v12, v16, s1
	v_cmp_eq_u32_e64 s1, v7, v4
	global_store_b64 v[5:6], v[13:14], off
	s_and_b32 exec_lo, exec_lo, s1
	s_cbranch_execz .LBB1720_9
; %bb.8:
	v_mov_b32_e32 v3, 0
	global_store_b32 v[5:6], v3, off offset:4
.LBB1720_9:
	s_or_b32 exec_lo, exec_lo, s4
	v_add_nc_u32_e32 v12, 16, v7
	s_delay_alu instid0(VALU_DEP_1) | instskip(SKIP_3) | instid1(VALU_DEP_4)
	v_ashrrev_i32_e32 v3, 31, v12
	v_mul_lo_u32 v10, v12, s19
	v_mad_u64_u32 v[5:6], null, v12, s18, 0
	v_cmp_le_i32_e64 s1, v12, v2
	v_mul_lo_u32 v3, v3, s18
	s_delay_alu instid0(VALU_DEP_1) | instskip(NEXT) | instid1(VALU_DEP_1)
	v_add3_u32 v6, v6, v10, v3
	v_lshlrev_b64 v[5:6], 3, v[5:6]
	s_delay_alu instid0(VALU_DEP_1) | instskip(NEXT) | instid1(VALU_DEP_1)
	v_add_co_u32 v10, s2, s2, v5
	v_add_co_ci_u32_e64 v11, s2, s3, v6, s2
	s_and_b32 s2, s1, vcc_lo
	s_delay_alu instid0(SALU_CYCLE_1)
	s_and_saveexec_b32 s1, s2
	s_cbranch_execz .LBB1720_12
; %bb.10:
	v_ashrrev_i32_e32 v3, 31, v2
	v_mul_f32_e32 v14, s6, v9
	v_mul_f32_e32 v13, s7, v9
	s_delay_alu instid0(VALU_DEP_3) | instskip(NEXT) | instid1(VALU_DEP_3)
	v_lshlrev_b64 v[5:6], 3, v[2:3]
	v_fmac_f32_e32 v14, s7, v8
	s_delay_alu instid0(VALU_DEP_3) | instskip(NEXT) | instid1(VALU_DEP_3)
	v_fma_f32 v13, v8, s6, -v13
	v_add_co_u32 v5, vcc_lo, v10, v5
	s_delay_alu instid0(VALU_DEP_4)
	v_add_co_ci_u32_e32 v6, vcc_lo, v11, v6, vcc_lo
	v_cmp_eq_u32_e32 vcc_lo, v12, v2
	global_store_b64 v[5:6], v[13:14], off
	s_and_b32 exec_lo, exec_lo, vcc_lo
	s_cbranch_execz .LBB1720_12
; %bb.11:
	v_mov_b32_e32 v3, 0
	global_store_b32 v[5:6], v3, off offset:4
.LBB1720_12:
	s_or_b32 exec_lo, exec_lo, s1
	v_cmp_le_i32_e32 vcc_lo, v12, v4
	s_and_b32 s0, vcc_lo, s0
	s_delay_alu instid0(SALU_CYCLE_1)
	s_and_saveexec_b32 s1, s0
	s_cbranch_execz .LBB1720_15
; %bb.13:
	v_ashrrev_i32_e32 v5, 31, v4
	v_mul_f32_e32 v8, s7, v1
	v_mul_f32_e32 v6, s6, v1
	s_delay_alu instid0(VALU_DEP_3) | instskip(NEXT) | instid1(VALU_DEP_3)
	v_lshlrev_b64 v[3:4], 3, v[4:5]
	v_fma_f32 v5, v0, s6, -v8
	s_delay_alu instid0(VALU_DEP_3) | instskip(NEXT) | instid1(VALU_DEP_3)
	v_fmac_f32_e32 v6, s7, v0
	v_add_co_u32 v0, vcc_lo, v10, v3
	s_delay_alu instid0(VALU_DEP_4)
	v_add_co_ci_u32_e32 v1, vcc_lo, v11, v4, vcc_lo
	v_cmp_eq_u32_e32 vcc_lo, v7, v2
	global_store_b64 v[0:1], v[5:6], off
	s_and_b32 exec_lo, exec_lo, vcc_lo
	s_cbranch_execz .LBB1720_15
; %bb.14:
	v_mov_b32_e32 v2, 0
	global_store_b32 v[0:1], v2, off offset:4
.LBB1720_15:
	s_nop 0
	s_sendmsg sendmsg(MSG_DEALLOC_VGPRS)
	s_endpgm
	.section	.rodata,"a",@progbits
	.p2align	6, 0x0
	.amdhsa_kernel _ZL37rocblas_syrkx_herkx_restricted_kernelIl19rocblas_complex_numIfELi16ELi32ELi8ELb1ELb1ELc84ELc76EKPKS1_KPS1_EviT_T0_PT8_S7_lSA_S7_lS8_PT9_S7_li
		.amdhsa_group_segment_fixed_size 4096
		.amdhsa_private_segment_fixed_size 0
		.amdhsa_kernarg_size 108
		.amdhsa_user_sgpr_count 13
		.amdhsa_user_sgpr_dispatch_ptr 0
		.amdhsa_user_sgpr_queue_ptr 0
		.amdhsa_user_sgpr_kernarg_segment_ptr 1
		.amdhsa_user_sgpr_dispatch_id 0
		.amdhsa_user_sgpr_private_segment_size 0
		.amdhsa_wavefront_size32 1
		.amdhsa_uses_dynamic_stack 0
		.amdhsa_enable_private_segment 0
		.amdhsa_system_sgpr_workgroup_id_x 1
		.amdhsa_system_sgpr_workgroup_id_y 1
		.amdhsa_system_sgpr_workgroup_id_z 1
		.amdhsa_system_sgpr_workgroup_info 0
		.amdhsa_system_vgpr_workitem_id 1
		.amdhsa_next_free_vgpr 91
		.amdhsa_next_free_sgpr 22
		.amdhsa_reserve_vcc 1
		.amdhsa_float_round_mode_32 0
		.amdhsa_float_round_mode_16_64 0
		.amdhsa_float_denorm_mode_32 3
		.amdhsa_float_denorm_mode_16_64 3
		.amdhsa_dx10_clamp 1
		.amdhsa_ieee_mode 1
		.amdhsa_fp16_overflow 0
		.amdhsa_workgroup_processor_mode 1
		.amdhsa_memory_ordered 1
		.amdhsa_forward_progress 0
		.amdhsa_shared_vgpr_count 0
		.amdhsa_exception_fp_ieee_invalid_op 0
		.amdhsa_exception_fp_denorm_src 0
		.amdhsa_exception_fp_ieee_div_zero 0
		.amdhsa_exception_fp_ieee_overflow 0
		.amdhsa_exception_fp_ieee_underflow 0
		.amdhsa_exception_fp_ieee_inexact 0
		.amdhsa_exception_int_div_zero 0
	.end_amdhsa_kernel
	.section	.text._ZL37rocblas_syrkx_herkx_restricted_kernelIl19rocblas_complex_numIfELi16ELi32ELi8ELb1ELb1ELc84ELc76EKPKS1_KPS1_EviT_T0_PT8_S7_lSA_S7_lS8_PT9_S7_li,"axG",@progbits,_ZL37rocblas_syrkx_herkx_restricted_kernelIl19rocblas_complex_numIfELi16ELi32ELi8ELb1ELb1ELc84ELc76EKPKS1_KPS1_EviT_T0_PT8_S7_lSA_S7_lS8_PT9_S7_li,comdat
.Lfunc_end1720:
	.size	_ZL37rocblas_syrkx_herkx_restricted_kernelIl19rocblas_complex_numIfELi16ELi32ELi8ELb1ELb1ELc84ELc76EKPKS1_KPS1_EviT_T0_PT8_S7_lSA_S7_lS8_PT9_S7_li, .Lfunc_end1720-_ZL37rocblas_syrkx_herkx_restricted_kernelIl19rocblas_complex_numIfELi16ELi32ELi8ELb1ELb1ELc84ELc76EKPKS1_KPS1_EviT_T0_PT8_S7_lSA_S7_lS8_PT9_S7_li
                                        ; -- End function
	.section	.AMDGPU.csdata,"",@progbits
; Kernel info:
; codeLenInByte = 2332
; NumSgprs: 24
; NumVgprs: 91
; ScratchSize: 0
; MemoryBound: 0
; FloatMode: 240
; IeeeMode: 1
; LDSByteSize: 4096 bytes/workgroup (compile time only)
; SGPRBlocks: 2
; VGPRBlocks: 11
; NumSGPRsForWavesPerEU: 24
; NumVGPRsForWavesPerEU: 91
; Occupancy: 16
; WaveLimiterHint : 1
; COMPUTE_PGM_RSRC2:SCRATCH_EN: 0
; COMPUTE_PGM_RSRC2:USER_SGPR: 13
; COMPUTE_PGM_RSRC2:TRAP_HANDLER: 0
; COMPUTE_PGM_RSRC2:TGID_X_EN: 1
; COMPUTE_PGM_RSRC2:TGID_Y_EN: 1
; COMPUTE_PGM_RSRC2:TGID_Z_EN: 1
; COMPUTE_PGM_RSRC2:TIDIG_COMP_CNT: 1
	.section	.text._ZL37rocblas_syrkx_herkx_restricted_kernelIl19rocblas_complex_numIfELi16ELi32ELi8ELb1ELb1ELc67ELc76EKPKS1_KPS1_EviT_T0_PT8_S7_lSA_S7_lS8_PT9_S7_li,"axG",@progbits,_ZL37rocblas_syrkx_herkx_restricted_kernelIl19rocblas_complex_numIfELi16ELi32ELi8ELb1ELb1ELc67ELc76EKPKS1_KPS1_EviT_T0_PT8_S7_lSA_S7_lS8_PT9_S7_li,comdat
	.globl	_ZL37rocblas_syrkx_herkx_restricted_kernelIl19rocblas_complex_numIfELi16ELi32ELi8ELb1ELb1ELc67ELc76EKPKS1_KPS1_EviT_T0_PT8_S7_lSA_S7_lS8_PT9_S7_li ; -- Begin function _ZL37rocblas_syrkx_herkx_restricted_kernelIl19rocblas_complex_numIfELi16ELi32ELi8ELb1ELb1ELc67ELc76EKPKS1_KPS1_EviT_T0_PT8_S7_lSA_S7_lS8_PT9_S7_li
	.p2align	8
	.type	_ZL37rocblas_syrkx_herkx_restricted_kernelIl19rocblas_complex_numIfELi16ELi32ELi8ELb1ELb1ELc67ELc76EKPKS1_KPS1_EviT_T0_PT8_S7_lSA_S7_lS8_PT9_S7_li,@function
_ZL37rocblas_syrkx_herkx_restricted_kernelIl19rocblas_complex_numIfELi16ELi32ELi8ELb1ELb1ELc67ELc76EKPKS1_KPS1_EviT_T0_PT8_S7_lSA_S7_lS8_PT9_S7_li: ; @_ZL37rocblas_syrkx_herkx_restricted_kernelIl19rocblas_complex_numIfELi16ELi32ELi8ELb1ELb1ELc67ELc76EKPKS1_KPS1_EviT_T0_PT8_S7_lSA_S7_lS8_PT9_S7_li
; %bb.0:
	s_clause 0x1
	s_load_b128 s[16:19], s[0:1], 0x50
	s_load_b256 s[4:11], s[0:1], 0x8
	s_mov_b32 s2, s15
	s_mov_b32 s3, 0
	v_dual_mov_b32 v17, 0 :: v_dual_and_b32 v6, 0x3ff, v0
	s_lshl_b64 s[20:21], s[2:3], 3
	v_bfe_u32 v7, v0, 10, 10
	v_dual_mov_b32 v16, 0 :: v_dual_mov_b32 v11, 0
	v_dual_mov_b32 v10, 0 :: v_dual_mov_b32 v9, 0
	v_dual_mov_b32 v8, 0 :: v_dual_mov_b32 v1, 0
	v_mov_b32_e32 v0, 0
	s_waitcnt lgkmcnt(0)
	s_add_u32 s2, s16, s20
	s_addc_u32 s3, s17, s21
	v_cmp_lt_i64_e64 s12, s[4:5], 1
	s_load_b64 s[2:3], s[2:3], 0x0
	s_lshl_b32 s16, s13, 5
	s_lshl_b32 s17, s14, 5
	s_delay_alu instid0(VALU_DEP_1)
	s_and_b32 vcc_lo, exec_lo, s12
	s_cbranch_vccnz .LBB1721_3
; %bb.1:
	s_load_b128 s[12:15], s[0:1], 0x30
	v_lshl_add_u32 v2, v7, 4, v6
	v_dual_mov_b32 v1, 0 :: v_dual_and_b32 v0, 7, v6
	s_add_u32 s8, s8, s20
	s_addc_u32 s9, s9, s21
	s_delay_alu instid0(VALU_DEP_2) | instskip(SKIP_3) | instid1(VALU_DEP_3)
	v_and_b32_e32 v11, 31, v2
	v_lshrrev_b32_e32 v10, 3, v2
	v_lshrrev_b32_e32 v2, 5, v2
	s_load_b64 s[8:9], s[8:9], 0x0
	v_dual_mov_b32 v3, v1 :: v_dual_add_nc_u32 v8, s16, v11
	s_delay_alu instid0(VALU_DEP_3) | instskip(SKIP_2) | instid1(VALU_DEP_4)
	v_add_nc_u32_e32 v12, s17, v10
	v_dual_mov_b32 v16, v1 :: v_dual_lshlrev_b32 v11, 3, v11
	v_mov_b32_e32 v17, v1
	v_ashrrev_i32_e32 v13, 31, v8
	s_delay_alu instid0(VALU_DEP_4)
	v_ashrrev_i32_e32 v9, 31, v12
	v_mad_u64_u32 v[4:5], null, s10, v8, v[2:3]
	s_waitcnt lgkmcnt(0)
	s_add_u32 s12, s12, s20
	v_mul_lo_u32 v3, s11, v8
	v_mul_lo_u32 v13, s10, v13
	s_addc_u32 s13, s13, s21
	v_mul_lo_u32 v14, v9, s14
	s_load_b64 s[10:11], s[12:13], 0x0
	v_mul_lo_u32 v15, v12, s15
	v_mad_u64_u32 v[8:9], null, v12, s14, v[0:1]
	v_lshlrev_b32_e32 v0, 3, v0
	v_add3_u32 v5, v3, v5, v13
	v_lshlrev_b32_e32 v12, 3, v6
	v_lshl_add_u32 v13, v7, 6, 0x800
	v_add3_u32 v9, v14, v9, v15
	s_delay_alu instid0(VALU_DEP_4) | instskip(SKIP_4) | instid1(VALU_DEP_2)
	v_lshlrev_b64 v[3:4], 3, v[4:5]
	v_lshl_or_b32 v14, v2, 8, v11
	v_mov_b32_e32 v11, v1
	v_lshl_or_b32 v0, v10, 6, v0
	v_lshlrev_b64 v[8:9], 3, v[8:9]
	v_dual_mov_b32 v10, v1 :: v_dual_add_nc_u32 v15, 0x800, v0
	v_add_co_u32 v0, vcc_lo, v3, s8
	v_add_co_ci_u32_e32 v3, vcc_lo, s9, v4, vcc_lo
	s_waitcnt lgkmcnt(0)
	s_delay_alu instid0(VALU_DEP_4) | instskip(SKIP_3) | instid1(VALU_DEP_4)
	v_add_co_u32 v4, vcc_lo, v8, s10
	v_add_co_ci_u32_e32 v5, vcc_lo, s11, v9, vcc_lo
	v_add_co_u32 v2, vcc_lo, v0, 4
	v_add_co_ci_u32_e32 v3, vcc_lo, 0, v3, vcc_lo
	v_add_co_u32 v4, vcc_lo, v4, 4
	s_delay_alu instid0(VALU_DEP_4)
	v_add_co_ci_u32_e32 v5, vcc_lo, 0, v5, vcc_lo
	v_mov_b32_e32 v0, v1
	v_mov_b32_e32 v9, v1
	;; [unrolled: 1-line block ×3, first 2 shown]
	s_mov_b64 s[8:9], 0
.LBB1721_2:                             ; =>This Inner Loop Header: Depth=1
	global_load_b64 v[18:19], v[2:3], off offset:-4
	global_load_b64 v[20:21], v[4:5], off offset:-4
	s_add_u32 s8, s8, 8
	v_add_co_u32 v2, vcc_lo, v2, 64
	s_addc_u32 s9, s9, 0
	v_add_co_ci_u32_e32 v3, vcc_lo, 0, v3, vcc_lo
	v_cmp_ge_u64_e64 s10, s[8:9], s[4:5]
	v_add_co_u32 v4, vcc_lo, v4, 64
	v_add_co_ci_u32_e32 v5, vcc_lo, 0, v5, vcc_lo
	s_delay_alu instid0(VALU_DEP_3)
	s_and_b32 vcc_lo, exec_lo, s10
	s_waitcnt vmcnt(1)
	v_xor_b32_e32 v19, 0x80000000, v19
	ds_store_b64 v14, v[18:19]
	s_waitcnt vmcnt(0)
	ds_store_b64 v15, v[20:21]
	s_waitcnt lgkmcnt(0)
	s_barrier
	buffer_gl0_inv
	ds_load_2addr_b64 v[18:21], v12 offset1:16
	ds_load_b128 v[22:25], v13
	ds_load_b128 v[26:29], v13 offset:1024
	ds_load_b128 v[30:33], v13 offset:16
	;; [unrolled: 1-line block ×4, first 2 shown]
	ds_load_2addr_b64 v[42:45], v12 offset0:32 offset1:48
	ds_load_2addr_b64 v[46:49], v12 offset0:64 offset1:80
	ds_load_b128 v[50:53], v13 offset:1040
	ds_load_2addr_b64 v[54:57], v12 offset0:96 offset1:112
	ds_load_2addr_b64 v[58:61], v12 offset0:128 offset1:144
	;; [unrolled: 1-line block ×4, first 2 shown]
	ds_load_b128 v[70:73], v13 offset:1056
	ds_load_b128 v[74:77], v13 offset:1072
	ds_load_2addr_b64 v[78:81], v12 offset0:224 offset1:240
	s_waitcnt lgkmcnt(0)
	s_barrier
	buffer_gl0_inv
	v_dual_mul_f32 v82, v23, v19 :: v_dual_mul_f32 v85, v22, v21
	v_dual_mul_f32 v83, v22, v19 :: v_dual_mul_f32 v84, v23, v21
	v_mul_f32_e32 v86, v27, v19
	v_dual_mul_f32 v19, v26, v19 :: v_dual_mul_f32 v90, v25, v45
	v_dual_mul_f32 v87, v27, v21 :: v_dual_mul_f32 v88, v25, v43
	v_mul_f32_e32 v21, v26, v21
	v_fma_f32 v82, v22, v18, -v82
	v_fmac_f32_e32 v83, v23, v18
	v_fma_f32 v22, v22, v20, -v84
	v_fmac_f32_e32 v85, v23, v20
	v_fma_f32 v23, v26, v18, -v86
	v_dual_fmac_f32 v19, v27, v18 :: v_dual_mul_f32 v86, v30, v47
	v_fma_f32 v18, v26, v20, -v87
	v_dual_fmac_f32 v21, v27, v20 :: v_dual_mul_f32 v20, v24, v45
	v_mul_f32_e32 v89, v24, v43
	v_mul_f32_e32 v26, v29, v43
	;; [unrolled: 1-line block ×4, first 2 shown]
	v_fmac_f32_e32 v20, v25, v44
	v_fmac_f32_e32 v89, v25, v42
	v_dual_mul_f32 v25, v28, v45 :: v_dual_fmac_f32 v86, v31, v46
	v_fma_f32 v84, v24, v42, -v88
	v_fma_f32 v24, v24, v44, -v90
	v_dual_mul_f32 v45, v31, v47 :: v_dual_mul_f32 v90, v33, v57
	v_fma_f32 v26, v28, v42, -v26
	v_fma_f32 v28, v28, v44, -v43
	v_fmac_f32_e32 v25, v29, v44
	v_dual_mul_f32 v43, v50, v47 :: v_dual_mul_f32 v44, v51, v49
	v_dual_fmac_f32 v27, v29, v42 :: v_dual_mul_f32 v42, v51, v47
	v_dual_mul_f32 v88, v32, v55 :: v_dual_mul_f32 v29, v30, v49
	v_mul_f32_e32 v87, v31, v49
	v_fma_f32 v45, v30, v46, -v45
	v_add_f32_e32 v16, v16, v82
	s_delay_alu instid0(VALU_DEP_4)
	v_dual_fmac_f32 v88, v33, v54 :: v_dual_fmac_f32 v29, v31, v48
	v_fma_f32 v31, v50, v46, -v42
	v_fma_f32 v42, v50, v48, -v44
	v_mul_f32_e32 v44, v32, v57
	v_mul_f32_e32 v47, v50, v49
	v_dual_mul_f32 v50, v53, v57 :: v_dual_fmac_f32 v43, v51, v46
	v_mul_f32_e32 v46, v53, v55
	v_mul_f32_e32 v49, v33, v55
	v_fma_f32 v30, v30, v48, -v87
	v_fmac_f32_e32 v44, v33, v56
	v_dual_fmac_f32 v47, v51, v48 :: v_dual_mul_f32 v48, v52, v55
	v_mul_f32_e32 v33, v52, v57
	v_fma_f32 v46, v52, v54, -v46
	v_fma_f32 v50, v52, v56, -v50
	v_mul_f32_e32 v52, v34, v61
	v_fma_f32 v49, v32, v54, -v49
	v_fma_f32 v32, v32, v56, -v90
	v_dual_mul_f32 v51, v35, v59 :: v_dual_fmac_f32 v48, v53, v54
	v_mul_f32_e32 v54, v70, v59
	v_dual_mul_f32 v55, v34, v59 :: v_dual_fmac_f32 v52, v35, v60
	v_fmac_f32_e32 v33, v53, v56
	v_mul_f32_e32 v53, v71, v59
	v_mul_f32_e32 v56, v71, v61
	;; [unrolled: 1-line block ×3, first 2 shown]
	v_fmac_f32_e32 v54, v71, v58
	v_fmac_f32_e32 v55, v35, v58
	v_fma_f32 v35, v70, v58, -v53
	v_fma_f32 v53, v70, v60, -v56
	v_mul_f32_e32 v56, v36, v65
	v_mul_f32_e32 v59, v70, v61
	v_fma_f32 v51, v34, v58, -v51
	v_mul_f32_e32 v58, v72, v63
	v_mul_f32_e32 v87, v36, v63
	;; [unrolled: 1-line block ×4, first 2 shown]
	v_fma_f32 v34, v34, v60, -v57
	v_mul_f32_e32 v57, v73, v63
	v_fmac_f32_e32 v56, v37, v64
	v_dual_fmac_f32 v59, v71, v60 :: v_dual_mul_f32 v60, v73, v65
	v_mul_f32_e32 v63, v39, v67
	v_mul_f32_e32 v70, v39, v69
	v_fmac_f32_e32 v58, v73, v62
	v_fmac_f32_e32 v87, v37, v62
	v_mul_f32_e32 v37, v72, v65
	v_fma_f32 v61, v36, v62, -v61
	v_fma_f32 v36, v36, v64, -v90
	v_mul_f32_e32 v65, v38, v67
	v_fma_f32 v57, v72, v62, -v57
	v_fma_f32 v60, v72, v64, -v60
	v_dual_fmac_f32 v37, v73, v64 :: v_dual_mul_f32 v62, v38, v69
	v_mul_f32_e32 v64, v75, v67
	v_fma_f32 v63, v38, v66, -v63
	v_fma_f32 v38, v38, v68, -v70
	v_mul_f32_e32 v70, v76, v79
	v_mul_f32_e32 v67, v74, v67
	;; [unrolled: 1-line block ×3, first 2 shown]
	v_dual_mul_f32 v69, v74, v69 :: v_dual_add_f32 v8, v8, v23
	v_dual_mul_f32 v73, v40, v79 :: v_dual_add_f32 v10, v10, v22
	v_dual_fmac_f32 v65, v39, v66 :: v_dual_add_f32 v16, v16, v84
	v_fmac_f32_e32 v62, v39, v68
	v_fma_f32 v39, v74, v66, -v64
	v_fmac_f32_e32 v70, v77, v78
	v_dual_fmac_f32 v67, v75, v66 :: v_dual_add_f32 v10, v10, v24
	v_mul_f32_e32 v66, v40, v81
	v_mul_f32_e32 v72, v41, v79
	v_dual_mul_f32 v90, v41, v81 :: v_dual_fmac_f32 v69, v75, v68
	v_add_f32_e32 v0, v0, v18
	v_fmac_f32_e32 v73, v41, v78
	v_dual_fmac_f32 v66, v41, v80 :: v_dual_mul_f32 v41, v76, v81
	v_add_f32_e32 v10, v10, v30
	v_fma_f32 v64, v74, v68, -v71
	v_dual_mul_f32 v71, v77, v81 :: v_dual_add_f32 v8, v8, v26
	s_delay_alu instid0(VALU_DEP_4)
	v_dual_fmac_f32 v41, v77, v80 :: v_dual_add_f32 v16, v16, v45
	v_add_f32_e32 v11, v11, v85
	v_add_f32_e32 v9, v9, v19
	v_dual_add_f32 v1, v1, v21 :: v_dual_add_f32 v10, v10, v32
	v_dual_add_f32 v0, v0, v28 :: v_dual_add_f32 v17, v17, v83
	v_add_f32_e32 v8, v8, v31
	s_delay_alu instid0(VALU_DEP_4) | instskip(NEXT) | instid1(VALU_DEP_4)
	v_dual_add_f32 v16, v16, v49 :: v_dual_add_f32 v9, v9, v27
	v_dual_add_f32 v10, v10, v34 :: v_dual_add_f32 v1, v1, v25
	s_delay_alu instid0(VALU_DEP_4) | instskip(NEXT) | instid1(VALU_DEP_3)
	v_add_f32_e32 v0, v0, v42
	v_dual_add_f32 v16, v16, v51 :: v_dual_add_f32 v17, v17, v89
	v_dual_add_f32 v8, v8, v46 :: v_dual_add_f32 v11, v11, v20
	s_delay_alu instid0(VALU_DEP_3) | instskip(NEXT) | instid1(VALU_DEP_2)
	v_dual_add_f32 v0, v0, v50 :: v_dual_add_f32 v9, v9, v43
	v_dual_add_f32 v17, v17, v86 :: v_dual_add_f32 v8, v8, v35
	s_delay_alu instid0(VALU_DEP_3) | instskip(SKIP_1) | instid1(VALU_DEP_3)
	v_dual_add_f32 v11, v11, v29 :: v_dual_add_f32 v10, v10, v36
	v_dual_add_f32 v1, v1, v47 :: v_dual_add_f32 v16, v16, v61
	;; [unrolled: 1-line block ×3, first 2 shown]
	s_delay_alu instid0(VALU_DEP_3) | instskip(NEXT) | instid1(VALU_DEP_3)
	v_dual_add_f32 v11, v11, v44 :: v_dual_add_f32 v0, v0, v53
	v_dual_add_f32 v16, v16, v63 :: v_dual_add_f32 v9, v9, v48
	s_delay_alu instid0(VALU_DEP_4) | instskip(NEXT) | instid1(VALU_DEP_3)
	v_dual_add_f32 v10, v10, v38 :: v_dual_add_f32 v1, v1, v33
	v_add_f32_e32 v0, v0, v60
	v_mul_f32_e32 v68, v77, v79
	v_fma_f32 v72, v40, v78, -v72
	v_fma_f32 v40, v40, v80, -v90
	s_delay_alu instid0(VALU_DEP_4) | instskip(SKIP_1) | instid1(VALU_DEP_4)
	v_dual_add_f32 v17, v17, v55 :: v_dual_add_f32 v0, v0, v64
	v_dual_add_f32 v11, v11, v52 :: v_dual_add_f32 v8, v8, v39
	;; [unrolled: 1-line block ×3, first 2 shown]
	s_delay_alu instid0(VALU_DEP_4)
	v_dual_add_f32 v1, v1, v59 :: v_dual_add_f32 v10, v10, v40
	v_fma_f32 v68, v76, v78, -v68
	v_fma_f32 v71, v76, v80, -v71
	v_add_f32_e32 v17, v17, v87
	v_add_f32_e32 v11, v11, v56
	;; [unrolled: 1-line block ×3, first 2 shown]
	s_delay_alu instid0(VALU_DEP_4) | instskip(NEXT) | instid1(VALU_DEP_4)
	v_dual_add_f32 v1, v1, v37 :: v_dual_add_f32 v0, v0, v71
	v_dual_add_f32 v8, v8, v68 :: v_dual_add_f32 v17, v17, v65
	s_delay_alu instid0(VALU_DEP_4) | instskip(NEXT) | instid1(VALU_DEP_4)
	v_add_f32_e32 v11, v11, v62
	v_add_f32_e32 v9, v9, v67
	s_delay_alu instid0(VALU_DEP_4) | instskip(NEXT) | instid1(VALU_DEP_4)
	v_add_f32_e32 v1, v1, v69
	v_add_f32_e32 v17, v17, v73
	;; [unrolled: 3-line block ×3, first 2 shown]
	s_delay_alu instid0(VALU_DEP_4)
	v_add_f32_e32 v1, v1, v41
	s_cbranch_vccz .LBB1721_2
.LBB1721_3:
	v_add_nc_u32_e32 v7, s17, v7
	s_load_b32 s4, s[0:1], 0x0
	s_delay_alu instid0(VALU_DEP_1) | instskip(SKIP_2) | instid1(VALU_DEP_3)
	v_ashrrev_i32_e32 v2, 31, v7
	v_mul_lo_u32 v5, v7, s19
	v_mad_u64_u32 v[3:4], null, v7, s18, 0
	v_mul_lo_u32 v2, v2, s18
	s_delay_alu instid0(VALU_DEP_1) | instskip(SKIP_1) | instid1(VALU_DEP_2)
	v_add3_u32 v4, v4, v5, v2
	v_add_nc_u32_e32 v2, s16, v6
	v_lshlrev_b64 v[3:4], 3, v[3:4]
	s_delay_alu instid0(VALU_DEP_2) | instskip(SKIP_2) | instid1(VALU_DEP_3)
	v_cmp_le_i32_e64 s0, v7, v2
	s_waitcnt lgkmcnt(0)
	v_cmp_gt_i32_e32 vcc_lo, s4, v2
	v_add_co_u32 v6, s1, s2, v3
	s_delay_alu instid0(VALU_DEP_1) | instskip(SKIP_1) | instid1(SALU_CYCLE_1)
	v_add_co_ci_u32_e64 v12, s1, s3, v4, s1
	s_and_b32 s0, s0, vcc_lo
	s_and_saveexec_b32 s1, s0
	s_cbranch_execz .LBB1721_6
; %bb.4:
	v_ashrrev_i32_e32 v3, 31, v2
	v_mul_f32_e32 v14, s6, v17
	v_mul_f32_e32 v5, s7, v17
	s_delay_alu instid0(VALU_DEP_3) | instskip(NEXT) | instid1(VALU_DEP_3)
	v_lshlrev_b64 v[3:4], 3, v[2:3]
	v_fmac_f32_e32 v14, s7, v16
	s_delay_alu instid0(VALU_DEP_3) | instskip(NEXT) | instid1(VALU_DEP_3)
	v_fma_f32 v13, v16, s6, -v5
	v_add_co_u32 v3, s0, v6, v3
	s_delay_alu instid0(VALU_DEP_1)
	v_add_co_ci_u32_e64 v4, s0, v12, v4, s0
	v_cmp_eq_u32_e64 s0, v7, v2
	global_store_b64 v[3:4], v[13:14], off
	s_and_b32 exec_lo, exec_lo, s0
	s_cbranch_execz .LBB1721_6
; %bb.5:
	v_mov_b32_e32 v5, 0
	global_store_b32 v[3:4], v5, off offset:4
.LBB1721_6:
	s_or_b32 exec_lo, exec_lo, s1
	v_add_nc_u32_e32 v4, 16, v2
	s_delay_alu instid0(VALU_DEP_1) | instskip(SKIP_1) | instid1(VALU_DEP_1)
	v_cmp_le_i32_e64 s1, v7, v4
	v_cmp_gt_i32_e64 s0, s4, v4
	s_and_b32 s1, s1, s0
	s_delay_alu instid0(SALU_CYCLE_1)
	s_and_saveexec_b32 s4, s1
	s_cbranch_execz .LBB1721_9
; %bb.7:
	v_ashrrev_i32_e32 v5, 31, v4
	v_mul_f32_e32 v14, s6, v11
	v_mul_f32_e32 v3, s7, v11
	s_delay_alu instid0(VALU_DEP_3) | instskip(NEXT) | instid1(VALU_DEP_3)
	v_lshlrev_b64 v[15:16], 3, v[4:5]
	v_fmac_f32_e32 v14, s7, v10
	s_delay_alu instid0(VALU_DEP_3) | instskip(NEXT) | instid1(VALU_DEP_3)
	v_fma_f32 v13, v10, s6, -v3
	v_add_co_u32 v5, s1, v6, v15
	s_delay_alu instid0(VALU_DEP_1)
	v_add_co_ci_u32_e64 v6, s1, v12, v16, s1
	v_cmp_eq_u32_e64 s1, v7, v4
	global_store_b64 v[5:6], v[13:14], off
	s_and_b32 exec_lo, exec_lo, s1
	s_cbranch_execz .LBB1721_9
; %bb.8:
	v_mov_b32_e32 v3, 0
	global_store_b32 v[5:6], v3, off offset:4
.LBB1721_9:
	s_or_b32 exec_lo, exec_lo, s4
	v_add_nc_u32_e32 v12, 16, v7
	s_delay_alu instid0(VALU_DEP_1) | instskip(SKIP_3) | instid1(VALU_DEP_4)
	v_ashrrev_i32_e32 v3, 31, v12
	v_mul_lo_u32 v10, v12, s19
	v_mad_u64_u32 v[5:6], null, v12, s18, 0
	v_cmp_le_i32_e64 s1, v12, v2
	v_mul_lo_u32 v3, v3, s18
	s_delay_alu instid0(VALU_DEP_1) | instskip(NEXT) | instid1(VALU_DEP_1)
	v_add3_u32 v6, v6, v10, v3
	v_lshlrev_b64 v[5:6], 3, v[5:6]
	s_delay_alu instid0(VALU_DEP_1) | instskip(NEXT) | instid1(VALU_DEP_1)
	v_add_co_u32 v10, s2, s2, v5
	v_add_co_ci_u32_e64 v11, s2, s3, v6, s2
	s_and_b32 s2, s1, vcc_lo
	s_delay_alu instid0(SALU_CYCLE_1)
	s_and_saveexec_b32 s1, s2
	s_cbranch_execz .LBB1721_12
; %bb.10:
	v_ashrrev_i32_e32 v3, 31, v2
	v_mul_f32_e32 v14, s6, v9
	v_mul_f32_e32 v13, s7, v9
	s_delay_alu instid0(VALU_DEP_3) | instskip(NEXT) | instid1(VALU_DEP_3)
	v_lshlrev_b64 v[5:6], 3, v[2:3]
	v_fmac_f32_e32 v14, s7, v8
	s_delay_alu instid0(VALU_DEP_3) | instskip(NEXT) | instid1(VALU_DEP_3)
	v_fma_f32 v13, v8, s6, -v13
	v_add_co_u32 v5, vcc_lo, v10, v5
	s_delay_alu instid0(VALU_DEP_4)
	v_add_co_ci_u32_e32 v6, vcc_lo, v11, v6, vcc_lo
	v_cmp_eq_u32_e32 vcc_lo, v12, v2
	global_store_b64 v[5:6], v[13:14], off
	s_and_b32 exec_lo, exec_lo, vcc_lo
	s_cbranch_execz .LBB1721_12
; %bb.11:
	v_mov_b32_e32 v3, 0
	global_store_b32 v[5:6], v3, off offset:4
.LBB1721_12:
	s_or_b32 exec_lo, exec_lo, s1
	v_cmp_le_i32_e32 vcc_lo, v12, v4
	s_and_b32 s0, vcc_lo, s0
	s_delay_alu instid0(SALU_CYCLE_1)
	s_and_saveexec_b32 s1, s0
	s_cbranch_execz .LBB1721_15
; %bb.13:
	v_ashrrev_i32_e32 v5, 31, v4
	v_mul_f32_e32 v8, s7, v1
	v_mul_f32_e32 v6, s6, v1
	s_delay_alu instid0(VALU_DEP_3) | instskip(NEXT) | instid1(VALU_DEP_3)
	v_lshlrev_b64 v[3:4], 3, v[4:5]
	v_fma_f32 v5, v0, s6, -v8
	s_delay_alu instid0(VALU_DEP_3) | instskip(NEXT) | instid1(VALU_DEP_3)
	v_fmac_f32_e32 v6, s7, v0
	v_add_co_u32 v0, vcc_lo, v10, v3
	s_delay_alu instid0(VALU_DEP_4)
	v_add_co_ci_u32_e32 v1, vcc_lo, v11, v4, vcc_lo
	v_cmp_eq_u32_e32 vcc_lo, v7, v2
	global_store_b64 v[0:1], v[5:6], off
	s_and_b32 exec_lo, exec_lo, vcc_lo
	s_cbranch_execz .LBB1721_15
; %bb.14:
	v_mov_b32_e32 v2, 0
	global_store_b32 v[0:1], v2, off offset:4
.LBB1721_15:
	s_nop 0
	s_sendmsg sendmsg(MSG_DEALLOC_VGPRS)
	s_endpgm
	.section	.rodata,"a",@progbits
	.p2align	6, 0x0
	.amdhsa_kernel _ZL37rocblas_syrkx_herkx_restricted_kernelIl19rocblas_complex_numIfELi16ELi32ELi8ELb1ELb1ELc67ELc76EKPKS1_KPS1_EviT_T0_PT8_S7_lSA_S7_lS8_PT9_S7_li
		.amdhsa_group_segment_fixed_size 4096
		.amdhsa_private_segment_fixed_size 0
		.amdhsa_kernarg_size 108
		.amdhsa_user_sgpr_count 13
		.amdhsa_user_sgpr_dispatch_ptr 0
		.amdhsa_user_sgpr_queue_ptr 0
		.amdhsa_user_sgpr_kernarg_segment_ptr 1
		.amdhsa_user_sgpr_dispatch_id 0
		.amdhsa_user_sgpr_private_segment_size 0
		.amdhsa_wavefront_size32 1
		.amdhsa_uses_dynamic_stack 0
		.amdhsa_enable_private_segment 0
		.amdhsa_system_sgpr_workgroup_id_x 1
		.amdhsa_system_sgpr_workgroup_id_y 1
		.amdhsa_system_sgpr_workgroup_id_z 1
		.amdhsa_system_sgpr_workgroup_info 0
		.amdhsa_system_vgpr_workitem_id 1
		.amdhsa_next_free_vgpr 91
		.amdhsa_next_free_sgpr 22
		.amdhsa_reserve_vcc 1
		.amdhsa_float_round_mode_32 0
		.amdhsa_float_round_mode_16_64 0
		.amdhsa_float_denorm_mode_32 3
		.amdhsa_float_denorm_mode_16_64 3
		.amdhsa_dx10_clamp 1
		.amdhsa_ieee_mode 1
		.amdhsa_fp16_overflow 0
		.amdhsa_workgroup_processor_mode 1
		.amdhsa_memory_ordered 1
		.amdhsa_forward_progress 0
		.amdhsa_shared_vgpr_count 0
		.amdhsa_exception_fp_ieee_invalid_op 0
		.amdhsa_exception_fp_denorm_src 0
		.amdhsa_exception_fp_ieee_div_zero 0
		.amdhsa_exception_fp_ieee_overflow 0
		.amdhsa_exception_fp_ieee_underflow 0
		.amdhsa_exception_fp_ieee_inexact 0
		.amdhsa_exception_int_div_zero 0
	.end_amdhsa_kernel
	.section	.text._ZL37rocblas_syrkx_herkx_restricted_kernelIl19rocblas_complex_numIfELi16ELi32ELi8ELb1ELb1ELc67ELc76EKPKS1_KPS1_EviT_T0_PT8_S7_lSA_S7_lS8_PT9_S7_li,"axG",@progbits,_ZL37rocblas_syrkx_herkx_restricted_kernelIl19rocblas_complex_numIfELi16ELi32ELi8ELb1ELb1ELc67ELc76EKPKS1_KPS1_EviT_T0_PT8_S7_lSA_S7_lS8_PT9_S7_li,comdat
.Lfunc_end1721:
	.size	_ZL37rocblas_syrkx_herkx_restricted_kernelIl19rocblas_complex_numIfELi16ELi32ELi8ELb1ELb1ELc67ELc76EKPKS1_KPS1_EviT_T0_PT8_S7_lSA_S7_lS8_PT9_S7_li, .Lfunc_end1721-_ZL37rocblas_syrkx_herkx_restricted_kernelIl19rocblas_complex_numIfELi16ELi32ELi8ELb1ELb1ELc67ELc76EKPKS1_KPS1_EviT_T0_PT8_S7_lSA_S7_lS8_PT9_S7_li
                                        ; -- End function
	.section	.AMDGPU.csdata,"",@progbits
; Kernel info:
; codeLenInByte = 2344
; NumSgprs: 24
; NumVgprs: 91
; ScratchSize: 0
; MemoryBound: 0
; FloatMode: 240
; IeeeMode: 1
; LDSByteSize: 4096 bytes/workgroup (compile time only)
; SGPRBlocks: 2
; VGPRBlocks: 11
; NumSGPRsForWavesPerEU: 24
; NumVGPRsForWavesPerEU: 91
; Occupancy: 16
; WaveLimiterHint : 1
; COMPUTE_PGM_RSRC2:SCRATCH_EN: 0
; COMPUTE_PGM_RSRC2:USER_SGPR: 13
; COMPUTE_PGM_RSRC2:TRAP_HANDLER: 0
; COMPUTE_PGM_RSRC2:TGID_X_EN: 1
; COMPUTE_PGM_RSRC2:TGID_Y_EN: 1
; COMPUTE_PGM_RSRC2:TGID_Z_EN: 1
; COMPUTE_PGM_RSRC2:TIDIG_COMP_CNT: 1
	.section	.text._ZL37rocblas_syrkx_herkx_restricted_kernelIl19rocblas_complex_numIfELi16ELi32ELi8ELb1ELb1ELc78ELc76EKPKS1_KPS1_EviT_T0_PT8_S7_lSA_S7_lS8_PT9_S7_li,"axG",@progbits,_ZL37rocblas_syrkx_herkx_restricted_kernelIl19rocblas_complex_numIfELi16ELi32ELi8ELb1ELb1ELc78ELc76EKPKS1_KPS1_EviT_T0_PT8_S7_lSA_S7_lS8_PT9_S7_li,comdat
	.globl	_ZL37rocblas_syrkx_herkx_restricted_kernelIl19rocblas_complex_numIfELi16ELi32ELi8ELb1ELb1ELc78ELc76EKPKS1_KPS1_EviT_T0_PT8_S7_lSA_S7_lS8_PT9_S7_li ; -- Begin function _ZL37rocblas_syrkx_herkx_restricted_kernelIl19rocblas_complex_numIfELi16ELi32ELi8ELb1ELb1ELc78ELc76EKPKS1_KPS1_EviT_T0_PT8_S7_lSA_S7_lS8_PT9_S7_li
	.p2align	8
	.type	_ZL37rocblas_syrkx_herkx_restricted_kernelIl19rocblas_complex_numIfELi16ELi32ELi8ELb1ELb1ELc78ELc76EKPKS1_KPS1_EviT_T0_PT8_S7_lSA_S7_lS8_PT9_S7_li,@function
_ZL37rocblas_syrkx_herkx_restricted_kernelIl19rocblas_complex_numIfELi16ELi32ELi8ELb1ELb1ELc78ELc76EKPKS1_KPS1_EviT_T0_PT8_S7_lSA_S7_lS8_PT9_S7_li: ; @_ZL37rocblas_syrkx_herkx_restricted_kernelIl19rocblas_complex_numIfELi16ELi32ELi8ELb1ELb1ELc78ELc76EKPKS1_KPS1_EviT_T0_PT8_S7_lSA_S7_lS8_PT9_S7_li
; %bb.0:
	s_clause 0x1
	s_load_b128 s[16:19], s[0:1], 0x50
	s_load_b256 s[4:11], s[0:1], 0x8
	s_mov_b32 s2, s15
	s_mov_b32 s3, 0
	v_dual_mov_b32 v17, 0 :: v_dual_and_b32 v4, 0x3ff, v0
	s_lshl_b64 s[20:21], s[2:3], 3
	v_bfe_u32 v7, v0, 10, 10
	v_dual_mov_b32 v14, 0 :: v_dual_mov_b32 v9, 0
	v_dual_mov_b32 v12, 0 :: v_dual_mov_b32 v5, 0
	v_mov_b32_e32 v10, 0
	v_mov_b32_e32 v8, 0
	;; [unrolled: 1-line block ×3, first 2 shown]
	s_waitcnt lgkmcnt(0)
	s_add_u32 s2, s16, s20
	s_addc_u32 s3, s17, s21
	v_cmp_lt_i64_e64 s12, s[4:5], 1
	s_load_b64 s[2:3], s[2:3], 0x0
	s_lshl_b32 s16, s13, 5
	s_lshl_b32 s17, s14, 5
	s_delay_alu instid0(VALU_DEP_1)
	s_and_b32 vcc_lo, exec_lo, s12
	s_cbranch_vccnz .LBB1722_3
; %bb.1:
	v_lshl_add_u32 v1, v7, 4, v4
	s_load_b128 s[12:15], s[0:1], 0x30
	s_add_u32 s8, s8, s20
	s_addc_u32 s9, s9, s21
	v_dual_mov_b32 v6, 0 :: v_dual_lshlrev_b32 v11, 3, v4
	v_dual_mov_b32 v5, 0 :: v_dual_and_b32 v10, 31, v1
	v_lshrrev_b32_e32 v12, 3, v1
	v_lshrrev_b32_e32 v16, 5, v1
	s_load_b64 s[8:9], s[8:9], 0x0
	s_delay_alu instid0(VALU_DEP_3) | instskip(SKIP_2) | instid1(VALU_DEP_3)
	v_add_nc_u32_e32 v0, s16, v10
	v_lshl_add_u32 v13, v7, 6, 0x800
	v_add_nc_u32_e32 v2, s17, v12
	v_ashrrev_i32_e32 v1, 31, v0
	s_delay_alu instid0(VALU_DEP_2) | instskip(NEXT) | instid1(VALU_DEP_2)
	v_ashrrev_i32_e32 v3, 31, v2
	v_mad_u64_u32 v[14:15], null, v16, s10, v[0:1]
	v_and_b32_e32 v17, 7, v4
	s_waitcnt lgkmcnt(0)
	s_add_u32 s12, s12, s20
	s_addc_u32 s13, s13, s21
	s_load_b64 s[12:13], s[12:13], 0x0
	v_mad_u64_u32 v[0:1], null, v17, s14, v[2:3]
	s_delay_alu instid0(VALU_DEP_3) | instskip(NEXT) | instid1(VALU_DEP_1)
	v_mov_b32_e32 v2, v15
	v_mad_u64_u32 v[8:9], null, v16, s11, v[2:3]
	s_delay_alu instid0(VALU_DEP_3) | instskip(SKIP_4) | instid1(VALU_DEP_4)
	v_mad_u64_u32 v[2:3], null, v17, s15, v[1:2]
	v_lshlrev_b32_e32 v1, 3, v17
	v_dual_mov_b32 v10, 0 :: v_dual_lshlrev_b32 v17, 3, v10
	v_mov_b32_e32 v9, 0
	v_dual_mov_b32 v15, v8 :: v_dual_mov_b32 v8, 0
	v_lshl_or_b32 v12, v12, 6, v1
	v_mov_b32_e32 v1, v2
	s_delay_alu instid0(VALU_DEP_3) | instskip(SKIP_1) | instid1(VALU_DEP_4)
	v_lshlrev_b64 v[2:3], 3, v[14:15]
	v_lshl_or_b32 v15, v16, 8, v17
	v_add_nc_u32_e32 v16, 0x800, v12
	s_delay_alu instid0(VALU_DEP_4) | instskip(SKIP_4) | instid1(VALU_DEP_4)
	v_lshlrev_b64 v[0:1], 3, v[0:1]
	v_mov_b32_e32 v17, 0
	v_add_co_u32 v2, vcc_lo, v2, s8
	v_add_co_ci_u32_e32 v3, vcc_lo, s9, v3, vcc_lo
	s_waitcnt lgkmcnt(0)
	v_add_co_u32 v12, vcc_lo, v0, s12
	v_add_co_ci_u32_e32 v14, vcc_lo, s13, v1, vcc_lo
	v_add_co_u32 v0, vcc_lo, v2, 4
	v_add_co_ci_u32_e32 v1, vcc_lo, 0, v3, vcc_lo
	s_delay_alu instid0(VALU_DEP_4) | instskip(NEXT) | instid1(VALU_DEP_4)
	v_add_co_u32 v2, vcc_lo, v12, 4
	v_add_co_ci_u32_e32 v3, vcc_lo, 0, v14, vcc_lo
	v_mov_b32_e32 v12, 0
	v_mov_b32_e32 v14, 0
	s_lshl_b64 s[8:9], s[10:11], 6
	s_lshl_b64 s[10:11], s[14:15], 6
	s_mov_b64 s[12:13], 0
.LBB1722_2:                             ; =>This Inner Loop Header: Depth=1
	global_load_b64 v[18:19], v[2:3], off offset:-4
	global_load_b64 v[20:21], v[0:1], off offset:-4
	s_add_u32 s12, s12, 8
	v_add_co_u32 v0, vcc_lo, v0, s8
	s_addc_u32 s13, s13, 0
	v_add_co_ci_u32_e32 v1, vcc_lo, s9, v1, vcc_lo
	v_cmp_ge_u64_e64 s14, s[12:13], s[4:5]
	v_add_co_u32 v2, vcc_lo, v2, s10
	v_add_co_ci_u32_e32 v3, vcc_lo, s11, v3, vcc_lo
	s_delay_alu instid0(VALU_DEP_3)
	s_and_b32 vcc_lo, exec_lo, s14
	s_waitcnt vmcnt(1)
	v_xor_b32_e32 v19, 0x80000000, v19
	s_waitcnt vmcnt(0)
	ds_store_b64 v15, v[20:21]
	ds_store_b64 v16, v[18:19]
	s_waitcnt lgkmcnt(0)
	s_barrier
	buffer_gl0_inv
	ds_load_2addr_b64 v[18:21], v11 offset1:16
	ds_load_b128 v[22:25], v13
	ds_load_b128 v[26:29], v13 offset:1024
	ds_load_b128 v[30:33], v13 offset:16
	;; [unrolled: 1-line block ×4, first 2 shown]
	ds_load_2addr_b64 v[42:45], v11 offset0:32 offset1:48
	ds_load_2addr_b64 v[46:49], v11 offset0:64 offset1:80
	ds_load_b128 v[50:53], v13 offset:1040
	ds_load_2addr_b64 v[54:57], v11 offset0:96 offset1:112
	ds_load_2addr_b64 v[58:61], v11 offset0:128 offset1:144
	;; [unrolled: 1-line block ×4, first 2 shown]
	ds_load_b128 v[70:73], v13 offset:1056
	ds_load_b128 v[74:77], v13 offset:1072
	ds_load_2addr_b64 v[78:81], v11 offset0:224 offset1:240
	s_waitcnt lgkmcnt(0)
	s_barrier
	buffer_gl0_inv
	v_dual_mul_f32 v82, v23, v19 :: v_dual_mul_f32 v85, v22, v21
	v_dual_mul_f32 v83, v22, v19 :: v_dual_mul_f32 v84, v23, v21
	v_mul_f32_e32 v86, v27, v19
	v_dual_mul_f32 v19, v26, v19 :: v_dual_mul_f32 v90, v25, v45
	v_dual_mul_f32 v87, v27, v21 :: v_dual_mul_f32 v88, v25, v43
	v_mul_f32_e32 v21, v26, v21
	v_mul_f32_e32 v89, v24, v43
	;; [unrolled: 1-line block ×3, first 2 shown]
	v_fma_f32 v82, v22, v18, -v82
	v_fmac_f32_e32 v83, v23, v18
	v_fma_f32 v22, v22, v20, -v84
	v_dual_fmac_f32 v85, v23, v20 :: v_dual_mul_f32 v84, v30, v47
	v_fma_f32 v23, v26, v18, -v86
	v_fmac_f32_e32 v19, v27, v18
	v_fma_f32 v18, v26, v20, -v87
	v_dual_mul_f32 v26, v28, v43 :: v_dual_fmac_f32 v21, v27, v20
	v_mul_f32_e32 v20, v29, v43
	v_mul_f32_e32 v27, v29, v45
	v_dual_mul_f32 v43, v28, v45 :: v_dual_fmac_f32 v84, v31, v46
	v_fma_f32 v45, v24, v42, -v88
	v_fma_f32 v24, v24, v44, -v90
	v_dual_fmac_f32 v91, v25, v44 :: v_dual_mul_f32 v90, v32, v57
	v_dual_mul_f32 v86, v31, v49 :: v_dual_fmac_f32 v89, v25, v42
	v_dual_mul_f32 v25, v31, v47 :: v_dual_mul_f32 v88, v33, v57
	v_fma_f32 v20, v28, v42, -v20
	v_fmac_f32_e32 v26, v29, v42
	v_fma_f32 v27, v28, v44, -v27
	v_dual_fmac_f32 v43, v29, v44 :: v_dual_mul_f32 v28, v51, v47
	v_dual_mul_f32 v29, v50, v47 :: v_dual_mul_f32 v42, v51, v49
	v_mul_f32_e32 v44, v50, v49
	v_mul_f32_e32 v87, v30, v49
	;; [unrolled: 1-line block ×3, first 2 shown]
	v_dual_mul_f32 v49, v32, v55 :: v_dual_fmac_f32 v90, v33, v56
	v_fma_f32 v25, v30, v46, -v25
	v_fma_f32 v30, v30, v48, -v86
	;; [unrolled: 1-line block ×3, first 2 shown]
	v_fmac_f32_e32 v44, v51, v48
	v_fmac_f32_e32 v87, v31, v48
	v_fma_f32 v31, v50, v48, -v42
	v_mul_f32_e32 v42, v53, v55
	v_mul_f32_e32 v48, v53, v57
	v_dual_mul_f32 v50, v52, v57 :: v_dual_fmac_f32 v29, v51, v46
	v_mul_f32_e32 v46, v52, v55
	v_fma_f32 v47, v32, v54, -v47
	v_fmac_f32_e32 v49, v33, v54
	v_fma_f32 v32, v32, v56, -v88
	s_delay_alu instid0(VALU_DEP_4)
	v_dual_mul_f32 v33, v35, v59 :: v_dual_fmac_f32 v46, v53, v54
	v_mul_f32_e32 v51, v34, v59
	v_mul_f32_e32 v55, v35, v61
	v_fma_f32 v42, v52, v54, -v42
	v_fma_f32 v48, v52, v56, -v48
	v_fmac_f32_e32 v50, v53, v56
	v_mul_f32_e32 v52, v71, v59
	v_dual_mul_f32 v53, v70, v59 :: v_dual_mul_f32 v86, v37, v65
	v_mul_f32_e32 v54, v71, v61
	v_dual_mul_f32 v56, v70, v61 :: v_dual_mul_f32 v59, v37, v63
	v_mul_f32_e32 v57, v34, v61
	v_mul_f32_e32 v61, v36, v63
	v_dual_mul_f32 v88, v36, v65 :: v_dual_fmac_f32 v51, v35, v58
	v_fma_f32 v33, v34, v58, -v33
	v_fmac_f32_e32 v53, v71, v58
	v_fmac_f32_e32 v56, v71, v60
	s_delay_alu instid0(VALU_DEP_4)
	v_fmac_f32_e32 v88, v37, v64
	v_fmac_f32_e32 v57, v35, v60
	v_fma_f32 v35, v70, v58, -v52
	v_fma_f32 v52, v70, v60, -v54
	v_mul_f32_e32 v54, v73, v63
	v_fma_f32 v34, v34, v60, -v55
	v_mul_f32_e32 v60, v72, v65
	v_dual_mul_f32 v55, v72, v63 :: v_dual_mul_f32 v70, v38, v69
	v_mul_f32_e32 v58, v73, v65
	v_fmac_f32_e32 v61, v37, v62
	s_delay_alu instid0(VALU_DEP_4)
	v_dual_mul_f32 v37, v39, v67 :: v_dual_fmac_f32 v60, v73, v64
	v_mul_f32_e32 v65, v39, v69
	v_fma_f32 v59, v36, v62, -v59
	v_fma_f32 v36, v36, v64, -v86
	v_dual_mul_f32 v63, v38, v67 :: v_dual_mul_f32 v86, v40, v81
	v_fma_f32 v54, v72, v62, -v54
	v_fmac_f32_e32 v55, v73, v62
	v_fma_f32 v58, v72, v64, -v58
	v_mul_f32_e32 v72, v40, v79
	v_mul_f32_e32 v62, v75, v67
	v_dual_mul_f32 v64, v74, v67 :: v_dual_mul_f32 v67, v75, v69
	v_dual_mul_f32 v73, v41, v81 :: v_dual_add_f32 v14, v14, v82
	v_fma_f32 v37, v38, v66, -v37
	v_fma_f32 v38, v38, v68, -v65
	v_dual_mul_f32 v65, v77, v79 :: v_dual_add_f32 v12, v12, v22
	v_dual_add_f32 v9, v9, v19 :: v_dual_add_f32 v6, v6, v18
	v_dual_mul_f32 v69, v74, v69 :: v_dual_fmac_f32 v70, v39, v68
	v_dual_mul_f32 v71, v41, v79 :: v_dual_fmac_f32 v64, v75, v66
	v_fmac_f32_e32 v63, v39, v66
	v_fma_f32 v39, v74, v66, -v62
	v_mul_f32_e32 v66, v76, v79
	v_fma_f32 v62, v74, v68, -v67
	v_dual_mul_f32 v67, v77, v81 :: v_dual_add_f32 v8, v8, v23
	v_dual_add_f32 v17, v17, v83 :: v_dual_add_f32 v10, v10, v85
	v_dual_add_f32 v5, v5, v21 :: v_dual_add_f32 v12, v12, v24
	;; [unrolled: 1-line block ×3, first 2 shown]
	s_delay_alu instid0(VALU_DEP_3) | instskip(NEXT) | instid1(VALU_DEP_3)
	v_dual_add_f32 v17, v17, v89 :: v_dual_add_f32 v10, v10, v91
	v_dual_add_f32 v8, v8, v20 :: v_dual_add_f32 v5, v5, v43
	s_delay_alu instid0(VALU_DEP_3) | instskip(NEXT) | instid1(VALU_DEP_3)
	v_dual_add_f32 v12, v12, v30 :: v_dual_add_f32 v9, v9, v29
	v_dual_add_f32 v6, v6, v27 :: v_dual_add_f32 v17, v17, v84
	;; [unrolled: 3-line block ×5, first 2 shown]
	s_delay_alu instid0(VALU_DEP_3) | instskip(SKIP_1) | instid1(VALU_DEP_4)
	v_dual_add_f32 v10, v10, v90 :: v_dual_add_f32 v5, v5, v56
	v_add_f32_e32 v8, v8, v42
	v_dual_add_f32 v6, v6, v48 :: v_dual_add_f32 v9, v9, v55
	v_dual_fmac_f32 v69, v75, v68 :: v_dual_fmac_f32 v72, v41, v78
	v_mul_f32_e32 v68, v76, v81
	v_fmac_f32_e32 v66, v77, v78
	v_dual_add_f32 v14, v14, v33 :: v_dual_add_f32 v5, v5, v60
	v_dual_add_f32 v10, v10, v57 :: v_dual_add_f32 v9, v9, v64
	;; [unrolled: 1-line block ×3, first 2 shown]
	v_add_f32_e32 v12, v12, v34
	s_delay_alu instid0(VALU_DEP_4) | instskip(SKIP_1) | instid1(VALU_DEP_4)
	v_dual_add_f32 v8, v8, v35 :: v_dual_add_f32 v5, v5, v69
	v_fmac_f32_e32 v68, v77, v80
	v_dual_add_f32 v10, v10, v88 :: v_dual_add_f32 v17, v17, v63
	v_add_f32_e32 v14, v14, v59
	v_add_f32_e32 v12, v12, v36
	s_delay_alu instid0(VALU_DEP_4)
	v_dual_add_f32 v8, v8, v54 :: v_dual_add_f32 v5, v5, v68
	v_add_f32_e32 v9, v9, v66
	v_add_f32_e32 v6, v6, v58
	v_fma_f32 v71, v40, v78, -v71
	v_fma_f32 v40, v40, v80, -v73
	v_fmac_f32_e32 v86, v41, v80
	v_fma_f32 v41, v76, v78, -v65
	v_fma_f32 v65, v76, v80, -v67
	v_add_f32_e32 v12, v12, v38
	v_add_f32_e32 v10, v10, v70
	;; [unrolled: 1-line block ×3, first 2 shown]
	v_dual_add_f32 v6, v6, v62 :: v_dual_add_f32 v17, v17, v72
	v_add_f32_e32 v14, v14, v37
	v_add_f32_e32 v12, v12, v40
	;; [unrolled: 1-line block ×6, first 2 shown]
	s_cbranch_vccz .LBB1722_2
.LBB1722_3:
	v_add_nc_u32_e32 v7, s17, v7
	s_load_b32 s4, s[0:1], 0x0
	s_delay_alu instid0(VALU_DEP_1) | instskip(SKIP_2) | instid1(VALU_DEP_3)
	v_ashrrev_i32_e32 v0, 31, v7
	v_mul_lo_u32 v3, v7, s19
	v_mad_u64_u32 v[1:2], null, v7, s18, 0
	v_mul_lo_u32 v0, v0, s18
	s_delay_alu instid0(VALU_DEP_1) | instskip(SKIP_1) | instid1(VALU_DEP_2)
	v_add3_u32 v2, v2, v3, v0
	v_add_nc_u32_e32 v0, s16, v4
	v_lshlrev_b64 v[1:2], 3, v[1:2]
	s_delay_alu instid0(VALU_DEP_2) | instskip(SKIP_2) | instid1(VALU_DEP_3)
	v_cmp_le_i32_e64 s0, v7, v0
	s_waitcnt lgkmcnt(0)
	v_cmp_gt_i32_e32 vcc_lo, s4, v0
	v_add_co_u32 v4, s1, s2, v1
	s_delay_alu instid0(VALU_DEP_1) | instskip(SKIP_1) | instid1(SALU_CYCLE_1)
	v_add_co_ci_u32_e64 v11, s1, s3, v2, s1
	s_and_b32 s0, s0, vcc_lo
	s_and_saveexec_b32 s1, s0
	s_cbranch_execz .LBB1722_6
; %bb.4:
	v_ashrrev_i32_e32 v1, 31, v0
	v_mul_f32_e32 v16, s6, v17
	v_mul_f32_e32 v3, s7, v17
	s_delay_alu instid0(VALU_DEP_3) | instskip(NEXT) | instid1(VALU_DEP_3)
	v_lshlrev_b64 v[1:2], 3, v[0:1]
	v_fmac_f32_e32 v16, s7, v14
	s_delay_alu instid0(VALU_DEP_3) | instskip(NEXT) | instid1(VALU_DEP_3)
	v_fma_f32 v15, v14, s6, -v3
	v_add_co_u32 v1, s0, v4, v1
	s_delay_alu instid0(VALU_DEP_1)
	v_add_co_ci_u32_e64 v2, s0, v11, v2, s0
	v_cmp_eq_u32_e64 s0, v7, v0
	global_store_b64 v[1:2], v[15:16], off
	s_and_b32 exec_lo, exec_lo, s0
	s_cbranch_execz .LBB1722_6
; %bb.5:
	v_mov_b32_e32 v3, 0
	global_store_b32 v[1:2], v3, off offset:4
.LBB1722_6:
	s_or_b32 exec_lo, exec_lo, s1
	v_add_nc_u32_e32 v2, 16, v0
	s_delay_alu instid0(VALU_DEP_1) | instskip(SKIP_1) | instid1(VALU_DEP_1)
	v_cmp_le_i32_e64 s1, v7, v2
	v_cmp_gt_i32_e64 s0, s4, v2
	s_and_b32 s1, s1, s0
	s_delay_alu instid0(SALU_CYCLE_1)
	s_and_saveexec_b32 s4, s1
	s_cbranch_execz .LBB1722_9
; %bb.7:
	v_ashrrev_i32_e32 v3, 31, v2
	v_mul_f32_e32 v14, s6, v10
	v_mul_f32_e32 v1, s7, v10
	s_delay_alu instid0(VALU_DEP_3) | instskip(NEXT) | instid1(VALU_DEP_3)
	v_lshlrev_b64 v[15:16], 3, v[2:3]
	v_fmac_f32_e32 v14, s7, v12
	s_delay_alu instid0(VALU_DEP_3) | instskip(NEXT) | instid1(VALU_DEP_3)
	v_fma_f32 v13, v12, s6, -v1
	v_add_co_u32 v3, s1, v4, v15
	s_delay_alu instid0(VALU_DEP_1)
	v_add_co_ci_u32_e64 v4, s1, v11, v16, s1
	v_cmp_eq_u32_e64 s1, v7, v2
	global_store_b64 v[3:4], v[13:14], off
	s_and_b32 exec_lo, exec_lo, s1
	s_cbranch_execz .LBB1722_9
; %bb.8:
	v_mov_b32_e32 v1, 0
	global_store_b32 v[3:4], v1, off offset:4
.LBB1722_9:
	s_or_b32 exec_lo, exec_lo, s4
	v_add_nc_u32_e32 v12, 16, v7
	s_delay_alu instid0(VALU_DEP_1) | instskip(SKIP_3) | instid1(VALU_DEP_4)
	v_ashrrev_i32_e32 v1, 31, v12
	v_mul_lo_u32 v10, v12, s19
	v_mad_u64_u32 v[3:4], null, v12, s18, 0
	v_cmp_le_i32_e64 s1, v12, v0
	v_mul_lo_u32 v1, v1, s18
	s_delay_alu instid0(VALU_DEP_1) | instskip(NEXT) | instid1(VALU_DEP_1)
	v_add3_u32 v4, v4, v10, v1
	v_lshlrev_b64 v[3:4], 3, v[3:4]
	s_delay_alu instid0(VALU_DEP_1) | instskip(NEXT) | instid1(VALU_DEP_1)
	v_add_co_u32 v10, s2, s2, v3
	v_add_co_ci_u32_e64 v11, s2, s3, v4, s2
	s_and_b32 s2, s1, vcc_lo
	s_delay_alu instid0(SALU_CYCLE_1)
	s_and_saveexec_b32 s1, s2
	s_cbranch_execz .LBB1722_12
; %bb.10:
	v_ashrrev_i32_e32 v1, 31, v0
	v_mul_f32_e32 v14, s6, v9
	v_mul_f32_e32 v13, s7, v9
	s_delay_alu instid0(VALU_DEP_3) | instskip(NEXT) | instid1(VALU_DEP_3)
	v_lshlrev_b64 v[3:4], 3, v[0:1]
	v_fmac_f32_e32 v14, s7, v8
	s_delay_alu instid0(VALU_DEP_3) | instskip(NEXT) | instid1(VALU_DEP_3)
	v_fma_f32 v13, v8, s6, -v13
	v_add_co_u32 v3, vcc_lo, v10, v3
	s_delay_alu instid0(VALU_DEP_4)
	v_add_co_ci_u32_e32 v4, vcc_lo, v11, v4, vcc_lo
	v_cmp_eq_u32_e32 vcc_lo, v12, v0
	global_store_b64 v[3:4], v[13:14], off
	s_and_b32 exec_lo, exec_lo, vcc_lo
	s_cbranch_execz .LBB1722_12
; %bb.11:
	v_mov_b32_e32 v1, 0
	global_store_b32 v[3:4], v1, off offset:4
.LBB1722_12:
	s_or_b32 exec_lo, exec_lo, s1
	v_cmp_le_i32_e32 vcc_lo, v12, v2
	s_and_b32 s0, vcc_lo, s0
	s_delay_alu instid0(SALU_CYCLE_1)
	s_and_saveexec_b32 s1, s0
	s_cbranch_execz .LBB1722_15
; %bb.13:
	v_ashrrev_i32_e32 v3, 31, v2
	v_mul_f32_e32 v8, s7, v5
	v_mul_f32_e32 v4, s6, v5
	s_delay_alu instid0(VALU_DEP_3) | instskip(NEXT) | instid1(VALU_DEP_3)
	v_lshlrev_b64 v[1:2], 3, v[2:3]
	v_fma_f32 v3, v6, s6, -v8
	s_delay_alu instid0(VALU_DEP_3) | instskip(NEXT) | instid1(VALU_DEP_3)
	v_fmac_f32_e32 v4, s7, v6
	v_add_co_u32 v1, vcc_lo, v10, v1
	s_delay_alu instid0(VALU_DEP_4)
	v_add_co_ci_u32_e32 v2, vcc_lo, v11, v2, vcc_lo
	v_cmp_eq_u32_e32 vcc_lo, v7, v0
	global_store_b64 v[1:2], v[3:4], off
	s_and_b32 exec_lo, exec_lo, vcc_lo
	s_cbranch_execz .LBB1722_15
; %bb.14:
	v_mov_b32_e32 v0, 0
	global_store_b32 v[1:2], v0, off offset:4
.LBB1722_15:
	s_nop 0
	s_sendmsg sendmsg(MSG_DEALLOC_VGPRS)
	s_endpgm
	.section	.rodata,"a",@progbits
	.p2align	6, 0x0
	.amdhsa_kernel _ZL37rocblas_syrkx_herkx_restricted_kernelIl19rocblas_complex_numIfELi16ELi32ELi8ELb1ELb1ELc78ELc76EKPKS1_KPS1_EviT_T0_PT8_S7_lSA_S7_lS8_PT9_S7_li
		.amdhsa_group_segment_fixed_size 4096
		.amdhsa_private_segment_fixed_size 0
		.amdhsa_kernarg_size 108
		.amdhsa_user_sgpr_count 13
		.amdhsa_user_sgpr_dispatch_ptr 0
		.amdhsa_user_sgpr_queue_ptr 0
		.amdhsa_user_sgpr_kernarg_segment_ptr 1
		.amdhsa_user_sgpr_dispatch_id 0
		.amdhsa_user_sgpr_private_segment_size 0
		.amdhsa_wavefront_size32 1
		.amdhsa_uses_dynamic_stack 0
		.amdhsa_enable_private_segment 0
		.amdhsa_system_sgpr_workgroup_id_x 1
		.amdhsa_system_sgpr_workgroup_id_y 1
		.amdhsa_system_sgpr_workgroup_id_z 1
		.amdhsa_system_sgpr_workgroup_info 0
		.amdhsa_system_vgpr_workitem_id 1
		.amdhsa_next_free_vgpr 92
		.amdhsa_next_free_sgpr 22
		.amdhsa_reserve_vcc 1
		.amdhsa_float_round_mode_32 0
		.amdhsa_float_round_mode_16_64 0
		.amdhsa_float_denorm_mode_32 3
		.amdhsa_float_denorm_mode_16_64 3
		.amdhsa_dx10_clamp 1
		.amdhsa_ieee_mode 1
		.amdhsa_fp16_overflow 0
		.amdhsa_workgroup_processor_mode 1
		.amdhsa_memory_ordered 1
		.amdhsa_forward_progress 0
		.amdhsa_shared_vgpr_count 0
		.amdhsa_exception_fp_ieee_invalid_op 0
		.amdhsa_exception_fp_denorm_src 0
		.amdhsa_exception_fp_ieee_div_zero 0
		.amdhsa_exception_fp_ieee_overflow 0
		.amdhsa_exception_fp_ieee_underflow 0
		.amdhsa_exception_fp_ieee_inexact 0
		.amdhsa_exception_int_div_zero 0
	.end_amdhsa_kernel
	.section	.text._ZL37rocblas_syrkx_herkx_restricted_kernelIl19rocblas_complex_numIfELi16ELi32ELi8ELb1ELb1ELc78ELc76EKPKS1_KPS1_EviT_T0_PT8_S7_lSA_S7_lS8_PT9_S7_li,"axG",@progbits,_ZL37rocblas_syrkx_herkx_restricted_kernelIl19rocblas_complex_numIfELi16ELi32ELi8ELb1ELb1ELc78ELc76EKPKS1_KPS1_EviT_T0_PT8_S7_lSA_S7_lS8_PT9_S7_li,comdat
.Lfunc_end1722:
	.size	_ZL37rocblas_syrkx_herkx_restricted_kernelIl19rocblas_complex_numIfELi16ELi32ELi8ELb1ELb1ELc78ELc76EKPKS1_KPS1_EviT_T0_PT8_S7_lSA_S7_lS8_PT9_S7_li, .Lfunc_end1722-_ZL37rocblas_syrkx_herkx_restricted_kernelIl19rocblas_complex_numIfELi16ELi32ELi8ELb1ELb1ELc78ELc76EKPKS1_KPS1_EviT_T0_PT8_S7_lSA_S7_lS8_PT9_S7_li
                                        ; -- End function
	.section	.AMDGPU.csdata,"",@progbits
; Kernel info:
; codeLenInByte = 2316
; NumSgprs: 24
; NumVgprs: 92
; ScratchSize: 0
; MemoryBound: 0
; FloatMode: 240
; IeeeMode: 1
; LDSByteSize: 4096 bytes/workgroup (compile time only)
; SGPRBlocks: 2
; VGPRBlocks: 11
; NumSGPRsForWavesPerEU: 24
; NumVGPRsForWavesPerEU: 92
; Occupancy: 16
; WaveLimiterHint : 1
; COMPUTE_PGM_RSRC2:SCRATCH_EN: 0
; COMPUTE_PGM_RSRC2:USER_SGPR: 13
; COMPUTE_PGM_RSRC2:TRAP_HANDLER: 0
; COMPUTE_PGM_RSRC2:TGID_X_EN: 1
; COMPUTE_PGM_RSRC2:TGID_Y_EN: 1
; COMPUTE_PGM_RSRC2:TGID_Z_EN: 1
; COMPUTE_PGM_RSRC2:TIDIG_COMP_CNT: 1
	.section	.text._ZL37rocblas_syrkx_herkx_restricted_kernelIl19rocblas_complex_numIfELi16ELi32ELi8ELb1ELb1ELc84ELc85EKPKS1_KPS1_EviT_T0_PT8_S7_lSA_S7_lS8_PT9_S7_li,"axG",@progbits,_ZL37rocblas_syrkx_herkx_restricted_kernelIl19rocblas_complex_numIfELi16ELi32ELi8ELb1ELb1ELc84ELc85EKPKS1_KPS1_EviT_T0_PT8_S7_lSA_S7_lS8_PT9_S7_li,comdat
	.globl	_ZL37rocblas_syrkx_herkx_restricted_kernelIl19rocblas_complex_numIfELi16ELi32ELi8ELb1ELb1ELc84ELc85EKPKS1_KPS1_EviT_T0_PT8_S7_lSA_S7_lS8_PT9_S7_li ; -- Begin function _ZL37rocblas_syrkx_herkx_restricted_kernelIl19rocblas_complex_numIfELi16ELi32ELi8ELb1ELb1ELc84ELc85EKPKS1_KPS1_EviT_T0_PT8_S7_lSA_S7_lS8_PT9_S7_li
	.p2align	8
	.type	_ZL37rocblas_syrkx_herkx_restricted_kernelIl19rocblas_complex_numIfELi16ELi32ELi8ELb1ELb1ELc84ELc85EKPKS1_KPS1_EviT_T0_PT8_S7_lSA_S7_lS8_PT9_S7_li,@function
_ZL37rocblas_syrkx_herkx_restricted_kernelIl19rocblas_complex_numIfELi16ELi32ELi8ELb1ELb1ELc84ELc85EKPKS1_KPS1_EviT_T0_PT8_S7_lSA_S7_lS8_PT9_S7_li: ; @_ZL37rocblas_syrkx_herkx_restricted_kernelIl19rocblas_complex_numIfELi16ELi32ELi8ELb1ELb1ELc84ELc85EKPKS1_KPS1_EviT_T0_PT8_S7_lSA_S7_lS8_PT9_S7_li
; %bb.0:
	s_clause 0x1
	s_load_b128 s[16:19], s[0:1], 0x50
	s_load_b256 s[4:11], s[0:1], 0x8
	s_mov_b32 s2, s15
	s_mov_b32 s3, 0
	v_dual_mov_b32 v17, 0 :: v_dual_and_b32 v6, 0x3ff, v0
	s_lshl_b64 s[20:21], s[2:3], 3
	v_bfe_u32 v7, v0, 10, 10
	v_dual_mov_b32 v16, 0 :: v_dual_mov_b32 v11, 0
	v_dual_mov_b32 v10, 0 :: v_dual_mov_b32 v9, 0
	;; [unrolled: 1-line block ×3, first 2 shown]
	v_mov_b32_e32 v0, 0
	s_waitcnt lgkmcnt(0)
	s_add_u32 s2, s16, s20
	s_addc_u32 s3, s17, s21
	v_cmp_lt_i64_e64 s12, s[4:5], 1
	s_load_b64 s[2:3], s[2:3], 0x0
	s_lshl_b32 s16, s13, 5
	s_lshl_b32 s17, s14, 5
	s_delay_alu instid0(VALU_DEP_1)
	s_and_b32 vcc_lo, exec_lo, s12
	s_cbranch_vccnz .LBB1723_3
; %bb.1:
	s_load_b128 s[12:15], s[0:1], 0x30
	v_lshl_add_u32 v2, v7, 4, v6
	v_dual_mov_b32 v1, 0 :: v_dual_and_b32 v0, 7, v6
	s_add_u32 s8, s8, s20
	s_addc_u32 s9, s9, s21
	s_delay_alu instid0(VALU_DEP_2) | instskip(SKIP_3) | instid1(VALU_DEP_3)
	v_and_b32_e32 v11, 31, v2
	v_lshrrev_b32_e32 v10, 3, v2
	v_lshrrev_b32_e32 v2, 5, v2
	s_load_b64 s[8:9], s[8:9], 0x0
	v_dual_mov_b32 v3, v1 :: v_dual_add_nc_u32 v8, s16, v11
	s_delay_alu instid0(VALU_DEP_3) | instskip(SKIP_2) | instid1(VALU_DEP_4)
	v_add_nc_u32_e32 v12, s17, v10
	v_dual_mov_b32 v16, v1 :: v_dual_lshlrev_b32 v11, 3, v11
	v_mov_b32_e32 v17, v1
	v_ashrrev_i32_e32 v13, 31, v8
	s_delay_alu instid0(VALU_DEP_4)
	v_ashrrev_i32_e32 v9, 31, v12
	v_mad_u64_u32 v[4:5], null, s10, v8, v[2:3]
	s_waitcnt lgkmcnt(0)
	s_add_u32 s12, s12, s20
	v_mul_lo_u32 v3, s11, v8
	v_mul_lo_u32 v13, s10, v13
	s_addc_u32 s13, s13, s21
	v_mul_lo_u32 v14, v9, s14
	s_load_b64 s[10:11], s[12:13], 0x0
	v_mul_lo_u32 v15, v12, s15
	v_mad_u64_u32 v[8:9], null, v12, s14, v[0:1]
	v_lshlrev_b32_e32 v0, 3, v0
	v_add3_u32 v5, v3, v5, v13
	v_lshlrev_b32_e32 v12, 3, v6
	v_lshl_add_u32 v13, v7, 6, 0x800
	v_add3_u32 v9, v14, v9, v15
	s_delay_alu instid0(VALU_DEP_4) | instskip(SKIP_4) | instid1(VALU_DEP_2)
	v_lshlrev_b64 v[3:4], 3, v[4:5]
	v_lshl_or_b32 v14, v2, 8, v11
	v_mov_b32_e32 v11, v1
	v_lshl_or_b32 v0, v10, 6, v0
	v_lshlrev_b64 v[8:9], 3, v[8:9]
	v_dual_mov_b32 v10, v1 :: v_dual_add_nc_u32 v15, 0x800, v0
	v_add_co_u32 v0, vcc_lo, v3, s8
	v_add_co_ci_u32_e32 v3, vcc_lo, s9, v4, vcc_lo
	s_waitcnt lgkmcnt(0)
	s_delay_alu instid0(VALU_DEP_4) | instskip(SKIP_3) | instid1(VALU_DEP_4)
	v_add_co_u32 v4, vcc_lo, v8, s10
	v_add_co_ci_u32_e32 v5, vcc_lo, s11, v9, vcc_lo
	v_add_co_u32 v2, vcc_lo, v0, 4
	v_add_co_ci_u32_e32 v3, vcc_lo, 0, v3, vcc_lo
	v_add_co_u32 v4, vcc_lo, v4, 4
	s_delay_alu instid0(VALU_DEP_4)
	v_add_co_ci_u32_e32 v5, vcc_lo, 0, v5, vcc_lo
	v_mov_b32_e32 v0, v1
	v_mov_b32_e32 v9, v1
	;; [unrolled: 1-line block ×3, first 2 shown]
	s_mov_b64 s[8:9], 0
.LBB1723_2:                             ; =>This Inner Loop Header: Depth=1
	global_load_b64 v[18:19], v[2:3], off offset:-4
	global_load_b64 v[20:21], v[4:5], off offset:-4
	s_add_u32 s8, s8, 8
	v_add_co_u32 v2, vcc_lo, v2, 64
	s_addc_u32 s9, s9, 0
	v_add_co_ci_u32_e32 v3, vcc_lo, 0, v3, vcc_lo
	v_cmp_ge_u64_e64 s10, s[8:9], s[4:5]
	v_add_co_u32 v4, vcc_lo, v4, 64
	v_add_co_ci_u32_e32 v5, vcc_lo, 0, v5, vcc_lo
	s_waitcnt vmcnt(1)
	ds_store_b64 v14, v[18:19]
	s_waitcnt vmcnt(0)
	ds_store_b64 v15, v[20:21]
	s_waitcnt lgkmcnt(0)
	s_barrier
	buffer_gl0_inv
	ds_load_2addr_b64 v[18:21], v12 offset1:16
	ds_load_b128 v[22:25], v13
	ds_load_b128 v[26:29], v13 offset:1024
	ds_load_b128 v[30:33], v13 offset:16
	;; [unrolled: 1-line block ×4, first 2 shown]
	ds_load_2addr_b64 v[42:45], v12 offset0:32 offset1:48
	ds_load_2addr_b64 v[46:49], v12 offset0:64 offset1:80
	ds_load_b128 v[50:53], v13 offset:1040
	ds_load_2addr_b64 v[54:57], v12 offset0:96 offset1:112
	ds_load_2addr_b64 v[58:61], v12 offset0:128 offset1:144
	;; [unrolled: 1-line block ×4, first 2 shown]
	ds_load_b128 v[70:73], v13 offset:1056
	ds_load_b128 v[74:77], v13 offset:1072
	ds_load_2addr_b64 v[78:81], v12 offset0:224 offset1:240
	s_and_b32 vcc_lo, exec_lo, s10
	s_waitcnt lgkmcnt(0)
	s_barrier
	buffer_gl0_inv
	v_dual_mul_f32 v82, v23, v19 :: v_dual_mul_f32 v85, v22, v21
	v_dual_mul_f32 v83, v22, v19 :: v_dual_mul_f32 v84, v23, v21
	v_mul_f32_e32 v86, v27, v19
	v_dual_mul_f32 v19, v26, v19 :: v_dual_mul_f32 v90, v25, v45
	v_dual_mul_f32 v87, v27, v21 :: v_dual_mul_f32 v88, v25, v43
	v_mul_f32_e32 v21, v26, v21
	v_fma_f32 v82, v22, v18, -v82
	v_fmac_f32_e32 v83, v23, v18
	v_fma_f32 v22, v22, v20, -v84
	v_fmac_f32_e32 v85, v23, v20
	v_fma_f32 v23, v26, v18, -v86
	v_dual_fmac_f32 v19, v27, v18 :: v_dual_mul_f32 v86, v30, v47
	v_fma_f32 v18, v26, v20, -v87
	v_dual_fmac_f32 v21, v27, v20 :: v_dual_mul_f32 v20, v24, v45
	v_mul_f32_e32 v89, v24, v43
	v_mul_f32_e32 v26, v29, v43
	;; [unrolled: 1-line block ×4, first 2 shown]
	v_fmac_f32_e32 v20, v25, v44
	v_fmac_f32_e32 v89, v25, v42
	v_dual_mul_f32 v25, v28, v45 :: v_dual_fmac_f32 v86, v31, v46
	v_fma_f32 v84, v24, v42, -v88
	v_fma_f32 v24, v24, v44, -v90
	v_dual_mul_f32 v45, v31, v47 :: v_dual_mul_f32 v90, v33, v57
	v_fma_f32 v26, v28, v42, -v26
	v_fma_f32 v28, v28, v44, -v43
	v_fmac_f32_e32 v25, v29, v44
	v_dual_mul_f32 v43, v50, v47 :: v_dual_mul_f32 v44, v51, v49
	v_dual_fmac_f32 v27, v29, v42 :: v_dual_mul_f32 v42, v51, v47
	v_dual_mul_f32 v88, v32, v55 :: v_dual_mul_f32 v29, v30, v49
	v_mul_f32_e32 v87, v31, v49
	v_fma_f32 v45, v30, v46, -v45
	v_add_f32_e32 v16, v16, v82
	s_delay_alu instid0(VALU_DEP_4)
	v_dual_fmac_f32 v88, v33, v54 :: v_dual_fmac_f32 v29, v31, v48
	v_fma_f32 v31, v50, v46, -v42
	v_fma_f32 v42, v50, v48, -v44
	v_mul_f32_e32 v44, v32, v57
	v_mul_f32_e32 v47, v50, v49
	v_dual_mul_f32 v50, v53, v57 :: v_dual_fmac_f32 v43, v51, v46
	v_mul_f32_e32 v46, v53, v55
	v_mul_f32_e32 v49, v33, v55
	v_fma_f32 v30, v30, v48, -v87
	v_fmac_f32_e32 v44, v33, v56
	v_dual_fmac_f32 v47, v51, v48 :: v_dual_mul_f32 v48, v52, v55
	v_mul_f32_e32 v33, v52, v57
	v_fma_f32 v46, v52, v54, -v46
	v_fma_f32 v50, v52, v56, -v50
	v_mul_f32_e32 v52, v34, v61
	v_fma_f32 v49, v32, v54, -v49
	v_fma_f32 v32, v32, v56, -v90
	v_dual_mul_f32 v51, v35, v59 :: v_dual_fmac_f32 v48, v53, v54
	v_mul_f32_e32 v54, v70, v59
	v_dual_mul_f32 v55, v34, v59 :: v_dual_fmac_f32 v52, v35, v60
	v_fmac_f32_e32 v33, v53, v56
	v_mul_f32_e32 v53, v71, v59
	v_mul_f32_e32 v56, v71, v61
	;; [unrolled: 1-line block ×3, first 2 shown]
	v_fmac_f32_e32 v54, v71, v58
	v_fmac_f32_e32 v55, v35, v58
	v_fma_f32 v35, v70, v58, -v53
	v_fma_f32 v53, v70, v60, -v56
	v_mul_f32_e32 v56, v36, v65
	v_mul_f32_e32 v59, v70, v61
	v_fma_f32 v51, v34, v58, -v51
	v_mul_f32_e32 v58, v72, v63
	v_mul_f32_e32 v87, v36, v63
	;; [unrolled: 1-line block ×4, first 2 shown]
	v_fma_f32 v34, v34, v60, -v57
	v_mul_f32_e32 v57, v73, v63
	v_fmac_f32_e32 v56, v37, v64
	v_dual_fmac_f32 v59, v71, v60 :: v_dual_mul_f32 v60, v73, v65
	v_mul_f32_e32 v63, v39, v67
	v_mul_f32_e32 v70, v39, v69
	v_fmac_f32_e32 v58, v73, v62
	v_fmac_f32_e32 v87, v37, v62
	v_mul_f32_e32 v37, v72, v65
	v_fma_f32 v61, v36, v62, -v61
	v_fma_f32 v36, v36, v64, -v90
	v_mul_f32_e32 v65, v38, v67
	v_fma_f32 v57, v72, v62, -v57
	v_fma_f32 v60, v72, v64, -v60
	v_dual_fmac_f32 v37, v73, v64 :: v_dual_mul_f32 v62, v38, v69
	v_mul_f32_e32 v64, v75, v67
	v_fma_f32 v63, v38, v66, -v63
	v_fma_f32 v38, v38, v68, -v70
	v_mul_f32_e32 v70, v76, v79
	v_mul_f32_e32 v67, v74, v67
	;; [unrolled: 1-line block ×3, first 2 shown]
	v_dual_mul_f32 v69, v74, v69 :: v_dual_add_f32 v8, v8, v23
	v_dual_mul_f32 v73, v40, v79 :: v_dual_add_f32 v10, v10, v22
	v_dual_fmac_f32 v65, v39, v66 :: v_dual_add_f32 v16, v16, v84
	v_fmac_f32_e32 v62, v39, v68
	v_fma_f32 v39, v74, v66, -v64
	v_fmac_f32_e32 v70, v77, v78
	v_dual_fmac_f32 v67, v75, v66 :: v_dual_add_f32 v10, v10, v24
	v_mul_f32_e32 v66, v40, v81
	v_mul_f32_e32 v72, v41, v79
	v_dual_mul_f32 v90, v41, v81 :: v_dual_fmac_f32 v69, v75, v68
	v_add_f32_e32 v0, v0, v18
	v_fmac_f32_e32 v73, v41, v78
	v_dual_fmac_f32 v66, v41, v80 :: v_dual_mul_f32 v41, v76, v81
	v_add_f32_e32 v10, v10, v30
	v_fma_f32 v64, v74, v68, -v71
	v_dual_mul_f32 v71, v77, v81 :: v_dual_add_f32 v8, v8, v26
	s_delay_alu instid0(VALU_DEP_4)
	v_dual_fmac_f32 v41, v77, v80 :: v_dual_add_f32 v16, v16, v45
	v_add_f32_e32 v11, v11, v85
	v_add_f32_e32 v9, v9, v19
	v_dual_add_f32 v1, v1, v21 :: v_dual_add_f32 v10, v10, v32
	v_dual_add_f32 v0, v0, v28 :: v_dual_add_f32 v17, v17, v83
	v_add_f32_e32 v8, v8, v31
	s_delay_alu instid0(VALU_DEP_4) | instskip(NEXT) | instid1(VALU_DEP_4)
	v_dual_add_f32 v16, v16, v49 :: v_dual_add_f32 v9, v9, v27
	v_dual_add_f32 v10, v10, v34 :: v_dual_add_f32 v1, v1, v25
	s_delay_alu instid0(VALU_DEP_4) | instskip(NEXT) | instid1(VALU_DEP_3)
	v_add_f32_e32 v0, v0, v42
	v_dual_add_f32 v16, v16, v51 :: v_dual_add_f32 v17, v17, v89
	v_dual_add_f32 v8, v8, v46 :: v_dual_add_f32 v11, v11, v20
	s_delay_alu instid0(VALU_DEP_3) | instskip(NEXT) | instid1(VALU_DEP_2)
	v_dual_add_f32 v0, v0, v50 :: v_dual_add_f32 v9, v9, v43
	v_dual_add_f32 v17, v17, v86 :: v_dual_add_f32 v8, v8, v35
	s_delay_alu instid0(VALU_DEP_3) | instskip(SKIP_1) | instid1(VALU_DEP_3)
	v_dual_add_f32 v11, v11, v29 :: v_dual_add_f32 v10, v10, v36
	v_dual_add_f32 v1, v1, v47 :: v_dual_add_f32 v16, v16, v61
	;; [unrolled: 1-line block ×3, first 2 shown]
	s_delay_alu instid0(VALU_DEP_3) | instskip(NEXT) | instid1(VALU_DEP_3)
	v_dual_add_f32 v11, v11, v44 :: v_dual_add_f32 v0, v0, v53
	v_dual_add_f32 v16, v16, v63 :: v_dual_add_f32 v9, v9, v48
	s_delay_alu instid0(VALU_DEP_4) | instskip(NEXT) | instid1(VALU_DEP_3)
	v_dual_add_f32 v10, v10, v38 :: v_dual_add_f32 v1, v1, v33
	v_add_f32_e32 v0, v0, v60
	v_mul_f32_e32 v68, v77, v79
	v_fma_f32 v72, v40, v78, -v72
	v_fma_f32 v40, v40, v80, -v90
	s_delay_alu instid0(VALU_DEP_4) | instskip(SKIP_1) | instid1(VALU_DEP_4)
	v_dual_add_f32 v17, v17, v55 :: v_dual_add_f32 v0, v0, v64
	v_dual_add_f32 v11, v11, v52 :: v_dual_add_f32 v8, v8, v39
	;; [unrolled: 1-line block ×3, first 2 shown]
	s_delay_alu instid0(VALU_DEP_4)
	v_dual_add_f32 v1, v1, v59 :: v_dual_add_f32 v10, v10, v40
	v_fma_f32 v68, v76, v78, -v68
	v_fma_f32 v71, v76, v80, -v71
	v_add_f32_e32 v17, v17, v87
	v_add_f32_e32 v11, v11, v56
	v_add_f32_e32 v9, v9, v58
	s_delay_alu instid0(VALU_DEP_4) | instskip(NEXT) | instid1(VALU_DEP_4)
	v_dual_add_f32 v1, v1, v37 :: v_dual_add_f32 v0, v0, v71
	v_dual_add_f32 v8, v8, v68 :: v_dual_add_f32 v17, v17, v65
	s_delay_alu instid0(VALU_DEP_4) | instskip(NEXT) | instid1(VALU_DEP_4)
	v_add_f32_e32 v11, v11, v62
	v_add_f32_e32 v9, v9, v67
	s_delay_alu instid0(VALU_DEP_4) | instskip(NEXT) | instid1(VALU_DEP_4)
	v_add_f32_e32 v1, v1, v69
	v_add_f32_e32 v17, v17, v73
	;; [unrolled: 3-line block ×3, first 2 shown]
	s_delay_alu instid0(VALU_DEP_4)
	v_add_f32_e32 v1, v1, v41
	s_cbranch_vccz .LBB1723_2
.LBB1723_3:
	v_add_nc_u32_e32 v7, s17, v7
	s_load_b32 s4, s[0:1], 0x0
	s_delay_alu instid0(VALU_DEP_1) | instskip(SKIP_2) | instid1(VALU_DEP_3)
	v_ashrrev_i32_e32 v2, 31, v7
	v_mul_lo_u32 v5, v7, s19
	v_mad_u64_u32 v[3:4], null, v7, s18, 0
	v_mul_lo_u32 v2, v2, s18
	s_delay_alu instid0(VALU_DEP_1) | instskip(SKIP_3) | instid1(VALU_DEP_3)
	v_add3_u32 v4, v4, v5, v2
	v_add_nc_u32_e32 v2, s16, v6
	s_waitcnt lgkmcnt(0)
	v_cmp_gt_i32_e32 vcc_lo, s4, v7
	v_lshlrev_b64 v[3:4], 3, v[3:4]
	s_delay_alu instid0(VALU_DEP_3) | instskip(NEXT) | instid1(VALU_DEP_1)
	v_cmp_le_i32_e64 s0, v2, v7
	s_and_b32 s0, vcc_lo, s0
	s_delay_alu instid0(VALU_DEP_2) | instskip(NEXT) | instid1(VALU_DEP_1)
	v_add_co_u32 v6, s1, s2, v3
	v_add_co_ci_u32_e64 v12, s1, s3, v4, s1
	s_and_saveexec_b32 s1, s0
	s_cbranch_execz .LBB1723_6
; %bb.4:
	v_ashrrev_i32_e32 v3, 31, v2
	v_mul_f32_e32 v14, s6, v17
	v_mul_f32_e32 v5, s7, v17
	s_delay_alu instid0(VALU_DEP_3) | instskip(NEXT) | instid1(VALU_DEP_3)
	v_lshlrev_b64 v[3:4], 3, v[2:3]
	v_fmac_f32_e32 v14, s7, v16
	s_delay_alu instid0(VALU_DEP_3) | instskip(NEXT) | instid1(VALU_DEP_3)
	v_fma_f32 v13, v16, s6, -v5
	v_add_co_u32 v3, s0, v6, v3
	s_delay_alu instid0(VALU_DEP_1)
	v_add_co_ci_u32_e64 v4, s0, v12, v4, s0
	v_cmp_eq_u32_e64 s0, v7, v2
	global_store_b64 v[3:4], v[13:14], off
	s_and_b32 exec_lo, exec_lo, s0
	s_cbranch_execz .LBB1723_6
; %bb.5:
	v_mov_b32_e32 v5, 0
	global_store_b32 v[3:4], v5, off offset:4
.LBB1723_6:
	s_or_b32 exec_lo, exec_lo, s1
	v_add_nc_u32_e32 v4, 16, v2
	s_delay_alu instid0(VALU_DEP_1) | instskip(NEXT) | instid1(VALU_DEP_1)
	v_cmp_le_i32_e64 s0, v4, v7
	s_and_b32 s1, vcc_lo, s0
	s_delay_alu instid0(SALU_CYCLE_1)
	s_and_saveexec_b32 s0, s1
	s_cbranch_execz .LBB1723_9
; %bb.7:
	v_ashrrev_i32_e32 v5, 31, v4
	v_mul_f32_e32 v14, s6, v11
	v_mul_f32_e32 v3, s7, v11
	s_delay_alu instid0(VALU_DEP_3) | instskip(NEXT) | instid1(VALU_DEP_3)
	v_lshlrev_b64 v[15:16], 3, v[4:5]
	v_fmac_f32_e32 v14, s7, v10
	s_delay_alu instid0(VALU_DEP_3) | instskip(NEXT) | instid1(VALU_DEP_3)
	v_fma_f32 v13, v10, s6, -v3
	v_add_co_u32 v5, vcc_lo, v6, v15
	s_delay_alu instid0(VALU_DEP_4)
	v_add_co_ci_u32_e32 v6, vcc_lo, v12, v16, vcc_lo
	v_cmp_eq_u32_e32 vcc_lo, v7, v4
	global_store_b64 v[5:6], v[13:14], off
	s_and_b32 exec_lo, exec_lo, vcc_lo
	s_cbranch_execz .LBB1723_9
; %bb.8:
	v_mov_b32_e32 v3, 0
	global_store_b32 v[5:6], v3, off offset:4
.LBB1723_9:
	s_or_b32 exec_lo, exec_lo, s0
	v_add_nc_u32_e32 v12, 16, v7
	s_delay_alu instid0(VALU_DEP_1) | instskip(SKIP_3) | instid1(VALU_DEP_4)
	v_ashrrev_i32_e32 v3, 31, v12
	v_mul_lo_u32 v10, v12, s19
	v_mad_u64_u32 v[5:6], null, v12, s18, 0
	v_cmp_gt_i32_e32 vcc_lo, s4, v12
	v_mul_lo_u32 v3, v3, s18
	v_cmp_le_i32_e64 s0, v2, v12
	s_delay_alu instid0(VALU_DEP_1) | instskip(NEXT) | instid1(VALU_DEP_2)
	s_and_b32 s0, vcc_lo, s0
	v_add3_u32 v6, v6, v10, v3
	s_delay_alu instid0(VALU_DEP_1) | instskip(NEXT) | instid1(VALU_DEP_1)
	v_lshlrev_b64 v[5:6], 3, v[5:6]
	v_add_co_u32 v10, s1, s2, v5
	s_delay_alu instid0(VALU_DEP_1)
	v_add_co_ci_u32_e64 v11, s1, s3, v6, s1
	s_and_saveexec_b32 s1, s0
	s_cbranch_execz .LBB1723_12
; %bb.10:
	v_ashrrev_i32_e32 v3, 31, v2
	v_mul_f32_e32 v14, s6, v9
	v_mul_f32_e32 v13, s7, v9
	s_delay_alu instid0(VALU_DEP_3) | instskip(NEXT) | instid1(VALU_DEP_3)
	v_lshlrev_b64 v[5:6], 3, v[2:3]
	v_fmac_f32_e32 v14, s7, v8
	s_delay_alu instid0(VALU_DEP_3) | instskip(NEXT) | instid1(VALU_DEP_3)
	v_fma_f32 v13, v8, s6, -v13
	v_add_co_u32 v5, s0, v10, v5
	s_delay_alu instid0(VALU_DEP_1)
	v_add_co_ci_u32_e64 v6, s0, v11, v6, s0
	v_cmp_eq_u32_e64 s0, v12, v2
	global_store_b64 v[5:6], v[13:14], off
	s_and_b32 exec_lo, exec_lo, s0
	s_cbranch_execz .LBB1723_12
; %bb.11:
	v_mov_b32_e32 v3, 0
	global_store_b32 v[5:6], v3, off offset:4
.LBB1723_12:
	s_or_b32 exec_lo, exec_lo, s1
	v_cmp_le_i32_e64 s0, v4, v12
	s_delay_alu instid0(VALU_DEP_1) | instskip(NEXT) | instid1(SALU_CYCLE_1)
	s_and_b32 s0, vcc_lo, s0
	s_and_saveexec_b32 s1, s0
	s_cbranch_execz .LBB1723_15
; %bb.13:
	v_ashrrev_i32_e32 v5, 31, v4
	v_mul_f32_e32 v8, s7, v1
	v_mul_f32_e32 v6, s6, v1
	s_delay_alu instid0(VALU_DEP_3) | instskip(NEXT) | instid1(VALU_DEP_3)
	v_lshlrev_b64 v[3:4], 3, v[4:5]
	v_fma_f32 v5, v0, s6, -v8
	s_delay_alu instid0(VALU_DEP_3) | instskip(NEXT) | instid1(VALU_DEP_3)
	v_fmac_f32_e32 v6, s7, v0
	v_add_co_u32 v0, vcc_lo, v10, v3
	s_delay_alu instid0(VALU_DEP_4)
	v_add_co_ci_u32_e32 v1, vcc_lo, v11, v4, vcc_lo
	v_cmp_eq_u32_e32 vcc_lo, v7, v2
	global_store_b64 v[0:1], v[5:6], off
	s_and_b32 exec_lo, exec_lo, vcc_lo
	s_cbranch_execz .LBB1723_15
; %bb.14:
	v_mov_b32_e32 v2, 0
	global_store_b32 v[0:1], v2, off offset:4
.LBB1723_15:
	s_nop 0
	s_sendmsg sendmsg(MSG_DEALLOC_VGPRS)
	s_endpgm
	.section	.rodata,"a",@progbits
	.p2align	6, 0x0
	.amdhsa_kernel _ZL37rocblas_syrkx_herkx_restricted_kernelIl19rocblas_complex_numIfELi16ELi32ELi8ELb1ELb1ELc84ELc85EKPKS1_KPS1_EviT_T0_PT8_S7_lSA_S7_lS8_PT9_S7_li
		.amdhsa_group_segment_fixed_size 4096
		.amdhsa_private_segment_fixed_size 0
		.amdhsa_kernarg_size 108
		.amdhsa_user_sgpr_count 13
		.amdhsa_user_sgpr_dispatch_ptr 0
		.amdhsa_user_sgpr_queue_ptr 0
		.amdhsa_user_sgpr_kernarg_segment_ptr 1
		.amdhsa_user_sgpr_dispatch_id 0
		.amdhsa_user_sgpr_private_segment_size 0
		.amdhsa_wavefront_size32 1
		.amdhsa_uses_dynamic_stack 0
		.amdhsa_enable_private_segment 0
		.amdhsa_system_sgpr_workgroup_id_x 1
		.amdhsa_system_sgpr_workgroup_id_y 1
		.amdhsa_system_sgpr_workgroup_id_z 1
		.amdhsa_system_sgpr_workgroup_info 0
		.amdhsa_system_vgpr_workitem_id 1
		.amdhsa_next_free_vgpr 91
		.amdhsa_next_free_sgpr 22
		.amdhsa_reserve_vcc 1
		.amdhsa_float_round_mode_32 0
		.amdhsa_float_round_mode_16_64 0
		.amdhsa_float_denorm_mode_32 3
		.amdhsa_float_denorm_mode_16_64 3
		.amdhsa_dx10_clamp 1
		.amdhsa_ieee_mode 1
		.amdhsa_fp16_overflow 0
		.amdhsa_workgroup_processor_mode 1
		.amdhsa_memory_ordered 1
		.amdhsa_forward_progress 0
		.amdhsa_shared_vgpr_count 0
		.amdhsa_exception_fp_ieee_invalid_op 0
		.amdhsa_exception_fp_denorm_src 0
		.amdhsa_exception_fp_ieee_div_zero 0
		.amdhsa_exception_fp_ieee_overflow 0
		.amdhsa_exception_fp_ieee_underflow 0
		.amdhsa_exception_fp_ieee_inexact 0
		.amdhsa_exception_int_div_zero 0
	.end_amdhsa_kernel
	.section	.text._ZL37rocblas_syrkx_herkx_restricted_kernelIl19rocblas_complex_numIfELi16ELi32ELi8ELb1ELb1ELc84ELc85EKPKS1_KPS1_EviT_T0_PT8_S7_lSA_S7_lS8_PT9_S7_li,"axG",@progbits,_ZL37rocblas_syrkx_herkx_restricted_kernelIl19rocblas_complex_numIfELi16ELi32ELi8ELb1ELb1ELc84ELc85EKPKS1_KPS1_EviT_T0_PT8_S7_lSA_S7_lS8_PT9_S7_li,comdat
.Lfunc_end1723:
	.size	_ZL37rocblas_syrkx_herkx_restricted_kernelIl19rocblas_complex_numIfELi16ELi32ELi8ELb1ELb1ELc84ELc85EKPKS1_KPS1_EviT_T0_PT8_S7_lSA_S7_lS8_PT9_S7_li, .Lfunc_end1723-_ZL37rocblas_syrkx_herkx_restricted_kernelIl19rocblas_complex_numIfELi16ELi32ELi8ELb1ELb1ELc84ELc85EKPKS1_KPS1_EviT_T0_PT8_S7_lSA_S7_lS8_PT9_S7_li
                                        ; -- End function
	.section	.AMDGPU.csdata,"",@progbits
; Kernel info:
; codeLenInByte = 2332
; NumSgprs: 24
; NumVgprs: 91
; ScratchSize: 0
; MemoryBound: 0
; FloatMode: 240
; IeeeMode: 1
; LDSByteSize: 4096 bytes/workgroup (compile time only)
; SGPRBlocks: 2
; VGPRBlocks: 11
; NumSGPRsForWavesPerEU: 24
; NumVGPRsForWavesPerEU: 91
; Occupancy: 16
; WaveLimiterHint : 1
; COMPUTE_PGM_RSRC2:SCRATCH_EN: 0
; COMPUTE_PGM_RSRC2:USER_SGPR: 13
; COMPUTE_PGM_RSRC2:TRAP_HANDLER: 0
; COMPUTE_PGM_RSRC2:TGID_X_EN: 1
; COMPUTE_PGM_RSRC2:TGID_Y_EN: 1
; COMPUTE_PGM_RSRC2:TGID_Z_EN: 1
; COMPUTE_PGM_RSRC2:TIDIG_COMP_CNT: 1
	.section	.text._ZL37rocblas_syrkx_herkx_restricted_kernelIl19rocblas_complex_numIfELi16ELi32ELi8ELb1ELb1ELc67ELc85EKPKS1_KPS1_EviT_T0_PT8_S7_lSA_S7_lS8_PT9_S7_li,"axG",@progbits,_ZL37rocblas_syrkx_herkx_restricted_kernelIl19rocblas_complex_numIfELi16ELi32ELi8ELb1ELb1ELc67ELc85EKPKS1_KPS1_EviT_T0_PT8_S7_lSA_S7_lS8_PT9_S7_li,comdat
	.globl	_ZL37rocblas_syrkx_herkx_restricted_kernelIl19rocblas_complex_numIfELi16ELi32ELi8ELb1ELb1ELc67ELc85EKPKS1_KPS1_EviT_T0_PT8_S7_lSA_S7_lS8_PT9_S7_li ; -- Begin function _ZL37rocblas_syrkx_herkx_restricted_kernelIl19rocblas_complex_numIfELi16ELi32ELi8ELb1ELb1ELc67ELc85EKPKS1_KPS1_EviT_T0_PT8_S7_lSA_S7_lS8_PT9_S7_li
	.p2align	8
	.type	_ZL37rocblas_syrkx_herkx_restricted_kernelIl19rocblas_complex_numIfELi16ELi32ELi8ELb1ELb1ELc67ELc85EKPKS1_KPS1_EviT_T0_PT8_S7_lSA_S7_lS8_PT9_S7_li,@function
_ZL37rocblas_syrkx_herkx_restricted_kernelIl19rocblas_complex_numIfELi16ELi32ELi8ELb1ELb1ELc67ELc85EKPKS1_KPS1_EviT_T0_PT8_S7_lSA_S7_lS8_PT9_S7_li: ; @_ZL37rocblas_syrkx_herkx_restricted_kernelIl19rocblas_complex_numIfELi16ELi32ELi8ELb1ELb1ELc67ELc85EKPKS1_KPS1_EviT_T0_PT8_S7_lSA_S7_lS8_PT9_S7_li
; %bb.0:
	s_clause 0x1
	s_load_b128 s[16:19], s[0:1], 0x50
	s_load_b256 s[4:11], s[0:1], 0x8
	s_mov_b32 s2, s15
	s_mov_b32 s3, 0
	v_dual_mov_b32 v17, 0 :: v_dual_and_b32 v6, 0x3ff, v0
	s_lshl_b64 s[20:21], s[2:3], 3
	v_bfe_u32 v7, v0, 10, 10
	v_dual_mov_b32 v16, 0 :: v_dual_mov_b32 v11, 0
	v_dual_mov_b32 v10, 0 :: v_dual_mov_b32 v9, 0
	;; [unrolled: 1-line block ×3, first 2 shown]
	v_mov_b32_e32 v0, 0
	s_waitcnt lgkmcnt(0)
	s_add_u32 s2, s16, s20
	s_addc_u32 s3, s17, s21
	v_cmp_lt_i64_e64 s12, s[4:5], 1
	s_load_b64 s[2:3], s[2:3], 0x0
	s_lshl_b32 s16, s13, 5
	s_lshl_b32 s17, s14, 5
	s_delay_alu instid0(VALU_DEP_1)
	s_and_b32 vcc_lo, exec_lo, s12
	s_cbranch_vccnz .LBB1724_3
; %bb.1:
	s_load_b128 s[12:15], s[0:1], 0x30
	v_lshl_add_u32 v2, v7, 4, v6
	v_dual_mov_b32 v1, 0 :: v_dual_and_b32 v0, 7, v6
	s_add_u32 s8, s8, s20
	s_addc_u32 s9, s9, s21
	s_delay_alu instid0(VALU_DEP_2) | instskip(SKIP_3) | instid1(VALU_DEP_3)
	v_and_b32_e32 v11, 31, v2
	v_lshrrev_b32_e32 v10, 3, v2
	v_lshrrev_b32_e32 v2, 5, v2
	s_load_b64 s[8:9], s[8:9], 0x0
	v_dual_mov_b32 v3, v1 :: v_dual_add_nc_u32 v8, s16, v11
	s_delay_alu instid0(VALU_DEP_3) | instskip(SKIP_2) | instid1(VALU_DEP_4)
	v_add_nc_u32_e32 v12, s17, v10
	v_dual_mov_b32 v16, v1 :: v_dual_lshlrev_b32 v11, 3, v11
	v_mov_b32_e32 v17, v1
	v_ashrrev_i32_e32 v13, 31, v8
	s_delay_alu instid0(VALU_DEP_4)
	v_ashrrev_i32_e32 v9, 31, v12
	v_mad_u64_u32 v[4:5], null, s10, v8, v[2:3]
	s_waitcnt lgkmcnt(0)
	s_add_u32 s12, s12, s20
	v_mul_lo_u32 v3, s11, v8
	v_mul_lo_u32 v13, s10, v13
	s_addc_u32 s13, s13, s21
	v_mul_lo_u32 v14, v9, s14
	s_load_b64 s[10:11], s[12:13], 0x0
	v_mul_lo_u32 v15, v12, s15
	v_mad_u64_u32 v[8:9], null, v12, s14, v[0:1]
	v_lshlrev_b32_e32 v0, 3, v0
	v_add3_u32 v5, v3, v5, v13
	v_lshlrev_b32_e32 v12, 3, v6
	v_lshl_add_u32 v13, v7, 6, 0x800
	v_add3_u32 v9, v14, v9, v15
	s_delay_alu instid0(VALU_DEP_4) | instskip(SKIP_4) | instid1(VALU_DEP_2)
	v_lshlrev_b64 v[3:4], 3, v[4:5]
	v_lshl_or_b32 v14, v2, 8, v11
	v_mov_b32_e32 v11, v1
	v_lshl_or_b32 v0, v10, 6, v0
	v_lshlrev_b64 v[8:9], 3, v[8:9]
	v_dual_mov_b32 v10, v1 :: v_dual_add_nc_u32 v15, 0x800, v0
	v_add_co_u32 v0, vcc_lo, v3, s8
	v_add_co_ci_u32_e32 v3, vcc_lo, s9, v4, vcc_lo
	s_waitcnt lgkmcnt(0)
	s_delay_alu instid0(VALU_DEP_4) | instskip(SKIP_3) | instid1(VALU_DEP_4)
	v_add_co_u32 v4, vcc_lo, v8, s10
	v_add_co_ci_u32_e32 v5, vcc_lo, s11, v9, vcc_lo
	v_add_co_u32 v2, vcc_lo, v0, 4
	v_add_co_ci_u32_e32 v3, vcc_lo, 0, v3, vcc_lo
	v_add_co_u32 v4, vcc_lo, v4, 4
	s_delay_alu instid0(VALU_DEP_4)
	v_add_co_ci_u32_e32 v5, vcc_lo, 0, v5, vcc_lo
	v_mov_b32_e32 v0, v1
	v_mov_b32_e32 v9, v1
	;; [unrolled: 1-line block ×3, first 2 shown]
	s_mov_b64 s[8:9], 0
.LBB1724_2:                             ; =>This Inner Loop Header: Depth=1
	global_load_b64 v[18:19], v[2:3], off offset:-4
	global_load_b64 v[20:21], v[4:5], off offset:-4
	s_add_u32 s8, s8, 8
	v_add_co_u32 v2, vcc_lo, v2, 64
	s_addc_u32 s9, s9, 0
	v_add_co_ci_u32_e32 v3, vcc_lo, 0, v3, vcc_lo
	v_cmp_ge_u64_e64 s10, s[8:9], s[4:5]
	v_add_co_u32 v4, vcc_lo, v4, 64
	v_add_co_ci_u32_e32 v5, vcc_lo, 0, v5, vcc_lo
	s_delay_alu instid0(VALU_DEP_3)
	s_and_b32 vcc_lo, exec_lo, s10
	s_waitcnt vmcnt(1)
	v_xor_b32_e32 v19, 0x80000000, v19
	ds_store_b64 v14, v[18:19]
	s_waitcnt vmcnt(0)
	ds_store_b64 v15, v[20:21]
	s_waitcnt lgkmcnt(0)
	s_barrier
	buffer_gl0_inv
	ds_load_2addr_b64 v[18:21], v12 offset1:16
	ds_load_b128 v[22:25], v13
	ds_load_b128 v[26:29], v13 offset:1024
	ds_load_b128 v[30:33], v13 offset:16
	;; [unrolled: 1-line block ×4, first 2 shown]
	ds_load_2addr_b64 v[42:45], v12 offset0:32 offset1:48
	ds_load_2addr_b64 v[46:49], v12 offset0:64 offset1:80
	ds_load_b128 v[50:53], v13 offset:1040
	ds_load_2addr_b64 v[54:57], v12 offset0:96 offset1:112
	ds_load_2addr_b64 v[58:61], v12 offset0:128 offset1:144
	;; [unrolled: 1-line block ×4, first 2 shown]
	ds_load_b128 v[70:73], v13 offset:1056
	ds_load_b128 v[74:77], v13 offset:1072
	ds_load_2addr_b64 v[78:81], v12 offset0:224 offset1:240
	s_waitcnt lgkmcnt(0)
	s_barrier
	buffer_gl0_inv
	v_dual_mul_f32 v82, v23, v19 :: v_dual_mul_f32 v85, v22, v21
	v_dual_mul_f32 v83, v22, v19 :: v_dual_mul_f32 v84, v23, v21
	v_mul_f32_e32 v86, v27, v19
	v_dual_mul_f32 v19, v26, v19 :: v_dual_mul_f32 v90, v25, v45
	v_dual_mul_f32 v87, v27, v21 :: v_dual_mul_f32 v88, v25, v43
	v_mul_f32_e32 v21, v26, v21
	v_fma_f32 v82, v22, v18, -v82
	v_fmac_f32_e32 v83, v23, v18
	v_fma_f32 v22, v22, v20, -v84
	v_fmac_f32_e32 v85, v23, v20
	v_fma_f32 v23, v26, v18, -v86
	v_dual_fmac_f32 v19, v27, v18 :: v_dual_mul_f32 v86, v30, v47
	v_fma_f32 v18, v26, v20, -v87
	v_dual_fmac_f32 v21, v27, v20 :: v_dual_mul_f32 v20, v24, v45
	v_mul_f32_e32 v89, v24, v43
	v_mul_f32_e32 v26, v29, v43
	;; [unrolled: 1-line block ×4, first 2 shown]
	v_fmac_f32_e32 v20, v25, v44
	v_fmac_f32_e32 v89, v25, v42
	v_dual_mul_f32 v25, v28, v45 :: v_dual_fmac_f32 v86, v31, v46
	v_fma_f32 v84, v24, v42, -v88
	v_fma_f32 v24, v24, v44, -v90
	v_dual_mul_f32 v45, v31, v47 :: v_dual_mul_f32 v90, v33, v57
	v_fma_f32 v26, v28, v42, -v26
	v_fma_f32 v28, v28, v44, -v43
	v_fmac_f32_e32 v25, v29, v44
	v_dual_mul_f32 v43, v50, v47 :: v_dual_mul_f32 v44, v51, v49
	v_dual_fmac_f32 v27, v29, v42 :: v_dual_mul_f32 v42, v51, v47
	v_dual_mul_f32 v88, v32, v55 :: v_dual_mul_f32 v29, v30, v49
	v_mul_f32_e32 v87, v31, v49
	v_fma_f32 v45, v30, v46, -v45
	v_add_f32_e32 v16, v16, v82
	s_delay_alu instid0(VALU_DEP_4)
	v_dual_fmac_f32 v88, v33, v54 :: v_dual_fmac_f32 v29, v31, v48
	v_fma_f32 v31, v50, v46, -v42
	v_fma_f32 v42, v50, v48, -v44
	v_mul_f32_e32 v44, v32, v57
	v_mul_f32_e32 v47, v50, v49
	v_dual_mul_f32 v50, v53, v57 :: v_dual_fmac_f32 v43, v51, v46
	v_mul_f32_e32 v46, v53, v55
	v_mul_f32_e32 v49, v33, v55
	v_fma_f32 v30, v30, v48, -v87
	v_fmac_f32_e32 v44, v33, v56
	v_dual_fmac_f32 v47, v51, v48 :: v_dual_mul_f32 v48, v52, v55
	v_mul_f32_e32 v33, v52, v57
	v_fma_f32 v46, v52, v54, -v46
	v_fma_f32 v50, v52, v56, -v50
	v_mul_f32_e32 v52, v34, v61
	v_fma_f32 v49, v32, v54, -v49
	v_fma_f32 v32, v32, v56, -v90
	v_dual_mul_f32 v51, v35, v59 :: v_dual_fmac_f32 v48, v53, v54
	v_mul_f32_e32 v54, v70, v59
	v_dual_mul_f32 v55, v34, v59 :: v_dual_fmac_f32 v52, v35, v60
	v_fmac_f32_e32 v33, v53, v56
	v_mul_f32_e32 v53, v71, v59
	v_mul_f32_e32 v56, v71, v61
	v_mul_f32_e32 v57, v35, v61
	v_fmac_f32_e32 v54, v71, v58
	v_fmac_f32_e32 v55, v35, v58
	v_fma_f32 v35, v70, v58, -v53
	v_fma_f32 v53, v70, v60, -v56
	v_mul_f32_e32 v56, v36, v65
	v_mul_f32_e32 v59, v70, v61
	v_fma_f32 v51, v34, v58, -v51
	v_mul_f32_e32 v58, v72, v63
	v_mul_f32_e32 v87, v36, v63
	;; [unrolled: 1-line block ×4, first 2 shown]
	v_fma_f32 v34, v34, v60, -v57
	v_mul_f32_e32 v57, v73, v63
	v_fmac_f32_e32 v56, v37, v64
	v_dual_fmac_f32 v59, v71, v60 :: v_dual_mul_f32 v60, v73, v65
	v_mul_f32_e32 v63, v39, v67
	v_mul_f32_e32 v70, v39, v69
	v_fmac_f32_e32 v58, v73, v62
	v_fmac_f32_e32 v87, v37, v62
	v_mul_f32_e32 v37, v72, v65
	v_fma_f32 v61, v36, v62, -v61
	v_fma_f32 v36, v36, v64, -v90
	v_mul_f32_e32 v65, v38, v67
	v_fma_f32 v57, v72, v62, -v57
	v_fma_f32 v60, v72, v64, -v60
	v_dual_fmac_f32 v37, v73, v64 :: v_dual_mul_f32 v62, v38, v69
	v_mul_f32_e32 v64, v75, v67
	v_fma_f32 v63, v38, v66, -v63
	v_fma_f32 v38, v38, v68, -v70
	v_mul_f32_e32 v70, v76, v79
	v_mul_f32_e32 v67, v74, v67
	;; [unrolled: 1-line block ×3, first 2 shown]
	v_dual_mul_f32 v69, v74, v69 :: v_dual_add_f32 v8, v8, v23
	v_dual_mul_f32 v73, v40, v79 :: v_dual_add_f32 v10, v10, v22
	v_dual_fmac_f32 v65, v39, v66 :: v_dual_add_f32 v16, v16, v84
	v_fmac_f32_e32 v62, v39, v68
	v_fma_f32 v39, v74, v66, -v64
	v_fmac_f32_e32 v70, v77, v78
	v_dual_fmac_f32 v67, v75, v66 :: v_dual_add_f32 v10, v10, v24
	v_mul_f32_e32 v66, v40, v81
	v_mul_f32_e32 v72, v41, v79
	v_dual_mul_f32 v90, v41, v81 :: v_dual_fmac_f32 v69, v75, v68
	v_add_f32_e32 v0, v0, v18
	v_fmac_f32_e32 v73, v41, v78
	v_dual_fmac_f32 v66, v41, v80 :: v_dual_mul_f32 v41, v76, v81
	v_add_f32_e32 v10, v10, v30
	v_fma_f32 v64, v74, v68, -v71
	v_dual_mul_f32 v71, v77, v81 :: v_dual_add_f32 v8, v8, v26
	s_delay_alu instid0(VALU_DEP_4)
	v_dual_fmac_f32 v41, v77, v80 :: v_dual_add_f32 v16, v16, v45
	v_add_f32_e32 v11, v11, v85
	v_add_f32_e32 v9, v9, v19
	v_dual_add_f32 v1, v1, v21 :: v_dual_add_f32 v10, v10, v32
	v_dual_add_f32 v0, v0, v28 :: v_dual_add_f32 v17, v17, v83
	v_add_f32_e32 v8, v8, v31
	s_delay_alu instid0(VALU_DEP_4) | instskip(NEXT) | instid1(VALU_DEP_4)
	v_dual_add_f32 v16, v16, v49 :: v_dual_add_f32 v9, v9, v27
	v_dual_add_f32 v10, v10, v34 :: v_dual_add_f32 v1, v1, v25
	s_delay_alu instid0(VALU_DEP_4) | instskip(NEXT) | instid1(VALU_DEP_3)
	v_add_f32_e32 v0, v0, v42
	v_dual_add_f32 v16, v16, v51 :: v_dual_add_f32 v17, v17, v89
	v_dual_add_f32 v8, v8, v46 :: v_dual_add_f32 v11, v11, v20
	s_delay_alu instid0(VALU_DEP_3) | instskip(NEXT) | instid1(VALU_DEP_2)
	v_dual_add_f32 v0, v0, v50 :: v_dual_add_f32 v9, v9, v43
	v_dual_add_f32 v17, v17, v86 :: v_dual_add_f32 v8, v8, v35
	s_delay_alu instid0(VALU_DEP_3) | instskip(SKIP_1) | instid1(VALU_DEP_3)
	v_dual_add_f32 v11, v11, v29 :: v_dual_add_f32 v10, v10, v36
	v_dual_add_f32 v1, v1, v47 :: v_dual_add_f32 v16, v16, v61
	;; [unrolled: 1-line block ×3, first 2 shown]
	s_delay_alu instid0(VALU_DEP_3) | instskip(NEXT) | instid1(VALU_DEP_3)
	v_dual_add_f32 v11, v11, v44 :: v_dual_add_f32 v0, v0, v53
	v_dual_add_f32 v16, v16, v63 :: v_dual_add_f32 v9, v9, v48
	s_delay_alu instid0(VALU_DEP_4) | instskip(NEXT) | instid1(VALU_DEP_3)
	v_dual_add_f32 v10, v10, v38 :: v_dual_add_f32 v1, v1, v33
	v_add_f32_e32 v0, v0, v60
	v_mul_f32_e32 v68, v77, v79
	v_fma_f32 v72, v40, v78, -v72
	v_fma_f32 v40, v40, v80, -v90
	s_delay_alu instid0(VALU_DEP_4) | instskip(SKIP_1) | instid1(VALU_DEP_4)
	v_dual_add_f32 v17, v17, v55 :: v_dual_add_f32 v0, v0, v64
	v_dual_add_f32 v11, v11, v52 :: v_dual_add_f32 v8, v8, v39
	;; [unrolled: 1-line block ×3, first 2 shown]
	s_delay_alu instid0(VALU_DEP_4)
	v_dual_add_f32 v1, v1, v59 :: v_dual_add_f32 v10, v10, v40
	v_fma_f32 v68, v76, v78, -v68
	v_fma_f32 v71, v76, v80, -v71
	v_add_f32_e32 v17, v17, v87
	v_add_f32_e32 v11, v11, v56
	;; [unrolled: 1-line block ×3, first 2 shown]
	s_delay_alu instid0(VALU_DEP_4) | instskip(NEXT) | instid1(VALU_DEP_4)
	v_dual_add_f32 v1, v1, v37 :: v_dual_add_f32 v0, v0, v71
	v_dual_add_f32 v8, v8, v68 :: v_dual_add_f32 v17, v17, v65
	s_delay_alu instid0(VALU_DEP_4) | instskip(NEXT) | instid1(VALU_DEP_4)
	v_add_f32_e32 v11, v11, v62
	v_add_f32_e32 v9, v9, v67
	s_delay_alu instid0(VALU_DEP_4) | instskip(NEXT) | instid1(VALU_DEP_4)
	v_add_f32_e32 v1, v1, v69
	v_add_f32_e32 v17, v17, v73
	;; [unrolled: 3-line block ×3, first 2 shown]
	s_delay_alu instid0(VALU_DEP_4)
	v_add_f32_e32 v1, v1, v41
	s_cbranch_vccz .LBB1724_2
.LBB1724_3:
	v_add_nc_u32_e32 v7, s17, v7
	s_load_b32 s4, s[0:1], 0x0
	s_delay_alu instid0(VALU_DEP_1) | instskip(SKIP_2) | instid1(VALU_DEP_3)
	v_ashrrev_i32_e32 v2, 31, v7
	v_mul_lo_u32 v5, v7, s19
	v_mad_u64_u32 v[3:4], null, v7, s18, 0
	v_mul_lo_u32 v2, v2, s18
	s_delay_alu instid0(VALU_DEP_1) | instskip(SKIP_3) | instid1(VALU_DEP_3)
	v_add3_u32 v4, v4, v5, v2
	v_add_nc_u32_e32 v2, s16, v6
	s_waitcnt lgkmcnt(0)
	v_cmp_gt_i32_e32 vcc_lo, s4, v7
	v_lshlrev_b64 v[3:4], 3, v[3:4]
	s_delay_alu instid0(VALU_DEP_3) | instskip(NEXT) | instid1(VALU_DEP_1)
	v_cmp_le_i32_e64 s0, v2, v7
	s_and_b32 s0, vcc_lo, s0
	s_delay_alu instid0(VALU_DEP_2) | instskip(NEXT) | instid1(VALU_DEP_1)
	v_add_co_u32 v6, s1, s2, v3
	v_add_co_ci_u32_e64 v12, s1, s3, v4, s1
	s_and_saveexec_b32 s1, s0
	s_cbranch_execz .LBB1724_6
; %bb.4:
	v_ashrrev_i32_e32 v3, 31, v2
	v_mul_f32_e32 v14, s6, v17
	v_mul_f32_e32 v5, s7, v17
	s_delay_alu instid0(VALU_DEP_3) | instskip(NEXT) | instid1(VALU_DEP_3)
	v_lshlrev_b64 v[3:4], 3, v[2:3]
	v_fmac_f32_e32 v14, s7, v16
	s_delay_alu instid0(VALU_DEP_3) | instskip(NEXT) | instid1(VALU_DEP_3)
	v_fma_f32 v13, v16, s6, -v5
	v_add_co_u32 v3, s0, v6, v3
	s_delay_alu instid0(VALU_DEP_1)
	v_add_co_ci_u32_e64 v4, s0, v12, v4, s0
	v_cmp_eq_u32_e64 s0, v7, v2
	global_store_b64 v[3:4], v[13:14], off
	s_and_b32 exec_lo, exec_lo, s0
	s_cbranch_execz .LBB1724_6
; %bb.5:
	v_mov_b32_e32 v5, 0
	global_store_b32 v[3:4], v5, off offset:4
.LBB1724_6:
	s_or_b32 exec_lo, exec_lo, s1
	v_add_nc_u32_e32 v4, 16, v2
	s_delay_alu instid0(VALU_DEP_1) | instskip(NEXT) | instid1(VALU_DEP_1)
	v_cmp_le_i32_e64 s0, v4, v7
	s_and_b32 s1, vcc_lo, s0
	s_delay_alu instid0(SALU_CYCLE_1)
	s_and_saveexec_b32 s0, s1
	s_cbranch_execz .LBB1724_9
; %bb.7:
	v_ashrrev_i32_e32 v5, 31, v4
	v_mul_f32_e32 v14, s6, v11
	v_mul_f32_e32 v3, s7, v11
	s_delay_alu instid0(VALU_DEP_3) | instskip(NEXT) | instid1(VALU_DEP_3)
	v_lshlrev_b64 v[15:16], 3, v[4:5]
	v_fmac_f32_e32 v14, s7, v10
	s_delay_alu instid0(VALU_DEP_3) | instskip(NEXT) | instid1(VALU_DEP_3)
	v_fma_f32 v13, v10, s6, -v3
	v_add_co_u32 v5, vcc_lo, v6, v15
	s_delay_alu instid0(VALU_DEP_4)
	v_add_co_ci_u32_e32 v6, vcc_lo, v12, v16, vcc_lo
	v_cmp_eq_u32_e32 vcc_lo, v7, v4
	global_store_b64 v[5:6], v[13:14], off
	s_and_b32 exec_lo, exec_lo, vcc_lo
	s_cbranch_execz .LBB1724_9
; %bb.8:
	v_mov_b32_e32 v3, 0
	global_store_b32 v[5:6], v3, off offset:4
.LBB1724_9:
	s_or_b32 exec_lo, exec_lo, s0
	v_add_nc_u32_e32 v12, 16, v7
	s_delay_alu instid0(VALU_DEP_1) | instskip(SKIP_3) | instid1(VALU_DEP_4)
	v_ashrrev_i32_e32 v3, 31, v12
	v_mul_lo_u32 v10, v12, s19
	v_mad_u64_u32 v[5:6], null, v12, s18, 0
	v_cmp_gt_i32_e32 vcc_lo, s4, v12
	v_mul_lo_u32 v3, v3, s18
	v_cmp_le_i32_e64 s0, v2, v12
	s_delay_alu instid0(VALU_DEP_1) | instskip(NEXT) | instid1(VALU_DEP_2)
	s_and_b32 s0, vcc_lo, s0
	v_add3_u32 v6, v6, v10, v3
	s_delay_alu instid0(VALU_DEP_1) | instskip(NEXT) | instid1(VALU_DEP_1)
	v_lshlrev_b64 v[5:6], 3, v[5:6]
	v_add_co_u32 v10, s1, s2, v5
	s_delay_alu instid0(VALU_DEP_1)
	v_add_co_ci_u32_e64 v11, s1, s3, v6, s1
	s_and_saveexec_b32 s1, s0
	s_cbranch_execz .LBB1724_12
; %bb.10:
	v_ashrrev_i32_e32 v3, 31, v2
	v_mul_f32_e32 v14, s6, v9
	v_mul_f32_e32 v13, s7, v9
	s_delay_alu instid0(VALU_DEP_3) | instskip(NEXT) | instid1(VALU_DEP_3)
	v_lshlrev_b64 v[5:6], 3, v[2:3]
	v_fmac_f32_e32 v14, s7, v8
	s_delay_alu instid0(VALU_DEP_3) | instskip(NEXT) | instid1(VALU_DEP_3)
	v_fma_f32 v13, v8, s6, -v13
	v_add_co_u32 v5, s0, v10, v5
	s_delay_alu instid0(VALU_DEP_1)
	v_add_co_ci_u32_e64 v6, s0, v11, v6, s0
	v_cmp_eq_u32_e64 s0, v12, v2
	global_store_b64 v[5:6], v[13:14], off
	s_and_b32 exec_lo, exec_lo, s0
	s_cbranch_execz .LBB1724_12
; %bb.11:
	v_mov_b32_e32 v3, 0
	global_store_b32 v[5:6], v3, off offset:4
.LBB1724_12:
	s_or_b32 exec_lo, exec_lo, s1
	v_cmp_le_i32_e64 s0, v4, v12
	s_delay_alu instid0(VALU_DEP_1) | instskip(NEXT) | instid1(SALU_CYCLE_1)
	s_and_b32 s0, vcc_lo, s0
	s_and_saveexec_b32 s1, s0
	s_cbranch_execz .LBB1724_15
; %bb.13:
	v_ashrrev_i32_e32 v5, 31, v4
	v_mul_f32_e32 v8, s7, v1
	v_mul_f32_e32 v6, s6, v1
	s_delay_alu instid0(VALU_DEP_3) | instskip(NEXT) | instid1(VALU_DEP_3)
	v_lshlrev_b64 v[3:4], 3, v[4:5]
	v_fma_f32 v5, v0, s6, -v8
	s_delay_alu instid0(VALU_DEP_3) | instskip(NEXT) | instid1(VALU_DEP_3)
	v_fmac_f32_e32 v6, s7, v0
	v_add_co_u32 v0, vcc_lo, v10, v3
	s_delay_alu instid0(VALU_DEP_4)
	v_add_co_ci_u32_e32 v1, vcc_lo, v11, v4, vcc_lo
	v_cmp_eq_u32_e32 vcc_lo, v7, v2
	global_store_b64 v[0:1], v[5:6], off
	s_and_b32 exec_lo, exec_lo, vcc_lo
	s_cbranch_execz .LBB1724_15
; %bb.14:
	v_mov_b32_e32 v2, 0
	global_store_b32 v[0:1], v2, off offset:4
.LBB1724_15:
	s_nop 0
	s_sendmsg sendmsg(MSG_DEALLOC_VGPRS)
	s_endpgm
	.section	.rodata,"a",@progbits
	.p2align	6, 0x0
	.amdhsa_kernel _ZL37rocblas_syrkx_herkx_restricted_kernelIl19rocblas_complex_numIfELi16ELi32ELi8ELb1ELb1ELc67ELc85EKPKS1_KPS1_EviT_T0_PT8_S7_lSA_S7_lS8_PT9_S7_li
		.amdhsa_group_segment_fixed_size 4096
		.amdhsa_private_segment_fixed_size 0
		.amdhsa_kernarg_size 108
		.amdhsa_user_sgpr_count 13
		.amdhsa_user_sgpr_dispatch_ptr 0
		.amdhsa_user_sgpr_queue_ptr 0
		.amdhsa_user_sgpr_kernarg_segment_ptr 1
		.amdhsa_user_sgpr_dispatch_id 0
		.amdhsa_user_sgpr_private_segment_size 0
		.amdhsa_wavefront_size32 1
		.amdhsa_uses_dynamic_stack 0
		.amdhsa_enable_private_segment 0
		.amdhsa_system_sgpr_workgroup_id_x 1
		.amdhsa_system_sgpr_workgroup_id_y 1
		.amdhsa_system_sgpr_workgroup_id_z 1
		.amdhsa_system_sgpr_workgroup_info 0
		.amdhsa_system_vgpr_workitem_id 1
		.amdhsa_next_free_vgpr 91
		.amdhsa_next_free_sgpr 22
		.amdhsa_reserve_vcc 1
		.amdhsa_float_round_mode_32 0
		.amdhsa_float_round_mode_16_64 0
		.amdhsa_float_denorm_mode_32 3
		.amdhsa_float_denorm_mode_16_64 3
		.amdhsa_dx10_clamp 1
		.amdhsa_ieee_mode 1
		.amdhsa_fp16_overflow 0
		.amdhsa_workgroup_processor_mode 1
		.amdhsa_memory_ordered 1
		.amdhsa_forward_progress 0
		.amdhsa_shared_vgpr_count 0
		.amdhsa_exception_fp_ieee_invalid_op 0
		.amdhsa_exception_fp_denorm_src 0
		.amdhsa_exception_fp_ieee_div_zero 0
		.amdhsa_exception_fp_ieee_overflow 0
		.amdhsa_exception_fp_ieee_underflow 0
		.amdhsa_exception_fp_ieee_inexact 0
		.amdhsa_exception_int_div_zero 0
	.end_amdhsa_kernel
	.section	.text._ZL37rocblas_syrkx_herkx_restricted_kernelIl19rocblas_complex_numIfELi16ELi32ELi8ELb1ELb1ELc67ELc85EKPKS1_KPS1_EviT_T0_PT8_S7_lSA_S7_lS8_PT9_S7_li,"axG",@progbits,_ZL37rocblas_syrkx_herkx_restricted_kernelIl19rocblas_complex_numIfELi16ELi32ELi8ELb1ELb1ELc67ELc85EKPKS1_KPS1_EviT_T0_PT8_S7_lSA_S7_lS8_PT9_S7_li,comdat
.Lfunc_end1724:
	.size	_ZL37rocblas_syrkx_herkx_restricted_kernelIl19rocblas_complex_numIfELi16ELi32ELi8ELb1ELb1ELc67ELc85EKPKS1_KPS1_EviT_T0_PT8_S7_lSA_S7_lS8_PT9_S7_li, .Lfunc_end1724-_ZL37rocblas_syrkx_herkx_restricted_kernelIl19rocblas_complex_numIfELi16ELi32ELi8ELb1ELb1ELc67ELc85EKPKS1_KPS1_EviT_T0_PT8_S7_lSA_S7_lS8_PT9_S7_li
                                        ; -- End function
	.section	.AMDGPU.csdata,"",@progbits
; Kernel info:
; codeLenInByte = 2344
; NumSgprs: 24
; NumVgprs: 91
; ScratchSize: 0
; MemoryBound: 0
; FloatMode: 240
; IeeeMode: 1
; LDSByteSize: 4096 bytes/workgroup (compile time only)
; SGPRBlocks: 2
; VGPRBlocks: 11
; NumSGPRsForWavesPerEU: 24
; NumVGPRsForWavesPerEU: 91
; Occupancy: 16
; WaveLimiterHint : 1
; COMPUTE_PGM_RSRC2:SCRATCH_EN: 0
; COMPUTE_PGM_RSRC2:USER_SGPR: 13
; COMPUTE_PGM_RSRC2:TRAP_HANDLER: 0
; COMPUTE_PGM_RSRC2:TGID_X_EN: 1
; COMPUTE_PGM_RSRC2:TGID_Y_EN: 1
; COMPUTE_PGM_RSRC2:TGID_Z_EN: 1
; COMPUTE_PGM_RSRC2:TIDIG_COMP_CNT: 1
	.section	.text._ZL37rocblas_syrkx_herkx_restricted_kernelIl19rocblas_complex_numIfELi16ELi32ELi8ELb1ELb1ELc78ELc85EKPKS1_KPS1_EviT_T0_PT8_S7_lSA_S7_lS8_PT9_S7_li,"axG",@progbits,_ZL37rocblas_syrkx_herkx_restricted_kernelIl19rocblas_complex_numIfELi16ELi32ELi8ELb1ELb1ELc78ELc85EKPKS1_KPS1_EviT_T0_PT8_S7_lSA_S7_lS8_PT9_S7_li,comdat
	.globl	_ZL37rocblas_syrkx_herkx_restricted_kernelIl19rocblas_complex_numIfELi16ELi32ELi8ELb1ELb1ELc78ELc85EKPKS1_KPS1_EviT_T0_PT8_S7_lSA_S7_lS8_PT9_S7_li ; -- Begin function _ZL37rocblas_syrkx_herkx_restricted_kernelIl19rocblas_complex_numIfELi16ELi32ELi8ELb1ELb1ELc78ELc85EKPKS1_KPS1_EviT_T0_PT8_S7_lSA_S7_lS8_PT9_S7_li
	.p2align	8
	.type	_ZL37rocblas_syrkx_herkx_restricted_kernelIl19rocblas_complex_numIfELi16ELi32ELi8ELb1ELb1ELc78ELc85EKPKS1_KPS1_EviT_T0_PT8_S7_lSA_S7_lS8_PT9_S7_li,@function
_ZL37rocblas_syrkx_herkx_restricted_kernelIl19rocblas_complex_numIfELi16ELi32ELi8ELb1ELb1ELc78ELc85EKPKS1_KPS1_EviT_T0_PT8_S7_lSA_S7_lS8_PT9_S7_li: ; @_ZL37rocblas_syrkx_herkx_restricted_kernelIl19rocblas_complex_numIfELi16ELi32ELi8ELb1ELb1ELc78ELc85EKPKS1_KPS1_EviT_T0_PT8_S7_lSA_S7_lS8_PT9_S7_li
; %bb.0:
	s_clause 0x1
	s_load_b128 s[16:19], s[0:1], 0x50
	s_load_b256 s[4:11], s[0:1], 0x8
	s_mov_b32 s2, s15
	s_mov_b32 s3, 0
	v_dual_mov_b32 v17, 0 :: v_dual_and_b32 v4, 0x3ff, v0
	s_lshl_b64 s[20:21], s[2:3], 3
	v_bfe_u32 v7, v0, 10, 10
	v_dual_mov_b32 v14, 0 :: v_dual_mov_b32 v9, 0
	v_dual_mov_b32 v12, 0 :: v_dual_mov_b32 v5, 0
	v_mov_b32_e32 v10, 0
	v_mov_b32_e32 v8, 0
	;; [unrolled: 1-line block ×3, first 2 shown]
	s_waitcnt lgkmcnt(0)
	s_add_u32 s2, s16, s20
	s_addc_u32 s3, s17, s21
	v_cmp_lt_i64_e64 s12, s[4:5], 1
	s_load_b64 s[2:3], s[2:3], 0x0
	s_lshl_b32 s16, s13, 5
	s_lshl_b32 s17, s14, 5
	s_delay_alu instid0(VALU_DEP_1)
	s_and_b32 vcc_lo, exec_lo, s12
	s_cbranch_vccnz .LBB1725_3
; %bb.1:
	v_lshl_add_u32 v1, v7, 4, v4
	s_load_b128 s[12:15], s[0:1], 0x30
	s_add_u32 s8, s8, s20
	s_addc_u32 s9, s9, s21
	v_dual_mov_b32 v6, 0 :: v_dual_lshlrev_b32 v11, 3, v4
	v_dual_mov_b32 v5, 0 :: v_dual_and_b32 v10, 31, v1
	v_lshrrev_b32_e32 v12, 3, v1
	v_lshrrev_b32_e32 v16, 5, v1
	s_load_b64 s[8:9], s[8:9], 0x0
	s_delay_alu instid0(VALU_DEP_3) | instskip(SKIP_2) | instid1(VALU_DEP_3)
	v_add_nc_u32_e32 v0, s16, v10
	v_lshl_add_u32 v13, v7, 6, 0x800
	v_add_nc_u32_e32 v2, s17, v12
	v_ashrrev_i32_e32 v1, 31, v0
	s_delay_alu instid0(VALU_DEP_2) | instskip(NEXT) | instid1(VALU_DEP_2)
	v_ashrrev_i32_e32 v3, 31, v2
	v_mad_u64_u32 v[14:15], null, v16, s10, v[0:1]
	v_and_b32_e32 v17, 7, v4
	s_waitcnt lgkmcnt(0)
	s_add_u32 s12, s12, s20
	s_addc_u32 s13, s13, s21
	s_load_b64 s[12:13], s[12:13], 0x0
	v_mad_u64_u32 v[0:1], null, v17, s14, v[2:3]
	s_delay_alu instid0(VALU_DEP_3) | instskip(NEXT) | instid1(VALU_DEP_1)
	v_mov_b32_e32 v2, v15
	v_mad_u64_u32 v[8:9], null, v16, s11, v[2:3]
	s_delay_alu instid0(VALU_DEP_3) | instskip(SKIP_4) | instid1(VALU_DEP_4)
	v_mad_u64_u32 v[2:3], null, v17, s15, v[1:2]
	v_lshlrev_b32_e32 v1, 3, v17
	v_dual_mov_b32 v10, 0 :: v_dual_lshlrev_b32 v17, 3, v10
	v_mov_b32_e32 v9, 0
	v_dual_mov_b32 v15, v8 :: v_dual_mov_b32 v8, 0
	v_lshl_or_b32 v12, v12, 6, v1
	v_mov_b32_e32 v1, v2
	s_delay_alu instid0(VALU_DEP_3) | instskip(SKIP_1) | instid1(VALU_DEP_4)
	v_lshlrev_b64 v[2:3], 3, v[14:15]
	v_lshl_or_b32 v15, v16, 8, v17
	v_add_nc_u32_e32 v16, 0x800, v12
	s_delay_alu instid0(VALU_DEP_4) | instskip(SKIP_4) | instid1(VALU_DEP_4)
	v_lshlrev_b64 v[0:1], 3, v[0:1]
	v_mov_b32_e32 v17, 0
	v_add_co_u32 v2, vcc_lo, v2, s8
	v_add_co_ci_u32_e32 v3, vcc_lo, s9, v3, vcc_lo
	s_waitcnt lgkmcnt(0)
	v_add_co_u32 v12, vcc_lo, v0, s12
	v_add_co_ci_u32_e32 v14, vcc_lo, s13, v1, vcc_lo
	v_add_co_u32 v0, vcc_lo, v2, 4
	v_add_co_ci_u32_e32 v1, vcc_lo, 0, v3, vcc_lo
	s_delay_alu instid0(VALU_DEP_4) | instskip(NEXT) | instid1(VALU_DEP_4)
	v_add_co_u32 v2, vcc_lo, v12, 4
	v_add_co_ci_u32_e32 v3, vcc_lo, 0, v14, vcc_lo
	v_mov_b32_e32 v12, 0
	v_mov_b32_e32 v14, 0
	s_lshl_b64 s[8:9], s[10:11], 6
	s_lshl_b64 s[10:11], s[14:15], 6
	s_mov_b64 s[12:13], 0
.LBB1725_2:                             ; =>This Inner Loop Header: Depth=1
	global_load_b64 v[18:19], v[2:3], off offset:-4
	global_load_b64 v[20:21], v[0:1], off offset:-4
	s_add_u32 s12, s12, 8
	v_add_co_u32 v0, vcc_lo, v0, s8
	s_addc_u32 s13, s13, 0
	v_add_co_ci_u32_e32 v1, vcc_lo, s9, v1, vcc_lo
	v_cmp_ge_u64_e64 s14, s[12:13], s[4:5]
	v_add_co_u32 v2, vcc_lo, v2, s10
	v_add_co_ci_u32_e32 v3, vcc_lo, s11, v3, vcc_lo
	s_delay_alu instid0(VALU_DEP_3)
	s_and_b32 vcc_lo, exec_lo, s14
	s_waitcnt vmcnt(1)
	v_xor_b32_e32 v19, 0x80000000, v19
	s_waitcnt vmcnt(0)
	ds_store_b64 v15, v[20:21]
	ds_store_b64 v16, v[18:19]
	s_waitcnt lgkmcnt(0)
	s_barrier
	buffer_gl0_inv
	ds_load_2addr_b64 v[18:21], v11 offset1:16
	ds_load_b128 v[22:25], v13
	ds_load_b128 v[26:29], v13 offset:1024
	ds_load_b128 v[30:33], v13 offset:16
	;; [unrolled: 1-line block ×4, first 2 shown]
	ds_load_2addr_b64 v[42:45], v11 offset0:32 offset1:48
	ds_load_2addr_b64 v[46:49], v11 offset0:64 offset1:80
	ds_load_b128 v[50:53], v13 offset:1040
	ds_load_2addr_b64 v[54:57], v11 offset0:96 offset1:112
	ds_load_2addr_b64 v[58:61], v11 offset0:128 offset1:144
	;; [unrolled: 1-line block ×4, first 2 shown]
	ds_load_b128 v[70:73], v13 offset:1056
	ds_load_b128 v[74:77], v13 offset:1072
	ds_load_2addr_b64 v[78:81], v11 offset0:224 offset1:240
	s_waitcnt lgkmcnt(0)
	s_barrier
	buffer_gl0_inv
	v_dual_mul_f32 v82, v23, v19 :: v_dual_mul_f32 v85, v22, v21
	v_dual_mul_f32 v83, v22, v19 :: v_dual_mul_f32 v84, v23, v21
	v_mul_f32_e32 v86, v27, v19
	v_dual_mul_f32 v19, v26, v19 :: v_dual_mul_f32 v90, v25, v45
	v_dual_mul_f32 v87, v27, v21 :: v_dual_mul_f32 v88, v25, v43
	v_mul_f32_e32 v21, v26, v21
	v_mul_f32_e32 v89, v24, v43
	;; [unrolled: 1-line block ×3, first 2 shown]
	v_fma_f32 v82, v22, v18, -v82
	v_fmac_f32_e32 v83, v23, v18
	v_fma_f32 v22, v22, v20, -v84
	v_dual_fmac_f32 v85, v23, v20 :: v_dual_mul_f32 v84, v30, v47
	v_fma_f32 v23, v26, v18, -v86
	v_fmac_f32_e32 v19, v27, v18
	v_fma_f32 v18, v26, v20, -v87
	v_dual_mul_f32 v26, v28, v43 :: v_dual_fmac_f32 v21, v27, v20
	v_mul_f32_e32 v20, v29, v43
	v_mul_f32_e32 v27, v29, v45
	v_dual_mul_f32 v43, v28, v45 :: v_dual_fmac_f32 v84, v31, v46
	v_fma_f32 v45, v24, v42, -v88
	v_fma_f32 v24, v24, v44, -v90
	v_dual_fmac_f32 v91, v25, v44 :: v_dual_mul_f32 v90, v32, v57
	v_dual_mul_f32 v86, v31, v49 :: v_dual_fmac_f32 v89, v25, v42
	v_dual_mul_f32 v25, v31, v47 :: v_dual_mul_f32 v88, v33, v57
	v_fma_f32 v20, v28, v42, -v20
	v_fmac_f32_e32 v26, v29, v42
	v_fma_f32 v27, v28, v44, -v27
	v_dual_fmac_f32 v43, v29, v44 :: v_dual_mul_f32 v28, v51, v47
	v_dual_mul_f32 v29, v50, v47 :: v_dual_mul_f32 v42, v51, v49
	v_mul_f32_e32 v44, v50, v49
	v_mul_f32_e32 v87, v30, v49
	;; [unrolled: 1-line block ×3, first 2 shown]
	v_dual_mul_f32 v49, v32, v55 :: v_dual_fmac_f32 v90, v33, v56
	v_fma_f32 v25, v30, v46, -v25
	v_fma_f32 v30, v30, v48, -v86
	;; [unrolled: 1-line block ×3, first 2 shown]
	v_fmac_f32_e32 v44, v51, v48
	v_fmac_f32_e32 v87, v31, v48
	v_fma_f32 v31, v50, v48, -v42
	v_mul_f32_e32 v42, v53, v55
	v_mul_f32_e32 v48, v53, v57
	v_dual_mul_f32 v50, v52, v57 :: v_dual_fmac_f32 v29, v51, v46
	v_mul_f32_e32 v46, v52, v55
	v_fma_f32 v47, v32, v54, -v47
	v_fmac_f32_e32 v49, v33, v54
	v_fma_f32 v32, v32, v56, -v88
	s_delay_alu instid0(VALU_DEP_4)
	v_dual_mul_f32 v33, v35, v59 :: v_dual_fmac_f32 v46, v53, v54
	v_mul_f32_e32 v51, v34, v59
	v_mul_f32_e32 v55, v35, v61
	v_fma_f32 v42, v52, v54, -v42
	v_fma_f32 v48, v52, v56, -v48
	v_fmac_f32_e32 v50, v53, v56
	v_mul_f32_e32 v52, v71, v59
	v_dual_mul_f32 v53, v70, v59 :: v_dual_mul_f32 v86, v37, v65
	v_mul_f32_e32 v54, v71, v61
	v_dual_mul_f32 v56, v70, v61 :: v_dual_mul_f32 v59, v37, v63
	v_mul_f32_e32 v57, v34, v61
	v_mul_f32_e32 v61, v36, v63
	v_dual_mul_f32 v88, v36, v65 :: v_dual_fmac_f32 v51, v35, v58
	v_fma_f32 v33, v34, v58, -v33
	v_fmac_f32_e32 v53, v71, v58
	v_fmac_f32_e32 v56, v71, v60
	s_delay_alu instid0(VALU_DEP_4)
	v_fmac_f32_e32 v88, v37, v64
	v_fmac_f32_e32 v57, v35, v60
	v_fma_f32 v35, v70, v58, -v52
	v_fma_f32 v52, v70, v60, -v54
	v_mul_f32_e32 v54, v73, v63
	v_fma_f32 v34, v34, v60, -v55
	v_mul_f32_e32 v60, v72, v65
	v_dual_mul_f32 v55, v72, v63 :: v_dual_mul_f32 v70, v38, v69
	v_mul_f32_e32 v58, v73, v65
	v_fmac_f32_e32 v61, v37, v62
	s_delay_alu instid0(VALU_DEP_4)
	v_dual_mul_f32 v37, v39, v67 :: v_dual_fmac_f32 v60, v73, v64
	v_mul_f32_e32 v65, v39, v69
	v_fma_f32 v59, v36, v62, -v59
	v_fma_f32 v36, v36, v64, -v86
	v_dual_mul_f32 v63, v38, v67 :: v_dual_mul_f32 v86, v40, v81
	v_fma_f32 v54, v72, v62, -v54
	v_fmac_f32_e32 v55, v73, v62
	v_fma_f32 v58, v72, v64, -v58
	v_mul_f32_e32 v72, v40, v79
	v_mul_f32_e32 v62, v75, v67
	v_dual_mul_f32 v64, v74, v67 :: v_dual_mul_f32 v67, v75, v69
	v_dual_mul_f32 v73, v41, v81 :: v_dual_add_f32 v14, v14, v82
	v_fma_f32 v37, v38, v66, -v37
	v_fma_f32 v38, v38, v68, -v65
	v_dual_mul_f32 v65, v77, v79 :: v_dual_add_f32 v12, v12, v22
	v_dual_add_f32 v9, v9, v19 :: v_dual_add_f32 v6, v6, v18
	v_dual_mul_f32 v69, v74, v69 :: v_dual_fmac_f32 v70, v39, v68
	v_dual_mul_f32 v71, v41, v79 :: v_dual_fmac_f32 v64, v75, v66
	v_fmac_f32_e32 v63, v39, v66
	v_fma_f32 v39, v74, v66, -v62
	v_mul_f32_e32 v66, v76, v79
	v_fma_f32 v62, v74, v68, -v67
	v_dual_mul_f32 v67, v77, v81 :: v_dual_add_f32 v8, v8, v23
	v_dual_add_f32 v17, v17, v83 :: v_dual_add_f32 v10, v10, v85
	v_dual_add_f32 v5, v5, v21 :: v_dual_add_f32 v12, v12, v24
	;; [unrolled: 1-line block ×3, first 2 shown]
	s_delay_alu instid0(VALU_DEP_3) | instskip(NEXT) | instid1(VALU_DEP_3)
	v_dual_add_f32 v17, v17, v89 :: v_dual_add_f32 v10, v10, v91
	v_dual_add_f32 v8, v8, v20 :: v_dual_add_f32 v5, v5, v43
	s_delay_alu instid0(VALU_DEP_3) | instskip(NEXT) | instid1(VALU_DEP_3)
	v_dual_add_f32 v12, v12, v30 :: v_dual_add_f32 v9, v9, v29
	v_dual_add_f32 v6, v6, v27 :: v_dual_add_f32 v17, v17, v84
	s_delay_alu instid0(VALU_DEP_3) | instskip(NEXT) | instid1(VALU_DEP_3)
	v_dual_add_f32 v14, v14, v25 :: v_dual_add_f32 v5, v5, v44
	v_dual_add_f32 v8, v8, v28 :: v_dual_add_f32 v9, v9, v46
	s_delay_alu instid0(VALU_DEP_3) | instskip(NEXT) | instid1(VALU_DEP_3)
	v_dual_add_f32 v10, v10, v87 :: v_dual_add_f32 v17, v17, v49
	v_dual_add_f32 v6, v6, v31 :: v_dual_add_f32 v5, v5, v50
	s_delay_alu instid0(VALU_DEP_3) | instskip(NEXT) | instid1(VALU_DEP_3)
	v_dual_add_f32 v14, v14, v47 :: v_dual_add_f32 v9, v9, v53
	v_dual_add_f32 v12, v12, v32 :: v_dual_add_f32 v17, v17, v51
	s_delay_alu instid0(VALU_DEP_3) | instskip(SKIP_1) | instid1(VALU_DEP_4)
	v_dual_add_f32 v10, v10, v90 :: v_dual_add_f32 v5, v5, v56
	v_add_f32_e32 v8, v8, v42
	v_dual_add_f32 v6, v6, v48 :: v_dual_add_f32 v9, v9, v55
	v_dual_fmac_f32 v69, v75, v68 :: v_dual_fmac_f32 v72, v41, v78
	v_mul_f32_e32 v68, v76, v81
	v_fmac_f32_e32 v66, v77, v78
	v_dual_add_f32 v14, v14, v33 :: v_dual_add_f32 v5, v5, v60
	v_dual_add_f32 v10, v10, v57 :: v_dual_add_f32 v9, v9, v64
	;; [unrolled: 1-line block ×3, first 2 shown]
	v_add_f32_e32 v12, v12, v34
	s_delay_alu instid0(VALU_DEP_4) | instskip(SKIP_1) | instid1(VALU_DEP_4)
	v_dual_add_f32 v8, v8, v35 :: v_dual_add_f32 v5, v5, v69
	v_fmac_f32_e32 v68, v77, v80
	v_dual_add_f32 v10, v10, v88 :: v_dual_add_f32 v17, v17, v63
	v_add_f32_e32 v14, v14, v59
	v_add_f32_e32 v12, v12, v36
	s_delay_alu instid0(VALU_DEP_4)
	v_dual_add_f32 v8, v8, v54 :: v_dual_add_f32 v5, v5, v68
	v_add_f32_e32 v9, v9, v66
	v_add_f32_e32 v6, v6, v58
	v_fma_f32 v71, v40, v78, -v71
	v_fma_f32 v40, v40, v80, -v73
	v_fmac_f32_e32 v86, v41, v80
	v_fma_f32 v41, v76, v78, -v65
	v_fma_f32 v65, v76, v80, -v67
	v_add_f32_e32 v12, v12, v38
	v_add_f32_e32 v10, v10, v70
	;; [unrolled: 1-line block ×3, first 2 shown]
	v_dual_add_f32 v6, v6, v62 :: v_dual_add_f32 v17, v17, v72
	v_add_f32_e32 v14, v14, v37
	v_add_f32_e32 v12, v12, v40
	v_add_f32_e32 v10, v10, v86
	v_add_f32_e32 v8, v8, v41
	v_add_f32_e32 v6, v6, v65
	v_add_f32_e32 v14, v14, v71
	s_cbranch_vccz .LBB1725_2
.LBB1725_3:
	v_add_nc_u32_e32 v7, s17, v7
	s_load_b32 s4, s[0:1], 0x0
	s_delay_alu instid0(VALU_DEP_1) | instskip(SKIP_2) | instid1(VALU_DEP_3)
	v_ashrrev_i32_e32 v0, 31, v7
	v_mul_lo_u32 v3, v7, s19
	v_mad_u64_u32 v[1:2], null, v7, s18, 0
	v_mul_lo_u32 v0, v0, s18
	s_delay_alu instid0(VALU_DEP_1) | instskip(SKIP_3) | instid1(VALU_DEP_3)
	v_add3_u32 v2, v2, v3, v0
	v_add_nc_u32_e32 v0, s16, v4
	s_waitcnt lgkmcnt(0)
	v_cmp_gt_i32_e32 vcc_lo, s4, v7
	v_lshlrev_b64 v[1:2], 3, v[1:2]
	s_delay_alu instid0(VALU_DEP_3) | instskip(NEXT) | instid1(VALU_DEP_1)
	v_cmp_le_i32_e64 s0, v0, v7
	s_and_b32 s0, vcc_lo, s0
	s_delay_alu instid0(VALU_DEP_2) | instskip(NEXT) | instid1(VALU_DEP_1)
	v_add_co_u32 v4, s1, s2, v1
	v_add_co_ci_u32_e64 v11, s1, s3, v2, s1
	s_and_saveexec_b32 s1, s0
	s_cbranch_execz .LBB1725_6
; %bb.4:
	v_ashrrev_i32_e32 v1, 31, v0
	v_mul_f32_e32 v16, s6, v17
	v_mul_f32_e32 v3, s7, v17
	s_delay_alu instid0(VALU_DEP_3) | instskip(NEXT) | instid1(VALU_DEP_3)
	v_lshlrev_b64 v[1:2], 3, v[0:1]
	v_fmac_f32_e32 v16, s7, v14
	s_delay_alu instid0(VALU_DEP_3) | instskip(NEXT) | instid1(VALU_DEP_3)
	v_fma_f32 v15, v14, s6, -v3
	v_add_co_u32 v1, s0, v4, v1
	s_delay_alu instid0(VALU_DEP_1)
	v_add_co_ci_u32_e64 v2, s0, v11, v2, s0
	v_cmp_eq_u32_e64 s0, v7, v0
	global_store_b64 v[1:2], v[15:16], off
	s_and_b32 exec_lo, exec_lo, s0
	s_cbranch_execz .LBB1725_6
; %bb.5:
	v_mov_b32_e32 v3, 0
	global_store_b32 v[1:2], v3, off offset:4
.LBB1725_6:
	s_or_b32 exec_lo, exec_lo, s1
	v_add_nc_u32_e32 v2, 16, v0
	s_delay_alu instid0(VALU_DEP_1) | instskip(NEXT) | instid1(VALU_DEP_1)
	v_cmp_le_i32_e64 s0, v2, v7
	s_and_b32 s1, vcc_lo, s0
	s_delay_alu instid0(SALU_CYCLE_1)
	s_and_saveexec_b32 s0, s1
	s_cbranch_execz .LBB1725_9
; %bb.7:
	v_ashrrev_i32_e32 v3, 31, v2
	v_mul_f32_e32 v14, s6, v10
	v_mul_f32_e32 v1, s7, v10
	s_delay_alu instid0(VALU_DEP_3) | instskip(NEXT) | instid1(VALU_DEP_3)
	v_lshlrev_b64 v[15:16], 3, v[2:3]
	v_fmac_f32_e32 v14, s7, v12
	s_delay_alu instid0(VALU_DEP_3) | instskip(NEXT) | instid1(VALU_DEP_3)
	v_fma_f32 v13, v12, s6, -v1
	v_add_co_u32 v3, vcc_lo, v4, v15
	s_delay_alu instid0(VALU_DEP_4)
	v_add_co_ci_u32_e32 v4, vcc_lo, v11, v16, vcc_lo
	v_cmp_eq_u32_e32 vcc_lo, v7, v2
	global_store_b64 v[3:4], v[13:14], off
	s_and_b32 exec_lo, exec_lo, vcc_lo
	s_cbranch_execz .LBB1725_9
; %bb.8:
	v_mov_b32_e32 v1, 0
	global_store_b32 v[3:4], v1, off offset:4
.LBB1725_9:
	s_or_b32 exec_lo, exec_lo, s0
	v_add_nc_u32_e32 v12, 16, v7
	s_delay_alu instid0(VALU_DEP_1) | instskip(SKIP_3) | instid1(VALU_DEP_4)
	v_ashrrev_i32_e32 v1, 31, v12
	v_mul_lo_u32 v10, v12, s19
	v_mad_u64_u32 v[3:4], null, v12, s18, 0
	v_cmp_gt_i32_e32 vcc_lo, s4, v12
	v_mul_lo_u32 v1, v1, s18
	v_cmp_le_i32_e64 s0, v0, v12
	s_delay_alu instid0(VALU_DEP_1) | instskip(NEXT) | instid1(VALU_DEP_2)
	s_and_b32 s0, vcc_lo, s0
	v_add3_u32 v4, v4, v10, v1
	s_delay_alu instid0(VALU_DEP_1) | instskip(NEXT) | instid1(VALU_DEP_1)
	v_lshlrev_b64 v[3:4], 3, v[3:4]
	v_add_co_u32 v10, s1, s2, v3
	s_delay_alu instid0(VALU_DEP_1)
	v_add_co_ci_u32_e64 v11, s1, s3, v4, s1
	s_and_saveexec_b32 s1, s0
	s_cbranch_execz .LBB1725_12
; %bb.10:
	v_ashrrev_i32_e32 v1, 31, v0
	v_mul_f32_e32 v14, s6, v9
	v_mul_f32_e32 v13, s7, v9
	s_delay_alu instid0(VALU_DEP_3) | instskip(NEXT) | instid1(VALU_DEP_3)
	v_lshlrev_b64 v[3:4], 3, v[0:1]
	v_fmac_f32_e32 v14, s7, v8
	s_delay_alu instid0(VALU_DEP_3) | instskip(NEXT) | instid1(VALU_DEP_3)
	v_fma_f32 v13, v8, s6, -v13
	v_add_co_u32 v3, s0, v10, v3
	s_delay_alu instid0(VALU_DEP_1)
	v_add_co_ci_u32_e64 v4, s0, v11, v4, s0
	v_cmp_eq_u32_e64 s0, v12, v0
	global_store_b64 v[3:4], v[13:14], off
	s_and_b32 exec_lo, exec_lo, s0
	s_cbranch_execz .LBB1725_12
; %bb.11:
	v_mov_b32_e32 v1, 0
	global_store_b32 v[3:4], v1, off offset:4
.LBB1725_12:
	s_or_b32 exec_lo, exec_lo, s1
	v_cmp_le_i32_e64 s0, v2, v12
	s_delay_alu instid0(VALU_DEP_1) | instskip(NEXT) | instid1(SALU_CYCLE_1)
	s_and_b32 s0, vcc_lo, s0
	s_and_saveexec_b32 s1, s0
	s_cbranch_execz .LBB1725_15
; %bb.13:
	v_ashrrev_i32_e32 v3, 31, v2
	v_mul_f32_e32 v8, s7, v5
	v_mul_f32_e32 v4, s6, v5
	s_delay_alu instid0(VALU_DEP_3) | instskip(NEXT) | instid1(VALU_DEP_3)
	v_lshlrev_b64 v[1:2], 3, v[2:3]
	v_fma_f32 v3, v6, s6, -v8
	s_delay_alu instid0(VALU_DEP_3) | instskip(NEXT) | instid1(VALU_DEP_3)
	v_fmac_f32_e32 v4, s7, v6
	v_add_co_u32 v1, vcc_lo, v10, v1
	s_delay_alu instid0(VALU_DEP_4)
	v_add_co_ci_u32_e32 v2, vcc_lo, v11, v2, vcc_lo
	v_cmp_eq_u32_e32 vcc_lo, v7, v0
	global_store_b64 v[1:2], v[3:4], off
	s_and_b32 exec_lo, exec_lo, vcc_lo
	s_cbranch_execz .LBB1725_15
; %bb.14:
	v_mov_b32_e32 v0, 0
	global_store_b32 v[1:2], v0, off offset:4
.LBB1725_15:
	s_nop 0
	s_sendmsg sendmsg(MSG_DEALLOC_VGPRS)
	s_endpgm
	.section	.rodata,"a",@progbits
	.p2align	6, 0x0
	.amdhsa_kernel _ZL37rocblas_syrkx_herkx_restricted_kernelIl19rocblas_complex_numIfELi16ELi32ELi8ELb1ELb1ELc78ELc85EKPKS1_KPS1_EviT_T0_PT8_S7_lSA_S7_lS8_PT9_S7_li
		.amdhsa_group_segment_fixed_size 4096
		.amdhsa_private_segment_fixed_size 0
		.amdhsa_kernarg_size 108
		.amdhsa_user_sgpr_count 13
		.amdhsa_user_sgpr_dispatch_ptr 0
		.amdhsa_user_sgpr_queue_ptr 0
		.amdhsa_user_sgpr_kernarg_segment_ptr 1
		.amdhsa_user_sgpr_dispatch_id 0
		.amdhsa_user_sgpr_private_segment_size 0
		.amdhsa_wavefront_size32 1
		.amdhsa_uses_dynamic_stack 0
		.amdhsa_enable_private_segment 0
		.amdhsa_system_sgpr_workgroup_id_x 1
		.amdhsa_system_sgpr_workgroup_id_y 1
		.amdhsa_system_sgpr_workgroup_id_z 1
		.amdhsa_system_sgpr_workgroup_info 0
		.amdhsa_system_vgpr_workitem_id 1
		.amdhsa_next_free_vgpr 92
		.amdhsa_next_free_sgpr 22
		.amdhsa_reserve_vcc 1
		.amdhsa_float_round_mode_32 0
		.amdhsa_float_round_mode_16_64 0
		.amdhsa_float_denorm_mode_32 3
		.amdhsa_float_denorm_mode_16_64 3
		.amdhsa_dx10_clamp 1
		.amdhsa_ieee_mode 1
		.amdhsa_fp16_overflow 0
		.amdhsa_workgroup_processor_mode 1
		.amdhsa_memory_ordered 1
		.amdhsa_forward_progress 0
		.amdhsa_shared_vgpr_count 0
		.amdhsa_exception_fp_ieee_invalid_op 0
		.amdhsa_exception_fp_denorm_src 0
		.amdhsa_exception_fp_ieee_div_zero 0
		.amdhsa_exception_fp_ieee_overflow 0
		.amdhsa_exception_fp_ieee_underflow 0
		.amdhsa_exception_fp_ieee_inexact 0
		.amdhsa_exception_int_div_zero 0
	.end_amdhsa_kernel
	.section	.text._ZL37rocblas_syrkx_herkx_restricted_kernelIl19rocblas_complex_numIfELi16ELi32ELi8ELb1ELb1ELc78ELc85EKPKS1_KPS1_EviT_T0_PT8_S7_lSA_S7_lS8_PT9_S7_li,"axG",@progbits,_ZL37rocblas_syrkx_herkx_restricted_kernelIl19rocblas_complex_numIfELi16ELi32ELi8ELb1ELb1ELc78ELc85EKPKS1_KPS1_EviT_T0_PT8_S7_lSA_S7_lS8_PT9_S7_li,comdat
.Lfunc_end1725:
	.size	_ZL37rocblas_syrkx_herkx_restricted_kernelIl19rocblas_complex_numIfELi16ELi32ELi8ELb1ELb1ELc78ELc85EKPKS1_KPS1_EviT_T0_PT8_S7_lSA_S7_lS8_PT9_S7_li, .Lfunc_end1725-_ZL37rocblas_syrkx_herkx_restricted_kernelIl19rocblas_complex_numIfELi16ELi32ELi8ELb1ELb1ELc78ELc85EKPKS1_KPS1_EviT_T0_PT8_S7_lSA_S7_lS8_PT9_S7_li
                                        ; -- End function
	.section	.AMDGPU.csdata,"",@progbits
; Kernel info:
; codeLenInByte = 2316
; NumSgprs: 24
; NumVgprs: 92
; ScratchSize: 0
; MemoryBound: 0
; FloatMode: 240
; IeeeMode: 1
; LDSByteSize: 4096 bytes/workgroup (compile time only)
; SGPRBlocks: 2
; VGPRBlocks: 11
; NumSGPRsForWavesPerEU: 24
; NumVGPRsForWavesPerEU: 92
; Occupancy: 16
; WaveLimiterHint : 1
; COMPUTE_PGM_RSRC2:SCRATCH_EN: 0
; COMPUTE_PGM_RSRC2:USER_SGPR: 13
; COMPUTE_PGM_RSRC2:TRAP_HANDLER: 0
; COMPUTE_PGM_RSRC2:TGID_X_EN: 1
; COMPUTE_PGM_RSRC2:TGID_Y_EN: 1
; COMPUTE_PGM_RSRC2:TGID_Z_EN: 1
; COMPUTE_PGM_RSRC2:TIDIG_COMP_CNT: 1
	.section	.text._ZL37rocblas_syrkx_herkx_restricted_kernelIl19rocblas_complex_numIfELi16ELi32ELi8ELb0ELb1ELc84ELc76EKPKS1_KPS1_EviT_T0_PT8_S7_lSA_S7_lS8_PT9_S7_li,"axG",@progbits,_ZL37rocblas_syrkx_herkx_restricted_kernelIl19rocblas_complex_numIfELi16ELi32ELi8ELb0ELb1ELc84ELc76EKPKS1_KPS1_EviT_T0_PT8_S7_lSA_S7_lS8_PT9_S7_li,comdat
	.globl	_ZL37rocblas_syrkx_herkx_restricted_kernelIl19rocblas_complex_numIfELi16ELi32ELi8ELb0ELb1ELc84ELc76EKPKS1_KPS1_EviT_T0_PT8_S7_lSA_S7_lS8_PT9_S7_li ; -- Begin function _ZL37rocblas_syrkx_herkx_restricted_kernelIl19rocblas_complex_numIfELi16ELi32ELi8ELb0ELb1ELc84ELc76EKPKS1_KPS1_EviT_T0_PT8_S7_lSA_S7_lS8_PT9_S7_li
	.p2align	8
	.type	_ZL37rocblas_syrkx_herkx_restricted_kernelIl19rocblas_complex_numIfELi16ELi32ELi8ELb0ELb1ELc84ELc76EKPKS1_KPS1_EviT_T0_PT8_S7_lSA_S7_lS8_PT9_S7_li,@function
_ZL37rocblas_syrkx_herkx_restricted_kernelIl19rocblas_complex_numIfELi16ELi32ELi8ELb0ELb1ELc84ELc76EKPKS1_KPS1_EviT_T0_PT8_S7_lSA_S7_lS8_PT9_S7_li: ; @_ZL37rocblas_syrkx_herkx_restricted_kernelIl19rocblas_complex_numIfELi16ELi32ELi8ELb0ELb1ELc84ELc76EKPKS1_KPS1_EviT_T0_PT8_S7_lSA_S7_lS8_PT9_S7_li
; %bb.0:
	s_clause 0x1
	s_load_b128 s[16:19], s[0:1], 0x48
	s_load_b256 s[4:11], s[0:1], 0x8
	s_mov_b32 s2, s15
	s_mov_b32 s3, 0
	v_dual_mov_b32 v17, 0 :: v_dual_and_b32 v6, 0x3ff, v0
	s_lshl_b64 s[20:21], s[2:3], 3
	v_bfe_u32 v8, v0, 10, 10
	v_dual_mov_b32 v16, 0 :: v_dual_mov_b32 v11, 0
	v_dual_mov_b32 v10, 0 :: v_dual_mov_b32 v7, 0
	;; [unrolled: 1-line block ×3, first 2 shown]
	v_mov_b32_e32 v1, 0
	s_waitcnt lgkmcnt(0)
	s_add_u32 s2, s18, s20
	s_addc_u32 s3, s19, s21
	s_load_b64 s[18:19], s[0:1], 0x58
	s_load_b64 s[2:3], s[2:3], 0x0
	v_cmp_lt_i64_e64 s12, s[4:5], 1
	s_lshl_b32 s22, s13, 5
	s_lshl_b32 s23, s14, 5
	s_delay_alu instid0(VALU_DEP_1)
	s_and_b32 vcc_lo, exec_lo, s12
	s_cbranch_vccnz .LBB1726_3
; %bb.1:
	s_load_b128 s[12:15], s[0:1], 0x30
	v_lshl_add_u32 v2, v8, 4, v6
	v_dual_mov_b32 v1, 0 :: v_dual_and_b32 v0, 7, v6
	s_add_u32 s8, s8, s20
	s_addc_u32 s9, s9, s21
	s_delay_alu instid0(VALU_DEP_2)
	v_and_b32_e32 v11, 31, v2
	v_lshrrev_b32_e32 v7, 3, v2
	v_lshrrev_b32_e32 v2, 5, v2
	s_load_b64 s[8:9], s[8:9], 0x0
	v_mov_b32_e32 v3, v1
	v_add_nc_u32_e32 v9, s22, v11
	v_add_nc_u32_e32 v12, s23, v7
	v_dual_mov_b32 v16, v1 :: v_dual_lshlrev_b32 v11, 3, v11
	v_mov_b32_e32 v17, v1
	s_delay_alu instid0(VALU_DEP_4) | instskip(NEXT) | instid1(VALU_DEP_4)
	v_ashrrev_i32_e32 v13, 31, v9
	v_ashrrev_i32_e32 v10, 31, v12
	v_mad_u64_u32 v[4:5], null, s10, v9, v[2:3]
	s_waitcnt lgkmcnt(0)
	s_add_u32 s12, s12, s20
	v_mul_lo_u32 v3, s11, v9
	v_mul_lo_u32 v13, s10, v13
	s_addc_u32 s13, s13, s21
	v_mul_lo_u32 v14, v10, s14
	s_load_b64 s[10:11], s[12:13], 0x0
	v_mul_lo_u32 v15, v12, s15
	v_mad_u64_u32 v[9:10], null, v12, s14, v[0:1]
	v_lshlrev_b32_e32 v0, 3, v0
	v_add3_u32 v5, v3, v5, v13
	v_lshlrev_b32_e32 v12, 3, v6
	v_lshl_add_u32 v13, v8, 6, 0x800
	s_delay_alu instid0(VALU_DEP_4)
	v_lshl_or_b32 v0, v7, 6, v0
	v_mov_b32_e32 v7, v1
	v_add3_u32 v10, v14, v10, v15
	v_lshlrev_b64 v[3:4], 3, v[4:5]
	v_lshl_or_b32 v14, v2, 8, v11
	v_add_nc_u32_e32 v15, 0x800, v0
	v_mov_b32_e32 v11, v1
	v_lshlrev_b64 v[9:10], 3, v[9:10]
	v_add_co_u32 v0, vcc_lo, v3, s8
	v_add_co_ci_u32_e32 v3, vcc_lo, s9, v4, vcc_lo
	s_waitcnt lgkmcnt(0)
	s_delay_alu instid0(VALU_DEP_3) | instskip(NEXT) | instid1(VALU_DEP_4)
	v_add_co_u32 v4, vcc_lo, v9, s10
	v_add_co_ci_u32_e32 v5, vcc_lo, s11, v10, vcc_lo
	v_add_co_u32 v2, vcc_lo, v0, 4
	v_add_co_ci_u32_e32 v3, vcc_lo, 0, v3, vcc_lo
	s_delay_alu instid0(VALU_DEP_4) | instskip(NEXT) | instid1(VALU_DEP_4)
	v_add_co_u32 v4, vcc_lo, v4, 4
	v_add_co_ci_u32_e32 v5, vcc_lo, 0, v5, vcc_lo
	v_mov_b32_e32 v0, v1
	v_mov_b32_e32 v9, v1
	;; [unrolled: 1-line block ×3, first 2 shown]
	s_mov_b64 s[8:9], 0
.LBB1726_2:                             ; =>This Inner Loop Header: Depth=1
	global_load_b64 v[18:19], v[2:3], off offset:-4
	global_load_b64 v[20:21], v[4:5], off offset:-4
	s_add_u32 s8, s8, 8
	v_add_co_u32 v2, vcc_lo, v2, 64
	s_addc_u32 s9, s9, 0
	v_add_co_ci_u32_e32 v3, vcc_lo, 0, v3, vcc_lo
	v_cmp_ge_u64_e64 s10, s[8:9], s[4:5]
	v_add_co_u32 v4, vcc_lo, v4, 64
	v_add_co_ci_u32_e32 v5, vcc_lo, 0, v5, vcc_lo
	s_waitcnt vmcnt(1)
	ds_store_b64 v14, v[18:19]
	s_waitcnt vmcnt(0)
	ds_store_b64 v15, v[20:21]
	s_waitcnt lgkmcnt(0)
	s_barrier
	buffer_gl0_inv
	ds_load_2addr_b64 v[18:21], v12 offset1:16
	ds_load_b128 v[22:25], v13
	ds_load_b128 v[26:29], v13 offset:1024
	ds_load_b128 v[30:33], v13 offset:16
	ds_load_b128 v[34:37], v13 offset:32
	ds_load_b128 v[38:41], v13 offset:48
	ds_load_2addr_b64 v[42:45], v12 offset0:32 offset1:48
	ds_load_2addr_b64 v[46:49], v12 offset0:64 offset1:80
	ds_load_b128 v[50:53], v13 offset:1040
	ds_load_2addr_b64 v[54:57], v12 offset0:96 offset1:112
	ds_load_2addr_b64 v[58:61], v12 offset0:128 offset1:144
	ds_load_2addr_b64 v[62:65], v12 offset0:160 offset1:176
	ds_load_2addr_b64 v[66:69], v12 offset0:192 offset1:208
	ds_load_b128 v[70:73], v13 offset:1056
	ds_load_b128 v[74:77], v13 offset:1072
	ds_load_2addr_b64 v[78:81], v12 offset0:224 offset1:240
	s_and_b32 vcc_lo, exec_lo, s10
	s_waitcnt lgkmcnt(0)
	s_barrier
	buffer_gl0_inv
	v_dual_mul_f32 v82, v23, v19 :: v_dual_mul_f32 v85, v22, v21
	v_dual_mul_f32 v83, v22, v19 :: v_dual_mul_f32 v84, v23, v21
	v_mul_f32_e32 v86, v27, v19
	v_dual_mul_f32 v19, v26, v19 :: v_dual_mul_f32 v90, v25, v45
	v_dual_mul_f32 v87, v27, v21 :: v_dual_mul_f32 v88, v25, v43
	v_mul_f32_e32 v21, v26, v21
	v_fma_f32 v82, v22, v18, -v82
	v_fmac_f32_e32 v83, v23, v18
	v_fma_f32 v22, v22, v20, -v84
	v_fmac_f32_e32 v85, v23, v20
	v_fma_f32 v23, v26, v18, -v86
	v_dual_fmac_f32 v19, v27, v18 :: v_dual_mul_f32 v86, v30, v47
	v_fma_f32 v18, v26, v20, -v87
	v_dual_fmac_f32 v21, v27, v20 :: v_dual_mul_f32 v20, v24, v45
	v_mul_f32_e32 v89, v24, v43
	v_mul_f32_e32 v26, v29, v43
	;; [unrolled: 1-line block ×4, first 2 shown]
	v_fmac_f32_e32 v20, v25, v44
	v_fmac_f32_e32 v89, v25, v42
	v_dual_mul_f32 v25, v28, v45 :: v_dual_fmac_f32 v86, v31, v46
	v_fma_f32 v84, v24, v42, -v88
	v_fma_f32 v24, v24, v44, -v90
	v_dual_mul_f32 v45, v31, v47 :: v_dual_mul_f32 v90, v33, v57
	v_fma_f32 v26, v28, v42, -v26
	v_fma_f32 v28, v28, v44, -v43
	v_fmac_f32_e32 v25, v29, v44
	v_dual_mul_f32 v43, v50, v47 :: v_dual_mul_f32 v44, v51, v49
	v_dual_fmac_f32 v27, v29, v42 :: v_dual_mul_f32 v42, v51, v47
	v_dual_mul_f32 v88, v32, v55 :: v_dual_mul_f32 v29, v30, v49
	v_mul_f32_e32 v87, v31, v49
	v_fma_f32 v45, v30, v46, -v45
	v_add_f32_e32 v16, v16, v82
	s_delay_alu instid0(VALU_DEP_4)
	v_dual_fmac_f32 v88, v33, v54 :: v_dual_fmac_f32 v29, v31, v48
	v_fma_f32 v31, v50, v46, -v42
	v_fma_f32 v42, v50, v48, -v44
	v_mul_f32_e32 v44, v32, v57
	v_mul_f32_e32 v47, v50, v49
	v_dual_mul_f32 v50, v53, v57 :: v_dual_fmac_f32 v43, v51, v46
	v_mul_f32_e32 v46, v53, v55
	v_mul_f32_e32 v49, v33, v55
	v_fma_f32 v30, v30, v48, -v87
	v_fmac_f32_e32 v44, v33, v56
	v_dual_fmac_f32 v47, v51, v48 :: v_dual_mul_f32 v48, v52, v55
	v_mul_f32_e32 v33, v52, v57
	v_fma_f32 v46, v52, v54, -v46
	v_fma_f32 v50, v52, v56, -v50
	v_mul_f32_e32 v52, v34, v61
	v_fma_f32 v49, v32, v54, -v49
	v_fma_f32 v32, v32, v56, -v90
	v_dual_mul_f32 v51, v35, v59 :: v_dual_fmac_f32 v48, v53, v54
	v_mul_f32_e32 v54, v70, v59
	v_dual_mul_f32 v55, v34, v59 :: v_dual_fmac_f32 v52, v35, v60
	v_fmac_f32_e32 v33, v53, v56
	v_mul_f32_e32 v53, v71, v59
	v_mul_f32_e32 v56, v71, v61
	;; [unrolled: 1-line block ×3, first 2 shown]
	v_fmac_f32_e32 v54, v71, v58
	v_fmac_f32_e32 v55, v35, v58
	v_fma_f32 v35, v70, v58, -v53
	v_fma_f32 v53, v70, v60, -v56
	v_mul_f32_e32 v56, v36, v65
	v_mul_f32_e32 v59, v70, v61
	v_fma_f32 v51, v34, v58, -v51
	v_mul_f32_e32 v58, v72, v63
	v_mul_f32_e32 v87, v36, v63
	v_mul_f32_e32 v61, v37, v63
	v_mul_f32_e32 v90, v37, v65
	v_fma_f32 v34, v34, v60, -v57
	v_mul_f32_e32 v57, v73, v63
	v_fmac_f32_e32 v56, v37, v64
	v_dual_fmac_f32 v59, v71, v60 :: v_dual_mul_f32 v60, v73, v65
	v_mul_f32_e32 v63, v39, v67
	v_mul_f32_e32 v70, v39, v69
	v_fmac_f32_e32 v58, v73, v62
	v_fmac_f32_e32 v87, v37, v62
	v_mul_f32_e32 v37, v72, v65
	v_fma_f32 v61, v36, v62, -v61
	v_fma_f32 v36, v36, v64, -v90
	v_mul_f32_e32 v65, v38, v67
	v_fma_f32 v57, v72, v62, -v57
	v_fma_f32 v60, v72, v64, -v60
	v_dual_fmac_f32 v37, v73, v64 :: v_dual_mul_f32 v62, v38, v69
	v_mul_f32_e32 v64, v75, v67
	v_mul_f32_e32 v71, v75, v69
	v_dual_mul_f32 v73, v40, v79 :: v_dual_add_f32 v10, v10, v22
	v_fma_f32 v63, v38, v66, -v63
	v_fma_f32 v38, v38, v68, -v70
	v_mul_f32_e32 v70, v76, v79
	v_mul_f32_e32 v67, v74, v67
	v_dual_mul_f32 v69, v74, v69 :: v_dual_add_f32 v0, v0, v18
	v_dual_fmac_f32 v65, v39, v66 :: v_dual_add_f32 v16, v16, v84
	v_fmac_f32_e32 v62, v39, v68
	v_fma_f32 v39, v74, v66, -v64
	v_fmac_f32_e32 v70, v77, v78
	v_dual_fmac_f32 v67, v75, v66 :: v_dual_add_f32 v10, v10, v24
	v_mul_f32_e32 v66, v40, v81
	v_mul_f32_e32 v72, v41, v79
	;; [unrolled: 1-line block ×3, first 2 shown]
	v_fma_f32 v64, v74, v68, -v71
	v_dual_fmac_f32 v69, v75, v68 :: v_dual_add_f32 v16, v16, v45
	v_dual_mul_f32 v71, v77, v81 :: v_dual_add_f32 v0, v0, v28
	v_fmac_f32_e32 v73, v41, v78
	v_fmac_f32_e32 v66, v41, v80
	s_delay_alu instid0(VALU_DEP_4) | instskip(SKIP_3) | instid1(VALU_DEP_3)
	v_add_f32_e32 v16, v16, v49
	v_dual_mul_f32 v41, v76, v81 :: v_dual_add_f32 v10, v10, v30
	v_dual_add_f32 v17, v17, v83 :: v_dual_add_f32 v0, v0, v42
	v_add_f32_e32 v11, v11, v85
	v_fmac_f32_e32 v41, v77, v80
	s_delay_alu instid0(VALU_DEP_4) | instskip(SKIP_2) | instid1(VALU_DEP_3)
	v_dual_add_f32 v10, v10, v32 :: v_dual_add_f32 v7, v7, v23
	v_dual_add_f32 v1, v1, v21 :: v_dual_add_f32 v16, v16, v51
	;; [unrolled: 1-line block ×4, first 2 shown]
	s_delay_alu instid0(VALU_DEP_3) | instskip(NEXT) | instid1(VALU_DEP_4)
	v_dual_add_f32 v11, v11, v20 :: v_dual_add_f32 v16, v16, v61
	v_add_f32_e32 v1, v1, v25
	s_delay_alu instid0(VALU_DEP_4) | instskip(NEXT) | instid1(VALU_DEP_4)
	v_dual_add_f32 v0, v0, v53 :: v_dual_add_f32 v7, v7, v26
	v_dual_add_f32 v10, v10, v36 :: v_dual_add_f32 v9, v9, v27
	v_fma_f32 v72, v40, v78, -v72
	v_fma_f32 v40, v40, v80, -v90
	s_delay_alu instid0(VALU_DEP_4) | instskip(NEXT) | instid1(VALU_DEP_4)
	v_add_f32_e32 v0, v0, v60
	v_add_f32_e32 v10, v10, v38
	;; [unrolled: 1-line block ×6, first 2 shown]
	v_dual_add_f32 v10, v10, v40 :: v_dual_add_f32 v11, v11, v29
	v_add_f32_e32 v1, v1, v47
	v_fma_f32 v71, v76, v80, -v71
	s_delay_alu instid0(VALU_DEP_4) | instskip(NEXT) | instid1(VALU_DEP_4)
	v_dual_add_f32 v16, v16, v72 :: v_dual_add_f32 v7, v7, v46
	v_add_f32_e32 v11, v11, v44
	v_add_f32_e32 v9, v9, v48
	v_dual_add_f32 v1, v1, v33 :: v_dual_add_f32 v0, v0, v64
	v_add_f32_e32 v17, v17, v88
	s_delay_alu instid0(VALU_DEP_4) | instskip(SKIP_1) | instid1(VALU_DEP_4)
	v_add_f32_e32 v11, v11, v52
	v_add_f32_e32 v7, v7, v35
	v_dual_add_f32 v9, v9, v54 :: v_dual_add_f32 v0, v0, v71
	s_delay_alu instid0(VALU_DEP_4) | instskip(SKIP_3) | instid1(VALU_DEP_4)
	v_add_f32_e32 v17, v17, v55
	v_add_f32_e32 v1, v1, v59
	v_dual_mul_f32 v68, v77, v79 :: v_dual_add_f32 v11, v11, v56
	v_add_f32_e32 v7, v7, v57
	v_add_f32_e32 v17, v17, v87
	;; [unrolled: 1-line block ×4, first 2 shown]
	v_fma_f32 v68, v76, v78, -v68
	v_add_f32_e32 v11, v11, v62
	v_add_f32_e32 v17, v17, v65
	;; [unrolled: 1-line block ×10, first 2 shown]
	s_cbranch_vccz .LBB1726_2
.LBB1726_3:
	v_add_nc_u32_e32 v8, s23, v8
	s_load_b32 s4, s[0:1], 0x0
	s_delay_alu instid0(VALU_DEP_1) | instskip(SKIP_3) | instid1(VALU_DEP_3)
	v_ashrrev_i32_e32 v2, 31, v8
	s_waitcnt lgkmcnt(0)
	v_mul_lo_u32 v5, v8, s19
	v_mad_u64_u32 v[3:4], null, v8, s18, 0
	v_mul_lo_u32 v2, v2, s18
	s_delay_alu instid0(VALU_DEP_1) | instskip(SKIP_1) | instid1(VALU_DEP_2)
	v_add3_u32 v4, v4, v5, v2
	v_add_nc_u32_e32 v2, s22, v6
	v_lshlrev_b64 v[3:4], 3, v[3:4]
	s_delay_alu instid0(VALU_DEP_2) | instskip(SKIP_1) | instid1(VALU_DEP_3)
	v_cmp_le_i32_e64 s0, v8, v2
	v_cmp_gt_i32_e32 vcc_lo, s4, v2
	v_add_co_u32 v6, s1, s2, v3
	s_delay_alu instid0(VALU_DEP_1) | instskip(NEXT) | instid1(VALU_DEP_4)
	v_add_co_ci_u32_e64 v12, s1, s3, v4, s1
	s_and_b32 s0, s0, vcc_lo
	s_delay_alu instid0(SALU_CYCLE_1)
	s_and_saveexec_b32 s1, s0
	s_cbranch_execz .LBB1726_6
; %bb.4:
	v_ashrrev_i32_e32 v3, 31, v2
	v_mul_f32_e32 v15, s6, v17
	s_delay_alu instid0(VALU_DEP_2) | instskip(NEXT) | instid1(VALU_DEP_2)
	v_lshlrev_b64 v[3:4], 3, v[2:3]
	v_fmac_f32_e32 v15, s7, v16
	s_delay_alu instid0(VALU_DEP_2) | instskip(NEXT) | instid1(VALU_DEP_1)
	v_add_co_u32 v3, s0, v6, v3
	v_add_co_ci_u32_e64 v4, s0, v12, v4, s0
	v_cmp_eq_u32_e64 s0, v8, v2
	global_load_b64 v[13:14], v[3:4], off
	v_mul_f32_e32 v5, s7, v17
	s_waitcnt vmcnt(0)
	v_mul_f32_e32 v17, s17, v14
	v_mul_f32_e32 v14, s16, v14
	s_delay_alu instid0(VALU_DEP_3) | instskip(NEXT) | instid1(VALU_DEP_2)
	v_fma_f32 v5, v16, s6, -v5
	v_fmac_f32_e32 v14, s17, v13
	s_delay_alu instid0(VALU_DEP_4) | instskip(NEXT) | instid1(VALU_DEP_1)
	v_fma_f32 v16, v13, s16, -v17
	v_dual_add_f32 v14, v15, v14 :: v_dual_add_f32 v13, v5, v16
	global_store_b64 v[3:4], v[13:14], off
	s_and_b32 exec_lo, exec_lo, s0
	s_cbranch_execz .LBB1726_6
; %bb.5:
	v_mov_b32_e32 v5, 0
	global_store_b32 v[3:4], v5, off offset:4
.LBB1726_6:
	s_or_b32 exec_lo, exec_lo, s1
	v_add_nc_u32_e32 v4, 16, v2
	s_delay_alu instid0(VALU_DEP_1) | instskip(SKIP_1) | instid1(VALU_DEP_1)
	v_cmp_le_i32_e64 s1, v8, v4
	v_cmp_gt_i32_e64 s0, s4, v4
	s_and_b32 s1, s1, s0
	s_delay_alu instid0(SALU_CYCLE_1)
	s_and_saveexec_b32 s4, s1
	s_cbranch_execz .LBB1726_9
; %bb.7:
	v_ashrrev_i32_e32 v5, 31, v4
	s_delay_alu instid0(VALU_DEP_1) | instskip(NEXT) | instid1(VALU_DEP_1)
	v_lshlrev_b64 v[13:14], 3, v[4:5]
	v_add_co_u32 v5, s1, v6, v13
	s_delay_alu instid0(VALU_DEP_1)
	v_add_co_ci_u32_e64 v6, s1, v12, v14, s1
	v_cmp_eq_u32_e64 s1, v8, v4
	global_load_b64 v[12:13], v[5:6], off
	s_waitcnt vmcnt(0)
	v_dual_mul_f32 v3, s7, v11 :: v_dual_mul_f32 v14, s17, v13
	v_mul_f32_e32 v13, s16, v13
	s_delay_alu instid0(VALU_DEP_2) | instskip(SKIP_1) | instid1(VALU_DEP_3)
	v_fma_f32 v3, v10, s6, -v3
	v_mul_f32_e32 v11, s6, v11
	v_fmac_f32_e32 v13, s17, v12
	s_delay_alu instid0(VALU_DEP_2) | instskip(SKIP_1) | instid1(VALU_DEP_2)
	v_fmac_f32_e32 v11, s7, v10
	v_fma_f32 v10, v12, s16, -v14
	v_add_f32_e32 v11, v11, v13
	s_delay_alu instid0(VALU_DEP_2)
	v_add_f32_e32 v10, v3, v10
	global_store_b64 v[5:6], v[10:11], off
	s_and_b32 exec_lo, exec_lo, s1
	s_cbranch_execz .LBB1726_9
; %bb.8:
	v_mov_b32_e32 v3, 0
	global_store_b32 v[5:6], v3, off offset:4
.LBB1726_9:
	s_or_b32 exec_lo, exec_lo, s4
	v_add_nc_u32_e32 v12, 16, v8
	s_delay_alu instid0(VALU_DEP_1) | instskip(SKIP_3) | instid1(VALU_DEP_4)
	v_ashrrev_i32_e32 v3, 31, v12
	v_mul_lo_u32 v10, v12, s19
	v_mad_u64_u32 v[5:6], null, v12, s18, 0
	v_cmp_le_i32_e64 s1, v12, v2
	v_mul_lo_u32 v3, v3, s18
	s_delay_alu instid0(VALU_DEP_1) | instskip(NEXT) | instid1(VALU_DEP_1)
	v_add3_u32 v6, v6, v10, v3
	v_lshlrev_b64 v[5:6], 3, v[5:6]
	s_delay_alu instid0(VALU_DEP_1) | instskip(NEXT) | instid1(VALU_DEP_1)
	v_add_co_u32 v10, s2, s2, v5
	v_add_co_ci_u32_e64 v11, s2, s3, v6, s2
	s_and_b32 s2, s1, vcc_lo
	s_delay_alu instid0(SALU_CYCLE_1)
	s_and_saveexec_b32 s1, s2
	s_cbranch_execz .LBB1726_12
; %bb.10:
	v_ashrrev_i32_e32 v3, 31, v2
	s_delay_alu instid0(VALU_DEP_1) | instskip(NEXT) | instid1(VALU_DEP_1)
	v_lshlrev_b64 v[5:6], 3, v[2:3]
	v_add_co_u32 v5, vcc_lo, v10, v5
	s_delay_alu instid0(VALU_DEP_2) | instskip(SKIP_4) | instid1(VALU_DEP_1)
	v_add_co_ci_u32_e32 v6, vcc_lo, v11, v6, vcc_lo
	v_cmp_eq_u32_e32 vcc_lo, v12, v2
	global_load_b64 v[13:14], v[5:6], off
	v_mul_f32_e32 v3, s7, v9
	v_mul_f32_e32 v9, s6, v9
	v_fmac_f32_e32 v9, s7, v7
	s_waitcnt vmcnt(0)
	v_mul_f32_e32 v15, s17, v14
	v_mul_f32_e32 v14, s16, v14
	v_fma_f32 v3, v7, s6, -v3
	s_delay_alu instid0(VALU_DEP_2) | instskip(NEXT) | instid1(VALU_DEP_4)
	v_fmac_f32_e32 v14, s17, v13
	v_fma_f32 v7, v13, s16, -v15
	s_delay_alu instid0(VALU_DEP_1)
	v_dual_add_f32 v14, v9, v14 :: v_dual_add_f32 v13, v3, v7
	global_store_b64 v[5:6], v[13:14], off
	s_and_b32 exec_lo, exec_lo, vcc_lo
	s_cbranch_execz .LBB1726_12
; %bb.11:
	v_mov_b32_e32 v3, 0
	global_store_b32 v[5:6], v3, off offset:4
.LBB1726_12:
	s_or_b32 exec_lo, exec_lo, s1
	v_cmp_le_i32_e32 vcc_lo, v12, v4
	s_and_b32 s0, vcc_lo, s0
	s_delay_alu instid0(SALU_CYCLE_1)
	s_and_saveexec_b32 s1, s0
	s_cbranch_execz .LBB1726_15
; %bb.13:
	v_ashrrev_i32_e32 v5, 31, v4
	s_delay_alu instid0(VALU_DEP_1) | instskip(NEXT) | instid1(VALU_DEP_1)
	v_lshlrev_b64 v[3:4], 3, v[4:5]
	v_add_co_u32 v3, vcc_lo, v10, v3
	s_delay_alu instid0(VALU_DEP_2)
	v_add_co_ci_u32_e32 v4, vcc_lo, v11, v4, vcc_lo
	v_cmp_eq_u32_e32 vcc_lo, v8, v2
	global_load_b64 v[5:6], v[3:4], off
	v_mul_f32_e32 v7, s7, v1
	s_waitcnt vmcnt(0)
	v_mul_f32_e32 v9, s17, v6
	v_mul_f32_e32 v6, s16, v6
	s_delay_alu instid0(VALU_DEP_3) | instskip(SKIP_1) | instid1(VALU_DEP_1)
	v_fma_f32 v7, v0, s6, -v7
	v_mul_f32_e32 v1, s6, v1
	v_dual_fmac_f32 v6, s17, v5 :: v_dual_fmac_f32 v1, s7, v0
	v_fma_f32 v0, v5, s16, -v9
	s_delay_alu instid0(VALU_DEP_1)
	v_dual_add_f32 v1, v1, v6 :: v_dual_add_f32 v0, v7, v0
	global_store_b64 v[3:4], v[0:1], off
	s_and_b32 exec_lo, exec_lo, vcc_lo
	s_cbranch_execz .LBB1726_15
; %bb.14:
	v_mov_b32_e32 v0, 0
	global_store_b32 v[3:4], v0, off offset:4
.LBB1726_15:
	s_nop 0
	s_sendmsg sendmsg(MSG_DEALLOC_VGPRS)
	s_endpgm
	.section	.rodata,"a",@progbits
	.p2align	6, 0x0
	.amdhsa_kernel _ZL37rocblas_syrkx_herkx_restricted_kernelIl19rocblas_complex_numIfELi16ELi32ELi8ELb0ELb1ELc84ELc76EKPKS1_KPS1_EviT_T0_PT8_S7_lSA_S7_lS8_PT9_S7_li
		.amdhsa_group_segment_fixed_size 4096
		.amdhsa_private_segment_fixed_size 0
		.amdhsa_kernarg_size 108
		.amdhsa_user_sgpr_count 13
		.amdhsa_user_sgpr_dispatch_ptr 0
		.amdhsa_user_sgpr_queue_ptr 0
		.amdhsa_user_sgpr_kernarg_segment_ptr 1
		.amdhsa_user_sgpr_dispatch_id 0
		.amdhsa_user_sgpr_private_segment_size 0
		.amdhsa_wavefront_size32 1
		.amdhsa_uses_dynamic_stack 0
		.amdhsa_enable_private_segment 0
		.amdhsa_system_sgpr_workgroup_id_x 1
		.amdhsa_system_sgpr_workgroup_id_y 1
		.amdhsa_system_sgpr_workgroup_id_z 1
		.amdhsa_system_sgpr_workgroup_info 0
		.amdhsa_system_vgpr_workitem_id 1
		.amdhsa_next_free_vgpr 91
		.amdhsa_next_free_sgpr 24
		.amdhsa_reserve_vcc 1
		.amdhsa_float_round_mode_32 0
		.amdhsa_float_round_mode_16_64 0
		.amdhsa_float_denorm_mode_32 3
		.amdhsa_float_denorm_mode_16_64 3
		.amdhsa_dx10_clamp 1
		.amdhsa_ieee_mode 1
		.amdhsa_fp16_overflow 0
		.amdhsa_workgroup_processor_mode 1
		.amdhsa_memory_ordered 1
		.amdhsa_forward_progress 0
		.amdhsa_shared_vgpr_count 0
		.amdhsa_exception_fp_ieee_invalid_op 0
		.amdhsa_exception_fp_denorm_src 0
		.amdhsa_exception_fp_ieee_div_zero 0
		.amdhsa_exception_fp_ieee_overflow 0
		.amdhsa_exception_fp_ieee_underflow 0
		.amdhsa_exception_fp_ieee_inexact 0
		.amdhsa_exception_int_div_zero 0
	.end_amdhsa_kernel
	.section	.text._ZL37rocblas_syrkx_herkx_restricted_kernelIl19rocblas_complex_numIfELi16ELi32ELi8ELb0ELb1ELc84ELc76EKPKS1_KPS1_EviT_T0_PT8_S7_lSA_S7_lS8_PT9_S7_li,"axG",@progbits,_ZL37rocblas_syrkx_herkx_restricted_kernelIl19rocblas_complex_numIfELi16ELi32ELi8ELb0ELb1ELc84ELc76EKPKS1_KPS1_EviT_T0_PT8_S7_lSA_S7_lS8_PT9_S7_li,comdat
.Lfunc_end1726:
	.size	_ZL37rocblas_syrkx_herkx_restricted_kernelIl19rocblas_complex_numIfELi16ELi32ELi8ELb0ELb1ELc84ELc76EKPKS1_KPS1_EviT_T0_PT8_S7_lSA_S7_lS8_PT9_S7_li, .Lfunc_end1726-_ZL37rocblas_syrkx_herkx_restricted_kernelIl19rocblas_complex_numIfELi16ELi32ELi8ELb0ELb1ELc84ELc76EKPKS1_KPS1_EviT_T0_PT8_S7_lSA_S7_lS8_PT9_S7_li
                                        ; -- End function
	.section	.AMDGPU.csdata,"",@progbits
; Kernel info:
; codeLenInByte = 2496
; NumSgprs: 26
; NumVgprs: 91
; ScratchSize: 0
; MemoryBound: 0
; FloatMode: 240
; IeeeMode: 1
; LDSByteSize: 4096 bytes/workgroup (compile time only)
; SGPRBlocks: 3
; VGPRBlocks: 11
; NumSGPRsForWavesPerEU: 26
; NumVGPRsForWavesPerEU: 91
; Occupancy: 16
; WaveLimiterHint : 1
; COMPUTE_PGM_RSRC2:SCRATCH_EN: 0
; COMPUTE_PGM_RSRC2:USER_SGPR: 13
; COMPUTE_PGM_RSRC2:TRAP_HANDLER: 0
; COMPUTE_PGM_RSRC2:TGID_X_EN: 1
; COMPUTE_PGM_RSRC2:TGID_Y_EN: 1
; COMPUTE_PGM_RSRC2:TGID_Z_EN: 1
; COMPUTE_PGM_RSRC2:TIDIG_COMP_CNT: 1
	.section	.text._ZL37rocblas_syrkx_herkx_restricted_kernelIl19rocblas_complex_numIfELi16ELi32ELi8ELb0ELb1ELc67ELc76EKPKS1_KPS1_EviT_T0_PT8_S7_lSA_S7_lS8_PT9_S7_li,"axG",@progbits,_ZL37rocblas_syrkx_herkx_restricted_kernelIl19rocblas_complex_numIfELi16ELi32ELi8ELb0ELb1ELc67ELc76EKPKS1_KPS1_EviT_T0_PT8_S7_lSA_S7_lS8_PT9_S7_li,comdat
	.globl	_ZL37rocblas_syrkx_herkx_restricted_kernelIl19rocblas_complex_numIfELi16ELi32ELi8ELb0ELb1ELc67ELc76EKPKS1_KPS1_EviT_T0_PT8_S7_lSA_S7_lS8_PT9_S7_li ; -- Begin function _ZL37rocblas_syrkx_herkx_restricted_kernelIl19rocblas_complex_numIfELi16ELi32ELi8ELb0ELb1ELc67ELc76EKPKS1_KPS1_EviT_T0_PT8_S7_lSA_S7_lS8_PT9_S7_li
	.p2align	8
	.type	_ZL37rocblas_syrkx_herkx_restricted_kernelIl19rocblas_complex_numIfELi16ELi32ELi8ELb0ELb1ELc67ELc76EKPKS1_KPS1_EviT_T0_PT8_S7_lSA_S7_lS8_PT9_S7_li,@function
_ZL37rocblas_syrkx_herkx_restricted_kernelIl19rocblas_complex_numIfELi16ELi32ELi8ELb0ELb1ELc67ELc76EKPKS1_KPS1_EviT_T0_PT8_S7_lSA_S7_lS8_PT9_S7_li: ; @_ZL37rocblas_syrkx_herkx_restricted_kernelIl19rocblas_complex_numIfELi16ELi32ELi8ELb0ELb1ELc67ELc76EKPKS1_KPS1_EviT_T0_PT8_S7_lSA_S7_lS8_PT9_S7_li
; %bb.0:
	s_clause 0x1
	s_load_b128 s[16:19], s[0:1], 0x48
	s_load_b256 s[4:11], s[0:1], 0x8
	s_mov_b32 s2, s15
	s_mov_b32 s3, 0
	v_dual_mov_b32 v17, 0 :: v_dual_and_b32 v6, 0x3ff, v0
	s_lshl_b64 s[20:21], s[2:3], 3
	v_bfe_u32 v8, v0, 10, 10
	v_dual_mov_b32 v16, 0 :: v_dual_mov_b32 v11, 0
	v_dual_mov_b32 v10, 0 :: v_dual_mov_b32 v7, 0
	;; [unrolled: 1-line block ×3, first 2 shown]
	v_mov_b32_e32 v1, 0
	s_waitcnt lgkmcnt(0)
	s_add_u32 s2, s18, s20
	s_addc_u32 s3, s19, s21
	s_load_b64 s[18:19], s[0:1], 0x58
	s_load_b64 s[2:3], s[2:3], 0x0
	v_cmp_lt_i64_e64 s12, s[4:5], 1
	s_lshl_b32 s22, s13, 5
	s_lshl_b32 s23, s14, 5
	s_delay_alu instid0(VALU_DEP_1)
	s_and_b32 vcc_lo, exec_lo, s12
	s_cbranch_vccnz .LBB1727_3
; %bb.1:
	s_load_b128 s[12:15], s[0:1], 0x30
	v_lshl_add_u32 v2, v8, 4, v6
	v_dual_mov_b32 v1, 0 :: v_dual_and_b32 v0, 7, v6
	s_add_u32 s8, s8, s20
	s_addc_u32 s9, s9, s21
	s_delay_alu instid0(VALU_DEP_2)
	v_and_b32_e32 v11, 31, v2
	v_lshrrev_b32_e32 v7, 3, v2
	v_lshrrev_b32_e32 v2, 5, v2
	s_load_b64 s[8:9], s[8:9], 0x0
	v_mov_b32_e32 v3, v1
	v_add_nc_u32_e32 v9, s22, v11
	v_add_nc_u32_e32 v12, s23, v7
	v_dual_mov_b32 v16, v1 :: v_dual_lshlrev_b32 v11, 3, v11
	v_mov_b32_e32 v17, v1
	s_delay_alu instid0(VALU_DEP_4) | instskip(NEXT) | instid1(VALU_DEP_4)
	v_ashrrev_i32_e32 v13, 31, v9
	v_ashrrev_i32_e32 v10, 31, v12
	v_mad_u64_u32 v[4:5], null, s10, v9, v[2:3]
	s_waitcnt lgkmcnt(0)
	s_add_u32 s12, s12, s20
	v_mul_lo_u32 v3, s11, v9
	v_mul_lo_u32 v13, s10, v13
	s_addc_u32 s13, s13, s21
	v_mul_lo_u32 v14, v10, s14
	s_load_b64 s[10:11], s[12:13], 0x0
	v_mul_lo_u32 v15, v12, s15
	v_mad_u64_u32 v[9:10], null, v12, s14, v[0:1]
	v_lshlrev_b32_e32 v0, 3, v0
	v_add3_u32 v5, v3, v5, v13
	v_lshlrev_b32_e32 v12, 3, v6
	v_lshl_add_u32 v13, v8, 6, 0x800
	s_delay_alu instid0(VALU_DEP_4)
	v_lshl_or_b32 v0, v7, 6, v0
	v_mov_b32_e32 v7, v1
	v_add3_u32 v10, v14, v10, v15
	v_lshlrev_b64 v[3:4], 3, v[4:5]
	v_lshl_or_b32 v14, v2, 8, v11
	v_add_nc_u32_e32 v15, 0x800, v0
	v_mov_b32_e32 v11, v1
	v_lshlrev_b64 v[9:10], 3, v[9:10]
	v_add_co_u32 v0, vcc_lo, v3, s8
	v_add_co_ci_u32_e32 v3, vcc_lo, s9, v4, vcc_lo
	s_waitcnt lgkmcnt(0)
	s_delay_alu instid0(VALU_DEP_3) | instskip(NEXT) | instid1(VALU_DEP_4)
	v_add_co_u32 v4, vcc_lo, v9, s10
	v_add_co_ci_u32_e32 v5, vcc_lo, s11, v10, vcc_lo
	v_add_co_u32 v2, vcc_lo, v0, 4
	v_add_co_ci_u32_e32 v3, vcc_lo, 0, v3, vcc_lo
	s_delay_alu instid0(VALU_DEP_4) | instskip(NEXT) | instid1(VALU_DEP_4)
	v_add_co_u32 v4, vcc_lo, v4, 4
	v_add_co_ci_u32_e32 v5, vcc_lo, 0, v5, vcc_lo
	v_mov_b32_e32 v0, v1
	v_mov_b32_e32 v9, v1
	;; [unrolled: 1-line block ×3, first 2 shown]
	s_mov_b64 s[8:9], 0
.LBB1727_2:                             ; =>This Inner Loop Header: Depth=1
	global_load_b64 v[18:19], v[2:3], off offset:-4
	global_load_b64 v[20:21], v[4:5], off offset:-4
	s_add_u32 s8, s8, 8
	v_add_co_u32 v2, vcc_lo, v2, 64
	s_addc_u32 s9, s9, 0
	v_add_co_ci_u32_e32 v3, vcc_lo, 0, v3, vcc_lo
	v_cmp_ge_u64_e64 s10, s[8:9], s[4:5]
	v_add_co_u32 v4, vcc_lo, v4, 64
	v_add_co_ci_u32_e32 v5, vcc_lo, 0, v5, vcc_lo
	s_delay_alu instid0(VALU_DEP_3)
	s_and_b32 vcc_lo, exec_lo, s10
	s_waitcnt vmcnt(1)
	v_xor_b32_e32 v19, 0x80000000, v19
	ds_store_b64 v14, v[18:19]
	s_waitcnt vmcnt(0)
	ds_store_b64 v15, v[20:21]
	s_waitcnt lgkmcnt(0)
	s_barrier
	buffer_gl0_inv
	ds_load_2addr_b64 v[18:21], v12 offset1:16
	ds_load_b128 v[22:25], v13
	ds_load_b128 v[26:29], v13 offset:1024
	ds_load_b128 v[30:33], v13 offset:16
	;; [unrolled: 1-line block ×4, first 2 shown]
	ds_load_2addr_b64 v[42:45], v12 offset0:32 offset1:48
	ds_load_2addr_b64 v[46:49], v12 offset0:64 offset1:80
	ds_load_b128 v[50:53], v13 offset:1040
	ds_load_2addr_b64 v[54:57], v12 offset0:96 offset1:112
	ds_load_2addr_b64 v[58:61], v12 offset0:128 offset1:144
	;; [unrolled: 1-line block ×4, first 2 shown]
	ds_load_b128 v[70:73], v13 offset:1056
	ds_load_b128 v[74:77], v13 offset:1072
	ds_load_2addr_b64 v[78:81], v12 offset0:224 offset1:240
	s_waitcnt lgkmcnt(0)
	s_barrier
	buffer_gl0_inv
	v_dual_mul_f32 v82, v23, v19 :: v_dual_mul_f32 v85, v22, v21
	v_dual_mul_f32 v83, v22, v19 :: v_dual_mul_f32 v84, v23, v21
	v_mul_f32_e32 v86, v27, v19
	v_dual_mul_f32 v19, v26, v19 :: v_dual_mul_f32 v90, v25, v45
	v_dual_mul_f32 v87, v27, v21 :: v_dual_mul_f32 v88, v25, v43
	v_mul_f32_e32 v21, v26, v21
	v_fma_f32 v82, v22, v18, -v82
	v_fmac_f32_e32 v83, v23, v18
	v_fma_f32 v22, v22, v20, -v84
	v_fmac_f32_e32 v85, v23, v20
	v_fma_f32 v23, v26, v18, -v86
	v_dual_fmac_f32 v19, v27, v18 :: v_dual_mul_f32 v86, v30, v47
	v_fma_f32 v18, v26, v20, -v87
	v_dual_fmac_f32 v21, v27, v20 :: v_dual_mul_f32 v20, v24, v45
	v_mul_f32_e32 v89, v24, v43
	v_mul_f32_e32 v26, v29, v43
	;; [unrolled: 1-line block ×4, first 2 shown]
	v_fmac_f32_e32 v20, v25, v44
	v_fmac_f32_e32 v89, v25, v42
	v_dual_mul_f32 v25, v28, v45 :: v_dual_fmac_f32 v86, v31, v46
	v_fma_f32 v84, v24, v42, -v88
	v_fma_f32 v24, v24, v44, -v90
	v_dual_mul_f32 v45, v31, v47 :: v_dual_mul_f32 v90, v33, v57
	v_fma_f32 v26, v28, v42, -v26
	v_fma_f32 v28, v28, v44, -v43
	v_fmac_f32_e32 v25, v29, v44
	v_dual_mul_f32 v43, v50, v47 :: v_dual_mul_f32 v44, v51, v49
	v_dual_fmac_f32 v27, v29, v42 :: v_dual_mul_f32 v42, v51, v47
	v_dual_mul_f32 v88, v32, v55 :: v_dual_mul_f32 v29, v30, v49
	v_mul_f32_e32 v87, v31, v49
	v_fma_f32 v45, v30, v46, -v45
	v_add_f32_e32 v16, v16, v82
	s_delay_alu instid0(VALU_DEP_4)
	v_dual_fmac_f32 v88, v33, v54 :: v_dual_fmac_f32 v29, v31, v48
	v_fma_f32 v31, v50, v46, -v42
	v_fma_f32 v42, v50, v48, -v44
	v_mul_f32_e32 v44, v32, v57
	v_mul_f32_e32 v47, v50, v49
	v_dual_mul_f32 v50, v53, v57 :: v_dual_fmac_f32 v43, v51, v46
	v_mul_f32_e32 v46, v53, v55
	v_mul_f32_e32 v49, v33, v55
	v_fma_f32 v30, v30, v48, -v87
	v_fmac_f32_e32 v44, v33, v56
	v_dual_fmac_f32 v47, v51, v48 :: v_dual_mul_f32 v48, v52, v55
	v_mul_f32_e32 v33, v52, v57
	v_fma_f32 v46, v52, v54, -v46
	v_fma_f32 v50, v52, v56, -v50
	v_mul_f32_e32 v52, v34, v61
	v_fma_f32 v49, v32, v54, -v49
	v_fma_f32 v32, v32, v56, -v90
	v_dual_mul_f32 v51, v35, v59 :: v_dual_fmac_f32 v48, v53, v54
	v_mul_f32_e32 v54, v70, v59
	v_dual_mul_f32 v55, v34, v59 :: v_dual_fmac_f32 v52, v35, v60
	v_fmac_f32_e32 v33, v53, v56
	v_mul_f32_e32 v53, v71, v59
	v_mul_f32_e32 v56, v71, v61
	;; [unrolled: 1-line block ×3, first 2 shown]
	v_fmac_f32_e32 v54, v71, v58
	v_fmac_f32_e32 v55, v35, v58
	v_fma_f32 v35, v70, v58, -v53
	v_fma_f32 v53, v70, v60, -v56
	v_mul_f32_e32 v56, v36, v65
	v_mul_f32_e32 v59, v70, v61
	v_fma_f32 v51, v34, v58, -v51
	v_mul_f32_e32 v58, v72, v63
	v_mul_f32_e32 v87, v36, v63
	;; [unrolled: 1-line block ×4, first 2 shown]
	v_fma_f32 v34, v34, v60, -v57
	v_mul_f32_e32 v57, v73, v63
	v_fmac_f32_e32 v56, v37, v64
	v_dual_fmac_f32 v59, v71, v60 :: v_dual_mul_f32 v60, v73, v65
	v_mul_f32_e32 v63, v39, v67
	v_mul_f32_e32 v70, v39, v69
	v_fmac_f32_e32 v58, v73, v62
	v_fmac_f32_e32 v87, v37, v62
	v_mul_f32_e32 v37, v72, v65
	v_fma_f32 v61, v36, v62, -v61
	v_fma_f32 v36, v36, v64, -v90
	v_mul_f32_e32 v65, v38, v67
	v_fma_f32 v57, v72, v62, -v57
	v_fma_f32 v60, v72, v64, -v60
	v_dual_fmac_f32 v37, v73, v64 :: v_dual_mul_f32 v62, v38, v69
	v_mul_f32_e32 v64, v75, v67
	v_mul_f32_e32 v71, v75, v69
	v_dual_mul_f32 v73, v40, v79 :: v_dual_add_f32 v10, v10, v22
	v_fma_f32 v63, v38, v66, -v63
	v_fma_f32 v38, v38, v68, -v70
	v_mul_f32_e32 v70, v76, v79
	v_mul_f32_e32 v67, v74, v67
	v_dual_mul_f32 v69, v74, v69 :: v_dual_add_f32 v0, v0, v18
	v_dual_fmac_f32 v65, v39, v66 :: v_dual_add_f32 v16, v16, v84
	v_fmac_f32_e32 v62, v39, v68
	v_fma_f32 v39, v74, v66, -v64
	v_fmac_f32_e32 v70, v77, v78
	v_dual_fmac_f32 v67, v75, v66 :: v_dual_add_f32 v10, v10, v24
	v_mul_f32_e32 v66, v40, v81
	v_mul_f32_e32 v72, v41, v79
	;; [unrolled: 1-line block ×3, first 2 shown]
	v_fma_f32 v64, v74, v68, -v71
	v_dual_fmac_f32 v69, v75, v68 :: v_dual_add_f32 v16, v16, v45
	v_dual_mul_f32 v71, v77, v81 :: v_dual_add_f32 v0, v0, v28
	v_fmac_f32_e32 v73, v41, v78
	v_fmac_f32_e32 v66, v41, v80
	s_delay_alu instid0(VALU_DEP_4) | instskip(SKIP_3) | instid1(VALU_DEP_3)
	v_add_f32_e32 v16, v16, v49
	v_dual_mul_f32 v41, v76, v81 :: v_dual_add_f32 v10, v10, v30
	v_dual_add_f32 v17, v17, v83 :: v_dual_add_f32 v0, v0, v42
	v_add_f32_e32 v11, v11, v85
	v_fmac_f32_e32 v41, v77, v80
	s_delay_alu instid0(VALU_DEP_4) | instskip(SKIP_2) | instid1(VALU_DEP_3)
	v_dual_add_f32 v10, v10, v32 :: v_dual_add_f32 v7, v7, v23
	v_dual_add_f32 v1, v1, v21 :: v_dual_add_f32 v16, v16, v51
	;; [unrolled: 1-line block ×4, first 2 shown]
	s_delay_alu instid0(VALU_DEP_3) | instskip(NEXT) | instid1(VALU_DEP_4)
	v_dual_add_f32 v11, v11, v20 :: v_dual_add_f32 v16, v16, v61
	v_add_f32_e32 v1, v1, v25
	s_delay_alu instid0(VALU_DEP_4) | instskip(NEXT) | instid1(VALU_DEP_4)
	v_dual_add_f32 v0, v0, v53 :: v_dual_add_f32 v7, v7, v26
	v_dual_add_f32 v10, v10, v36 :: v_dual_add_f32 v9, v9, v27
	v_fma_f32 v72, v40, v78, -v72
	v_fma_f32 v40, v40, v80, -v90
	s_delay_alu instid0(VALU_DEP_4) | instskip(NEXT) | instid1(VALU_DEP_4)
	v_add_f32_e32 v0, v0, v60
	v_add_f32_e32 v10, v10, v38
	;; [unrolled: 1-line block ×6, first 2 shown]
	v_dual_add_f32 v10, v10, v40 :: v_dual_add_f32 v11, v11, v29
	v_add_f32_e32 v1, v1, v47
	v_fma_f32 v71, v76, v80, -v71
	s_delay_alu instid0(VALU_DEP_4) | instskip(NEXT) | instid1(VALU_DEP_4)
	v_dual_add_f32 v16, v16, v72 :: v_dual_add_f32 v7, v7, v46
	v_add_f32_e32 v11, v11, v44
	v_add_f32_e32 v9, v9, v48
	v_dual_add_f32 v1, v1, v33 :: v_dual_add_f32 v0, v0, v64
	v_add_f32_e32 v17, v17, v88
	s_delay_alu instid0(VALU_DEP_4) | instskip(SKIP_1) | instid1(VALU_DEP_4)
	v_add_f32_e32 v11, v11, v52
	v_add_f32_e32 v7, v7, v35
	v_dual_add_f32 v9, v9, v54 :: v_dual_add_f32 v0, v0, v71
	s_delay_alu instid0(VALU_DEP_4) | instskip(SKIP_3) | instid1(VALU_DEP_4)
	v_add_f32_e32 v17, v17, v55
	v_add_f32_e32 v1, v1, v59
	v_dual_mul_f32 v68, v77, v79 :: v_dual_add_f32 v11, v11, v56
	v_add_f32_e32 v7, v7, v57
	v_add_f32_e32 v17, v17, v87
	;; [unrolled: 1-line block ×4, first 2 shown]
	v_fma_f32 v68, v76, v78, -v68
	v_add_f32_e32 v11, v11, v62
	v_add_f32_e32 v17, v17, v65
	;; [unrolled: 1-line block ×10, first 2 shown]
	s_cbranch_vccz .LBB1727_2
.LBB1727_3:
	v_add_nc_u32_e32 v8, s23, v8
	s_load_b32 s4, s[0:1], 0x0
	s_delay_alu instid0(VALU_DEP_1) | instskip(SKIP_3) | instid1(VALU_DEP_3)
	v_ashrrev_i32_e32 v2, 31, v8
	s_waitcnt lgkmcnt(0)
	v_mul_lo_u32 v5, v8, s19
	v_mad_u64_u32 v[3:4], null, v8, s18, 0
	v_mul_lo_u32 v2, v2, s18
	s_delay_alu instid0(VALU_DEP_1) | instskip(SKIP_1) | instid1(VALU_DEP_2)
	v_add3_u32 v4, v4, v5, v2
	v_add_nc_u32_e32 v2, s22, v6
	v_lshlrev_b64 v[3:4], 3, v[3:4]
	s_delay_alu instid0(VALU_DEP_2) | instskip(SKIP_1) | instid1(VALU_DEP_3)
	v_cmp_le_i32_e64 s0, v8, v2
	v_cmp_gt_i32_e32 vcc_lo, s4, v2
	v_add_co_u32 v6, s1, s2, v3
	s_delay_alu instid0(VALU_DEP_1) | instskip(NEXT) | instid1(VALU_DEP_4)
	v_add_co_ci_u32_e64 v12, s1, s3, v4, s1
	s_and_b32 s0, s0, vcc_lo
	s_delay_alu instid0(SALU_CYCLE_1)
	s_and_saveexec_b32 s1, s0
	s_cbranch_execz .LBB1727_6
; %bb.4:
	v_ashrrev_i32_e32 v3, 31, v2
	v_mul_f32_e32 v15, s6, v17
	s_delay_alu instid0(VALU_DEP_2) | instskip(NEXT) | instid1(VALU_DEP_2)
	v_lshlrev_b64 v[3:4], 3, v[2:3]
	v_fmac_f32_e32 v15, s7, v16
	s_delay_alu instid0(VALU_DEP_2) | instskip(NEXT) | instid1(VALU_DEP_1)
	v_add_co_u32 v3, s0, v6, v3
	v_add_co_ci_u32_e64 v4, s0, v12, v4, s0
	v_cmp_eq_u32_e64 s0, v8, v2
	global_load_b64 v[13:14], v[3:4], off
	v_mul_f32_e32 v5, s7, v17
	s_waitcnt vmcnt(0)
	v_mul_f32_e32 v17, s17, v14
	v_mul_f32_e32 v14, s16, v14
	s_delay_alu instid0(VALU_DEP_3) | instskip(NEXT) | instid1(VALU_DEP_2)
	v_fma_f32 v5, v16, s6, -v5
	v_fmac_f32_e32 v14, s17, v13
	s_delay_alu instid0(VALU_DEP_4) | instskip(NEXT) | instid1(VALU_DEP_1)
	v_fma_f32 v16, v13, s16, -v17
	v_dual_add_f32 v14, v15, v14 :: v_dual_add_f32 v13, v5, v16
	global_store_b64 v[3:4], v[13:14], off
	s_and_b32 exec_lo, exec_lo, s0
	s_cbranch_execz .LBB1727_6
; %bb.5:
	v_mov_b32_e32 v5, 0
	global_store_b32 v[3:4], v5, off offset:4
.LBB1727_6:
	s_or_b32 exec_lo, exec_lo, s1
	v_add_nc_u32_e32 v4, 16, v2
	s_delay_alu instid0(VALU_DEP_1) | instskip(SKIP_1) | instid1(VALU_DEP_1)
	v_cmp_le_i32_e64 s1, v8, v4
	v_cmp_gt_i32_e64 s0, s4, v4
	s_and_b32 s1, s1, s0
	s_delay_alu instid0(SALU_CYCLE_1)
	s_and_saveexec_b32 s4, s1
	s_cbranch_execz .LBB1727_9
; %bb.7:
	v_ashrrev_i32_e32 v5, 31, v4
	s_delay_alu instid0(VALU_DEP_1) | instskip(NEXT) | instid1(VALU_DEP_1)
	v_lshlrev_b64 v[13:14], 3, v[4:5]
	v_add_co_u32 v5, s1, v6, v13
	s_delay_alu instid0(VALU_DEP_1)
	v_add_co_ci_u32_e64 v6, s1, v12, v14, s1
	v_cmp_eq_u32_e64 s1, v8, v4
	global_load_b64 v[12:13], v[5:6], off
	s_waitcnt vmcnt(0)
	v_dual_mul_f32 v3, s7, v11 :: v_dual_mul_f32 v14, s17, v13
	v_mul_f32_e32 v13, s16, v13
	s_delay_alu instid0(VALU_DEP_2) | instskip(SKIP_1) | instid1(VALU_DEP_3)
	v_fma_f32 v3, v10, s6, -v3
	v_mul_f32_e32 v11, s6, v11
	v_fmac_f32_e32 v13, s17, v12
	s_delay_alu instid0(VALU_DEP_2) | instskip(SKIP_1) | instid1(VALU_DEP_2)
	v_fmac_f32_e32 v11, s7, v10
	v_fma_f32 v10, v12, s16, -v14
	v_add_f32_e32 v11, v11, v13
	s_delay_alu instid0(VALU_DEP_2)
	v_add_f32_e32 v10, v3, v10
	global_store_b64 v[5:6], v[10:11], off
	s_and_b32 exec_lo, exec_lo, s1
	s_cbranch_execz .LBB1727_9
; %bb.8:
	v_mov_b32_e32 v3, 0
	global_store_b32 v[5:6], v3, off offset:4
.LBB1727_9:
	s_or_b32 exec_lo, exec_lo, s4
	v_add_nc_u32_e32 v12, 16, v8
	s_delay_alu instid0(VALU_DEP_1) | instskip(SKIP_3) | instid1(VALU_DEP_4)
	v_ashrrev_i32_e32 v3, 31, v12
	v_mul_lo_u32 v10, v12, s19
	v_mad_u64_u32 v[5:6], null, v12, s18, 0
	v_cmp_le_i32_e64 s1, v12, v2
	v_mul_lo_u32 v3, v3, s18
	s_delay_alu instid0(VALU_DEP_1) | instskip(NEXT) | instid1(VALU_DEP_1)
	v_add3_u32 v6, v6, v10, v3
	v_lshlrev_b64 v[5:6], 3, v[5:6]
	s_delay_alu instid0(VALU_DEP_1) | instskip(NEXT) | instid1(VALU_DEP_1)
	v_add_co_u32 v10, s2, s2, v5
	v_add_co_ci_u32_e64 v11, s2, s3, v6, s2
	s_and_b32 s2, s1, vcc_lo
	s_delay_alu instid0(SALU_CYCLE_1)
	s_and_saveexec_b32 s1, s2
	s_cbranch_execz .LBB1727_12
; %bb.10:
	v_ashrrev_i32_e32 v3, 31, v2
	s_delay_alu instid0(VALU_DEP_1) | instskip(NEXT) | instid1(VALU_DEP_1)
	v_lshlrev_b64 v[5:6], 3, v[2:3]
	v_add_co_u32 v5, vcc_lo, v10, v5
	s_delay_alu instid0(VALU_DEP_2) | instskip(SKIP_4) | instid1(VALU_DEP_1)
	v_add_co_ci_u32_e32 v6, vcc_lo, v11, v6, vcc_lo
	v_cmp_eq_u32_e32 vcc_lo, v12, v2
	global_load_b64 v[13:14], v[5:6], off
	v_mul_f32_e32 v3, s7, v9
	v_mul_f32_e32 v9, s6, v9
	v_fmac_f32_e32 v9, s7, v7
	s_waitcnt vmcnt(0)
	v_mul_f32_e32 v15, s17, v14
	v_mul_f32_e32 v14, s16, v14
	v_fma_f32 v3, v7, s6, -v3
	s_delay_alu instid0(VALU_DEP_2) | instskip(NEXT) | instid1(VALU_DEP_4)
	v_fmac_f32_e32 v14, s17, v13
	v_fma_f32 v7, v13, s16, -v15
	s_delay_alu instid0(VALU_DEP_1)
	v_dual_add_f32 v14, v9, v14 :: v_dual_add_f32 v13, v3, v7
	global_store_b64 v[5:6], v[13:14], off
	s_and_b32 exec_lo, exec_lo, vcc_lo
	s_cbranch_execz .LBB1727_12
; %bb.11:
	v_mov_b32_e32 v3, 0
	global_store_b32 v[5:6], v3, off offset:4
.LBB1727_12:
	s_or_b32 exec_lo, exec_lo, s1
	v_cmp_le_i32_e32 vcc_lo, v12, v4
	s_and_b32 s0, vcc_lo, s0
	s_delay_alu instid0(SALU_CYCLE_1)
	s_and_saveexec_b32 s1, s0
	s_cbranch_execz .LBB1727_15
; %bb.13:
	v_ashrrev_i32_e32 v5, 31, v4
	s_delay_alu instid0(VALU_DEP_1) | instskip(NEXT) | instid1(VALU_DEP_1)
	v_lshlrev_b64 v[3:4], 3, v[4:5]
	v_add_co_u32 v3, vcc_lo, v10, v3
	s_delay_alu instid0(VALU_DEP_2)
	v_add_co_ci_u32_e32 v4, vcc_lo, v11, v4, vcc_lo
	v_cmp_eq_u32_e32 vcc_lo, v8, v2
	global_load_b64 v[5:6], v[3:4], off
	v_mul_f32_e32 v7, s7, v1
	s_waitcnt vmcnt(0)
	v_mul_f32_e32 v9, s17, v6
	v_mul_f32_e32 v6, s16, v6
	s_delay_alu instid0(VALU_DEP_3) | instskip(SKIP_1) | instid1(VALU_DEP_1)
	v_fma_f32 v7, v0, s6, -v7
	v_mul_f32_e32 v1, s6, v1
	v_dual_fmac_f32 v6, s17, v5 :: v_dual_fmac_f32 v1, s7, v0
	v_fma_f32 v0, v5, s16, -v9
	s_delay_alu instid0(VALU_DEP_1)
	v_dual_add_f32 v1, v1, v6 :: v_dual_add_f32 v0, v7, v0
	global_store_b64 v[3:4], v[0:1], off
	s_and_b32 exec_lo, exec_lo, vcc_lo
	s_cbranch_execz .LBB1727_15
; %bb.14:
	v_mov_b32_e32 v0, 0
	global_store_b32 v[3:4], v0, off offset:4
.LBB1727_15:
	s_nop 0
	s_sendmsg sendmsg(MSG_DEALLOC_VGPRS)
	s_endpgm
	.section	.rodata,"a",@progbits
	.p2align	6, 0x0
	.amdhsa_kernel _ZL37rocblas_syrkx_herkx_restricted_kernelIl19rocblas_complex_numIfELi16ELi32ELi8ELb0ELb1ELc67ELc76EKPKS1_KPS1_EviT_T0_PT8_S7_lSA_S7_lS8_PT9_S7_li
		.amdhsa_group_segment_fixed_size 4096
		.amdhsa_private_segment_fixed_size 0
		.amdhsa_kernarg_size 108
		.amdhsa_user_sgpr_count 13
		.amdhsa_user_sgpr_dispatch_ptr 0
		.amdhsa_user_sgpr_queue_ptr 0
		.amdhsa_user_sgpr_kernarg_segment_ptr 1
		.amdhsa_user_sgpr_dispatch_id 0
		.amdhsa_user_sgpr_private_segment_size 0
		.amdhsa_wavefront_size32 1
		.amdhsa_uses_dynamic_stack 0
		.amdhsa_enable_private_segment 0
		.amdhsa_system_sgpr_workgroup_id_x 1
		.amdhsa_system_sgpr_workgroup_id_y 1
		.amdhsa_system_sgpr_workgroup_id_z 1
		.amdhsa_system_sgpr_workgroup_info 0
		.amdhsa_system_vgpr_workitem_id 1
		.amdhsa_next_free_vgpr 91
		.amdhsa_next_free_sgpr 24
		.amdhsa_reserve_vcc 1
		.amdhsa_float_round_mode_32 0
		.amdhsa_float_round_mode_16_64 0
		.amdhsa_float_denorm_mode_32 3
		.amdhsa_float_denorm_mode_16_64 3
		.amdhsa_dx10_clamp 1
		.amdhsa_ieee_mode 1
		.amdhsa_fp16_overflow 0
		.amdhsa_workgroup_processor_mode 1
		.amdhsa_memory_ordered 1
		.amdhsa_forward_progress 0
		.amdhsa_shared_vgpr_count 0
		.amdhsa_exception_fp_ieee_invalid_op 0
		.amdhsa_exception_fp_denorm_src 0
		.amdhsa_exception_fp_ieee_div_zero 0
		.amdhsa_exception_fp_ieee_overflow 0
		.amdhsa_exception_fp_ieee_underflow 0
		.amdhsa_exception_fp_ieee_inexact 0
		.amdhsa_exception_int_div_zero 0
	.end_amdhsa_kernel
	.section	.text._ZL37rocblas_syrkx_herkx_restricted_kernelIl19rocblas_complex_numIfELi16ELi32ELi8ELb0ELb1ELc67ELc76EKPKS1_KPS1_EviT_T0_PT8_S7_lSA_S7_lS8_PT9_S7_li,"axG",@progbits,_ZL37rocblas_syrkx_herkx_restricted_kernelIl19rocblas_complex_numIfELi16ELi32ELi8ELb0ELb1ELc67ELc76EKPKS1_KPS1_EviT_T0_PT8_S7_lSA_S7_lS8_PT9_S7_li,comdat
.Lfunc_end1727:
	.size	_ZL37rocblas_syrkx_herkx_restricted_kernelIl19rocblas_complex_numIfELi16ELi32ELi8ELb0ELb1ELc67ELc76EKPKS1_KPS1_EviT_T0_PT8_S7_lSA_S7_lS8_PT9_S7_li, .Lfunc_end1727-_ZL37rocblas_syrkx_herkx_restricted_kernelIl19rocblas_complex_numIfELi16ELi32ELi8ELb0ELb1ELc67ELc76EKPKS1_KPS1_EviT_T0_PT8_S7_lSA_S7_lS8_PT9_S7_li
                                        ; -- End function
	.section	.AMDGPU.csdata,"",@progbits
; Kernel info:
; codeLenInByte = 2508
; NumSgprs: 26
; NumVgprs: 91
; ScratchSize: 0
; MemoryBound: 0
; FloatMode: 240
; IeeeMode: 1
; LDSByteSize: 4096 bytes/workgroup (compile time only)
; SGPRBlocks: 3
; VGPRBlocks: 11
; NumSGPRsForWavesPerEU: 26
; NumVGPRsForWavesPerEU: 91
; Occupancy: 16
; WaveLimiterHint : 1
; COMPUTE_PGM_RSRC2:SCRATCH_EN: 0
; COMPUTE_PGM_RSRC2:USER_SGPR: 13
; COMPUTE_PGM_RSRC2:TRAP_HANDLER: 0
; COMPUTE_PGM_RSRC2:TGID_X_EN: 1
; COMPUTE_PGM_RSRC2:TGID_Y_EN: 1
; COMPUTE_PGM_RSRC2:TGID_Z_EN: 1
; COMPUTE_PGM_RSRC2:TIDIG_COMP_CNT: 1
	.section	.text._ZL37rocblas_syrkx_herkx_restricted_kernelIl19rocblas_complex_numIfELi16ELi32ELi8ELb0ELb1ELc78ELc76EKPKS1_KPS1_EviT_T0_PT8_S7_lSA_S7_lS8_PT9_S7_li,"axG",@progbits,_ZL37rocblas_syrkx_herkx_restricted_kernelIl19rocblas_complex_numIfELi16ELi32ELi8ELb0ELb1ELc78ELc76EKPKS1_KPS1_EviT_T0_PT8_S7_lSA_S7_lS8_PT9_S7_li,comdat
	.globl	_ZL37rocblas_syrkx_herkx_restricted_kernelIl19rocblas_complex_numIfELi16ELi32ELi8ELb0ELb1ELc78ELc76EKPKS1_KPS1_EviT_T0_PT8_S7_lSA_S7_lS8_PT9_S7_li ; -- Begin function _ZL37rocblas_syrkx_herkx_restricted_kernelIl19rocblas_complex_numIfELi16ELi32ELi8ELb0ELb1ELc78ELc76EKPKS1_KPS1_EviT_T0_PT8_S7_lSA_S7_lS8_PT9_S7_li
	.p2align	8
	.type	_ZL37rocblas_syrkx_herkx_restricted_kernelIl19rocblas_complex_numIfELi16ELi32ELi8ELb0ELb1ELc78ELc76EKPKS1_KPS1_EviT_T0_PT8_S7_lSA_S7_lS8_PT9_S7_li,@function
_ZL37rocblas_syrkx_herkx_restricted_kernelIl19rocblas_complex_numIfELi16ELi32ELi8ELb0ELb1ELc78ELc76EKPKS1_KPS1_EviT_T0_PT8_S7_lSA_S7_lS8_PT9_S7_li: ; @_ZL37rocblas_syrkx_herkx_restricted_kernelIl19rocblas_complex_numIfELi16ELi32ELi8ELb0ELb1ELc78ELc76EKPKS1_KPS1_EviT_T0_PT8_S7_lSA_S7_lS8_PT9_S7_li
; %bb.0:
	s_clause 0x1
	s_load_b128 s[16:19], s[0:1], 0x48
	s_load_b256 s[4:11], s[0:1], 0x8
	s_mov_b32 s2, s15
	s_mov_b32 s3, 0
	v_dual_mov_b32 v15, 0 :: v_dual_and_b32 v4, 0x3ff, v0
	s_lshl_b64 s[20:21], s[2:3], 3
	v_bfe_u32 v8, v0, 10, 10
	v_dual_mov_b32 v14, 0 :: v_dual_mov_b32 v11, 0
	v_dual_mov_b32 v10, 0 :: v_dual_mov_b32 v7, 0
	;; [unrolled: 1-line block ×3, first 2 shown]
	v_mov_b32_e32 v5, 0
	s_waitcnt lgkmcnt(0)
	s_add_u32 s2, s18, s20
	s_addc_u32 s3, s19, s21
	s_load_b64 s[18:19], s[0:1], 0x58
	s_load_b64 s[2:3], s[2:3], 0x0
	v_cmp_lt_i64_e64 s12, s[4:5], 1
	s_lshl_b32 s22, s13, 5
	s_lshl_b32 s23, s14, 5
	s_delay_alu instid0(VALU_DEP_1)
	s_and_b32 vcc_lo, exec_lo, s12
	s_cbranch_vccnz .LBB1728_3
; %bb.1:
	v_lshl_add_u32 v1, v8, 4, v4
	s_load_b128 s[12:15], s[0:1], 0x30
	s_add_u32 s8, s8, s20
	s_addc_u32 s9, s9, s21
	v_lshlrev_b32_e32 v12, 3, v4
	v_dual_mov_b32 v5, 0 :: v_dual_and_b32 v16, 31, v1
	v_lshrrev_b32_e32 v17, 3, v1
	v_lshrrev_b32_e32 v18, 5, v1
	s_load_b64 s[8:9], s[8:9], 0x0
	s_delay_alu instid0(VALU_DEP_3) | instskip(NEXT) | instid1(VALU_DEP_3)
	v_dual_mov_b32 v9, 0 :: v_dual_add_nc_u32 v0, s22, v16
	v_add_nc_u32_e32 v2, s23, v17
	v_lshl_add_u32 v13, v8, 6, 0x800
	s_delay_alu instid0(VALU_DEP_3) | instskip(NEXT) | instid1(VALU_DEP_3)
	v_ashrrev_i32_e32 v1, 31, v0
	v_ashrrev_i32_e32 v3, 31, v2
	s_delay_alu instid0(VALU_DEP_2)
	v_mad_u64_u32 v[10:11], null, v18, s10, v[0:1]
	v_and_b32_e32 v7, 7, v4
	s_waitcnt lgkmcnt(0)
	s_add_u32 s12, s12, s20
	s_addc_u32 s13, s13, s21
	s_load_b64 s[12:13], s[12:13], 0x0
	v_mad_u64_u32 v[0:1], null, v7, s14, v[2:3]
	s_delay_alu instid0(VALU_DEP_3) | instskip(SKIP_1) | instid1(VALU_DEP_2)
	v_mov_b32_e32 v2, v11
	v_mov_b32_e32 v6, 0
	v_mad_u64_u32 v[14:15], null, v18, s11, v[2:3]
	s_delay_alu instid0(VALU_DEP_4) | instskip(SKIP_2) | instid1(VALU_DEP_4)
	v_mad_u64_u32 v[2:3], null, v7, s15, v[1:2]
	v_lshlrev_b32_e32 v1, 3, v7
	v_mov_b32_e32 v7, 0
	v_dual_mov_b32 v11, v14 :: v_dual_lshlrev_b32 v14, 3, v16
	s_delay_alu instid0(VALU_DEP_3) | instskip(SKIP_1) | instid1(VALU_DEP_3)
	v_lshl_or_b32 v15, v17, 6, v1
	v_mov_b32_e32 v1, v2
	v_lshlrev_b64 v[2:3], 3, v[10:11]
	s_delay_alu instid0(VALU_DEP_4) | instskip(NEXT) | instid1(VALU_DEP_4)
	v_lshl_or_b32 v16, v18, 8, v14
	v_dual_mov_b32 v10, 0 :: v_dual_add_nc_u32 v17, 0x800, v15
	s_delay_alu instid0(VALU_DEP_4) | instskip(SKIP_4) | instid1(VALU_DEP_4)
	v_lshlrev_b64 v[0:1], 3, v[0:1]
	v_mov_b32_e32 v15, 0
	v_add_co_u32 v2, vcc_lo, v2, s8
	v_add_co_ci_u32_e32 v3, vcc_lo, s9, v3, vcc_lo
	s_waitcnt lgkmcnt(0)
	v_add_co_u32 v11, vcc_lo, v0, s12
	v_add_co_ci_u32_e32 v14, vcc_lo, s13, v1, vcc_lo
	v_add_co_u32 v0, vcc_lo, v2, 4
	v_add_co_ci_u32_e32 v1, vcc_lo, 0, v3, vcc_lo
	s_delay_alu instid0(VALU_DEP_4) | instskip(NEXT) | instid1(VALU_DEP_4)
	v_add_co_u32 v2, vcc_lo, v11, 4
	v_add_co_ci_u32_e32 v3, vcc_lo, 0, v14, vcc_lo
	v_dual_mov_b32 v11, 0 :: v_dual_mov_b32 v14, 0
	s_lshl_b64 s[8:9], s[10:11], 6
	s_lshl_b64 s[10:11], s[14:15], 6
	s_mov_b64 s[12:13], 0
.LBB1728_2:                             ; =>This Inner Loop Header: Depth=1
	global_load_b64 v[18:19], v[2:3], off offset:-4
	global_load_b64 v[20:21], v[0:1], off offset:-4
	s_add_u32 s12, s12, 8
	v_add_co_u32 v0, vcc_lo, v0, s8
	s_addc_u32 s13, s13, 0
	v_add_co_ci_u32_e32 v1, vcc_lo, s9, v1, vcc_lo
	v_cmp_ge_u64_e64 s14, s[12:13], s[4:5]
	v_add_co_u32 v2, vcc_lo, v2, s10
	v_add_co_ci_u32_e32 v3, vcc_lo, s11, v3, vcc_lo
	s_delay_alu instid0(VALU_DEP_3)
	s_and_b32 vcc_lo, exec_lo, s14
	s_waitcnt vmcnt(1)
	v_xor_b32_e32 v19, 0x80000000, v19
	s_waitcnt vmcnt(0)
	ds_store_b64 v16, v[20:21]
	ds_store_b64 v17, v[18:19]
	s_waitcnt lgkmcnt(0)
	s_barrier
	buffer_gl0_inv
	ds_load_2addr_b64 v[18:21], v12 offset1:16
	ds_load_b128 v[22:25], v13
	ds_load_b128 v[26:29], v13 offset:1024
	ds_load_b128 v[30:33], v13 offset:16
	;; [unrolled: 1-line block ×4, first 2 shown]
	ds_load_2addr_b64 v[42:45], v12 offset0:32 offset1:48
	ds_load_2addr_b64 v[46:49], v12 offset0:64 offset1:80
	ds_load_b128 v[50:53], v13 offset:1040
	ds_load_2addr_b64 v[54:57], v12 offset0:96 offset1:112
	ds_load_2addr_b64 v[58:61], v12 offset0:128 offset1:144
	;; [unrolled: 1-line block ×4, first 2 shown]
	ds_load_b128 v[70:73], v13 offset:1056
	ds_load_b128 v[74:77], v13 offset:1072
	ds_load_2addr_b64 v[78:81], v12 offset0:224 offset1:240
	s_waitcnt lgkmcnt(0)
	s_barrier
	buffer_gl0_inv
	v_dual_mul_f32 v82, v23, v19 :: v_dual_mul_f32 v85, v22, v21
	v_dual_mul_f32 v83, v22, v19 :: v_dual_mul_f32 v84, v23, v21
	v_mul_f32_e32 v86, v27, v19
	v_dual_mul_f32 v19, v26, v19 :: v_dual_mul_f32 v90, v25, v45
	v_dual_mul_f32 v87, v27, v21 :: v_dual_mul_f32 v88, v25, v43
	v_mul_f32_e32 v21, v26, v21
	v_mul_f32_e32 v89, v24, v43
	v_mul_f32_e32 v91, v24, v45
	v_fma_f32 v82, v22, v18, -v82
	v_fmac_f32_e32 v83, v23, v18
	v_fma_f32 v22, v22, v20, -v84
	v_dual_fmac_f32 v85, v23, v20 :: v_dual_mul_f32 v84, v30, v47
	v_fma_f32 v23, v26, v18, -v86
	v_fmac_f32_e32 v19, v27, v18
	v_fma_f32 v18, v26, v20, -v87
	v_dual_mul_f32 v26, v28, v43 :: v_dual_fmac_f32 v21, v27, v20
	v_mul_f32_e32 v20, v29, v43
	v_mul_f32_e32 v27, v29, v45
	v_dual_mul_f32 v43, v28, v45 :: v_dual_fmac_f32 v84, v31, v46
	v_fma_f32 v45, v24, v42, -v88
	v_fma_f32 v24, v24, v44, -v90
	v_dual_fmac_f32 v91, v25, v44 :: v_dual_mul_f32 v90, v32, v57
	v_dual_mul_f32 v86, v31, v49 :: v_dual_fmac_f32 v89, v25, v42
	v_dual_mul_f32 v25, v31, v47 :: v_dual_mul_f32 v88, v33, v57
	v_fma_f32 v20, v28, v42, -v20
	v_fmac_f32_e32 v26, v29, v42
	v_fma_f32 v27, v28, v44, -v27
	v_dual_fmac_f32 v43, v29, v44 :: v_dual_mul_f32 v28, v51, v47
	v_dual_mul_f32 v29, v50, v47 :: v_dual_mul_f32 v42, v51, v49
	v_mul_f32_e32 v44, v50, v49
	v_mul_f32_e32 v87, v30, v49
	;; [unrolled: 1-line block ×3, first 2 shown]
	v_dual_mul_f32 v49, v32, v55 :: v_dual_fmac_f32 v90, v33, v56
	v_fma_f32 v25, v30, v46, -v25
	v_fma_f32 v30, v30, v48, -v86
	;; [unrolled: 1-line block ×3, first 2 shown]
	v_fmac_f32_e32 v44, v51, v48
	v_fmac_f32_e32 v87, v31, v48
	v_fma_f32 v31, v50, v48, -v42
	v_mul_f32_e32 v42, v53, v55
	v_mul_f32_e32 v48, v53, v57
	v_dual_mul_f32 v50, v52, v57 :: v_dual_fmac_f32 v29, v51, v46
	v_mul_f32_e32 v46, v52, v55
	v_fma_f32 v47, v32, v54, -v47
	v_fmac_f32_e32 v49, v33, v54
	v_fma_f32 v32, v32, v56, -v88
	s_delay_alu instid0(VALU_DEP_4)
	v_dual_mul_f32 v33, v35, v59 :: v_dual_fmac_f32 v46, v53, v54
	v_mul_f32_e32 v51, v34, v59
	v_mul_f32_e32 v55, v35, v61
	v_fma_f32 v42, v52, v54, -v42
	v_fma_f32 v48, v52, v56, -v48
	v_fmac_f32_e32 v50, v53, v56
	v_mul_f32_e32 v52, v71, v59
	v_dual_mul_f32 v53, v70, v59 :: v_dual_mul_f32 v86, v37, v65
	v_mul_f32_e32 v54, v71, v61
	v_dual_mul_f32 v56, v70, v61 :: v_dual_mul_f32 v59, v37, v63
	v_mul_f32_e32 v57, v34, v61
	v_mul_f32_e32 v61, v36, v63
	v_dual_mul_f32 v88, v36, v65 :: v_dual_fmac_f32 v51, v35, v58
	v_fma_f32 v33, v34, v58, -v33
	v_fmac_f32_e32 v53, v71, v58
	v_fmac_f32_e32 v56, v71, v60
	s_delay_alu instid0(VALU_DEP_4)
	v_fmac_f32_e32 v88, v37, v64
	v_fmac_f32_e32 v57, v35, v60
	v_fma_f32 v35, v70, v58, -v52
	v_fma_f32 v52, v70, v60, -v54
	v_mul_f32_e32 v54, v73, v63
	v_fma_f32 v34, v34, v60, -v55
	v_mul_f32_e32 v60, v72, v65
	v_dual_mul_f32 v55, v72, v63 :: v_dual_mul_f32 v70, v38, v69
	v_mul_f32_e32 v58, v73, v65
	v_fma_f32 v59, v36, v62, -v59
	v_fmac_f32_e32 v61, v37, v62
	v_fma_f32 v36, v36, v64, -v86
	v_dual_mul_f32 v37, v39, v67 :: v_dual_fmac_f32 v60, v73, v64
	v_dual_mul_f32 v63, v38, v67 :: v_dual_mul_f32 v86, v40, v81
	v_mul_f32_e32 v65, v39, v69
	v_fma_f32 v54, v72, v62, -v54
	v_fmac_f32_e32 v55, v73, v62
	v_fma_f32 v58, v72, v64, -v58
	v_mul_f32_e32 v72, v40, v79
	v_mul_f32_e32 v62, v75, v67
	v_dual_mul_f32 v64, v74, v67 :: v_dual_mul_f32 v67, v75, v69
	v_dual_mul_f32 v69, v74, v69 :: v_dual_fmac_f32 v70, v39, v68
	s_delay_alu instid0(VALU_DEP_2)
	v_dual_mul_f32 v71, v41, v79 :: v_dual_fmac_f32 v64, v75, v66
	v_dual_mul_f32 v73, v41, v81 :: v_dual_add_f32 v14, v14, v82
	v_fma_f32 v37, v38, v66, -v37
	v_fmac_f32_e32 v63, v39, v66
	v_fma_f32 v38, v38, v68, -v65
	v_fma_f32 v39, v74, v66, -v62
	v_dual_fmac_f32 v69, v75, v68 :: v_dual_fmac_f32 v72, v41, v78
	v_mul_f32_e32 v66, v76, v79
	v_fma_f32 v62, v74, v68, -v67
	v_dual_mul_f32 v68, v76, v81 :: v_dual_mul_f32 v65, v77, v79
	v_add_f32_e32 v10, v10, v85
	v_dual_mul_f32 v67, v77, v81 :: v_dual_add_f32 v6, v6, v18
	v_dual_fmac_f32 v86, v41, v80 :: v_dual_add_f32 v15, v15, v83
	s_delay_alu instid0(VALU_DEP_4) | instskip(SKIP_4) | instid1(VALU_DEP_4)
	v_dual_fmac_f32 v68, v77, v80 :: v_dual_add_f32 v11, v11, v22
	v_dual_add_f32 v9, v9, v19 :: v_dual_add_f32 v14, v14, v45
	v_dual_fmac_f32 v66, v77, v78 :: v_dual_add_f32 v7, v7, v23
	v_dual_add_f32 v5, v5, v21 :: v_dual_add_f32 v10, v10, v91
	v_dual_add_f32 v15, v15, v89 :: v_dual_add_f32 v6, v6, v27
	;; [unrolled: 1-line block ×3, first 2 shown]
	s_delay_alu instid0(VALU_DEP_3) | instskip(NEXT) | instid1(VALU_DEP_3)
	v_dual_add_f32 v7, v7, v20 :: v_dual_add_f32 v10, v10, v87
	v_dual_add_f32 v9, v9, v26 :: v_dual_add_f32 v6, v6, v31
	s_delay_alu instid0(VALU_DEP_3) | instskip(NEXT) | instid1(VALU_DEP_3)
	v_dual_add_f32 v15, v15, v84 :: v_dual_add_f32 v14, v14, v47
	v_dual_add_f32 v5, v5, v43 :: v_dual_add_f32 v10, v10, v90
	s_delay_alu instid0(VALU_DEP_3) | instskip(NEXT) | instid1(VALU_DEP_3)
	v_dual_add_f32 v11, v11, v30 :: v_dual_add_f32 v6, v6, v48
	v_dual_add_f32 v7, v7, v28 :: v_dual_add_f32 v14, v14, v33
	v_add_f32_e32 v9, v9, v29
	s_delay_alu instid0(VALU_DEP_4) | instskip(NEXT) | instid1(VALU_DEP_3)
	v_dual_add_f32 v5, v5, v44 :: v_dual_add_f32 v10, v10, v57
	v_dual_add_f32 v15, v15, v49 :: v_dual_add_f32 v14, v14, v59
	v_add_f32_e32 v6, v6, v52
	v_fma_f32 v71, v40, v78, -v71
	v_add_f32_e32 v11, v11, v32
	v_dual_add_f32 v7, v7, v42 :: v_dual_add_f32 v10, v10, v88
	v_dual_add_f32 v9, v9, v46 :: v_dual_add_f32 v14, v14, v37
	v_add_f32_e32 v5, v5, v50
	v_add_f32_e32 v6, v6, v58
	v_fma_f32 v41, v76, v78, -v65
	v_fma_f32 v65, v76, v80, -v67
	v_add_f32_e32 v14, v14, v71
	v_dual_add_f32 v15, v15, v51 :: v_dual_add_f32 v10, v10, v70
	v_dual_add_f32 v7, v7, v35 :: v_dual_add_f32 v6, v6, v62
	v_add_f32_e32 v11, v11, v34
	s_delay_alu instid0(VALU_DEP_3) | instskip(SKIP_3) | instid1(VALU_DEP_4)
	v_dual_add_f32 v9, v9, v53 :: v_dual_add_f32 v10, v10, v86
	v_add_f32_e32 v5, v5, v56
	v_add_f32_e32 v15, v15, v61
	;; [unrolled: 1-line block ×3, first 2 shown]
	v_dual_add_f32 v9, v9, v55 :: v_dual_add_f32 v6, v6, v65
	v_add_f32_e32 v11, v11, v36
	v_add_f32_e32 v5, v5, v60
	v_fma_f32 v40, v40, v80, -v73
	v_add_f32_e32 v15, v15, v63
	v_add_f32_e32 v7, v7, v39
	;; [unrolled: 1-line block ×10, first 2 shown]
	s_cbranch_vccz .LBB1728_2
.LBB1728_3:
	v_add_nc_u32_e32 v8, s23, v8
	s_load_b32 s4, s[0:1], 0x0
	s_delay_alu instid0(VALU_DEP_1) | instskip(SKIP_3) | instid1(VALU_DEP_3)
	v_ashrrev_i32_e32 v0, 31, v8
	s_waitcnt lgkmcnt(0)
	v_mul_lo_u32 v3, v8, s19
	v_mad_u64_u32 v[1:2], null, v8, s18, 0
	v_mul_lo_u32 v0, v0, s18
	s_delay_alu instid0(VALU_DEP_1) | instskip(SKIP_1) | instid1(VALU_DEP_2)
	v_add3_u32 v2, v2, v3, v0
	v_add_nc_u32_e32 v0, s22, v4
	v_lshlrev_b64 v[1:2], 3, v[1:2]
	s_delay_alu instid0(VALU_DEP_2) | instskip(SKIP_1) | instid1(VALU_DEP_3)
	v_cmp_le_i32_e64 s0, v8, v0
	v_cmp_gt_i32_e32 vcc_lo, s4, v0
	v_add_co_u32 v4, s1, s2, v1
	s_delay_alu instid0(VALU_DEP_1) | instskip(NEXT) | instid1(VALU_DEP_4)
	v_add_co_ci_u32_e64 v12, s1, s3, v2, s1
	s_and_b32 s0, s0, vcc_lo
	s_delay_alu instid0(SALU_CYCLE_1)
	s_and_saveexec_b32 s1, s0
	s_cbranch_execz .LBB1728_6
; %bb.4:
	v_ashrrev_i32_e32 v1, 31, v0
	s_delay_alu instid0(VALU_DEP_1) | instskip(NEXT) | instid1(VALU_DEP_1)
	v_lshlrev_b64 v[1:2], 3, v[0:1]
	v_add_co_u32 v1, s0, v4, v1
	s_delay_alu instid0(VALU_DEP_1)
	v_add_co_ci_u32_e64 v2, s0, v12, v2, s0
	v_cmp_eq_u32_e64 s0, v8, v0
	global_load_b64 v[16:17], v[1:2], off
	s_waitcnt vmcnt(0)
	v_mul_f32_e32 v13, s17, v17
	v_mul_f32_e32 v17, s16, v17
	s_delay_alu instid0(VALU_DEP_2) | instskip(NEXT) | instid1(VALU_DEP_2)
	v_fma_f32 v13, v16, s16, -v13
	v_fmac_f32_e32 v17, s17, v16
	v_mul_f32_e32 v3, s7, v15
	v_mul_f32_e32 v15, s6, v15
	s_delay_alu instid0(VALU_DEP_2) | instskip(NEXT) | instid1(VALU_DEP_2)
	v_fma_f32 v3, v14, s6, -v3
	v_fmac_f32_e32 v15, s7, v14
	s_delay_alu instid0(VALU_DEP_2) | instskip(NEXT) | instid1(VALU_DEP_2)
	v_add_f32_e32 v13, v3, v13
	v_add_f32_e32 v14, v15, v17
	global_store_b64 v[1:2], v[13:14], off
	s_and_b32 exec_lo, exec_lo, s0
	s_cbranch_execz .LBB1728_6
; %bb.5:
	v_mov_b32_e32 v3, 0
	global_store_b32 v[1:2], v3, off offset:4
.LBB1728_6:
	s_or_b32 exec_lo, exec_lo, s1
	v_add_nc_u32_e32 v2, 16, v0
	s_delay_alu instid0(VALU_DEP_1) | instskip(SKIP_1) | instid1(VALU_DEP_1)
	v_cmp_le_i32_e64 s1, v8, v2
	v_cmp_gt_i32_e64 s0, s4, v2
	s_and_b32 s1, s1, s0
	s_delay_alu instid0(SALU_CYCLE_1)
	s_and_saveexec_b32 s4, s1
	s_cbranch_execz .LBB1728_9
; %bb.7:
	v_ashrrev_i32_e32 v3, 31, v2
	s_delay_alu instid0(VALU_DEP_1) | instskip(NEXT) | instid1(VALU_DEP_1)
	v_lshlrev_b64 v[13:14], 3, v[2:3]
	v_add_co_u32 v3, s1, v4, v13
	s_delay_alu instid0(VALU_DEP_1)
	v_add_co_ci_u32_e64 v4, s1, v12, v14, s1
	v_cmp_eq_u32_e64 s1, v8, v2
	global_load_b64 v[12:13], v[3:4], off
	v_mul_f32_e32 v1, s7, v10
	v_mul_f32_e32 v14, s6, v10
	s_waitcnt vmcnt(0)
	v_mul_f32_e32 v10, s17, v13
	v_mul_f32_e32 v13, s16, v13
	v_fma_f32 v1, v11, s6, -v1
	v_fmac_f32_e32 v14, s7, v11
	s_delay_alu instid0(VALU_DEP_4) | instskip(NEXT) | instid1(VALU_DEP_1)
	v_fma_f32 v10, v12, s16, -v10
	v_dual_fmac_f32 v13, s17, v12 :: v_dual_add_f32 v10, v1, v10
	s_delay_alu instid0(VALU_DEP_1)
	v_add_f32_e32 v11, v14, v13
	global_store_b64 v[3:4], v[10:11], off
	s_and_b32 exec_lo, exec_lo, s1
	s_cbranch_execz .LBB1728_9
; %bb.8:
	v_mov_b32_e32 v1, 0
	global_store_b32 v[3:4], v1, off offset:4
.LBB1728_9:
	s_or_b32 exec_lo, exec_lo, s4
	v_add_nc_u32_e32 v12, 16, v8
	s_delay_alu instid0(VALU_DEP_1) | instskip(SKIP_3) | instid1(VALU_DEP_4)
	v_ashrrev_i32_e32 v1, 31, v12
	v_mul_lo_u32 v10, v12, s19
	v_mad_u64_u32 v[3:4], null, v12, s18, 0
	v_cmp_le_i32_e64 s1, v12, v0
	v_mul_lo_u32 v1, v1, s18
	s_delay_alu instid0(VALU_DEP_1) | instskip(NEXT) | instid1(VALU_DEP_1)
	v_add3_u32 v4, v4, v10, v1
	v_lshlrev_b64 v[3:4], 3, v[3:4]
	s_delay_alu instid0(VALU_DEP_1) | instskip(NEXT) | instid1(VALU_DEP_1)
	v_add_co_u32 v10, s2, s2, v3
	v_add_co_ci_u32_e64 v11, s2, s3, v4, s2
	s_and_b32 s2, s1, vcc_lo
	s_delay_alu instid0(SALU_CYCLE_1)
	s_and_saveexec_b32 s1, s2
	s_cbranch_execz .LBB1728_12
; %bb.10:
	v_ashrrev_i32_e32 v1, 31, v0
	s_delay_alu instid0(VALU_DEP_1) | instskip(NEXT) | instid1(VALU_DEP_1)
	v_lshlrev_b64 v[3:4], 3, v[0:1]
	v_add_co_u32 v3, vcc_lo, v10, v3
	s_delay_alu instid0(VALU_DEP_2) | instskip(SKIP_4) | instid1(VALU_DEP_1)
	v_add_co_ci_u32_e32 v4, vcc_lo, v11, v4, vcc_lo
	v_cmp_eq_u32_e32 vcc_lo, v12, v0
	global_load_b64 v[13:14], v[3:4], off
	v_mul_f32_e32 v1, s7, v9
	v_mul_f32_e32 v9, s6, v9
	v_fmac_f32_e32 v9, s7, v7
	s_waitcnt vmcnt(0)
	v_mul_f32_e32 v15, s17, v14
	v_mul_f32_e32 v14, s16, v14
	v_fma_f32 v1, v7, s6, -v1
	s_delay_alu instid0(VALU_DEP_2) | instskip(NEXT) | instid1(VALU_DEP_4)
	v_fmac_f32_e32 v14, s17, v13
	v_fma_f32 v7, v13, s16, -v15
	s_delay_alu instid0(VALU_DEP_2) | instskip(NEXT) | instid1(VALU_DEP_2)
	v_add_f32_e32 v14, v9, v14
	v_add_f32_e32 v13, v1, v7
	global_store_b64 v[3:4], v[13:14], off
	s_and_b32 exec_lo, exec_lo, vcc_lo
	s_cbranch_execz .LBB1728_12
; %bb.11:
	v_mov_b32_e32 v1, 0
	global_store_b32 v[3:4], v1, off offset:4
.LBB1728_12:
	s_or_b32 exec_lo, exec_lo, s1
	v_cmp_le_i32_e32 vcc_lo, v12, v2
	s_and_b32 s0, vcc_lo, s0
	s_delay_alu instid0(SALU_CYCLE_1)
	s_and_saveexec_b32 s1, s0
	s_cbranch_execz .LBB1728_15
; %bb.13:
	v_ashrrev_i32_e32 v3, 31, v2
	s_delay_alu instid0(VALU_DEP_1) | instskip(NEXT) | instid1(VALU_DEP_1)
	v_lshlrev_b64 v[1:2], 3, v[2:3]
	v_add_co_u32 v1, vcc_lo, v10, v1
	s_delay_alu instid0(VALU_DEP_2)
	v_add_co_ci_u32_e32 v2, vcc_lo, v11, v2, vcc_lo
	v_cmp_eq_u32_e32 vcc_lo, v8, v0
	global_load_b64 v[3:4], v[1:2], off
	v_mul_f32_e32 v7, s7, v5
	s_waitcnt vmcnt(0)
	v_mul_f32_e32 v9, s17, v4
	v_dual_mul_f32 v4, s16, v4 :: v_dual_mul_f32 v5, s6, v5
	s_delay_alu instid0(VALU_DEP_3) | instskip(NEXT) | instid1(VALU_DEP_2)
	v_fma_f32 v7, v6, s6, -v7
	v_dual_fmac_f32 v4, s17, v3 :: v_dual_fmac_f32 v5, s7, v6
	s_delay_alu instid0(VALU_DEP_4) | instskip(NEXT) | instid1(VALU_DEP_1)
	v_fma_f32 v6, v3, s16, -v9
	v_dual_add_f32 v4, v5, v4 :: v_dual_add_f32 v3, v7, v6
	global_store_b64 v[1:2], v[3:4], off
	s_and_b32 exec_lo, exec_lo, vcc_lo
	s_cbranch_execz .LBB1728_15
; %bb.14:
	v_mov_b32_e32 v0, 0
	global_store_b32 v[1:2], v0, off offset:4
.LBB1728_15:
	s_nop 0
	s_sendmsg sendmsg(MSG_DEALLOC_VGPRS)
	s_endpgm
	.section	.rodata,"a",@progbits
	.p2align	6, 0x0
	.amdhsa_kernel _ZL37rocblas_syrkx_herkx_restricted_kernelIl19rocblas_complex_numIfELi16ELi32ELi8ELb0ELb1ELc78ELc76EKPKS1_KPS1_EviT_T0_PT8_S7_lSA_S7_lS8_PT9_S7_li
		.amdhsa_group_segment_fixed_size 4096
		.amdhsa_private_segment_fixed_size 0
		.amdhsa_kernarg_size 108
		.amdhsa_user_sgpr_count 13
		.amdhsa_user_sgpr_dispatch_ptr 0
		.amdhsa_user_sgpr_queue_ptr 0
		.amdhsa_user_sgpr_kernarg_segment_ptr 1
		.amdhsa_user_sgpr_dispatch_id 0
		.amdhsa_user_sgpr_private_segment_size 0
		.amdhsa_wavefront_size32 1
		.amdhsa_uses_dynamic_stack 0
		.amdhsa_enable_private_segment 0
		.amdhsa_system_sgpr_workgroup_id_x 1
		.amdhsa_system_sgpr_workgroup_id_y 1
		.amdhsa_system_sgpr_workgroup_id_z 1
		.amdhsa_system_sgpr_workgroup_info 0
		.amdhsa_system_vgpr_workitem_id 1
		.amdhsa_next_free_vgpr 92
		.amdhsa_next_free_sgpr 24
		.amdhsa_reserve_vcc 1
		.amdhsa_float_round_mode_32 0
		.amdhsa_float_round_mode_16_64 0
		.amdhsa_float_denorm_mode_32 3
		.amdhsa_float_denorm_mode_16_64 3
		.amdhsa_dx10_clamp 1
		.amdhsa_ieee_mode 1
		.amdhsa_fp16_overflow 0
		.amdhsa_workgroup_processor_mode 1
		.amdhsa_memory_ordered 1
		.amdhsa_forward_progress 0
		.amdhsa_shared_vgpr_count 0
		.amdhsa_exception_fp_ieee_invalid_op 0
		.amdhsa_exception_fp_denorm_src 0
		.amdhsa_exception_fp_ieee_div_zero 0
		.amdhsa_exception_fp_ieee_overflow 0
		.amdhsa_exception_fp_ieee_underflow 0
		.amdhsa_exception_fp_ieee_inexact 0
		.amdhsa_exception_int_div_zero 0
	.end_amdhsa_kernel
	.section	.text._ZL37rocblas_syrkx_herkx_restricted_kernelIl19rocblas_complex_numIfELi16ELi32ELi8ELb0ELb1ELc78ELc76EKPKS1_KPS1_EviT_T0_PT8_S7_lSA_S7_lS8_PT9_S7_li,"axG",@progbits,_ZL37rocblas_syrkx_herkx_restricted_kernelIl19rocblas_complex_numIfELi16ELi32ELi8ELb0ELb1ELc78ELc76EKPKS1_KPS1_EviT_T0_PT8_S7_lSA_S7_lS8_PT9_S7_li,comdat
.Lfunc_end1728:
	.size	_ZL37rocblas_syrkx_herkx_restricted_kernelIl19rocblas_complex_numIfELi16ELi32ELi8ELb0ELb1ELc78ELc76EKPKS1_KPS1_EviT_T0_PT8_S7_lSA_S7_lS8_PT9_S7_li, .Lfunc_end1728-_ZL37rocblas_syrkx_herkx_restricted_kernelIl19rocblas_complex_numIfELi16ELi32ELi8ELb0ELb1ELc78ELc76EKPKS1_KPS1_EviT_T0_PT8_S7_lSA_S7_lS8_PT9_S7_li
                                        ; -- End function
	.section	.AMDGPU.csdata,"",@progbits
; Kernel info:
; codeLenInByte = 2508
; NumSgprs: 26
; NumVgprs: 92
; ScratchSize: 0
; MemoryBound: 0
; FloatMode: 240
; IeeeMode: 1
; LDSByteSize: 4096 bytes/workgroup (compile time only)
; SGPRBlocks: 3
; VGPRBlocks: 11
; NumSGPRsForWavesPerEU: 26
; NumVGPRsForWavesPerEU: 92
; Occupancy: 16
; WaveLimiterHint : 1
; COMPUTE_PGM_RSRC2:SCRATCH_EN: 0
; COMPUTE_PGM_RSRC2:USER_SGPR: 13
; COMPUTE_PGM_RSRC2:TRAP_HANDLER: 0
; COMPUTE_PGM_RSRC2:TGID_X_EN: 1
; COMPUTE_PGM_RSRC2:TGID_Y_EN: 1
; COMPUTE_PGM_RSRC2:TGID_Z_EN: 1
; COMPUTE_PGM_RSRC2:TIDIG_COMP_CNT: 1
	.section	.text._ZL37rocblas_syrkx_herkx_restricted_kernelIl19rocblas_complex_numIfELi16ELi32ELi8ELb0ELb1ELc84ELc85EKPKS1_KPS1_EviT_T0_PT8_S7_lSA_S7_lS8_PT9_S7_li,"axG",@progbits,_ZL37rocblas_syrkx_herkx_restricted_kernelIl19rocblas_complex_numIfELi16ELi32ELi8ELb0ELb1ELc84ELc85EKPKS1_KPS1_EviT_T0_PT8_S7_lSA_S7_lS8_PT9_S7_li,comdat
	.globl	_ZL37rocblas_syrkx_herkx_restricted_kernelIl19rocblas_complex_numIfELi16ELi32ELi8ELb0ELb1ELc84ELc85EKPKS1_KPS1_EviT_T0_PT8_S7_lSA_S7_lS8_PT9_S7_li ; -- Begin function _ZL37rocblas_syrkx_herkx_restricted_kernelIl19rocblas_complex_numIfELi16ELi32ELi8ELb0ELb1ELc84ELc85EKPKS1_KPS1_EviT_T0_PT8_S7_lSA_S7_lS8_PT9_S7_li
	.p2align	8
	.type	_ZL37rocblas_syrkx_herkx_restricted_kernelIl19rocblas_complex_numIfELi16ELi32ELi8ELb0ELb1ELc84ELc85EKPKS1_KPS1_EviT_T0_PT8_S7_lSA_S7_lS8_PT9_S7_li,@function
_ZL37rocblas_syrkx_herkx_restricted_kernelIl19rocblas_complex_numIfELi16ELi32ELi8ELb0ELb1ELc84ELc85EKPKS1_KPS1_EviT_T0_PT8_S7_lSA_S7_lS8_PT9_S7_li: ; @_ZL37rocblas_syrkx_herkx_restricted_kernelIl19rocblas_complex_numIfELi16ELi32ELi8ELb0ELb1ELc84ELc85EKPKS1_KPS1_EviT_T0_PT8_S7_lSA_S7_lS8_PT9_S7_li
; %bb.0:
	s_clause 0x1
	s_load_b128 s[16:19], s[0:1], 0x48
	s_load_b256 s[4:11], s[0:1], 0x8
	s_mov_b32 s2, s15
	s_mov_b32 s3, 0
	v_dual_mov_b32 v17, 0 :: v_dual_and_b32 v6, 0x3ff, v0
	s_lshl_b64 s[20:21], s[2:3], 3
	v_bfe_u32 v8, v0, 10, 10
	v_dual_mov_b32 v16, 0 :: v_dual_mov_b32 v11, 0
	v_dual_mov_b32 v10, 0 :: v_dual_mov_b32 v7, 0
	;; [unrolled: 1-line block ×3, first 2 shown]
	v_mov_b32_e32 v1, 0
	s_waitcnt lgkmcnt(0)
	s_add_u32 s2, s18, s20
	s_addc_u32 s3, s19, s21
	s_load_b64 s[18:19], s[0:1], 0x58
	s_load_b64 s[2:3], s[2:3], 0x0
	v_cmp_lt_i64_e64 s12, s[4:5], 1
	s_lshl_b32 s22, s13, 5
	s_lshl_b32 s23, s14, 5
	s_delay_alu instid0(VALU_DEP_1)
	s_and_b32 vcc_lo, exec_lo, s12
	s_cbranch_vccnz .LBB1729_3
; %bb.1:
	s_load_b128 s[12:15], s[0:1], 0x30
	v_lshl_add_u32 v2, v8, 4, v6
	v_dual_mov_b32 v1, 0 :: v_dual_and_b32 v0, 7, v6
	s_add_u32 s8, s8, s20
	s_addc_u32 s9, s9, s21
	s_delay_alu instid0(VALU_DEP_2)
	v_and_b32_e32 v11, 31, v2
	v_lshrrev_b32_e32 v7, 3, v2
	v_lshrrev_b32_e32 v2, 5, v2
	s_load_b64 s[8:9], s[8:9], 0x0
	v_mov_b32_e32 v3, v1
	v_add_nc_u32_e32 v9, s22, v11
	v_add_nc_u32_e32 v12, s23, v7
	v_dual_mov_b32 v16, v1 :: v_dual_lshlrev_b32 v11, 3, v11
	v_mov_b32_e32 v17, v1
	s_delay_alu instid0(VALU_DEP_4) | instskip(NEXT) | instid1(VALU_DEP_4)
	v_ashrrev_i32_e32 v13, 31, v9
	v_ashrrev_i32_e32 v10, 31, v12
	v_mad_u64_u32 v[4:5], null, s10, v9, v[2:3]
	s_waitcnt lgkmcnt(0)
	s_add_u32 s12, s12, s20
	v_mul_lo_u32 v3, s11, v9
	v_mul_lo_u32 v13, s10, v13
	s_addc_u32 s13, s13, s21
	v_mul_lo_u32 v14, v10, s14
	s_load_b64 s[10:11], s[12:13], 0x0
	v_mul_lo_u32 v15, v12, s15
	v_mad_u64_u32 v[9:10], null, v12, s14, v[0:1]
	v_lshlrev_b32_e32 v0, 3, v0
	v_add3_u32 v5, v3, v5, v13
	v_lshlrev_b32_e32 v12, 3, v6
	v_lshl_add_u32 v13, v8, 6, 0x800
	s_delay_alu instid0(VALU_DEP_4)
	v_lshl_or_b32 v0, v7, 6, v0
	v_mov_b32_e32 v7, v1
	v_add3_u32 v10, v14, v10, v15
	v_lshlrev_b64 v[3:4], 3, v[4:5]
	v_lshl_or_b32 v14, v2, 8, v11
	v_add_nc_u32_e32 v15, 0x800, v0
	v_mov_b32_e32 v11, v1
	v_lshlrev_b64 v[9:10], 3, v[9:10]
	v_add_co_u32 v0, vcc_lo, v3, s8
	v_add_co_ci_u32_e32 v3, vcc_lo, s9, v4, vcc_lo
	s_waitcnt lgkmcnt(0)
	s_delay_alu instid0(VALU_DEP_3) | instskip(NEXT) | instid1(VALU_DEP_4)
	v_add_co_u32 v4, vcc_lo, v9, s10
	v_add_co_ci_u32_e32 v5, vcc_lo, s11, v10, vcc_lo
	v_add_co_u32 v2, vcc_lo, v0, 4
	v_add_co_ci_u32_e32 v3, vcc_lo, 0, v3, vcc_lo
	s_delay_alu instid0(VALU_DEP_4) | instskip(NEXT) | instid1(VALU_DEP_4)
	v_add_co_u32 v4, vcc_lo, v4, 4
	v_add_co_ci_u32_e32 v5, vcc_lo, 0, v5, vcc_lo
	v_mov_b32_e32 v0, v1
	v_mov_b32_e32 v9, v1
	;; [unrolled: 1-line block ×3, first 2 shown]
	s_mov_b64 s[8:9], 0
.LBB1729_2:                             ; =>This Inner Loop Header: Depth=1
	global_load_b64 v[18:19], v[2:3], off offset:-4
	global_load_b64 v[20:21], v[4:5], off offset:-4
	s_add_u32 s8, s8, 8
	v_add_co_u32 v2, vcc_lo, v2, 64
	s_addc_u32 s9, s9, 0
	v_add_co_ci_u32_e32 v3, vcc_lo, 0, v3, vcc_lo
	v_cmp_ge_u64_e64 s10, s[8:9], s[4:5]
	v_add_co_u32 v4, vcc_lo, v4, 64
	v_add_co_ci_u32_e32 v5, vcc_lo, 0, v5, vcc_lo
	s_waitcnt vmcnt(1)
	ds_store_b64 v14, v[18:19]
	s_waitcnt vmcnt(0)
	ds_store_b64 v15, v[20:21]
	s_waitcnt lgkmcnt(0)
	s_barrier
	buffer_gl0_inv
	ds_load_2addr_b64 v[18:21], v12 offset1:16
	ds_load_b128 v[22:25], v13
	ds_load_b128 v[26:29], v13 offset:1024
	ds_load_b128 v[30:33], v13 offset:16
	;; [unrolled: 1-line block ×4, first 2 shown]
	ds_load_2addr_b64 v[42:45], v12 offset0:32 offset1:48
	ds_load_2addr_b64 v[46:49], v12 offset0:64 offset1:80
	ds_load_b128 v[50:53], v13 offset:1040
	ds_load_2addr_b64 v[54:57], v12 offset0:96 offset1:112
	ds_load_2addr_b64 v[58:61], v12 offset0:128 offset1:144
	;; [unrolled: 1-line block ×4, first 2 shown]
	ds_load_b128 v[70:73], v13 offset:1056
	ds_load_b128 v[74:77], v13 offset:1072
	ds_load_2addr_b64 v[78:81], v12 offset0:224 offset1:240
	s_and_b32 vcc_lo, exec_lo, s10
	s_waitcnt lgkmcnt(0)
	s_barrier
	buffer_gl0_inv
	v_dual_mul_f32 v82, v23, v19 :: v_dual_mul_f32 v85, v22, v21
	v_dual_mul_f32 v83, v22, v19 :: v_dual_mul_f32 v84, v23, v21
	v_mul_f32_e32 v86, v27, v19
	v_dual_mul_f32 v19, v26, v19 :: v_dual_mul_f32 v90, v25, v45
	v_dual_mul_f32 v87, v27, v21 :: v_dual_mul_f32 v88, v25, v43
	v_mul_f32_e32 v21, v26, v21
	v_fma_f32 v82, v22, v18, -v82
	v_fmac_f32_e32 v83, v23, v18
	v_fma_f32 v22, v22, v20, -v84
	v_fmac_f32_e32 v85, v23, v20
	v_fma_f32 v23, v26, v18, -v86
	v_dual_fmac_f32 v19, v27, v18 :: v_dual_mul_f32 v86, v30, v47
	v_fma_f32 v18, v26, v20, -v87
	v_dual_fmac_f32 v21, v27, v20 :: v_dual_mul_f32 v20, v24, v45
	v_mul_f32_e32 v89, v24, v43
	v_mul_f32_e32 v26, v29, v43
	;; [unrolled: 1-line block ×4, first 2 shown]
	v_fmac_f32_e32 v20, v25, v44
	v_fmac_f32_e32 v89, v25, v42
	v_dual_mul_f32 v25, v28, v45 :: v_dual_fmac_f32 v86, v31, v46
	v_fma_f32 v84, v24, v42, -v88
	v_fma_f32 v24, v24, v44, -v90
	v_dual_mul_f32 v45, v31, v47 :: v_dual_mul_f32 v90, v33, v57
	v_fma_f32 v26, v28, v42, -v26
	v_fma_f32 v28, v28, v44, -v43
	v_fmac_f32_e32 v25, v29, v44
	v_dual_mul_f32 v43, v50, v47 :: v_dual_mul_f32 v44, v51, v49
	v_dual_fmac_f32 v27, v29, v42 :: v_dual_mul_f32 v42, v51, v47
	v_dual_mul_f32 v88, v32, v55 :: v_dual_mul_f32 v29, v30, v49
	v_mul_f32_e32 v87, v31, v49
	v_fma_f32 v45, v30, v46, -v45
	v_add_f32_e32 v16, v16, v82
	s_delay_alu instid0(VALU_DEP_4)
	v_dual_fmac_f32 v88, v33, v54 :: v_dual_fmac_f32 v29, v31, v48
	v_fma_f32 v31, v50, v46, -v42
	v_fma_f32 v42, v50, v48, -v44
	v_mul_f32_e32 v44, v32, v57
	v_mul_f32_e32 v47, v50, v49
	v_dual_mul_f32 v50, v53, v57 :: v_dual_fmac_f32 v43, v51, v46
	v_mul_f32_e32 v46, v53, v55
	v_mul_f32_e32 v49, v33, v55
	v_fma_f32 v30, v30, v48, -v87
	v_fmac_f32_e32 v44, v33, v56
	v_dual_fmac_f32 v47, v51, v48 :: v_dual_mul_f32 v48, v52, v55
	v_mul_f32_e32 v33, v52, v57
	v_fma_f32 v46, v52, v54, -v46
	v_fma_f32 v50, v52, v56, -v50
	v_mul_f32_e32 v52, v34, v61
	v_fma_f32 v49, v32, v54, -v49
	v_fma_f32 v32, v32, v56, -v90
	v_dual_mul_f32 v51, v35, v59 :: v_dual_fmac_f32 v48, v53, v54
	v_mul_f32_e32 v54, v70, v59
	v_dual_mul_f32 v55, v34, v59 :: v_dual_fmac_f32 v52, v35, v60
	v_fmac_f32_e32 v33, v53, v56
	v_mul_f32_e32 v53, v71, v59
	v_mul_f32_e32 v56, v71, v61
	;; [unrolled: 1-line block ×3, first 2 shown]
	v_fmac_f32_e32 v54, v71, v58
	v_fmac_f32_e32 v55, v35, v58
	v_fma_f32 v35, v70, v58, -v53
	v_fma_f32 v53, v70, v60, -v56
	v_mul_f32_e32 v56, v36, v65
	v_mul_f32_e32 v59, v70, v61
	v_fma_f32 v51, v34, v58, -v51
	v_mul_f32_e32 v58, v72, v63
	v_mul_f32_e32 v87, v36, v63
	;; [unrolled: 1-line block ×4, first 2 shown]
	v_fma_f32 v34, v34, v60, -v57
	v_mul_f32_e32 v57, v73, v63
	v_fmac_f32_e32 v56, v37, v64
	v_dual_fmac_f32 v59, v71, v60 :: v_dual_mul_f32 v60, v73, v65
	v_mul_f32_e32 v63, v39, v67
	v_mul_f32_e32 v70, v39, v69
	v_fmac_f32_e32 v58, v73, v62
	v_fmac_f32_e32 v87, v37, v62
	v_mul_f32_e32 v37, v72, v65
	v_fma_f32 v61, v36, v62, -v61
	v_fma_f32 v36, v36, v64, -v90
	v_mul_f32_e32 v65, v38, v67
	v_fma_f32 v57, v72, v62, -v57
	v_fma_f32 v60, v72, v64, -v60
	v_dual_fmac_f32 v37, v73, v64 :: v_dual_mul_f32 v62, v38, v69
	v_mul_f32_e32 v64, v75, v67
	v_mul_f32_e32 v71, v75, v69
	v_dual_mul_f32 v73, v40, v79 :: v_dual_add_f32 v10, v10, v22
	v_fma_f32 v63, v38, v66, -v63
	v_fma_f32 v38, v38, v68, -v70
	v_mul_f32_e32 v70, v76, v79
	v_mul_f32_e32 v67, v74, v67
	v_dual_mul_f32 v69, v74, v69 :: v_dual_add_f32 v0, v0, v18
	v_dual_fmac_f32 v65, v39, v66 :: v_dual_add_f32 v16, v16, v84
	v_fmac_f32_e32 v62, v39, v68
	v_fma_f32 v39, v74, v66, -v64
	v_fmac_f32_e32 v70, v77, v78
	v_dual_fmac_f32 v67, v75, v66 :: v_dual_add_f32 v10, v10, v24
	v_mul_f32_e32 v66, v40, v81
	v_mul_f32_e32 v72, v41, v79
	;; [unrolled: 1-line block ×3, first 2 shown]
	v_fma_f32 v64, v74, v68, -v71
	v_dual_fmac_f32 v69, v75, v68 :: v_dual_add_f32 v16, v16, v45
	v_dual_mul_f32 v71, v77, v81 :: v_dual_add_f32 v0, v0, v28
	v_fmac_f32_e32 v73, v41, v78
	v_fmac_f32_e32 v66, v41, v80
	s_delay_alu instid0(VALU_DEP_4) | instskip(SKIP_3) | instid1(VALU_DEP_3)
	v_add_f32_e32 v16, v16, v49
	v_dual_mul_f32 v41, v76, v81 :: v_dual_add_f32 v10, v10, v30
	v_dual_add_f32 v17, v17, v83 :: v_dual_add_f32 v0, v0, v42
	v_add_f32_e32 v11, v11, v85
	v_fmac_f32_e32 v41, v77, v80
	s_delay_alu instid0(VALU_DEP_4) | instskip(SKIP_2) | instid1(VALU_DEP_3)
	v_dual_add_f32 v10, v10, v32 :: v_dual_add_f32 v7, v7, v23
	v_dual_add_f32 v1, v1, v21 :: v_dual_add_f32 v16, v16, v51
	;; [unrolled: 1-line block ×4, first 2 shown]
	s_delay_alu instid0(VALU_DEP_3) | instskip(NEXT) | instid1(VALU_DEP_4)
	v_dual_add_f32 v11, v11, v20 :: v_dual_add_f32 v16, v16, v61
	v_add_f32_e32 v1, v1, v25
	s_delay_alu instid0(VALU_DEP_4) | instskip(NEXT) | instid1(VALU_DEP_4)
	v_dual_add_f32 v0, v0, v53 :: v_dual_add_f32 v7, v7, v26
	v_dual_add_f32 v10, v10, v36 :: v_dual_add_f32 v9, v9, v27
	v_fma_f32 v72, v40, v78, -v72
	v_fma_f32 v40, v40, v80, -v90
	s_delay_alu instid0(VALU_DEP_4) | instskip(NEXT) | instid1(VALU_DEP_4)
	v_add_f32_e32 v0, v0, v60
	v_add_f32_e32 v10, v10, v38
	;; [unrolled: 1-line block ×6, first 2 shown]
	v_dual_add_f32 v10, v10, v40 :: v_dual_add_f32 v11, v11, v29
	v_add_f32_e32 v1, v1, v47
	v_fma_f32 v71, v76, v80, -v71
	s_delay_alu instid0(VALU_DEP_4) | instskip(NEXT) | instid1(VALU_DEP_4)
	v_dual_add_f32 v16, v16, v72 :: v_dual_add_f32 v7, v7, v46
	v_add_f32_e32 v11, v11, v44
	v_add_f32_e32 v9, v9, v48
	v_dual_add_f32 v1, v1, v33 :: v_dual_add_f32 v0, v0, v64
	v_add_f32_e32 v17, v17, v88
	s_delay_alu instid0(VALU_DEP_4) | instskip(SKIP_1) | instid1(VALU_DEP_4)
	v_add_f32_e32 v11, v11, v52
	v_add_f32_e32 v7, v7, v35
	v_dual_add_f32 v9, v9, v54 :: v_dual_add_f32 v0, v0, v71
	s_delay_alu instid0(VALU_DEP_4) | instskip(SKIP_3) | instid1(VALU_DEP_4)
	v_add_f32_e32 v17, v17, v55
	v_add_f32_e32 v1, v1, v59
	v_dual_mul_f32 v68, v77, v79 :: v_dual_add_f32 v11, v11, v56
	v_add_f32_e32 v7, v7, v57
	v_add_f32_e32 v17, v17, v87
	v_add_f32_e32 v9, v9, v58
	v_add_f32_e32 v1, v1, v37
	v_fma_f32 v68, v76, v78, -v68
	v_add_f32_e32 v11, v11, v62
	v_add_f32_e32 v17, v17, v65
	;; [unrolled: 1-line block ×10, first 2 shown]
	s_cbranch_vccz .LBB1729_2
.LBB1729_3:
	v_add_nc_u32_e32 v8, s23, v8
	s_load_b32 s4, s[0:1], 0x0
	s_delay_alu instid0(VALU_DEP_1) | instskip(SKIP_3) | instid1(VALU_DEP_3)
	v_ashrrev_i32_e32 v2, 31, v8
	s_waitcnt lgkmcnt(0)
	v_mul_lo_u32 v5, v8, s19
	v_mad_u64_u32 v[3:4], null, v8, s18, 0
	v_mul_lo_u32 v2, v2, s18
	s_delay_alu instid0(VALU_DEP_1) | instskip(SKIP_2) | instid1(VALU_DEP_3)
	v_add3_u32 v4, v4, v5, v2
	v_add_nc_u32_e32 v2, s22, v6
	v_cmp_gt_i32_e32 vcc_lo, s4, v8
	v_lshlrev_b64 v[3:4], 3, v[3:4]
	s_delay_alu instid0(VALU_DEP_3) | instskip(NEXT) | instid1(VALU_DEP_1)
	v_cmp_le_i32_e64 s0, v2, v8
	s_and_b32 s0, vcc_lo, s0
	s_delay_alu instid0(VALU_DEP_2) | instskip(NEXT) | instid1(VALU_DEP_1)
	v_add_co_u32 v6, s1, s2, v3
	v_add_co_ci_u32_e64 v12, s1, s3, v4, s1
	s_and_saveexec_b32 s1, s0
	s_cbranch_execz .LBB1729_6
; %bb.4:
	v_ashrrev_i32_e32 v3, 31, v2
	v_mul_f32_e32 v15, s6, v17
	s_delay_alu instid0(VALU_DEP_2) | instskip(NEXT) | instid1(VALU_DEP_2)
	v_lshlrev_b64 v[3:4], 3, v[2:3]
	v_fmac_f32_e32 v15, s7, v16
	s_delay_alu instid0(VALU_DEP_2) | instskip(NEXT) | instid1(VALU_DEP_1)
	v_add_co_u32 v3, s0, v6, v3
	v_add_co_ci_u32_e64 v4, s0, v12, v4, s0
	v_cmp_eq_u32_e64 s0, v8, v2
	global_load_b64 v[13:14], v[3:4], off
	v_mul_f32_e32 v5, s7, v17
	s_waitcnt vmcnt(0)
	v_mul_f32_e32 v17, s17, v14
	v_mul_f32_e32 v14, s16, v14
	s_delay_alu instid0(VALU_DEP_3) | instskip(NEXT) | instid1(VALU_DEP_2)
	v_fma_f32 v5, v16, s6, -v5
	v_fmac_f32_e32 v14, s17, v13
	s_delay_alu instid0(VALU_DEP_4) | instskip(NEXT) | instid1(VALU_DEP_1)
	v_fma_f32 v16, v13, s16, -v17
	v_dual_add_f32 v14, v15, v14 :: v_dual_add_f32 v13, v5, v16
	global_store_b64 v[3:4], v[13:14], off
	s_and_b32 exec_lo, exec_lo, s0
	s_cbranch_execz .LBB1729_6
; %bb.5:
	v_mov_b32_e32 v5, 0
	global_store_b32 v[3:4], v5, off offset:4
.LBB1729_6:
	s_or_b32 exec_lo, exec_lo, s1
	v_add_nc_u32_e32 v4, 16, v2
	s_delay_alu instid0(VALU_DEP_1) | instskip(NEXT) | instid1(VALU_DEP_1)
	v_cmp_le_i32_e64 s0, v4, v8
	s_and_b32 s1, vcc_lo, s0
	s_delay_alu instid0(SALU_CYCLE_1)
	s_and_saveexec_b32 s0, s1
	s_cbranch_execz .LBB1729_9
; %bb.7:
	v_ashrrev_i32_e32 v5, 31, v4
	s_delay_alu instid0(VALU_DEP_1) | instskip(NEXT) | instid1(VALU_DEP_1)
	v_lshlrev_b64 v[13:14], 3, v[4:5]
	v_add_co_u32 v5, vcc_lo, v6, v13
	s_delay_alu instid0(VALU_DEP_2)
	v_add_co_ci_u32_e32 v6, vcc_lo, v12, v14, vcc_lo
	v_cmp_eq_u32_e32 vcc_lo, v8, v4
	global_load_b64 v[12:13], v[5:6], off
	s_waitcnt vmcnt(0)
	v_dual_mul_f32 v3, s7, v11 :: v_dual_mul_f32 v14, s17, v13
	v_mul_f32_e32 v13, s16, v13
	s_delay_alu instid0(VALU_DEP_2) | instskip(SKIP_1) | instid1(VALU_DEP_3)
	v_fma_f32 v3, v10, s6, -v3
	v_mul_f32_e32 v11, s6, v11
	v_fmac_f32_e32 v13, s17, v12
	s_delay_alu instid0(VALU_DEP_2) | instskip(SKIP_1) | instid1(VALU_DEP_2)
	v_fmac_f32_e32 v11, s7, v10
	v_fma_f32 v10, v12, s16, -v14
	v_add_f32_e32 v11, v11, v13
	s_delay_alu instid0(VALU_DEP_2)
	v_add_f32_e32 v10, v3, v10
	global_store_b64 v[5:6], v[10:11], off
	s_and_b32 exec_lo, exec_lo, vcc_lo
	s_cbranch_execz .LBB1729_9
; %bb.8:
	v_mov_b32_e32 v3, 0
	global_store_b32 v[5:6], v3, off offset:4
.LBB1729_9:
	s_or_b32 exec_lo, exec_lo, s0
	v_add_nc_u32_e32 v12, 16, v8
	s_delay_alu instid0(VALU_DEP_1) | instskip(SKIP_3) | instid1(VALU_DEP_4)
	v_ashrrev_i32_e32 v3, 31, v12
	v_mul_lo_u32 v10, v12, s19
	v_mad_u64_u32 v[5:6], null, v12, s18, 0
	v_cmp_gt_i32_e32 vcc_lo, s4, v12
	v_mul_lo_u32 v3, v3, s18
	v_cmp_le_i32_e64 s0, v2, v12
	s_delay_alu instid0(VALU_DEP_1) | instskip(NEXT) | instid1(VALU_DEP_2)
	s_and_b32 s0, vcc_lo, s0
	v_add3_u32 v6, v6, v10, v3
	s_delay_alu instid0(VALU_DEP_1) | instskip(NEXT) | instid1(VALU_DEP_1)
	v_lshlrev_b64 v[5:6], 3, v[5:6]
	v_add_co_u32 v10, s1, s2, v5
	s_delay_alu instid0(VALU_DEP_1)
	v_add_co_ci_u32_e64 v11, s1, s3, v6, s1
	s_and_saveexec_b32 s1, s0
	s_cbranch_execz .LBB1729_12
; %bb.10:
	v_ashrrev_i32_e32 v3, 31, v2
	s_delay_alu instid0(VALU_DEP_1) | instskip(NEXT) | instid1(VALU_DEP_1)
	v_lshlrev_b64 v[5:6], 3, v[2:3]
	v_add_co_u32 v5, s0, v10, v5
	s_delay_alu instid0(VALU_DEP_1) | instskip(SKIP_4) | instid1(VALU_DEP_1)
	v_add_co_ci_u32_e64 v6, s0, v11, v6, s0
	v_cmp_eq_u32_e64 s0, v12, v2
	global_load_b64 v[13:14], v[5:6], off
	v_mul_f32_e32 v3, s7, v9
	v_mul_f32_e32 v9, s6, v9
	v_fmac_f32_e32 v9, s7, v7
	s_waitcnt vmcnt(0)
	v_mul_f32_e32 v15, s17, v14
	v_mul_f32_e32 v14, s16, v14
	v_fma_f32 v3, v7, s6, -v3
	s_delay_alu instid0(VALU_DEP_2) | instskip(NEXT) | instid1(VALU_DEP_4)
	v_fmac_f32_e32 v14, s17, v13
	v_fma_f32 v7, v13, s16, -v15
	s_delay_alu instid0(VALU_DEP_1)
	v_dual_add_f32 v14, v9, v14 :: v_dual_add_f32 v13, v3, v7
	global_store_b64 v[5:6], v[13:14], off
	s_and_b32 exec_lo, exec_lo, s0
	s_cbranch_execz .LBB1729_12
; %bb.11:
	v_mov_b32_e32 v3, 0
	global_store_b32 v[5:6], v3, off offset:4
.LBB1729_12:
	s_or_b32 exec_lo, exec_lo, s1
	v_cmp_le_i32_e64 s0, v4, v12
	s_delay_alu instid0(VALU_DEP_1) | instskip(NEXT) | instid1(SALU_CYCLE_1)
	s_and_b32 s0, vcc_lo, s0
	s_and_saveexec_b32 s1, s0
	s_cbranch_execz .LBB1729_15
; %bb.13:
	v_ashrrev_i32_e32 v5, 31, v4
	s_delay_alu instid0(VALU_DEP_1) | instskip(NEXT) | instid1(VALU_DEP_1)
	v_lshlrev_b64 v[3:4], 3, v[4:5]
	v_add_co_u32 v3, vcc_lo, v10, v3
	s_delay_alu instid0(VALU_DEP_2)
	v_add_co_ci_u32_e32 v4, vcc_lo, v11, v4, vcc_lo
	v_cmp_eq_u32_e32 vcc_lo, v8, v2
	global_load_b64 v[5:6], v[3:4], off
	v_mul_f32_e32 v7, s7, v1
	s_waitcnt vmcnt(0)
	v_mul_f32_e32 v9, s17, v6
	v_mul_f32_e32 v6, s16, v6
	s_delay_alu instid0(VALU_DEP_3) | instskip(SKIP_1) | instid1(VALU_DEP_1)
	v_fma_f32 v7, v0, s6, -v7
	v_mul_f32_e32 v1, s6, v1
	v_dual_fmac_f32 v6, s17, v5 :: v_dual_fmac_f32 v1, s7, v0
	v_fma_f32 v0, v5, s16, -v9
	s_delay_alu instid0(VALU_DEP_1)
	v_dual_add_f32 v1, v1, v6 :: v_dual_add_f32 v0, v7, v0
	global_store_b64 v[3:4], v[0:1], off
	s_and_b32 exec_lo, exec_lo, vcc_lo
	s_cbranch_execz .LBB1729_15
; %bb.14:
	v_mov_b32_e32 v0, 0
	global_store_b32 v[3:4], v0, off offset:4
.LBB1729_15:
	s_nop 0
	s_sendmsg sendmsg(MSG_DEALLOC_VGPRS)
	s_endpgm
	.section	.rodata,"a",@progbits
	.p2align	6, 0x0
	.amdhsa_kernel _ZL37rocblas_syrkx_herkx_restricted_kernelIl19rocblas_complex_numIfELi16ELi32ELi8ELb0ELb1ELc84ELc85EKPKS1_KPS1_EviT_T0_PT8_S7_lSA_S7_lS8_PT9_S7_li
		.amdhsa_group_segment_fixed_size 4096
		.amdhsa_private_segment_fixed_size 0
		.amdhsa_kernarg_size 108
		.amdhsa_user_sgpr_count 13
		.amdhsa_user_sgpr_dispatch_ptr 0
		.amdhsa_user_sgpr_queue_ptr 0
		.amdhsa_user_sgpr_kernarg_segment_ptr 1
		.amdhsa_user_sgpr_dispatch_id 0
		.amdhsa_user_sgpr_private_segment_size 0
		.amdhsa_wavefront_size32 1
		.amdhsa_uses_dynamic_stack 0
		.amdhsa_enable_private_segment 0
		.amdhsa_system_sgpr_workgroup_id_x 1
		.amdhsa_system_sgpr_workgroup_id_y 1
		.amdhsa_system_sgpr_workgroup_id_z 1
		.amdhsa_system_sgpr_workgroup_info 0
		.amdhsa_system_vgpr_workitem_id 1
		.amdhsa_next_free_vgpr 91
		.amdhsa_next_free_sgpr 24
		.amdhsa_reserve_vcc 1
		.amdhsa_float_round_mode_32 0
		.amdhsa_float_round_mode_16_64 0
		.amdhsa_float_denorm_mode_32 3
		.amdhsa_float_denorm_mode_16_64 3
		.amdhsa_dx10_clamp 1
		.amdhsa_ieee_mode 1
		.amdhsa_fp16_overflow 0
		.amdhsa_workgroup_processor_mode 1
		.amdhsa_memory_ordered 1
		.amdhsa_forward_progress 0
		.amdhsa_shared_vgpr_count 0
		.amdhsa_exception_fp_ieee_invalid_op 0
		.amdhsa_exception_fp_denorm_src 0
		.amdhsa_exception_fp_ieee_div_zero 0
		.amdhsa_exception_fp_ieee_overflow 0
		.amdhsa_exception_fp_ieee_underflow 0
		.amdhsa_exception_fp_ieee_inexact 0
		.amdhsa_exception_int_div_zero 0
	.end_amdhsa_kernel
	.section	.text._ZL37rocblas_syrkx_herkx_restricted_kernelIl19rocblas_complex_numIfELi16ELi32ELi8ELb0ELb1ELc84ELc85EKPKS1_KPS1_EviT_T0_PT8_S7_lSA_S7_lS8_PT9_S7_li,"axG",@progbits,_ZL37rocblas_syrkx_herkx_restricted_kernelIl19rocblas_complex_numIfELi16ELi32ELi8ELb0ELb1ELc84ELc85EKPKS1_KPS1_EviT_T0_PT8_S7_lSA_S7_lS8_PT9_S7_li,comdat
.Lfunc_end1729:
	.size	_ZL37rocblas_syrkx_herkx_restricted_kernelIl19rocblas_complex_numIfELi16ELi32ELi8ELb0ELb1ELc84ELc85EKPKS1_KPS1_EviT_T0_PT8_S7_lSA_S7_lS8_PT9_S7_li, .Lfunc_end1729-_ZL37rocblas_syrkx_herkx_restricted_kernelIl19rocblas_complex_numIfELi16ELi32ELi8ELb0ELb1ELc84ELc85EKPKS1_KPS1_EviT_T0_PT8_S7_lSA_S7_lS8_PT9_S7_li
                                        ; -- End function
	.section	.AMDGPU.csdata,"",@progbits
; Kernel info:
; codeLenInByte = 2492
; NumSgprs: 26
; NumVgprs: 91
; ScratchSize: 0
; MemoryBound: 0
; FloatMode: 240
; IeeeMode: 1
; LDSByteSize: 4096 bytes/workgroup (compile time only)
; SGPRBlocks: 3
; VGPRBlocks: 11
; NumSGPRsForWavesPerEU: 26
; NumVGPRsForWavesPerEU: 91
; Occupancy: 16
; WaveLimiterHint : 1
; COMPUTE_PGM_RSRC2:SCRATCH_EN: 0
; COMPUTE_PGM_RSRC2:USER_SGPR: 13
; COMPUTE_PGM_RSRC2:TRAP_HANDLER: 0
; COMPUTE_PGM_RSRC2:TGID_X_EN: 1
; COMPUTE_PGM_RSRC2:TGID_Y_EN: 1
; COMPUTE_PGM_RSRC2:TGID_Z_EN: 1
; COMPUTE_PGM_RSRC2:TIDIG_COMP_CNT: 1
	.section	.text._ZL37rocblas_syrkx_herkx_restricted_kernelIl19rocblas_complex_numIfELi16ELi32ELi8ELb0ELb1ELc67ELc85EKPKS1_KPS1_EviT_T0_PT8_S7_lSA_S7_lS8_PT9_S7_li,"axG",@progbits,_ZL37rocblas_syrkx_herkx_restricted_kernelIl19rocblas_complex_numIfELi16ELi32ELi8ELb0ELb1ELc67ELc85EKPKS1_KPS1_EviT_T0_PT8_S7_lSA_S7_lS8_PT9_S7_li,comdat
	.globl	_ZL37rocblas_syrkx_herkx_restricted_kernelIl19rocblas_complex_numIfELi16ELi32ELi8ELb0ELb1ELc67ELc85EKPKS1_KPS1_EviT_T0_PT8_S7_lSA_S7_lS8_PT9_S7_li ; -- Begin function _ZL37rocblas_syrkx_herkx_restricted_kernelIl19rocblas_complex_numIfELi16ELi32ELi8ELb0ELb1ELc67ELc85EKPKS1_KPS1_EviT_T0_PT8_S7_lSA_S7_lS8_PT9_S7_li
	.p2align	8
	.type	_ZL37rocblas_syrkx_herkx_restricted_kernelIl19rocblas_complex_numIfELi16ELi32ELi8ELb0ELb1ELc67ELc85EKPKS1_KPS1_EviT_T0_PT8_S7_lSA_S7_lS8_PT9_S7_li,@function
_ZL37rocblas_syrkx_herkx_restricted_kernelIl19rocblas_complex_numIfELi16ELi32ELi8ELb0ELb1ELc67ELc85EKPKS1_KPS1_EviT_T0_PT8_S7_lSA_S7_lS8_PT9_S7_li: ; @_ZL37rocblas_syrkx_herkx_restricted_kernelIl19rocblas_complex_numIfELi16ELi32ELi8ELb0ELb1ELc67ELc85EKPKS1_KPS1_EviT_T0_PT8_S7_lSA_S7_lS8_PT9_S7_li
; %bb.0:
	s_clause 0x1
	s_load_b128 s[16:19], s[0:1], 0x48
	s_load_b256 s[4:11], s[0:1], 0x8
	s_mov_b32 s2, s15
	s_mov_b32 s3, 0
	v_dual_mov_b32 v17, 0 :: v_dual_and_b32 v6, 0x3ff, v0
	s_lshl_b64 s[20:21], s[2:3], 3
	v_bfe_u32 v8, v0, 10, 10
	v_dual_mov_b32 v16, 0 :: v_dual_mov_b32 v11, 0
	v_dual_mov_b32 v10, 0 :: v_dual_mov_b32 v7, 0
	;; [unrolled: 1-line block ×3, first 2 shown]
	v_mov_b32_e32 v1, 0
	s_waitcnt lgkmcnt(0)
	s_add_u32 s2, s18, s20
	s_addc_u32 s3, s19, s21
	s_load_b64 s[18:19], s[0:1], 0x58
	s_load_b64 s[2:3], s[2:3], 0x0
	v_cmp_lt_i64_e64 s12, s[4:5], 1
	s_lshl_b32 s22, s13, 5
	s_lshl_b32 s23, s14, 5
	s_delay_alu instid0(VALU_DEP_1)
	s_and_b32 vcc_lo, exec_lo, s12
	s_cbranch_vccnz .LBB1730_3
; %bb.1:
	s_load_b128 s[12:15], s[0:1], 0x30
	v_lshl_add_u32 v2, v8, 4, v6
	v_dual_mov_b32 v1, 0 :: v_dual_and_b32 v0, 7, v6
	s_add_u32 s8, s8, s20
	s_addc_u32 s9, s9, s21
	s_delay_alu instid0(VALU_DEP_2)
	v_and_b32_e32 v11, 31, v2
	v_lshrrev_b32_e32 v7, 3, v2
	v_lshrrev_b32_e32 v2, 5, v2
	s_load_b64 s[8:9], s[8:9], 0x0
	v_mov_b32_e32 v3, v1
	v_add_nc_u32_e32 v9, s22, v11
	v_add_nc_u32_e32 v12, s23, v7
	v_dual_mov_b32 v16, v1 :: v_dual_lshlrev_b32 v11, 3, v11
	v_mov_b32_e32 v17, v1
	s_delay_alu instid0(VALU_DEP_4) | instskip(NEXT) | instid1(VALU_DEP_4)
	v_ashrrev_i32_e32 v13, 31, v9
	v_ashrrev_i32_e32 v10, 31, v12
	v_mad_u64_u32 v[4:5], null, s10, v9, v[2:3]
	s_waitcnt lgkmcnt(0)
	s_add_u32 s12, s12, s20
	v_mul_lo_u32 v3, s11, v9
	v_mul_lo_u32 v13, s10, v13
	s_addc_u32 s13, s13, s21
	v_mul_lo_u32 v14, v10, s14
	s_load_b64 s[10:11], s[12:13], 0x0
	v_mul_lo_u32 v15, v12, s15
	v_mad_u64_u32 v[9:10], null, v12, s14, v[0:1]
	v_lshlrev_b32_e32 v0, 3, v0
	v_add3_u32 v5, v3, v5, v13
	v_lshlrev_b32_e32 v12, 3, v6
	v_lshl_add_u32 v13, v8, 6, 0x800
	s_delay_alu instid0(VALU_DEP_4)
	v_lshl_or_b32 v0, v7, 6, v0
	v_mov_b32_e32 v7, v1
	v_add3_u32 v10, v14, v10, v15
	v_lshlrev_b64 v[3:4], 3, v[4:5]
	v_lshl_or_b32 v14, v2, 8, v11
	v_add_nc_u32_e32 v15, 0x800, v0
	v_mov_b32_e32 v11, v1
	v_lshlrev_b64 v[9:10], 3, v[9:10]
	v_add_co_u32 v0, vcc_lo, v3, s8
	v_add_co_ci_u32_e32 v3, vcc_lo, s9, v4, vcc_lo
	s_waitcnt lgkmcnt(0)
	s_delay_alu instid0(VALU_DEP_3) | instskip(NEXT) | instid1(VALU_DEP_4)
	v_add_co_u32 v4, vcc_lo, v9, s10
	v_add_co_ci_u32_e32 v5, vcc_lo, s11, v10, vcc_lo
	v_add_co_u32 v2, vcc_lo, v0, 4
	v_add_co_ci_u32_e32 v3, vcc_lo, 0, v3, vcc_lo
	s_delay_alu instid0(VALU_DEP_4) | instskip(NEXT) | instid1(VALU_DEP_4)
	v_add_co_u32 v4, vcc_lo, v4, 4
	v_add_co_ci_u32_e32 v5, vcc_lo, 0, v5, vcc_lo
	v_mov_b32_e32 v0, v1
	v_mov_b32_e32 v9, v1
	;; [unrolled: 1-line block ×3, first 2 shown]
	s_mov_b64 s[8:9], 0
.LBB1730_2:                             ; =>This Inner Loop Header: Depth=1
	global_load_b64 v[18:19], v[2:3], off offset:-4
	global_load_b64 v[20:21], v[4:5], off offset:-4
	s_add_u32 s8, s8, 8
	v_add_co_u32 v2, vcc_lo, v2, 64
	s_addc_u32 s9, s9, 0
	v_add_co_ci_u32_e32 v3, vcc_lo, 0, v3, vcc_lo
	v_cmp_ge_u64_e64 s10, s[8:9], s[4:5]
	v_add_co_u32 v4, vcc_lo, v4, 64
	v_add_co_ci_u32_e32 v5, vcc_lo, 0, v5, vcc_lo
	s_delay_alu instid0(VALU_DEP_3)
	s_and_b32 vcc_lo, exec_lo, s10
	s_waitcnt vmcnt(1)
	v_xor_b32_e32 v19, 0x80000000, v19
	ds_store_b64 v14, v[18:19]
	s_waitcnt vmcnt(0)
	ds_store_b64 v15, v[20:21]
	s_waitcnt lgkmcnt(0)
	s_barrier
	buffer_gl0_inv
	ds_load_2addr_b64 v[18:21], v12 offset1:16
	ds_load_b128 v[22:25], v13
	ds_load_b128 v[26:29], v13 offset:1024
	ds_load_b128 v[30:33], v13 offset:16
	;; [unrolled: 1-line block ×4, first 2 shown]
	ds_load_2addr_b64 v[42:45], v12 offset0:32 offset1:48
	ds_load_2addr_b64 v[46:49], v12 offset0:64 offset1:80
	ds_load_b128 v[50:53], v13 offset:1040
	ds_load_2addr_b64 v[54:57], v12 offset0:96 offset1:112
	ds_load_2addr_b64 v[58:61], v12 offset0:128 offset1:144
	;; [unrolled: 1-line block ×4, first 2 shown]
	ds_load_b128 v[70:73], v13 offset:1056
	ds_load_b128 v[74:77], v13 offset:1072
	ds_load_2addr_b64 v[78:81], v12 offset0:224 offset1:240
	s_waitcnt lgkmcnt(0)
	s_barrier
	buffer_gl0_inv
	v_dual_mul_f32 v82, v23, v19 :: v_dual_mul_f32 v85, v22, v21
	v_dual_mul_f32 v83, v22, v19 :: v_dual_mul_f32 v84, v23, v21
	v_mul_f32_e32 v86, v27, v19
	v_dual_mul_f32 v19, v26, v19 :: v_dual_mul_f32 v90, v25, v45
	v_dual_mul_f32 v87, v27, v21 :: v_dual_mul_f32 v88, v25, v43
	v_mul_f32_e32 v21, v26, v21
	v_fma_f32 v82, v22, v18, -v82
	v_fmac_f32_e32 v83, v23, v18
	v_fma_f32 v22, v22, v20, -v84
	v_fmac_f32_e32 v85, v23, v20
	v_fma_f32 v23, v26, v18, -v86
	v_dual_fmac_f32 v19, v27, v18 :: v_dual_mul_f32 v86, v30, v47
	v_fma_f32 v18, v26, v20, -v87
	v_dual_fmac_f32 v21, v27, v20 :: v_dual_mul_f32 v20, v24, v45
	v_mul_f32_e32 v89, v24, v43
	v_mul_f32_e32 v26, v29, v43
	;; [unrolled: 1-line block ×4, first 2 shown]
	v_fmac_f32_e32 v20, v25, v44
	v_fmac_f32_e32 v89, v25, v42
	v_dual_mul_f32 v25, v28, v45 :: v_dual_fmac_f32 v86, v31, v46
	v_fma_f32 v84, v24, v42, -v88
	v_fma_f32 v24, v24, v44, -v90
	v_dual_mul_f32 v45, v31, v47 :: v_dual_mul_f32 v90, v33, v57
	v_fma_f32 v26, v28, v42, -v26
	v_fma_f32 v28, v28, v44, -v43
	v_fmac_f32_e32 v25, v29, v44
	v_dual_mul_f32 v43, v50, v47 :: v_dual_mul_f32 v44, v51, v49
	v_dual_fmac_f32 v27, v29, v42 :: v_dual_mul_f32 v42, v51, v47
	v_dual_mul_f32 v88, v32, v55 :: v_dual_mul_f32 v29, v30, v49
	v_mul_f32_e32 v87, v31, v49
	v_fma_f32 v45, v30, v46, -v45
	v_add_f32_e32 v16, v16, v82
	s_delay_alu instid0(VALU_DEP_4)
	v_dual_fmac_f32 v88, v33, v54 :: v_dual_fmac_f32 v29, v31, v48
	v_fma_f32 v31, v50, v46, -v42
	v_fma_f32 v42, v50, v48, -v44
	v_mul_f32_e32 v44, v32, v57
	v_mul_f32_e32 v47, v50, v49
	v_dual_mul_f32 v50, v53, v57 :: v_dual_fmac_f32 v43, v51, v46
	v_mul_f32_e32 v46, v53, v55
	v_mul_f32_e32 v49, v33, v55
	v_fma_f32 v30, v30, v48, -v87
	v_fmac_f32_e32 v44, v33, v56
	v_dual_fmac_f32 v47, v51, v48 :: v_dual_mul_f32 v48, v52, v55
	v_mul_f32_e32 v33, v52, v57
	v_fma_f32 v46, v52, v54, -v46
	v_fma_f32 v50, v52, v56, -v50
	v_mul_f32_e32 v52, v34, v61
	v_fma_f32 v49, v32, v54, -v49
	v_fma_f32 v32, v32, v56, -v90
	v_dual_mul_f32 v51, v35, v59 :: v_dual_fmac_f32 v48, v53, v54
	v_mul_f32_e32 v54, v70, v59
	v_dual_mul_f32 v55, v34, v59 :: v_dual_fmac_f32 v52, v35, v60
	v_fmac_f32_e32 v33, v53, v56
	v_mul_f32_e32 v53, v71, v59
	v_mul_f32_e32 v56, v71, v61
	;; [unrolled: 1-line block ×3, first 2 shown]
	v_fmac_f32_e32 v54, v71, v58
	v_fmac_f32_e32 v55, v35, v58
	v_fma_f32 v35, v70, v58, -v53
	v_fma_f32 v53, v70, v60, -v56
	v_mul_f32_e32 v56, v36, v65
	v_mul_f32_e32 v59, v70, v61
	v_fma_f32 v51, v34, v58, -v51
	v_mul_f32_e32 v58, v72, v63
	v_mul_f32_e32 v87, v36, v63
	;; [unrolled: 1-line block ×4, first 2 shown]
	v_fma_f32 v34, v34, v60, -v57
	v_mul_f32_e32 v57, v73, v63
	v_fmac_f32_e32 v56, v37, v64
	v_dual_fmac_f32 v59, v71, v60 :: v_dual_mul_f32 v60, v73, v65
	v_mul_f32_e32 v63, v39, v67
	v_mul_f32_e32 v70, v39, v69
	v_fmac_f32_e32 v58, v73, v62
	v_fmac_f32_e32 v87, v37, v62
	v_mul_f32_e32 v37, v72, v65
	v_fma_f32 v61, v36, v62, -v61
	v_fma_f32 v36, v36, v64, -v90
	v_mul_f32_e32 v65, v38, v67
	v_fma_f32 v57, v72, v62, -v57
	v_fma_f32 v60, v72, v64, -v60
	v_dual_fmac_f32 v37, v73, v64 :: v_dual_mul_f32 v62, v38, v69
	v_mul_f32_e32 v64, v75, v67
	v_mul_f32_e32 v71, v75, v69
	v_dual_mul_f32 v73, v40, v79 :: v_dual_add_f32 v10, v10, v22
	v_fma_f32 v63, v38, v66, -v63
	v_fma_f32 v38, v38, v68, -v70
	v_mul_f32_e32 v70, v76, v79
	v_mul_f32_e32 v67, v74, v67
	v_dual_mul_f32 v69, v74, v69 :: v_dual_add_f32 v0, v0, v18
	v_dual_fmac_f32 v65, v39, v66 :: v_dual_add_f32 v16, v16, v84
	v_fmac_f32_e32 v62, v39, v68
	v_fma_f32 v39, v74, v66, -v64
	v_fmac_f32_e32 v70, v77, v78
	v_dual_fmac_f32 v67, v75, v66 :: v_dual_add_f32 v10, v10, v24
	v_mul_f32_e32 v66, v40, v81
	v_mul_f32_e32 v72, v41, v79
	;; [unrolled: 1-line block ×3, first 2 shown]
	v_fma_f32 v64, v74, v68, -v71
	v_dual_fmac_f32 v69, v75, v68 :: v_dual_add_f32 v16, v16, v45
	v_dual_mul_f32 v71, v77, v81 :: v_dual_add_f32 v0, v0, v28
	v_fmac_f32_e32 v73, v41, v78
	v_fmac_f32_e32 v66, v41, v80
	s_delay_alu instid0(VALU_DEP_4) | instskip(SKIP_3) | instid1(VALU_DEP_3)
	v_add_f32_e32 v16, v16, v49
	v_dual_mul_f32 v41, v76, v81 :: v_dual_add_f32 v10, v10, v30
	v_dual_add_f32 v17, v17, v83 :: v_dual_add_f32 v0, v0, v42
	v_add_f32_e32 v11, v11, v85
	v_fmac_f32_e32 v41, v77, v80
	s_delay_alu instid0(VALU_DEP_4) | instskip(SKIP_2) | instid1(VALU_DEP_3)
	v_dual_add_f32 v10, v10, v32 :: v_dual_add_f32 v7, v7, v23
	v_dual_add_f32 v1, v1, v21 :: v_dual_add_f32 v16, v16, v51
	;; [unrolled: 1-line block ×4, first 2 shown]
	s_delay_alu instid0(VALU_DEP_3) | instskip(NEXT) | instid1(VALU_DEP_4)
	v_dual_add_f32 v11, v11, v20 :: v_dual_add_f32 v16, v16, v61
	v_add_f32_e32 v1, v1, v25
	s_delay_alu instid0(VALU_DEP_4) | instskip(NEXT) | instid1(VALU_DEP_4)
	v_dual_add_f32 v0, v0, v53 :: v_dual_add_f32 v7, v7, v26
	v_dual_add_f32 v10, v10, v36 :: v_dual_add_f32 v9, v9, v27
	v_fma_f32 v72, v40, v78, -v72
	v_fma_f32 v40, v40, v80, -v90
	s_delay_alu instid0(VALU_DEP_4) | instskip(NEXT) | instid1(VALU_DEP_4)
	v_add_f32_e32 v0, v0, v60
	v_add_f32_e32 v10, v10, v38
	;; [unrolled: 1-line block ×6, first 2 shown]
	v_dual_add_f32 v10, v10, v40 :: v_dual_add_f32 v11, v11, v29
	v_add_f32_e32 v1, v1, v47
	v_fma_f32 v71, v76, v80, -v71
	s_delay_alu instid0(VALU_DEP_4) | instskip(NEXT) | instid1(VALU_DEP_4)
	v_dual_add_f32 v16, v16, v72 :: v_dual_add_f32 v7, v7, v46
	v_add_f32_e32 v11, v11, v44
	v_add_f32_e32 v9, v9, v48
	v_dual_add_f32 v1, v1, v33 :: v_dual_add_f32 v0, v0, v64
	v_add_f32_e32 v17, v17, v88
	s_delay_alu instid0(VALU_DEP_4) | instskip(SKIP_1) | instid1(VALU_DEP_4)
	v_add_f32_e32 v11, v11, v52
	v_add_f32_e32 v7, v7, v35
	v_dual_add_f32 v9, v9, v54 :: v_dual_add_f32 v0, v0, v71
	s_delay_alu instid0(VALU_DEP_4) | instskip(SKIP_3) | instid1(VALU_DEP_4)
	v_add_f32_e32 v17, v17, v55
	v_add_f32_e32 v1, v1, v59
	v_dual_mul_f32 v68, v77, v79 :: v_dual_add_f32 v11, v11, v56
	v_add_f32_e32 v7, v7, v57
	v_add_f32_e32 v17, v17, v87
	;; [unrolled: 1-line block ×4, first 2 shown]
	v_fma_f32 v68, v76, v78, -v68
	v_add_f32_e32 v11, v11, v62
	v_add_f32_e32 v17, v17, v65
	;; [unrolled: 1-line block ×10, first 2 shown]
	s_cbranch_vccz .LBB1730_2
.LBB1730_3:
	v_add_nc_u32_e32 v8, s23, v8
	s_load_b32 s4, s[0:1], 0x0
	s_delay_alu instid0(VALU_DEP_1) | instskip(SKIP_3) | instid1(VALU_DEP_3)
	v_ashrrev_i32_e32 v2, 31, v8
	s_waitcnt lgkmcnt(0)
	v_mul_lo_u32 v5, v8, s19
	v_mad_u64_u32 v[3:4], null, v8, s18, 0
	v_mul_lo_u32 v2, v2, s18
	s_delay_alu instid0(VALU_DEP_1) | instskip(SKIP_2) | instid1(VALU_DEP_3)
	v_add3_u32 v4, v4, v5, v2
	v_add_nc_u32_e32 v2, s22, v6
	v_cmp_gt_i32_e32 vcc_lo, s4, v8
	v_lshlrev_b64 v[3:4], 3, v[3:4]
	s_delay_alu instid0(VALU_DEP_3) | instskip(NEXT) | instid1(VALU_DEP_1)
	v_cmp_le_i32_e64 s0, v2, v8
	s_and_b32 s0, vcc_lo, s0
	s_delay_alu instid0(VALU_DEP_2) | instskip(NEXT) | instid1(VALU_DEP_1)
	v_add_co_u32 v6, s1, s2, v3
	v_add_co_ci_u32_e64 v12, s1, s3, v4, s1
	s_and_saveexec_b32 s1, s0
	s_cbranch_execz .LBB1730_6
; %bb.4:
	v_ashrrev_i32_e32 v3, 31, v2
	v_mul_f32_e32 v15, s6, v17
	s_delay_alu instid0(VALU_DEP_2) | instskip(NEXT) | instid1(VALU_DEP_2)
	v_lshlrev_b64 v[3:4], 3, v[2:3]
	v_fmac_f32_e32 v15, s7, v16
	s_delay_alu instid0(VALU_DEP_2) | instskip(NEXT) | instid1(VALU_DEP_1)
	v_add_co_u32 v3, s0, v6, v3
	v_add_co_ci_u32_e64 v4, s0, v12, v4, s0
	v_cmp_eq_u32_e64 s0, v8, v2
	global_load_b64 v[13:14], v[3:4], off
	v_mul_f32_e32 v5, s7, v17
	s_waitcnt vmcnt(0)
	v_mul_f32_e32 v17, s17, v14
	v_mul_f32_e32 v14, s16, v14
	s_delay_alu instid0(VALU_DEP_3) | instskip(NEXT) | instid1(VALU_DEP_2)
	v_fma_f32 v5, v16, s6, -v5
	v_fmac_f32_e32 v14, s17, v13
	s_delay_alu instid0(VALU_DEP_4) | instskip(NEXT) | instid1(VALU_DEP_1)
	v_fma_f32 v16, v13, s16, -v17
	v_dual_add_f32 v14, v15, v14 :: v_dual_add_f32 v13, v5, v16
	global_store_b64 v[3:4], v[13:14], off
	s_and_b32 exec_lo, exec_lo, s0
	s_cbranch_execz .LBB1730_6
; %bb.5:
	v_mov_b32_e32 v5, 0
	global_store_b32 v[3:4], v5, off offset:4
.LBB1730_6:
	s_or_b32 exec_lo, exec_lo, s1
	v_add_nc_u32_e32 v4, 16, v2
	s_delay_alu instid0(VALU_DEP_1) | instskip(NEXT) | instid1(VALU_DEP_1)
	v_cmp_le_i32_e64 s0, v4, v8
	s_and_b32 s1, vcc_lo, s0
	s_delay_alu instid0(SALU_CYCLE_1)
	s_and_saveexec_b32 s0, s1
	s_cbranch_execz .LBB1730_9
; %bb.7:
	v_ashrrev_i32_e32 v5, 31, v4
	s_delay_alu instid0(VALU_DEP_1) | instskip(NEXT) | instid1(VALU_DEP_1)
	v_lshlrev_b64 v[13:14], 3, v[4:5]
	v_add_co_u32 v5, vcc_lo, v6, v13
	s_delay_alu instid0(VALU_DEP_2)
	v_add_co_ci_u32_e32 v6, vcc_lo, v12, v14, vcc_lo
	v_cmp_eq_u32_e32 vcc_lo, v8, v4
	global_load_b64 v[12:13], v[5:6], off
	s_waitcnt vmcnt(0)
	v_dual_mul_f32 v3, s7, v11 :: v_dual_mul_f32 v14, s17, v13
	v_mul_f32_e32 v13, s16, v13
	s_delay_alu instid0(VALU_DEP_2) | instskip(SKIP_1) | instid1(VALU_DEP_3)
	v_fma_f32 v3, v10, s6, -v3
	v_mul_f32_e32 v11, s6, v11
	v_fmac_f32_e32 v13, s17, v12
	s_delay_alu instid0(VALU_DEP_2) | instskip(SKIP_1) | instid1(VALU_DEP_2)
	v_fmac_f32_e32 v11, s7, v10
	v_fma_f32 v10, v12, s16, -v14
	v_add_f32_e32 v11, v11, v13
	s_delay_alu instid0(VALU_DEP_2)
	v_add_f32_e32 v10, v3, v10
	global_store_b64 v[5:6], v[10:11], off
	s_and_b32 exec_lo, exec_lo, vcc_lo
	s_cbranch_execz .LBB1730_9
; %bb.8:
	v_mov_b32_e32 v3, 0
	global_store_b32 v[5:6], v3, off offset:4
.LBB1730_9:
	s_or_b32 exec_lo, exec_lo, s0
	v_add_nc_u32_e32 v12, 16, v8
	s_delay_alu instid0(VALU_DEP_1) | instskip(SKIP_3) | instid1(VALU_DEP_4)
	v_ashrrev_i32_e32 v3, 31, v12
	v_mul_lo_u32 v10, v12, s19
	v_mad_u64_u32 v[5:6], null, v12, s18, 0
	v_cmp_gt_i32_e32 vcc_lo, s4, v12
	v_mul_lo_u32 v3, v3, s18
	v_cmp_le_i32_e64 s0, v2, v12
	s_delay_alu instid0(VALU_DEP_1) | instskip(NEXT) | instid1(VALU_DEP_2)
	s_and_b32 s0, vcc_lo, s0
	v_add3_u32 v6, v6, v10, v3
	s_delay_alu instid0(VALU_DEP_1) | instskip(NEXT) | instid1(VALU_DEP_1)
	v_lshlrev_b64 v[5:6], 3, v[5:6]
	v_add_co_u32 v10, s1, s2, v5
	s_delay_alu instid0(VALU_DEP_1)
	v_add_co_ci_u32_e64 v11, s1, s3, v6, s1
	s_and_saveexec_b32 s1, s0
	s_cbranch_execz .LBB1730_12
; %bb.10:
	v_ashrrev_i32_e32 v3, 31, v2
	s_delay_alu instid0(VALU_DEP_1) | instskip(NEXT) | instid1(VALU_DEP_1)
	v_lshlrev_b64 v[5:6], 3, v[2:3]
	v_add_co_u32 v5, s0, v10, v5
	s_delay_alu instid0(VALU_DEP_1) | instskip(SKIP_4) | instid1(VALU_DEP_1)
	v_add_co_ci_u32_e64 v6, s0, v11, v6, s0
	v_cmp_eq_u32_e64 s0, v12, v2
	global_load_b64 v[13:14], v[5:6], off
	v_mul_f32_e32 v3, s7, v9
	v_mul_f32_e32 v9, s6, v9
	v_fmac_f32_e32 v9, s7, v7
	s_waitcnt vmcnt(0)
	v_mul_f32_e32 v15, s17, v14
	v_mul_f32_e32 v14, s16, v14
	v_fma_f32 v3, v7, s6, -v3
	s_delay_alu instid0(VALU_DEP_2) | instskip(NEXT) | instid1(VALU_DEP_4)
	v_fmac_f32_e32 v14, s17, v13
	v_fma_f32 v7, v13, s16, -v15
	s_delay_alu instid0(VALU_DEP_1)
	v_dual_add_f32 v14, v9, v14 :: v_dual_add_f32 v13, v3, v7
	global_store_b64 v[5:6], v[13:14], off
	s_and_b32 exec_lo, exec_lo, s0
	s_cbranch_execz .LBB1730_12
; %bb.11:
	v_mov_b32_e32 v3, 0
	global_store_b32 v[5:6], v3, off offset:4
.LBB1730_12:
	s_or_b32 exec_lo, exec_lo, s1
	v_cmp_le_i32_e64 s0, v4, v12
	s_delay_alu instid0(VALU_DEP_1) | instskip(NEXT) | instid1(SALU_CYCLE_1)
	s_and_b32 s0, vcc_lo, s0
	s_and_saveexec_b32 s1, s0
	s_cbranch_execz .LBB1730_15
; %bb.13:
	v_ashrrev_i32_e32 v5, 31, v4
	s_delay_alu instid0(VALU_DEP_1) | instskip(NEXT) | instid1(VALU_DEP_1)
	v_lshlrev_b64 v[3:4], 3, v[4:5]
	v_add_co_u32 v3, vcc_lo, v10, v3
	s_delay_alu instid0(VALU_DEP_2)
	v_add_co_ci_u32_e32 v4, vcc_lo, v11, v4, vcc_lo
	v_cmp_eq_u32_e32 vcc_lo, v8, v2
	global_load_b64 v[5:6], v[3:4], off
	v_mul_f32_e32 v7, s7, v1
	s_waitcnt vmcnt(0)
	v_mul_f32_e32 v9, s17, v6
	v_mul_f32_e32 v6, s16, v6
	s_delay_alu instid0(VALU_DEP_3) | instskip(SKIP_1) | instid1(VALU_DEP_1)
	v_fma_f32 v7, v0, s6, -v7
	v_mul_f32_e32 v1, s6, v1
	v_dual_fmac_f32 v6, s17, v5 :: v_dual_fmac_f32 v1, s7, v0
	v_fma_f32 v0, v5, s16, -v9
	s_delay_alu instid0(VALU_DEP_1)
	v_dual_add_f32 v1, v1, v6 :: v_dual_add_f32 v0, v7, v0
	global_store_b64 v[3:4], v[0:1], off
	s_and_b32 exec_lo, exec_lo, vcc_lo
	s_cbranch_execz .LBB1730_15
; %bb.14:
	v_mov_b32_e32 v0, 0
	global_store_b32 v[3:4], v0, off offset:4
.LBB1730_15:
	s_nop 0
	s_sendmsg sendmsg(MSG_DEALLOC_VGPRS)
	s_endpgm
	.section	.rodata,"a",@progbits
	.p2align	6, 0x0
	.amdhsa_kernel _ZL37rocblas_syrkx_herkx_restricted_kernelIl19rocblas_complex_numIfELi16ELi32ELi8ELb0ELb1ELc67ELc85EKPKS1_KPS1_EviT_T0_PT8_S7_lSA_S7_lS8_PT9_S7_li
		.amdhsa_group_segment_fixed_size 4096
		.amdhsa_private_segment_fixed_size 0
		.amdhsa_kernarg_size 108
		.amdhsa_user_sgpr_count 13
		.amdhsa_user_sgpr_dispatch_ptr 0
		.amdhsa_user_sgpr_queue_ptr 0
		.amdhsa_user_sgpr_kernarg_segment_ptr 1
		.amdhsa_user_sgpr_dispatch_id 0
		.amdhsa_user_sgpr_private_segment_size 0
		.amdhsa_wavefront_size32 1
		.amdhsa_uses_dynamic_stack 0
		.amdhsa_enable_private_segment 0
		.amdhsa_system_sgpr_workgroup_id_x 1
		.amdhsa_system_sgpr_workgroup_id_y 1
		.amdhsa_system_sgpr_workgroup_id_z 1
		.amdhsa_system_sgpr_workgroup_info 0
		.amdhsa_system_vgpr_workitem_id 1
		.amdhsa_next_free_vgpr 91
		.amdhsa_next_free_sgpr 24
		.amdhsa_reserve_vcc 1
		.amdhsa_float_round_mode_32 0
		.amdhsa_float_round_mode_16_64 0
		.amdhsa_float_denorm_mode_32 3
		.amdhsa_float_denorm_mode_16_64 3
		.amdhsa_dx10_clamp 1
		.amdhsa_ieee_mode 1
		.amdhsa_fp16_overflow 0
		.amdhsa_workgroup_processor_mode 1
		.amdhsa_memory_ordered 1
		.amdhsa_forward_progress 0
		.amdhsa_shared_vgpr_count 0
		.amdhsa_exception_fp_ieee_invalid_op 0
		.amdhsa_exception_fp_denorm_src 0
		.amdhsa_exception_fp_ieee_div_zero 0
		.amdhsa_exception_fp_ieee_overflow 0
		.amdhsa_exception_fp_ieee_underflow 0
		.amdhsa_exception_fp_ieee_inexact 0
		.amdhsa_exception_int_div_zero 0
	.end_amdhsa_kernel
	.section	.text._ZL37rocblas_syrkx_herkx_restricted_kernelIl19rocblas_complex_numIfELi16ELi32ELi8ELb0ELb1ELc67ELc85EKPKS1_KPS1_EviT_T0_PT8_S7_lSA_S7_lS8_PT9_S7_li,"axG",@progbits,_ZL37rocblas_syrkx_herkx_restricted_kernelIl19rocblas_complex_numIfELi16ELi32ELi8ELb0ELb1ELc67ELc85EKPKS1_KPS1_EviT_T0_PT8_S7_lSA_S7_lS8_PT9_S7_li,comdat
.Lfunc_end1730:
	.size	_ZL37rocblas_syrkx_herkx_restricted_kernelIl19rocblas_complex_numIfELi16ELi32ELi8ELb0ELb1ELc67ELc85EKPKS1_KPS1_EviT_T0_PT8_S7_lSA_S7_lS8_PT9_S7_li, .Lfunc_end1730-_ZL37rocblas_syrkx_herkx_restricted_kernelIl19rocblas_complex_numIfELi16ELi32ELi8ELb0ELb1ELc67ELc85EKPKS1_KPS1_EviT_T0_PT8_S7_lSA_S7_lS8_PT9_S7_li
                                        ; -- End function
	.section	.AMDGPU.csdata,"",@progbits
; Kernel info:
; codeLenInByte = 2504
; NumSgprs: 26
; NumVgprs: 91
; ScratchSize: 0
; MemoryBound: 0
; FloatMode: 240
; IeeeMode: 1
; LDSByteSize: 4096 bytes/workgroup (compile time only)
; SGPRBlocks: 3
; VGPRBlocks: 11
; NumSGPRsForWavesPerEU: 26
; NumVGPRsForWavesPerEU: 91
; Occupancy: 16
; WaveLimiterHint : 1
; COMPUTE_PGM_RSRC2:SCRATCH_EN: 0
; COMPUTE_PGM_RSRC2:USER_SGPR: 13
; COMPUTE_PGM_RSRC2:TRAP_HANDLER: 0
; COMPUTE_PGM_RSRC2:TGID_X_EN: 1
; COMPUTE_PGM_RSRC2:TGID_Y_EN: 1
; COMPUTE_PGM_RSRC2:TGID_Z_EN: 1
; COMPUTE_PGM_RSRC2:TIDIG_COMP_CNT: 1
	.section	.text._ZL37rocblas_syrkx_herkx_restricted_kernelIl19rocblas_complex_numIfELi16ELi32ELi8ELb0ELb1ELc78ELc85EKPKS1_KPS1_EviT_T0_PT8_S7_lSA_S7_lS8_PT9_S7_li,"axG",@progbits,_ZL37rocblas_syrkx_herkx_restricted_kernelIl19rocblas_complex_numIfELi16ELi32ELi8ELb0ELb1ELc78ELc85EKPKS1_KPS1_EviT_T0_PT8_S7_lSA_S7_lS8_PT9_S7_li,comdat
	.globl	_ZL37rocblas_syrkx_herkx_restricted_kernelIl19rocblas_complex_numIfELi16ELi32ELi8ELb0ELb1ELc78ELc85EKPKS1_KPS1_EviT_T0_PT8_S7_lSA_S7_lS8_PT9_S7_li ; -- Begin function _ZL37rocblas_syrkx_herkx_restricted_kernelIl19rocblas_complex_numIfELi16ELi32ELi8ELb0ELb1ELc78ELc85EKPKS1_KPS1_EviT_T0_PT8_S7_lSA_S7_lS8_PT9_S7_li
	.p2align	8
	.type	_ZL37rocblas_syrkx_herkx_restricted_kernelIl19rocblas_complex_numIfELi16ELi32ELi8ELb0ELb1ELc78ELc85EKPKS1_KPS1_EviT_T0_PT8_S7_lSA_S7_lS8_PT9_S7_li,@function
_ZL37rocblas_syrkx_herkx_restricted_kernelIl19rocblas_complex_numIfELi16ELi32ELi8ELb0ELb1ELc78ELc85EKPKS1_KPS1_EviT_T0_PT8_S7_lSA_S7_lS8_PT9_S7_li: ; @_ZL37rocblas_syrkx_herkx_restricted_kernelIl19rocblas_complex_numIfELi16ELi32ELi8ELb0ELb1ELc78ELc85EKPKS1_KPS1_EviT_T0_PT8_S7_lSA_S7_lS8_PT9_S7_li
; %bb.0:
	s_clause 0x1
	s_load_b128 s[16:19], s[0:1], 0x48
	s_load_b256 s[4:11], s[0:1], 0x8
	s_mov_b32 s2, s15
	s_mov_b32 s3, 0
	v_dual_mov_b32 v15, 0 :: v_dual_and_b32 v4, 0x3ff, v0
	s_lshl_b64 s[20:21], s[2:3], 3
	v_bfe_u32 v9, v0, 10, 10
	v_dual_mov_b32 v14, 0 :: v_dual_mov_b32 v11, 0
	v_dual_mov_b32 v10, 0 :: v_dual_mov_b32 v7, 0
	;; [unrolled: 1-line block ×3, first 2 shown]
	v_mov_b32_e32 v6, 0
	s_waitcnt lgkmcnt(0)
	s_add_u32 s2, s18, s20
	s_addc_u32 s3, s19, s21
	s_load_b64 s[18:19], s[0:1], 0x58
	s_load_b64 s[2:3], s[2:3], 0x0
	v_cmp_lt_i64_e64 s12, s[4:5], 1
	s_lshl_b32 s22, s13, 5
	s_lshl_b32 s23, s14, 5
	s_delay_alu instid0(VALU_DEP_1)
	s_and_b32 vcc_lo, exec_lo, s12
	s_cbranch_vccnz .LBB1731_3
; %bb.1:
	v_lshl_add_u32 v1, v9, 4, v4
	s_load_b128 s[12:15], s[0:1], 0x30
	s_add_u32 s8, s8, s20
	s_addc_u32 s9, s9, s21
	v_lshl_add_u32 v13, v9, 6, 0x800
	v_dual_mov_b32 v5, 0 :: v_dual_and_b32 v14, 31, v1
	v_lshrrev_b32_e32 v15, 3, v1
	v_lshrrev_b32_e32 v16, 5, v1
	s_load_b64 s[8:9], s[8:9], 0x0
	s_delay_alu instid0(VALU_DEP_3) | instskip(SKIP_2) | instid1(VALU_DEP_3)
	v_add_nc_u32_e32 v0, s22, v14
	v_lshlrev_b32_e32 v14, 3, v14
	v_add_nc_u32_e32 v2, s23, v15
	v_ashrrev_i32_e32 v1, 31, v0
	s_delay_alu instid0(VALU_DEP_2) | instskip(NEXT) | instid1(VALU_DEP_2)
	v_ashrrev_i32_e32 v3, 31, v2
	v_mad_u64_u32 v[10:11], null, v16, s10, v[0:1]
	v_and_b32_e32 v17, 7, v4
	s_waitcnt lgkmcnt(0)
	s_add_u32 s12, s12, s20
	s_addc_u32 s13, s13, s21
	s_load_b64 s[12:13], s[12:13], 0x0
	v_mad_u64_u32 v[0:1], null, v17, s14, v[2:3]
	s_delay_alu instid0(VALU_DEP_3) | instskip(SKIP_1) | instid1(VALU_DEP_2)
	v_mov_b32_e32 v2, v11
	v_mov_b32_e32 v6, 0
	v_mad_u64_u32 v[7:8], null, v16, s11, v[2:3]
	s_delay_alu instid0(VALU_DEP_4) | instskip(SKIP_4) | instid1(VALU_DEP_4)
	v_mad_u64_u32 v[2:3], null, v17, s15, v[1:2]
	v_lshlrev_b32_e32 v1, 3, v17
	v_lshlrev_b32_e32 v12, 3, v4
	v_lshl_or_b32 v16, v16, 8, v14
	v_mov_b32_e32 v11, v7
	v_lshl_or_b32 v15, v15, 6, v1
	v_dual_mov_b32 v1, v2 :: v_dual_mov_b32 v8, 0
	v_mov_b32_e32 v7, 0
	s_delay_alu instid0(VALU_DEP_4) | instskip(NEXT) | instid1(VALU_DEP_4)
	v_lshlrev_b64 v[2:3], 3, v[10:11]
	v_add_nc_u32_e32 v17, 0x800, v15
	s_delay_alu instid0(VALU_DEP_4) | instskip(SKIP_1) | instid1(VALU_DEP_4)
	v_lshlrev_b64 v[0:1], 3, v[0:1]
	v_dual_mov_b32 v10, 0 :: v_dual_mov_b32 v15, 0
	v_add_co_u32 v2, vcc_lo, v2, s8
	v_add_co_ci_u32_e32 v3, vcc_lo, s9, v3, vcc_lo
	s_waitcnt lgkmcnt(0)
	s_delay_alu instid0(VALU_DEP_4) | instskip(SKIP_3) | instid1(VALU_DEP_4)
	v_add_co_u32 v11, vcc_lo, v0, s12
	v_add_co_ci_u32_e32 v14, vcc_lo, s13, v1, vcc_lo
	v_add_co_u32 v0, vcc_lo, v2, 4
	v_add_co_ci_u32_e32 v1, vcc_lo, 0, v3, vcc_lo
	v_add_co_u32 v2, vcc_lo, v11, 4
	s_delay_alu instid0(VALU_DEP_4)
	v_add_co_ci_u32_e32 v3, vcc_lo, 0, v14, vcc_lo
	v_dual_mov_b32 v11, 0 :: v_dual_mov_b32 v14, 0
	s_lshl_b64 s[8:9], s[10:11], 6
	s_lshl_b64 s[10:11], s[14:15], 6
	s_mov_b64 s[12:13], 0
.LBB1731_2:                             ; =>This Inner Loop Header: Depth=1
	global_load_b64 v[18:19], v[2:3], off offset:-4
	global_load_b64 v[20:21], v[0:1], off offset:-4
	s_add_u32 s12, s12, 8
	v_add_co_u32 v0, vcc_lo, v0, s8
	s_addc_u32 s13, s13, 0
	v_add_co_ci_u32_e32 v1, vcc_lo, s9, v1, vcc_lo
	v_cmp_ge_u64_e64 s14, s[12:13], s[4:5]
	v_add_co_u32 v2, vcc_lo, v2, s10
	v_add_co_ci_u32_e32 v3, vcc_lo, s11, v3, vcc_lo
	s_delay_alu instid0(VALU_DEP_3)
	s_and_b32 vcc_lo, exec_lo, s14
	s_waitcnt vmcnt(1)
	v_xor_b32_e32 v19, 0x80000000, v19
	s_waitcnt vmcnt(0)
	ds_store_b64 v16, v[20:21]
	ds_store_b64 v17, v[18:19]
	s_waitcnt lgkmcnt(0)
	s_barrier
	buffer_gl0_inv
	ds_load_2addr_b64 v[18:21], v12 offset1:16
	ds_load_b128 v[22:25], v13
	ds_load_b128 v[26:29], v13 offset:1024
	ds_load_b128 v[30:33], v13 offset:16
	;; [unrolled: 1-line block ×4, first 2 shown]
	ds_load_2addr_b64 v[42:45], v12 offset0:32 offset1:48
	ds_load_2addr_b64 v[46:49], v12 offset0:64 offset1:80
	ds_load_b128 v[50:53], v13 offset:1040
	ds_load_2addr_b64 v[54:57], v12 offset0:96 offset1:112
	ds_load_2addr_b64 v[58:61], v12 offset0:128 offset1:144
	;; [unrolled: 1-line block ×4, first 2 shown]
	ds_load_b128 v[70:73], v13 offset:1056
	ds_load_b128 v[74:77], v13 offset:1072
	ds_load_2addr_b64 v[78:81], v12 offset0:224 offset1:240
	s_waitcnt lgkmcnt(0)
	s_barrier
	buffer_gl0_inv
	v_dual_mul_f32 v82, v23, v19 :: v_dual_mul_f32 v85, v22, v21
	v_dual_mul_f32 v83, v22, v19 :: v_dual_mul_f32 v84, v23, v21
	v_mul_f32_e32 v86, v27, v19
	v_dual_mul_f32 v19, v26, v19 :: v_dual_mul_f32 v90, v25, v45
	v_dual_mul_f32 v87, v27, v21 :: v_dual_mul_f32 v88, v25, v43
	v_mul_f32_e32 v21, v26, v21
	v_mul_f32_e32 v89, v24, v43
	;; [unrolled: 1-line block ×3, first 2 shown]
	v_fma_f32 v82, v22, v18, -v82
	v_fmac_f32_e32 v83, v23, v18
	v_fma_f32 v22, v22, v20, -v84
	v_dual_fmac_f32 v85, v23, v20 :: v_dual_mul_f32 v84, v30, v47
	v_fma_f32 v23, v26, v18, -v86
	v_fmac_f32_e32 v19, v27, v18
	v_fma_f32 v18, v26, v20, -v87
	v_dual_mul_f32 v26, v28, v43 :: v_dual_fmac_f32 v21, v27, v20
	v_mul_f32_e32 v20, v29, v43
	v_mul_f32_e32 v27, v29, v45
	v_dual_mul_f32 v43, v28, v45 :: v_dual_fmac_f32 v84, v31, v46
	v_fma_f32 v45, v24, v42, -v88
	v_fma_f32 v24, v24, v44, -v90
	v_dual_fmac_f32 v91, v25, v44 :: v_dual_mul_f32 v90, v32, v57
	v_dual_mul_f32 v86, v31, v49 :: v_dual_fmac_f32 v89, v25, v42
	v_dual_mul_f32 v25, v31, v47 :: v_dual_mul_f32 v88, v33, v57
	v_fma_f32 v20, v28, v42, -v20
	v_fmac_f32_e32 v26, v29, v42
	v_fma_f32 v27, v28, v44, -v27
	v_dual_fmac_f32 v43, v29, v44 :: v_dual_mul_f32 v28, v51, v47
	v_dual_mul_f32 v29, v50, v47 :: v_dual_mul_f32 v42, v51, v49
	v_mul_f32_e32 v44, v50, v49
	v_mul_f32_e32 v87, v30, v49
	;; [unrolled: 1-line block ×3, first 2 shown]
	v_dual_mul_f32 v49, v32, v55 :: v_dual_fmac_f32 v90, v33, v56
	v_fma_f32 v25, v30, v46, -v25
	v_fma_f32 v30, v30, v48, -v86
	;; [unrolled: 1-line block ×3, first 2 shown]
	v_fmac_f32_e32 v44, v51, v48
	v_fmac_f32_e32 v87, v31, v48
	v_fma_f32 v31, v50, v48, -v42
	v_mul_f32_e32 v42, v53, v55
	v_mul_f32_e32 v48, v53, v57
	v_dual_mul_f32 v50, v52, v57 :: v_dual_fmac_f32 v29, v51, v46
	v_mul_f32_e32 v46, v52, v55
	v_fma_f32 v47, v32, v54, -v47
	v_fmac_f32_e32 v49, v33, v54
	v_fma_f32 v32, v32, v56, -v88
	s_delay_alu instid0(VALU_DEP_4)
	v_dual_mul_f32 v33, v35, v59 :: v_dual_fmac_f32 v46, v53, v54
	v_mul_f32_e32 v51, v34, v59
	v_mul_f32_e32 v55, v35, v61
	v_fma_f32 v42, v52, v54, -v42
	v_fma_f32 v48, v52, v56, -v48
	v_fmac_f32_e32 v50, v53, v56
	v_mul_f32_e32 v52, v71, v59
	v_dual_mul_f32 v53, v70, v59 :: v_dual_mul_f32 v86, v37, v65
	v_mul_f32_e32 v54, v71, v61
	v_dual_mul_f32 v56, v70, v61 :: v_dual_mul_f32 v59, v37, v63
	v_mul_f32_e32 v57, v34, v61
	v_mul_f32_e32 v61, v36, v63
	v_dual_mul_f32 v88, v36, v65 :: v_dual_fmac_f32 v51, v35, v58
	v_fma_f32 v33, v34, v58, -v33
	v_fmac_f32_e32 v53, v71, v58
	v_fmac_f32_e32 v56, v71, v60
	s_delay_alu instid0(VALU_DEP_4)
	v_fmac_f32_e32 v88, v37, v64
	v_fmac_f32_e32 v57, v35, v60
	v_fma_f32 v35, v70, v58, -v52
	v_fma_f32 v52, v70, v60, -v54
	v_mul_f32_e32 v54, v73, v63
	v_fma_f32 v34, v34, v60, -v55
	v_mul_f32_e32 v60, v72, v65
	v_dual_mul_f32 v55, v72, v63 :: v_dual_mul_f32 v70, v38, v69
	v_mul_f32_e32 v58, v73, v65
	v_fma_f32 v59, v36, v62, -v59
	v_fmac_f32_e32 v61, v37, v62
	v_fma_f32 v36, v36, v64, -v86
	v_dual_mul_f32 v37, v39, v67 :: v_dual_fmac_f32 v60, v73, v64
	v_dual_mul_f32 v63, v38, v67 :: v_dual_mul_f32 v86, v40, v81
	v_mul_f32_e32 v65, v39, v69
	v_fma_f32 v54, v72, v62, -v54
	v_fmac_f32_e32 v55, v73, v62
	v_fma_f32 v58, v72, v64, -v58
	v_mul_f32_e32 v72, v40, v79
	v_mul_f32_e32 v62, v75, v67
	v_dual_mul_f32 v64, v74, v67 :: v_dual_mul_f32 v67, v75, v69
	v_dual_mul_f32 v69, v74, v69 :: v_dual_fmac_f32 v70, v39, v68
	s_delay_alu instid0(VALU_DEP_2)
	v_dual_mul_f32 v71, v41, v79 :: v_dual_fmac_f32 v64, v75, v66
	v_fma_f32 v37, v38, v66, -v37
	v_fmac_f32_e32 v63, v39, v66
	v_fma_f32 v38, v38, v68, -v65
	v_fma_f32 v39, v74, v66, -v62
	v_dual_fmac_f32 v69, v75, v68 :: v_dual_fmac_f32 v72, v41, v78
	v_mul_f32_e32 v66, v76, v79
	v_fma_f32 v62, v74, v68, -v67
	v_mul_f32_e32 v68, v76, v81
	v_dual_mul_f32 v73, v41, v81 :: v_dual_add_f32 v14, v14, v82
	v_dual_mul_f32 v65, v77, v79 :: v_dual_add_f32 v10, v10, v85
	;; [unrolled: 1-line block ×3, first 2 shown]
	v_dual_fmac_f32 v86, v41, v80 :: v_dual_add_f32 v15, v15, v83
	v_dual_fmac_f32 v66, v77, v78 :: v_dual_add_f32 v7, v7, v23
	;; [unrolled: 1-line block ×3, first 2 shown]
	v_dual_add_f32 v6, v6, v18 :: v_dual_add_f32 v5, v5, v21
	v_add_f32_e32 v14, v14, v45
	v_dual_add_f32 v15, v15, v89 :: v_dual_add_f32 v10, v10, v91
	s_delay_alu instid0(VALU_DEP_4) | instskip(SKIP_1) | instid1(VALU_DEP_3)
	v_add_f32_e32 v11, v11, v24
	v_dual_add_f32 v7, v7, v20 :: v_dual_add_f32 v8, v8, v26
	v_dual_add_f32 v6, v6, v27 :: v_dual_add_f32 v15, v15, v84
	;; [unrolled: 1-line block ×3, first 2 shown]
	s_delay_alu instid0(VALU_DEP_4) | instskip(NEXT) | instid1(VALU_DEP_4)
	v_dual_add_f32 v11, v11, v30 :: v_dual_add_f32 v10, v10, v87
	v_dual_add_f32 v7, v7, v28 :: v_dual_add_f32 v8, v8, v29
	s_delay_alu instid0(VALU_DEP_3) | instskip(NEXT) | instid1(VALU_DEP_4)
	v_dual_add_f32 v6, v6, v31 :: v_dual_add_f32 v5, v5, v44
	v_dual_add_f32 v14, v14, v47 :: v_dual_add_f32 v15, v15, v49
	s_delay_alu instid0(VALU_DEP_4) | instskip(NEXT) | instid1(VALU_DEP_3)
	v_dual_add_f32 v11, v11, v32 :: v_dual_add_f32 v10, v10, v90
	v_dual_add_f32 v7, v7, v42 :: v_dual_add_f32 v6, v6, v48
	s_delay_alu instid0(VALU_DEP_3) | instskip(NEXT) | instid1(VALU_DEP_4)
	v_dual_add_f32 v8, v8, v46 :: v_dual_add_f32 v15, v15, v51
	v_dual_add_f32 v5, v5, v50 :: v_dual_add_f32 v14, v14, v33
	s_delay_alu instid0(VALU_DEP_4) | instskip(NEXT) | instid1(VALU_DEP_3)
	v_dual_add_f32 v11, v11, v34 :: v_dual_add_f32 v10, v10, v57
	v_dual_add_f32 v7, v7, v35 :: v_dual_add_f32 v8, v8, v53
	s_delay_alu instid0(VALU_DEP_4) | instskip(NEXT) | instid1(VALU_DEP_4)
	v_dual_add_f32 v6, v6, v52 :: v_dual_add_f32 v15, v15, v61
	v_dual_add_f32 v5, v5, v56 :: v_dual_add_f32 v14, v14, v59
	s_delay_alu instid0(VALU_DEP_3) | instskip(NEXT) | instid1(VALU_DEP_4)
	v_dual_add_f32 v11, v11, v36 :: v_dual_add_f32 v8, v8, v55
	v_dual_add_f32 v10, v10, v88 :: v_dual_add_f32 v7, v7, v54
	s_delay_alu instid0(VALU_DEP_3)
	v_dual_add_f32 v6, v6, v58 :: v_dual_add_f32 v5, v5, v60
	v_fma_f32 v71, v40, v78, -v71
	v_fma_f32 v40, v40, v80, -v73
	;; [unrolled: 1-line block ×4, first 2 shown]
	v_dual_add_f32 v14, v14, v37 :: v_dual_add_f32 v15, v15, v63
	v_dual_add_f32 v11, v11, v38 :: v_dual_add_f32 v8, v8, v64
	;; [unrolled: 1-line block ×4, first 2 shown]
	s_delay_alu instid0(VALU_DEP_4) | instskip(NEXT) | instid1(VALU_DEP_3)
	v_dual_add_f32 v14, v14, v71 :: v_dual_add_f32 v15, v15, v72
	v_dual_add_f32 v11, v11, v40 :: v_dual_add_f32 v10, v10, v86
	s_delay_alu instid0(VALU_DEP_4) | instskip(NEXT) | instid1(VALU_DEP_4)
	v_dual_add_f32 v7, v7, v41 :: v_dual_add_f32 v8, v8, v66
	v_dual_add_f32 v6, v6, v65 :: v_dual_add_f32 v5, v5, v68
	s_cbranch_vccz .LBB1731_2
.LBB1731_3:
	v_add_nc_u32_e32 v9, s23, v9
	s_load_b32 s4, s[0:1], 0x0
	s_delay_alu instid0(VALU_DEP_1) | instskip(SKIP_3) | instid1(VALU_DEP_3)
	v_ashrrev_i32_e32 v0, 31, v9
	s_waitcnt lgkmcnt(0)
	v_mul_lo_u32 v3, v9, s19
	v_mad_u64_u32 v[1:2], null, v9, s18, 0
	v_mul_lo_u32 v0, v0, s18
	s_delay_alu instid0(VALU_DEP_1) | instskip(SKIP_2) | instid1(VALU_DEP_3)
	v_add3_u32 v2, v2, v3, v0
	v_add_nc_u32_e32 v0, s22, v4
	v_cmp_gt_i32_e32 vcc_lo, s4, v9
	v_lshlrev_b64 v[1:2], 3, v[1:2]
	s_delay_alu instid0(VALU_DEP_3) | instskip(NEXT) | instid1(VALU_DEP_1)
	v_cmp_le_i32_e64 s0, v0, v9
	s_and_b32 s0, vcc_lo, s0
	s_delay_alu instid0(VALU_DEP_2) | instskip(NEXT) | instid1(VALU_DEP_1)
	v_add_co_u32 v4, s1, s2, v1
	v_add_co_ci_u32_e64 v12, s1, s3, v2, s1
	s_and_saveexec_b32 s1, s0
	s_cbranch_execz .LBB1731_6
; %bb.4:
	v_ashrrev_i32_e32 v1, 31, v0
	s_delay_alu instid0(VALU_DEP_1) | instskip(NEXT) | instid1(VALU_DEP_1)
	v_lshlrev_b64 v[1:2], 3, v[0:1]
	v_add_co_u32 v1, s0, v4, v1
	s_delay_alu instid0(VALU_DEP_1)
	v_add_co_ci_u32_e64 v2, s0, v12, v2, s0
	v_cmp_eq_u32_e64 s0, v9, v0
	global_load_b64 v[16:17], v[1:2], off
	s_waitcnt vmcnt(0)
	v_mul_f32_e32 v13, s17, v17
	v_mul_f32_e32 v17, s16, v17
	s_delay_alu instid0(VALU_DEP_2) | instskip(NEXT) | instid1(VALU_DEP_2)
	v_fma_f32 v13, v16, s16, -v13
	v_fmac_f32_e32 v17, s17, v16
	v_mul_f32_e32 v3, s7, v15
	v_mul_f32_e32 v15, s6, v15
	s_delay_alu instid0(VALU_DEP_2) | instskip(NEXT) | instid1(VALU_DEP_2)
	v_fma_f32 v3, v14, s6, -v3
	v_fmac_f32_e32 v15, s7, v14
	s_delay_alu instid0(VALU_DEP_2) | instskip(NEXT) | instid1(VALU_DEP_2)
	v_add_f32_e32 v13, v3, v13
	v_add_f32_e32 v14, v15, v17
	global_store_b64 v[1:2], v[13:14], off
	s_and_b32 exec_lo, exec_lo, s0
	s_cbranch_execz .LBB1731_6
; %bb.5:
	v_mov_b32_e32 v3, 0
	global_store_b32 v[1:2], v3, off offset:4
.LBB1731_6:
	s_or_b32 exec_lo, exec_lo, s1
	v_add_nc_u32_e32 v2, 16, v0
	s_delay_alu instid0(VALU_DEP_1) | instskip(NEXT) | instid1(VALU_DEP_1)
	v_cmp_le_i32_e64 s0, v2, v9
	s_and_b32 s1, vcc_lo, s0
	s_delay_alu instid0(SALU_CYCLE_1)
	s_and_saveexec_b32 s0, s1
	s_cbranch_execz .LBB1731_9
; %bb.7:
	v_ashrrev_i32_e32 v3, 31, v2
	s_delay_alu instid0(VALU_DEP_1) | instskip(NEXT) | instid1(VALU_DEP_1)
	v_lshlrev_b64 v[13:14], 3, v[2:3]
	v_add_co_u32 v3, vcc_lo, v4, v13
	s_delay_alu instid0(VALU_DEP_2)
	v_add_co_ci_u32_e32 v4, vcc_lo, v12, v14, vcc_lo
	v_cmp_eq_u32_e32 vcc_lo, v9, v2
	global_load_b64 v[12:13], v[3:4], off
	v_mul_f32_e32 v1, s7, v10
	v_mul_f32_e32 v14, s6, v10
	s_waitcnt vmcnt(0)
	v_mul_f32_e32 v10, s17, v13
	v_mul_f32_e32 v13, s16, v13
	v_fma_f32 v1, v11, s6, -v1
	v_fmac_f32_e32 v14, s7, v11
	s_delay_alu instid0(VALU_DEP_4) | instskip(NEXT) | instid1(VALU_DEP_1)
	v_fma_f32 v10, v12, s16, -v10
	v_dual_fmac_f32 v13, s17, v12 :: v_dual_add_f32 v10, v1, v10
	s_delay_alu instid0(VALU_DEP_1)
	v_add_f32_e32 v11, v14, v13
	global_store_b64 v[3:4], v[10:11], off
	s_and_b32 exec_lo, exec_lo, vcc_lo
	s_cbranch_execz .LBB1731_9
; %bb.8:
	v_mov_b32_e32 v1, 0
	global_store_b32 v[3:4], v1, off offset:4
.LBB1731_9:
	s_or_b32 exec_lo, exec_lo, s0
	v_add_nc_u32_e32 v12, 16, v9
	s_delay_alu instid0(VALU_DEP_1) | instskip(SKIP_3) | instid1(VALU_DEP_4)
	v_ashrrev_i32_e32 v1, 31, v12
	v_mul_lo_u32 v10, v12, s19
	v_mad_u64_u32 v[3:4], null, v12, s18, 0
	v_cmp_gt_i32_e32 vcc_lo, s4, v12
	v_mul_lo_u32 v1, v1, s18
	v_cmp_le_i32_e64 s0, v0, v12
	s_delay_alu instid0(VALU_DEP_1) | instskip(NEXT) | instid1(VALU_DEP_2)
	s_and_b32 s0, vcc_lo, s0
	v_add3_u32 v4, v4, v10, v1
	s_delay_alu instid0(VALU_DEP_1) | instskip(NEXT) | instid1(VALU_DEP_1)
	v_lshlrev_b64 v[3:4], 3, v[3:4]
	v_add_co_u32 v10, s1, s2, v3
	s_delay_alu instid0(VALU_DEP_1)
	v_add_co_ci_u32_e64 v11, s1, s3, v4, s1
	s_and_saveexec_b32 s1, s0
	s_cbranch_execz .LBB1731_12
; %bb.10:
	v_ashrrev_i32_e32 v1, 31, v0
	s_delay_alu instid0(VALU_DEP_1) | instskip(NEXT) | instid1(VALU_DEP_1)
	v_lshlrev_b64 v[3:4], 3, v[0:1]
	v_add_co_u32 v3, s0, v10, v3
	s_delay_alu instid0(VALU_DEP_1)
	v_add_co_ci_u32_e64 v4, s0, v11, v4, s0
	v_cmp_eq_u32_e64 s0, v12, v0
	global_load_b64 v[13:14], v[3:4], off
	v_mul_f32_e32 v1, s7, v8
	s_waitcnt vmcnt(0)
	v_dual_mul_f32 v8, s6, v8 :: v_dual_mul_f32 v15, s17, v14
	v_mul_f32_e32 v14, s16, v14
	s_delay_alu instid0(VALU_DEP_3) | instskip(NEXT) | instid1(VALU_DEP_3)
	v_fma_f32 v1, v7, s6, -v1
	v_fmac_f32_e32 v8, s7, v7
	s_delay_alu instid0(VALU_DEP_4) | instskip(NEXT) | instid1(VALU_DEP_1)
	v_fma_f32 v7, v13, s16, -v15
	v_dual_fmac_f32 v14, s17, v13 :: v_dual_add_f32 v7, v1, v7
	s_delay_alu instid0(VALU_DEP_1)
	v_add_f32_e32 v8, v8, v14
	global_store_b64 v[3:4], v[7:8], off
	s_and_b32 exec_lo, exec_lo, s0
	s_cbranch_execz .LBB1731_12
; %bb.11:
	v_mov_b32_e32 v1, 0
	global_store_b32 v[3:4], v1, off offset:4
.LBB1731_12:
	s_or_b32 exec_lo, exec_lo, s1
	v_cmp_le_i32_e64 s0, v2, v12
	s_delay_alu instid0(VALU_DEP_1) | instskip(NEXT) | instid1(SALU_CYCLE_1)
	s_and_b32 s0, vcc_lo, s0
	s_and_saveexec_b32 s1, s0
	s_cbranch_execz .LBB1731_15
; %bb.13:
	v_ashrrev_i32_e32 v3, 31, v2
	s_delay_alu instid0(VALU_DEP_1) | instskip(NEXT) | instid1(VALU_DEP_1)
	v_lshlrev_b64 v[1:2], 3, v[2:3]
	v_add_co_u32 v1, vcc_lo, v10, v1
	s_delay_alu instid0(VALU_DEP_2)
	v_add_co_ci_u32_e32 v2, vcc_lo, v11, v2, vcc_lo
	v_cmp_eq_u32_e32 vcc_lo, v9, v0
	global_load_b64 v[3:4], v[1:2], off
	v_mul_f32_e32 v7, s7, v5
	s_waitcnt vmcnt(0)
	v_dual_mul_f32 v5, s6, v5 :: v_dual_mul_f32 v8, s17, v4
	v_mul_f32_e32 v4, s16, v4
	s_delay_alu instid0(VALU_DEP_3) | instskip(NEXT) | instid1(VALU_DEP_3)
	v_fma_f32 v7, v6, s6, -v7
	v_fmac_f32_e32 v5, s7, v6
	s_delay_alu instid0(VALU_DEP_4) | instskip(NEXT) | instid1(VALU_DEP_1)
	v_fma_f32 v6, v3, s16, -v8
	v_dual_fmac_f32 v4, s17, v3 :: v_dual_add_f32 v3, v7, v6
	s_delay_alu instid0(VALU_DEP_1)
	v_add_f32_e32 v4, v5, v4
	global_store_b64 v[1:2], v[3:4], off
	s_and_b32 exec_lo, exec_lo, vcc_lo
	s_cbranch_execz .LBB1731_15
; %bb.14:
	v_mov_b32_e32 v0, 0
	global_store_b32 v[1:2], v0, off offset:4
.LBB1731_15:
	s_nop 0
	s_sendmsg sendmsg(MSG_DEALLOC_VGPRS)
	s_endpgm
	.section	.rodata,"a",@progbits
	.p2align	6, 0x0
	.amdhsa_kernel _ZL37rocblas_syrkx_herkx_restricted_kernelIl19rocblas_complex_numIfELi16ELi32ELi8ELb0ELb1ELc78ELc85EKPKS1_KPS1_EviT_T0_PT8_S7_lSA_S7_lS8_PT9_S7_li
		.amdhsa_group_segment_fixed_size 4096
		.amdhsa_private_segment_fixed_size 0
		.amdhsa_kernarg_size 108
		.amdhsa_user_sgpr_count 13
		.amdhsa_user_sgpr_dispatch_ptr 0
		.amdhsa_user_sgpr_queue_ptr 0
		.amdhsa_user_sgpr_kernarg_segment_ptr 1
		.amdhsa_user_sgpr_dispatch_id 0
		.amdhsa_user_sgpr_private_segment_size 0
		.amdhsa_wavefront_size32 1
		.amdhsa_uses_dynamic_stack 0
		.amdhsa_enable_private_segment 0
		.amdhsa_system_sgpr_workgroup_id_x 1
		.amdhsa_system_sgpr_workgroup_id_y 1
		.amdhsa_system_sgpr_workgroup_id_z 1
		.amdhsa_system_sgpr_workgroup_info 0
		.amdhsa_system_vgpr_workitem_id 1
		.amdhsa_next_free_vgpr 92
		.amdhsa_next_free_sgpr 24
		.amdhsa_reserve_vcc 1
		.amdhsa_float_round_mode_32 0
		.amdhsa_float_round_mode_16_64 0
		.amdhsa_float_denorm_mode_32 3
		.amdhsa_float_denorm_mode_16_64 3
		.amdhsa_dx10_clamp 1
		.amdhsa_ieee_mode 1
		.amdhsa_fp16_overflow 0
		.amdhsa_workgroup_processor_mode 1
		.amdhsa_memory_ordered 1
		.amdhsa_forward_progress 0
		.amdhsa_shared_vgpr_count 0
		.amdhsa_exception_fp_ieee_invalid_op 0
		.amdhsa_exception_fp_denorm_src 0
		.amdhsa_exception_fp_ieee_div_zero 0
		.amdhsa_exception_fp_ieee_overflow 0
		.amdhsa_exception_fp_ieee_underflow 0
		.amdhsa_exception_fp_ieee_inexact 0
		.amdhsa_exception_int_div_zero 0
	.end_amdhsa_kernel
	.section	.text._ZL37rocblas_syrkx_herkx_restricted_kernelIl19rocblas_complex_numIfELi16ELi32ELi8ELb0ELb1ELc78ELc85EKPKS1_KPS1_EviT_T0_PT8_S7_lSA_S7_lS8_PT9_S7_li,"axG",@progbits,_ZL37rocblas_syrkx_herkx_restricted_kernelIl19rocblas_complex_numIfELi16ELi32ELi8ELb0ELb1ELc78ELc85EKPKS1_KPS1_EviT_T0_PT8_S7_lSA_S7_lS8_PT9_S7_li,comdat
.Lfunc_end1731:
	.size	_ZL37rocblas_syrkx_herkx_restricted_kernelIl19rocblas_complex_numIfELi16ELi32ELi8ELb0ELb1ELc78ELc85EKPKS1_KPS1_EviT_T0_PT8_S7_lSA_S7_lS8_PT9_S7_li, .Lfunc_end1731-_ZL37rocblas_syrkx_herkx_restricted_kernelIl19rocblas_complex_numIfELi16ELi32ELi8ELb0ELb1ELc78ELc85EKPKS1_KPS1_EviT_T0_PT8_S7_lSA_S7_lS8_PT9_S7_li
                                        ; -- End function
	.section	.AMDGPU.csdata,"",@progbits
; Kernel info:
; codeLenInByte = 2528
; NumSgprs: 26
; NumVgprs: 92
; ScratchSize: 0
; MemoryBound: 0
; FloatMode: 240
; IeeeMode: 1
; LDSByteSize: 4096 bytes/workgroup (compile time only)
; SGPRBlocks: 3
; VGPRBlocks: 11
; NumSGPRsForWavesPerEU: 26
; NumVGPRsForWavesPerEU: 92
; Occupancy: 16
; WaveLimiterHint : 1
; COMPUTE_PGM_RSRC2:SCRATCH_EN: 0
; COMPUTE_PGM_RSRC2:USER_SGPR: 13
; COMPUTE_PGM_RSRC2:TRAP_HANDLER: 0
; COMPUTE_PGM_RSRC2:TGID_X_EN: 1
; COMPUTE_PGM_RSRC2:TGID_Y_EN: 1
; COMPUTE_PGM_RSRC2:TGID_Z_EN: 1
; COMPUTE_PGM_RSRC2:TIDIG_COMP_CNT: 1
	.section	.text._ZL41rocblas_syrkx_herkx_small_restrict_kernelIl19rocblas_complex_numIfELi16ELb1ELb1ELc84ELc76EKPKS1_KPS1_EviT_T0_PT6_S7_lSA_S7_lS8_PT7_S7_li,"axG",@progbits,_ZL41rocblas_syrkx_herkx_small_restrict_kernelIl19rocblas_complex_numIfELi16ELb1ELb1ELc84ELc76EKPKS1_KPS1_EviT_T0_PT6_S7_lSA_S7_lS8_PT7_S7_li,comdat
	.globl	_ZL41rocblas_syrkx_herkx_small_restrict_kernelIl19rocblas_complex_numIfELi16ELb1ELb1ELc84ELc76EKPKS1_KPS1_EviT_T0_PT6_S7_lSA_S7_lS8_PT7_S7_li ; -- Begin function _ZL41rocblas_syrkx_herkx_small_restrict_kernelIl19rocblas_complex_numIfELi16ELb1ELb1ELc84ELc76EKPKS1_KPS1_EviT_T0_PT6_S7_lSA_S7_lS8_PT7_S7_li
	.p2align	8
	.type	_ZL41rocblas_syrkx_herkx_small_restrict_kernelIl19rocblas_complex_numIfELi16ELb1ELb1ELc84ELc76EKPKS1_KPS1_EviT_T0_PT6_S7_lSA_S7_lS8_PT7_S7_li,@function
_ZL41rocblas_syrkx_herkx_small_restrict_kernelIl19rocblas_complex_numIfELi16ELb1ELb1ELc84ELc76EKPKS1_KPS1_EviT_T0_PT6_S7_lSA_S7_lS8_PT7_S7_li: ; @_ZL41rocblas_syrkx_herkx_small_restrict_kernelIl19rocblas_complex_numIfELi16ELb1ELb1ELc84ELc76EKPKS1_KPS1_EviT_T0_PT6_S7_lSA_S7_lS8_PT7_S7_li
; %bb.0:
	s_clause 0x1
	s_load_b128 s[16:19], s[0:1], 0x50
	s_load_b256 s[4:11], s[0:1], 0x8
	s_mov_b32 s2, s15
	s_mov_b32 s3, 0
	v_dual_mov_b32 v13, 0 :: v_dual_and_b32 v2, 0x3ff, v0
	s_lshl_b64 s[20:21], s[2:3], 3
	v_bfe_u32 v3, v0, 10, 10
	v_mov_b32_e32 v12, 0
	s_delay_alu instid0(VALU_DEP_3) | instskip(NEXT) | instid1(VALU_DEP_3)
	v_lshl_add_u32 v0, s13, 4, v2
	v_lshl_add_u32 v6, s14, 4, v3
	s_delay_alu instid0(VALU_DEP_2) | instskip(NEXT) | instid1(VALU_DEP_2)
	v_ashrrev_i32_e32 v1, 31, v0
	v_ashrrev_i32_e32 v7, 31, v6
	s_waitcnt lgkmcnt(0)
	s_add_u32 s2, s16, s20
	s_addc_u32 s3, s17, s21
	v_cmp_lt_i64_e64 s12, s[4:5], 1
	s_load_b64 s[2:3], s[2:3], 0x0
	s_delay_alu instid0(VALU_DEP_1)
	s_and_b32 vcc_lo, exec_lo, s12
	s_cbranch_vccnz .LBB1732_3
; %bb.1:
	s_load_b128 s[12:15], s[0:1], 0x30
	v_mul_lo_u32 v10, v0, s11
	v_mul_lo_u32 v11, v1, s10
	v_mad_u64_u32 v[4:5], null, v0, s10, 0
	v_lshlrev_b32_e32 v8, 3, v2
	v_lshlrev_b32_e32 v17, 3, v3
	;; [unrolled: 1-line block ×3, first 2 shown]
	s_delay_alu instid0(VALU_DEP_4) | instskip(NEXT) | instid1(VALU_DEP_1)
	v_add3_u32 v5, v5, v10, v11
	v_lshlrev_b64 v[4:5], 3, v[4:5]
	s_waitcnt lgkmcnt(0)
	s_add_u32 s0, s12, s20
	s_addc_u32 s1, s13, s21
	s_add_u32 s8, s8, s20
	s_load_b64 s[0:1], s[0:1], 0x0
	s_addc_u32 s9, s9, s21
	v_mul_lo_u32 v12, v6, s15
	s_load_b64 s[8:9], s[8:9], 0x0
	v_mul_lo_u32 v15, v7, s14
	v_mad_u64_u32 v[13:14], null, v6, s14, 0
	s_delay_alu instid0(VALU_DEP_1) | instskip(SKIP_1) | instid1(VALU_DEP_2)
	v_add3_u32 v14, v14, v12, v15
	v_mov_b32_e32 v12, 0
	v_lshlrev_b64 v[2:3], 3, v[13:14]
	s_waitcnt lgkmcnt(0)
	v_add_co_u32 v13, s0, s0, v8
	s_delay_alu instid0(VALU_DEP_1) | instskip(SKIP_1) | instid1(VALU_DEP_3)
	v_add_co_ci_u32_e64 v14, null, s1, 0, s0
	v_add_co_u32 v15, s0, s8, v17
	v_add_co_u32 v2, vcc_lo, v13, v2
	v_mov_b32_e32 v13, 0
	v_add_nc_u32_e32 v9, 0x800, v16
	v_add_nc_u32_e32 v10, v8, v16
	v_add_co_ci_u32_e64 v16, null, s9, 0, s0
	v_add_co_ci_u32_e32 v3, vcc_lo, v14, v3, vcc_lo
	v_add_co_u32 v4, vcc_lo, v15, v4
	v_add_nc_u32_e32 v11, v9, v8
	s_delay_alu instid0(VALU_DEP_4)
	v_add_co_ci_u32_e32 v5, vcc_lo, v16, v5, vcc_lo
	s_mov_b64 s[0:1], 0
.LBB1732_2:                             ; =>This Inner Loop Header: Depth=1
	global_load_b64 v[14:15], v[4:5], off
	global_load_b64 v[16:17], v[2:3], off
	s_add_u32 s0, s0, 16
	v_add_co_u32 v2, vcc_lo, 0x80, v2
	s_addc_u32 s1, s1, 0
	v_add_co_ci_u32_e32 v3, vcc_lo, 0, v3, vcc_lo
	v_cmp_lt_i64_e64 s8, s[0:1], s[4:5]
	v_add_co_u32 v4, vcc_lo, 0x80, v4
	v_add_co_ci_u32_e32 v5, vcc_lo, 0, v5, vcc_lo
	s_waitcnt vmcnt(1)
	ds_store_b64 v10, v[14:15]
	s_waitcnt vmcnt(0)
	ds_store_b64 v11, v[16:17]
	s_waitcnt lgkmcnt(0)
	s_barrier
	buffer_gl0_inv
	ds_load_2addr_b64 v[14:17], v8 offset1:16
	ds_load_b128 v[18:21], v9
	ds_load_b128 v[22:25], v9 offset:16
	ds_load_2addr_b64 v[26:29], v8 offset0:32 offset1:48
	ds_load_2addr_b64 v[30:33], v8 offset0:64 offset1:80
	ds_load_b128 v[34:37], v9 offset:32
	ds_load_b128 v[38:41], v9 offset:48
	ds_load_2addr_b64 v[42:45], v8 offset0:96 offset1:112
	ds_load_2addr_b64 v[46:49], v8 offset0:128 offset1:144
	;; [unrolled: 1-line block ×3, first 2 shown]
	ds_load_b128 v[54:57], v9 offset:64
	ds_load_b128 v[58:61], v9 offset:80
	ds_load_2addr_b64 v[62:65], v8 offset0:192 offset1:208
	ds_load_2addr_b64 v[66:69], v8 offset0:224 offset1:240
	ds_load_b128 v[70:73], v9 offset:96
	ds_load_b128 v[74:77], v9 offset:112
	s_and_b32 vcc_lo, exec_lo, s8
	s_waitcnt lgkmcnt(0)
	s_barrier
	buffer_gl0_inv
	v_dual_mul_f32 v78, v19, v15 :: v_dual_mul_f32 v79, v21, v17
	v_mul_f32_e32 v15, v18, v15
	v_dual_mul_f32 v17, v20, v17 :: v_dual_mul_f32 v80, v23, v27
	v_mul_f32_e32 v27, v22, v27
	s_delay_alu instid0(VALU_DEP_4) | instskip(SKIP_1) | instid1(VALU_DEP_4)
	v_fma_f32 v18, v18, v14, -v78
	v_dual_mul_f32 v81, v25, v29 :: v_dual_mul_f32 v82, v35, v31
	v_fmac_f32_e32 v17, v21, v16
	s_delay_alu instid0(VALU_DEP_4) | instskip(SKIP_4) | instid1(VALU_DEP_4)
	v_fmac_f32_e32 v27, v23, v26
	v_fmac_f32_e32 v15, v19, v14
	v_mul_f32_e32 v85, v41, v45
	v_dual_mul_f32 v29, v24, v29 :: v_dual_mul_f32 v84, v39, v43
	v_mul_f32_e32 v45, v40, v45
	v_add_f32_e32 v12, v12, v15
	v_mul_f32_e32 v31, v34, v31
	v_dual_add_f32 v13, v13, v18 :: v_dual_mul_f32 v18, v74, v67
	v_mul_f32_e32 v19, v56, v49
	s_delay_alu instid0(VALU_DEP_4) | instskip(SKIP_1) | instid1(VALU_DEP_3)
	v_add_f32_e32 v12, v12, v17
	v_dual_mul_f32 v83, v37, v33 :: v_dual_mul_f32 v86, v55, v47
	v_dual_fmac_f32 v18, v75, v66 :: v_dual_fmac_f32 v19, v57, v48
	s_delay_alu instid0(VALU_DEP_3) | instskip(SKIP_3) | instid1(VALU_DEP_4)
	v_dual_fmac_f32 v29, v25, v28 :: v_dual_add_f32 v12, v12, v27
	v_mul_f32_e32 v33, v36, v33
	v_mul_f32_e32 v47, v54, v47
	v_fmac_f32_e32 v31, v35, v30
	v_dual_mul_f32 v43, v38, v43 :: v_dual_add_f32 v12, v12, v29
	v_fma_f32 v14, v20, v16, -v79
	v_dual_mul_f32 v20, v59, v51 :: v_dual_fmac_f32 v33, v37, v32
	v_mul_f32_e32 v16, v57, v49
	s_delay_alu instid0(VALU_DEP_4) | instskip(SKIP_3) | instid1(VALU_DEP_4)
	v_add_f32_e32 v12, v12, v31
	v_mul_f32_e32 v21, v58, v51
	v_add_f32_e32 v13, v13, v14
	v_dual_mul_f32 v14, v77, v69 :: v_dual_fmac_f32 v43, v39, v42
	v_add_f32_e32 v12, v12, v33
	v_mul_f32_e32 v49, v61, v53
	v_fmac_f32_e32 v45, v41, v44
	v_mul_f32_e32 v51, v60, v53
	s_delay_alu instid0(VALU_DEP_4) | instskip(SKIP_2) | instid1(VALU_DEP_4)
	v_dual_fmac_f32 v47, v55, v46 :: v_dual_add_f32 v12, v12, v43
	v_mul_f32_e32 v53, v71, v63
	v_fmac_f32_e32 v21, v59, v50
	v_fmac_f32_e32 v51, v61, v52
	v_mul_f32_e32 v25, v72, v65
	v_add_f32_e32 v12, v12, v45
	v_fma_f32 v22, v22, v26, -v80
	v_mul_f32_e32 v17, v76, v69
	v_fma_f32 v23, v24, v28, -v81
	s_delay_alu instid0(VALU_DEP_4) | instskip(SKIP_1) | instid1(VALU_DEP_4)
	v_dual_fmac_f32 v25, v73, v64 :: v_dual_add_f32 v12, v12, v47
	v_fma_f32 v16, v56, v48, -v16
	v_fmac_f32_e32 v17, v77, v68
	v_fma_f32 v20, v58, v50, -v20
	v_mul_f32_e32 v24, v73, v65
	v_add_f32_e32 v12, v12, v19
	v_mul_f32_e32 v63, v70, v63
	v_fma_f32 v19, v70, v62, -v53
	v_fma_f32 v14, v76, v68, -v14
	s_delay_alu instid0(VALU_DEP_3) | instskip(NEXT) | instid1(VALU_DEP_1)
	v_dual_add_f32 v12, v12, v21 :: v_dual_fmac_f32 v63, v71, v62
	v_add_f32_e32 v12, v12, v51
	s_delay_alu instid0(VALU_DEP_1) | instskip(NEXT) | instid1(VALU_DEP_1)
	v_add_f32_e32 v12, v12, v63
	v_dual_mul_f32 v15, v75, v67 :: v_dual_add_f32 v12, v12, v25
	s_delay_alu instid0(VALU_DEP_1) | instskip(NEXT) | instid1(VALU_DEP_2)
	v_fma_f32 v15, v74, v66, -v15
	v_add_f32_e32 v12, v12, v18
	v_add_f32_e32 v13, v13, v22
	v_fma_f32 v22, v34, v30, -v82
	s_delay_alu instid0(VALU_DEP_2) | instskip(SKIP_1) | instid1(VALU_DEP_2)
	v_dual_add_f32 v12, v12, v17 :: v_dual_add_f32 v13, v13, v23
	v_fma_f32 v23, v36, v32, -v83
	v_add_f32_e32 v13, v13, v22
	v_fma_f32 v22, v38, v42, -v84
	s_delay_alu instid0(VALU_DEP_2) | instskip(SKIP_1) | instid1(VALU_DEP_2)
	v_add_f32_e32 v13, v13, v23
	v_fma_f32 v23, v40, v44, -v85
	v_add_f32_e32 v13, v13, v22
	v_fma_f32 v22, v54, v46, -v86
	s_delay_alu instid0(VALU_DEP_2) | instskip(NEXT) | instid1(VALU_DEP_1)
	v_add_f32_e32 v13, v13, v23
	v_add_f32_e32 v13, v13, v22
	s_delay_alu instid0(VALU_DEP_1) | instskip(SKIP_1) | instid1(VALU_DEP_2)
	v_add_f32_e32 v13, v13, v16
	v_fma_f32 v16, v60, v52, -v49
	v_add_f32_e32 v13, v13, v20
	s_delay_alu instid0(VALU_DEP_1) | instskip(SKIP_1) | instid1(VALU_DEP_2)
	v_add_f32_e32 v13, v13, v16
	v_fma_f32 v16, v72, v64, -v24
	v_add_f32_e32 v13, v13, v19
	s_delay_alu instid0(VALU_DEP_1) | instskip(NEXT) | instid1(VALU_DEP_1)
	v_add_f32_e32 v13, v13, v16
	v_add_f32_e32 v13, v13, v15
	s_delay_alu instid0(VALU_DEP_1)
	v_add_f32_e32 v13, v13, v14
	s_cbranch_vccnz .LBB1732_2
.LBB1732_3:
	s_mov_b32 s0, exec_lo
	v_cmpx_le_i32_e64 v6, v0
	s_cbranch_execz .LBB1732_6
; %bb.4:
	v_mul_lo_u32 v4, v6, s19
	v_mul_lo_u32 v5, v7, s18
	v_mad_u64_u32 v[2:3], null, v6, s18, 0
	v_lshlrev_b64 v[7:8], 3, v[0:1]
	s_delay_alu instid0(VALU_DEP_2) | instskip(SKIP_2) | instid1(VALU_DEP_3)
	v_add3_u32 v3, v3, v4, v5
	v_mul_f32_e32 v5, s6, v12
	v_mul_f32_e32 v4, s7, v12
	v_lshlrev_b64 v[2:3], 3, v[2:3]
	s_delay_alu instid0(VALU_DEP_3) | instskip(NEXT) | instid1(VALU_DEP_3)
	v_fmac_f32_e32 v5, s7, v13
	v_fma_f32 v4, v13, s6, -v4
	s_waitcnt lgkmcnt(0)
	s_delay_alu instid0(VALU_DEP_3) | instskip(NEXT) | instid1(VALU_DEP_4)
	v_add_co_u32 v1, vcc_lo, s2, v2
	v_add_co_ci_u32_e32 v2, vcc_lo, s3, v3, vcc_lo
	s_delay_alu instid0(VALU_DEP_2) | instskip(NEXT) | instid1(VALU_DEP_2)
	v_add_co_u32 v1, vcc_lo, v1, v7
	v_add_co_ci_u32_e32 v2, vcc_lo, v2, v8, vcc_lo
	v_cmp_eq_u32_e32 vcc_lo, v0, v6
	global_store_b64 v[1:2], v[4:5], off
	s_and_b32 exec_lo, exec_lo, vcc_lo
	s_cbranch_execz .LBB1732_6
; %bb.5:
	v_mov_b32_e32 v0, 0
	global_store_b32 v[1:2], v0, off offset:4
.LBB1732_6:
	s_nop 0
	s_sendmsg sendmsg(MSG_DEALLOC_VGPRS)
	s_endpgm
	.section	.rodata,"a",@progbits
	.p2align	6, 0x0
	.amdhsa_kernel _ZL41rocblas_syrkx_herkx_small_restrict_kernelIl19rocblas_complex_numIfELi16ELb1ELb1ELc84ELc76EKPKS1_KPS1_EviT_T0_PT6_S7_lSA_S7_lS8_PT7_S7_li
		.amdhsa_group_segment_fixed_size 4096
		.amdhsa_private_segment_fixed_size 0
		.amdhsa_kernarg_size 108
		.amdhsa_user_sgpr_count 13
		.amdhsa_user_sgpr_dispatch_ptr 0
		.amdhsa_user_sgpr_queue_ptr 0
		.amdhsa_user_sgpr_kernarg_segment_ptr 1
		.amdhsa_user_sgpr_dispatch_id 0
		.amdhsa_user_sgpr_private_segment_size 0
		.amdhsa_wavefront_size32 1
		.amdhsa_uses_dynamic_stack 0
		.amdhsa_enable_private_segment 0
		.amdhsa_system_sgpr_workgroup_id_x 1
		.amdhsa_system_sgpr_workgroup_id_y 1
		.amdhsa_system_sgpr_workgroup_id_z 1
		.amdhsa_system_sgpr_workgroup_info 0
		.amdhsa_system_vgpr_workitem_id 1
		.amdhsa_next_free_vgpr 87
		.amdhsa_next_free_sgpr 22
		.amdhsa_reserve_vcc 1
		.amdhsa_float_round_mode_32 0
		.amdhsa_float_round_mode_16_64 0
		.amdhsa_float_denorm_mode_32 3
		.amdhsa_float_denorm_mode_16_64 3
		.amdhsa_dx10_clamp 1
		.amdhsa_ieee_mode 1
		.amdhsa_fp16_overflow 0
		.amdhsa_workgroup_processor_mode 1
		.amdhsa_memory_ordered 1
		.amdhsa_forward_progress 0
		.amdhsa_shared_vgpr_count 0
		.amdhsa_exception_fp_ieee_invalid_op 0
		.amdhsa_exception_fp_denorm_src 0
		.amdhsa_exception_fp_ieee_div_zero 0
		.amdhsa_exception_fp_ieee_overflow 0
		.amdhsa_exception_fp_ieee_underflow 0
		.amdhsa_exception_fp_ieee_inexact 0
		.amdhsa_exception_int_div_zero 0
	.end_amdhsa_kernel
	.section	.text._ZL41rocblas_syrkx_herkx_small_restrict_kernelIl19rocblas_complex_numIfELi16ELb1ELb1ELc84ELc76EKPKS1_KPS1_EviT_T0_PT6_S7_lSA_S7_lS8_PT7_S7_li,"axG",@progbits,_ZL41rocblas_syrkx_herkx_small_restrict_kernelIl19rocblas_complex_numIfELi16ELb1ELb1ELc84ELc76EKPKS1_KPS1_EviT_T0_PT6_S7_lSA_S7_lS8_PT7_S7_li,comdat
.Lfunc_end1732:
	.size	_ZL41rocblas_syrkx_herkx_small_restrict_kernelIl19rocblas_complex_numIfELi16ELb1ELb1ELc84ELc76EKPKS1_KPS1_EviT_T0_PT6_S7_lSA_S7_lS8_PT7_S7_li, .Lfunc_end1732-_ZL41rocblas_syrkx_herkx_small_restrict_kernelIl19rocblas_complex_numIfELi16ELb1ELb1ELc84ELc76EKPKS1_KPS1_EviT_T0_PT6_S7_lSA_S7_lS8_PT7_S7_li
                                        ; -- End function
	.section	.AMDGPU.csdata,"",@progbits
; Kernel info:
; codeLenInByte = 1312
; NumSgprs: 24
; NumVgprs: 87
; ScratchSize: 0
; MemoryBound: 0
; FloatMode: 240
; IeeeMode: 1
; LDSByteSize: 4096 bytes/workgroup (compile time only)
; SGPRBlocks: 2
; VGPRBlocks: 10
; NumSGPRsForWavesPerEU: 24
; NumVGPRsForWavesPerEU: 87
; Occupancy: 16
; WaveLimiterHint : 1
; COMPUTE_PGM_RSRC2:SCRATCH_EN: 0
; COMPUTE_PGM_RSRC2:USER_SGPR: 13
; COMPUTE_PGM_RSRC2:TRAP_HANDLER: 0
; COMPUTE_PGM_RSRC2:TGID_X_EN: 1
; COMPUTE_PGM_RSRC2:TGID_Y_EN: 1
; COMPUTE_PGM_RSRC2:TGID_Z_EN: 1
; COMPUTE_PGM_RSRC2:TIDIG_COMP_CNT: 1
	.section	.text._ZL41rocblas_syrkx_herkx_small_restrict_kernelIl19rocblas_complex_numIfELi16ELb1ELb1ELc67ELc76EKPKS1_KPS1_EviT_T0_PT6_S7_lSA_S7_lS8_PT7_S7_li,"axG",@progbits,_ZL41rocblas_syrkx_herkx_small_restrict_kernelIl19rocblas_complex_numIfELi16ELb1ELb1ELc67ELc76EKPKS1_KPS1_EviT_T0_PT6_S7_lSA_S7_lS8_PT7_S7_li,comdat
	.globl	_ZL41rocblas_syrkx_herkx_small_restrict_kernelIl19rocblas_complex_numIfELi16ELb1ELb1ELc67ELc76EKPKS1_KPS1_EviT_T0_PT6_S7_lSA_S7_lS8_PT7_S7_li ; -- Begin function _ZL41rocblas_syrkx_herkx_small_restrict_kernelIl19rocblas_complex_numIfELi16ELb1ELb1ELc67ELc76EKPKS1_KPS1_EviT_T0_PT6_S7_lSA_S7_lS8_PT7_S7_li
	.p2align	8
	.type	_ZL41rocblas_syrkx_herkx_small_restrict_kernelIl19rocblas_complex_numIfELi16ELb1ELb1ELc67ELc76EKPKS1_KPS1_EviT_T0_PT6_S7_lSA_S7_lS8_PT7_S7_li,@function
_ZL41rocblas_syrkx_herkx_small_restrict_kernelIl19rocblas_complex_numIfELi16ELb1ELb1ELc67ELc76EKPKS1_KPS1_EviT_T0_PT6_S7_lSA_S7_lS8_PT7_S7_li: ; @_ZL41rocblas_syrkx_herkx_small_restrict_kernelIl19rocblas_complex_numIfELi16ELb1ELb1ELc67ELc76EKPKS1_KPS1_EviT_T0_PT6_S7_lSA_S7_lS8_PT7_S7_li
; %bb.0:
	s_clause 0x1
	s_load_b128 s[16:19], s[0:1], 0x50
	s_load_b256 s[4:11], s[0:1], 0x8
	s_mov_b32 s2, s15
	s_mov_b32 s3, 0
	v_dual_mov_b32 v12, 0 :: v_dual_and_b32 v3, 0x3ff, v0
	s_lshl_b64 s[20:21], s[2:3], 3
	v_bfe_u32 v2, v0, 10, 10
	v_mov_b32_e32 v13, 0
	s_delay_alu instid0(VALU_DEP_3) | instskip(NEXT) | instid1(VALU_DEP_3)
	v_lshl_add_u32 v0, s13, 4, v3
	v_lshl_add_u32 v6, s14, 4, v2
	s_delay_alu instid0(VALU_DEP_2) | instskip(NEXT) | instid1(VALU_DEP_2)
	v_ashrrev_i32_e32 v1, 31, v0
	v_ashrrev_i32_e32 v7, 31, v6
	s_waitcnt lgkmcnt(0)
	s_add_u32 s2, s16, s20
	s_addc_u32 s3, s17, s21
	v_cmp_lt_i64_e64 s12, s[4:5], 1
	s_load_b64 s[2:3], s[2:3], 0x0
	s_delay_alu instid0(VALU_DEP_1)
	s_and_b32 vcc_lo, exec_lo, s12
	s_cbranch_vccnz .LBB1733_3
; %bb.1:
	s_load_b128 s[12:15], s[0:1], 0x30
	v_mul_lo_u32 v8, s11, v0
	v_mul_lo_u32 v9, s10, v1
	v_mad_u64_u32 v[4:5], null, s10, v0, 0
	v_lshlrev_b32_e32 v10, 7, v2
	v_dual_mov_b32 v12, 0 :: v_dual_lshlrev_b32 v17, 3, v2
	s_delay_alu instid0(VALU_DEP_3) | instskip(SKIP_1) | instid1(VALU_DEP_2)
	v_add3_u32 v5, v5, v9, v8
	v_lshlrev_b32_e32 v8, 3, v3
	v_lshlrev_b64 v[2:3], 3, v[4:5]
	s_waitcnt lgkmcnt(0)
	s_add_u32 s0, s12, s20
	s_addc_u32 s1, s13, s21
	s_add_u32 s8, s8, s20
	s_load_b64 s[0:1], s[0:1], 0x0
	s_addc_u32 s9, s9, s21
	v_mul_lo_u32 v15, v6, s15
	s_load_b64 s[8:9], s[8:9], 0x0
	v_mul_lo_u32 v16, v7, s14
	v_mad_u64_u32 v[13:14], null, v6, s14, 0
	v_add_co_u32 v4, vcc_lo, v2, v17
	v_add_co_ci_u32_e32 v5, vcc_lo, 0, v3, vcc_lo
	s_delay_alu instid0(VALU_DEP_3) | instskip(NEXT) | instid1(VALU_DEP_1)
	v_add3_u32 v14, v14, v15, v16
	v_lshlrev_b64 v[2:3], 3, v[13:14]
	s_waitcnt lgkmcnt(0)
	v_add_co_u32 v13, s0, s0, v8
	s_delay_alu instid0(VALU_DEP_1) | instskip(SKIP_2) | instid1(VALU_DEP_4)
	v_add_co_ci_u32_e64 v14, null, s1, 0, s0
	v_add_co_u32 v4, vcc_lo, v4, s8
	v_add_co_ci_u32_e32 v5, vcc_lo, s9, v5, vcc_lo
	v_add_co_u32 v2, vcc_lo, v13, v2
	v_mov_b32_e32 v13, 0
	v_add_nc_u32_e32 v9, 0x800, v10
	v_add_co_ci_u32_e32 v3, vcc_lo, v14, v3, vcc_lo
	v_add_co_u32 v4, vcc_lo, v4, 4
	v_add_nc_u32_e32 v10, v8, v10
	s_delay_alu instid0(VALU_DEP_4)
	v_add_nc_u32_e32 v11, v9, v8
	v_add_co_ci_u32_e32 v5, vcc_lo, 0, v5, vcc_lo
	s_mov_b64 s[0:1], 0
.LBB1733_2:                             ; =>This Inner Loop Header: Depth=1
	global_load_b64 v[14:15], v[4:5], off offset:-4
	global_load_b64 v[16:17], v[2:3], off
	s_add_u32 s0, s0, 16
	v_add_co_u32 v2, vcc_lo, 0x80, v2
	s_addc_u32 s1, s1, 0
	v_add_co_ci_u32_e32 v3, vcc_lo, 0, v3, vcc_lo
	v_cmp_lt_i64_e64 s8, s[0:1], s[4:5]
	v_add_co_u32 v4, vcc_lo, 0x80, v4
	v_add_co_ci_u32_e32 v5, vcc_lo, 0, v5, vcc_lo
	s_delay_alu instid0(VALU_DEP_3)
	s_and_b32 vcc_lo, exec_lo, s8
	s_waitcnt vmcnt(1)
	v_xor_b32_e32 v15, 0x80000000, v15
	ds_store_b64 v10, v[14:15]
	s_waitcnt vmcnt(0)
	ds_store_b64 v11, v[16:17]
	s_waitcnt lgkmcnt(0)
	s_barrier
	buffer_gl0_inv
	ds_load_2addr_b64 v[14:17], v8 offset1:16
	ds_load_b128 v[18:21], v9
	ds_load_b128 v[22:25], v9 offset:16
	ds_load_2addr_b64 v[26:29], v8 offset0:32 offset1:48
	ds_load_2addr_b64 v[30:33], v8 offset0:64 offset1:80
	ds_load_b128 v[34:37], v9 offset:32
	ds_load_b128 v[38:41], v9 offset:48
	ds_load_2addr_b64 v[42:45], v8 offset0:96 offset1:112
	ds_load_2addr_b64 v[46:49], v8 offset0:128 offset1:144
	;; [unrolled: 1-line block ×3, first 2 shown]
	ds_load_b128 v[54:57], v9 offset:64
	ds_load_b128 v[58:61], v9 offset:80
	ds_load_2addr_b64 v[62:65], v8 offset0:192 offset1:208
	ds_load_2addr_b64 v[66:69], v8 offset0:224 offset1:240
	ds_load_b128 v[70:73], v9 offset:96
	ds_load_b128 v[74:77], v9 offset:112
	s_waitcnt lgkmcnt(0)
	s_barrier
	buffer_gl0_inv
	v_dual_mul_f32 v78, v19, v15 :: v_dual_mul_f32 v79, v21, v17
	v_mul_f32_e32 v15, v18, v15
	v_dual_mul_f32 v17, v20, v17 :: v_dual_mul_f32 v80, v23, v27
	v_mul_f32_e32 v27, v22, v27
	s_delay_alu instid0(VALU_DEP_4) | instskip(SKIP_1) | instid1(VALU_DEP_4)
	v_fma_f32 v18, v18, v14, -v78
	v_dual_mul_f32 v81, v25, v29 :: v_dual_mul_f32 v82, v35, v31
	v_fmac_f32_e32 v17, v21, v16
	s_delay_alu instid0(VALU_DEP_4) | instskip(SKIP_4) | instid1(VALU_DEP_4)
	v_fmac_f32_e32 v27, v23, v26
	v_fmac_f32_e32 v15, v19, v14
	v_mul_f32_e32 v85, v41, v45
	v_dual_mul_f32 v29, v24, v29 :: v_dual_mul_f32 v84, v39, v43
	v_mul_f32_e32 v45, v40, v45
	v_add_f32_e32 v12, v12, v15
	v_mul_f32_e32 v31, v34, v31
	v_dual_add_f32 v13, v13, v18 :: v_dual_mul_f32 v18, v74, v67
	v_mul_f32_e32 v19, v56, v49
	s_delay_alu instid0(VALU_DEP_4) | instskip(SKIP_1) | instid1(VALU_DEP_3)
	v_add_f32_e32 v12, v12, v17
	v_dual_mul_f32 v83, v37, v33 :: v_dual_mul_f32 v86, v55, v47
	v_dual_fmac_f32 v18, v75, v66 :: v_dual_fmac_f32 v19, v57, v48
	s_delay_alu instid0(VALU_DEP_3) | instskip(SKIP_3) | instid1(VALU_DEP_4)
	v_dual_fmac_f32 v29, v25, v28 :: v_dual_add_f32 v12, v12, v27
	v_mul_f32_e32 v33, v36, v33
	v_mul_f32_e32 v47, v54, v47
	v_fmac_f32_e32 v31, v35, v30
	v_dual_mul_f32 v43, v38, v43 :: v_dual_add_f32 v12, v12, v29
	v_fma_f32 v14, v20, v16, -v79
	v_dual_mul_f32 v20, v59, v51 :: v_dual_fmac_f32 v33, v37, v32
	v_mul_f32_e32 v16, v57, v49
	s_delay_alu instid0(VALU_DEP_4) | instskip(SKIP_3) | instid1(VALU_DEP_4)
	v_add_f32_e32 v12, v12, v31
	v_mul_f32_e32 v21, v58, v51
	v_add_f32_e32 v13, v13, v14
	v_dual_mul_f32 v14, v77, v69 :: v_dual_fmac_f32 v43, v39, v42
	v_add_f32_e32 v12, v12, v33
	v_mul_f32_e32 v49, v61, v53
	v_fmac_f32_e32 v45, v41, v44
	v_mul_f32_e32 v51, v60, v53
	s_delay_alu instid0(VALU_DEP_4) | instskip(SKIP_2) | instid1(VALU_DEP_4)
	v_dual_fmac_f32 v47, v55, v46 :: v_dual_add_f32 v12, v12, v43
	v_mul_f32_e32 v53, v71, v63
	v_fmac_f32_e32 v21, v59, v50
	v_fmac_f32_e32 v51, v61, v52
	v_mul_f32_e32 v25, v72, v65
	v_add_f32_e32 v12, v12, v45
	v_fma_f32 v22, v22, v26, -v80
	v_mul_f32_e32 v17, v76, v69
	v_fma_f32 v23, v24, v28, -v81
	s_delay_alu instid0(VALU_DEP_4) | instskip(SKIP_1) | instid1(VALU_DEP_4)
	v_dual_fmac_f32 v25, v73, v64 :: v_dual_add_f32 v12, v12, v47
	v_fma_f32 v16, v56, v48, -v16
	v_fmac_f32_e32 v17, v77, v68
	v_fma_f32 v20, v58, v50, -v20
	v_mul_f32_e32 v24, v73, v65
	v_add_f32_e32 v12, v12, v19
	v_mul_f32_e32 v63, v70, v63
	v_fma_f32 v19, v70, v62, -v53
	v_fma_f32 v14, v76, v68, -v14
	s_delay_alu instid0(VALU_DEP_3) | instskip(NEXT) | instid1(VALU_DEP_1)
	v_dual_add_f32 v12, v12, v21 :: v_dual_fmac_f32 v63, v71, v62
	v_add_f32_e32 v12, v12, v51
	s_delay_alu instid0(VALU_DEP_1) | instskip(NEXT) | instid1(VALU_DEP_1)
	v_add_f32_e32 v12, v12, v63
	v_dual_mul_f32 v15, v75, v67 :: v_dual_add_f32 v12, v12, v25
	s_delay_alu instid0(VALU_DEP_1) | instskip(NEXT) | instid1(VALU_DEP_2)
	v_fma_f32 v15, v74, v66, -v15
	v_add_f32_e32 v12, v12, v18
	v_add_f32_e32 v13, v13, v22
	v_fma_f32 v22, v34, v30, -v82
	s_delay_alu instid0(VALU_DEP_2) | instskip(SKIP_1) | instid1(VALU_DEP_2)
	v_dual_add_f32 v12, v12, v17 :: v_dual_add_f32 v13, v13, v23
	v_fma_f32 v23, v36, v32, -v83
	v_add_f32_e32 v13, v13, v22
	v_fma_f32 v22, v38, v42, -v84
	s_delay_alu instid0(VALU_DEP_2) | instskip(SKIP_1) | instid1(VALU_DEP_2)
	v_add_f32_e32 v13, v13, v23
	v_fma_f32 v23, v40, v44, -v85
	v_add_f32_e32 v13, v13, v22
	v_fma_f32 v22, v54, v46, -v86
	s_delay_alu instid0(VALU_DEP_2) | instskip(NEXT) | instid1(VALU_DEP_1)
	v_add_f32_e32 v13, v13, v23
	v_add_f32_e32 v13, v13, v22
	s_delay_alu instid0(VALU_DEP_1) | instskip(SKIP_1) | instid1(VALU_DEP_2)
	v_add_f32_e32 v13, v13, v16
	v_fma_f32 v16, v60, v52, -v49
	v_add_f32_e32 v13, v13, v20
	s_delay_alu instid0(VALU_DEP_1) | instskip(SKIP_1) | instid1(VALU_DEP_2)
	v_add_f32_e32 v13, v13, v16
	v_fma_f32 v16, v72, v64, -v24
	v_add_f32_e32 v13, v13, v19
	s_delay_alu instid0(VALU_DEP_1) | instskip(NEXT) | instid1(VALU_DEP_1)
	v_add_f32_e32 v13, v13, v16
	v_add_f32_e32 v13, v13, v15
	s_delay_alu instid0(VALU_DEP_1)
	v_add_f32_e32 v13, v13, v14
	s_cbranch_vccnz .LBB1733_2
.LBB1733_3:
	s_mov_b32 s0, exec_lo
	v_cmpx_le_i32_e64 v6, v0
	s_cbranch_execz .LBB1733_6
; %bb.4:
	v_mul_lo_u32 v4, v6, s19
	v_mul_lo_u32 v5, v7, s18
	v_mad_u64_u32 v[2:3], null, v6, s18, 0
	v_lshlrev_b64 v[7:8], 3, v[0:1]
	s_delay_alu instid0(VALU_DEP_2) | instskip(SKIP_2) | instid1(VALU_DEP_3)
	v_add3_u32 v3, v3, v4, v5
	v_mul_f32_e32 v5, s6, v12
	v_mul_f32_e32 v4, s7, v12
	v_lshlrev_b64 v[2:3], 3, v[2:3]
	s_delay_alu instid0(VALU_DEP_3) | instskip(NEXT) | instid1(VALU_DEP_3)
	v_fmac_f32_e32 v5, s7, v13
	v_fma_f32 v4, v13, s6, -v4
	s_waitcnt lgkmcnt(0)
	s_delay_alu instid0(VALU_DEP_3) | instskip(NEXT) | instid1(VALU_DEP_4)
	v_add_co_u32 v1, vcc_lo, s2, v2
	v_add_co_ci_u32_e32 v2, vcc_lo, s3, v3, vcc_lo
	s_delay_alu instid0(VALU_DEP_2) | instskip(NEXT) | instid1(VALU_DEP_2)
	v_add_co_u32 v1, vcc_lo, v1, v7
	v_add_co_ci_u32_e32 v2, vcc_lo, v2, v8, vcc_lo
	v_cmp_eq_u32_e32 vcc_lo, v0, v6
	global_store_b64 v[1:2], v[4:5], off
	s_and_b32 exec_lo, exec_lo, vcc_lo
	s_cbranch_execz .LBB1733_6
; %bb.5:
	v_mov_b32_e32 v0, 0
	global_store_b32 v[1:2], v0, off offset:4
.LBB1733_6:
	s_nop 0
	s_sendmsg sendmsg(MSG_DEALLOC_VGPRS)
	s_endpgm
	.section	.rodata,"a",@progbits
	.p2align	6, 0x0
	.amdhsa_kernel _ZL41rocblas_syrkx_herkx_small_restrict_kernelIl19rocblas_complex_numIfELi16ELb1ELb1ELc67ELc76EKPKS1_KPS1_EviT_T0_PT6_S7_lSA_S7_lS8_PT7_S7_li
		.amdhsa_group_segment_fixed_size 4096
		.amdhsa_private_segment_fixed_size 0
		.amdhsa_kernarg_size 108
		.amdhsa_user_sgpr_count 13
		.amdhsa_user_sgpr_dispatch_ptr 0
		.amdhsa_user_sgpr_queue_ptr 0
		.amdhsa_user_sgpr_kernarg_segment_ptr 1
		.amdhsa_user_sgpr_dispatch_id 0
		.amdhsa_user_sgpr_private_segment_size 0
		.amdhsa_wavefront_size32 1
		.amdhsa_uses_dynamic_stack 0
		.amdhsa_enable_private_segment 0
		.amdhsa_system_sgpr_workgroup_id_x 1
		.amdhsa_system_sgpr_workgroup_id_y 1
		.amdhsa_system_sgpr_workgroup_id_z 1
		.amdhsa_system_sgpr_workgroup_info 0
		.amdhsa_system_vgpr_workitem_id 1
		.amdhsa_next_free_vgpr 87
		.amdhsa_next_free_sgpr 22
		.amdhsa_reserve_vcc 1
		.amdhsa_float_round_mode_32 0
		.amdhsa_float_round_mode_16_64 0
		.amdhsa_float_denorm_mode_32 3
		.amdhsa_float_denorm_mode_16_64 3
		.amdhsa_dx10_clamp 1
		.amdhsa_ieee_mode 1
		.amdhsa_fp16_overflow 0
		.amdhsa_workgroup_processor_mode 1
		.amdhsa_memory_ordered 1
		.amdhsa_forward_progress 0
		.amdhsa_shared_vgpr_count 0
		.amdhsa_exception_fp_ieee_invalid_op 0
		.amdhsa_exception_fp_denorm_src 0
		.amdhsa_exception_fp_ieee_div_zero 0
		.amdhsa_exception_fp_ieee_overflow 0
		.amdhsa_exception_fp_ieee_underflow 0
		.amdhsa_exception_fp_ieee_inexact 0
		.amdhsa_exception_int_div_zero 0
	.end_amdhsa_kernel
	.section	.text._ZL41rocblas_syrkx_herkx_small_restrict_kernelIl19rocblas_complex_numIfELi16ELb1ELb1ELc67ELc76EKPKS1_KPS1_EviT_T0_PT6_S7_lSA_S7_lS8_PT7_S7_li,"axG",@progbits,_ZL41rocblas_syrkx_herkx_small_restrict_kernelIl19rocblas_complex_numIfELi16ELb1ELb1ELc67ELc76EKPKS1_KPS1_EviT_T0_PT6_S7_lSA_S7_lS8_PT7_S7_li,comdat
.Lfunc_end1733:
	.size	_ZL41rocblas_syrkx_herkx_small_restrict_kernelIl19rocblas_complex_numIfELi16ELb1ELb1ELc67ELc76EKPKS1_KPS1_EviT_T0_PT6_S7_lSA_S7_lS8_PT7_S7_li, .Lfunc_end1733-_ZL41rocblas_syrkx_herkx_small_restrict_kernelIl19rocblas_complex_numIfELi16ELb1ELb1ELc67ELc76EKPKS1_KPS1_EviT_T0_PT6_S7_lSA_S7_lS8_PT7_S7_li
                                        ; -- End function
	.section	.AMDGPU.csdata,"",@progbits
; Kernel info:
; codeLenInByte = 1332
; NumSgprs: 24
; NumVgprs: 87
; ScratchSize: 0
; MemoryBound: 0
; FloatMode: 240
; IeeeMode: 1
; LDSByteSize: 4096 bytes/workgroup (compile time only)
; SGPRBlocks: 2
; VGPRBlocks: 10
; NumSGPRsForWavesPerEU: 24
; NumVGPRsForWavesPerEU: 87
; Occupancy: 16
; WaveLimiterHint : 1
; COMPUTE_PGM_RSRC2:SCRATCH_EN: 0
; COMPUTE_PGM_RSRC2:USER_SGPR: 13
; COMPUTE_PGM_RSRC2:TRAP_HANDLER: 0
; COMPUTE_PGM_RSRC2:TGID_X_EN: 1
; COMPUTE_PGM_RSRC2:TGID_Y_EN: 1
; COMPUTE_PGM_RSRC2:TGID_Z_EN: 1
; COMPUTE_PGM_RSRC2:TIDIG_COMP_CNT: 1
	.section	.text._ZL41rocblas_syrkx_herkx_small_restrict_kernelIl19rocblas_complex_numIfELi16ELb1ELb1ELc78ELc76EKPKS1_KPS1_EviT_T0_PT6_S7_lSA_S7_lS8_PT7_S7_li,"axG",@progbits,_ZL41rocblas_syrkx_herkx_small_restrict_kernelIl19rocblas_complex_numIfELi16ELb1ELb1ELc78ELc76EKPKS1_KPS1_EviT_T0_PT6_S7_lSA_S7_lS8_PT7_S7_li,comdat
	.globl	_ZL41rocblas_syrkx_herkx_small_restrict_kernelIl19rocblas_complex_numIfELi16ELb1ELb1ELc78ELc76EKPKS1_KPS1_EviT_T0_PT6_S7_lSA_S7_lS8_PT7_S7_li ; -- Begin function _ZL41rocblas_syrkx_herkx_small_restrict_kernelIl19rocblas_complex_numIfELi16ELb1ELb1ELc78ELc76EKPKS1_KPS1_EviT_T0_PT6_S7_lSA_S7_lS8_PT7_S7_li
	.p2align	8
	.type	_ZL41rocblas_syrkx_herkx_small_restrict_kernelIl19rocblas_complex_numIfELi16ELb1ELb1ELc78ELc76EKPKS1_KPS1_EviT_T0_PT6_S7_lSA_S7_lS8_PT7_S7_li,@function
_ZL41rocblas_syrkx_herkx_small_restrict_kernelIl19rocblas_complex_numIfELi16ELb1ELb1ELc78ELc76EKPKS1_KPS1_EviT_T0_PT6_S7_lSA_S7_lS8_PT7_S7_li: ; @_ZL41rocblas_syrkx_herkx_small_restrict_kernelIl19rocblas_complex_numIfELi16ELb1ELb1ELc78ELc76EKPKS1_KPS1_EviT_T0_PT6_S7_lSA_S7_lS8_PT7_S7_li
; %bb.0:
	s_clause 0x1
	s_load_b128 s[16:19], s[0:1], 0x50
	s_load_b256 s[4:11], s[0:1], 0x8
	s_mov_b32 s2, s15
	s_mov_b32 s3, 0
	v_dual_mov_b32 v12, 0 :: v_dual_and_b32 v5, 0x3ff, v0
	s_lshl_b64 s[20:21], s[2:3], 3
	v_bfe_u32 v4, v0, 10, 10
	v_mov_b32_e32 v13, 0
	s_delay_alu instid0(VALU_DEP_3) | instskip(NEXT) | instid1(VALU_DEP_3)
	v_lshl_add_u32 v0, s13, 4, v5
	v_lshl_add_u32 v2, s14, 4, v4
	s_delay_alu instid0(VALU_DEP_2) | instskip(NEXT) | instid1(VALU_DEP_2)
	v_ashrrev_i32_e32 v1, 31, v0
	v_ashrrev_i32_e32 v3, 31, v2
	s_waitcnt lgkmcnt(0)
	s_add_u32 s2, s16, s20
	s_addc_u32 s3, s17, s21
	s_load_b64 s[16:17], s[2:3], 0x0
	v_cmp_lt_i64_e64 s2, s[4:5], 1
	s_delay_alu instid0(VALU_DEP_1)
	s_and_b32 vcc_lo, exec_lo, s2
	s_cbranch_vccnz .LBB1734_3
; %bb.1:
	s_load_b128 s[0:3], s[0:1], 0x30
	v_mad_u64_u32 v[13:14], null, s10, v4, 0
	v_lshlrev_b32_e32 v8, 3, v5
	v_lshlrev_b64 v[15:16], 3, v[2:3]
	v_lshlrev_b64 v[17:18], 3, v[0:1]
	s_delay_alu instid0(VALU_DEP_4)
	v_mov_b32_e32 v9, v14
	s_waitcnt lgkmcnt(0)
	v_mad_u64_u32 v[6:7], null, s2, v5, 0
	s_add_u32 s0, s0, s20
	s_addc_u32 s1, s1, s21
	s_add_u32 s8, s8, s20
	s_load_b64 s[0:1], s[0:1], 0x0
	s_addc_u32 s9, s9, s21
	s_load_b64 s[8:9], s[8:9], 0x0
	s_delay_alu instid0(VALU_DEP_1) | instskip(NEXT) | instid1(VALU_DEP_1)
	v_mad_u64_u32 v[10:11], null, s3, v5, v[7:8]
	v_mad_u64_u32 v[11:12], null, s11, v4, v[9:10]
	v_dual_mov_b32 v7, v10 :: v_dual_mov_b32 v12, 0
	v_lshlrev_b32_e32 v19, 7, v4
	s_delay_alu instid0(VALU_DEP_2) | instskip(NEXT) | instid1(VALU_DEP_2)
	v_lshlrev_b64 v[4:5], 3, v[6:7]
	v_dual_mov_b32 v14, v11 :: v_dual_add_nc_u32 v9, 0x800, v19
	v_add_nc_u32_e32 v10, v8, v19
	s_delay_alu instid0(VALU_DEP_3) | instskip(NEXT) | instid1(VALU_DEP_3)
	v_add_co_u32 v4, vcc_lo, v4, v15
	v_lshlrev_b64 v[6:7], 3, v[13:14]
	v_add_co_ci_u32_e32 v5, vcc_lo, v5, v16, vcc_lo
	v_add_nc_u32_e32 v11, v9, v8
	s_delay_alu instid0(VALU_DEP_3) | instskip(NEXT) | instid1(VALU_DEP_4)
	v_add_co_u32 v6, vcc_lo, v6, v17
	v_add_co_ci_u32_e32 v7, vcc_lo, v7, v18, vcc_lo
	s_waitcnt lgkmcnt(0)
	v_add_co_u32 v13, vcc_lo, v4, s0
	v_add_co_ci_u32_e32 v14, vcc_lo, s1, v5, vcc_lo
	v_add_co_u32 v4, vcc_lo, s8, v6
	v_add_co_ci_u32_e32 v5, vcc_lo, s9, v7, vcc_lo
	s_delay_alu instid0(VALU_DEP_4)
	v_add_co_u32 v6, vcc_lo, v13, 4
	v_mov_b32_e32 v13, 0
	v_add_co_ci_u32_e32 v7, vcc_lo, 0, v14, vcc_lo
	s_lshl_b64 s[0:1], s[2:3], 7
	s_lshl_b64 s[2:3], s[10:11], 7
	s_mov_b64 s[8:9], 0
.LBB1734_2:                             ; =>This Inner Loop Header: Depth=1
	global_load_b64 v[14:15], v[6:7], off offset:-4
	global_load_b64 v[16:17], v[4:5], off
	s_add_u32 s8, s8, 16
	v_add_co_u32 v6, vcc_lo, v6, s0
	s_addc_u32 s9, s9, 0
	v_add_co_ci_u32_e32 v7, vcc_lo, s1, v7, vcc_lo
	v_cmp_lt_i64_e64 s10, s[8:9], s[4:5]
	v_add_co_u32 v4, vcc_lo, v4, s2
	v_add_co_ci_u32_e32 v5, vcc_lo, s3, v5, vcc_lo
	s_delay_alu instid0(VALU_DEP_3)
	s_and_b32 vcc_lo, exec_lo, s10
	s_waitcnt vmcnt(1)
	v_xor_b32_e32 v15, 0x80000000, v15
	s_waitcnt vmcnt(0)
	ds_store_b64 v10, v[16:17]
	ds_store_b64 v11, v[14:15]
	s_waitcnt lgkmcnt(0)
	s_barrier
	buffer_gl0_inv
	ds_load_2addr_b64 v[14:17], v8 offset1:16
	ds_load_b128 v[18:21], v9
	ds_load_b128 v[22:25], v9 offset:16
	ds_load_2addr_b64 v[26:29], v8 offset0:32 offset1:48
	ds_load_2addr_b64 v[30:33], v8 offset0:64 offset1:80
	ds_load_b128 v[34:37], v9 offset:32
	ds_load_b128 v[38:41], v9 offset:48
	ds_load_2addr_b64 v[42:45], v8 offset0:96 offset1:112
	ds_load_2addr_b64 v[46:49], v8 offset0:128 offset1:144
	;; [unrolled: 1-line block ×3, first 2 shown]
	ds_load_b128 v[54:57], v9 offset:64
	ds_load_b128 v[58:61], v9 offset:80
	ds_load_2addr_b64 v[62:65], v8 offset0:192 offset1:208
	ds_load_2addr_b64 v[66:69], v8 offset0:224 offset1:240
	ds_load_b128 v[70:73], v9 offset:96
	ds_load_b128 v[74:77], v9 offset:112
	s_waitcnt lgkmcnt(0)
	s_barrier
	buffer_gl0_inv
	v_dual_mul_f32 v78, v19, v15 :: v_dual_mul_f32 v79, v21, v17
	v_mul_f32_e32 v15, v18, v15
	v_dual_mul_f32 v17, v20, v17 :: v_dual_mul_f32 v80, v23, v27
	v_mul_f32_e32 v27, v22, v27
	s_delay_alu instid0(VALU_DEP_4) | instskip(SKIP_1) | instid1(VALU_DEP_4)
	v_fma_f32 v18, v18, v14, -v78
	v_dual_mul_f32 v81, v25, v29 :: v_dual_mul_f32 v82, v35, v31
	v_fmac_f32_e32 v17, v21, v16
	s_delay_alu instid0(VALU_DEP_4) | instskip(SKIP_4) | instid1(VALU_DEP_4)
	v_fmac_f32_e32 v27, v23, v26
	v_fmac_f32_e32 v15, v19, v14
	v_mul_f32_e32 v85, v41, v45
	v_dual_mul_f32 v29, v24, v29 :: v_dual_mul_f32 v84, v39, v43
	v_mul_f32_e32 v45, v40, v45
	v_add_f32_e32 v12, v12, v15
	v_mul_f32_e32 v31, v34, v31
	v_dual_add_f32 v13, v13, v18 :: v_dual_mul_f32 v18, v74, v67
	v_mul_f32_e32 v19, v56, v49
	s_delay_alu instid0(VALU_DEP_4) | instskip(SKIP_1) | instid1(VALU_DEP_3)
	v_add_f32_e32 v12, v12, v17
	v_dual_mul_f32 v83, v37, v33 :: v_dual_mul_f32 v86, v55, v47
	v_dual_fmac_f32 v18, v75, v66 :: v_dual_fmac_f32 v19, v57, v48
	s_delay_alu instid0(VALU_DEP_3) | instskip(SKIP_3) | instid1(VALU_DEP_4)
	v_dual_fmac_f32 v29, v25, v28 :: v_dual_add_f32 v12, v12, v27
	v_mul_f32_e32 v33, v36, v33
	v_mul_f32_e32 v47, v54, v47
	v_fmac_f32_e32 v31, v35, v30
	v_dual_mul_f32 v43, v38, v43 :: v_dual_add_f32 v12, v12, v29
	v_fma_f32 v14, v20, v16, -v79
	v_dual_mul_f32 v20, v59, v51 :: v_dual_fmac_f32 v33, v37, v32
	v_mul_f32_e32 v16, v57, v49
	s_delay_alu instid0(VALU_DEP_4) | instskip(SKIP_3) | instid1(VALU_DEP_4)
	v_add_f32_e32 v12, v12, v31
	v_mul_f32_e32 v21, v58, v51
	v_add_f32_e32 v13, v13, v14
	v_dual_mul_f32 v14, v77, v69 :: v_dual_fmac_f32 v43, v39, v42
	v_add_f32_e32 v12, v12, v33
	v_mul_f32_e32 v49, v61, v53
	v_fmac_f32_e32 v45, v41, v44
	v_mul_f32_e32 v51, v60, v53
	s_delay_alu instid0(VALU_DEP_4) | instskip(SKIP_2) | instid1(VALU_DEP_4)
	v_dual_fmac_f32 v47, v55, v46 :: v_dual_add_f32 v12, v12, v43
	v_mul_f32_e32 v53, v71, v63
	v_fmac_f32_e32 v21, v59, v50
	v_fmac_f32_e32 v51, v61, v52
	v_mul_f32_e32 v25, v72, v65
	v_add_f32_e32 v12, v12, v45
	v_fma_f32 v22, v22, v26, -v80
	v_mul_f32_e32 v17, v76, v69
	v_fma_f32 v23, v24, v28, -v81
	s_delay_alu instid0(VALU_DEP_4) | instskip(SKIP_1) | instid1(VALU_DEP_4)
	v_dual_fmac_f32 v25, v73, v64 :: v_dual_add_f32 v12, v12, v47
	v_fma_f32 v16, v56, v48, -v16
	v_fmac_f32_e32 v17, v77, v68
	v_fma_f32 v20, v58, v50, -v20
	v_mul_f32_e32 v24, v73, v65
	v_add_f32_e32 v12, v12, v19
	v_mul_f32_e32 v63, v70, v63
	v_fma_f32 v19, v70, v62, -v53
	v_fma_f32 v14, v76, v68, -v14
	s_delay_alu instid0(VALU_DEP_3) | instskip(NEXT) | instid1(VALU_DEP_1)
	v_dual_add_f32 v12, v12, v21 :: v_dual_fmac_f32 v63, v71, v62
	v_add_f32_e32 v12, v12, v51
	s_delay_alu instid0(VALU_DEP_1) | instskip(NEXT) | instid1(VALU_DEP_1)
	v_add_f32_e32 v12, v12, v63
	v_dual_mul_f32 v15, v75, v67 :: v_dual_add_f32 v12, v12, v25
	s_delay_alu instid0(VALU_DEP_1) | instskip(NEXT) | instid1(VALU_DEP_2)
	v_fma_f32 v15, v74, v66, -v15
	v_add_f32_e32 v12, v12, v18
	v_add_f32_e32 v13, v13, v22
	v_fma_f32 v22, v34, v30, -v82
	s_delay_alu instid0(VALU_DEP_2) | instskip(SKIP_1) | instid1(VALU_DEP_2)
	v_dual_add_f32 v12, v12, v17 :: v_dual_add_f32 v13, v13, v23
	v_fma_f32 v23, v36, v32, -v83
	v_add_f32_e32 v13, v13, v22
	v_fma_f32 v22, v38, v42, -v84
	s_delay_alu instid0(VALU_DEP_2) | instskip(SKIP_1) | instid1(VALU_DEP_2)
	v_add_f32_e32 v13, v13, v23
	v_fma_f32 v23, v40, v44, -v85
	v_add_f32_e32 v13, v13, v22
	v_fma_f32 v22, v54, v46, -v86
	s_delay_alu instid0(VALU_DEP_2) | instskip(NEXT) | instid1(VALU_DEP_1)
	v_add_f32_e32 v13, v13, v23
	v_add_f32_e32 v13, v13, v22
	s_delay_alu instid0(VALU_DEP_1) | instskip(SKIP_1) | instid1(VALU_DEP_2)
	v_add_f32_e32 v13, v13, v16
	v_fma_f32 v16, v60, v52, -v49
	v_add_f32_e32 v13, v13, v20
	s_delay_alu instid0(VALU_DEP_1) | instskip(SKIP_1) | instid1(VALU_DEP_2)
	v_add_f32_e32 v13, v13, v16
	v_fma_f32 v16, v72, v64, -v24
	v_add_f32_e32 v13, v13, v19
	s_delay_alu instid0(VALU_DEP_1) | instskip(NEXT) | instid1(VALU_DEP_1)
	v_add_f32_e32 v13, v13, v16
	v_add_f32_e32 v13, v13, v15
	s_delay_alu instid0(VALU_DEP_1)
	v_add_f32_e32 v13, v13, v14
	s_cbranch_vccnz .LBB1734_2
.LBB1734_3:
	s_mov_b32 s0, exec_lo
	v_cmpx_le_i32_e64 v2, v0
	s_cbranch_execz .LBB1734_6
; %bb.4:
	v_mul_lo_u32 v5, v2, s19
	v_mul_lo_u32 v6, v3, s18
	v_mad_u64_u32 v[3:4], null, v2, s18, 0
	v_lshlrev_b64 v[7:8], 3, v[0:1]
	s_delay_alu instid0(VALU_DEP_2) | instskip(SKIP_2) | instid1(VALU_DEP_3)
	v_add3_u32 v4, v4, v5, v6
	v_mul_f32_e32 v6, s6, v12
	v_mul_f32_e32 v5, s7, v12
	v_lshlrev_b64 v[3:4], 3, v[3:4]
	s_delay_alu instid0(VALU_DEP_3) | instskip(NEXT) | instid1(VALU_DEP_3)
	v_fmac_f32_e32 v6, s7, v13
	v_fma_f32 v5, v13, s6, -v5
	s_waitcnt lgkmcnt(0)
	s_delay_alu instid0(VALU_DEP_3) | instskip(NEXT) | instid1(VALU_DEP_4)
	v_add_co_u32 v1, vcc_lo, s16, v3
	v_add_co_ci_u32_e32 v4, vcc_lo, s17, v4, vcc_lo
	s_delay_alu instid0(VALU_DEP_2) | instskip(NEXT) | instid1(VALU_DEP_2)
	v_add_co_u32 v3, vcc_lo, v1, v7
	v_add_co_ci_u32_e32 v4, vcc_lo, v4, v8, vcc_lo
	v_cmp_eq_u32_e32 vcc_lo, v0, v2
	global_store_b64 v[3:4], v[5:6], off
	s_and_b32 exec_lo, exec_lo, vcc_lo
	s_cbranch_execz .LBB1734_6
; %bb.5:
	v_mov_b32_e32 v0, 0
	global_store_b32 v[3:4], v0, off offset:4
.LBB1734_6:
	s_nop 0
	s_sendmsg sendmsg(MSG_DEALLOC_VGPRS)
	s_endpgm
	.section	.rodata,"a",@progbits
	.p2align	6, 0x0
	.amdhsa_kernel _ZL41rocblas_syrkx_herkx_small_restrict_kernelIl19rocblas_complex_numIfELi16ELb1ELb1ELc78ELc76EKPKS1_KPS1_EviT_T0_PT6_S7_lSA_S7_lS8_PT7_S7_li
		.amdhsa_group_segment_fixed_size 4096
		.amdhsa_private_segment_fixed_size 0
		.amdhsa_kernarg_size 108
		.amdhsa_user_sgpr_count 13
		.amdhsa_user_sgpr_dispatch_ptr 0
		.amdhsa_user_sgpr_queue_ptr 0
		.amdhsa_user_sgpr_kernarg_segment_ptr 1
		.amdhsa_user_sgpr_dispatch_id 0
		.amdhsa_user_sgpr_private_segment_size 0
		.amdhsa_wavefront_size32 1
		.amdhsa_uses_dynamic_stack 0
		.amdhsa_enable_private_segment 0
		.amdhsa_system_sgpr_workgroup_id_x 1
		.amdhsa_system_sgpr_workgroup_id_y 1
		.amdhsa_system_sgpr_workgroup_id_z 1
		.amdhsa_system_sgpr_workgroup_info 0
		.amdhsa_system_vgpr_workitem_id 1
		.amdhsa_next_free_vgpr 87
		.amdhsa_next_free_sgpr 22
		.amdhsa_reserve_vcc 1
		.amdhsa_float_round_mode_32 0
		.amdhsa_float_round_mode_16_64 0
		.amdhsa_float_denorm_mode_32 3
		.amdhsa_float_denorm_mode_16_64 3
		.amdhsa_dx10_clamp 1
		.amdhsa_ieee_mode 1
		.amdhsa_fp16_overflow 0
		.amdhsa_workgroup_processor_mode 1
		.amdhsa_memory_ordered 1
		.amdhsa_forward_progress 0
		.amdhsa_shared_vgpr_count 0
		.amdhsa_exception_fp_ieee_invalid_op 0
		.amdhsa_exception_fp_denorm_src 0
		.amdhsa_exception_fp_ieee_div_zero 0
		.amdhsa_exception_fp_ieee_overflow 0
		.amdhsa_exception_fp_ieee_underflow 0
		.amdhsa_exception_fp_ieee_inexact 0
		.amdhsa_exception_int_div_zero 0
	.end_amdhsa_kernel
	.section	.text._ZL41rocblas_syrkx_herkx_small_restrict_kernelIl19rocblas_complex_numIfELi16ELb1ELb1ELc78ELc76EKPKS1_KPS1_EviT_T0_PT6_S7_lSA_S7_lS8_PT7_S7_li,"axG",@progbits,_ZL41rocblas_syrkx_herkx_small_restrict_kernelIl19rocblas_complex_numIfELi16ELb1ELb1ELc78ELc76EKPKS1_KPS1_EviT_T0_PT6_S7_lSA_S7_lS8_PT7_S7_li,comdat
.Lfunc_end1734:
	.size	_ZL41rocblas_syrkx_herkx_small_restrict_kernelIl19rocblas_complex_numIfELi16ELb1ELb1ELc78ELc76EKPKS1_KPS1_EviT_T0_PT6_S7_lSA_S7_lS8_PT7_S7_li, .Lfunc_end1734-_ZL41rocblas_syrkx_herkx_small_restrict_kernelIl19rocblas_complex_numIfELi16ELb1ELb1ELc78ELc76EKPKS1_KPS1_EviT_T0_PT6_S7_lSA_S7_lS8_PT7_S7_li
                                        ; -- End function
	.section	.AMDGPU.csdata,"",@progbits
; Kernel info:
; codeLenInByte = 1328
; NumSgprs: 24
; NumVgprs: 87
; ScratchSize: 0
; MemoryBound: 0
; FloatMode: 240
; IeeeMode: 1
; LDSByteSize: 4096 bytes/workgroup (compile time only)
; SGPRBlocks: 2
; VGPRBlocks: 10
; NumSGPRsForWavesPerEU: 24
; NumVGPRsForWavesPerEU: 87
; Occupancy: 16
; WaveLimiterHint : 1
; COMPUTE_PGM_RSRC2:SCRATCH_EN: 0
; COMPUTE_PGM_RSRC2:USER_SGPR: 13
; COMPUTE_PGM_RSRC2:TRAP_HANDLER: 0
; COMPUTE_PGM_RSRC2:TGID_X_EN: 1
; COMPUTE_PGM_RSRC2:TGID_Y_EN: 1
; COMPUTE_PGM_RSRC2:TGID_Z_EN: 1
; COMPUTE_PGM_RSRC2:TIDIG_COMP_CNT: 1
	.section	.text._ZL41rocblas_syrkx_herkx_small_restrict_kernelIl19rocblas_complex_numIfELi16ELb1ELb1ELc84ELc85EKPKS1_KPS1_EviT_T0_PT6_S7_lSA_S7_lS8_PT7_S7_li,"axG",@progbits,_ZL41rocblas_syrkx_herkx_small_restrict_kernelIl19rocblas_complex_numIfELi16ELb1ELb1ELc84ELc85EKPKS1_KPS1_EviT_T0_PT6_S7_lSA_S7_lS8_PT7_S7_li,comdat
	.globl	_ZL41rocblas_syrkx_herkx_small_restrict_kernelIl19rocblas_complex_numIfELi16ELb1ELb1ELc84ELc85EKPKS1_KPS1_EviT_T0_PT6_S7_lSA_S7_lS8_PT7_S7_li ; -- Begin function _ZL41rocblas_syrkx_herkx_small_restrict_kernelIl19rocblas_complex_numIfELi16ELb1ELb1ELc84ELc85EKPKS1_KPS1_EviT_T0_PT6_S7_lSA_S7_lS8_PT7_S7_li
	.p2align	8
	.type	_ZL41rocblas_syrkx_herkx_small_restrict_kernelIl19rocblas_complex_numIfELi16ELb1ELb1ELc84ELc85EKPKS1_KPS1_EviT_T0_PT6_S7_lSA_S7_lS8_PT7_S7_li,@function
_ZL41rocblas_syrkx_herkx_small_restrict_kernelIl19rocblas_complex_numIfELi16ELb1ELb1ELc84ELc85EKPKS1_KPS1_EviT_T0_PT6_S7_lSA_S7_lS8_PT7_S7_li: ; @_ZL41rocblas_syrkx_herkx_small_restrict_kernelIl19rocblas_complex_numIfELi16ELb1ELb1ELc84ELc85EKPKS1_KPS1_EviT_T0_PT6_S7_lSA_S7_lS8_PT7_S7_li
; %bb.0:
	s_clause 0x1
	s_load_b128 s[16:19], s[0:1], 0x50
	s_load_b256 s[4:11], s[0:1], 0x8
	s_mov_b32 s2, s15
	s_mov_b32 s3, 0
	v_dual_mov_b32 v13, 0 :: v_dual_and_b32 v2, 0x3ff, v0
	s_lshl_b64 s[20:21], s[2:3], 3
	v_bfe_u32 v3, v0, 10, 10
	v_mov_b32_e32 v12, 0
	s_delay_alu instid0(VALU_DEP_3) | instskip(NEXT) | instid1(VALU_DEP_3)
	v_lshl_add_u32 v0, s13, 4, v2
	v_lshl_add_u32 v6, s14, 4, v3
	s_delay_alu instid0(VALU_DEP_2) | instskip(NEXT) | instid1(VALU_DEP_2)
	v_ashrrev_i32_e32 v1, 31, v0
	v_ashrrev_i32_e32 v7, 31, v6
	s_waitcnt lgkmcnt(0)
	s_add_u32 s2, s16, s20
	s_addc_u32 s3, s17, s21
	v_cmp_lt_i64_e64 s12, s[4:5], 1
	s_load_b64 s[2:3], s[2:3], 0x0
	s_delay_alu instid0(VALU_DEP_1)
	s_and_b32 vcc_lo, exec_lo, s12
	s_cbranch_vccnz .LBB1735_3
; %bb.1:
	s_load_b128 s[12:15], s[0:1], 0x30
	v_mul_lo_u32 v10, v0, s11
	v_mul_lo_u32 v11, v1, s10
	v_mad_u64_u32 v[4:5], null, v0, s10, 0
	v_lshlrev_b32_e32 v8, 3, v2
	v_lshlrev_b32_e32 v17, 3, v3
	;; [unrolled: 1-line block ×3, first 2 shown]
	s_delay_alu instid0(VALU_DEP_4) | instskip(NEXT) | instid1(VALU_DEP_1)
	v_add3_u32 v5, v5, v10, v11
	v_lshlrev_b64 v[4:5], 3, v[4:5]
	s_waitcnt lgkmcnt(0)
	s_add_u32 s0, s12, s20
	s_addc_u32 s1, s13, s21
	s_add_u32 s8, s8, s20
	s_load_b64 s[0:1], s[0:1], 0x0
	s_addc_u32 s9, s9, s21
	v_mul_lo_u32 v12, v6, s15
	s_load_b64 s[8:9], s[8:9], 0x0
	v_mul_lo_u32 v15, v7, s14
	v_mad_u64_u32 v[13:14], null, v6, s14, 0
	s_delay_alu instid0(VALU_DEP_1) | instskip(SKIP_1) | instid1(VALU_DEP_2)
	v_add3_u32 v14, v14, v12, v15
	v_mov_b32_e32 v12, 0
	v_lshlrev_b64 v[2:3], 3, v[13:14]
	s_waitcnt lgkmcnt(0)
	v_add_co_u32 v13, s0, s0, v8
	s_delay_alu instid0(VALU_DEP_1) | instskip(SKIP_1) | instid1(VALU_DEP_3)
	v_add_co_ci_u32_e64 v14, null, s1, 0, s0
	v_add_co_u32 v15, s0, s8, v17
	v_add_co_u32 v2, vcc_lo, v13, v2
	v_mov_b32_e32 v13, 0
	v_add_nc_u32_e32 v9, 0x800, v16
	v_add_nc_u32_e32 v10, v8, v16
	v_add_co_ci_u32_e64 v16, null, s9, 0, s0
	v_add_co_ci_u32_e32 v3, vcc_lo, v14, v3, vcc_lo
	v_add_co_u32 v4, vcc_lo, v15, v4
	v_add_nc_u32_e32 v11, v9, v8
	s_delay_alu instid0(VALU_DEP_4)
	v_add_co_ci_u32_e32 v5, vcc_lo, v16, v5, vcc_lo
	s_mov_b64 s[0:1], 0
.LBB1735_2:                             ; =>This Inner Loop Header: Depth=1
	global_load_b64 v[14:15], v[4:5], off
	global_load_b64 v[16:17], v[2:3], off
	s_add_u32 s0, s0, 16
	v_add_co_u32 v2, vcc_lo, 0x80, v2
	s_addc_u32 s1, s1, 0
	v_add_co_ci_u32_e32 v3, vcc_lo, 0, v3, vcc_lo
	v_cmp_lt_i64_e64 s8, s[0:1], s[4:5]
	v_add_co_u32 v4, vcc_lo, 0x80, v4
	v_add_co_ci_u32_e32 v5, vcc_lo, 0, v5, vcc_lo
	s_waitcnt vmcnt(1)
	ds_store_b64 v10, v[14:15]
	s_waitcnt vmcnt(0)
	ds_store_b64 v11, v[16:17]
	s_waitcnt lgkmcnt(0)
	s_barrier
	buffer_gl0_inv
	ds_load_2addr_b64 v[14:17], v8 offset1:16
	ds_load_b128 v[18:21], v9
	ds_load_b128 v[22:25], v9 offset:16
	ds_load_2addr_b64 v[26:29], v8 offset0:32 offset1:48
	ds_load_2addr_b64 v[30:33], v8 offset0:64 offset1:80
	ds_load_b128 v[34:37], v9 offset:32
	ds_load_b128 v[38:41], v9 offset:48
	ds_load_2addr_b64 v[42:45], v8 offset0:96 offset1:112
	ds_load_2addr_b64 v[46:49], v8 offset0:128 offset1:144
	;; [unrolled: 1-line block ×3, first 2 shown]
	ds_load_b128 v[54:57], v9 offset:64
	ds_load_b128 v[58:61], v9 offset:80
	ds_load_2addr_b64 v[62:65], v8 offset0:192 offset1:208
	ds_load_2addr_b64 v[66:69], v8 offset0:224 offset1:240
	ds_load_b128 v[70:73], v9 offset:96
	ds_load_b128 v[74:77], v9 offset:112
	s_and_b32 vcc_lo, exec_lo, s8
	s_waitcnt lgkmcnt(0)
	s_barrier
	buffer_gl0_inv
	v_dual_mul_f32 v78, v19, v15 :: v_dual_mul_f32 v79, v21, v17
	v_mul_f32_e32 v15, v18, v15
	v_dual_mul_f32 v17, v20, v17 :: v_dual_mul_f32 v80, v23, v27
	v_mul_f32_e32 v27, v22, v27
	s_delay_alu instid0(VALU_DEP_4) | instskip(SKIP_1) | instid1(VALU_DEP_4)
	v_fma_f32 v18, v18, v14, -v78
	v_dual_mul_f32 v81, v25, v29 :: v_dual_mul_f32 v82, v35, v31
	v_fmac_f32_e32 v17, v21, v16
	s_delay_alu instid0(VALU_DEP_4) | instskip(SKIP_4) | instid1(VALU_DEP_4)
	v_fmac_f32_e32 v27, v23, v26
	v_fmac_f32_e32 v15, v19, v14
	v_mul_f32_e32 v85, v41, v45
	v_dual_mul_f32 v29, v24, v29 :: v_dual_mul_f32 v84, v39, v43
	v_mul_f32_e32 v45, v40, v45
	v_add_f32_e32 v12, v12, v15
	v_mul_f32_e32 v31, v34, v31
	v_dual_add_f32 v13, v13, v18 :: v_dual_mul_f32 v18, v74, v67
	v_mul_f32_e32 v19, v56, v49
	s_delay_alu instid0(VALU_DEP_4) | instskip(SKIP_1) | instid1(VALU_DEP_3)
	v_add_f32_e32 v12, v12, v17
	v_dual_mul_f32 v83, v37, v33 :: v_dual_mul_f32 v86, v55, v47
	v_dual_fmac_f32 v18, v75, v66 :: v_dual_fmac_f32 v19, v57, v48
	s_delay_alu instid0(VALU_DEP_3) | instskip(SKIP_3) | instid1(VALU_DEP_4)
	v_dual_fmac_f32 v29, v25, v28 :: v_dual_add_f32 v12, v12, v27
	v_mul_f32_e32 v33, v36, v33
	v_mul_f32_e32 v47, v54, v47
	v_fmac_f32_e32 v31, v35, v30
	v_dual_mul_f32 v43, v38, v43 :: v_dual_add_f32 v12, v12, v29
	v_fma_f32 v14, v20, v16, -v79
	v_dual_mul_f32 v20, v59, v51 :: v_dual_fmac_f32 v33, v37, v32
	v_mul_f32_e32 v16, v57, v49
	s_delay_alu instid0(VALU_DEP_4) | instskip(SKIP_3) | instid1(VALU_DEP_4)
	v_add_f32_e32 v12, v12, v31
	v_mul_f32_e32 v21, v58, v51
	v_add_f32_e32 v13, v13, v14
	v_dual_mul_f32 v14, v77, v69 :: v_dual_fmac_f32 v43, v39, v42
	v_add_f32_e32 v12, v12, v33
	v_mul_f32_e32 v49, v61, v53
	v_fmac_f32_e32 v45, v41, v44
	v_mul_f32_e32 v51, v60, v53
	s_delay_alu instid0(VALU_DEP_4) | instskip(SKIP_2) | instid1(VALU_DEP_4)
	v_dual_fmac_f32 v47, v55, v46 :: v_dual_add_f32 v12, v12, v43
	v_mul_f32_e32 v53, v71, v63
	v_fmac_f32_e32 v21, v59, v50
	v_fmac_f32_e32 v51, v61, v52
	v_mul_f32_e32 v25, v72, v65
	v_add_f32_e32 v12, v12, v45
	v_fma_f32 v22, v22, v26, -v80
	v_mul_f32_e32 v17, v76, v69
	v_fma_f32 v23, v24, v28, -v81
	s_delay_alu instid0(VALU_DEP_4) | instskip(SKIP_1) | instid1(VALU_DEP_4)
	v_dual_fmac_f32 v25, v73, v64 :: v_dual_add_f32 v12, v12, v47
	v_fma_f32 v16, v56, v48, -v16
	v_fmac_f32_e32 v17, v77, v68
	v_fma_f32 v20, v58, v50, -v20
	v_mul_f32_e32 v24, v73, v65
	v_add_f32_e32 v12, v12, v19
	v_mul_f32_e32 v63, v70, v63
	v_fma_f32 v19, v70, v62, -v53
	v_fma_f32 v14, v76, v68, -v14
	s_delay_alu instid0(VALU_DEP_3) | instskip(NEXT) | instid1(VALU_DEP_1)
	v_dual_add_f32 v12, v12, v21 :: v_dual_fmac_f32 v63, v71, v62
	v_add_f32_e32 v12, v12, v51
	s_delay_alu instid0(VALU_DEP_1) | instskip(NEXT) | instid1(VALU_DEP_1)
	v_add_f32_e32 v12, v12, v63
	v_dual_mul_f32 v15, v75, v67 :: v_dual_add_f32 v12, v12, v25
	s_delay_alu instid0(VALU_DEP_1) | instskip(NEXT) | instid1(VALU_DEP_2)
	v_fma_f32 v15, v74, v66, -v15
	v_add_f32_e32 v12, v12, v18
	v_add_f32_e32 v13, v13, v22
	v_fma_f32 v22, v34, v30, -v82
	s_delay_alu instid0(VALU_DEP_2) | instskip(SKIP_1) | instid1(VALU_DEP_2)
	v_dual_add_f32 v12, v12, v17 :: v_dual_add_f32 v13, v13, v23
	v_fma_f32 v23, v36, v32, -v83
	v_add_f32_e32 v13, v13, v22
	v_fma_f32 v22, v38, v42, -v84
	s_delay_alu instid0(VALU_DEP_2) | instskip(SKIP_1) | instid1(VALU_DEP_2)
	v_add_f32_e32 v13, v13, v23
	v_fma_f32 v23, v40, v44, -v85
	v_add_f32_e32 v13, v13, v22
	v_fma_f32 v22, v54, v46, -v86
	s_delay_alu instid0(VALU_DEP_2) | instskip(NEXT) | instid1(VALU_DEP_1)
	v_add_f32_e32 v13, v13, v23
	v_add_f32_e32 v13, v13, v22
	s_delay_alu instid0(VALU_DEP_1) | instskip(SKIP_1) | instid1(VALU_DEP_2)
	v_add_f32_e32 v13, v13, v16
	v_fma_f32 v16, v60, v52, -v49
	v_add_f32_e32 v13, v13, v20
	s_delay_alu instid0(VALU_DEP_1) | instskip(SKIP_1) | instid1(VALU_DEP_2)
	v_add_f32_e32 v13, v13, v16
	v_fma_f32 v16, v72, v64, -v24
	v_add_f32_e32 v13, v13, v19
	s_delay_alu instid0(VALU_DEP_1) | instskip(NEXT) | instid1(VALU_DEP_1)
	v_add_f32_e32 v13, v13, v16
	v_add_f32_e32 v13, v13, v15
	s_delay_alu instid0(VALU_DEP_1)
	v_add_f32_e32 v13, v13, v14
	s_cbranch_vccnz .LBB1735_2
.LBB1735_3:
	s_mov_b32 s0, exec_lo
	v_cmpx_le_i32_e64 v0, v6
	s_cbranch_execz .LBB1735_6
; %bb.4:
	v_mul_lo_u32 v4, v6, s19
	v_mul_lo_u32 v5, v7, s18
	v_mad_u64_u32 v[2:3], null, v6, s18, 0
	v_lshlrev_b64 v[7:8], 3, v[0:1]
	s_delay_alu instid0(VALU_DEP_2) | instskip(SKIP_2) | instid1(VALU_DEP_3)
	v_add3_u32 v3, v3, v4, v5
	v_mul_f32_e32 v5, s6, v12
	v_mul_f32_e32 v4, s7, v12
	v_lshlrev_b64 v[2:3], 3, v[2:3]
	s_delay_alu instid0(VALU_DEP_3) | instskip(NEXT) | instid1(VALU_DEP_3)
	v_fmac_f32_e32 v5, s7, v13
	v_fma_f32 v4, v13, s6, -v4
	s_waitcnt lgkmcnt(0)
	s_delay_alu instid0(VALU_DEP_3) | instskip(NEXT) | instid1(VALU_DEP_4)
	v_add_co_u32 v1, vcc_lo, s2, v2
	v_add_co_ci_u32_e32 v2, vcc_lo, s3, v3, vcc_lo
	s_delay_alu instid0(VALU_DEP_2) | instskip(NEXT) | instid1(VALU_DEP_2)
	v_add_co_u32 v1, vcc_lo, v1, v7
	v_add_co_ci_u32_e32 v2, vcc_lo, v2, v8, vcc_lo
	v_cmp_eq_u32_e32 vcc_lo, v0, v6
	global_store_b64 v[1:2], v[4:5], off
	s_and_b32 exec_lo, exec_lo, vcc_lo
	s_cbranch_execz .LBB1735_6
; %bb.5:
	v_mov_b32_e32 v0, 0
	global_store_b32 v[1:2], v0, off offset:4
.LBB1735_6:
	s_nop 0
	s_sendmsg sendmsg(MSG_DEALLOC_VGPRS)
	s_endpgm
	.section	.rodata,"a",@progbits
	.p2align	6, 0x0
	.amdhsa_kernel _ZL41rocblas_syrkx_herkx_small_restrict_kernelIl19rocblas_complex_numIfELi16ELb1ELb1ELc84ELc85EKPKS1_KPS1_EviT_T0_PT6_S7_lSA_S7_lS8_PT7_S7_li
		.amdhsa_group_segment_fixed_size 4096
		.amdhsa_private_segment_fixed_size 0
		.amdhsa_kernarg_size 108
		.amdhsa_user_sgpr_count 13
		.amdhsa_user_sgpr_dispatch_ptr 0
		.amdhsa_user_sgpr_queue_ptr 0
		.amdhsa_user_sgpr_kernarg_segment_ptr 1
		.amdhsa_user_sgpr_dispatch_id 0
		.amdhsa_user_sgpr_private_segment_size 0
		.amdhsa_wavefront_size32 1
		.amdhsa_uses_dynamic_stack 0
		.amdhsa_enable_private_segment 0
		.amdhsa_system_sgpr_workgroup_id_x 1
		.amdhsa_system_sgpr_workgroup_id_y 1
		.amdhsa_system_sgpr_workgroup_id_z 1
		.amdhsa_system_sgpr_workgroup_info 0
		.amdhsa_system_vgpr_workitem_id 1
		.amdhsa_next_free_vgpr 87
		.amdhsa_next_free_sgpr 22
		.amdhsa_reserve_vcc 1
		.amdhsa_float_round_mode_32 0
		.amdhsa_float_round_mode_16_64 0
		.amdhsa_float_denorm_mode_32 3
		.amdhsa_float_denorm_mode_16_64 3
		.amdhsa_dx10_clamp 1
		.amdhsa_ieee_mode 1
		.amdhsa_fp16_overflow 0
		.amdhsa_workgroup_processor_mode 1
		.amdhsa_memory_ordered 1
		.amdhsa_forward_progress 0
		.amdhsa_shared_vgpr_count 0
		.amdhsa_exception_fp_ieee_invalid_op 0
		.amdhsa_exception_fp_denorm_src 0
		.amdhsa_exception_fp_ieee_div_zero 0
		.amdhsa_exception_fp_ieee_overflow 0
		.amdhsa_exception_fp_ieee_underflow 0
		.amdhsa_exception_fp_ieee_inexact 0
		.amdhsa_exception_int_div_zero 0
	.end_amdhsa_kernel
	.section	.text._ZL41rocblas_syrkx_herkx_small_restrict_kernelIl19rocblas_complex_numIfELi16ELb1ELb1ELc84ELc85EKPKS1_KPS1_EviT_T0_PT6_S7_lSA_S7_lS8_PT7_S7_li,"axG",@progbits,_ZL41rocblas_syrkx_herkx_small_restrict_kernelIl19rocblas_complex_numIfELi16ELb1ELb1ELc84ELc85EKPKS1_KPS1_EviT_T0_PT6_S7_lSA_S7_lS8_PT7_S7_li,comdat
.Lfunc_end1735:
	.size	_ZL41rocblas_syrkx_herkx_small_restrict_kernelIl19rocblas_complex_numIfELi16ELb1ELb1ELc84ELc85EKPKS1_KPS1_EviT_T0_PT6_S7_lSA_S7_lS8_PT7_S7_li, .Lfunc_end1735-_ZL41rocblas_syrkx_herkx_small_restrict_kernelIl19rocblas_complex_numIfELi16ELb1ELb1ELc84ELc85EKPKS1_KPS1_EviT_T0_PT6_S7_lSA_S7_lS8_PT7_S7_li
                                        ; -- End function
	.section	.AMDGPU.csdata,"",@progbits
; Kernel info:
; codeLenInByte = 1312
; NumSgprs: 24
; NumVgprs: 87
; ScratchSize: 0
; MemoryBound: 0
; FloatMode: 240
; IeeeMode: 1
; LDSByteSize: 4096 bytes/workgroup (compile time only)
; SGPRBlocks: 2
; VGPRBlocks: 10
; NumSGPRsForWavesPerEU: 24
; NumVGPRsForWavesPerEU: 87
; Occupancy: 16
; WaveLimiterHint : 1
; COMPUTE_PGM_RSRC2:SCRATCH_EN: 0
; COMPUTE_PGM_RSRC2:USER_SGPR: 13
; COMPUTE_PGM_RSRC2:TRAP_HANDLER: 0
; COMPUTE_PGM_RSRC2:TGID_X_EN: 1
; COMPUTE_PGM_RSRC2:TGID_Y_EN: 1
; COMPUTE_PGM_RSRC2:TGID_Z_EN: 1
; COMPUTE_PGM_RSRC2:TIDIG_COMP_CNT: 1
	.section	.text._ZL41rocblas_syrkx_herkx_small_restrict_kernelIl19rocblas_complex_numIfELi16ELb1ELb1ELc67ELc85EKPKS1_KPS1_EviT_T0_PT6_S7_lSA_S7_lS8_PT7_S7_li,"axG",@progbits,_ZL41rocblas_syrkx_herkx_small_restrict_kernelIl19rocblas_complex_numIfELi16ELb1ELb1ELc67ELc85EKPKS1_KPS1_EviT_T0_PT6_S7_lSA_S7_lS8_PT7_S7_li,comdat
	.globl	_ZL41rocblas_syrkx_herkx_small_restrict_kernelIl19rocblas_complex_numIfELi16ELb1ELb1ELc67ELc85EKPKS1_KPS1_EviT_T0_PT6_S7_lSA_S7_lS8_PT7_S7_li ; -- Begin function _ZL41rocblas_syrkx_herkx_small_restrict_kernelIl19rocblas_complex_numIfELi16ELb1ELb1ELc67ELc85EKPKS1_KPS1_EviT_T0_PT6_S7_lSA_S7_lS8_PT7_S7_li
	.p2align	8
	.type	_ZL41rocblas_syrkx_herkx_small_restrict_kernelIl19rocblas_complex_numIfELi16ELb1ELb1ELc67ELc85EKPKS1_KPS1_EviT_T0_PT6_S7_lSA_S7_lS8_PT7_S7_li,@function
_ZL41rocblas_syrkx_herkx_small_restrict_kernelIl19rocblas_complex_numIfELi16ELb1ELb1ELc67ELc85EKPKS1_KPS1_EviT_T0_PT6_S7_lSA_S7_lS8_PT7_S7_li: ; @_ZL41rocblas_syrkx_herkx_small_restrict_kernelIl19rocblas_complex_numIfELi16ELb1ELb1ELc67ELc85EKPKS1_KPS1_EviT_T0_PT6_S7_lSA_S7_lS8_PT7_S7_li
; %bb.0:
	s_clause 0x1
	s_load_b128 s[16:19], s[0:1], 0x50
	s_load_b256 s[4:11], s[0:1], 0x8
	s_mov_b32 s2, s15
	s_mov_b32 s3, 0
	v_dual_mov_b32 v12, 0 :: v_dual_and_b32 v3, 0x3ff, v0
	s_lshl_b64 s[20:21], s[2:3], 3
	v_bfe_u32 v2, v0, 10, 10
	v_mov_b32_e32 v13, 0
	s_delay_alu instid0(VALU_DEP_3) | instskip(NEXT) | instid1(VALU_DEP_3)
	v_lshl_add_u32 v0, s13, 4, v3
	v_lshl_add_u32 v6, s14, 4, v2
	s_delay_alu instid0(VALU_DEP_2) | instskip(NEXT) | instid1(VALU_DEP_2)
	v_ashrrev_i32_e32 v1, 31, v0
	v_ashrrev_i32_e32 v7, 31, v6
	s_waitcnt lgkmcnt(0)
	s_add_u32 s2, s16, s20
	s_addc_u32 s3, s17, s21
	v_cmp_lt_i64_e64 s12, s[4:5], 1
	s_load_b64 s[2:3], s[2:3], 0x0
	s_delay_alu instid0(VALU_DEP_1)
	s_and_b32 vcc_lo, exec_lo, s12
	s_cbranch_vccnz .LBB1736_3
; %bb.1:
	s_load_b128 s[12:15], s[0:1], 0x30
	v_mul_lo_u32 v8, s11, v0
	v_mul_lo_u32 v9, s10, v1
	v_mad_u64_u32 v[4:5], null, s10, v0, 0
	v_lshlrev_b32_e32 v10, 7, v2
	v_dual_mov_b32 v12, 0 :: v_dual_lshlrev_b32 v17, 3, v2
	s_delay_alu instid0(VALU_DEP_3) | instskip(SKIP_1) | instid1(VALU_DEP_2)
	v_add3_u32 v5, v5, v9, v8
	v_lshlrev_b32_e32 v8, 3, v3
	v_lshlrev_b64 v[2:3], 3, v[4:5]
	s_waitcnt lgkmcnt(0)
	s_add_u32 s0, s12, s20
	s_addc_u32 s1, s13, s21
	s_add_u32 s8, s8, s20
	s_load_b64 s[0:1], s[0:1], 0x0
	s_addc_u32 s9, s9, s21
	v_mul_lo_u32 v15, v6, s15
	s_load_b64 s[8:9], s[8:9], 0x0
	v_mul_lo_u32 v16, v7, s14
	v_mad_u64_u32 v[13:14], null, v6, s14, 0
	v_add_co_u32 v4, vcc_lo, v2, v17
	v_add_co_ci_u32_e32 v5, vcc_lo, 0, v3, vcc_lo
	s_delay_alu instid0(VALU_DEP_3) | instskip(NEXT) | instid1(VALU_DEP_1)
	v_add3_u32 v14, v14, v15, v16
	v_lshlrev_b64 v[2:3], 3, v[13:14]
	s_waitcnt lgkmcnt(0)
	v_add_co_u32 v13, s0, s0, v8
	s_delay_alu instid0(VALU_DEP_1) | instskip(SKIP_2) | instid1(VALU_DEP_4)
	v_add_co_ci_u32_e64 v14, null, s1, 0, s0
	v_add_co_u32 v4, vcc_lo, v4, s8
	v_add_co_ci_u32_e32 v5, vcc_lo, s9, v5, vcc_lo
	v_add_co_u32 v2, vcc_lo, v13, v2
	v_mov_b32_e32 v13, 0
	v_add_nc_u32_e32 v9, 0x800, v10
	v_add_co_ci_u32_e32 v3, vcc_lo, v14, v3, vcc_lo
	v_add_co_u32 v4, vcc_lo, v4, 4
	v_add_nc_u32_e32 v10, v8, v10
	s_delay_alu instid0(VALU_DEP_4)
	v_add_nc_u32_e32 v11, v9, v8
	v_add_co_ci_u32_e32 v5, vcc_lo, 0, v5, vcc_lo
	s_mov_b64 s[0:1], 0
.LBB1736_2:                             ; =>This Inner Loop Header: Depth=1
	global_load_b64 v[14:15], v[4:5], off offset:-4
	global_load_b64 v[16:17], v[2:3], off
	s_add_u32 s0, s0, 16
	v_add_co_u32 v2, vcc_lo, 0x80, v2
	s_addc_u32 s1, s1, 0
	v_add_co_ci_u32_e32 v3, vcc_lo, 0, v3, vcc_lo
	v_cmp_lt_i64_e64 s8, s[0:1], s[4:5]
	v_add_co_u32 v4, vcc_lo, 0x80, v4
	v_add_co_ci_u32_e32 v5, vcc_lo, 0, v5, vcc_lo
	s_delay_alu instid0(VALU_DEP_3)
	s_and_b32 vcc_lo, exec_lo, s8
	s_waitcnt vmcnt(1)
	v_xor_b32_e32 v15, 0x80000000, v15
	ds_store_b64 v10, v[14:15]
	s_waitcnt vmcnt(0)
	ds_store_b64 v11, v[16:17]
	s_waitcnt lgkmcnt(0)
	s_barrier
	buffer_gl0_inv
	ds_load_2addr_b64 v[14:17], v8 offset1:16
	ds_load_b128 v[18:21], v9
	ds_load_b128 v[22:25], v9 offset:16
	ds_load_2addr_b64 v[26:29], v8 offset0:32 offset1:48
	ds_load_2addr_b64 v[30:33], v8 offset0:64 offset1:80
	ds_load_b128 v[34:37], v9 offset:32
	ds_load_b128 v[38:41], v9 offset:48
	ds_load_2addr_b64 v[42:45], v8 offset0:96 offset1:112
	ds_load_2addr_b64 v[46:49], v8 offset0:128 offset1:144
	;; [unrolled: 1-line block ×3, first 2 shown]
	ds_load_b128 v[54:57], v9 offset:64
	ds_load_b128 v[58:61], v9 offset:80
	ds_load_2addr_b64 v[62:65], v8 offset0:192 offset1:208
	ds_load_2addr_b64 v[66:69], v8 offset0:224 offset1:240
	ds_load_b128 v[70:73], v9 offset:96
	ds_load_b128 v[74:77], v9 offset:112
	s_waitcnt lgkmcnt(0)
	s_barrier
	buffer_gl0_inv
	v_dual_mul_f32 v78, v19, v15 :: v_dual_mul_f32 v79, v21, v17
	v_mul_f32_e32 v15, v18, v15
	v_dual_mul_f32 v17, v20, v17 :: v_dual_mul_f32 v80, v23, v27
	v_mul_f32_e32 v27, v22, v27
	s_delay_alu instid0(VALU_DEP_4) | instskip(SKIP_1) | instid1(VALU_DEP_4)
	v_fma_f32 v18, v18, v14, -v78
	v_dual_mul_f32 v81, v25, v29 :: v_dual_mul_f32 v82, v35, v31
	v_fmac_f32_e32 v17, v21, v16
	s_delay_alu instid0(VALU_DEP_4) | instskip(SKIP_4) | instid1(VALU_DEP_4)
	v_fmac_f32_e32 v27, v23, v26
	v_fmac_f32_e32 v15, v19, v14
	v_mul_f32_e32 v85, v41, v45
	v_dual_mul_f32 v29, v24, v29 :: v_dual_mul_f32 v84, v39, v43
	v_mul_f32_e32 v45, v40, v45
	v_add_f32_e32 v12, v12, v15
	v_mul_f32_e32 v31, v34, v31
	v_dual_add_f32 v13, v13, v18 :: v_dual_mul_f32 v18, v74, v67
	v_mul_f32_e32 v19, v56, v49
	s_delay_alu instid0(VALU_DEP_4) | instskip(SKIP_1) | instid1(VALU_DEP_3)
	v_add_f32_e32 v12, v12, v17
	v_dual_mul_f32 v83, v37, v33 :: v_dual_mul_f32 v86, v55, v47
	v_dual_fmac_f32 v18, v75, v66 :: v_dual_fmac_f32 v19, v57, v48
	s_delay_alu instid0(VALU_DEP_3) | instskip(SKIP_3) | instid1(VALU_DEP_4)
	v_dual_fmac_f32 v29, v25, v28 :: v_dual_add_f32 v12, v12, v27
	v_mul_f32_e32 v33, v36, v33
	v_mul_f32_e32 v47, v54, v47
	v_fmac_f32_e32 v31, v35, v30
	v_dual_mul_f32 v43, v38, v43 :: v_dual_add_f32 v12, v12, v29
	v_fma_f32 v14, v20, v16, -v79
	v_dual_mul_f32 v20, v59, v51 :: v_dual_fmac_f32 v33, v37, v32
	v_mul_f32_e32 v16, v57, v49
	s_delay_alu instid0(VALU_DEP_4) | instskip(SKIP_3) | instid1(VALU_DEP_4)
	v_add_f32_e32 v12, v12, v31
	v_mul_f32_e32 v21, v58, v51
	v_add_f32_e32 v13, v13, v14
	v_dual_mul_f32 v14, v77, v69 :: v_dual_fmac_f32 v43, v39, v42
	v_add_f32_e32 v12, v12, v33
	v_mul_f32_e32 v49, v61, v53
	v_fmac_f32_e32 v45, v41, v44
	v_mul_f32_e32 v51, v60, v53
	s_delay_alu instid0(VALU_DEP_4) | instskip(SKIP_2) | instid1(VALU_DEP_4)
	v_dual_fmac_f32 v47, v55, v46 :: v_dual_add_f32 v12, v12, v43
	v_mul_f32_e32 v53, v71, v63
	v_fmac_f32_e32 v21, v59, v50
	v_fmac_f32_e32 v51, v61, v52
	v_mul_f32_e32 v25, v72, v65
	v_add_f32_e32 v12, v12, v45
	v_fma_f32 v22, v22, v26, -v80
	v_mul_f32_e32 v17, v76, v69
	v_fma_f32 v23, v24, v28, -v81
	s_delay_alu instid0(VALU_DEP_4) | instskip(SKIP_1) | instid1(VALU_DEP_4)
	v_dual_fmac_f32 v25, v73, v64 :: v_dual_add_f32 v12, v12, v47
	v_fma_f32 v16, v56, v48, -v16
	v_fmac_f32_e32 v17, v77, v68
	v_fma_f32 v20, v58, v50, -v20
	v_mul_f32_e32 v24, v73, v65
	v_add_f32_e32 v12, v12, v19
	v_mul_f32_e32 v63, v70, v63
	v_fma_f32 v19, v70, v62, -v53
	v_fma_f32 v14, v76, v68, -v14
	s_delay_alu instid0(VALU_DEP_3) | instskip(NEXT) | instid1(VALU_DEP_1)
	v_dual_add_f32 v12, v12, v21 :: v_dual_fmac_f32 v63, v71, v62
	v_add_f32_e32 v12, v12, v51
	s_delay_alu instid0(VALU_DEP_1) | instskip(NEXT) | instid1(VALU_DEP_1)
	v_add_f32_e32 v12, v12, v63
	v_dual_mul_f32 v15, v75, v67 :: v_dual_add_f32 v12, v12, v25
	s_delay_alu instid0(VALU_DEP_1) | instskip(NEXT) | instid1(VALU_DEP_2)
	v_fma_f32 v15, v74, v66, -v15
	v_add_f32_e32 v12, v12, v18
	v_add_f32_e32 v13, v13, v22
	v_fma_f32 v22, v34, v30, -v82
	s_delay_alu instid0(VALU_DEP_2) | instskip(SKIP_1) | instid1(VALU_DEP_2)
	v_dual_add_f32 v12, v12, v17 :: v_dual_add_f32 v13, v13, v23
	v_fma_f32 v23, v36, v32, -v83
	v_add_f32_e32 v13, v13, v22
	v_fma_f32 v22, v38, v42, -v84
	s_delay_alu instid0(VALU_DEP_2) | instskip(SKIP_1) | instid1(VALU_DEP_2)
	v_add_f32_e32 v13, v13, v23
	v_fma_f32 v23, v40, v44, -v85
	v_add_f32_e32 v13, v13, v22
	v_fma_f32 v22, v54, v46, -v86
	s_delay_alu instid0(VALU_DEP_2) | instskip(NEXT) | instid1(VALU_DEP_1)
	v_add_f32_e32 v13, v13, v23
	v_add_f32_e32 v13, v13, v22
	s_delay_alu instid0(VALU_DEP_1) | instskip(SKIP_1) | instid1(VALU_DEP_2)
	v_add_f32_e32 v13, v13, v16
	v_fma_f32 v16, v60, v52, -v49
	v_add_f32_e32 v13, v13, v20
	s_delay_alu instid0(VALU_DEP_1) | instskip(SKIP_1) | instid1(VALU_DEP_2)
	v_add_f32_e32 v13, v13, v16
	v_fma_f32 v16, v72, v64, -v24
	v_add_f32_e32 v13, v13, v19
	s_delay_alu instid0(VALU_DEP_1) | instskip(NEXT) | instid1(VALU_DEP_1)
	v_add_f32_e32 v13, v13, v16
	v_add_f32_e32 v13, v13, v15
	s_delay_alu instid0(VALU_DEP_1)
	v_add_f32_e32 v13, v13, v14
	s_cbranch_vccnz .LBB1736_2
.LBB1736_3:
	s_mov_b32 s0, exec_lo
	v_cmpx_le_i32_e64 v0, v6
	s_cbranch_execz .LBB1736_6
; %bb.4:
	v_mul_lo_u32 v4, v6, s19
	v_mul_lo_u32 v5, v7, s18
	v_mad_u64_u32 v[2:3], null, v6, s18, 0
	v_lshlrev_b64 v[7:8], 3, v[0:1]
	s_delay_alu instid0(VALU_DEP_2) | instskip(SKIP_2) | instid1(VALU_DEP_3)
	v_add3_u32 v3, v3, v4, v5
	v_mul_f32_e32 v5, s6, v12
	v_mul_f32_e32 v4, s7, v12
	v_lshlrev_b64 v[2:3], 3, v[2:3]
	s_delay_alu instid0(VALU_DEP_3) | instskip(NEXT) | instid1(VALU_DEP_3)
	v_fmac_f32_e32 v5, s7, v13
	v_fma_f32 v4, v13, s6, -v4
	s_waitcnt lgkmcnt(0)
	s_delay_alu instid0(VALU_DEP_3) | instskip(NEXT) | instid1(VALU_DEP_4)
	v_add_co_u32 v1, vcc_lo, s2, v2
	v_add_co_ci_u32_e32 v2, vcc_lo, s3, v3, vcc_lo
	s_delay_alu instid0(VALU_DEP_2) | instskip(NEXT) | instid1(VALU_DEP_2)
	v_add_co_u32 v1, vcc_lo, v1, v7
	v_add_co_ci_u32_e32 v2, vcc_lo, v2, v8, vcc_lo
	v_cmp_eq_u32_e32 vcc_lo, v0, v6
	global_store_b64 v[1:2], v[4:5], off
	s_and_b32 exec_lo, exec_lo, vcc_lo
	s_cbranch_execz .LBB1736_6
; %bb.5:
	v_mov_b32_e32 v0, 0
	global_store_b32 v[1:2], v0, off offset:4
.LBB1736_6:
	s_nop 0
	s_sendmsg sendmsg(MSG_DEALLOC_VGPRS)
	s_endpgm
	.section	.rodata,"a",@progbits
	.p2align	6, 0x0
	.amdhsa_kernel _ZL41rocblas_syrkx_herkx_small_restrict_kernelIl19rocblas_complex_numIfELi16ELb1ELb1ELc67ELc85EKPKS1_KPS1_EviT_T0_PT6_S7_lSA_S7_lS8_PT7_S7_li
		.amdhsa_group_segment_fixed_size 4096
		.amdhsa_private_segment_fixed_size 0
		.amdhsa_kernarg_size 108
		.amdhsa_user_sgpr_count 13
		.amdhsa_user_sgpr_dispatch_ptr 0
		.amdhsa_user_sgpr_queue_ptr 0
		.amdhsa_user_sgpr_kernarg_segment_ptr 1
		.amdhsa_user_sgpr_dispatch_id 0
		.amdhsa_user_sgpr_private_segment_size 0
		.amdhsa_wavefront_size32 1
		.amdhsa_uses_dynamic_stack 0
		.amdhsa_enable_private_segment 0
		.amdhsa_system_sgpr_workgroup_id_x 1
		.amdhsa_system_sgpr_workgroup_id_y 1
		.amdhsa_system_sgpr_workgroup_id_z 1
		.amdhsa_system_sgpr_workgroup_info 0
		.amdhsa_system_vgpr_workitem_id 1
		.amdhsa_next_free_vgpr 87
		.amdhsa_next_free_sgpr 22
		.amdhsa_reserve_vcc 1
		.amdhsa_float_round_mode_32 0
		.amdhsa_float_round_mode_16_64 0
		.amdhsa_float_denorm_mode_32 3
		.amdhsa_float_denorm_mode_16_64 3
		.amdhsa_dx10_clamp 1
		.amdhsa_ieee_mode 1
		.amdhsa_fp16_overflow 0
		.amdhsa_workgroup_processor_mode 1
		.amdhsa_memory_ordered 1
		.amdhsa_forward_progress 0
		.amdhsa_shared_vgpr_count 0
		.amdhsa_exception_fp_ieee_invalid_op 0
		.amdhsa_exception_fp_denorm_src 0
		.amdhsa_exception_fp_ieee_div_zero 0
		.amdhsa_exception_fp_ieee_overflow 0
		.amdhsa_exception_fp_ieee_underflow 0
		.amdhsa_exception_fp_ieee_inexact 0
		.amdhsa_exception_int_div_zero 0
	.end_amdhsa_kernel
	.section	.text._ZL41rocblas_syrkx_herkx_small_restrict_kernelIl19rocblas_complex_numIfELi16ELb1ELb1ELc67ELc85EKPKS1_KPS1_EviT_T0_PT6_S7_lSA_S7_lS8_PT7_S7_li,"axG",@progbits,_ZL41rocblas_syrkx_herkx_small_restrict_kernelIl19rocblas_complex_numIfELi16ELb1ELb1ELc67ELc85EKPKS1_KPS1_EviT_T0_PT6_S7_lSA_S7_lS8_PT7_S7_li,comdat
.Lfunc_end1736:
	.size	_ZL41rocblas_syrkx_herkx_small_restrict_kernelIl19rocblas_complex_numIfELi16ELb1ELb1ELc67ELc85EKPKS1_KPS1_EviT_T0_PT6_S7_lSA_S7_lS8_PT7_S7_li, .Lfunc_end1736-_ZL41rocblas_syrkx_herkx_small_restrict_kernelIl19rocblas_complex_numIfELi16ELb1ELb1ELc67ELc85EKPKS1_KPS1_EviT_T0_PT6_S7_lSA_S7_lS8_PT7_S7_li
                                        ; -- End function
	.section	.AMDGPU.csdata,"",@progbits
; Kernel info:
; codeLenInByte = 1332
; NumSgprs: 24
; NumVgprs: 87
; ScratchSize: 0
; MemoryBound: 0
; FloatMode: 240
; IeeeMode: 1
; LDSByteSize: 4096 bytes/workgroup (compile time only)
; SGPRBlocks: 2
; VGPRBlocks: 10
; NumSGPRsForWavesPerEU: 24
; NumVGPRsForWavesPerEU: 87
; Occupancy: 16
; WaveLimiterHint : 1
; COMPUTE_PGM_RSRC2:SCRATCH_EN: 0
; COMPUTE_PGM_RSRC2:USER_SGPR: 13
; COMPUTE_PGM_RSRC2:TRAP_HANDLER: 0
; COMPUTE_PGM_RSRC2:TGID_X_EN: 1
; COMPUTE_PGM_RSRC2:TGID_Y_EN: 1
; COMPUTE_PGM_RSRC2:TGID_Z_EN: 1
; COMPUTE_PGM_RSRC2:TIDIG_COMP_CNT: 1
	.section	.text._ZL41rocblas_syrkx_herkx_small_restrict_kernelIl19rocblas_complex_numIfELi16ELb1ELb1ELc78ELc85EKPKS1_KPS1_EviT_T0_PT6_S7_lSA_S7_lS8_PT7_S7_li,"axG",@progbits,_ZL41rocblas_syrkx_herkx_small_restrict_kernelIl19rocblas_complex_numIfELi16ELb1ELb1ELc78ELc85EKPKS1_KPS1_EviT_T0_PT6_S7_lSA_S7_lS8_PT7_S7_li,comdat
	.globl	_ZL41rocblas_syrkx_herkx_small_restrict_kernelIl19rocblas_complex_numIfELi16ELb1ELb1ELc78ELc85EKPKS1_KPS1_EviT_T0_PT6_S7_lSA_S7_lS8_PT7_S7_li ; -- Begin function _ZL41rocblas_syrkx_herkx_small_restrict_kernelIl19rocblas_complex_numIfELi16ELb1ELb1ELc78ELc85EKPKS1_KPS1_EviT_T0_PT6_S7_lSA_S7_lS8_PT7_S7_li
	.p2align	8
	.type	_ZL41rocblas_syrkx_herkx_small_restrict_kernelIl19rocblas_complex_numIfELi16ELb1ELb1ELc78ELc85EKPKS1_KPS1_EviT_T0_PT6_S7_lSA_S7_lS8_PT7_S7_li,@function
_ZL41rocblas_syrkx_herkx_small_restrict_kernelIl19rocblas_complex_numIfELi16ELb1ELb1ELc78ELc85EKPKS1_KPS1_EviT_T0_PT6_S7_lSA_S7_lS8_PT7_S7_li: ; @_ZL41rocblas_syrkx_herkx_small_restrict_kernelIl19rocblas_complex_numIfELi16ELb1ELb1ELc78ELc85EKPKS1_KPS1_EviT_T0_PT6_S7_lSA_S7_lS8_PT7_S7_li
; %bb.0:
	s_clause 0x1
	s_load_b128 s[16:19], s[0:1], 0x50
	s_load_b256 s[4:11], s[0:1], 0x8
	s_mov_b32 s2, s15
	s_mov_b32 s3, 0
	v_dual_mov_b32 v12, 0 :: v_dual_and_b32 v5, 0x3ff, v0
	s_lshl_b64 s[20:21], s[2:3], 3
	v_bfe_u32 v4, v0, 10, 10
	v_mov_b32_e32 v13, 0
	s_delay_alu instid0(VALU_DEP_3) | instskip(NEXT) | instid1(VALU_DEP_3)
	v_lshl_add_u32 v0, s13, 4, v5
	v_lshl_add_u32 v2, s14, 4, v4
	s_delay_alu instid0(VALU_DEP_2) | instskip(NEXT) | instid1(VALU_DEP_2)
	v_ashrrev_i32_e32 v1, 31, v0
	v_ashrrev_i32_e32 v3, 31, v2
	s_waitcnt lgkmcnt(0)
	s_add_u32 s2, s16, s20
	s_addc_u32 s3, s17, s21
	s_load_b64 s[16:17], s[2:3], 0x0
	v_cmp_lt_i64_e64 s2, s[4:5], 1
	s_delay_alu instid0(VALU_DEP_1)
	s_and_b32 vcc_lo, exec_lo, s2
	s_cbranch_vccnz .LBB1737_3
; %bb.1:
	s_load_b128 s[0:3], s[0:1], 0x30
	v_mad_u64_u32 v[13:14], null, s10, v4, 0
	v_lshlrev_b32_e32 v8, 3, v5
	v_lshlrev_b64 v[15:16], 3, v[2:3]
	v_lshlrev_b64 v[17:18], 3, v[0:1]
	s_delay_alu instid0(VALU_DEP_4)
	v_mov_b32_e32 v9, v14
	s_waitcnt lgkmcnt(0)
	v_mad_u64_u32 v[6:7], null, s2, v5, 0
	s_add_u32 s0, s0, s20
	s_addc_u32 s1, s1, s21
	s_add_u32 s8, s8, s20
	s_load_b64 s[0:1], s[0:1], 0x0
	s_addc_u32 s9, s9, s21
	s_load_b64 s[8:9], s[8:9], 0x0
	s_delay_alu instid0(VALU_DEP_1) | instskip(NEXT) | instid1(VALU_DEP_1)
	v_mad_u64_u32 v[10:11], null, s3, v5, v[7:8]
	v_mad_u64_u32 v[11:12], null, s11, v4, v[9:10]
	v_dual_mov_b32 v7, v10 :: v_dual_mov_b32 v12, 0
	v_lshlrev_b32_e32 v19, 7, v4
	s_delay_alu instid0(VALU_DEP_2) | instskip(NEXT) | instid1(VALU_DEP_2)
	v_lshlrev_b64 v[4:5], 3, v[6:7]
	v_dual_mov_b32 v14, v11 :: v_dual_add_nc_u32 v9, 0x800, v19
	v_add_nc_u32_e32 v10, v8, v19
	s_delay_alu instid0(VALU_DEP_3) | instskip(NEXT) | instid1(VALU_DEP_3)
	v_add_co_u32 v4, vcc_lo, v4, v15
	v_lshlrev_b64 v[6:7], 3, v[13:14]
	v_add_co_ci_u32_e32 v5, vcc_lo, v5, v16, vcc_lo
	v_add_nc_u32_e32 v11, v9, v8
	s_delay_alu instid0(VALU_DEP_3) | instskip(NEXT) | instid1(VALU_DEP_4)
	v_add_co_u32 v6, vcc_lo, v6, v17
	v_add_co_ci_u32_e32 v7, vcc_lo, v7, v18, vcc_lo
	s_waitcnt lgkmcnt(0)
	v_add_co_u32 v13, vcc_lo, v4, s0
	v_add_co_ci_u32_e32 v14, vcc_lo, s1, v5, vcc_lo
	v_add_co_u32 v4, vcc_lo, s8, v6
	v_add_co_ci_u32_e32 v5, vcc_lo, s9, v7, vcc_lo
	s_delay_alu instid0(VALU_DEP_4)
	v_add_co_u32 v6, vcc_lo, v13, 4
	v_mov_b32_e32 v13, 0
	v_add_co_ci_u32_e32 v7, vcc_lo, 0, v14, vcc_lo
	s_lshl_b64 s[0:1], s[2:3], 7
	s_lshl_b64 s[2:3], s[10:11], 7
	s_mov_b64 s[8:9], 0
.LBB1737_2:                             ; =>This Inner Loop Header: Depth=1
	global_load_b64 v[14:15], v[6:7], off offset:-4
	global_load_b64 v[16:17], v[4:5], off
	s_add_u32 s8, s8, 16
	v_add_co_u32 v6, vcc_lo, v6, s0
	s_addc_u32 s9, s9, 0
	v_add_co_ci_u32_e32 v7, vcc_lo, s1, v7, vcc_lo
	v_cmp_lt_i64_e64 s10, s[8:9], s[4:5]
	v_add_co_u32 v4, vcc_lo, v4, s2
	v_add_co_ci_u32_e32 v5, vcc_lo, s3, v5, vcc_lo
	s_delay_alu instid0(VALU_DEP_3)
	s_and_b32 vcc_lo, exec_lo, s10
	s_waitcnt vmcnt(1)
	v_xor_b32_e32 v15, 0x80000000, v15
	s_waitcnt vmcnt(0)
	ds_store_b64 v10, v[16:17]
	ds_store_b64 v11, v[14:15]
	s_waitcnt lgkmcnt(0)
	s_barrier
	buffer_gl0_inv
	ds_load_2addr_b64 v[14:17], v8 offset1:16
	ds_load_b128 v[18:21], v9
	ds_load_b128 v[22:25], v9 offset:16
	ds_load_2addr_b64 v[26:29], v8 offset0:32 offset1:48
	ds_load_2addr_b64 v[30:33], v8 offset0:64 offset1:80
	ds_load_b128 v[34:37], v9 offset:32
	ds_load_b128 v[38:41], v9 offset:48
	ds_load_2addr_b64 v[42:45], v8 offset0:96 offset1:112
	ds_load_2addr_b64 v[46:49], v8 offset0:128 offset1:144
	;; [unrolled: 1-line block ×3, first 2 shown]
	ds_load_b128 v[54:57], v9 offset:64
	ds_load_b128 v[58:61], v9 offset:80
	ds_load_2addr_b64 v[62:65], v8 offset0:192 offset1:208
	ds_load_2addr_b64 v[66:69], v8 offset0:224 offset1:240
	ds_load_b128 v[70:73], v9 offset:96
	ds_load_b128 v[74:77], v9 offset:112
	s_waitcnt lgkmcnt(0)
	s_barrier
	buffer_gl0_inv
	v_dual_mul_f32 v78, v19, v15 :: v_dual_mul_f32 v79, v21, v17
	v_mul_f32_e32 v15, v18, v15
	v_dual_mul_f32 v17, v20, v17 :: v_dual_mul_f32 v80, v23, v27
	v_mul_f32_e32 v27, v22, v27
	s_delay_alu instid0(VALU_DEP_4) | instskip(SKIP_1) | instid1(VALU_DEP_4)
	v_fma_f32 v18, v18, v14, -v78
	v_dual_mul_f32 v81, v25, v29 :: v_dual_mul_f32 v82, v35, v31
	v_fmac_f32_e32 v17, v21, v16
	s_delay_alu instid0(VALU_DEP_4) | instskip(SKIP_4) | instid1(VALU_DEP_4)
	v_fmac_f32_e32 v27, v23, v26
	v_fmac_f32_e32 v15, v19, v14
	v_mul_f32_e32 v85, v41, v45
	v_dual_mul_f32 v29, v24, v29 :: v_dual_mul_f32 v84, v39, v43
	v_mul_f32_e32 v45, v40, v45
	v_add_f32_e32 v12, v12, v15
	v_mul_f32_e32 v31, v34, v31
	v_dual_add_f32 v13, v13, v18 :: v_dual_mul_f32 v18, v74, v67
	v_mul_f32_e32 v19, v56, v49
	s_delay_alu instid0(VALU_DEP_4) | instskip(SKIP_1) | instid1(VALU_DEP_3)
	v_add_f32_e32 v12, v12, v17
	v_dual_mul_f32 v83, v37, v33 :: v_dual_mul_f32 v86, v55, v47
	v_dual_fmac_f32 v18, v75, v66 :: v_dual_fmac_f32 v19, v57, v48
	s_delay_alu instid0(VALU_DEP_3) | instskip(SKIP_3) | instid1(VALU_DEP_4)
	v_dual_fmac_f32 v29, v25, v28 :: v_dual_add_f32 v12, v12, v27
	v_mul_f32_e32 v33, v36, v33
	v_mul_f32_e32 v47, v54, v47
	v_fmac_f32_e32 v31, v35, v30
	v_dual_mul_f32 v43, v38, v43 :: v_dual_add_f32 v12, v12, v29
	v_fma_f32 v14, v20, v16, -v79
	v_dual_mul_f32 v20, v59, v51 :: v_dual_fmac_f32 v33, v37, v32
	v_mul_f32_e32 v16, v57, v49
	s_delay_alu instid0(VALU_DEP_4) | instskip(SKIP_3) | instid1(VALU_DEP_4)
	v_add_f32_e32 v12, v12, v31
	v_mul_f32_e32 v21, v58, v51
	v_add_f32_e32 v13, v13, v14
	v_dual_mul_f32 v14, v77, v69 :: v_dual_fmac_f32 v43, v39, v42
	v_add_f32_e32 v12, v12, v33
	v_mul_f32_e32 v49, v61, v53
	v_fmac_f32_e32 v45, v41, v44
	v_mul_f32_e32 v51, v60, v53
	s_delay_alu instid0(VALU_DEP_4) | instskip(SKIP_2) | instid1(VALU_DEP_4)
	v_dual_fmac_f32 v47, v55, v46 :: v_dual_add_f32 v12, v12, v43
	v_mul_f32_e32 v53, v71, v63
	v_fmac_f32_e32 v21, v59, v50
	v_fmac_f32_e32 v51, v61, v52
	v_mul_f32_e32 v25, v72, v65
	v_add_f32_e32 v12, v12, v45
	v_fma_f32 v22, v22, v26, -v80
	v_mul_f32_e32 v17, v76, v69
	v_fma_f32 v23, v24, v28, -v81
	s_delay_alu instid0(VALU_DEP_4) | instskip(SKIP_1) | instid1(VALU_DEP_4)
	v_dual_fmac_f32 v25, v73, v64 :: v_dual_add_f32 v12, v12, v47
	v_fma_f32 v16, v56, v48, -v16
	v_fmac_f32_e32 v17, v77, v68
	v_fma_f32 v20, v58, v50, -v20
	v_mul_f32_e32 v24, v73, v65
	v_add_f32_e32 v12, v12, v19
	v_mul_f32_e32 v63, v70, v63
	v_fma_f32 v19, v70, v62, -v53
	v_fma_f32 v14, v76, v68, -v14
	s_delay_alu instid0(VALU_DEP_3) | instskip(NEXT) | instid1(VALU_DEP_1)
	v_dual_add_f32 v12, v12, v21 :: v_dual_fmac_f32 v63, v71, v62
	v_add_f32_e32 v12, v12, v51
	s_delay_alu instid0(VALU_DEP_1) | instskip(NEXT) | instid1(VALU_DEP_1)
	v_add_f32_e32 v12, v12, v63
	v_dual_mul_f32 v15, v75, v67 :: v_dual_add_f32 v12, v12, v25
	s_delay_alu instid0(VALU_DEP_1) | instskip(NEXT) | instid1(VALU_DEP_2)
	v_fma_f32 v15, v74, v66, -v15
	v_add_f32_e32 v12, v12, v18
	v_add_f32_e32 v13, v13, v22
	v_fma_f32 v22, v34, v30, -v82
	s_delay_alu instid0(VALU_DEP_2) | instskip(SKIP_1) | instid1(VALU_DEP_2)
	v_dual_add_f32 v12, v12, v17 :: v_dual_add_f32 v13, v13, v23
	v_fma_f32 v23, v36, v32, -v83
	v_add_f32_e32 v13, v13, v22
	v_fma_f32 v22, v38, v42, -v84
	s_delay_alu instid0(VALU_DEP_2) | instskip(SKIP_1) | instid1(VALU_DEP_2)
	v_add_f32_e32 v13, v13, v23
	v_fma_f32 v23, v40, v44, -v85
	v_add_f32_e32 v13, v13, v22
	v_fma_f32 v22, v54, v46, -v86
	s_delay_alu instid0(VALU_DEP_2) | instskip(NEXT) | instid1(VALU_DEP_1)
	v_add_f32_e32 v13, v13, v23
	v_add_f32_e32 v13, v13, v22
	s_delay_alu instid0(VALU_DEP_1) | instskip(SKIP_1) | instid1(VALU_DEP_2)
	v_add_f32_e32 v13, v13, v16
	v_fma_f32 v16, v60, v52, -v49
	v_add_f32_e32 v13, v13, v20
	s_delay_alu instid0(VALU_DEP_1) | instskip(SKIP_1) | instid1(VALU_DEP_2)
	v_add_f32_e32 v13, v13, v16
	v_fma_f32 v16, v72, v64, -v24
	v_add_f32_e32 v13, v13, v19
	s_delay_alu instid0(VALU_DEP_1) | instskip(NEXT) | instid1(VALU_DEP_1)
	v_add_f32_e32 v13, v13, v16
	v_add_f32_e32 v13, v13, v15
	s_delay_alu instid0(VALU_DEP_1)
	v_add_f32_e32 v13, v13, v14
	s_cbranch_vccnz .LBB1737_2
.LBB1737_3:
	s_mov_b32 s0, exec_lo
	v_cmpx_le_i32_e64 v0, v2
	s_cbranch_execz .LBB1737_6
; %bb.4:
	v_mul_lo_u32 v5, v2, s19
	v_mul_lo_u32 v6, v3, s18
	v_mad_u64_u32 v[3:4], null, v2, s18, 0
	v_lshlrev_b64 v[7:8], 3, v[0:1]
	s_delay_alu instid0(VALU_DEP_2) | instskip(SKIP_2) | instid1(VALU_DEP_3)
	v_add3_u32 v4, v4, v5, v6
	v_mul_f32_e32 v6, s6, v12
	v_mul_f32_e32 v5, s7, v12
	v_lshlrev_b64 v[3:4], 3, v[3:4]
	s_delay_alu instid0(VALU_DEP_3) | instskip(NEXT) | instid1(VALU_DEP_3)
	v_fmac_f32_e32 v6, s7, v13
	v_fma_f32 v5, v13, s6, -v5
	s_waitcnt lgkmcnt(0)
	s_delay_alu instid0(VALU_DEP_3) | instskip(NEXT) | instid1(VALU_DEP_4)
	v_add_co_u32 v1, vcc_lo, s16, v3
	v_add_co_ci_u32_e32 v4, vcc_lo, s17, v4, vcc_lo
	s_delay_alu instid0(VALU_DEP_2) | instskip(NEXT) | instid1(VALU_DEP_2)
	v_add_co_u32 v3, vcc_lo, v1, v7
	v_add_co_ci_u32_e32 v4, vcc_lo, v4, v8, vcc_lo
	v_cmp_eq_u32_e32 vcc_lo, v0, v2
	global_store_b64 v[3:4], v[5:6], off
	s_and_b32 exec_lo, exec_lo, vcc_lo
	s_cbranch_execz .LBB1737_6
; %bb.5:
	v_mov_b32_e32 v0, 0
	global_store_b32 v[3:4], v0, off offset:4
.LBB1737_6:
	s_nop 0
	s_sendmsg sendmsg(MSG_DEALLOC_VGPRS)
	s_endpgm
	.section	.rodata,"a",@progbits
	.p2align	6, 0x0
	.amdhsa_kernel _ZL41rocblas_syrkx_herkx_small_restrict_kernelIl19rocblas_complex_numIfELi16ELb1ELb1ELc78ELc85EKPKS1_KPS1_EviT_T0_PT6_S7_lSA_S7_lS8_PT7_S7_li
		.amdhsa_group_segment_fixed_size 4096
		.amdhsa_private_segment_fixed_size 0
		.amdhsa_kernarg_size 108
		.amdhsa_user_sgpr_count 13
		.amdhsa_user_sgpr_dispatch_ptr 0
		.amdhsa_user_sgpr_queue_ptr 0
		.amdhsa_user_sgpr_kernarg_segment_ptr 1
		.amdhsa_user_sgpr_dispatch_id 0
		.amdhsa_user_sgpr_private_segment_size 0
		.amdhsa_wavefront_size32 1
		.amdhsa_uses_dynamic_stack 0
		.amdhsa_enable_private_segment 0
		.amdhsa_system_sgpr_workgroup_id_x 1
		.amdhsa_system_sgpr_workgroup_id_y 1
		.amdhsa_system_sgpr_workgroup_id_z 1
		.amdhsa_system_sgpr_workgroup_info 0
		.amdhsa_system_vgpr_workitem_id 1
		.amdhsa_next_free_vgpr 87
		.amdhsa_next_free_sgpr 22
		.amdhsa_reserve_vcc 1
		.amdhsa_float_round_mode_32 0
		.amdhsa_float_round_mode_16_64 0
		.amdhsa_float_denorm_mode_32 3
		.amdhsa_float_denorm_mode_16_64 3
		.amdhsa_dx10_clamp 1
		.amdhsa_ieee_mode 1
		.amdhsa_fp16_overflow 0
		.amdhsa_workgroup_processor_mode 1
		.amdhsa_memory_ordered 1
		.amdhsa_forward_progress 0
		.amdhsa_shared_vgpr_count 0
		.amdhsa_exception_fp_ieee_invalid_op 0
		.amdhsa_exception_fp_denorm_src 0
		.amdhsa_exception_fp_ieee_div_zero 0
		.amdhsa_exception_fp_ieee_overflow 0
		.amdhsa_exception_fp_ieee_underflow 0
		.amdhsa_exception_fp_ieee_inexact 0
		.amdhsa_exception_int_div_zero 0
	.end_amdhsa_kernel
	.section	.text._ZL41rocblas_syrkx_herkx_small_restrict_kernelIl19rocblas_complex_numIfELi16ELb1ELb1ELc78ELc85EKPKS1_KPS1_EviT_T0_PT6_S7_lSA_S7_lS8_PT7_S7_li,"axG",@progbits,_ZL41rocblas_syrkx_herkx_small_restrict_kernelIl19rocblas_complex_numIfELi16ELb1ELb1ELc78ELc85EKPKS1_KPS1_EviT_T0_PT6_S7_lSA_S7_lS8_PT7_S7_li,comdat
.Lfunc_end1737:
	.size	_ZL41rocblas_syrkx_herkx_small_restrict_kernelIl19rocblas_complex_numIfELi16ELb1ELb1ELc78ELc85EKPKS1_KPS1_EviT_T0_PT6_S7_lSA_S7_lS8_PT7_S7_li, .Lfunc_end1737-_ZL41rocblas_syrkx_herkx_small_restrict_kernelIl19rocblas_complex_numIfELi16ELb1ELb1ELc78ELc85EKPKS1_KPS1_EviT_T0_PT6_S7_lSA_S7_lS8_PT7_S7_li
                                        ; -- End function
	.section	.AMDGPU.csdata,"",@progbits
; Kernel info:
; codeLenInByte = 1328
; NumSgprs: 24
; NumVgprs: 87
; ScratchSize: 0
; MemoryBound: 0
; FloatMode: 240
; IeeeMode: 1
; LDSByteSize: 4096 bytes/workgroup (compile time only)
; SGPRBlocks: 2
; VGPRBlocks: 10
; NumSGPRsForWavesPerEU: 24
; NumVGPRsForWavesPerEU: 87
; Occupancy: 16
; WaveLimiterHint : 1
; COMPUTE_PGM_RSRC2:SCRATCH_EN: 0
; COMPUTE_PGM_RSRC2:USER_SGPR: 13
; COMPUTE_PGM_RSRC2:TRAP_HANDLER: 0
; COMPUTE_PGM_RSRC2:TGID_X_EN: 1
; COMPUTE_PGM_RSRC2:TGID_Y_EN: 1
; COMPUTE_PGM_RSRC2:TGID_Z_EN: 1
; COMPUTE_PGM_RSRC2:TIDIG_COMP_CNT: 1
	.section	.text._ZL41rocblas_syrkx_herkx_small_restrict_kernelIl19rocblas_complex_numIfELi16ELb0ELb1ELc84ELc76EKPKS1_KPS1_EviT_T0_PT6_S7_lSA_S7_lS8_PT7_S7_li,"axG",@progbits,_ZL41rocblas_syrkx_herkx_small_restrict_kernelIl19rocblas_complex_numIfELi16ELb0ELb1ELc84ELc76EKPKS1_KPS1_EviT_T0_PT6_S7_lSA_S7_lS8_PT7_S7_li,comdat
	.globl	_ZL41rocblas_syrkx_herkx_small_restrict_kernelIl19rocblas_complex_numIfELi16ELb0ELb1ELc84ELc76EKPKS1_KPS1_EviT_T0_PT6_S7_lSA_S7_lS8_PT7_S7_li ; -- Begin function _ZL41rocblas_syrkx_herkx_small_restrict_kernelIl19rocblas_complex_numIfELi16ELb0ELb1ELc84ELc76EKPKS1_KPS1_EviT_T0_PT6_S7_lSA_S7_lS8_PT7_S7_li
	.p2align	8
	.type	_ZL41rocblas_syrkx_herkx_small_restrict_kernelIl19rocblas_complex_numIfELi16ELb0ELb1ELc84ELc76EKPKS1_KPS1_EviT_T0_PT6_S7_lSA_S7_lS8_PT7_S7_li,@function
_ZL41rocblas_syrkx_herkx_small_restrict_kernelIl19rocblas_complex_numIfELi16ELb0ELb1ELc84ELc76EKPKS1_KPS1_EviT_T0_PT6_S7_lSA_S7_lS8_PT7_S7_li: ; @_ZL41rocblas_syrkx_herkx_small_restrict_kernelIl19rocblas_complex_numIfELi16ELb0ELb1ELc84ELc76EKPKS1_KPS1_EviT_T0_PT6_S7_lSA_S7_lS8_PT7_S7_li
; %bb.0:
	s_clause 0x1
	s_load_b128 s[16:19], s[0:1], 0x48
	s_load_b256 s[4:11], s[0:1], 0x8
	s_mov_b32 s2, s15
	s_mov_b32 s3, 0
	v_dual_mov_b32 v13, 0 :: v_dual_and_b32 v2, 0x3ff, v0
	s_lshl_b64 s[20:21], s[2:3], 3
	v_bfe_u32 v3, v0, 10, 10
	v_mov_b32_e32 v12, 0
	s_delay_alu instid0(VALU_DEP_3) | instskip(NEXT) | instid1(VALU_DEP_3)
	v_lshl_add_u32 v0, s13, 4, v2
	v_lshl_add_u32 v6, s14, 4, v3
	s_delay_alu instid0(VALU_DEP_2) | instskip(NEXT) | instid1(VALU_DEP_2)
	v_ashrrev_i32_e32 v1, 31, v0
	v_ashrrev_i32_e32 v7, 31, v6
	s_waitcnt lgkmcnt(0)
	s_add_u32 s2, s18, s20
	s_addc_u32 s3, s19, s21
	s_load_b64 s[18:19], s[0:1], 0x58
	s_load_b64 s[2:3], s[2:3], 0x0
	v_cmp_lt_i64_e64 s12, s[4:5], 1
	s_delay_alu instid0(VALU_DEP_1)
	s_and_b32 vcc_lo, exec_lo, s12
	s_cbranch_vccnz .LBB1738_3
; %bb.1:
	s_load_b128 s[12:15], s[0:1], 0x30
	v_mul_lo_u32 v10, v0, s11
	v_mul_lo_u32 v11, v1, s10
	v_mad_u64_u32 v[4:5], null, v0, s10, 0
	v_lshlrev_b32_e32 v8, 3, v2
	v_lshlrev_b32_e32 v17, 3, v3
	;; [unrolled: 1-line block ×3, first 2 shown]
	s_delay_alu instid0(VALU_DEP_4) | instskip(NEXT) | instid1(VALU_DEP_1)
	v_add3_u32 v5, v5, v10, v11
	v_lshlrev_b64 v[4:5], 3, v[4:5]
	s_waitcnt lgkmcnt(0)
	s_add_u32 s0, s12, s20
	s_addc_u32 s1, s13, s21
	s_add_u32 s8, s8, s20
	s_load_b64 s[0:1], s[0:1], 0x0
	s_addc_u32 s9, s9, s21
	v_mul_lo_u32 v12, v6, s15
	s_load_b64 s[8:9], s[8:9], 0x0
	v_mul_lo_u32 v15, v7, s14
	v_mad_u64_u32 v[13:14], null, v6, s14, 0
	s_delay_alu instid0(VALU_DEP_1) | instskip(SKIP_1) | instid1(VALU_DEP_2)
	v_add3_u32 v14, v14, v12, v15
	v_mov_b32_e32 v12, 0
	v_lshlrev_b64 v[2:3], 3, v[13:14]
	s_waitcnt lgkmcnt(0)
	v_add_co_u32 v13, s0, s0, v8
	s_delay_alu instid0(VALU_DEP_1) | instskip(SKIP_1) | instid1(VALU_DEP_3)
	v_add_co_ci_u32_e64 v14, null, s1, 0, s0
	v_add_co_u32 v15, s0, s8, v17
	v_add_co_u32 v2, vcc_lo, v13, v2
	v_mov_b32_e32 v13, 0
	v_add_nc_u32_e32 v9, 0x800, v16
	v_add_nc_u32_e32 v10, v8, v16
	v_add_co_ci_u32_e64 v16, null, s9, 0, s0
	v_add_co_ci_u32_e32 v3, vcc_lo, v14, v3, vcc_lo
	v_add_co_u32 v4, vcc_lo, v15, v4
	v_add_nc_u32_e32 v11, v9, v8
	s_delay_alu instid0(VALU_DEP_4)
	v_add_co_ci_u32_e32 v5, vcc_lo, v16, v5, vcc_lo
	s_mov_b64 s[0:1], 0
.LBB1738_2:                             ; =>This Inner Loop Header: Depth=1
	global_load_b64 v[14:15], v[4:5], off
	global_load_b64 v[16:17], v[2:3], off
	s_add_u32 s0, s0, 16
	v_add_co_u32 v2, vcc_lo, 0x80, v2
	s_addc_u32 s1, s1, 0
	v_add_co_ci_u32_e32 v3, vcc_lo, 0, v3, vcc_lo
	v_cmp_lt_i64_e64 s8, s[0:1], s[4:5]
	v_add_co_u32 v4, vcc_lo, 0x80, v4
	v_add_co_ci_u32_e32 v5, vcc_lo, 0, v5, vcc_lo
	s_waitcnt vmcnt(1)
	ds_store_b64 v10, v[14:15]
	s_waitcnt vmcnt(0)
	ds_store_b64 v11, v[16:17]
	s_waitcnt lgkmcnt(0)
	s_barrier
	buffer_gl0_inv
	ds_load_2addr_b64 v[14:17], v8 offset1:16
	ds_load_b128 v[18:21], v9
	ds_load_b128 v[22:25], v9 offset:16
	ds_load_2addr_b64 v[26:29], v8 offset0:32 offset1:48
	ds_load_2addr_b64 v[30:33], v8 offset0:64 offset1:80
	ds_load_b128 v[34:37], v9 offset:32
	ds_load_b128 v[38:41], v9 offset:48
	ds_load_2addr_b64 v[42:45], v8 offset0:96 offset1:112
	ds_load_2addr_b64 v[46:49], v8 offset0:128 offset1:144
	;; [unrolled: 1-line block ×3, first 2 shown]
	ds_load_b128 v[54:57], v9 offset:64
	ds_load_b128 v[58:61], v9 offset:80
	ds_load_2addr_b64 v[62:65], v8 offset0:192 offset1:208
	ds_load_2addr_b64 v[66:69], v8 offset0:224 offset1:240
	ds_load_b128 v[70:73], v9 offset:96
	ds_load_b128 v[74:77], v9 offset:112
	s_and_b32 vcc_lo, exec_lo, s8
	s_waitcnt lgkmcnt(0)
	s_barrier
	buffer_gl0_inv
	v_dual_mul_f32 v78, v19, v15 :: v_dual_mul_f32 v79, v21, v17
	v_mul_f32_e32 v15, v18, v15
	v_dual_mul_f32 v17, v20, v17 :: v_dual_mul_f32 v80, v23, v27
	v_mul_f32_e32 v27, v22, v27
	s_delay_alu instid0(VALU_DEP_4) | instskip(SKIP_1) | instid1(VALU_DEP_4)
	v_fma_f32 v18, v18, v14, -v78
	v_dual_mul_f32 v81, v25, v29 :: v_dual_mul_f32 v82, v35, v31
	v_fmac_f32_e32 v17, v21, v16
	s_delay_alu instid0(VALU_DEP_4) | instskip(SKIP_4) | instid1(VALU_DEP_4)
	v_fmac_f32_e32 v27, v23, v26
	v_fmac_f32_e32 v15, v19, v14
	v_mul_f32_e32 v85, v41, v45
	v_dual_mul_f32 v29, v24, v29 :: v_dual_mul_f32 v84, v39, v43
	v_mul_f32_e32 v45, v40, v45
	v_add_f32_e32 v12, v12, v15
	v_mul_f32_e32 v31, v34, v31
	v_dual_add_f32 v13, v13, v18 :: v_dual_mul_f32 v18, v74, v67
	v_mul_f32_e32 v19, v56, v49
	s_delay_alu instid0(VALU_DEP_4) | instskip(SKIP_1) | instid1(VALU_DEP_3)
	v_add_f32_e32 v12, v12, v17
	v_dual_mul_f32 v83, v37, v33 :: v_dual_mul_f32 v86, v55, v47
	v_dual_fmac_f32 v18, v75, v66 :: v_dual_fmac_f32 v19, v57, v48
	s_delay_alu instid0(VALU_DEP_3) | instskip(SKIP_3) | instid1(VALU_DEP_4)
	v_dual_fmac_f32 v29, v25, v28 :: v_dual_add_f32 v12, v12, v27
	v_mul_f32_e32 v33, v36, v33
	v_mul_f32_e32 v47, v54, v47
	v_fmac_f32_e32 v31, v35, v30
	v_dual_mul_f32 v43, v38, v43 :: v_dual_add_f32 v12, v12, v29
	v_fma_f32 v14, v20, v16, -v79
	v_dual_mul_f32 v20, v59, v51 :: v_dual_fmac_f32 v33, v37, v32
	v_mul_f32_e32 v16, v57, v49
	s_delay_alu instid0(VALU_DEP_4) | instskip(SKIP_3) | instid1(VALU_DEP_4)
	v_add_f32_e32 v12, v12, v31
	v_mul_f32_e32 v21, v58, v51
	v_add_f32_e32 v13, v13, v14
	v_dual_mul_f32 v14, v77, v69 :: v_dual_fmac_f32 v43, v39, v42
	v_add_f32_e32 v12, v12, v33
	v_mul_f32_e32 v49, v61, v53
	v_fmac_f32_e32 v45, v41, v44
	v_mul_f32_e32 v51, v60, v53
	s_delay_alu instid0(VALU_DEP_4) | instskip(SKIP_2) | instid1(VALU_DEP_4)
	v_dual_fmac_f32 v47, v55, v46 :: v_dual_add_f32 v12, v12, v43
	v_mul_f32_e32 v53, v71, v63
	v_fmac_f32_e32 v21, v59, v50
	v_fmac_f32_e32 v51, v61, v52
	v_mul_f32_e32 v25, v72, v65
	v_add_f32_e32 v12, v12, v45
	v_fma_f32 v22, v22, v26, -v80
	v_mul_f32_e32 v17, v76, v69
	v_fma_f32 v23, v24, v28, -v81
	s_delay_alu instid0(VALU_DEP_4) | instskip(SKIP_1) | instid1(VALU_DEP_4)
	v_dual_fmac_f32 v25, v73, v64 :: v_dual_add_f32 v12, v12, v47
	v_fma_f32 v16, v56, v48, -v16
	v_fmac_f32_e32 v17, v77, v68
	v_fma_f32 v20, v58, v50, -v20
	v_mul_f32_e32 v24, v73, v65
	v_add_f32_e32 v12, v12, v19
	v_mul_f32_e32 v63, v70, v63
	v_fma_f32 v19, v70, v62, -v53
	v_fma_f32 v14, v76, v68, -v14
	s_delay_alu instid0(VALU_DEP_3) | instskip(NEXT) | instid1(VALU_DEP_1)
	v_dual_add_f32 v12, v12, v21 :: v_dual_fmac_f32 v63, v71, v62
	v_add_f32_e32 v12, v12, v51
	s_delay_alu instid0(VALU_DEP_1) | instskip(NEXT) | instid1(VALU_DEP_1)
	v_add_f32_e32 v12, v12, v63
	v_dual_mul_f32 v15, v75, v67 :: v_dual_add_f32 v12, v12, v25
	s_delay_alu instid0(VALU_DEP_1) | instskip(NEXT) | instid1(VALU_DEP_2)
	v_fma_f32 v15, v74, v66, -v15
	v_add_f32_e32 v12, v12, v18
	v_add_f32_e32 v13, v13, v22
	v_fma_f32 v22, v34, v30, -v82
	s_delay_alu instid0(VALU_DEP_2) | instskip(SKIP_1) | instid1(VALU_DEP_2)
	v_dual_add_f32 v12, v12, v17 :: v_dual_add_f32 v13, v13, v23
	v_fma_f32 v23, v36, v32, -v83
	v_add_f32_e32 v13, v13, v22
	v_fma_f32 v22, v38, v42, -v84
	s_delay_alu instid0(VALU_DEP_2) | instskip(SKIP_1) | instid1(VALU_DEP_2)
	v_add_f32_e32 v13, v13, v23
	v_fma_f32 v23, v40, v44, -v85
	v_add_f32_e32 v13, v13, v22
	v_fma_f32 v22, v54, v46, -v86
	s_delay_alu instid0(VALU_DEP_2) | instskip(NEXT) | instid1(VALU_DEP_1)
	v_add_f32_e32 v13, v13, v23
	v_add_f32_e32 v13, v13, v22
	s_delay_alu instid0(VALU_DEP_1) | instskip(SKIP_1) | instid1(VALU_DEP_2)
	v_add_f32_e32 v13, v13, v16
	v_fma_f32 v16, v60, v52, -v49
	v_add_f32_e32 v13, v13, v20
	s_delay_alu instid0(VALU_DEP_1) | instskip(SKIP_1) | instid1(VALU_DEP_2)
	v_add_f32_e32 v13, v13, v16
	v_fma_f32 v16, v72, v64, -v24
	v_add_f32_e32 v13, v13, v19
	s_delay_alu instid0(VALU_DEP_1) | instskip(NEXT) | instid1(VALU_DEP_1)
	v_add_f32_e32 v13, v13, v16
	v_add_f32_e32 v13, v13, v15
	s_delay_alu instid0(VALU_DEP_1)
	v_add_f32_e32 v13, v13, v14
	s_cbranch_vccnz .LBB1738_2
.LBB1738_3:
	s_mov_b32 s0, exec_lo
	v_cmpx_le_i32_e64 v6, v0
	s_cbranch_execz .LBB1738_6
; %bb.4:
	s_waitcnt lgkmcnt(0)
	v_mul_lo_u32 v4, v6, s19
	v_mul_lo_u32 v5, v7, s18
	v_mad_u64_u32 v[2:3], null, v6, s18, 0
	v_mul_f32_e32 v7, s6, v12
	s_delay_alu instid0(VALU_DEP_1) | instskip(NEXT) | instid1(VALU_DEP_3)
	v_fmac_f32_e32 v7, s7, v13
	v_add3_u32 v3, v3, v4, v5
	v_lshlrev_b64 v[4:5], 3, v[0:1]
	s_delay_alu instid0(VALU_DEP_2) | instskip(NEXT) | instid1(VALU_DEP_1)
	v_lshlrev_b64 v[2:3], 3, v[2:3]
	v_add_co_u32 v1, vcc_lo, s2, v2
	s_delay_alu instid0(VALU_DEP_2) | instskip(NEXT) | instid1(VALU_DEP_2)
	v_add_co_ci_u32_e32 v2, vcc_lo, s3, v3, vcc_lo
	v_add_co_u32 v1, vcc_lo, v1, v4
	s_delay_alu instid0(VALU_DEP_2)
	v_add_co_ci_u32_e32 v2, vcc_lo, v2, v5, vcc_lo
	v_cmp_eq_u32_e32 vcc_lo, v0, v6
	global_load_b64 v[3:4], v[1:2], off
	s_waitcnt vmcnt(0)
	v_mul_f32_e32 v8, s17, v4
	v_mul_f32_e32 v4, s16, v4
	;; [unrolled: 1-line block ×3, first 2 shown]
	s_delay_alu instid0(VALU_DEP_3) | instskip(NEXT) | instid1(VALU_DEP_3)
	v_fma_f32 v8, v3, s16, -v8
	v_fmac_f32_e32 v4, s17, v3
	s_delay_alu instid0(VALU_DEP_3) | instskip(NEXT) | instid1(VALU_DEP_2)
	v_fma_f32 v5, v13, s6, -v5
	v_add_f32_e32 v4, v7, v4
	s_delay_alu instid0(VALU_DEP_2)
	v_add_f32_e32 v3, v5, v8
	global_store_b64 v[1:2], v[3:4], off
	s_and_b32 exec_lo, exec_lo, vcc_lo
	s_cbranch_execz .LBB1738_6
; %bb.5:
	v_mov_b32_e32 v0, 0
	global_store_b32 v[1:2], v0, off offset:4
.LBB1738_6:
	s_nop 0
	s_sendmsg sendmsg(MSG_DEALLOC_VGPRS)
	s_endpgm
	.section	.rodata,"a",@progbits
	.p2align	6, 0x0
	.amdhsa_kernel _ZL41rocblas_syrkx_herkx_small_restrict_kernelIl19rocblas_complex_numIfELi16ELb0ELb1ELc84ELc76EKPKS1_KPS1_EviT_T0_PT6_S7_lSA_S7_lS8_PT7_S7_li
		.amdhsa_group_segment_fixed_size 4096
		.amdhsa_private_segment_fixed_size 0
		.amdhsa_kernarg_size 108
		.amdhsa_user_sgpr_count 13
		.amdhsa_user_sgpr_dispatch_ptr 0
		.amdhsa_user_sgpr_queue_ptr 0
		.amdhsa_user_sgpr_kernarg_segment_ptr 1
		.amdhsa_user_sgpr_dispatch_id 0
		.amdhsa_user_sgpr_private_segment_size 0
		.amdhsa_wavefront_size32 1
		.amdhsa_uses_dynamic_stack 0
		.amdhsa_enable_private_segment 0
		.amdhsa_system_sgpr_workgroup_id_x 1
		.amdhsa_system_sgpr_workgroup_id_y 1
		.amdhsa_system_sgpr_workgroup_id_z 1
		.amdhsa_system_sgpr_workgroup_info 0
		.amdhsa_system_vgpr_workitem_id 1
		.amdhsa_next_free_vgpr 87
		.amdhsa_next_free_sgpr 22
		.amdhsa_reserve_vcc 1
		.amdhsa_float_round_mode_32 0
		.amdhsa_float_round_mode_16_64 0
		.amdhsa_float_denorm_mode_32 3
		.amdhsa_float_denorm_mode_16_64 3
		.amdhsa_dx10_clamp 1
		.amdhsa_ieee_mode 1
		.amdhsa_fp16_overflow 0
		.amdhsa_workgroup_processor_mode 1
		.amdhsa_memory_ordered 1
		.amdhsa_forward_progress 0
		.amdhsa_shared_vgpr_count 0
		.amdhsa_exception_fp_ieee_invalid_op 0
		.amdhsa_exception_fp_denorm_src 0
		.amdhsa_exception_fp_ieee_div_zero 0
		.amdhsa_exception_fp_ieee_overflow 0
		.amdhsa_exception_fp_ieee_underflow 0
		.amdhsa_exception_fp_ieee_inexact 0
		.amdhsa_exception_int_div_zero 0
	.end_amdhsa_kernel
	.section	.text._ZL41rocblas_syrkx_herkx_small_restrict_kernelIl19rocblas_complex_numIfELi16ELb0ELb1ELc84ELc76EKPKS1_KPS1_EviT_T0_PT6_S7_lSA_S7_lS8_PT7_S7_li,"axG",@progbits,_ZL41rocblas_syrkx_herkx_small_restrict_kernelIl19rocblas_complex_numIfELi16ELb0ELb1ELc84ELc76EKPKS1_KPS1_EviT_T0_PT6_S7_lSA_S7_lS8_PT7_S7_li,comdat
.Lfunc_end1738:
	.size	_ZL41rocblas_syrkx_herkx_small_restrict_kernelIl19rocblas_complex_numIfELi16ELb0ELb1ELc84ELc76EKPKS1_KPS1_EviT_T0_PT6_S7_lSA_S7_lS8_PT7_S7_li, .Lfunc_end1738-_ZL41rocblas_syrkx_herkx_small_restrict_kernelIl19rocblas_complex_numIfELi16ELb0ELb1ELc84ELc76EKPKS1_KPS1_EviT_T0_PT6_S7_lSA_S7_lS8_PT7_S7_li
                                        ; -- End function
	.section	.AMDGPU.csdata,"",@progbits
; Kernel info:
; codeLenInByte = 1372
; NumSgprs: 24
; NumVgprs: 87
; ScratchSize: 0
; MemoryBound: 0
; FloatMode: 240
; IeeeMode: 1
; LDSByteSize: 4096 bytes/workgroup (compile time only)
; SGPRBlocks: 2
; VGPRBlocks: 10
; NumSGPRsForWavesPerEU: 24
; NumVGPRsForWavesPerEU: 87
; Occupancy: 16
; WaveLimiterHint : 1
; COMPUTE_PGM_RSRC2:SCRATCH_EN: 0
; COMPUTE_PGM_RSRC2:USER_SGPR: 13
; COMPUTE_PGM_RSRC2:TRAP_HANDLER: 0
; COMPUTE_PGM_RSRC2:TGID_X_EN: 1
; COMPUTE_PGM_RSRC2:TGID_Y_EN: 1
; COMPUTE_PGM_RSRC2:TGID_Z_EN: 1
; COMPUTE_PGM_RSRC2:TIDIG_COMP_CNT: 1
	.section	.text._ZL41rocblas_syrkx_herkx_small_restrict_kernelIl19rocblas_complex_numIfELi16ELb0ELb1ELc67ELc76EKPKS1_KPS1_EviT_T0_PT6_S7_lSA_S7_lS8_PT7_S7_li,"axG",@progbits,_ZL41rocblas_syrkx_herkx_small_restrict_kernelIl19rocblas_complex_numIfELi16ELb0ELb1ELc67ELc76EKPKS1_KPS1_EviT_T0_PT6_S7_lSA_S7_lS8_PT7_S7_li,comdat
	.globl	_ZL41rocblas_syrkx_herkx_small_restrict_kernelIl19rocblas_complex_numIfELi16ELb0ELb1ELc67ELc76EKPKS1_KPS1_EviT_T0_PT6_S7_lSA_S7_lS8_PT7_S7_li ; -- Begin function _ZL41rocblas_syrkx_herkx_small_restrict_kernelIl19rocblas_complex_numIfELi16ELb0ELb1ELc67ELc76EKPKS1_KPS1_EviT_T0_PT6_S7_lSA_S7_lS8_PT7_S7_li
	.p2align	8
	.type	_ZL41rocblas_syrkx_herkx_small_restrict_kernelIl19rocblas_complex_numIfELi16ELb0ELb1ELc67ELc76EKPKS1_KPS1_EviT_T0_PT6_S7_lSA_S7_lS8_PT7_S7_li,@function
_ZL41rocblas_syrkx_herkx_small_restrict_kernelIl19rocblas_complex_numIfELi16ELb0ELb1ELc67ELc76EKPKS1_KPS1_EviT_T0_PT6_S7_lSA_S7_lS8_PT7_S7_li: ; @_ZL41rocblas_syrkx_herkx_small_restrict_kernelIl19rocblas_complex_numIfELi16ELb0ELb1ELc67ELc76EKPKS1_KPS1_EviT_T0_PT6_S7_lSA_S7_lS8_PT7_S7_li
; %bb.0:
	s_clause 0x1
	s_load_b128 s[16:19], s[0:1], 0x48
	s_load_b256 s[4:11], s[0:1], 0x8
	s_mov_b32 s2, s15
	s_mov_b32 s3, 0
	v_dual_mov_b32 v12, 0 :: v_dual_and_b32 v3, 0x3ff, v0
	s_lshl_b64 s[20:21], s[2:3], 3
	v_bfe_u32 v2, v0, 10, 10
	v_mov_b32_e32 v13, 0
	s_delay_alu instid0(VALU_DEP_3) | instskip(NEXT) | instid1(VALU_DEP_3)
	v_lshl_add_u32 v0, s13, 4, v3
	v_lshl_add_u32 v6, s14, 4, v2
	s_delay_alu instid0(VALU_DEP_2) | instskip(NEXT) | instid1(VALU_DEP_2)
	v_ashrrev_i32_e32 v1, 31, v0
	v_ashrrev_i32_e32 v7, 31, v6
	s_waitcnt lgkmcnt(0)
	s_add_u32 s2, s18, s20
	s_addc_u32 s3, s19, s21
	s_load_b64 s[18:19], s[0:1], 0x58
	s_load_b64 s[2:3], s[2:3], 0x0
	v_cmp_lt_i64_e64 s12, s[4:5], 1
	s_delay_alu instid0(VALU_DEP_1)
	s_and_b32 vcc_lo, exec_lo, s12
	s_cbranch_vccnz .LBB1739_3
; %bb.1:
	s_load_b128 s[12:15], s[0:1], 0x30
	v_mul_lo_u32 v8, s11, v0
	v_mul_lo_u32 v9, s10, v1
	v_mad_u64_u32 v[4:5], null, s10, v0, 0
	v_lshlrev_b32_e32 v10, 7, v2
	v_dual_mov_b32 v12, 0 :: v_dual_lshlrev_b32 v17, 3, v2
	s_delay_alu instid0(VALU_DEP_3) | instskip(SKIP_1) | instid1(VALU_DEP_2)
	v_add3_u32 v5, v5, v9, v8
	v_lshlrev_b32_e32 v8, 3, v3
	v_lshlrev_b64 v[2:3], 3, v[4:5]
	s_waitcnt lgkmcnt(0)
	s_add_u32 s0, s12, s20
	s_addc_u32 s1, s13, s21
	s_add_u32 s8, s8, s20
	s_load_b64 s[0:1], s[0:1], 0x0
	s_addc_u32 s9, s9, s21
	v_mul_lo_u32 v15, v6, s15
	s_load_b64 s[8:9], s[8:9], 0x0
	v_mul_lo_u32 v16, v7, s14
	v_mad_u64_u32 v[13:14], null, v6, s14, 0
	v_add_co_u32 v4, vcc_lo, v2, v17
	v_add_co_ci_u32_e32 v5, vcc_lo, 0, v3, vcc_lo
	s_delay_alu instid0(VALU_DEP_3) | instskip(NEXT) | instid1(VALU_DEP_1)
	v_add3_u32 v14, v14, v15, v16
	v_lshlrev_b64 v[2:3], 3, v[13:14]
	s_waitcnt lgkmcnt(0)
	v_add_co_u32 v13, s0, s0, v8
	s_delay_alu instid0(VALU_DEP_1) | instskip(SKIP_2) | instid1(VALU_DEP_4)
	v_add_co_ci_u32_e64 v14, null, s1, 0, s0
	v_add_co_u32 v4, vcc_lo, v4, s8
	v_add_co_ci_u32_e32 v5, vcc_lo, s9, v5, vcc_lo
	v_add_co_u32 v2, vcc_lo, v13, v2
	v_mov_b32_e32 v13, 0
	v_add_nc_u32_e32 v9, 0x800, v10
	v_add_co_ci_u32_e32 v3, vcc_lo, v14, v3, vcc_lo
	v_add_co_u32 v4, vcc_lo, v4, 4
	v_add_nc_u32_e32 v10, v8, v10
	s_delay_alu instid0(VALU_DEP_4)
	v_add_nc_u32_e32 v11, v9, v8
	v_add_co_ci_u32_e32 v5, vcc_lo, 0, v5, vcc_lo
	s_mov_b64 s[0:1], 0
.LBB1739_2:                             ; =>This Inner Loop Header: Depth=1
	global_load_b64 v[14:15], v[4:5], off offset:-4
	global_load_b64 v[16:17], v[2:3], off
	s_add_u32 s0, s0, 16
	v_add_co_u32 v2, vcc_lo, 0x80, v2
	s_addc_u32 s1, s1, 0
	v_add_co_ci_u32_e32 v3, vcc_lo, 0, v3, vcc_lo
	v_cmp_lt_i64_e64 s8, s[0:1], s[4:5]
	v_add_co_u32 v4, vcc_lo, 0x80, v4
	v_add_co_ci_u32_e32 v5, vcc_lo, 0, v5, vcc_lo
	s_delay_alu instid0(VALU_DEP_3)
	s_and_b32 vcc_lo, exec_lo, s8
	s_waitcnt vmcnt(1)
	v_xor_b32_e32 v15, 0x80000000, v15
	ds_store_b64 v10, v[14:15]
	s_waitcnt vmcnt(0)
	ds_store_b64 v11, v[16:17]
	s_waitcnt lgkmcnt(0)
	s_barrier
	buffer_gl0_inv
	ds_load_2addr_b64 v[14:17], v8 offset1:16
	ds_load_b128 v[18:21], v9
	ds_load_b128 v[22:25], v9 offset:16
	ds_load_2addr_b64 v[26:29], v8 offset0:32 offset1:48
	ds_load_2addr_b64 v[30:33], v8 offset0:64 offset1:80
	ds_load_b128 v[34:37], v9 offset:32
	ds_load_b128 v[38:41], v9 offset:48
	ds_load_2addr_b64 v[42:45], v8 offset0:96 offset1:112
	ds_load_2addr_b64 v[46:49], v8 offset0:128 offset1:144
	;; [unrolled: 1-line block ×3, first 2 shown]
	ds_load_b128 v[54:57], v9 offset:64
	ds_load_b128 v[58:61], v9 offset:80
	ds_load_2addr_b64 v[62:65], v8 offset0:192 offset1:208
	ds_load_2addr_b64 v[66:69], v8 offset0:224 offset1:240
	ds_load_b128 v[70:73], v9 offset:96
	ds_load_b128 v[74:77], v9 offset:112
	s_waitcnt lgkmcnt(0)
	s_barrier
	buffer_gl0_inv
	v_dual_mul_f32 v78, v19, v15 :: v_dual_mul_f32 v79, v21, v17
	v_mul_f32_e32 v15, v18, v15
	v_dual_mul_f32 v17, v20, v17 :: v_dual_mul_f32 v80, v23, v27
	v_mul_f32_e32 v27, v22, v27
	s_delay_alu instid0(VALU_DEP_4) | instskip(SKIP_1) | instid1(VALU_DEP_4)
	v_fma_f32 v18, v18, v14, -v78
	v_dual_mul_f32 v81, v25, v29 :: v_dual_mul_f32 v82, v35, v31
	v_fmac_f32_e32 v17, v21, v16
	s_delay_alu instid0(VALU_DEP_4) | instskip(SKIP_4) | instid1(VALU_DEP_4)
	v_fmac_f32_e32 v27, v23, v26
	v_fmac_f32_e32 v15, v19, v14
	v_mul_f32_e32 v85, v41, v45
	v_dual_mul_f32 v29, v24, v29 :: v_dual_mul_f32 v84, v39, v43
	v_mul_f32_e32 v45, v40, v45
	v_add_f32_e32 v12, v12, v15
	v_mul_f32_e32 v31, v34, v31
	v_dual_add_f32 v13, v13, v18 :: v_dual_mul_f32 v18, v74, v67
	v_mul_f32_e32 v19, v56, v49
	s_delay_alu instid0(VALU_DEP_4) | instskip(SKIP_1) | instid1(VALU_DEP_3)
	v_add_f32_e32 v12, v12, v17
	v_dual_mul_f32 v83, v37, v33 :: v_dual_mul_f32 v86, v55, v47
	v_dual_fmac_f32 v18, v75, v66 :: v_dual_fmac_f32 v19, v57, v48
	s_delay_alu instid0(VALU_DEP_3) | instskip(SKIP_3) | instid1(VALU_DEP_4)
	v_dual_fmac_f32 v29, v25, v28 :: v_dual_add_f32 v12, v12, v27
	v_mul_f32_e32 v33, v36, v33
	v_mul_f32_e32 v47, v54, v47
	v_fmac_f32_e32 v31, v35, v30
	v_dual_mul_f32 v43, v38, v43 :: v_dual_add_f32 v12, v12, v29
	v_fma_f32 v14, v20, v16, -v79
	v_dual_mul_f32 v20, v59, v51 :: v_dual_fmac_f32 v33, v37, v32
	v_mul_f32_e32 v16, v57, v49
	s_delay_alu instid0(VALU_DEP_4) | instskip(SKIP_3) | instid1(VALU_DEP_4)
	v_add_f32_e32 v12, v12, v31
	v_mul_f32_e32 v21, v58, v51
	v_add_f32_e32 v13, v13, v14
	v_dual_mul_f32 v14, v77, v69 :: v_dual_fmac_f32 v43, v39, v42
	v_add_f32_e32 v12, v12, v33
	v_mul_f32_e32 v49, v61, v53
	v_fmac_f32_e32 v45, v41, v44
	v_mul_f32_e32 v51, v60, v53
	s_delay_alu instid0(VALU_DEP_4) | instskip(SKIP_2) | instid1(VALU_DEP_4)
	v_dual_fmac_f32 v47, v55, v46 :: v_dual_add_f32 v12, v12, v43
	v_mul_f32_e32 v53, v71, v63
	v_fmac_f32_e32 v21, v59, v50
	v_fmac_f32_e32 v51, v61, v52
	v_mul_f32_e32 v25, v72, v65
	v_add_f32_e32 v12, v12, v45
	v_fma_f32 v22, v22, v26, -v80
	v_mul_f32_e32 v17, v76, v69
	v_fma_f32 v23, v24, v28, -v81
	s_delay_alu instid0(VALU_DEP_4) | instskip(SKIP_1) | instid1(VALU_DEP_4)
	v_dual_fmac_f32 v25, v73, v64 :: v_dual_add_f32 v12, v12, v47
	v_fma_f32 v16, v56, v48, -v16
	v_fmac_f32_e32 v17, v77, v68
	v_fma_f32 v20, v58, v50, -v20
	v_mul_f32_e32 v24, v73, v65
	v_add_f32_e32 v12, v12, v19
	v_mul_f32_e32 v63, v70, v63
	v_fma_f32 v19, v70, v62, -v53
	v_fma_f32 v14, v76, v68, -v14
	s_delay_alu instid0(VALU_DEP_3) | instskip(NEXT) | instid1(VALU_DEP_1)
	v_dual_add_f32 v12, v12, v21 :: v_dual_fmac_f32 v63, v71, v62
	v_add_f32_e32 v12, v12, v51
	s_delay_alu instid0(VALU_DEP_1) | instskip(NEXT) | instid1(VALU_DEP_1)
	v_add_f32_e32 v12, v12, v63
	v_dual_mul_f32 v15, v75, v67 :: v_dual_add_f32 v12, v12, v25
	s_delay_alu instid0(VALU_DEP_1) | instskip(NEXT) | instid1(VALU_DEP_2)
	v_fma_f32 v15, v74, v66, -v15
	v_add_f32_e32 v12, v12, v18
	v_add_f32_e32 v13, v13, v22
	v_fma_f32 v22, v34, v30, -v82
	s_delay_alu instid0(VALU_DEP_2) | instskip(SKIP_1) | instid1(VALU_DEP_2)
	v_dual_add_f32 v12, v12, v17 :: v_dual_add_f32 v13, v13, v23
	v_fma_f32 v23, v36, v32, -v83
	v_add_f32_e32 v13, v13, v22
	v_fma_f32 v22, v38, v42, -v84
	s_delay_alu instid0(VALU_DEP_2) | instskip(SKIP_1) | instid1(VALU_DEP_2)
	v_add_f32_e32 v13, v13, v23
	v_fma_f32 v23, v40, v44, -v85
	v_add_f32_e32 v13, v13, v22
	v_fma_f32 v22, v54, v46, -v86
	s_delay_alu instid0(VALU_DEP_2) | instskip(NEXT) | instid1(VALU_DEP_1)
	v_add_f32_e32 v13, v13, v23
	v_add_f32_e32 v13, v13, v22
	s_delay_alu instid0(VALU_DEP_1) | instskip(SKIP_1) | instid1(VALU_DEP_2)
	v_add_f32_e32 v13, v13, v16
	v_fma_f32 v16, v60, v52, -v49
	v_add_f32_e32 v13, v13, v20
	s_delay_alu instid0(VALU_DEP_1) | instskip(SKIP_1) | instid1(VALU_DEP_2)
	v_add_f32_e32 v13, v13, v16
	v_fma_f32 v16, v72, v64, -v24
	v_add_f32_e32 v13, v13, v19
	s_delay_alu instid0(VALU_DEP_1) | instskip(NEXT) | instid1(VALU_DEP_1)
	v_add_f32_e32 v13, v13, v16
	v_add_f32_e32 v13, v13, v15
	s_delay_alu instid0(VALU_DEP_1)
	v_add_f32_e32 v13, v13, v14
	s_cbranch_vccnz .LBB1739_2
.LBB1739_3:
	s_mov_b32 s0, exec_lo
	v_cmpx_le_i32_e64 v6, v0
	s_cbranch_execz .LBB1739_6
; %bb.4:
	s_waitcnt lgkmcnt(0)
	v_mul_lo_u32 v4, v6, s19
	v_mul_lo_u32 v5, v7, s18
	v_mad_u64_u32 v[2:3], null, v6, s18, 0
	v_mul_f32_e32 v7, s6, v12
	s_delay_alu instid0(VALU_DEP_1) | instskip(NEXT) | instid1(VALU_DEP_3)
	v_fmac_f32_e32 v7, s7, v13
	v_add3_u32 v3, v3, v4, v5
	v_lshlrev_b64 v[4:5], 3, v[0:1]
	s_delay_alu instid0(VALU_DEP_2) | instskip(NEXT) | instid1(VALU_DEP_1)
	v_lshlrev_b64 v[2:3], 3, v[2:3]
	v_add_co_u32 v1, vcc_lo, s2, v2
	s_delay_alu instid0(VALU_DEP_2) | instskip(NEXT) | instid1(VALU_DEP_2)
	v_add_co_ci_u32_e32 v2, vcc_lo, s3, v3, vcc_lo
	v_add_co_u32 v1, vcc_lo, v1, v4
	s_delay_alu instid0(VALU_DEP_2)
	v_add_co_ci_u32_e32 v2, vcc_lo, v2, v5, vcc_lo
	v_cmp_eq_u32_e32 vcc_lo, v0, v6
	global_load_b64 v[3:4], v[1:2], off
	s_waitcnt vmcnt(0)
	v_mul_f32_e32 v8, s17, v4
	v_mul_f32_e32 v4, s16, v4
	;; [unrolled: 1-line block ×3, first 2 shown]
	s_delay_alu instid0(VALU_DEP_3) | instskip(NEXT) | instid1(VALU_DEP_3)
	v_fma_f32 v8, v3, s16, -v8
	v_fmac_f32_e32 v4, s17, v3
	s_delay_alu instid0(VALU_DEP_3) | instskip(NEXT) | instid1(VALU_DEP_2)
	v_fma_f32 v5, v13, s6, -v5
	v_add_f32_e32 v4, v7, v4
	s_delay_alu instid0(VALU_DEP_2)
	v_add_f32_e32 v3, v5, v8
	global_store_b64 v[1:2], v[3:4], off
	s_and_b32 exec_lo, exec_lo, vcc_lo
	s_cbranch_execz .LBB1739_6
; %bb.5:
	v_mov_b32_e32 v0, 0
	global_store_b32 v[1:2], v0, off offset:4
.LBB1739_6:
	s_nop 0
	s_sendmsg sendmsg(MSG_DEALLOC_VGPRS)
	s_endpgm
	.section	.rodata,"a",@progbits
	.p2align	6, 0x0
	.amdhsa_kernel _ZL41rocblas_syrkx_herkx_small_restrict_kernelIl19rocblas_complex_numIfELi16ELb0ELb1ELc67ELc76EKPKS1_KPS1_EviT_T0_PT6_S7_lSA_S7_lS8_PT7_S7_li
		.amdhsa_group_segment_fixed_size 4096
		.amdhsa_private_segment_fixed_size 0
		.amdhsa_kernarg_size 108
		.amdhsa_user_sgpr_count 13
		.amdhsa_user_sgpr_dispatch_ptr 0
		.amdhsa_user_sgpr_queue_ptr 0
		.amdhsa_user_sgpr_kernarg_segment_ptr 1
		.amdhsa_user_sgpr_dispatch_id 0
		.amdhsa_user_sgpr_private_segment_size 0
		.amdhsa_wavefront_size32 1
		.amdhsa_uses_dynamic_stack 0
		.amdhsa_enable_private_segment 0
		.amdhsa_system_sgpr_workgroup_id_x 1
		.amdhsa_system_sgpr_workgroup_id_y 1
		.amdhsa_system_sgpr_workgroup_id_z 1
		.amdhsa_system_sgpr_workgroup_info 0
		.amdhsa_system_vgpr_workitem_id 1
		.amdhsa_next_free_vgpr 87
		.amdhsa_next_free_sgpr 22
		.amdhsa_reserve_vcc 1
		.amdhsa_float_round_mode_32 0
		.amdhsa_float_round_mode_16_64 0
		.amdhsa_float_denorm_mode_32 3
		.amdhsa_float_denorm_mode_16_64 3
		.amdhsa_dx10_clamp 1
		.amdhsa_ieee_mode 1
		.amdhsa_fp16_overflow 0
		.amdhsa_workgroup_processor_mode 1
		.amdhsa_memory_ordered 1
		.amdhsa_forward_progress 0
		.amdhsa_shared_vgpr_count 0
		.amdhsa_exception_fp_ieee_invalid_op 0
		.amdhsa_exception_fp_denorm_src 0
		.amdhsa_exception_fp_ieee_div_zero 0
		.amdhsa_exception_fp_ieee_overflow 0
		.amdhsa_exception_fp_ieee_underflow 0
		.amdhsa_exception_fp_ieee_inexact 0
		.amdhsa_exception_int_div_zero 0
	.end_amdhsa_kernel
	.section	.text._ZL41rocblas_syrkx_herkx_small_restrict_kernelIl19rocblas_complex_numIfELi16ELb0ELb1ELc67ELc76EKPKS1_KPS1_EviT_T0_PT6_S7_lSA_S7_lS8_PT7_S7_li,"axG",@progbits,_ZL41rocblas_syrkx_herkx_small_restrict_kernelIl19rocblas_complex_numIfELi16ELb0ELb1ELc67ELc76EKPKS1_KPS1_EviT_T0_PT6_S7_lSA_S7_lS8_PT7_S7_li,comdat
.Lfunc_end1739:
	.size	_ZL41rocblas_syrkx_herkx_small_restrict_kernelIl19rocblas_complex_numIfELi16ELb0ELb1ELc67ELc76EKPKS1_KPS1_EviT_T0_PT6_S7_lSA_S7_lS8_PT7_S7_li, .Lfunc_end1739-_ZL41rocblas_syrkx_herkx_small_restrict_kernelIl19rocblas_complex_numIfELi16ELb0ELb1ELc67ELc76EKPKS1_KPS1_EviT_T0_PT6_S7_lSA_S7_lS8_PT7_S7_li
                                        ; -- End function
	.section	.AMDGPU.csdata,"",@progbits
; Kernel info:
; codeLenInByte = 1392
; NumSgprs: 24
; NumVgprs: 87
; ScratchSize: 0
; MemoryBound: 0
; FloatMode: 240
; IeeeMode: 1
; LDSByteSize: 4096 bytes/workgroup (compile time only)
; SGPRBlocks: 2
; VGPRBlocks: 10
; NumSGPRsForWavesPerEU: 24
; NumVGPRsForWavesPerEU: 87
; Occupancy: 16
; WaveLimiterHint : 1
; COMPUTE_PGM_RSRC2:SCRATCH_EN: 0
; COMPUTE_PGM_RSRC2:USER_SGPR: 13
; COMPUTE_PGM_RSRC2:TRAP_HANDLER: 0
; COMPUTE_PGM_RSRC2:TGID_X_EN: 1
; COMPUTE_PGM_RSRC2:TGID_Y_EN: 1
; COMPUTE_PGM_RSRC2:TGID_Z_EN: 1
; COMPUTE_PGM_RSRC2:TIDIG_COMP_CNT: 1
	.section	.text._ZL41rocblas_syrkx_herkx_small_restrict_kernelIl19rocblas_complex_numIfELi16ELb0ELb1ELc78ELc76EKPKS1_KPS1_EviT_T0_PT6_S7_lSA_S7_lS8_PT7_S7_li,"axG",@progbits,_ZL41rocblas_syrkx_herkx_small_restrict_kernelIl19rocblas_complex_numIfELi16ELb0ELb1ELc78ELc76EKPKS1_KPS1_EviT_T0_PT6_S7_lSA_S7_lS8_PT7_S7_li,comdat
	.globl	_ZL41rocblas_syrkx_herkx_small_restrict_kernelIl19rocblas_complex_numIfELi16ELb0ELb1ELc78ELc76EKPKS1_KPS1_EviT_T0_PT6_S7_lSA_S7_lS8_PT7_S7_li ; -- Begin function _ZL41rocblas_syrkx_herkx_small_restrict_kernelIl19rocblas_complex_numIfELi16ELb0ELb1ELc78ELc76EKPKS1_KPS1_EviT_T0_PT6_S7_lSA_S7_lS8_PT7_S7_li
	.p2align	8
	.type	_ZL41rocblas_syrkx_herkx_small_restrict_kernelIl19rocblas_complex_numIfELi16ELb0ELb1ELc78ELc76EKPKS1_KPS1_EviT_T0_PT6_S7_lSA_S7_lS8_PT7_S7_li,@function
_ZL41rocblas_syrkx_herkx_small_restrict_kernelIl19rocblas_complex_numIfELi16ELb0ELb1ELc78ELc76EKPKS1_KPS1_EviT_T0_PT6_S7_lSA_S7_lS8_PT7_S7_li: ; @_ZL41rocblas_syrkx_herkx_small_restrict_kernelIl19rocblas_complex_numIfELi16ELb0ELb1ELc78ELc76EKPKS1_KPS1_EviT_T0_PT6_S7_lSA_S7_lS8_PT7_S7_li
; %bb.0:
	s_clause 0x1
	s_load_b128 s[16:19], s[0:1], 0x48
	s_load_b256 s[4:11], s[0:1], 0x8
	s_mov_b32 s2, s15
	s_mov_b32 s3, 0
	v_dual_mov_b32 v12, 0 :: v_dual_and_b32 v5, 0x3ff, v0
	s_lshl_b64 s[22:23], s[2:3], 3
	v_bfe_u32 v4, v0, 10, 10
	v_mov_b32_e32 v13, 0
	s_delay_alu instid0(VALU_DEP_3) | instskip(NEXT) | instid1(VALU_DEP_3)
	v_lshl_add_u32 v0, s13, 4, v5
	v_lshl_add_u32 v2, s14, 4, v4
	s_delay_alu instid0(VALU_DEP_2) | instskip(NEXT) | instid1(VALU_DEP_2)
	v_ashrrev_i32_e32 v1, 31, v0
	v_ashrrev_i32_e32 v3, 31, v2
	s_waitcnt lgkmcnt(0)
	s_add_u32 s2, s18, s22
	s_addc_u32 s3, s19, s23
	s_load_b64 s[20:21], s[0:1], 0x58
	s_load_b64 s[18:19], s[2:3], 0x0
	v_cmp_lt_i64_e64 s2, s[4:5], 1
	s_delay_alu instid0(VALU_DEP_1)
	s_and_b32 vcc_lo, exec_lo, s2
	s_cbranch_vccnz .LBB1740_3
; %bb.1:
	s_load_b128 s[0:3], s[0:1], 0x30
	v_mad_u64_u32 v[13:14], null, s10, v4, 0
	v_lshlrev_b32_e32 v8, 3, v5
	v_lshlrev_b64 v[15:16], 3, v[2:3]
	v_lshlrev_b64 v[17:18], 3, v[0:1]
	s_delay_alu instid0(VALU_DEP_4)
	v_mov_b32_e32 v9, v14
	s_waitcnt lgkmcnt(0)
	v_mad_u64_u32 v[6:7], null, s2, v5, 0
	s_add_u32 s0, s0, s22
	s_addc_u32 s1, s1, s23
	s_add_u32 s8, s8, s22
	s_load_b64 s[0:1], s[0:1], 0x0
	s_addc_u32 s9, s9, s23
	s_load_b64 s[8:9], s[8:9], 0x0
	s_delay_alu instid0(VALU_DEP_1) | instskip(NEXT) | instid1(VALU_DEP_1)
	v_mad_u64_u32 v[10:11], null, s3, v5, v[7:8]
	v_mad_u64_u32 v[11:12], null, s11, v4, v[9:10]
	v_dual_mov_b32 v7, v10 :: v_dual_mov_b32 v12, 0
	v_lshlrev_b32_e32 v19, 7, v4
	s_delay_alu instid0(VALU_DEP_2) | instskip(NEXT) | instid1(VALU_DEP_2)
	v_lshlrev_b64 v[4:5], 3, v[6:7]
	v_dual_mov_b32 v14, v11 :: v_dual_add_nc_u32 v9, 0x800, v19
	v_add_nc_u32_e32 v10, v8, v19
	s_delay_alu instid0(VALU_DEP_3) | instskip(NEXT) | instid1(VALU_DEP_3)
	v_add_co_u32 v4, vcc_lo, v4, v15
	v_lshlrev_b64 v[6:7], 3, v[13:14]
	v_add_co_ci_u32_e32 v5, vcc_lo, v5, v16, vcc_lo
	v_add_nc_u32_e32 v11, v9, v8
	s_delay_alu instid0(VALU_DEP_3) | instskip(NEXT) | instid1(VALU_DEP_4)
	v_add_co_u32 v6, vcc_lo, v6, v17
	v_add_co_ci_u32_e32 v7, vcc_lo, v7, v18, vcc_lo
	s_waitcnt lgkmcnt(0)
	v_add_co_u32 v13, vcc_lo, v4, s0
	v_add_co_ci_u32_e32 v14, vcc_lo, s1, v5, vcc_lo
	v_add_co_u32 v4, vcc_lo, s8, v6
	v_add_co_ci_u32_e32 v5, vcc_lo, s9, v7, vcc_lo
	s_delay_alu instid0(VALU_DEP_4)
	v_add_co_u32 v6, vcc_lo, v13, 4
	v_mov_b32_e32 v13, 0
	v_add_co_ci_u32_e32 v7, vcc_lo, 0, v14, vcc_lo
	s_lshl_b64 s[0:1], s[2:3], 7
	s_lshl_b64 s[2:3], s[10:11], 7
	s_mov_b64 s[8:9], 0
.LBB1740_2:                             ; =>This Inner Loop Header: Depth=1
	global_load_b64 v[14:15], v[6:7], off offset:-4
	global_load_b64 v[16:17], v[4:5], off
	s_add_u32 s8, s8, 16
	v_add_co_u32 v6, vcc_lo, v6, s0
	s_addc_u32 s9, s9, 0
	v_add_co_ci_u32_e32 v7, vcc_lo, s1, v7, vcc_lo
	v_cmp_lt_i64_e64 s10, s[8:9], s[4:5]
	v_add_co_u32 v4, vcc_lo, v4, s2
	v_add_co_ci_u32_e32 v5, vcc_lo, s3, v5, vcc_lo
	s_delay_alu instid0(VALU_DEP_3)
	s_and_b32 vcc_lo, exec_lo, s10
	s_waitcnt vmcnt(1)
	v_xor_b32_e32 v15, 0x80000000, v15
	s_waitcnt vmcnt(0)
	ds_store_b64 v10, v[16:17]
	ds_store_b64 v11, v[14:15]
	s_waitcnt lgkmcnt(0)
	s_barrier
	buffer_gl0_inv
	ds_load_2addr_b64 v[14:17], v8 offset1:16
	ds_load_b128 v[18:21], v9
	ds_load_b128 v[22:25], v9 offset:16
	ds_load_2addr_b64 v[26:29], v8 offset0:32 offset1:48
	ds_load_2addr_b64 v[30:33], v8 offset0:64 offset1:80
	ds_load_b128 v[34:37], v9 offset:32
	ds_load_b128 v[38:41], v9 offset:48
	ds_load_2addr_b64 v[42:45], v8 offset0:96 offset1:112
	ds_load_2addr_b64 v[46:49], v8 offset0:128 offset1:144
	;; [unrolled: 1-line block ×3, first 2 shown]
	ds_load_b128 v[54:57], v9 offset:64
	ds_load_b128 v[58:61], v9 offset:80
	ds_load_2addr_b64 v[62:65], v8 offset0:192 offset1:208
	ds_load_2addr_b64 v[66:69], v8 offset0:224 offset1:240
	ds_load_b128 v[70:73], v9 offset:96
	ds_load_b128 v[74:77], v9 offset:112
	s_waitcnt lgkmcnt(0)
	s_barrier
	buffer_gl0_inv
	v_dual_mul_f32 v78, v19, v15 :: v_dual_mul_f32 v79, v21, v17
	v_mul_f32_e32 v15, v18, v15
	v_dual_mul_f32 v17, v20, v17 :: v_dual_mul_f32 v80, v23, v27
	v_mul_f32_e32 v27, v22, v27
	s_delay_alu instid0(VALU_DEP_4) | instskip(SKIP_1) | instid1(VALU_DEP_4)
	v_fma_f32 v18, v18, v14, -v78
	v_dual_mul_f32 v81, v25, v29 :: v_dual_mul_f32 v82, v35, v31
	v_fmac_f32_e32 v17, v21, v16
	s_delay_alu instid0(VALU_DEP_4) | instskip(SKIP_4) | instid1(VALU_DEP_4)
	v_fmac_f32_e32 v27, v23, v26
	v_fmac_f32_e32 v15, v19, v14
	v_mul_f32_e32 v85, v41, v45
	v_dual_mul_f32 v29, v24, v29 :: v_dual_mul_f32 v84, v39, v43
	v_mul_f32_e32 v45, v40, v45
	v_add_f32_e32 v12, v12, v15
	v_mul_f32_e32 v31, v34, v31
	v_dual_add_f32 v13, v13, v18 :: v_dual_mul_f32 v18, v74, v67
	v_mul_f32_e32 v19, v56, v49
	s_delay_alu instid0(VALU_DEP_4) | instskip(SKIP_1) | instid1(VALU_DEP_3)
	v_add_f32_e32 v12, v12, v17
	v_dual_mul_f32 v83, v37, v33 :: v_dual_mul_f32 v86, v55, v47
	v_dual_fmac_f32 v18, v75, v66 :: v_dual_fmac_f32 v19, v57, v48
	s_delay_alu instid0(VALU_DEP_3) | instskip(SKIP_3) | instid1(VALU_DEP_4)
	v_dual_fmac_f32 v29, v25, v28 :: v_dual_add_f32 v12, v12, v27
	v_mul_f32_e32 v33, v36, v33
	v_mul_f32_e32 v47, v54, v47
	v_fmac_f32_e32 v31, v35, v30
	v_dual_mul_f32 v43, v38, v43 :: v_dual_add_f32 v12, v12, v29
	v_fma_f32 v14, v20, v16, -v79
	v_dual_mul_f32 v20, v59, v51 :: v_dual_fmac_f32 v33, v37, v32
	v_mul_f32_e32 v16, v57, v49
	s_delay_alu instid0(VALU_DEP_4) | instskip(SKIP_3) | instid1(VALU_DEP_4)
	v_add_f32_e32 v12, v12, v31
	v_mul_f32_e32 v21, v58, v51
	v_add_f32_e32 v13, v13, v14
	v_dual_mul_f32 v14, v77, v69 :: v_dual_fmac_f32 v43, v39, v42
	v_add_f32_e32 v12, v12, v33
	v_mul_f32_e32 v49, v61, v53
	v_fmac_f32_e32 v45, v41, v44
	v_mul_f32_e32 v51, v60, v53
	s_delay_alu instid0(VALU_DEP_4) | instskip(SKIP_2) | instid1(VALU_DEP_4)
	v_dual_fmac_f32 v47, v55, v46 :: v_dual_add_f32 v12, v12, v43
	v_mul_f32_e32 v53, v71, v63
	v_fmac_f32_e32 v21, v59, v50
	v_fmac_f32_e32 v51, v61, v52
	v_mul_f32_e32 v25, v72, v65
	v_add_f32_e32 v12, v12, v45
	v_fma_f32 v22, v22, v26, -v80
	v_mul_f32_e32 v17, v76, v69
	v_fma_f32 v23, v24, v28, -v81
	s_delay_alu instid0(VALU_DEP_4) | instskip(SKIP_1) | instid1(VALU_DEP_4)
	v_dual_fmac_f32 v25, v73, v64 :: v_dual_add_f32 v12, v12, v47
	v_fma_f32 v16, v56, v48, -v16
	v_fmac_f32_e32 v17, v77, v68
	v_fma_f32 v20, v58, v50, -v20
	v_mul_f32_e32 v24, v73, v65
	v_add_f32_e32 v12, v12, v19
	v_mul_f32_e32 v63, v70, v63
	v_fma_f32 v19, v70, v62, -v53
	v_fma_f32 v14, v76, v68, -v14
	s_delay_alu instid0(VALU_DEP_3) | instskip(NEXT) | instid1(VALU_DEP_1)
	v_dual_add_f32 v12, v12, v21 :: v_dual_fmac_f32 v63, v71, v62
	v_add_f32_e32 v12, v12, v51
	s_delay_alu instid0(VALU_DEP_1) | instskip(NEXT) | instid1(VALU_DEP_1)
	v_add_f32_e32 v12, v12, v63
	v_dual_mul_f32 v15, v75, v67 :: v_dual_add_f32 v12, v12, v25
	s_delay_alu instid0(VALU_DEP_1) | instskip(NEXT) | instid1(VALU_DEP_2)
	v_fma_f32 v15, v74, v66, -v15
	v_add_f32_e32 v12, v12, v18
	v_add_f32_e32 v13, v13, v22
	v_fma_f32 v22, v34, v30, -v82
	s_delay_alu instid0(VALU_DEP_2) | instskip(SKIP_1) | instid1(VALU_DEP_2)
	v_dual_add_f32 v12, v12, v17 :: v_dual_add_f32 v13, v13, v23
	v_fma_f32 v23, v36, v32, -v83
	v_add_f32_e32 v13, v13, v22
	v_fma_f32 v22, v38, v42, -v84
	s_delay_alu instid0(VALU_DEP_2) | instskip(SKIP_1) | instid1(VALU_DEP_2)
	v_add_f32_e32 v13, v13, v23
	v_fma_f32 v23, v40, v44, -v85
	v_add_f32_e32 v13, v13, v22
	v_fma_f32 v22, v54, v46, -v86
	s_delay_alu instid0(VALU_DEP_2) | instskip(NEXT) | instid1(VALU_DEP_1)
	v_add_f32_e32 v13, v13, v23
	v_add_f32_e32 v13, v13, v22
	s_delay_alu instid0(VALU_DEP_1) | instskip(SKIP_1) | instid1(VALU_DEP_2)
	v_add_f32_e32 v13, v13, v16
	v_fma_f32 v16, v60, v52, -v49
	v_add_f32_e32 v13, v13, v20
	s_delay_alu instid0(VALU_DEP_1) | instskip(SKIP_1) | instid1(VALU_DEP_2)
	v_add_f32_e32 v13, v13, v16
	v_fma_f32 v16, v72, v64, -v24
	v_add_f32_e32 v13, v13, v19
	s_delay_alu instid0(VALU_DEP_1) | instskip(NEXT) | instid1(VALU_DEP_1)
	v_add_f32_e32 v13, v13, v16
	v_add_f32_e32 v13, v13, v15
	s_delay_alu instid0(VALU_DEP_1)
	v_add_f32_e32 v13, v13, v14
	s_cbranch_vccnz .LBB1740_2
.LBB1740_3:
	s_mov_b32 s0, exec_lo
	v_cmpx_le_i32_e64 v2, v0
	s_cbranch_execz .LBB1740_6
; %bb.4:
	s_waitcnt lgkmcnt(0)
	v_mul_lo_u32 v5, v2, s21
	v_mul_lo_u32 v6, v3, s20
	v_mad_u64_u32 v[3:4], null, v2, s20, 0
	s_delay_alu instid0(VALU_DEP_1) | instskip(SKIP_1) | instid1(VALU_DEP_2)
	v_add3_u32 v4, v4, v5, v6
	v_lshlrev_b64 v[5:6], 3, v[0:1]
	v_lshlrev_b64 v[3:4], 3, v[3:4]
	s_delay_alu instid0(VALU_DEP_1) | instskip(NEXT) | instid1(VALU_DEP_2)
	v_add_co_u32 v1, vcc_lo, s18, v3
	v_add_co_ci_u32_e32 v4, vcc_lo, s19, v4, vcc_lo
	s_delay_alu instid0(VALU_DEP_2) | instskip(NEXT) | instid1(VALU_DEP_2)
	v_add_co_u32 v3, vcc_lo, v1, v5
	v_add_co_ci_u32_e32 v4, vcc_lo, v4, v6, vcc_lo
	v_cmp_eq_u32_e32 vcc_lo, v0, v2
	global_load_b64 v[5:6], v[3:4], off
	v_mul_f32_e32 v1, s7, v12
	s_waitcnt vmcnt(0)
	v_dual_mul_f32 v7, s6, v12 :: v_dual_mul_f32 v8, s17, v6
	v_mul_f32_e32 v6, s16, v6
	s_delay_alu instid0(VALU_DEP_3) | instskip(NEXT) | instid1(VALU_DEP_3)
	v_fma_f32 v1, v13, s6, -v1
	v_fmac_f32_e32 v7, s7, v13
	s_delay_alu instid0(VALU_DEP_4) | instskip(NEXT) | instid1(VALU_DEP_1)
	v_fma_f32 v8, v5, s16, -v8
	v_dual_fmac_f32 v6, s17, v5 :: v_dual_add_f32 v5, v1, v8
	s_delay_alu instid0(VALU_DEP_1)
	v_add_f32_e32 v6, v7, v6
	global_store_b64 v[3:4], v[5:6], off
	s_and_b32 exec_lo, exec_lo, vcc_lo
	s_cbranch_execz .LBB1740_6
; %bb.5:
	v_mov_b32_e32 v0, 0
	global_store_b32 v[3:4], v0, off offset:4
.LBB1740_6:
	s_nop 0
	s_sendmsg sendmsg(MSG_DEALLOC_VGPRS)
	s_endpgm
	.section	.rodata,"a",@progbits
	.p2align	6, 0x0
	.amdhsa_kernel _ZL41rocblas_syrkx_herkx_small_restrict_kernelIl19rocblas_complex_numIfELi16ELb0ELb1ELc78ELc76EKPKS1_KPS1_EviT_T0_PT6_S7_lSA_S7_lS8_PT7_S7_li
		.amdhsa_group_segment_fixed_size 4096
		.amdhsa_private_segment_fixed_size 0
		.amdhsa_kernarg_size 108
		.amdhsa_user_sgpr_count 13
		.amdhsa_user_sgpr_dispatch_ptr 0
		.amdhsa_user_sgpr_queue_ptr 0
		.amdhsa_user_sgpr_kernarg_segment_ptr 1
		.amdhsa_user_sgpr_dispatch_id 0
		.amdhsa_user_sgpr_private_segment_size 0
		.amdhsa_wavefront_size32 1
		.amdhsa_uses_dynamic_stack 0
		.amdhsa_enable_private_segment 0
		.amdhsa_system_sgpr_workgroup_id_x 1
		.amdhsa_system_sgpr_workgroup_id_y 1
		.amdhsa_system_sgpr_workgroup_id_z 1
		.amdhsa_system_sgpr_workgroup_info 0
		.amdhsa_system_vgpr_workitem_id 1
		.amdhsa_next_free_vgpr 87
		.amdhsa_next_free_sgpr 24
		.amdhsa_reserve_vcc 1
		.amdhsa_float_round_mode_32 0
		.amdhsa_float_round_mode_16_64 0
		.amdhsa_float_denorm_mode_32 3
		.amdhsa_float_denorm_mode_16_64 3
		.amdhsa_dx10_clamp 1
		.amdhsa_ieee_mode 1
		.amdhsa_fp16_overflow 0
		.amdhsa_workgroup_processor_mode 1
		.amdhsa_memory_ordered 1
		.amdhsa_forward_progress 0
		.amdhsa_shared_vgpr_count 0
		.amdhsa_exception_fp_ieee_invalid_op 0
		.amdhsa_exception_fp_denorm_src 0
		.amdhsa_exception_fp_ieee_div_zero 0
		.amdhsa_exception_fp_ieee_overflow 0
		.amdhsa_exception_fp_ieee_underflow 0
		.amdhsa_exception_fp_ieee_inexact 0
		.amdhsa_exception_int_div_zero 0
	.end_amdhsa_kernel
	.section	.text._ZL41rocblas_syrkx_herkx_small_restrict_kernelIl19rocblas_complex_numIfELi16ELb0ELb1ELc78ELc76EKPKS1_KPS1_EviT_T0_PT6_S7_lSA_S7_lS8_PT7_S7_li,"axG",@progbits,_ZL41rocblas_syrkx_herkx_small_restrict_kernelIl19rocblas_complex_numIfELi16ELb0ELb1ELc78ELc76EKPKS1_KPS1_EviT_T0_PT6_S7_lSA_S7_lS8_PT7_S7_li,comdat
.Lfunc_end1740:
	.size	_ZL41rocblas_syrkx_herkx_small_restrict_kernelIl19rocblas_complex_numIfELi16ELb0ELb1ELc78ELc76EKPKS1_KPS1_EviT_T0_PT6_S7_lSA_S7_lS8_PT7_S7_li, .Lfunc_end1740-_ZL41rocblas_syrkx_herkx_small_restrict_kernelIl19rocblas_complex_numIfELi16ELb0ELb1ELc78ELc76EKPKS1_KPS1_EviT_T0_PT6_S7_lSA_S7_lS8_PT7_S7_li
                                        ; -- End function
	.section	.AMDGPU.csdata,"",@progbits
; Kernel info:
; codeLenInByte = 1384
; NumSgprs: 26
; NumVgprs: 87
; ScratchSize: 0
; MemoryBound: 0
; FloatMode: 240
; IeeeMode: 1
; LDSByteSize: 4096 bytes/workgroup (compile time only)
; SGPRBlocks: 3
; VGPRBlocks: 10
; NumSGPRsForWavesPerEU: 26
; NumVGPRsForWavesPerEU: 87
; Occupancy: 16
; WaveLimiterHint : 1
; COMPUTE_PGM_RSRC2:SCRATCH_EN: 0
; COMPUTE_PGM_RSRC2:USER_SGPR: 13
; COMPUTE_PGM_RSRC2:TRAP_HANDLER: 0
; COMPUTE_PGM_RSRC2:TGID_X_EN: 1
; COMPUTE_PGM_RSRC2:TGID_Y_EN: 1
; COMPUTE_PGM_RSRC2:TGID_Z_EN: 1
; COMPUTE_PGM_RSRC2:TIDIG_COMP_CNT: 1
	.section	.text._ZL41rocblas_syrkx_herkx_small_restrict_kernelIl19rocblas_complex_numIfELi16ELb0ELb1ELc84ELc85EKPKS1_KPS1_EviT_T0_PT6_S7_lSA_S7_lS8_PT7_S7_li,"axG",@progbits,_ZL41rocblas_syrkx_herkx_small_restrict_kernelIl19rocblas_complex_numIfELi16ELb0ELb1ELc84ELc85EKPKS1_KPS1_EviT_T0_PT6_S7_lSA_S7_lS8_PT7_S7_li,comdat
	.globl	_ZL41rocblas_syrkx_herkx_small_restrict_kernelIl19rocblas_complex_numIfELi16ELb0ELb1ELc84ELc85EKPKS1_KPS1_EviT_T0_PT6_S7_lSA_S7_lS8_PT7_S7_li ; -- Begin function _ZL41rocblas_syrkx_herkx_small_restrict_kernelIl19rocblas_complex_numIfELi16ELb0ELb1ELc84ELc85EKPKS1_KPS1_EviT_T0_PT6_S7_lSA_S7_lS8_PT7_S7_li
	.p2align	8
	.type	_ZL41rocblas_syrkx_herkx_small_restrict_kernelIl19rocblas_complex_numIfELi16ELb0ELb1ELc84ELc85EKPKS1_KPS1_EviT_T0_PT6_S7_lSA_S7_lS8_PT7_S7_li,@function
_ZL41rocblas_syrkx_herkx_small_restrict_kernelIl19rocblas_complex_numIfELi16ELb0ELb1ELc84ELc85EKPKS1_KPS1_EviT_T0_PT6_S7_lSA_S7_lS8_PT7_S7_li: ; @_ZL41rocblas_syrkx_herkx_small_restrict_kernelIl19rocblas_complex_numIfELi16ELb0ELb1ELc84ELc85EKPKS1_KPS1_EviT_T0_PT6_S7_lSA_S7_lS8_PT7_S7_li
; %bb.0:
	s_clause 0x1
	s_load_b128 s[16:19], s[0:1], 0x48
	s_load_b256 s[4:11], s[0:1], 0x8
	s_mov_b32 s2, s15
	s_mov_b32 s3, 0
	v_dual_mov_b32 v13, 0 :: v_dual_and_b32 v2, 0x3ff, v0
	s_lshl_b64 s[20:21], s[2:3], 3
	v_bfe_u32 v3, v0, 10, 10
	v_mov_b32_e32 v12, 0
	s_delay_alu instid0(VALU_DEP_3) | instskip(NEXT) | instid1(VALU_DEP_3)
	v_lshl_add_u32 v0, s13, 4, v2
	v_lshl_add_u32 v6, s14, 4, v3
	s_delay_alu instid0(VALU_DEP_2) | instskip(NEXT) | instid1(VALU_DEP_2)
	v_ashrrev_i32_e32 v1, 31, v0
	v_ashrrev_i32_e32 v7, 31, v6
	s_waitcnt lgkmcnt(0)
	s_add_u32 s2, s18, s20
	s_addc_u32 s3, s19, s21
	s_load_b64 s[18:19], s[0:1], 0x58
	s_load_b64 s[2:3], s[2:3], 0x0
	v_cmp_lt_i64_e64 s12, s[4:5], 1
	s_delay_alu instid0(VALU_DEP_1)
	s_and_b32 vcc_lo, exec_lo, s12
	s_cbranch_vccnz .LBB1741_3
; %bb.1:
	s_load_b128 s[12:15], s[0:1], 0x30
	v_mul_lo_u32 v10, v0, s11
	v_mul_lo_u32 v11, v1, s10
	v_mad_u64_u32 v[4:5], null, v0, s10, 0
	v_lshlrev_b32_e32 v8, 3, v2
	v_lshlrev_b32_e32 v17, 3, v3
	v_lshlrev_b32_e32 v16, 7, v3
	s_delay_alu instid0(VALU_DEP_4) | instskip(NEXT) | instid1(VALU_DEP_1)
	v_add3_u32 v5, v5, v10, v11
	v_lshlrev_b64 v[4:5], 3, v[4:5]
	s_waitcnt lgkmcnt(0)
	s_add_u32 s0, s12, s20
	s_addc_u32 s1, s13, s21
	s_add_u32 s8, s8, s20
	s_load_b64 s[0:1], s[0:1], 0x0
	s_addc_u32 s9, s9, s21
	v_mul_lo_u32 v12, v6, s15
	s_load_b64 s[8:9], s[8:9], 0x0
	v_mul_lo_u32 v15, v7, s14
	v_mad_u64_u32 v[13:14], null, v6, s14, 0
	s_delay_alu instid0(VALU_DEP_1) | instskip(SKIP_1) | instid1(VALU_DEP_2)
	v_add3_u32 v14, v14, v12, v15
	v_mov_b32_e32 v12, 0
	v_lshlrev_b64 v[2:3], 3, v[13:14]
	s_waitcnt lgkmcnt(0)
	v_add_co_u32 v13, s0, s0, v8
	s_delay_alu instid0(VALU_DEP_1) | instskip(SKIP_1) | instid1(VALU_DEP_3)
	v_add_co_ci_u32_e64 v14, null, s1, 0, s0
	v_add_co_u32 v15, s0, s8, v17
	v_add_co_u32 v2, vcc_lo, v13, v2
	v_mov_b32_e32 v13, 0
	v_add_nc_u32_e32 v9, 0x800, v16
	v_add_nc_u32_e32 v10, v8, v16
	v_add_co_ci_u32_e64 v16, null, s9, 0, s0
	v_add_co_ci_u32_e32 v3, vcc_lo, v14, v3, vcc_lo
	v_add_co_u32 v4, vcc_lo, v15, v4
	v_add_nc_u32_e32 v11, v9, v8
	s_delay_alu instid0(VALU_DEP_4)
	v_add_co_ci_u32_e32 v5, vcc_lo, v16, v5, vcc_lo
	s_mov_b64 s[0:1], 0
.LBB1741_2:                             ; =>This Inner Loop Header: Depth=1
	global_load_b64 v[14:15], v[4:5], off
	global_load_b64 v[16:17], v[2:3], off
	s_add_u32 s0, s0, 16
	v_add_co_u32 v2, vcc_lo, 0x80, v2
	s_addc_u32 s1, s1, 0
	v_add_co_ci_u32_e32 v3, vcc_lo, 0, v3, vcc_lo
	v_cmp_lt_i64_e64 s8, s[0:1], s[4:5]
	v_add_co_u32 v4, vcc_lo, 0x80, v4
	v_add_co_ci_u32_e32 v5, vcc_lo, 0, v5, vcc_lo
	s_waitcnt vmcnt(1)
	ds_store_b64 v10, v[14:15]
	s_waitcnt vmcnt(0)
	ds_store_b64 v11, v[16:17]
	s_waitcnt lgkmcnt(0)
	s_barrier
	buffer_gl0_inv
	ds_load_2addr_b64 v[14:17], v8 offset1:16
	ds_load_b128 v[18:21], v9
	ds_load_b128 v[22:25], v9 offset:16
	ds_load_2addr_b64 v[26:29], v8 offset0:32 offset1:48
	ds_load_2addr_b64 v[30:33], v8 offset0:64 offset1:80
	ds_load_b128 v[34:37], v9 offset:32
	ds_load_b128 v[38:41], v9 offset:48
	ds_load_2addr_b64 v[42:45], v8 offset0:96 offset1:112
	ds_load_2addr_b64 v[46:49], v8 offset0:128 offset1:144
	ds_load_2addr_b64 v[50:53], v8 offset0:160 offset1:176
	ds_load_b128 v[54:57], v9 offset:64
	ds_load_b128 v[58:61], v9 offset:80
	ds_load_2addr_b64 v[62:65], v8 offset0:192 offset1:208
	ds_load_2addr_b64 v[66:69], v8 offset0:224 offset1:240
	ds_load_b128 v[70:73], v9 offset:96
	ds_load_b128 v[74:77], v9 offset:112
	s_and_b32 vcc_lo, exec_lo, s8
	s_waitcnt lgkmcnt(0)
	s_barrier
	buffer_gl0_inv
	v_dual_mul_f32 v78, v19, v15 :: v_dual_mul_f32 v79, v21, v17
	v_mul_f32_e32 v15, v18, v15
	v_dual_mul_f32 v17, v20, v17 :: v_dual_mul_f32 v80, v23, v27
	v_mul_f32_e32 v27, v22, v27
	s_delay_alu instid0(VALU_DEP_4) | instskip(SKIP_1) | instid1(VALU_DEP_4)
	v_fma_f32 v18, v18, v14, -v78
	v_dual_mul_f32 v81, v25, v29 :: v_dual_mul_f32 v82, v35, v31
	v_fmac_f32_e32 v17, v21, v16
	s_delay_alu instid0(VALU_DEP_4) | instskip(SKIP_4) | instid1(VALU_DEP_4)
	v_fmac_f32_e32 v27, v23, v26
	v_fmac_f32_e32 v15, v19, v14
	v_mul_f32_e32 v85, v41, v45
	v_dual_mul_f32 v29, v24, v29 :: v_dual_mul_f32 v84, v39, v43
	v_mul_f32_e32 v45, v40, v45
	v_add_f32_e32 v12, v12, v15
	v_mul_f32_e32 v31, v34, v31
	v_dual_add_f32 v13, v13, v18 :: v_dual_mul_f32 v18, v74, v67
	v_mul_f32_e32 v19, v56, v49
	s_delay_alu instid0(VALU_DEP_4) | instskip(SKIP_1) | instid1(VALU_DEP_3)
	v_add_f32_e32 v12, v12, v17
	v_dual_mul_f32 v83, v37, v33 :: v_dual_mul_f32 v86, v55, v47
	v_dual_fmac_f32 v18, v75, v66 :: v_dual_fmac_f32 v19, v57, v48
	s_delay_alu instid0(VALU_DEP_3) | instskip(SKIP_3) | instid1(VALU_DEP_4)
	v_dual_fmac_f32 v29, v25, v28 :: v_dual_add_f32 v12, v12, v27
	v_mul_f32_e32 v33, v36, v33
	v_mul_f32_e32 v47, v54, v47
	v_fmac_f32_e32 v31, v35, v30
	v_dual_mul_f32 v43, v38, v43 :: v_dual_add_f32 v12, v12, v29
	v_fma_f32 v14, v20, v16, -v79
	v_dual_mul_f32 v20, v59, v51 :: v_dual_fmac_f32 v33, v37, v32
	v_mul_f32_e32 v16, v57, v49
	s_delay_alu instid0(VALU_DEP_4) | instskip(SKIP_3) | instid1(VALU_DEP_4)
	v_add_f32_e32 v12, v12, v31
	v_mul_f32_e32 v21, v58, v51
	v_add_f32_e32 v13, v13, v14
	v_dual_mul_f32 v14, v77, v69 :: v_dual_fmac_f32 v43, v39, v42
	v_add_f32_e32 v12, v12, v33
	v_mul_f32_e32 v49, v61, v53
	v_fmac_f32_e32 v45, v41, v44
	v_mul_f32_e32 v51, v60, v53
	s_delay_alu instid0(VALU_DEP_4) | instskip(SKIP_2) | instid1(VALU_DEP_4)
	v_dual_fmac_f32 v47, v55, v46 :: v_dual_add_f32 v12, v12, v43
	v_mul_f32_e32 v53, v71, v63
	v_fmac_f32_e32 v21, v59, v50
	v_fmac_f32_e32 v51, v61, v52
	v_mul_f32_e32 v25, v72, v65
	v_add_f32_e32 v12, v12, v45
	v_fma_f32 v22, v22, v26, -v80
	v_mul_f32_e32 v17, v76, v69
	v_fma_f32 v23, v24, v28, -v81
	s_delay_alu instid0(VALU_DEP_4) | instskip(SKIP_1) | instid1(VALU_DEP_4)
	v_dual_fmac_f32 v25, v73, v64 :: v_dual_add_f32 v12, v12, v47
	v_fma_f32 v16, v56, v48, -v16
	v_fmac_f32_e32 v17, v77, v68
	v_fma_f32 v20, v58, v50, -v20
	v_mul_f32_e32 v24, v73, v65
	v_add_f32_e32 v12, v12, v19
	v_mul_f32_e32 v63, v70, v63
	v_fma_f32 v19, v70, v62, -v53
	v_fma_f32 v14, v76, v68, -v14
	s_delay_alu instid0(VALU_DEP_3) | instskip(NEXT) | instid1(VALU_DEP_1)
	v_dual_add_f32 v12, v12, v21 :: v_dual_fmac_f32 v63, v71, v62
	v_add_f32_e32 v12, v12, v51
	s_delay_alu instid0(VALU_DEP_1) | instskip(NEXT) | instid1(VALU_DEP_1)
	v_add_f32_e32 v12, v12, v63
	v_dual_mul_f32 v15, v75, v67 :: v_dual_add_f32 v12, v12, v25
	s_delay_alu instid0(VALU_DEP_1) | instskip(NEXT) | instid1(VALU_DEP_2)
	v_fma_f32 v15, v74, v66, -v15
	v_add_f32_e32 v12, v12, v18
	v_add_f32_e32 v13, v13, v22
	v_fma_f32 v22, v34, v30, -v82
	s_delay_alu instid0(VALU_DEP_2) | instskip(SKIP_1) | instid1(VALU_DEP_2)
	v_dual_add_f32 v12, v12, v17 :: v_dual_add_f32 v13, v13, v23
	v_fma_f32 v23, v36, v32, -v83
	v_add_f32_e32 v13, v13, v22
	v_fma_f32 v22, v38, v42, -v84
	s_delay_alu instid0(VALU_DEP_2) | instskip(SKIP_1) | instid1(VALU_DEP_2)
	v_add_f32_e32 v13, v13, v23
	v_fma_f32 v23, v40, v44, -v85
	v_add_f32_e32 v13, v13, v22
	v_fma_f32 v22, v54, v46, -v86
	s_delay_alu instid0(VALU_DEP_2) | instskip(NEXT) | instid1(VALU_DEP_1)
	v_add_f32_e32 v13, v13, v23
	v_add_f32_e32 v13, v13, v22
	s_delay_alu instid0(VALU_DEP_1) | instskip(SKIP_1) | instid1(VALU_DEP_2)
	v_add_f32_e32 v13, v13, v16
	v_fma_f32 v16, v60, v52, -v49
	v_add_f32_e32 v13, v13, v20
	s_delay_alu instid0(VALU_DEP_1) | instskip(SKIP_1) | instid1(VALU_DEP_2)
	v_add_f32_e32 v13, v13, v16
	v_fma_f32 v16, v72, v64, -v24
	v_add_f32_e32 v13, v13, v19
	s_delay_alu instid0(VALU_DEP_1) | instskip(NEXT) | instid1(VALU_DEP_1)
	v_add_f32_e32 v13, v13, v16
	v_add_f32_e32 v13, v13, v15
	s_delay_alu instid0(VALU_DEP_1)
	v_add_f32_e32 v13, v13, v14
	s_cbranch_vccnz .LBB1741_2
.LBB1741_3:
	s_mov_b32 s0, exec_lo
	v_cmpx_le_i32_e64 v0, v6
	s_cbranch_execz .LBB1741_6
; %bb.4:
	s_waitcnt lgkmcnt(0)
	v_mul_lo_u32 v4, v6, s19
	v_mul_lo_u32 v5, v7, s18
	v_mad_u64_u32 v[2:3], null, v6, s18, 0
	v_mul_f32_e32 v7, s6, v12
	s_delay_alu instid0(VALU_DEP_1) | instskip(NEXT) | instid1(VALU_DEP_3)
	v_fmac_f32_e32 v7, s7, v13
	v_add3_u32 v3, v3, v4, v5
	v_lshlrev_b64 v[4:5], 3, v[0:1]
	s_delay_alu instid0(VALU_DEP_2) | instskip(NEXT) | instid1(VALU_DEP_1)
	v_lshlrev_b64 v[2:3], 3, v[2:3]
	v_add_co_u32 v1, vcc_lo, s2, v2
	s_delay_alu instid0(VALU_DEP_2) | instskip(NEXT) | instid1(VALU_DEP_2)
	v_add_co_ci_u32_e32 v2, vcc_lo, s3, v3, vcc_lo
	v_add_co_u32 v1, vcc_lo, v1, v4
	s_delay_alu instid0(VALU_DEP_2)
	v_add_co_ci_u32_e32 v2, vcc_lo, v2, v5, vcc_lo
	v_cmp_eq_u32_e32 vcc_lo, v0, v6
	global_load_b64 v[3:4], v[1:2], off
	s_waitcnt vmcnt(0)
	v_mul_f32_e32 v8, s17, v4
	v_mul_f32_e32 v4, s16, v4
	;; [unrolled: 1-line block ×3, first 2 shown]
	s_delay_alu instid0(VALU_DEP_3) | instskip(NEXT) | instid1(VALU_DEP_3)
	v_fma_f32 v8, v3, s16, -v8
	v_fmac_f32_e32 v4, s17, v3
	s_delay_alu instid0(VALU_DEP_3) | instskip(NEXT) | instid1(VALU_DEP_2)
	v_fma_f32 v5, v13, s6, -v5
	v_add_f32_e32 v4, v7, v4
	s_delay_alu instid0(VALU_DEP_2)
	v_add_f32_e32 v3, v5, v8
	global_store_b64 v[1:2], v[3:4], off
	s_and_b32 exec_lo, exec_lo, vcc_lo
	s_cbranch_execz .LBB1741_6
; %bb.5:
	v_mov_b32_e32 v0, 0
	global_store_b32 v[1:2], v0, off offset:4
.LBB1741_6:
	s_nop 0
	s_sendmsg sendmsg(MSG_DEALLOC_VGPRS)
	s_endpgm
	.section	.rodata,"a",@progbits
	.p2align	6, 0x0
	.amdhsa_kernel _ZL41rocblas_syrkx_herkx_small_restrict_kernelIl19rocblas_complex_numIfELi16ELb0ELb1ELc84ELc85EKPKS1_KPS1_EviT_T0_PT6_S7_lSA_S7_lS8_PT7_S7_li
		.amdhsa_group_segment_fixed_size 4096
		.amdhsa_private_segment_fixed_size 0
		.amdhsa_kernarg_size 108
		.amdhsa_user_sgpr_count 13
		.amdhsa_user_sgpr_dispatch_ptr 0
		.amdhsa_user_sgpr_queue_ptr 0
		.amdhsa_user_sgpr_kernarg_segment_ptr 1
		.amdhsa_user_sgpr_dispatch_id 0
		.amdhsa_user_sgpr_private_segment_size 0
		.amdhsa_wavefront_size32 1
		.amdhsa_uses_dynamic_stack 0
		.amdhsa_enable_private_segment 0
		.amdhsa_system_sgpr_workgroup_id_x 1
		.amdhsa_system_sgpr_workgroup_id_y 1
		.amdhsa_system_sgpr_workgroup_id_z 1
		.amdhsa_system_sgpr_workgroup_info 0
		.amdhsa_system_vgpr_workitem_id 1
		.amdhsa_next_free_vgpr 87
		.amdhsa_next_free_sgpr 22
		.amdhsa_reserve_vcc 1
		.amdhsa_float_round_mode_32 0
		.amdhsa_float_round_mode_16_64 0
		.amdhsa_float_denorm_mode_32 3
		.amdhsa_float_denorm_mode_16_64 3
		.amdhsa_dx10_clamp 1
		.amdhsa_ieee_mode 1
		.amdhsa_fp16_overflow 0
		.amdhsa_workgroup_processor_mode 1
		.amdhsa_memory_ordered 1
		.amdhsa_forward_progress 0
		.amdhsa_shared_vgpr_count 0
		.amdhsa_exception_fp_ieee_invalid_op 0
		.amdhsa_exception_fp_denorm_src 0
		.amdhsa_exception_fp_ieee_div_zero 0
		.amdhsa_exception_fp_ieee_overflow 0
		.amdhsa_exception_fp_ieee_underflow 0
		.amdhsa_exception_fp_ieee_inexact 0
		.amdhsa_exception_int_div_zero 0
	.end_amdhsa_kernel
	.section	.text._ZL41rocblas_syrkx_herkx_small_restrict_kernelIl19rocblas_complex_numIfELi16ELb0ELb1ELc84ELc85EKPKS1_KPS1_EviT_T0_PT6_S7_lSA_S7_lS8_PT7_S7_li,"axG",@progbits,_ZL41rocblas_syrkx_herkx_small_restrict_kernelIl19rocblas_complex_numIfELi16ELb0ELb1ELc84ELc85EKPKS1_KPS1_EviT_T0_PT6_S7_lSA_S7_lS8_PT7_S7_li,comdat
.Lfunc_end1741:
	.size	_ZL41rocblas_syrkx_herkx_small_restrict_kernelIl19rocblas_complex_numIfELi16ELb0ELb1ELc84ELc85EKPKS1_KPS1_EviT_T0_PT6_S7_lSA_S7_lS8_PT7_S7_li, .Lfunc_end1741-_ZL41rocblas_syrkx_herkx_small_restrict_kernelIl19rocblas_complex_numIfELi16ELb0ELb1ELc84ELc85EKPKS1_KPS1_EviT_T0_PT6_S7_lSA_S7_lS8_PT7_S7_li
                                        ; -- End function
	.section	.AMDGPU.csdata,"",@progbits
; Kernel info:
; codeLenInByte = 1372
; NumSgprs: 24
; NumVgprs: 87
; ScratchSize: 0
; MemoryBound: 0
; FloatMode: 240
; IeeeMode: 1
; LDSByteSize: 4096 bytes/workgroup (compile time only)
; SGPRBlocks: 2
; VGPRBlocks: 10
; NumSGPRsForWavesPerEU: 24
; NumVGPRsForWavesPerEU: 87
; Occupancy: 16
; WaveLimiterHint : 1
; COMPUTE_PGM_RSRC2:SCRATCH_EN: 0
; COMPUTE_PGM_RSRC2:USER_SGPR: 13
; COMPUTE_PGM_RSRC2:TRAP_HANDLER: 0
; COMPUTE_PGM_RSRC2:TGID_X_EN: 1
; COMPUTE_PGM_RSRC2:TGID_Y_EN: 1
; COMPUTE_PGM_RSRC2:TGID_Z_EN: 1
; COMPUTE_PGM_RSRC2:TIDIG_COMP_CNT: 1
	.section	.text._ZL41rocblas_syrkx_herkx_small_restrict_kernelIl19rocblas_complex_numIfELi16ELb0ELb1ELc67ELc85EKPKS1_KPS1_EviT_T0_PT6_S7_lSA_S7_lS8_PT7_S7_li,"axG",@progbits,_ZL41rocblas_syrkx_herkx_small_restrict_kernelIl19rocblas_complex_numIfELi16ELb0ELb1ELc67ELc85EKPKS1_KPS1_EviT_T0_PT6_S7_lSA_S7_lS8_PT7_S7_li,comdat
	.globl	_ZL41rocblas_syrkx_herkx_small_restrict_kernelIl19rocblas_complex_numIfELi16ELb0ELb1ELc67ELc85EKPKS1_KPS1_EviT_T0_PT6_S7_lSA_S7_lS8_PT7_S7_li ; -- Begin function _ZL41rocblas_syrkx_herkx_small_restrict_kernelIl19rocblas_complex_numIfELi16ELb0ELb1ELc67ELc85EKPKS1_KPS1_EviT_T0_PT6_S7_lSA_S7_lS8_PT7_S7_li
	.p2align	8
	.type	_ZL41rocblas_syrkx_herkx_small_restrict_kernelIl19rocblas_complex_numIfELi16ELb0ELb1ELc67ELc85EKPKS1_KPS1_EviT_T0_PT6_S7_lSA_S7_lS8_PT7_S7_li,@function
_ZL41rocblas_syrkx_herkx_small_restrict_kernelIl19rocblas_complex_numIfELi16ELb0ELb1ELc67ELc85EKPKS1_KPS1_EviT_T0_PT6_S7_lSA_S7_lS8_PT7_S7_li: ; @_ZL41rocblas_syrkx_herkx_small_restrict_kernelIl19rocblas_complex_numIfELi16ELb0ELb1ELc67ELc85EKPKS1_KPS1_EviT_T0_PT6_S7_lSA_S7_lS8_PT7_S7_li
; %bb.0:
	s_clause 0x1
	s_load_b128 s[16:19], s[0:1], 0x48
	s_load_b256 s[4:11], s[0:1], 0x8
	s_mov_b32 s2, s15
	s_mov_b32 s3, 0
	v_dual_mov_b32 v12, 0 :: v_dual_and_b32 v3, 0x3ff, v0
	s_lshl_b64 s[20:21], s[2:3], 3
	v_bfe_u32 v2, v0, 10, 10
	v_mov_b32_e32 v13, 0
	s_delay_alu instid0(VALU_DEP_3) | instskip(NEXT) | instid1(VALU_DEP_3)
	v_lshl_add_u32 v0, s13, 4, v3
	v_lshl_add_u32 v6, s14, 4, v2
	s_delay_alu instid0(VALU_DEP_2) | instskip(NEXT) | instid1(VALU_DEP_2)
	v_ashrrev_i32_e32 v1, 31, v0
	v_ashrrev_i32_e32 v7, 31, v6
	s_waitcnt lgkmcnt(0)
	s_add_u32 s2, s18, s20
	s_addc_u32 s3, s19, s21
	s_load_b64 s[18:19], s[0:1], 0x58
	s_load_b64 s[2:3], s[2:3], 0x0
	v_cmp_lt_i64_e64 s12, s[4:5], 1
	s_delay_alu instid0(VALU_DEP_1)
	s_and_b32 vcc_lo, exec_lo, s12
	s_cbranch_vccnz .LBB1742_3
; %bb.1:
	s_load_b128 s[12:15], s[0:1], 0x30
	v_mul_lo_u32 v8, s11, v0
	v_mul_lo_u32 v9, s10, v1
	v_mad_u64_u32 v[4:5], null, s10, v0, 0
	v_lshlrev_b32_e32 v10, 7, v2
	v_dual_mov_b32 v12, 0 :: v_dual_lshlrev_b32 v17, 3, v2
	s_delay_alu instid0(VALU_DEP_3) | instskip(SKIP_1) | instid1(VALU_DEP_2)
	v_add3_u32 v5, v5, v9, v8
	v_lshlrev_b32_e32 v8, 3, v3
	v_lshlrev_b64 v[2:3], 3, v[4:5]
	s_waitcnt lgkmcnt(0)
	s_add_u32 s0, s12, s20
	s_addc_u32 s1, s13, s21
	s_add_u32 s8, s8, s20
	s_load_b64 s[0:1], s[0:1], 0x0
	s_addc_u32 s9, s9, s21
	v_mul_lo_u32 v15, v6, s15
	s_load_b64 s[8:9], s[8:9], 0x0
	v_mul_lo_u32 v16, v7, s14
	v_mad_u64_u32 v[13:14], null, v6, s14, 0
	v_add_co_u32 v4, vcc_lo, v2, v17
	v_add_co_ci_u32_e32 v5, vcc_lo, 0, v3, vcc_lo
	s_delay_alu instid0(VALU_DEP_3) | instskip(NEXT) | instid1(VALU_DEP_1)
	v_add3_u32 v14, v14, v15, v16
	v_lshlrev_b64 v[2:3], 3, v[13:14]
	s_waitcnt lgkmcnt(0)
	v_add_co_u32 v13, s0, s0, v8
	s_delay_alu instid0(VALU_DEP_1) | instskip(SKIP_2) | instid1(VALU_DEP_4)
	v_add_co_ci_u32_e64 v14, null, s1, 0, s0
	v_add_co_u32 v4, vcc_lo, v4, s8
	v_add_co_ci_u32_e32 v5, vcc_lo, s9, v5, vcc_lo
	v_add_co_u32 v2, vcc_lo, v13, v2
	v_mov_b32_e32 v13, 0
	v_add_nc_u32_e32 v9, 0x800, v10
	v_add_co_ci_u32_e32 v3, vcc_lo, v14, v3, vcc_lo
	v_add_co_u32 v4, vcc_lo, v4, 4
	v_add_nc_u32_e32 v10, v8, v10
	s_delay_alu instid0(VALU_DEP_4)
	v_add_nc_u32_e32 v11, v9, v8
	v_add_co_ci_u32_e32 v5, vcc_lo, 0, v5, vcc_lo
	s_mov_b64 s[0:1], 0
.LBB1742_2:                             ; =>This Inner Loop Header: Depth=1
	global_load_b64 v[14:15], v[4:5], off offset:-4
	global_load_b64 v[16:17], v[2:3], off
	s_add_u32 s0, s0, 16
	v_add_co_u32 v2, vcc_lo, 0x80, v2
	s_addc_u32 s1, s1, 0
	v_add_co_ci_u32_e32 v3, vcc_lo, 0, v3, vcc_lo
	v_cmp_lt_i64_e64 s8, s[0:1], s[4:5]
	v_add_co_u32 v4, vcc_lo, 0x80, v4
	v_add_co_ci_u32_e32 v5, vcc_lo, 0, v5, vcc_lo
	s_delay_alu instid0(VALU_DEP_3)
	s_and_b32 vcc_lo, exec_lo, s8
	s_waitcnt vmcnt(1)
	v_xor_b32_e32 v15, 0x80000000, v15
	ds_store_b64 v10, v[14:15]
	s_waitcnt vmcnt(0)
	ds_store_b64 v11, v[16:17]
	s_waitcnt lgkmcnt(0)
	s_barrier
	buffer_gl0_inv
	ds_load_2addr_b64 v[14:17], v8 offset1:16
	ds_load_b128 v[18:21], v9
	ds_load_b128 v[22:25], v9 offset:16
	ds_load_2addr_b64 v[26:29], v8 offset0:32 offset1:48
	ds_load_2addr_b64 v[30:33], v8 offset0:64 offset1:80
	ds_load_b128 v[34:37], v9 offset:32
	ds_load_b128 v[38:41], v9 offset:48
	ds_load_2addr_b64 v[42:45], v8 offset0:96 offset1:112
	ds_load_2addr_b64 v[46:49], v8 offset0:128 offset1:144
	;; [unrolled: 1-line block ×3, first 2 shown]
	ds_load_b128 v[54:57], v9 offset:64
	ds_load_b128 v[58:61], v9 offset:80
	ds_load_2addr_b64 v[62:65], v8 offset0:192 offset1:208
	ds_load_2addr_b64 v[66:69], v8 offset0:224 offset1:240
	ds_load_b128 v[70:73], v9 offset:96
	ds_load_b128 v[74:77], v9 offset:112
	s_waitcnt lgkmcnt(0)
	s_barrier
	buffer_gl0_inv
	v_dual_mul_f32 v78, v19, v15 :: v_dual_mul_f32 v79, v21, v17
	v_mul_f32_e32 v15, v18, v15
	v_dual_mul_f32 v17, v20, v17 :: v_dual_mul_f32 v80, v23, v27
	v_mul_f32_e32 v27, v22, v27
	s_delay_alu instid0(VALU_DEP_4) | instskip(SKIP_1) | instid1(VALU_DEP_4)
	v_fma_f32 v18, v18, v14, -v78
	v_dual_mul_f32 v81, v25, v29 :: v_dual_mul_f32 v82, v35, v31
	v_fmac_f32_e32 v17, v21, v16
	s_delay_alu instid0(VALU_DEP_4) | instskip(SKIP_4) | instid1(VALU_DEP_4)
	v_fmac_f32_e32 v27, v23, v26
	v_fmac_f32_e32 v15, v19, v14
	v_mul_f32_e32 v85, v41, v45
	v_dual_mul_f32 v29, v24, v29 :: v_dual_mul_f32 v84, v39, v43
	v_mul_f32_e32 v45, v40, v45
	v_add_f32_e32 v12, v12, v15
	v_mul_f32_e32 v31, v34, v31
	v_dual_add_f32 v13, v13, v18 :: v_dual_mul_f32 v18, v74, v67
	v_mul_f32_e32 v19, v56, v49
	s_delay_alu instid0(VALU_DEP_4) | instskip(SKIP_1) | instid1(VALU_DEP_3)
	v_add_f32_e32 v12, v12, v17
	v_dual_mul_f32 v83, v37, v33 :: v_dual_mul_f32 v86, v55, v47
	v_dual_fmac_f32 v18, v75, v66 :: v_dual_fmac_f32 v19, v57, v48
	s_delay_alu instid0(VALU_DEP_3) | instskip(SKIP_3) | instid1(VALU_DEP_4)
	v_dual_fmac_f32 v29, v25, v28 :: v_dual_add_f32 v12, v12, v27
	v_mul_f32_e32 v33, v36, v33
	v_mul_f32_e32 v47, v54, v47
	v_fmac_f32_e32 v31, v35, v30
	v_dual_mul_f32 v43, v38, v43 :: v_dual_add_f32 v12, v12, v29
	v_fma_f32 v14, v20, v16, -v79
	v_dual_mul_f32 v20, v59, v51 :: v_dual_fmac_f32 v33, v37, v32
	v_mul_f32_e32 v16, v57, v49
	s_delay_alu instid0(VALU_DEP_4) | instskip(SKIP_3) | instid1(VALU_DEP_4)
	v_add_f32_e32 v12, v12, v31
	v_mul_f32_e32 v21, v58, v51
	v_add_f32_e32 v13, v13, v14
	v_dual_mul_f32 v14, v77, v69 :: v_dual_fmac_f32 v43, v39, v42
	v_add_f32_e32 v12, v12, v33
	v_mul_f32_e32 v49, v61, v53
	v_fmac_f32_e32 v45, v41, v44
	v_mul_f32_e32 v51, v60, v53
	s_delay_alu instid0(VALU_DEP_4) | instskip(SKIP_2) | instid1(VALU_DEP_4)
	v_dual_fmac_f32 v47, v55, v46 :: v_dual_add_f32 v12, v12, v43
	v_mul_f32_e32 v53, v71, v63
	v_fmac_f32_e32 v21, v59, v50
	v_fmac_f32_e32 v51, v61, v52
	v_mul_f32_e32 v25, v72, v65
	v_add_f32_e32 v12, v12, v45
	v_fma_f32 v22, v22, v26, -v80
	v_mul_f32_e32 v17, v76, v69
	v_fma_f32 v23, v24, v28, -v81
	s_delay_alu instid0(VALU_DEP_4) | instskip(SKIP_1) | instid1(VALU_DEP_4)
	v_dual_fmac_f32 v25, v73, v64 :: v_dual_add_f32 v12, v12, v47
	v_fma_f32 v16, v56, v48, -v16
	v_fmac_f32_e32 v17, v77, v68
	v_fma_f32 v20, v58, v50, -v20
	v_mul_f32_e32 v24, v73, v65
	v_add_f32_e32 v12, v12, v19
	v_mul_f32_e32 v63, v70, v63
	v_fma_f32 v19, v70, v62, -v53
	v_fma_f32 v14, v76, v68, -v14
	s_delay_alu instid0(VALU_DEP_3) | instskip(NEXT) | instid1(VALU_DEP_1)
	v_dual_add_f32 v12, v12, v21 :: v_dual_fmac_f32 v63, v71, v62
	v_add_f32_e32 v12, v12, v51
	s_delay_alu instid0(VALU_DEP_1) | instskip(NEXT) | instid1(VALU_DEP_1)
	v_add_f32_e32 v12, v12, v63
	v_dual_mul_f32 v15, v75, v67 :: v_dual_add_f32 v12, v12, v25
	s_delay_alu instid0(VALU_DEP_1) | instskip(NEXT) | instid1(VALU_DEP_2)
	v_fma_f32 v15, v74, v66, -v15
	v_add_f32_e32 v12, v12, v18
	v_add_f32_e32 v13, v13, v22
	v_fma_f32 v22, v34, v30, -v82
	s_delay_alu instid0(VALU_DEP_2) | instskip(SKIP_1) | instid1(VALU_DEP_2)
	v_dual_add_f32 v12, v12, v17 :: v_dual_add_f32 v13, v13, v23
	v_fma_f32 v23, v36, v32, -v83
	v_add_f32_e32 v13, v13, v22
	v_fma_f32 v22, v38, v42, -v84
	s_delay_alu instid0(VALU_DEP_2) | instskip(SKIP_1) | instid1(VALU_DEP_2)
	v_add_f32_e32 v13, v13, v23
	v_fma_f32 v23, v40, v44, -v85
	v_add_f32_e32 v13, v13, v22
	v_fma_f32 v22, v54, v46, -v86
	s_delay_alu instid0(VALU_DEP_2) | instskip(NEXT) | instid1(VALU_DEP_1)
	v_add_f32_e32 v13, v13, v23
	v_add_f32_e32 v13, v13, v22
	s_delay_alu instid0(VALU_DEP_1) | instskip(SKIP_1) | instid1(VALU_DEP_2)
	v_add_f32_e32 v13, v13, v16
	v_fma_f32 v16, v60, v52, -v49
	v_add_f32_e32 v13, v13, v20
	s_delay_alu instid0(VALU_DEP_1) | instskip(SKIP_1) | instid1(VALU_DEP_2)
	v_add_f32_e32 v13, v13, v16
	v_fma_f32 v16, v72, v64, -v24
	v_add_f32_e32 v13, v13, v19
	s_delay_alu instid0(VALU_DEP_1) | instskip(NEXT) | instid1(VALU_DEP_1)
	v_add_f32_e32 v13, v13, v16
	v_add_f32_e32 v13, v13, v15
	s_delay_alu instid0(VALU_DEP_1)
	v_add_f32_e32 v13, v13, v14
	s_cbranch_vccnz .LBB1742_2
.LBB1742_3:
	s_mov_b32 s0, exec_lo
	v_cmpx_le_i32_e64 v0, v6
	s_cbranch_execz .LBB1742_6
; %bb.4:
	s_waitcnt lgkmcnt(0)
	v_mul_lo_u32 v4, v6, s19
	v_mul_lo_u32 v5, v7, s18
	v_mad_u64_u32 v[2:3], null, v6, s18, 0
	v_mul_f32_e32 v7, s6, v12
	s_delay_alu instid0(VALU_DEP_1) | instskip(NEXT) | instid1(VALU_DEP_3)
	v_fmac_f32_e32 v7, s7, v13
	v_add3_u32 v3, v3, v4, v5
	v_lshlrev_b64 v[4:5], 3, v[0:1]
	s_delay_alu instid0(VALU_DEP_2) | instskip(NEXT) | instid1(VALU_DEP_1)
	v_lshlrev_b64 v[2:3], 3, v[2:3]
	v_add_co_u32 v1, vcc_lo, s2, v2
	s_delay_alu instid0(VALU_DEP_2) | instskip(NEXT) | instid1(VALU_DEP_2)
	v_add_co_ci_u32_e32 v2, vcc_lo, s3, v3, vcc_lo
	v_add_co_u32 v1, vcc_lo, v1, v4
	s_delay_alu instid0(VALU_DEP_2)
	v_add_co_ci_u32_e32 v2, vcc_lo, v2, v5, vcc_lo
	v_cmp_eq_u32_e32 vcc_lo, v0, v6
	global_load_b64 v[3:4], v[1:2], off
	s_waitcnt vmcnt(0)
	v_mul_f32_e32 v8, s17, v4
	v_mul_f32_e32 v4, s16, v4
	;; [unrolled: 1-line block ×3, first 2 shown]
	s_delay_alu instid0(VALU_DEP_3) | instskip(NEXT) | instid1(VALU_DEP_3)
	v_fma_f32 v8, v3, s16, -v8
	v_fmac_f32_e32 v4, s17, v3
	s_delay_alu instid0(VALU_DEP_3) | instskip(NEXT) | instid1(VALU_DEP_2)
	v_fma_f32 v5, v13, s6, -v5
	v_add_f32_e32 v4, v7, v4
	s_delay_alu instid0(VALU_DEP_2)
	v_add_f32_e32 v3, v5, v8
	global_store_b64 v[1:2], v[3:4], off
	s_and_b32 exec_lo, exec_lo, vcc_lo
	s_cbranch_execz .LBB1742_6
; %bb.5:
	v_mov_b32_e32 v0, 0
	global_store_b32 v[1:2], v0, off offset:4
.LBB1742_6:
	s_nop 0
	s_sendmsg sendmsg(MSG_DEALLOC_VGPRS)
	s_endpgm
	.section	.rodata,"a",@progbits
	.p2align	6, 0x0
	.amdhsa_kernel _ZL41rocblas_syrkx_herkx_small_restrict_kernelIl19rocblas_complex_numIfELi16ELb0ELb1ELc67ELc85EKPKS1_KPS1_EviT_T0_PT6_S7_lSA_S7_lS8_PT7_S7_li
		.amdhsa_group_segment_fixed_size 4096
		.amdhsa_private_segment_fixed_size 0
		.amdhsa_kernarg_size 108
		.amdhsa_user_sgpr_count 13
		.amdhsa_user_sgpr_dispatch_ptr 0
		.amdhsa_user_sgpr_queue_ptr 0
		.amdhsa_user_sgpr_kernarg_segment_ptr 1
		.amdhsa_user_sgpr_dispatch_id 0
		.amdhsa_user_sgpr_private_segment_size 0
		.amdhsa_wavefront_size32 1
		.amdhsa_uses_dynamic_stack 0
		.amdhsa_enable_private_segment 0
		.amdhsa_system_sgpr_workgroup_id_x 1
		.amdhsa_system_sgpr_workgroup_id_y 1
		.amdhsa_system_sgpr_workgroup_id_z 1
		.amdhsa_system_sgpr_workgroup_info 0
		.amdhsa_system_vgpr_workitem_id 1
		.amdhsa_next_free_vgpr 87
		.amdhsa_next_free_sgpr 22
		.amdhsa_reserve_vcc 1
		.amdhsa_float_round_mode_32 0
		.amdhsa_float_round_mode_16_64 0
		.amdhsa_float_denorm_mode_32 3
		.amdhsa_float_denorm_mode_16_64 3
		.amdhsa_dx10_clamp 1
		.amdhsa_ieee_mode 1
		.amdhsa_fp16_overflow 0
		.amdhsa_workgroup_processor_mode 1
		.amdhsa_memory_ordered 1
		.amdhsa_forward_progress 0
		.amdhsa_shared_vgpr_count 0
		.amdhsa_exception_fp_ieee_invalid_op 0
		.amdhsa_exception_fp_denorm_src 0
		.amdhsa_exception_fp_ieee_div_zero 0
		.amdhsa_exception_fp_ieee_overflow 0
		.amdhsa_exception_fp_ieee_underflow 0
		.amdhsa_exception_fp_ieee_inexact 0
		.amdhsa_exception_int_div_zero 0
	.end_amdhsa_kernel
	.section	.text._ZL41rocblas_syrkx_herkx_small_restrict_kernelIl19rocblas_complex_numIfELi16ELb0ELb1ELc67ELc85EKPKS1_KPS1_EviT_T0_PT6_S7_lSA_S7_lS8_PT7_S7_li,"axG",@progbits,_ZL41rocblas_syrkx_herkx_small_restrict_kernelIl19rocblas_complex_numIfELi16ELb0ELb1ELc67ELc85EKPKS1_KPS1_EviT_T0_PT6_S7_lSA_S7_lS8_PT7_S7_li,comdat
.Lfunc_end1742:
	.size	_ZL41rocblas_syrkx_herkx_small_restrict_kernelIl19rocblas_complex_numIfELi16ELb0ELb1ELc67ELc85EKPKS1_KPS1_EviT_T0_PT6_S7_lSA_S7_lS8_PT7_S7_li, .Lfunc_end1742-_ZL41rocblas_syrkx_herkx_small_restrict_kernelIl19rocblas_complex_numIfELi16ELb0ELb1ELc67ELc85EKPKS1_KPS1_EviT_T0_PT6_S7_lSA_S7_lS8_PT7_S7_li
                                        ; -- End function
	.section	.AMDGPU.csdata,"",@progbits
; Kernel info:
; codeLenInByte = 1392
; NumSgprs: 24
; NumVgprs: 87
; ScratchSize: 0
; MemoryBound: 0
; FloatMode: 240
; IeeeMode: 1
; LDSByteSize: 4096 bytes/workgroup (compile time only)
; SGPRBlocks: 2
; VGPRBlocks: 10
; NumSGPRsForWavesPerEU: 24
; NumVGPRsForWavesPerEU: 87
; Occupancy: 16
; WaveLimiterHint : 1
; COMPUTE_PGM_RSRC2:SCRATCH_EN: 0
; COMPUTE_PGM_RSRC2:USER_SGPR: 13
; COMPUTE_PGM_RSRC2:TRAP_HANDLER: 0
; COMPUTE_PGM_RSRC2:TGID_X_EN: 1
; COMPUTE_PGM_RSRC2:TGID_Y_EN: 1
; COMPUTE_PGM_RSRC2:TGID_Z_EN: 1
; COMPUTE_PGM_RSRC2:TIDIG_COMP_CNT: 1
	.section	.text._ZL41rocblas_syrkx_herkx_small_restrict_kernelIl19rocblas_complex_numIfELi16ELb0ELb1ELc78ELc85EKPKS1_KPS1_EviT_T0_PT6_S7_lSA_S7_lS8_PT7_S7_li,"axG",@progbits,_ZL41rocblas_syrkx_herkx_small_restrict_kernelIl19rocblas_complex_numIfELi16ELb0ELb1ELc78ELc85EKPKS1_KPS1_EviT_T0_PT6_S7_lSA_S7_lS8_PT7_S7_li,comdat
	.globl	_ZL41rocblas_syrkx_herkx_small_restrict_kernelIl19rocblas_complex_numIfELi16ELb0ELb1ELc78ELc85EKPKS1_KPS1_EviT_T0_PT6_S7_lSA_S7_lS8_PT7_S7_li ; -- Begin function _ZL41rocblas_syrkx_herkx_small_restrict_kernelIl19rocblas_complex_numIfELi16ELb0ELb1ELc78ELc85EKPKS1_KPS1_EviT_T0_PT6_S7_lSA_S7_lS8_PT7_S7_li
	.p2align	8
	.type	_ZL41rocblas_syrkx_herkx_small_restrict_kernelIl19rocblas_complex_numIfELi16ELb0ELb1ELc78ELc85EKPKS1_KPS1_EviT_T0_PT6_S7_lSA_S7_lS8_PT7_S7_li,@function
_ZL41rocblas_syrkx_herkx_small_restrict_kernelIl19rocblas_complex_numIfELi16ELb0ELb1ELc78ELc85EKPKS1_KPS1_EviT_T0_PT6_S7_lSA_S7_lS8_PT7_S7_li: ; @_ZL41rocblas_syrkx_herkx_small_restrict_kernelIl19rocblas_complex_numIfELi16ELb0ELb1ELc78ELc85EKPKS1_KPS1_EviT_T0_PT6_S7_lSA_S7_lS8_PT7_S7_li
; %bb.0:
	s_clause 0x1
	s_load_b128 s[16:19], s[0:1], 0x48
	s_load_b256 s[4:11], s[0:1], 0x8
	s_mov_b32 s2, s15
	s_mov_b32 s3, 0
	v_dual_mov_b32 v12, 0 :: v_dual_and_b32 v5, 0x3ff, v0
	s_lshl_b64 s[22:23], s[2:3], 3
	v_bfe_u32 v4, v0, 10, 10
	v_mov_b32_e32 v13, 0
	s_delay_alu instid0(VALU_DEP_3) | instskip(NEXT) | instid1(VALU_DEP_3)
	v_lshl_add_u32 v0, s13, 4, v5
	v_lshl_add_u32 v2, s14, 4, v4
	s_delay_alu instid0(VALU_DEP_2) | instskip(NEXT) | instid1(VALU_DEP_2)
	v_ashrrev_i32_e32 v1, 31, v0
	v_ashrrev_i32_e32 v3, 31, v2
	s_waitcnt lgkmcnt(0)
	s_add_u32 s2, s18, s22
	s_addc_u32 s3, s19, s23
	s_load_b64 s[20:21], s[0:1], 0x58
	s_load_b64 s[18:19], s[2:3], 0x0
	v_cmp_lt_i64_e64 s2, s[4:5], 1
	s_delay_alu instid0(VALU_DEP_1)
	s_and_b32 vcc_lo, exec_lo, s2
	s_cbranch_vccnz .LBB1743_3
; %bb.1:
	s_load_b128 s[0:3], s[0:1], 0x30
	v_mad_u64_u32 v[13:14], null, s10, v4, 0
	v_lshlrev_b32_e32 v8, 3, v5
	v_lshlrev_b64 v[15:16], 3, v[2:3]
	v_lshlrev_b64 v[17:18], 3, v[0:1]
	s_delay_alu instid0(VALU_DEP_4)
	v_mov_b32_e32 v9, v14
	s_waitcnt lgkmcnt(0)
	v_mad_u64_u32 v[6:7], null, s2, v5, 0
	s_add_u32 s0, s0, s22
	s_addc_u32 s1, s1, s23
	s_add_u32 s8, s8, s22
	s_load_b64 s[0:1], s[0:1], 0x0
	s_addc_u32 s9, s9, s23
	s_load_b64 s[8:9], s[8:9], 0x0
	s_delay_alu instid0(VALU_DEP_1) | instskip(NEXT) | instid1(VALU_DEP_1)
	v_mad_u64_u32 v[10:11], null, s3, v5, v[7:8]
	v_mad_u64_u32 v[11:12], null, s11, v4, v[9:10]
	v_dual_mov_b32 v7, v10 :: v_dual_mov_b32 v12, 0
	v_lshlrev_b32_e32 v19, 7, v4
	s_delay_alu instid0(VALU_DEP_2) | instskip(NEXT) | instid1(VALU_DEP_2)
	v_lshlrev_b64 v[4:5], 3, v[6:7]
	v_dual_mov_b32 v14, v11 :: v_dual_add_nc_u32 v9, 0x800, v19
	v_add_nc_u32_e32 v10, v8, v19
	s_delay_alu instid0(VALU_DEP_3) | instskip(NEXT) | instid1(VALU_DEP_3)
	v_add_co_u32 v4, vcc_lo, v4, v15
	v_lshlrev_b64 v[6:7], 3, v[13:14]
	v_add_co_ci_u32_e32 v5, vcc_lo, v5, v16, vcc_lo
	v_add_nc_u32_e32 v11, v9, v8
	s_delay_alu instid0(VALU_DEP_3) | instskip(NEXT) | instid1(VALU_DEP_4)
	v_add_co_u32 v6, vcc_lo, v6, v17
	v_add_co_ci_u32_e32 v7, vcc_lo, v7, v18, vcc_lo
	s_waitcnt lgkmcnt(0)
	v_add_co_u32 v13, vcc_lo, v4, s0
	v_add_co_ci_u32_e32 v14, vcc_lo, s1, v5, vcc_lo
	v_add_co_u32 v4, vcc_lo, s8, v6
	v_add_co_ci_u32_e32 v5, vcc_lo, s9, v7, vcc_lo
	s_delay_alu instid0(VALU_DEP_4)
	v_add_co_u32 v6, vcc_lo, v13, 4
	v_mov_b32_e32 v13, 0
	v_add_co_ci_u32_e32 v7, vcc_lo, 0, v14, vcc_lo
	s_lshl_b64 s[0:1], s[2:3], 7
	s_lshl_b64 s[2:3], s[10:11], 7
	s_mov_b64 s[8:9], 0
.LBB1743_2:                             ; =>This Inner Loop Header: Depth=1
	global_load_b64 v[14:15], v[6:7], off offset:-4
	global_load_b64 v[16:17], v[4:5], off
	s_add_u32 s8, s8, 16
	v_add_co_u32 v6, vcc_lo, v6, s0
	s_addc_u32 s9, s9, 0
	v_add_co_ci_u32_e32 v7, vcc_lo, s1, v7, vcc_lo
	v_cmp_lt_i64_e64 s10, s[8:9], s[4:5]
	v_add_co_u32 v4, vcc_lo, v4, s2
	v_add_co_ci_u32_e32 v5, vcc_lo, s3, v5, vcc_lo
	s_delay_alu instid0(VALU_DEP_3)
	s_and_b32 vcc_lo, exec_lo, s10
	s_waitcnt vmcnt(1)
	v_xor_b32_e32 v15, 0x80000000, v15
	s_waitcnt vmcnt(0)
	ds_store_b64 v10, v[16:17]
	ds_store_b64 v11, v[14:15]
	s_waitcnt lgkmcnt(0)
	s_barrier
	buffer_gl0_inv
	ds_load_2addr_b64 v[14:17], v8 offset1:16
	ds_load_b128 v[18:21], v9
	ds_load_b128 v[22:25], v9 offset:16
	ds_load_2addr_b64 v[26:29], v8 offset0:32 offset1:48
	ds_load_2addr_b64 v[30:33], v8 offset0:64 offset1:80
	ds_load_b128 v[34:37], v9 offset:32
	ds_load_b128 v[38:41], v9 offset:48
	ds_load_2addr_b64 v[42:45], v8 offset0:96 offset1:112
	ds_load_2addr_b64 v[46:49], v8 offset0:128 offset1:144
	;; [unrolled: 1-line block ×3, first 2 shown]
	ds_load_b128 v[54:57], v9 offset:64
	ds_load_b128 v[58:61], v9 offset:80
	ds_load_2addr_b64 v[62:65], v8 offset0:192 offset1:208
	ds_load_2addr_b64 v[66:69], v8 offset0:224 offset1:240
	ds_load_b128 v[70:73], v9 offset:96
	ds_load_b128 v[74:77], v9 offset:112
	s_waitcnt lgkmcnt(0)
	s_barrier
	buffer_gl0_inv
	v_dual_mul_f32 v78, v19, v15 :: v_dual_mul_f32 v79, v21, v17
	v_mul_f32_e32 v15, v18, v15
	v_dual_mul_f32 v17, v20, v17 :: v_dual_mul_f32 v80, v23, v27
	v_mul_f32_e32 v27, v22, v27
	s_delay_alu instid0(VALU_DEP_4) | instskip(SKIP_1) | instid1(VALU_DEP_4)
	v_fma_f32 v18, v18, v14, -v78
	v_dual_mul_f32 v81, v25, v29 :: v_dual_mul_f32 v82, v35, v31
	v_fmac_f32_e32 v17, v21, v16
	s_delay_alu instid0(VALU_DEP_4) | instskip(SKIP_4) | instid1(VALU_DEP_4)
	v_fmac_f32_e32 v27, v23, v26
	v_fmac_f32_e32 v15, v19, v14
	v_mul_f32_e32 v85, v41, v45
	v_dual_mul_f32 v29, v24, v29 :: v_dual_mul_f32 v84, v39, v43
	v_mul_f32_e32 v45, v40, v45
	v_add_f32_e32 v12, v12, v15
	v_mul_f32_e32 v31, v34, v31
	v_dual_add_f32 v13, v13, v18 :: v_dual_mul_f32 v18, v74, v67
	v_mul_f32_e32 v19, v56, v49
	s_delay_alu instid0(VALU_DEP_4) | instskip(SKIP_1) | instid1(VALU_DEP_3)
	v_add_f32_e32 v12, v12, v17
	v_dual_mul_f32 v83, v37, v33 :: v_dual_mul_f32 v86, v55, v47
	v_dual_fmac_f32 v18, v75, v66 :: v_dual_fmac_f32 v19, v57, v48
	s_delay_alu instid0(VALU_DEP_3) | instskip(SKIP_3) | instid1(VALU_DEP_4)
	v_dual_fmac_f32 v29, v25, v28 :: v_dual_add_f32 v12, v12, v27
	v_mul_f32_e32 v33, v36, v33
	v_mul_f32_e32 v47, v54, v47
	v_fmac_f32_e32 v31, v35, v30
	v_dual_mul_f32 v43, v38, v43 :: v_dual_add_f32 v12, v12, v29
	v_fma_f32 v14, v20, v16, -v79
	v_dual_mul_f32 v20, v59, v51 :: v_dual_fmac_f32 v33, v37, v32
	v_mul_f32_e32 v16, v57, v49
	s_delay_alu instid0(VALU_DEP_4) | instskip(SKIP_3) | instid1(VALU_DEP_4)
	v_add_f32_e32 v12, v12, v31
	v_mul_f32_e32 v21, v58, v51
	v_add_f32_e32 v13, v13, v14
	v_dual_mul_f32 v14, v77, v69 :: v_dual_fmac_f32 v43, v39, v42
	v_add_f32_e32 v12, v12, v33
	v_mul_f32_e32 v49, v61, v53
	v_fmac_f32_e32 v45, v41, v44
	v_mul_f32_e32 v51, v60, v53
	s_delay_alu instid0(VALU_DEP_4) | instskip(SKIP_2) | instid1(VALU_DEP_4)
	v_dual_fmac_f32 v47, v55, v46 :: v_dual_add_f32 v12, v12, v43
	v_mul_f32_e32 v53, v71, v63
	v_fmac_f32_e32 v21, v59, v50
	v_fmac_f32_e32 v51, v61, v52
	v_mul_f32_e32 v25, v72, v65
	v_add_f32_e32 v12, v12, v45
	v_fma_f32 v22, v22, v26, -v80
	v_mul_f32_e32 v17, v76, v69
	v_fma_f32 v23, v24, v28, -v81
	s_delay_alu instid0(VALU_DEP_4) | instskip(SKIP_1) | instid1(VALU_DEP_4)
	v_dual_fmac_f32 v25, v73, v64 :: v_dual_add_f32 v12, v12, v47
	v_fma_f32 v16, v56, v48, -v16
	v_fmac_f32_e32 v17, v77, v68
	v_fma_f32 v20, v58, v50, -v20
	v_mul_f32_e32 v24, v73, v65
	v_add_f32_e32 v12, v12, v19
	v_mul_f32_e32 v63, v70, v63
	v_fma_f32 v19, v70, v62, -v53
	v_fma_f32 v14, v76, v68, -v14
	s_delay_alu instid0(VALU_DEP_3) | instskip(NEXT) | instid1(VALU_DEP_1)
	v_dual_add_f32 v12, v12, v21 :: v_dual_fmac_f32 v63, v71, v62
	v_add_f32_e32 v12, v12, v51
	s_delay_alu instid0(VALU_DEP_1) | instskip(NEXT) | instid1(VALU_DEP_1)
	v_add_f32_e32 v12, v12, v63
	v_dual_mul_f32 v15, v75, v67 :: v_dual_add_f32 v12, v12, v25
	s_delay_alu instid0(VALU_DEP_1) | instskip(NEXT) | instid1(VALU_DEP_2)
	v_fma_f32 v15, v74, v66, -v15
	v_add_f32_e32 v12, v12, v18
	v_add_f32_e32 v13, v13, v22
	v_fma_f32 v22, v34, v30, -v82
	s_delay_alu instid0(VALU_DEP_2) | instskip(SKIP_1) | instid1(VALU_DEP_2)
	v_dual_add_f32 v12, v12, v17 :: v_dual_add_f32 v13, v13, v23
	v_fma_f32 v23, v36, v32, -v83
	v_add_f32_e32 v13, v13, v22
	v_fma_f32 v22, v38, v42, -v84
	s_delay_alu instid0(VALU_DEP_2) | instskip(SKIP_1) | instid1(VALU_DEP_2)
	v_add_f32_e32 v13, v13, v23
	v_fma_f32 v23, v40, v44, -v85
	v_add_f32_e32 v13, v13, v22
	v_fma_f32 v22, v54, v46, -v86
	s_delay_alu instid0(VALU_DEP_2) | instskip(NEXT) | instid1(VALU_DEP_1)
	v_add_f32_e32 v13, v13, v23
	v_add_f32_e32 v13, v13, v22
	s_delay_alu instid0(VALU_DEP_1) | instskip(SKIP_1) | instid1(VALU_DEP_2)
	v_add_f32_e32 v13, v13, v16
	v_fma_f32 v16, v60, v52, -v49
	v_add_f32_e32 v13, v13, v20
	s_delay_alu instid0(VALU_DEP_1) | instskip(SKIP_1) | instid1(VALU_DEP_2)
	v_add_f32_e32 v13, v13, v16
	v_fma_f32 v16, v72, v64, -v24
	v_add_f32_e32 v13, v13, v19
	s_delay_alu instid0(VALU_DEP_1) | instskip(NEXT) | instid1(VALU_DEP_1)
	v_add_f32_e32 v13, v13, v16
	v_add_f32_e32 v13, v13, v15
	s_delay_alu instid0(VALU_DEP_1)
	v_add_f32_e32 v13, v13, v14
	s_cbranch_vccnz .LBB1743_2
.LBB1743_3:
	s_mov_b32 s0, exec_lo
	v_cmpx_le_i32_e64 v0, v2
	s_cbranch_execz .LBB1743_6
; %bb.4:
	s_waitcnt lgkmcnt(0)
	v_mul_lo_u32 v5, v2, s21
	v_mul_lo_u32 v6, v3, s20
	v_mad_u64_u32 v[3:4], null, v2, s20, 0
	s_delay_alu instid0(VALU_DEP_1) | instskip(SKIP_1) | instid1(VALU_DEP_2)
	v_add3_u32 v4, v4, v5, v6
	v_lshlrev_b64 v[5:6], 3, v[0:1]
	v_lshlrev_b64 v[3:4], 3, v[3:4]
	s_delay_alu instid0(VALU_DEP_1) | instskip(NEXT) | instid1(VALU_DEP_2)
	v_add_co_u32 v1, vcc_lo, s18, v3
	v_add_co_ci_u32_e32 v4, vcc_lo, s19, v4, vcc_lo
	s_delay_alu instid0(VALU_DEP_2) | instskip(NEXT) | instid1(VALU_DEP_2)
	v_add_co_u32 v3, vcc_lo, v1, v5
	v_add_co_ci_u32_e32 v4, vcc_lo, v4, v6, vcc_lo
	v_cmp_eq_u32_e32 vcc_lo, v0, v2
	global_load_b64 v[5:6], v[3:4], off
	v_mul_f32_e32 v1, s7, v12
	s_waitcnt vmcnt(0)
	v_dual_mul_f32 v7, s6, v12 :: v_dual_mul_f32 v8, s17, v6
	v_mul_f32_e32 v6, s16, v6
	s_delay_alu instid0(VALU_DEP_3) | instskip(NEXT) | instid1(VALU_DEP_3)
	v_fma_f32 v1, v13, s6, -v1
	v_fmac_f32_e32 v7, s7, v13
	s_delay_alu instid0(VALU_DEP_4) | instskip(NEXT) | instid1(VALU_DEP_1)
	v_fma_f32 v8, v5, s16, -v8
	v_dual_fmac_f32 v6, s17, v5 :: v_dual_add_f32 v5, v1, v8
	s_delay_alu instid0(VALU_DEP_1)
	v_add_f32_e32 v6, v7, v6
	global_store_b64 v[3:4], v[5:6], off
	s_and_b32 exec_lo, exec_lo, vcc_lo
	s_cbranch_execz .LBB1743_6
; %bb.5:
	v_mov_b32_e32 v0, 0
	global_store_b32 v[3:4], v0, off offset:4
.LBB1743_6:
	s_nop 0
	s_sendmsg sendmsg(MSG_DEALLOC_VGPRS)
	s_endpgm
	.section	.rodata,"a",@progbits
	.p2align	6, 0x0
	.amdhsa_kernel _ZL41rocblas_syrkx_herkx_small_restrict_kernelIl19rocblas_complex_numIfELi16ELb0ELb1ELc78ELc85EKPKS1_KPS1_EviT_T0_PT6_S7_lSA_S7_lS8_PT7_S7_li
		.amdhsa_group_segment_fixed_size 4096
		.amdhsa_private_segment_fixed_size 0
		.amdhsa_kernarg_size 108
		.amdhsa_user_sgpr_count 13
		.amdhsa_user_sgpr_dispatch_ptr 0
		.amdhsa_user_sgpr_queue_ptr 0
		.amdhsa_user_sgpr_kernarg_segment_ptr 1
		.amdhsa_user_sgpr_dispatch_id 0
		.amdhsa_user_sgpr_private_segment_size 0
		.amdhsa_wavefront_size32 1
		.amdhsa_uses_dynamic_stack 0
		.amdhsa_enable_private_segment 0
		.amdhsa_system_sgpr_workgroup_id_x 1
		.amdhsa_system_sgpr_workgroup_id_y 1
		.amdhsa_system_sgpr_workgroup_id_z 1
		.amdhsa_system_sgpr_workgroup_info 0
		.amdhsa_system_vgpr_workitem_id 1
		.amdhsa_next_free_vgpr 87
		.amdhsa_next_free_sgpr 24
		.amdhsa_reserve_vcc 1
		.amdhsa_float_round_mode_32 0
		.amdhsa_float_round_mode_16_64 0
		.amdhsa_float_denorm_mode_32 3
		.amdhsa_float_denorm_mode_16_64 3
		.amdhsa_dx10_clamp 1
		.amdhsa_ieee_mode 1
		.amdhsa_fp16_overflow 0
		.amdhsa_workgroup_processor_mode 1
		.amdhsa_memory_ordered 1
		.amdhsa_forward_progress 0
		.amdhsa_shared_vgpr_count 0
		.amdhsa_exception_fp_ieee_invalid_op 0
		.amdhsa_exception_fp_denorm_src 0
		.amdhsa_exception_fp_ieee_div_zero 0
		.amdhsa_exception_fp_ieee_overflow 0
		.amdhsa_exception_fp_ieee_underflow 0
		.amdhsa_exception_fp_ieee_inexact 0
		.amdhsa_exception_int_div_zero 0
	.end_amdhsa_kernel
	.section	.text._ZL41rocblas_syrkx_herkx_small_restrict_kernelIl19rocblas_complex_numIfELi16ELb0ELb1ELc78ELc85EKPKS1_KPS1_EviT_T0_PT6_S7_lSA_S7_lS8_PT7_S7_li,"axG",@progbits,_ZL41rocblas_syrkx_herkx_small_restrict_kernelIl19rocblas_complex_numIfELi16ELb0ELb1ELc78ELc85EKPKS1_KPS1_EviT_T0_PT6_S7_lSA_S7_lS8_PT7_S7_li,comdat
.Lfunc_end1743:
	.size	_ZL41rocblas_syrkx_herkx_small_restrict_kernelIl19rocblas_complex_numIfELi16ELb0ELb1ELc78ELc85EKPKS1_KPS1_EviT_T0_PT6_S7_lSA_S7_lS8_PT7_S7_li, .Lfunc_end1743-_ZL41rocblas_syrkx_herkx_small_restrict_kernelIl19rocblas_complex_numIfELi16ELb0ELb1ELc78ELc85EKPKS1_KPS1_EviT_T0_PT6_S7_lSA_S7_lS8_PT7_S7_li
                                        ; -- End function
	.section	.AMDGPU.csdata,"",@progbits
; Kernel info:
; codeLenInByte = 1384
; NumSgprs: 26
; NumVgprs: 87
; ScratchSize: 0
; MemoryBound: 0
; FloatMode: 240
; IeeeMode: 1
; LDSByteSize: 4096 bytes/workgroup (compile time only)
; SGPRBlocks: 3
; VGPRBlocks: 10
; NumSGPRsForWavesPerEU: 26
; NumVGPRsForWavesPerEU: 87
; Occupancy: 16
; WaveLimiterHint : 1
; COMPUTE_PGM_RSRC2:SCRATCH_EN: 0
; COMPUTE_PGM_RSRC2:USER_SGPR: 13
; COMPUTE_PGM_RSRC2:TRAP_HANDLER: 0
; COMPUTE_PGM_RSRC2:TGID_X_EN: 1
; COMPUTE_PGM_RSRC2:TGID_Y_EN: 1
; COMPUTE_PGM_RSRC2:TGID_Z_EN: 1
; COMPUTE_PGM_RSRC2:TIDIG_COMP_CNT: 1
	.section	.text._ZL32rocblas_syrkx_herkx_small_kernelIl19rocblas_complex_numIfELi16ELb1ELb1ELc84ELc76EKPKS1_KPS1_EviT_T0_PT6_S7_lSA_S7_lS8_PT7_S7_li,"axG",@progbits,_ZL32rocblas_syrkx_herkx_small_kernelIl19rocblas_complex_numIfELi16ELb1ELb1ELc84ELc76EKPKS1_KPS1_EviT_T0_PT6_S7_lSA_S7_lS8_PT7_S7_li,comdat
	.globl	_ZL32rocblas_syrkx_herkx_small_kernelIl19rocblas_complex_numIfELi16ELb1ELb1ELc84ELc76EKPKS1_KPS1_EviT_T0_PT6_S7_lSA_S7_lS8_PT7_S7_li ; -- Begin function _ZL32rocblas_syrkx_herkx_small_kernelIl19rocblas_complex_numIfELi16ELb1ELb1ELc84ELc76EKPKS1_KPS1_EviT_T0_PT6_S7_lSA_S7_lS8_PT7_S7_li
	.p2align	8
	.type	_ZL32rocblas_syrkx_herkx_small_kernelIl19rocblas_complex_numIfELi16ELb1ELb1ELc84ELc76EKPKS1_KPS1_EviT_T0_PT6_S7_lSA_S7_lS8_PT7_S7_li,@function
_ZL32rocblas_syrkx_herkx_small_kernelIl19rocblas_complex_numIfELi16ELb1ELb1ELc84ELc76EKPKS1_KPS1_EviT_T0_PT6_S7_lSA_S7_lS8_PT7_S7_li: ; @_ZL32rocblas_syrkx_herkx_small_kernelIl19rocblas_complex_numIfELi16ELb1ELb1ELc84ELc76EKPKS1_KPS1_EviT_T0_PT6_S7_lSA_S7_lS8_PT7_S7_li
; %bb.0:
	s_clause 0x2
	s_load_b128 s[16:19], s[0:1], 0x50
	s_load_b256 s[4:11], s[0:1], 0x8
	s_load_b32 s3, s[0:1], 0x0
	s_mov_b32 s20, s15
	s_mov_b32 s21, 0
	v_dual_mov_b32 v17, 0 :: v_dual_and_b32 v10, 0x3ff, v0
	s_lshl_b64 s[20:21], s[20:21], 3
	v_bfe_u32 v11, v0, 10, 10
	v_mov_b32_e32 v16, 0
	s_delay_alu instid0(VALU_DEP_3) | instskip(NEXT) | instid1(VALU_DEP_3)
	v_lshl_add_u32 v0, s13, 4, v10
	v_lshl_add_u32 v8, s14, 4, v11
	s_delay_alu instid0(VALU_DEP_2) | instskip(NEXT) | instid1(VALU_DEP_2)
	v_ashrrev_i32_e32 v1, 31, v0
	v_ashrrev_i32_e32 v9, 31, v8
	s_waitcnt lgkmcnt(0)
	s_add_u32 s16, s16, s20
	s_addc_u32 s17, s17, s21
	v_cmp_lt_i64_e64 s2, s[4:5], 1
	s_load_b64 s[16:17], s[16:17], 0x0
	s_delay_alu instid0(VALU_DEP_1)
	s_and_b32 vcc_lo, exec_lo, s2
	v_cmp_gt_i32_e64 s2, s3, v0
	s_cbranch_vccnz .LBB1744_11
; %bb.1:
	s_load_b128 s[12:15], s[0:1], 0x30
	v_mul_lo_u32 v14, s11, v0
	v_mul_lo_u32 v15, s10, v1
	v_mad_u64_u32 v[5:6], null, s10, v0, 0
	v_lshlrev_b32_e32 v12, 3, v10
	v_dual_mov_b32 v2, 0 :: v_dual_lshlrev_b32 v7, 7, v11
	v_lshlrev_b32_e32 v17, 3, v11
	v_cmp_gt_i32_e32 vcc_lo, s3, v8
	v_add3_u32 v6, v6, v15, v14
	s_delay_alu instid0(VALU_DEP_4) | instskip(NEXT) | instid1(VALU_DEP_2)
	v_add_nc_u32_e32 v14, v12, v7
	v_lshlrev_b64 v[5:6], 3, v[5:6]
	s_waitcnt lgkmcnt(0)
	v_mul_lo_u32 v13, s15, v8
	v_mul_lo_u32 v16, s14, v9
	v_mad_u64_u32 v[3:4], null, s14, v8, 0
	s_add_u32 s0, s12, s20
	s_addc_u32 s1, s13, s21
	s_add_u32 s8, s8, s20
	s_load_b64 s[10:11], s[0:1], 0x0
	s_addc_u32 s9, s9, s21
	s_xor_b32 s2, s2, -1
	s_delay_alu instid0(VALU_DEP_1) | instskip(SKIP_3) | instid1(VALU_DEP_3)
	v_add3_u32 v4, v4, v16, v13
	v_mov_b32_e32 v16, 0
	s_load_b64 s[8:9], s[8:9], 0x0
	v_add_nc_u32_e32 v13, 0x800, v7
	v_lshlrev_b64 v[3:4], 3, v[3:4]
	s_delay_alu instid0(VALU_DEP_1) | instskip(NEXT) | instid1(VALU_DEP_1)
	v_add_co_u32 v3, s0, v3, v12
	v_add_co_ci_u32_e64 v7, s0, 0, v4, s0
	v_add_co_u32 v17, s0, v5, v17
	s_delay_alu instid0(VALU_DEP_1) | instskip(SKIP_2) | instid1(VALU_DEP_1)
	v_add_co_ci_u32_e64 v18, s0, 0, v6, s0
	s_waitcnt lgkmcnt(0)
	v_add_co_u32 v4, s0, s10, v3
	v_add_co_ci_u32_e64 v5, s0, s11, v7, s0
	v_add_co_u32 v6, s0, s8, v17
	s_delay_alu instid0(VALU_DEP_1)
	v_add_co_ci_u32_e64 v7, s0, s9, v18, s0
	v_mov_b32_e32 v17, 0
	v_add_nc_u32_e32 v15, v13, v12
	s_mov_b64 s[0:1], 0
	s_xor_b32 s8, vcc_lo, -1
	s_branch .LBB1744_3
.LBB1744_2:                             ;   in Loop: Header=BB1744_3 Depth=1
	s_or_b32 exec_lo, exec_lo, s9
	s_waitcnt lgkmcnt(0)
	s_barrier
	buffer_gl0_inv
	ds_load_2addr_b64 v[18:21], v12 offset1:16
	ds_load_b128 v[22:25], v13
	ds_load_b128 v[26:29], v13 offset:16
	ds_load_2addr_b64 v[30:33], v12 offset0:32 offset1:48
	ds_load_2addr_b64 v[34:37], v12 offset0:64 offset1:80
	ds_load_b128 v[38:41], v13 offset:32
	ds_load_b128 v[42:45], v13 offset:48
	ds_load_2addr_b64 v[46:49], v12 offset0:96 offset1:112
	ds_load_2addr_b64 v[50:53], v12 offset0:128 offset1:144
	;; [unrolled: 1-line block ×3, first 2 shown]
	ds_load_b128 v[58:61], v13 offset:64
	ds_load_b128 v[62:65], v13 offset:80
	s_add_u32 s0, s0, 16
	s_addc_u32 s1, s1, 0
	v_add_co_u32 v4, vcc_lo, 0x80, v4
	v_cmp_ge_i64_e64 s9, s[0:1], s[4:5]
	v_add_co_ci_u32_e32 v5, vcc_lo, 0, v5, vcc_lo
	v_add_co_u32 v6, vcc_lo, 0x80, v6
	s_waitcnt lgkmcnt(10)
	v_dual_mul_f32 v3, v23, v19 :: v_dual_mul_f32 v66, v25, v21
	s_waitcnt lgkmcnt(8)
	v_dual_mul_f32 v19, v22, v19 :: v_dual_mul_f32 v68, v29, v33
	v_mul_f32_e32 v21, v24, v21
	v_mul_f32_e32 v67, v27, v31
	;; [unrolled: 1-line block ×3, first 2 shown]
	s_delay_alu instid0(VALU_DEP_4)
	v_fmac_f32_e32 v19, v23, v18
	v_fma_f32 v3, v22, v18, -v3
	s_waitcnt lgkmcnt(6)
	v_dual_fmac_f32 v21, v25, v20 :: v_dual_mul_f32 v18, v40, v37
	v_mul_f32_e32 v33, v28, v33
	v_add_f32_e32 v16, v16, v19
	v_mul_f32_e32 v69, v39, v35
	v_fmac_f32_e32 v31, v27, v30
	v_fma_f32 v23, v24, v20, -v66
	v_fmac_f32_e32 v18, v41, v36
	v_dual_add_f32 v16, v16, v21 :: v_dual_fmac_f32 v33, v29, v32
	s_waitcnt lgkmcnt(1)
	v_mul_f32_e32 v24, v58, v51
	v_mul_f32_e32 v20, v42, v47
	v_add_f32_e32 v3, v17, v3
	v_add_f32_e32 v16, v16, v31
	v_mul_f32_e32 v35, v38, v35
	v_fma_f32 v21, v28, v32, -v68
	s_waitcnt lgkmcnt(0)
	v_mul_f32_e32 v32, v62, v55
	v_mul_f32_e32 v22, v41, v37
	v_dual_add_f32 v16, v16, v33 :: v_dual_fmac_f32 v35, v39, v34
	v_fma_f32 v19, v26, v30, -v67
	v_dual_fmac_f32 v20, v43, v46 :: v_dual_mul_f32 v27, v60, v53
	s_delay_alu instid0(VALU_DEP_4) | instskip(NEXT) | instid1(VALU_DEP_4)
	v_fma_f32 v22, v40, v36, -v22
	v_add_f32_e32 v16, v16, v35
	v_mul_f32_e32 v17, v43, v47
	v_add_co_ci_u32_e32 v7, vcc_lo, 0, v7, vcc_lo
	v_fmac_f32_e32 v24, v59, v50
	s_delay_alu instid0(VALU_DEP_4) | instskip(SKIP_3) | instid1(VALU_DEP_4)
	v_dual_add_f32 v16, v16, v18 :: v_dual_add_f32 v3, v3, v23
	v_mul_f32_e32 v26, v61, v53
	v_fma_f32 v23, v38, v34, -v69
	v_fmac_f32_e32 v27, v61, v52
	v_dual_add_f32 v20, v16, v20 :: v_dual_add_f32 v3, v3, v19
	v_mul_f32_e32 v19, v45, v49
	v_fma_f32 v17, v42, v46, -v17
	v_fmac_f32_e32 v32, v63, v54
	s_and_b32 vcc_lo, exec_lo, s9
	v_add_f32_e32 v3, v3, v21
	v_mul_f32_e32 v21, v44, v49
	s_delay_alu instid0(VALU_DEP_1) | instskip(NEXT) | instid1(VALU_DEP_1)
	v_dual_mul_f32 v36, v64, v57 :: v_dual_fmac_f32 v21, v45, v48
	v_dual_fmac_f32 v36, v65, v56 :: v_dual_add_f32 v25, v20, v21
	s_delay_alu instid0(VALU_DEP_1) | instskip(SKIP_2) | instid1(VALU_DEP_3)
	v_dual_add_f32 v24, v25, v24 :: v_dual_add_f32 v3, v3, v23
	v_fma_f32 v25, v60, v52, -v26
	v_mul_f32_e32 v26, v63, v55
	v_add_f32_e32 v33, v24, v27
	s_delay_alu instid0(VALU_DEP_4) | instskip(SKIP_3) | instid1(VALU_DEP_4)
	v_add_f32_e32 v3, v3, v22
	v_mul_f32_e32 v23, v59, v51
	v_fma_f32 v22, v44, v48, -v19
	v_fma_f32 v34, v62, v54, -v26
	v_dual_add_f32 v32, v33, v32 :: v_dual_add_f32 v3, v3, v17
	ds_load_2addr_b64 v[16:19], v12 offset0:192 offset1:208
	v_fma_f32 v23, v58, v50, -v23
	v_dual_add_f32 v32, v32, v36 :: v_dual_add_f32 v3, v3, v22
	s_delay_alu instid0(VALU_DEP_1)
	v_add_f32_e32 v3, v3, v23
	ds_load_b128 v[20:23], v13 offset:96
	v_add_f32_e32 v3, v3, v25
	ds_load_2addr_b64 v[24:27], v12 offset0:224 offset1:240
	ds_load_b128 v[28:31], v13 offset:112
	v_mul_f32_e32 v35, v65, v57
	s_waitcnt lgkmcnt(0)
	s_barrier
	v_add_f32_e32 v3, v3, v34
	buffer_gl0_inv
	v_fma_f32 v33, v64, v56, -v35
	s_delay_alu instid0(VALU_DEP_1) | instskip(SKIP_2) | instid1(VALU_DEP_2)
	v_add_f32_e32 v3, v3, v33
	v_mul_f32_e32 v34, v21, v17
	v_mul_f32_e32 v17, v20, v17
	v_fma_f32 v20, v20, v16, -v34
	s_delay_alu instid0(VALU_DEP_2) | instskip(SKIP_1) | instid1(VALU_DEP_3)
	v_dual_fmac_f32 v17, v21, v16 :: v_dual_mul_f32 v16, v23, v19
	v_mul_f32_e32 v19, v22, v19
	v_add_f32_e32 v3, v3, v20
	s_delay_alu instid0(VALU_DEP_3) | instskip(NEXT) | instid1(VALU_DEP_4)
	v_add_f32_e32 v17, v32, v17
	v_fma_f32 v16, v22, v18, -v16
	s_delay_alu instid0(VALU_DEP_4) | instskip(NEXT) | instid1(VALU_DEP_2)
	v_dual_fmac_f32 v19, v23, v18 :: v_dual_mul_f32 v18, v29, v25
	v_dual_mul_f32 v20, v28, v25 :: v_dual_add_f32 v3, v3, v16
	s_delay_alu instid0(VALU_DEP_2) | instskip(NEXT) | instid1(VALU_DEP_3)
	v_add_f32_e32 v16, v17, v19
	v_fma_f32 v17, v28, v24, -v18
	s_delay_alu instid0(VALU_DEP_3) | instskip(SKIP_2) | instid1(VALU_DEP_3)
	v_fmac_f32_e32 v20, v29, v24
	v_mul_f32_e32 v18, v31, v27
	v_mul_f32_e32 v19, v30, v27
	v_dual_add_f32 v3, v3, v17 :: v_dual_add_f32 v16, v16, v20
	s_delay_alu instid0(VALU_DEP_3) | instskip(NEXT) | instid1(VALU_DEP_3)
	v_fma_f32 v17, v30, v26, -v18
	v_fmac_f32_e32 v19, v31, v26
	s_delay_alu instid0(VALU_DEP_1)
	v_dual_add_f32 v17, v3, v17 :: v_dual_add_f32 v16, v16, v19
	s_cbranch_vccnz .LBB1744_11
.LBB1744_3:                             ; =>This Inner Loop Header: Depth=1
	v_add_co_u32 v18, s9, v11, s0
	s_delay_alu instid0(VALU_DEP_1) | instskip(NEXT) | instid1(VALU_DEP_1)
	v_add_co_ci_u32_e64 v19, null, 0, s1, s9
	v_cmp_le_i64_e32 vcc_lo, s[4:5], v[18:19]
	s_or_b32 s9, s2, vcc_lo
	s_delay_alu instid0(SALU_CYCLE_1) | instskip(NEXT) | instid1(SALU_CYCLE_1)
	s_and_saveexec_b32 s10, s9
	s_xor_b32 s9, exec_lo, s10
	s_cbranch_execz .LBB1744_5
; %bb.4:                                ;   in Loop: Header=BB1744_3 Depth=1
	v_mov_b32_e32 v3, v2
	ds_store_b64 v14, v[2:3]
.LBB1744_5:                             ;   in Loop: Header=BB1744_3 Depth=1
	s_and_not1_saveexec_b32 s9, s9
	s_cbranch_execz .LBB1744_7
; %bb.6:                                ;   in Loop: Header=BB1744_3 Depth=1
	global_load_b64 v[18:19], v[6:7], off
	s_waitcnt vmcnt(0)
	ds_store_b64 v14, v[18:19]
.LBB1744_7:                             ;   in Loop: Header=BB1744_3 Depth=1
	s_or_b32 exec_lo, exec_lo, s9
	v_add_co_u32 v18, s9, v10, s0
	s_delay_alu instid0(VALU_DEP_1) | instskip(NEXT) | instid1(VALU_DEP_1)
	v_add_co_ci_u32_e64 v19, null, 0, s1, s9
	v_cmp_le_i64_e32 vcc_lo, s[4:5], v[18:19]
	s_or_b32 s9, s8, vcc_lo
	s_delay_alu instid0(SALU_CYCLE_1) | instskip(NEXT) | instid1(SALU_CYCLE_1)
	s_and_saveexec_b32 s10, s9
	s_xor_b32 s9, exec_lo, s10
	s_cbranch_execz .LBB1744_9
; %bb.8:                                ;   in Loop: Header=BB1744_3 Depth=1
	v_mov_b32_e32 v3, v2
	ds_store_b64 v15, v[2:3]
.LBB1744_9:                             ;   in Loop: Header=BB1744_3 Depth=1
	s_and_not1_saveexec_b32 s9, s9
	s_cbranch_execz .LBB1744_2
; %bb.10:                               ;   in Loop: Header=BB1744_3 Depth=1
	global_load_b64 v[18:19], v[4:5], off
	s_waitcnt vmcnt(0)
	ds_store_b64 v15, v[18:19]
	s_branch .LBB1744_2
.LBB1744_11:
	v_cmp_le_i32_e32 vcc_lo, v8, v0
	v_cmp_gt_i32_e64 s0, s3, v0
	s_delay_alu instid0(VALU_DEP_1) | instskip(NEXT) | instid1(SALU_CYCLE_1)
	s_and_b32 s0, vcc_lo, s0
	s_and_saveexec_b32 s1, s0
	s_cbranch_execz .LBB1744_14
; %bb.12:
	v_mul_lo_u32 v4, v8, s19
	v_mul_lo_u32 v5, v9, s18
	v_mad_u64_u32 v[2:3], null, v8, s18, 0
	v_lshlrev_b64 v[6:7], 3, v[0:1]
	s_delay_alu instid0(VALU_DEP_2) | instskip(SKIP_2) | instid1(VALU_DEP_3)
	v_add3_u32 v3, v3, v4, v5
	v_mul_f32_e32 v5, s6, v16
	v_mul_f32_e32 v4, s7, v16
	v_lshlrev_b64 v[2:3], 3, v[2:3]
	s_delay_alu instid0(VALU_DEP_3) | instskip(NEXT) | instid1(VALU_DEP_3)
	v_fmac_f32_e32 v5, s7, v17
	v_fma_f32 v4, v17, s6, -v4
	s_waitcnt lgkmcnt(0)
	s_delay_alu instid0(VALU_DEP_3) | instskip(NEXT) | instid1(VALU_DEP_4)
	v_add_co_u32 v1, vcc_lo, s16, v2
	v_add_co_ci_u32_e32 v2, vcc_lo, s17, v3, vcc_lo
	s_delay_alu instid0(VALU_DEP_2) | instskip(NEXT) | instid1(VALU_DEP_2)
	v_add_co_u32 v1, vcc_lo, v1, v6
	v_add_co_ci_u32_e32 v2, vcc_lo, v2, v7, vcc_lo
	v_cmp_eq_u32_e32 vcc_lo, v0, v8
	global_store_b64 v[1:2], v[4:5], off
	s_and_b32 exec_lo, exec_lo, vcc_lo
	s_cbranch_execz .LBB1744_14
; %bb.13:
	v_mov_b32_e32 v0, 0
	global_store_b32 v[1:2], v0, off offset:4
.LBB1744_14:
	s_nop 0
	s_sendmsg sendmsg(MSG_DEALLOC_VGPRS)
	s_endpgm
	.section	.rodata,"a",@progbits
	.p2align	6, 0x0
	.amdhsa_kernel _ZL32rocblas_syrkx_herkx_small_kernelIl19rocblas_complex_numIfELi16ELb1ELb1ELc84ELc76EKPKS1_KPS1_EviT_T0_PT6_S7_lSA_S7_lS8_PT7_S7_li
		.amdhsa_group_segment_fixed_size 4096
		.amdhsa_private_segment_fixed_size 0
		.amdhsa_kernarg_size 108
		.amdhsa_user_sgpr_count 13
		.amdhsa_user_sgpr_dispatch_ptr 0
		.amdhsa_user_sgpr_queue_ptr 0
		.amdhsa_user_sgpr_kernarg_segment_ptr 1
		.amdhsa_user_sgpr_dispatch_id 0
		.amdhsa_user_sgpr_private_segment_size 0
		.amdhsa_wavefront_size32 1
		.amdhsa_uses_dynamic_stack 0
		.amdhsa_enable_private_segment 0
		.amdhsa_system_sgpr_workgroup_id_x 1
		.amdhsa_system_sgpr_workgroup_id_y 1
		.amdhsa_system_sgpr_workgroup_id_z 1
		.amdhsa_system_sgpr_workgroup_info 0
		.amdhsa_system_vgpr_workitem_id 1
		.amdhsa_next_free_vgpr 70
		.amdhsa_next_free_sgpr 22
		.amdhsa_reserve_vcc 1
		.amdhsa_float_round_mode_32 0
		.amdhsa_float_round_mode_16_64 0
		.amdhsa_float_denorm_mode_32 3
		.amdhsa_float_denorm_mode_16_64 3
		.amdhsa_dx10_clamp 1
		.amdhsa_ieee_mode 1
		.amdhsa_fp16_overflow 0
		.amdhsa_workgroup_processor_mode 1
		.amdhsa_memory_ordered 1
		.amdhsa_forward_progress 0
		.amdhsa_shared_vgpr_count 0
		.amdhsa_exception_fp_ieee_invalid_op 0
		.amdhsa_exception_fp_denorm_src 0
		.amdhsa_exception_fp_ieee_div_zero 0
		.amdhsa_exception_fp_ieee_overflow 0
		.amdhsa_exception_fp_ieee_underflow 0
		.amdhsa_exception_fp_ieee_inexact 0
		.amdhsa_exception_int_div_zero 0
	.end_amdhsa_kernel
	.section	.text._ZL32rocblas_syrkx_herkx_small_kernelIl19rocblas_complex_numIfELi16ELb1ELb1ELc84ELc76EKPKS1_KPS1_EviT_T0_PT6_S7_lSA_S7_lS8_PT7_S7_li,"axG",@progbits,_ZL32rocblas_syrkx_herkx_small_kernelIl19rocblas_complex_numIfELi16ELb1ELb1ELc84ELc76EKPKS1_KPS1_EviT_T0_PT6_S7_lSA_S7_lS8_PT7_S7_li,comdat
.Lfunc_end1744:
	.size	_ZL32rocblas_syrkx_herkx_small_kernelIl19rocblas_complex_numIfELi16ELb1ELb1ELc84ELc76EKPKS1_KPS1_EviT_T0_PT6_S7_lSA_S7_lS8_PT7_S7_li, .Lfunc_end1744-_ZL32rocblas_syrkx_herkx_small_kernelIl19rocblas_complex_numIfELi16ELb1ELb1ELc84ELc76EKPKS1_KPS1_EviT_T0_PT6_S7_lSA_S7_lS8_PT7_S7_li
                                        ; -- End function
	.section	.AMDGPU.csdata,"",@progbits
; Kernel info:
; codeLenInByte = 1524
; NumSgprs: 24
; NumVgprs: 70
; ScratchSize: 0
; MemoryBound: 1
; FloatMode: 240
; IeeeMode: 1
; LDSByteSize: 4096 bytes/workgroup (compile time only)
; SGPRBlocks: 2
; VGPRBlocks: 8
; NumSGPRsForWavesPerEU: 24
; NumVGPRsForWavesPerEU: 70
; Occupancy: 16
; WaveLimiterHint : 1
; COMPUTE_PGM_RSRC2:SCRATCH_EN: 0
; COMPUTE_PGM_RSRC2:USER_SGPR: 13
; COMPUTE_PGM_RSRC2:TRAP_HANDLER: 0
; COMPUTE_PGM_RSRC2:TGID_X_EN: 1
; COMPUTE_PGM_RSRC2:TGID_Y_EN: 1
; COMPUTE_PGM_RSRC2:TGID_Z_EN: 1
; COMPUTE_PGM_RSRC2:TIDIG_COMP_CNT: 1
	.section	.text._ZL32rocblas_syrkx_herkx_small_kernelIl19rocblas_complex_numIfELi16ELb1ELb1ELc67ELc76EKPKS1_KPS1_EviT_T0_PT6_S7_lSA_S7_lS8_PT7_S7_li,"axG",@progbits,_ZL32rocblas_syrkx_herkx_small_kernelIl19rocblas_complex_numIfELi16ELb1ELb1ELc67ELc76EKPKS1_KPS1_EviT_T0_PT6_S7_lSA_S7_lS8_PT7_S7_li,comdat
	.globl	_ZL32rocblas_syrkx_herkx_small_kernelIl19rocblas_complex_numIfELi16ELb1ELb1ELc67ELc76EKPKS1_KPS1_EviT_T0_PT6_S7_lSA_S7_lS8_PT7_S7_li ; -- Begin function _ZL32rocblas_syrkx_herkx_small_kernelIl19rocblas_complex_numIfELi16ELb1ELb1ELc67ELc76EKPKS1_KPS1_EviT_T0_PT6_S7_lSA_S7_lS8_PT7_S7_li
	.p2align	8
	.type	_ZL32rocblas_syrkx_herkx_small_kernelIl19rocblas_complex_numIfELi16ELb1ELb1ELc67ELc76EKPKS1_KPS1_EviT_T0_PT6_S7_lSA_S7_lS8_PT7_S7_li,@function
_ZL32rocblas_syrkx_herkx_small_kernelIl19rocblas_complex_numIfELi16ELb1ELb1ELc67ELc76EKPKS1_KPS1_EviT_T0_PT6_S7_lSA_S7_lS8_PT7_S7_li: ; @_ZL32rocblas_syrkx_herkx_small_kernelIl19rocblas_complex_numIfELi16ELb1ELb1ELc67ELc76EKPKS1_KPS1_EviT_T0_PT6_S7_lSA_S7_lS8_PT7_S7_li
; %bb.0:
	s_clause 0x2
	s_load_b128 s[16:19], s[0:1], 0x50
	s_load_b256 s[4:11], s[0:1], 0x8
	s_load_b32 s3, s[0:1], 0x0
	s_mov_b32 s20, s15
	s_mov_b32 s21, 0
	v_dual_mov_b32 v17, 0 :: v_dual_and_b32 v10, 0x3ff, v0
	s_lshl_b64 s[20:21], s[20:21], 3
	v_bfe_u32 v11, v0, 10, 10
	v_mov_b32_e32 v16, 0
	s_delay_alu instid0(VALU_DEP_3) | instskip(NEXT) | instid1(VALU_DEP_3)
	v_lshl_add_u32 v0, s13, 4, v10
	v_lshl_add_u32 v8, s14, 4, v11
	s_delay_alu instid0(VALU_DEP_2) | instskip(NEXT) | instid1(VALU_DEP_2)
	v_ashrrev_i32_e32 v1, 31, v0
	v_ashrrev_i32_e32 v9, 31, v8
	s_waitcnt lgkmcnt(0)
	s_add_u32 s16, s16, s20
	s_addc_u32 s17, s17, s21
	v_cmp_lt_i64_e64 s2, s[4:5], 1
	s_load_b64 s[16:17], s[16:17], 0x0
	s_delay_alu instid0(VALU_DEP_1)
	s_and_b32 vcc_lo, exec_lo, s2
	v_cmp_gt_i32_e64 s2, s3, v0
	s_cbranch_vccnz .LBB1745_11
; %bb.1:
	s_load_b128 s[12:15], s[0:1], 0x30
	v_mul_lo_u32 v13, s11, v0
	v_mul_lo_u32 v14, s10, v1
	v_mad_u64_u32 v[3:4], null, s10, v0, 0
	v_lshlrev_b32_e32 v17, 3, v11
	v_lshlrev_b32_e32 v12, 3, v10
	v_dual_mov_b32 v2, 0 :: v_dual_lshlrev_b32 v7, 7, v11
	v_cmp_gt_i32_e32 vcc_lo, s3, v8
	v_add3_u32 v4, v4, v14, v13
	s_delay_alu instid0(VALU_DEP_3) | instskip(NEXT) | instid1(VALU_DEP_2)
	v_add_nc_u32_e32 v13, 0x800, v7
	v_lshlrev_b64 v[3:4], 3, v[3:4]
	s_waitcnt lgkmcnt(0)
	s_add_u32 s0, s12, s20
	s_addc_u32 s1, s13, s21
	s_add_u32 s8, s8, s20
	v_mul_lo_u32 v15, s15, v8
	v_mul_lo_u32 v16, s14, v9
	v_mad_u64_u32 v[5:6], null, s14, v8, 0
	s_addc_u32 s9, s9, s21
	s_load_b64 s[10:11], s[0:1], 0x0
	s_load_b64 s[8:9], s[8:9], 0x0
	s_xor_b32 s2, s2, -1
	s_delay_alu instid0(VALU_DEP_1) | instskip(SKIP_2) | instid1(VALU_DEP_1)
	v_add3_u32 v6, v6, v16, v15
	v_mov_b32_e32 v16, 0
	v_add_co_u32 v3, s0, v3, v17
	v_add_co_ci_u32_e64 v4, s0, 0, v4, s0
	s_delay_alu instid0(VALU_DEP_4) | instskip(SKIP_2) | instid1(VALU_DEP_3)
	v_lshlrev_b64 v[5:6], 3, v[5:6]
	v_dual_mov_b32 v17, 0 :: v_dual_add_nc_u32 v14, v12, v7
	v_add_nc_u32_e32 v15, v13, v12
	v_add_co_u32 v5, s0, v5, v12
	s_delay_alu instid0(VALU_DEP_1) | instskip(SKIP_2) | instid1(VALU_DEP_1)
	v_add_co_ci_u32_e64 v6, s0, 0, v6, s0
	s_waitcnt lgkmcnt(0)
	v_add_co_u32 v3, s0, v3, s8
	v_add_co_ci_u32_e64 v7, s0, s9, v4, s0
	v_add_co_u32 v4, s0, s10, v5
	s_delay_alu instid0(VALU_DEP_1) | instskip(NEXT) | instid1(VALU_DEP_4)
	v_add_co_ci_u32_e64 v5, s0, s11, v6, s0
	v_add_co_u32 v6, s0, v3, 4
	s_delay_alu instid0(VALU_DEP_1)
	v_add_co_ci_u32_e64 v7, s0, 0, v7, s0
	s_mov_b64 s[0:1], 0
	s_xor_b32 s8, vcc_lo, -1
	s_branch .LBB1745_3
.LBB1745_2:                             ;   in Loop: Header=BB1745_3 Depth=1
	s_or_b32 exec_lo, exec_lo, s9
	s_waitcnt lgkmcnt(0)
	s_barrier
	buffer_gl0_inv
	ds_load_2addr_b64 v[18:21], v12 offset1:16
	ds_load_b128 v[22:25], v13
	ds_load_b128 v[26:29], v13 offset:16
	ds_load_2addr_b64 v[30:33], v12 offset0:32 offset1:48
	ds_load_2addr_b64 v[34:37], v12 offset0:64 offset1:80
	ds_load_b128 v[38:41], v13 offset:32
	ds_load_b128 v[42:45], v13 offset:48
	ds_load_2addr_b64 v[46:49], v12 offset0:96 offset1:112
	ds_load_2addr_b64 v[50:53], v12 offset0:128 offset1:144
	ds_load_2addr_b64 v[54:57], v12 offset0:160 offset1:176
	ds_load_b128 v[58:61], v13 offset:64
	ds_load_b128 v[62:65], v13 offset:80
	s_add_u32 s0, s0, 16
	s_addc_u32 s1, s1, 0
	v_add_co_u32 v4, vcc_lo, 0x80, v4
	v_cmp_ge_i64_e64 s9, s[0:1], s[4:5]
	v_add_co_ci_u32_e32 v5, vcc_lo, 0, v5, vcc_lo
	v_add_co_u32 v6, vcc_lo, 0x80, v6
	s_waitcnt lgkmcnt(10)
	v_dual_mul_f32 v3, v23, v19 :: v_dual_mul_f32 v66, v25, v21
	s_waitcnt lgkmcnt(8)
	v_dual_mul_f32 v19, v22, v19 :: v_dual_mul_f32 v68, v29, v33
	v_mul_f32_e32 v21, v24, v21
	v_mul_f32_e32 v67, v27, v31
	;; [unrolled: 1-line block ×3, first 2 shown]
	s_delay_alu instid0(VALU_DEP_4)
	v_fmac_f32_e32 v19, v23, v18
	v_fma_f32 v3, v22, v18, -v3
	s_waitcnt lgkmcnt(6)
	v_dual_fmac_f32 v21, v25, v20 :: v_dual_mul_f32 v18, v40, v37
	v_mul_f32_e32 v33, v28, v33
	v_add_f32_e32 v16, v16, v19
	v_mul_f32_e32 v69, v39, v35
	v_fmac_f32_e32 v31, v27, v30
	v_fma_f32 v23, v24, v20, -v66
	v_fmac_f32_e32 v18, v41, v36
	v_dual_add_f32 v16, v16, v21 :: v_dual_fmac_f32 v33, v29, v32
	s_waitcnt lgkmcnt(1)
	v_mul_f32_e32 v24, v58, v51
	v_mul_f32_e32 v20, v42, v47
	v_add_f32_e32 v3, v17, v3
	v_add_f32_e32 v16, v16, v31
	v_mul_f32_e32 v35, v38, v35
	v_fma_f32 v21, v28, v32, -v68
	s_waitcnt lgkmcnt(0)
	v_mul_f32_e32 v32, v62, v55
	v_mul_f32_e32 v22, v41, v37
	v_dual_add_f32 v16, v16, v33 :: v_dual_fmac_f32 v35, v39, v34
	v_fma_f32 v19, v26, v30, -v67
	v_dual_fmac_f32 v20, v43, v46 :: v_dual_mul_f32 v27, v60, v53
	s_delay_alu instid0(VALU_DEP_4) | instskip(NEXT) | instid1(VALU_DEP_4)
	v_fma_f32 v22, v40, v36, -v22
	v_add_f32_e32 v16, v16, v35
	v_mul_f32_e32 v17, v43, v47
	v_add_co_ci_u32_e32 v7, vcc_lo, 0, v7, vcc_lo
	v_fmac_f32_e32 v24, v59, v50
	s_delay_alu instid0(VALU_DEP_4) | instskip(SKIP_3) | instid1(VALU_DEP_4)
	v_dual_add_f32 v16, v16, v18 :: v_dual_add_f32 v3, v3, v23
	v_mul_f32_e32 v26, v61, v53
	v_fma_f32 v23, v38, v34, -v69
	v_fmac_f32_e32 v27, v61, v52
	v_dual_add_f32 v20, v16, v20 :: v_dual_add_f32 v3, v3, v19
	v_mul_f32_e32 v19, v45, v49
	v_fma_f32 v17, v42, v46, -v17
	v_fmac_f32_e32 v32, v63, v54
	s_and_b32 vcc_lo, exec_lo, s9
	v_add_f32_e32 v3, v3, v21
	v_mul_f32_e32 v21, v44, v49
	s_delay_alu instid0(VALU_DEP_1) | instskip(NEXT) | instid1(VALU_DEP_1)
	v_dual_mul_f32 v36, v64, v57 :: v_dual_fmac_f32 v21, v45, v48
	v_dual_fmac_f32 v36, v65, v56 :: v_dual_add_f32 v25, v20, v21
	s_delay_alu instid0(VALU_DEP_1) | instskip(SKIP_2) | instid1(VALU_DEP_3)
	v_dual_add_f32 v24, v25, v24 :: v_dual_add_f32 v3, v3, v23
	v_fma_f32 v25, v60, v52, -v26
	v_mul_f32_e32 v26, v63, v55
	v_add_f32_e32 v33, v24, v27
	s_delay_alu instid0(VALU_DEP_4) | instskip(SKIP_3) | instid1(VALU_DEP_4)
	v_add_f32_e32 v3, v3, v22
	v_mul_f32_e32 v23, v59, v51
	v_fma_f32 v22, v44, v48, -v19
	v_fma_f32 v34, v62, v54, -v26
	v_dual_add_f32 v32, v33, v32 :: v_dual_add_f32 v3, v3, v17
	ds_load_2addr_b64 v[16:19], v12 offset0:192 offset1:208
	v_fma_f32 v23, v58, v50, -v23
	v_dual_add_f32 v32, v32, v36 :: v_dual_add_f32 v3, v3, v22
	s_delay_alu instid0(VALU_DEP_1)
	v_add_f32_e32 v3, v3, v23
	ds_load_b128 v[20:23], v13 offset:96
	v_add_f32_e32 v3, v3, v25
	ds_load_2addr_b64 v[24:27], v12 offset0:224 offset1:240
	ds_load_b128 v[28:31], v13 offset:112
	v_mul_f32_e32 v35, v65, v57
	s_waitcnt lgkmcnt(0)
	s_barrier
	v_add_f32_e32 v3, v3, v34
	buffer_gl0_inv
	v_fma_f32 v33, v64, v56, -v35
	s_delay_alu instid0(VALU_DEP_1) | instskip(SKIP_2) | instid1(VALU_DEP_2)
	v_add_f32_e32 v3, v3, v33
	v_mul_f32_e32 v34, v21, v17
	v_mul_f32_e32 v17, v20, v17
	v_fma_f32 v20, v20, v16, -v34
	s_delay_alu instid0(VALU_DEP_2) | instskip(SKIP_1) | instid1(VALU_DEP_3)
	v_dual_fmac_f32 v17, v21, v16 :: v_dual_mul_f32 v16, v23, v19
	v_mul_f32_e32 v19, v22, v19
	v_add_f32_e32 v3, v3, v20
	s_delay_alu instid0(VALU_DEP_3) | instskip(NEXT) | instid1(VALU_DEP_4)
	v_add_f32_e32 v17, v32, v17
	v_fma_f32 v16, v22, v18, -v16
	s_delay_alu instid0(VALU_DEP_4) | instskip(NEXT) | instid1(VALU_DEP_2)
	v_dual_fmac_f32 v19, v23, v18 :: v_dual_mul_f32 v18, v29, v25
	v_dual_mul_f32 v20, v28, v25 :: v_dual_add_f32 v3, v3, v16
	s_delay_alu instid0(VALU_DEP_2) | instskip(NEXT) | instid1(VALU_DEP_3)
	v_add_f32_e32 v16, v17, v19
	v_fma_f32 v17, v28, v24, -v18
	s_delay_alu instid0(VALU_DEP_3) | instskip(SKIP_2) | instid1(VALU_DEP_3)
	v_fmac_f32_e32 v20, v29, v24
	v_mul_f32_e32 v18, v31, v27
	v_mul_f32_e32 v19, v30, v27
	v_dual_add_f32 v3, v3, v17 :: v_dual_add_f32 v16, v16, v20
	s_delay_alu instid0(VALU_DEP_3) | instskip(NEXT) | instid1(VALU_DEP_3)
	v_fma_f32 v17, v30, v26, -v18
	v_fmac_f32_e32 v19, v31, v26
	s_delay_alu instid0(VALU_DEP_1)
	v_dual_add_f32 v17, v3, v17 :: v_dual_add_f32 v16, v16, v19
	s_cbranch_vccnz .LBB1745_11
.LBB1745_3:                             ; =>This Inner Loop Header: Depth=1
	v_add_co_u32 v18, s9, v11, s0
	s_delay_alu instid0(VALU_DEP_1) | instskip(NEXT) | instid1(VALU_DEP_1)
	v_add_co_ci_u32_e64 v19, null, 0, s1, s9
                                        ; implicit-def: $sgpr10
	v_cmp_le_i64_e32 vcc_lo, s[4:5], v[18:19]
	s_or_b32 s9, s2, vcc_lo
	s_delay_alu instid0(SALU_CYCLE_1) | instskip(NEXT) | instid1(SALU_CYCLE_1)
	s_and_saveexec_b32 s11, s9
	s_xor_b32 s9, exec_lo, s11
	s_cbranch_execz .LBB1745_5
; %bb.4:                                ;   in Loop: Header=BB1745_3 Depth=1
	s_mov_b32 s10, 0
	ds_store_b32 v14, v2
.LBB1745_5:                             ;   in Loop: Header=BB1745_3 Depth=1
	s_or_saveexec_b32 s9, s9
	v_mov_b32_e32 v3, s10
	s_xor_b32 exec_lo, exec_lo, s9
	s_cbranch_execz .LBB1745_7
; %bb.6:                                ;   in Loop: Header=BB1745_3 Depth=1
	global_load_b64 v[18:19], v[6:7], off offset:-4
	s_waitcnt vmcnt(0)
	v_xor_b32_e32 v3, 0x80000000, v19
	ds_store_b32 v14, v18
.LBB1745_7:                             ;   in Loop: Header=BB1745_3 Depth=1
	s_or_b32 exec_lo, exec_lo, s9
	v_add_co_u32 v18, s9, v10, s0
	s_delay_alu instid0(VALU_DEP_1) | instskip(SKIP_3) | instid1(SALU_CYCLE_1)
	v_add_co_ci_u32_e64 v19, null, 0, s1, s9
	ds_store_b32 v14, v3 offset:4
	v_cmp_le_i64_e32 vcc_lo, s[4:5], v[18:19]
	s_or_b32 s9, s8, vcc_lo
	s_and_saveexec_b32 s10, s9
	s_delay_alu instid0(SALU_CYCLE_1)
	s_xor_b32 s9, exec_lo, s10
	s_cbranch_execz .LBB1745_9
; %bb.8:                                ;   in Loop: Header=BB1745_3 Depth=1
	v_mov_b32_e32 v3, v2
	ds_store_b64 v15, v[2:3]
.LBB1745_9:                             ;   in Loop: Header=BB1745_3 Depth=1
	s_and_not1_saveexec_b32 s9, s9
	s_cbranch_execz .LBB1745_2
; %bb.10:                               ;   in Loop: Header=BB1745_3 Depth=1
	global_load_b64 v[18:19], v[4:5], off
	s_waitcnt vmcnt(0)
	ds_store_b64 v15, v[18:19]
	s_branch .LBB1745_2
.LBB1745_11:
	v_cmp_le_i32_e32 vcc_lo, v8, v0
	v_cmp_gt_i32_e64 s0, s3, v0
	s_delay_alu instid0(VALU_DEP_1) | instskip(NEXT) | instid1(SALU_CYCLE_1)
	s_and_b32 s0, vcc_lo, s0
	s_and_saveexec_b32 s1, s0
	s_cbranch_execz .LBB1745_14
; %bb.12:
	v_mul_lo_u32 v4, v8, s19
	v_mul_lo_u32 v5, v9, s18
	v_mad_u64_u32 v[2:3], null, v8, s18, 0
	v_lshlrev_b64 v[6:7], 3, v[0:1]
	s_delay_alu instid0(VALU_DEP_2) | instskip(SKIP_2) | instid1(VALU_DEP_3)
	v_add3_u32 v3, v3, v4, v5
	v_mul_f32_e32 v5, s6, v16
	v_mul_f32_e32 v4, s7, v16
	v_lshlrev_b64 v[2:3], 3, v[2:3]
	s_delay_alu instid0(VALU_DEP_3) | instskip(NEXT) | instid1(VALU_DEP_3)
	v_fmac_f32_e32 v5, s7, v17
	v_fma_f32 v4, v17, s6, -v4
	s_waitcnt lgkmcnt(0)
	s_delay_alu instid0(VALU_DEP_3) | instskip(NEXT) | instid1(VALU_DEP_4)
	v_add_co_u32 v1, vcc_lo, s16, v2
	v_add_co_ci_u32_e32 v2, vcc_lo, s17, v3, vcc_lo
	s_delay_alu instid0(VALU_DEP_2) | instskip(NEXT) | instid1(VALU_DEP_2)
	v_add_co_u32 v1, vcc_lo, v1, v6
	v_add_co_ci_u32_e32 v2, vcc_lo, v2, v7, vcc_lo
	v_cmp_eq_u32_e32 vcc_lo, v0, v8
	global_store_b64 v[1:2], v[4:5], off
	s_and_b32 exec_lo, exec_lo, vcc_lo
	s_cbranch_execz .LBB1745_14
; %bb.13:
	v_mov_b32_e32 v0, 0
	global_store_b32 v[1:2], v0, off offset:4
.LBB1745_14:
	s_nop 0
	s_sendmsg sendmsg(MSG_DEALLOC_VGPRS)
	s_endpgm
	.section	.rodata,"a",@progbits
	.p2align	6, 0x0
	.amdhsa_kernel _ZL32rocblas_syrkx_herkx_small_kernelIl19rocblas_complex_numIfELi16ELb1ELb1ELc67ELc76EKPKS1_KPS1_EviT_T0_PT6_S7_lSA_S7_lS8_PT7_S7_li
		.amdhsa_group_segment_fixed_size 4096
		.amdhsa_private_segment_fixed_size 0
		.amdhsa_kernarg_size 108
		.amdhsa_user_sgpr_count 13
		.amdhsa_user_sgpr_dispatch_ptr 0
		.amdhsa_user_sgpr_queue_ptr 0
		.amdhsa_user_sgpr_kernarg_segment_ptr 1
		.amdhsa_user_sgpr_dispatch_id 0
		.amdhsa_user_sgpr_private_segment_size 0
		.amdhsa_wavefront_size32 1
		.amdhsa_uses_dynamic_stack 0
		.amdhsa_enable_private_segment 0
		.amdhsa_system_sgpr_workgroup_id_x 1
		.amdhsa_system_sgpr_workgroup_id_y 1
		.amdhsa_system_sgpr_workgroup_id_z 1
		.amdhsa_system_sgpr_workgroup_info 0
		.amdhsa_system_vgpr_workitem_id 1
		.amdhsa_next_free_vgpr 70
		.amdhsa_next_free_sgpr 22
		.amdhsa_reserve_vcc 1
		.amdhsa_float_round_mode_32 0
		.amdhsa_float_round_mode_16_64 0
		.amdhsa_float_denorm_mode_32 3
		.amdhsa_float_denorm_mode_16_64 3
		.amdhsa_dx10_clamp 1
		.amdhsa_ieee_mode 1
		.amdhsa_fp16_overflow 0
		.amdhsa_workgroup_processor_mode 1
		.amdhsa_memory_ordered 1
		.amdhsa_forward_progress 0
		.amdhsa_shared_vgpr_count 0
		.amdhsa_exception_fp_ieee_invalid_op 0
		.amdhsa_exception_fp_denorm_src 0
		.amdhsa_exception_fp_ieee_div_zero 0
		.amdhsa_exception_fp_ieee_overflow 0
		.amdhsa_exception_fp_ieee_underflow 0
		.amdhsa_exception_fp_ieee_inexact 0
		.amdhsa_exception_int_div_zero 0
	.end_amdhsa_kernel
	.section	.text._ZL32rocblas_syrkx_herkx_small_kernelIl19rocblas_complex_numIfELi16ELb1ELb1ELc67ELc76EKPKS1_KPS1_EviT_T0_PT6_S7_lSA_S7_lS8_PT7_S7_li,"axG",@progbits,_ZL32rocblas_syrkx_herkx_small_kernelIl19rocblas_complex_numIfELi16ELb1ELb1ELc67ELc76EKPKS1_KPS1_EviT_T0_PT6_S7_lSA_S7_lS8_PT7_S7_li,comdat
.Lfunc_end1745:
	.size	_ZL32rocblas_syrkx_herkx_small_kernelIl19rocblas_complex_numIfELi16ELb1ELb1ELc67ELc76EKPKS1_KPS1_EviT_T0_PT6_S7_lSA_S7_lS8_PT7_S7_li, .Lfunc_end1745-_ZL32rocblas_syrkx_herkx_small_kernelIl19rocblas_complex_numIfELi16ELb1ELb1ELc67ELc76EKPKS1_KPS1_EviT_T0_PT6_S7_lSA_S7_lS8_PT7_S7_li
                                        ; -- End function
	.section	.AMDGPU.csdata,"",@progbits
; Kernel info:
; codeLenInByte = 1568
; NumSgprs: 24
; NumVgprs: 70
; ScratchSize: 0
; MemoryBound: 1
; FloatMode: 240
; IeeeMode: 1
; LDSByteSize: 4096 bytes/workgroup (compile time only)
; SGPRBlocks: 2
; VGPRBlocks: 8
; NumSGPRsForWavesPerEU: 24
; NumVGPRsForWavesPerEU: 70
; Occupancy: 16
; WaveLimiterHint : 1
; COMPUTE_PGM_RSRC2:SCRATCH_EN: 0
; COMPUTE_PGM_RSRC2:USER_SGPR: 13
; COMPUTE_PGM_RSRC2:TRAP_HANDLER: 0
; COMPUTE_PGM_RSRC2:TGID_X_EN: 1
; COMPUTE_PGM_RSRC2:TGID_Y_EN: 1
; COMPUTE_PGM_RSRC2:TGID_Z_EN: 1
; COMPUTE_PGM_RSRC2:TIDIG_COMP_CNT: 1
	.section	.text._ZL32rocblas_syrkx_herkx_small_kernelIl19rocblas_complex_numIfELi16ELb1ELb1ELc78ELc76EKPKS1_KPS1_EviT_T0_PT6_S7_lSA_S7_lS8_PT7_S7_li,"axG",@progbits,_ZL32rocblas_syrkx_herkx_small_kernelIl19rocblas_complex_numIfELi16ELb1ELb1ELc78ELc76EKPKS1_KPS1_EviT_T0_PT6_S7_lSA_S7_lS8_PT7_S7_li,comdat
	.globl	_ZL32rocblas_syrkx_herkx_small_kernelIl19rocblas_complex_numIfELi16ELb1ELb1ELc78ELc76EKPKS1_KPS1_EviT_T0_PT6_S7_lSA_S7_lS8_PT7_S7_li ; -- Begin function _ZL32rocblas_syrkx_herkx_small_kernelIl19rocblas_complex_numIfELi16ELb1ELb1ELc78ELc76EKPKS1_KPS1_EviT_T0_PT6_S7_lSA_S7_lS8_PT7_S7_li
	.p2align	8
	.type	_ZL32rocblas_syrkx_herkx_small_kernelIl19rocblas_complex_numIfELi16ELb1ELb1ELc78ELc76EKPKS1_KPS1_EviT_T0_PT6_S7_lSA_S7_lS8_PT7_S7_li,@function
_ZL32rocblas_syrkx_herkx_small_kernelIl19rocblas_complex_numIfELi16ELb1ELb1ELc78ELc76EKPKS1_KPS1_EviT_T0_PT6_S7_lSA_S7_lS8_PT7_S7_li: ; @_ZL32rocblas_syrkx_herkx_small_kernelIl19rocblas_complex_numIfELi16ELb1ELb1ELc78ELc76EKPKS1_KPS1_EviT_T0_PT6_S7_lSA_S7_lS8_PT7_S7_li
; %bb.0:
	s_clause 0x2
	s_load_b128 s[16:19], s[0:1], 0x50
	s_load_b256 s[4:11], s[0:1], 0x8
	s_load_b32 s3, s[0:1], 0x0
	s_mov_b32 s20, s15
	s_mov_b32 s21, 0
	v_dual_mov_b32 v17, 0 :: v_dual_and_b32 v10, 0x3ff, v0
	s_lshl_b64 s[20:21], s[20:21], 3
	v_bfe_u32 v11, v0, 10, 10
	v_mov_b32_e32 v16, 0
	s_delay_alu instid0(VALU_DEP_3) | instskip(NEXT) | instid1(VALU_DEP_3)
	v_lshl_add_u32 v0, s13, 4, v10
	v_lshl_add_u32 v2, s14, 4, v11
	s_delay_alu instid0(VALU_DEP_2) | instskip(NEXT) | instid1(VALU_DEP_2)
	v_ashrrev_i32_e32 v1, 31, v0
	v_ashrrev_i32_e32 v3, 31, v2
	s_waitcnt lgkmcnt(0)
	s_add_u32 s16, s16, s20
	s_addc_u32 s17, s17, s21
	v_cmp_lt_i64_e64 s2, s[4:5], 1
	s_load_b64 s[16:17], s[16:17], 0x0
	s_delay_alu instid0(VALU_DEP_1)
	s_and_b32 vcc_lo, exec_lo, s2
	v_cmp_gt_i32_e64 s2, s3, v0
	s_cbranch_vccnz .LBB1746_11
; %bb.1:
	s_load_b128 s[12:15], s[0:1], 0x30
	v_mad_u64_u32 v[7:8], null, s10, v11, 0
	v_dual_mov_b32 v4, 0 :: v_dual_lshlrev_b32 v9, 7, v11
	v_lshlrev_b32_e32 v12, 3, v10
	v_mov_b32_e32 v16, 0
	v_lshlrev_b64 v[17:18], 3, v[2:3]
	v_lshlrev_b64 v[19:20], 3, v[0:1]
	v_add_nc_u32_e32 v13, 0x800, v9
	v_mad_u64_u32 v[21:22], null, s11, v11, v[8:9]
	v_cmp_gt_i32_e32 vcc_lo, s3, v2
	s_delay_alu instid0(VALU_DEP_2)
	v_mov_b32_e32 v8, v21
	s_waitcnt lgkmcnt(0)
	v_mad_u64_u32 v[5:6], null, s14, v10, 0
	s_add_u32 s0, s12, s20
	s_addc_u32 s1, s13, s21
	s_add_u32 s8, s8, s20
	s_load_b64 s[12:13], s[0:1], 0x0
	s_addc_u32 s9, s9, s21
	s_lshl_b64 s[10:11], s[10:11], 7
	s_delay_alu instid0(VALU_DEP_1) | instskip(SKIP_4) | instid1(VALU_DEP_2)
	v_mad_u64_u32 v[14:15], null, s15, v10, v[6:7]
	s_load_b64 s[20:21], s[8:9], 0x0
	v_lshlrev_b64 v[7:8], 3, v[7:8]
	s_lshl_b64 s[8:9], s[14:15], 7
	s_xor_b32 s2, s2, -1
	v_mov_b32_e32 v6, v14
	s_delay_alu instid0(VALU_DEP_1) | instskip(NEXT) | instid1(VALU_DEP_1)
	v_lshlrev_b64 v[5:6], 3, v[5:6]
	v_add_co_u32 v5, s0, v5, v17
	s_delay_alu instid0(VALU_DEP_1) | instskip(SKIP_1) | instid1(VALU_DEP_1)
	v_add_co_ci_u32_e64 v6, s0, v6, v18, s0
	v_add_co_u32 v7, s0, v7, v19
	v_add_co_ci_u32_e64 v8, s0, v8, v20, s0
	s_waitcnt lgkmcnt(0)
	v_add_co_u32 v5, s0, v5, s12
	v_mov_b32_e32 v17, 0
	v_add_nc_u32_e32 v15, v13, v12
	v_add_nc_u32_e32 v14, v12, v9
	v_add_co_ci_u32_e64 v9, s0, s13, v6, s0
	v_add_co_u32 v6, s0, s20, v7
	s_delay_alu instid0(VALU_DEP_1) | instskip(SKIP_1) | instid1(VALU_DEP_1)
	v_add_co_ci_u32_e64 v7, s0, s21, v8, s0
	v_add_co_u32 v8, s0, v5, 4
	v_add_co_ci_u32_e64 v9, s0, 0, v9, s0
	s_mov_b64 s[0:1], 0
	s_xor_b32 s12, vcc_lo, -1
	s_branch .LBB1746_3
.LBB1746_2:                             ;   in Loop: Header=BB1746_3 Depth=1
	s_or_b32 exec_lo, exec_lo, s13
	ds_store_b32 v15, v5 offset:4
	s_waitcnt lgkmcnt(0)
	s_barrier
	buffer_gl0_inv
	ds_load_2addr_b64 v[18:21], v12 offset1:16
	ds_load_b128 v[22:25], v13
	ds_load_b128 v[26:29], v13 offset:16
	ds_load_2addr_b64 v[30:33], v12 offset0:32 offset1:48
	ds_load_2addr_b64 v[34:37], v12 offset0:64 offset1:80
	ds_load_b128 v[38:41], v13 offset:32
	ds_load_b128 v[42:45], v13 offset:48
	ds_load_2addr_b64 v[46:49], v12 offset0:96 offset1:112
	ds_load_2addr_b64 v[50:53], v12 offset0:128 offset1:144
	ds_load_2addr_b64 v[54:57], v12 offset0:160 offset1:176
	ds_load_b128 v[58:61], v13 offset:64
	ds_load_b128 v[62:65], v13 offset:80
	s_add_u32 s0, s0, 16
	s_addc_u32 s1, s1, 0
	v_add_co_u32 v8, vcc_lo, v8, s8
	v_cmp_ge_i64_e64 s13, s[0:1], s[4:5]
	v_add_co_ci_u32_e32 v9, vcc_lo, s9, v9, vcc_lo
	v_add_co_u32 v6, vcc_lo, v6, s10
	s_waitcnt lgkmcnt(10)
	v_dual_mul_f32 v5, v23, v19 :: v_dual_mul_f32 v66, v25, v21
	s_waitcnt lgkmcnt(8)
	v_dual_mul_f32 v19, v22, v19 :: v_dual_mul_f32 v68, v29, v33
	v_mul_f32_e32 v21, v24, v21
	s_delay_alu instid0(VALU_DEP_3) | instskip(SKIP_1) | instid1(VALU_DEP_3)
	v_fma_f32 v5, v22, v18, -v5
	s_waitcnt lgkmcnt(6)
	v_dual_mul_f32 v22, v38, v35 :: v_dual_fmac_f32 v19, v23, v18
	v_fma_f32 v18, v24, v20, -v66
	v_fmac_f32_e32 v21, v25, v20
	v_add_f32_e32 v5, v17, v5
	v_fma_f32 v20, v28, v32, -v68
	v_add_f32_e32 v16, v16, v19
	v_mul_f32_e32 v67, v27, v31
	v_mul_f32_e32 v31, v26, v31
	v_add_f32_e32 v5, v5, v18
	s_waitcnt lgkmcnt(4)
	v_dual_mul_f32 v33, v28, v33 :: v_dual_mul_f32 v18, v43, v47
	v_add_f32_e32 v16, v16, v21
	v_fma_f32 v19, v26, v30, -v67
	v_mul_f32_e32 v17, v40, v37
	s_waitcnt lgkmcnt(1)
	v_dual_fmac_f32 v33, v29, v32 :: v_dual_mul_f32 v24, v58, v51
	v_fma_f32 v18, v42, v46, -v18
	v_add_f32_e32 v5, v5, v19
	v_dual_mul_f32 v25, v61, v53 :: v_dual_fmac_f32 v22, v39, v34
	s_delay_alu instid0(VALU_DEP_4) | instskip(SKIP_1) | instid1(VALU_DEP_4)
	v_fmac_f32_e32 v24, v59, v50
	v_add_co_ci_u32_e32 v7, vcc_lo, s11, v7, vcc_lo
	v_add_f32_e32 v5, v5, v20
	v_dual_mul_f32 v20, v45, v49 :: v_dual_fmac_f32 v31, v27, v30
	v_fma_f32 v25, v60, v52, -v25
	s_and_b32 vcc_lo, exec_lo, s13
	s_waitcnt lgkmcnt(0)
	v_mul_f32_e32 v32, v62, v55
	v_add_f32_e32 v16, v16, v31
	v_mul_f32_e32 v69, v39, v35
	s_delay_alu instid0(VALU_DEP_3) | instskip(NEXT) | instid1(VALU_DEP_3)
	v_dual_mul_f32 v35, v41, v37 :: v_dual_fmac_f32 v32, v63, v54
	v_add_f32_e32 v16, v16, v33
	s_delay_alu instid0(VALU_DEP_3) | instskip(NEXT) | instid1(VALU_DEP_3)
	v_fma_f32 v21, v38, v34, -v69
	v_fma_f32 v23, v40, v36, -v35
	s_delay_alu instid0(VALU_DEP_3) | instskip(NEXT) | instid1(VALU_DEP_3)
	v_dual_mul_f32 v35, v65, v57 :: v_dual_add_f32 v16, v16, v22
	v_add_f32_e32 v5, v5, v21
	v_dual_mul_f32 v21, v44, v49 :: v_dual_mul_f32 v22, v59, v51
	v_dual_fmac_f32 v17, v41, v36 :: v_dual_mul_f32 v36, v64, v57
	v_mul_f32_e32 v27, v60, v53
	s_delay_alu instid0(VALU_DEP_3) | instskip(NEXT) | instid1(VALU_DEP_3)
	v_fmac_f32_e32 v21, v45, v48
	v_dual_mul_f32 v19, v42, v47 :: v_dual_add_f32 v16, v16, v17
	v_fma_f32 v17, v44, v48, -v20
	v_fmac_f32_e32 v36, v65, v56
	v_fmac_f32_e32 v27, v61, v52
	s_delay_alu instid0(VALU_DEP_4) | instskip(NEXT) | instid1(VALU_DEP_1)
	v_fmac_f32_e32 v19, v43, v46
	v_add_f32_e32 v16, v16, v19
	s_delay_alu instid0(VALU_DEP_1) | instskip(NEXT) | instid1(VALU_DEP_1)
	v_add_f32_e32 v26, v16, v21
	v_dual_add_f32 v24, v26, v24 :: v_dual_add_f32 v5, v5, v23
	v_mul_f32_e32 v26, v63, v55
	s_delay_alu instid0(VALU_DEP_2) | instskip(NEXT) | instid1(VALU_DEP_2)
	v_add_f32_e32 v33, v24, v27
	v_fma_f32 v34, v62, v54, -v26
	s_delay_alu instid0(VALU_DEP_2) | instskip(SKIP_3) | instid1(VALU_DEP_3)
	v_add_f32_e32 v32, v33, v32
	v_add_f32_e32 v5, v5, v18
	v_fma_f32 v18, v58, v50, -v22
	v_fma_f32 v33, v64, v56, -v35
	v_dual_add_f32 v32, v32, v36 :: v_dual_add_f32 v5, v5, v17
	s_delay_alu instid0(VALU_DEP_1)
	v_add_f32_e32 v5, v5, v18
	ds_load_2addr_b64 v[16:19], v12 offset0:192 offset1:208
	ds_load_b128 v[20:23], v13 offset:96
	v_add_f32_e32 v5, v5, v25
	ds_load_2addr_b64 v[24:27], v12 offset0:224 offset1:240
	ds_load_b128 v[28:31], v13 offset:112
	s_waitcnt lgkmcnt(0)
	s_barrier
	buffer_gl0_inv
	v_add_f32_e32 v5, v5, v34
	s_delay_alu instid0(VALU_DEP_1) | instskip(SKIP_2) | instid1(VALU_DEP_2)
	v_add_f32_e32 v5, v5, v33
	v_mul_f32_e32 v34, v21, v17
	v_mul_f32_e32 v17, v20, v17
	v_fma_f32 v20, v20, v16, -v34
	s_delay_alu instid0(VALU_DEP_1) | instskip(NEXT) | instid1(VALU_DEP_1)
	v_dual_add_f32 v5, v5, v20 :: v_dual_mul_f32 v20, v28, v25
	v_fmac_f32_e32 v20, v29, v24
	s_delay_alu instid0(VALU_DEP_4) | instskip(SKIP_1) | instid1(VALU_DEP_2)
	v_dual_fmac_f32 v17, v21, v16 :: v_dual_mul_f32 v16, v23, v19
	v_mul_f32_e32 v19, v22, v19
	v_add_f32_e32 v17, v32, v17
	s_delay_alu instid0(VALU_DEP_3) | instskip(NEXT) | instid1(VALU_DEP_3)
	v_fma_f32 v16, v22, v18, -v16
	v_dual_fmac_f32 v19, v23, v18 :: v_dual_mul_f32 v18, v29, v25
	s_delay_alu instid0(VALU_DEP_2) | instskip(NEXT) | instid1(VALU_DEP_2)
	v_add_f32_e32 v5, v5, v16
	v_add_f32_e32 v16, v17, v19
	s_delay_alu instid0(VALU_DEP_3) | instskip(SKIP_2) | instid1(VALU_DEP_3)
	v_fma_f32 v17, v28, v24, -v18
	v_mul_f32_e32 v18, v31, v27
	v_mul_f32_e32 v19, v30, v27
	v_add_f32_e32 v5, v5, v17
	s_delay_alu instid0(VALU_DEP_3) | instskip(NEXT) | instid1(VALU_DEP_3)
	v_fma_f32 v17, v30, v26, -v18
	v_dual_fmac_f32 v19, v31, v26 :: v_dual_add_f32 v16, v16, v20
	s_delay_alu instid0(VALU_DEP_1)
	v_dual_add_f32 v17, v5, v17 :: v_dual_add_f32 v16, v16, v19
	s_cbranch_vccnz .LBB1746_11
.LBB1746_3:                             ; =>This Inner Loop Header: Depth=1
	v_add_co_u32 v18, s13, v11, s0
	s_delay_alu instid0(VALU_DEP_1) | instskip(NEXT) | instid1(VALU_DEP_1)
	v_add_co_ci_u32_e64 v19, null, 0, s1, s13
	v_cmp_le_i64_e32 vcc_lo, s[4:5], v[18:19]
	s_or_b32 s13, s2, vcc_lo
	s_delay_alu instid0(SALU_CYCLE_1) | instskip(NEXT) | instid1(SALU_CYCLE_1)
	s_and_saveexec_b32 s14, s13
	s_xor_b32 s13, exec_lo, s14
	s_cbranch_execz .LBB1746_5
; %bb.4:                                ;   in Loop: Header=BB1746_3 Depth=1
	v_mov_b32_e32 v5, v4
	ds_store_b64 v14, v[4:5]
.LBB1746_5:                             ;   in Loop: Header=BB1746_3 Depth=1
	s_and_not1_saveexec_b32 s13, s13
	s_cbranch_execz .LBB1746_7
; %bb.6:                                ;   in Loop: Header=BB1746_3 Depth=1
	global_load_b64 v[18:19], v[6:7], off
	s_waitcnt vmcnt(0)
	ds_store_b64 v14, v[18:19]
.LBB1746_7:                             ;   in Loop: Header=BB1746_3 Depth=1
	s_or_b32 exec_lo, exec_lo, s13
	v_add_co_u32 v18, s13, v10, s0
	s_delay_alu instid0(VALU_DEP_1) | instskip(NEXT) | instid1(VALU_DEP_1)
	v_add_co_ci_u32_e64 v19, null, 0, s1, s13
                                        ; implicit-def: $sgpr14
	v_cmp_le_i64_e32 vcc_lo, s[4:5], v[18:19]
	s_or_b32 s13, s12, vcc_lo
	s_delay_alu instid0(SALU_CYCLE_1) | instskip(NEXT) | instid1(SALU_CYCLE_1)
	s_and_saveexec_b32 s15, s13
	s_xor_b32 s13, exec_lo, s15
	s_cbranch_execz .LBB1746_9
; %bb.8:                                ;   in Loop: Header=BB1746_3 Depth=1
	s_mov_b32 s14, 0
	ds_store_b32 v15, v4
.LBB1746_9:                             ;   in Loop: Header=BB1746_3 Depth=1
	s_or_saveexec_b32 s13, s13
	v_mov_b32_e32 v5, s14
	s_xor_b32 exec_lo, exec_lo, s13
	s_cbranch_execz .LBB1746_2
; %bb.10:                               ;   in Loop: Header=BB1746_3 Depth=1
	global_load_b64 v[18:19], v[8:9], off offset:-4
	s_waitcnt vmcnt(0)
	v_xor_b32_e32 v5, 0x80000000, v19
	ds_store_b32 v15, v18
	s_branch .LBB1746_2
.LBB1746_11:
	v_cmp_le_i32_e32 vcc_lo, v2, v0
	v_cmp_gt_i32_e64 s0, s3, v0
	s_delay_alu instid0(VALU_DEP_1) | instskip(NEXT) | instid1(SALU_CYCLE_1)
	s_and_b32 s0, vcc_lo, s0
	s_and_saveexec_b32 s1, s0
	s_cbranch_execz .LBB1746_14
; %bb.12:
	v_mul_lo_u32 v5, v2, s19
	v_mul_lo_u32 v6, v3, s18
	v_mad_u64_u32 v[3:4], null, v2, s18, 0
	v_lshlrev_b64 v[7:8], 3, v[0:1]
	s_delay_alu instid0(VALU_DEP_2) | instskip(SKIP_2) | instid1(VALU_DEP_3)
	v_add3_u32 v4, v4, v5, v6
	v_mul_f32_e32 v6, s6, v16
	v_mul_f32_e32 v5, s7, v16
	v_lshlrev_b64 v[3:4], 3, v[3:4]
	s_delay_alu instid0(VALU_DEP_3) | instskip(NEXT) | instid1(VALU_DEP_3)
	v_fmac_f32_e32 v6, s7, v17
	v_fma_f32 v5, v17, s6, -v5
	s_waitcnt lgkmcnt(0)
	s_delay_alu instid0(VALU_DEP_3) | instskip(NEXT) | instid1(VALU_DEP_4)
	v_add_co_u32 v1, vcc_lo, s16, v3
	v_add_co_ci_u32_e32 v4, vcc_lo, s17, v4, vcc_lo
	s_delay_alu instid0(VALU_DEP_2) | instskip(NEXT) | instid1(VALU_DEP_2)
	v_add_co_u32 v3, vcc_lo, v1, v7
	v_add_co_ci_u32_e32 v4, vcc_lo, v4, v8, vcc_lo
	v_cmp_eq_u32_e32 vcc_lo, v0, v2
	global_store_b64 v[3:4], v[5:6], off
	s_and_b32 exec_lo, exec_lo, vcc_lo
	s_cbranch_execz .LBB1746_14
; %bb.13:
	v_mov_b32_e32 v0, 0
	global_store_b32 v[3:4], v0, off offset:4
.LBB1746_14:
	s_nop 0
	s_sendmsg sendmsg(MSG_DEALLOC_VGPRS)
	s_endpgm
	.section	.rodata,"a",@progbits
	.p2align	6, 0x0
	.amdhsa_kernel _ZL32rocblas_syrkx_herkx_small_kernelIl19rocblas_complex_numIfELi16ELb1ELb1ELc78ELc76EKPKS1_KPS1_EviT_T0_PT6_S7_lSA_S7_lS8_PT7_S7_li
		.amdhsa_group_segment_fixed_size 4096
		.amdhsa_private_segment_fixed_size 0
		.amdhsa_kernarg_size 108
		.amdhsa_user_sgpr_count 13
		.amdhsa_user_sgpr_dispatch_ptr 0
		.amdhsa_user_sgpr_queue_ptr 0
		.amdhsa_user_sgpr_kernarg_segment_ptr 1
		.amdhsa_user_sgpr_dispatch_id 0
		.amdhsa_user_sgpr_private_segment_size 0
		.amdhsa_wavefront_size32 1
		.amdhsa_uses_dynamic_stack 0
		.amdhsa_enable_private_segment 0
		.amdhsa_system_sgpr_workgroup_id_x 1
		.amdhsa_system_sgpr_workgroup_id_y 1
		.amdhsa_system_sgpr_workgroup_id_z 1
		.amdhsa_system_sgpr_workgroup_info 0
		.amdhsa_system_vgpr_workitem_id 1
		.amdhsa_next_free_vgpr 70
		.amdhsa_next_free_sgpr 22
		.amdhsa_reserve_vcc 1
		.amdhsa_float_round_mode_32 0
		.amdhsa_float_round_mode_16_64 0
		.amdhsa_float_denorm_mode_32 3
		.amdhsa_float_denorm_mode_16_64 3
		.amdhsa_dx10_clamp 1
		.amdhsa_ieee_mode 1
		.amdhsa_fp16_overflow 0
		.amdhsa_workgroup_processor_mode 1
		.amdhsa_memory_ordered 1
		.amdhsa_forward_progress 0
		.amdhsa_shared_vgpr_count 0
		.amdhsa_exception_fp_ieee_invalid_op 0
		.amdhsa_exception_fp_denorm_src 0
		.amdhsa_exception_fp_ieee_div_zero 0
		.amdhsa_exception_fp_ieee_overflow 0
		.amdhsa_exception_fp_ieee_underflow 0
		.amdhsa_exception_fp_ieee_inexact 0
		.amdhsa_exception_int_div_zero 0
	.end_amdhsa_kernel
	.section	.text._ZL32rocblas_syrkx_herkx_small_kernelIl19rocblas_complex_numIfELi16ELb1ELb1ELc78ELc76EKPKS1_KPS1_EviT_T0_PT6_S7_lSA_S7_lS8_PT7_S7_li,"axG",@progbits,_ZL32rocblas_syrkx_herkx_small_kernelIl19rocblas_complex_numIfELi16ELb1ELb1ELc78ELc76EKPKS1_KPS1_EviT_T0_PT6_S7_lSA_S7_lS8_PT7_S7_li,comdat
.Lfunc_end1746:
	.size	_ZL32rocblas_syrkx_herkx_small_kernelIl19rocblas_complex_numIfELi16ELb1ELb1ELc78ELc76EKPKS1_KPS1_EviT_T0_PT6_S7_lSA_S7_lS8_PT7_S7_li, .Lfunc_end1746-_ZL32rocblas_syrkx_herkx_small_kernelIl19rocblas_complex_numIfELi16ELb1ELb1ELc78ELc76EKPKS1_KPS1_EviT_T0_PT6_S7_lSA_S7_lS8_PT7_S7_li
                                        ; -- End function
	.section	.AMDGPU.csdata,"",@progbits
; Kernel info:
; codeLenInByte = 1572
; NumSgprs: 24
; NumVgprs: 70
; ScratchSize: 0
; MemoryBound: 1
; FloatMode: 240
; IeeeMode: 1
; LDSByteSize: 4096 bytes/workgroup (compile time only)
; SGPRBlocks: 2
; VGPRBlocks: 8
; NumSGPRsForWavesPerEU: 24
; NumVGPRsForWavesPerEU: 70
; Occupancy: 16
; WaveLimiterHint : 1
; COMPUTE_PGM_RSRC2:SCRATCH_EN: 0
; COMPUTE_PGM_RSRC2:USER_SGPR: 13
; COMPUTE_PGM_RSRC2:TRAP_HANDLER: 0
; COMPUTE_PGM_RSRC2:TGID_X_EN: 1
; COMPUTE_PGM_RSRC2:TGID_Y_EN: 1
; COMPUTE_PGM_RSRC2:TGID_Z_EN: 1
; COMPUTE_PGM_RSRC2:TIDIG_COMP_CNT: 1
	.section	.text._ZL32rocblas_syrkx_herkx_small_kernelIl19rocblas_complex_numIfELi16ELb1ELb1ELc84ELc85EKPKS1_KPS1_EviT_T0_PT6_S7_lSA_S7_lS8_PT7_S7_li,"axG",@progbits,_ZL32rocblas_syrkx_herkx_small_kernelIl19rocblas_complex_numIfELi16ELb1ELb1ELc84ELc85EKPKS1_KPS1_EviT_T0_PT6_S7_lSA_S7_lS8_PT7_S7_li,comdat
	.globl	_ZL32rocblas_syrkx_herkx_small_kernelIl19rocblas_complex_numIfELi16ELb1ELb1ELc84ELc85EKPKS1_KPS1_EviT_T0_PT6_S7_lSA_S7_lS8_PT7_S7_li ; -- Begin function _ZL32rocblas_syrkx_herkx_small_kernelIl19rocblas_complex_numIfELi16ELb1ELb1ELc84ELc85EKPKS1_KPS1_EviT_T0_PT6_S7_lSA_S7_lS8_PT7_S7_li
	.p2align	8
	.type	_ZL32rocblas_syrkx_herkx_small_kernelIl19rocblas_complex_numIfELi16ELb1ELb1ELc84ELc85EKPKS1_KPS1_EviT_T0_PT6_S7_lSA_S7_lS8_PT7_S7_li,@function
_ZL32rocblas_syrkx_herkx_small_kernelIl19rocblas_complex_numIfELi16ELb1ELb1ELc84ELc85EKPKS1_KPS1_EviT_T0_PT6_S7_lSA_S7_lS8_PT7_S7_li: ; @_ZL32rocblas_syrkx_herkx_small_kernelIl19rocblas_complex_numIfELi16ELb1ELb1ELc84ELc85EKPKS1_KPS1_EviT_T0_PT6_S7_lSA_S7_lS8_PT7_S7_li
; %bb.0:
	s_clause 0x2
	s_load_b128 s[16:19], s[0:1], 0x50
	s_load_b256 s[4:11], s[0:1], 0x8
	s_load_b32 s3, s[0:1], 0x0
	s_mov_b32 s20, s15
	s_mov_b32 s21, 0
	v_dual_mov_b32 v17, 0 :: v_dual_and_b32 v10, 0x3ff, v0
	s_lshl_b64 s[20:21], s[20:21], 3
	v_bfe_u32 v11, v0, 10, 10
	v_mov_b32_e32 v16, 0
	s_delay_alu instid0(VALU_DEP_3) | instskip(NEXT) | instid1(VALU_DEP_3)
	v_lshl_add_u32 v0, s13, 4, v10
	v_lshl_add_u32 v8, s14, 4, v11
	s_delay_alu instid0(VALU_DEP_2) | instskip(NEXT) | instid1(VALU_DEP_2)
	v_ashrrev_i32_e32 v1, 31, v0
	v_ashrrev_i32_e32 v9, 31, v8
	s_waitcnt lgkmcnt(0)
	s_add_u32 s16, s16, s20
	s_addc_u32 s17, s17, s21
	v_cmp_lt_i64_e64 s2, s[4:5], 1
	s_load_b64 s[16:17], s[16:17], 0x0
	s_delay_alu instid0(VALU_DEP_1)
	s_and_b32 vcc_lo, exec_lo, s2
	v_cmp_gt_i32_e64 s2, s3, v8
	s_cbranch_vccnz .LBB1747_11
; %bb.1:
	s_load_b128 s[12:15], s[0:1], 0x30
	v_mul_lo_u32 v14, s11, v0
	v_mul_lo_u32 v15, s10, v1
	v_mad_u64_u32 v[5:6], null, s10, v0, 0
	v_lshlrev_b32_e32 v12, 3, v10
	v_dual_mov_b32 v2, 0 :: v_dual_lshlrev_b32 v7, 7, v11
	v_lshlrev_b32_e32 v17, 3, v11
	v_cmp_gt_i32_e32 vcc_lo, s3, v0
	v_add3_u32 v6, v6, v15, v14
	s_delay_alu instid0(VALU_DEP_4) | instskip(NEXT) | instid1(VALU_DEP_2)
	v_add_nc_u32_e32 v14, v12, v7
	v_lshlrev_b64 v[5:6], 3, v[5:6]
	s_waitcnt lgkmcnt(0)
	v_mul_lo_u32 v13, s15, v8
	v_mul_lo_u32 v16, s14, v9
	v_mad_u64_u32 v[3:4], null, s14, v8, 0
	s_add_u32 s0, s12, s20
	s_addc_u32 s1, s13, s21
	s_add_u32 s8, s8, s20
	s_load_b64 s[10:11], s[0:1], 0x0
	s_addc_u32 s9, s9, s21
	s_xor_b32 s2, s2, -1
	s_delay_alu instid0(VALU_DEP_1) | instskip(SKIP_3) | instid1(VALU_DEP_3)
	v_add3_u32 v4, v4, v16, v13
	v_mov_b32_e32 v16, 0
	s_load_b64 s[8:9], s[8:9], 0x0
	v_add_nc_u32_e32 v13, 0x800, v7
	v_lshlrev_b64 v[3:4], 3, v[3:4]
	s_delay_alu instid0(VALU_DEP_1) | instskip(NEXT) | instid1(VALU_DEP_1)
	v_add_co_u32 v3, s0, v3, v12
	v_add_co_ci_u32_e64 v7, s0, 0, v4, s0
	v_add_co_u32 v17, s0, v5, v17
	s_delay_alu instid0(VALU_DEP_1) | instskip(SKIP_2) | instid1(VALU_DEP_1)
	v_add_co_ci_u32_e64 v18, s0, 0, v6, s0
	s_waitcnt lgkmcnt(0)
	v_add_co_u32 v4, s0, s10, v3
	v_add_co_ci_u32_e64 v5, s0, s11, v7, s0
	v_add_co_u32 v6, s0, s8, v17
	s_delay_alu instid0(VALU_DEP_1)
	v_add_co_ci_u32_e64 v7, s0, s9, v18, s0
	v_mov_b32_e32 v17, 0
	v_add_nc_u32_e32 v15, v13, v12
	s_mov_b64 s[0:1], 0
	s_xor_b32 s8, vcc_lo, -1
	s_branch .LBB1747_3
.LBB1747_2:                             ;   in Loop: Header=BB1747_3 Depth=1
	s_or_b32 exec_lo, exec_lo, s9
	s_waitcnt lgkmcnt(0)
	s_barrier
	buffer_gl0_inv
	ds_load_2addr_b64 v[18:21], v12 offset1:16
	ds_load_b128 v[22:25], v13
	ds_load_b128 v[26:29], v13 offset:16
	ds_load_2addr_b64 v[30:33], v12 offset0:32 offset1:48
	ds_load_2addr_b64 v[34:37], v12 offset0:64 offset1:80
	ds_load_b128 v[38:41], v13 offset:32
	ds_load_b128 v[42:45], v13 offset:48
	ds_load_2addr_b64 v[46:49], v12 offset0:96 offset1:112
	ds_load_2addr_b64 v[50:53], v12 offset0:128 offset1:144
	;; [unrolled: 1-line block ×3, first 2 shown]
	ds_load_b128 v[58:61], v13 offset:64
	ds_load_b128 v[62:65], v13 offset:80
	s_add_u32 s0, s0, 16
	s_addc_u32 s1, s1, 0
	v_add_co_u32 v4, vcc_lo, 0x80, v4
	v_cmp_ge_i64_e64 s9, s[0:1], s[4:5]
	v_add_co_ci_u32_e32 v5, vcc_lo, 0, v5, vcc_lo
	v_add_co_u32 v6, vcc_lo, 0x80, v6
	s_waitcnt lgkmcnt(10)
	v_dual_mul_f32 v3, v23, v19 :: v_dual_mul_f32 v66, v25, v21
	s_waitcnt lgkmcnt(8)
	v_dual_mul_f32 v19, v22, v19 :: v_dual_mul_f32 v68, v29, v33
	v_mul_f32_e32 v21, v24, v21
	v_mul_f32_e32 v67, v27, v31
	;; [unrolled: 1-line block ×3, first 2 shown]
	s_delay_alu instid0(VALU_DEP_4)
	v_fmac_f32_e32 v19, v23, v18
	v_fma_f32 v3, v22, v18, -v3
	s_waitcnt lgkmcnt(6)
	v_dual_fmac_f32 v21, v25, v20 :: v_dual_mul_f32 v18, v40, v37
	v_mul_f32_e32 v33, v28, v33
	v_add_f32_e32 v16, v16, v19
	v_mul_f32_e32 v69, v39, v35
	v_fmac_f32_e32 v31, v27, v30
	v_fma_f32 v23, v24, v20, -v66
	v_fmac_f32_e32 v18, v41, v36
	v_dual_add_f32 v16, v16, v21 :: v_dual_fmac_f32 v33, v29, v32
	s_waitcnt lgkmcnt(1)
	v_mul_f32_e32 v24, v58, v51
	v_mul_f32_e32 v20, v42, v47
	v_add_f32_e32 v3, v17, v3
	v_add_f32_e32 v16, v16, v31
	v_mul_f32_e32 v35, v38, v35
	v_fma_f32 v21, v28, v32, -v68
	s_waitcnt lgkmcnt(0)
	v_mul_f32_e32 v32, v62, v55
	v_mul_f32_e32 v22, v41, v37
	v_dual_add_f32 v16, v16, v33 :: v_dual_fmac_f32 v35, v39, v34
	v_fma_f32 v19, v26, v30, -v67
	v_dual_fmac_f32 v20, v43, v46 :: v_dual_mul_f32 v27, v60, v53
	s_delay_alu instid0(VALU_DEP_4) | instskip(NEXT) | instid1(VALU_DEP_4)
	v_fma_f32 v22, v40, v36, -v22
	v_add_f32_e32 v16, v16, v35
	v_mul_f32_e32 v17, v43, v47
	v_add_co_ci_u32_e32 v7, vcc_lo, 0, v7, vcc_lo
	v_fmac_f32_e32 v24, v59, v50
	s_delay_alu instid0(VALU_DEP_4) | instskip(SKIP_3) | instid1(VALU_DEP_4)
	v_dual_add_f32 v16, v16, v18 :: v_dual_add_f32 v3, v3, v23
	v_mul_f32_e32 v26, v61, v53
	v_fma_f32 v23, v38, v34, -v69
	v_fmac_f32_e32 v27, v61, v52
	v_dual_add_f32 v20, v16, v20 :: v_dual_add_f32 v3, v3, v19
	v_mul_f32_e32 v19, v45, v49
	v_fma_f32 v17, v42, v46, -v17
	v_fmac_f32_e32 v32, v63, v54
	s_and_b32 vcc_lo, exec_lo, s9
	v_add_f32_e32 v3, v3, v21
	v_mul_f32_e32 v21, v44, v49
	s_delay_alu instid0(VALU_DEP_1) | instskip(NEXT) | instid1(VALU_DEP_1)
	v_dual_mul_f32 v36, v64, v57 :: v_dual_fmac_f32 v21, v45, v48
	v_dual_fmac_f32 v36, v65, v56 :: v_dual_add_f32 v25, v20, v21
	s_delay_alu instid0(VALU_DEP_1) | instskip(SKIP_2) | instid1(VALU_DEP_3)
	v_dual_add_f32 v24, v25, v24 :: v_dual_add_f32 v3, v3, v23
	v_fma_f32 v25, v60, v52, -v26
	v_mul_f32_e32 v26, v63, v55
	v_add_f32_e32 v33, v24, v27
	s_delay_alu instid0(VALU_DEP_4) | instskip(SKIP_3) | instid1(VALU_DEP_4)
	v_add_f32_e32 v3, v3, v22
	v_mul_f32_e32 v23, v59, v51
	v_fma_f32 v22, v44, v48, -v19
	v_fma_f32 v34, v62, v54, -v26
	v_dual_add_f32 v32, v33, v32 :: v_dual_add_f32 v3, v3, v17
	ds_load_2addr_b64 v[16:19], v12 offset0:192 offset1:208
	v_fma_f32 v23, v58, v50, -v23
	v_dual_add_f32 v32, v32, v36 :: v_dual_add_f32 v3, v3, v22
	s_delay_alu instid0(VALU_DEP_1)
	v_add_f32_e32 v3, v3, v23
	ds_load_b128 v[20:23], v13 offset:96
	v_add_f32_e32 v3, v3, v25
	ds_load_2addr_b64 v[24:27], v12 offset0:224 offset1:240
	ds_load_b128 v[28:31], v13 offset:112
	v_mul_f32_e32 v35, v65, v57
	s_waitcnt lgkmcnt(0)
	s_barrier
	v_add_f32_e32 v3, v3, v34
	buffer_gl0_inv
	v_fma_f32 v33, v64, v56, -v35
	s_delay_alu instid0(VALU_DEP_1) | instskip(SKIP_2) | instid1(VALU_DEP_2)
	v_add_f32_e32 v3, v3, v33
	v_mul_f32_e32 v34, v21, v17
	v_mul_f32_e32 v17, v20, v17
	v_fma_f32 v20, v20, v16, -v34
	s_delay_alu instid0(VALU_DEP_2) | instskip(SKIP_1) | instid1(VALU_DEP_3)
	v_dual_fmac_f32 v17, v21, v16 :: v_dual_mul_f32 v16, v23, v19
	v_mul_f32_e32 v19, v22, v19
	v_add_f32_e32 v3, v3, v20
	s_delay_alu instid0(VALU_DEP_3) | instskip(NEXT) | instid1(VALU_DEP_4)
	v_add_f32_e32 v17, v32, v17
	v_fma_f32 v16, v22, v18, -v16
	s_delay_alu instid0(VALU_DEP_4) | instskip(NEXT) | instid1(VALU_DEP_2)
	v_dual_fmac_f32 v19, v23, v18 :: v_dual_mul_f32 v18, v29, v25
	v_dual_mul_f32 v20, v28, v25 :: v_dual_add_f32 v3, v3, v16
	s_delay_alu instid0(VALU_DEP_2) | instskip(NEXT) | instid1(VALU_DEP_3)
	v_add_f32_e32 v16, v17, v19
	v_fma_f32 v17, v28, v24, -v18
	s_delay_alu instid0(VALU_DEP_3) | instskip(SKIP_2) | instid1(VALU_DEP_3)
	v_fmac_f32_e32 v20, v29, v24
	v_mul_f32_e32 v18, v31, v27
	v_mul_f32_e32 v19, v30, v27
	v_dual_add_f32 v3, v3, v17 :: v_dual_add_f32 v16, v16, v20
	s_delay_alu instid0(VALU_DEP_3) | instskip(NEXT) | instid1(VALU_DEP_3)
	v_fma_f32 v17, v30, v26, -v18
	v_fmac_f32_e32 v19, v31, v26
	s_delay_alu instid0(VALU_DEP_1)
	v_dual_add_f32 v17, v3, v17 :: v_dual_add_f32 v16, v16, v19
	s_cbranch_vccnz .LBB1747_11
.LBB1747_3:                             ; =>This Inner Loop Header: Depth=1
	v_add_co_u32 v18, s9, v11, s0
	s_delay_alu instid0(VALU_DEP_1) | instskip(NEXT) | instid1(VALU_DEP_1)
	v_add_co_ci_u32_e64 v19, null, 0, s1, s9
	v_cmp_le_i64_e32 vcc_lo, s[4:5], v[18:19]
	s_or_b32 s9, s8, vcc_lo
	s_delay_alu instid0(SALU_CYCLE_1) | instskip(NEXT) | instid1(SALU_CYCLE_1)
	s_and_saveexec_b32 s10, s9
	s_xor_b32 s9, exec_lo, s10
	s_cbranch_execz .LBB1747_5
; %bb.4:                                ;   in Loop: Header=BB1747_3 Depth=1
	v_mov_b32_e32 v3, v2
	ds_store_b64 v14, v[2:3]
.LBB1747_5:                             ;   in Loop: Header=BB1747_3 Depth=1
	s_and_not1_saveexec_b32 s9, s9
	s_cbranch_execz .LBB1747_7
; %bb.6:                                ;   in Loop: Header=BB1747_3 Depth=1
	global_load_b64 v[18:19], v[6:7], off
	s_waitcnt vmcnt(0)
	ds_store_b64 v14, v[18:19]
.LBB1747_7:                             ;   in Loop: Header=BB1747_3 Depth=1
	s_or_b32 exec_lo, exec_lo, s9
	v_add_co_u32 v18, s9, v10, s0
	s_delay_alu instid0(VALU_DEP_1) | instskip(NEXT) | instid1(VALU_DEP_1)
	v_add_co_ci_u32_e64 v19, null, 0, s1, s9
	v_cmp_le_i64_e32 vcc_lo, s[4:5], v[18:19]
	s_or_b32 s9, s2, vcc_lo
	s_delay_alu instid0(SALU_CYCLE_1) | instskip(NEXT) | instid1(SALU_CYCLE_1)
	s_and_saveexec_b32 s10, s9
	s_xor_b32 s9, exec_lo, s10
	s_cbranch_execz .LBB1747_9
; %bb.8:                                ;   in Loop: Header=BB1747_3 Depth=1
	v_mov_b32_e32 v3, v2
	ds_store_b64 v15, v[2:3]
.LBB1747_9:                             ;   in Loop: Header=BB1747_3 Depth=1
	s_and_not1_saveexec_b32 s9, s9
	s_cbranch_execz .LBB1747_2
; %bb.10:                               ;   in Loop: Header=BB1747_3 Depth=1
	global_load_b64 v[18:19], v[4:5], off
	s_waitcnt vmcnt(0)
	ds_store_b64 v15, v[18:19]
	s_branch .LBB1747_2
.LBB1747_11:
	v_cmp_le_i32_e32 vcc_lo, v0, v8
	v_cmp_gt_i32_e64 s0, s3, v8
	s_delay_alu instid0(VALU_DEP_1) | instskip(NEXT) | instid1(SALU_CYCLE_1)
	s_and_b32 s0, vcc_lo, s0
	s_and_saveexec_b32 s1, s0
	s_cbranch_execz .LBB1747_14
; %bb.12:
	v_mul_lo_u32 v4, v8, s19
	v_mul_lo_u32 v5, v9, s18
	v_mad_u64_u32 v[2:3], null, v8, s18, 0
	v_lshlrev_b64 v[6:7], 3, v[0:1]
	s_delay_alu instid0(VALU_DEP_2) | instskip(SKIP_2) | instid1(VALU_DEP_3)
	v_add3_u32 v3, v3, v4, v5
	v_mul_f32_e32 v5, s6, v16
	v_mul_f32_e32 v4, s7, v16
	v_lshlrev_b64 v[2:3], 3, v[2:3]
	s_delay_alu instid0(VALU_DEP_3) | instskip(NEXT) | instid1(VALU_DEP_3)
	v_fmac_f32_e32 v5, s7, v17
	v_fma_f32 v4, v17, s6, -v4
	s_waitcnt lgkmcnt(0)
	s_delay_alu instid0(VALU_DEP_3) | instskip(NEXT) | instid1(VALU_DEP_4)
	v_add_co_u32 v1, vcc_lo, s16, v2
	v_add_co_ci_u32_e32 v2, vcc_lo, s17, v3, vcc_lo
	s_delay_alu instid0(VALU_DEP_2) | instskip(NEXT) | instid1(VALU_DEP_2)
	v_add_co_u32 v1, vcc_lo, v1, v6
	v_add_co_ci_u32_e32 v2, vcc_lo, v2, v7, vcc_lo
	v_cmp_eq_u32_e32 vcc_lo, v0, v8
	global_store_b64 v[1:2], v[4:5], off
	s_and_b32 exec_lo, exec_lo, vcc_lo
	s_cbranch_execz .LBB1747_14
; %bb.13:
	v_mov_b32_e32 v0, 0
	global_store_b32 v[1:2], v0, off offset:4
.LBB1747_14:
	s_nop 0
	s_sendmsg sendmsg(MSG_DEALLOC_VGPRS)
	s_endpgm
	.section	.rodata,"a",@progbits
	.p2align	6, 0x0
	.amdhsa_kernel _ZL32rocblas_syrkx_herkx_small_kernelIl19rocblas_complex_numIfELi16ELb1ELb1ELc84ELc85EKPKS1_KPS1_EviT_T0_PT6_S7_lSA_S7_lS8_PT7_S7_li
		.amdhsa_group_segment_fixed_size 4096
		.amdhsa_private_segment_fixed_size 0
		.amdhsa_kernarg_size 108
		.amdhsa_user_sgpr_count 13
		.amdhsa_user_sgpr_dispatch_ptr 0
		.amdhsa_user_sgpr_queue_ptr 0
		.amdhsa_user_sgpr_kernarg_segment_ptr 1
		.amdhsa_user_sgpr_dispatch_id 0
		.amdhsa_user_sgpr_private_segment_size 0
		.amdhsa_wavefront_size32 1
		.amdhsa_uses_dynamic_stack 0
		.amdhsa_enable_private_segment 0
		.amdhsa_system_sgpr_workgroup_id_x 1
		.amdhsa_system_sgpr_workgroup_id_y 1
		.amdhsa_system_sgpr_workgroup_id_z 1
		.amdhsa_system_sgpr_workgroup_info 0
		.amdhsa_system_vgpr_workitem_id 1
		.amdhsa_next_free_vgpr 70
		.amdhsa_next_free_sgpr 22
		.amdhsa_reserve_vcc 1
		.amdhsa_float_round_mode_32 0
		.amdhsa_float_round_mode_16_64 0
		.amdhsa_float_denorm_mode_32 3
		.amdhsa_float_denorm_mode_16_64 3
		.amdhsa_dx10_clamp 1
		.amdhsa_ieee_mode 1
		.amdhsa_fp16_overflow 0
		.amdhsa_workgroup_processor_mode 1
		.amdhsa_memory_ordered 1
		.amdhsa_forward_progress 0
		.amdhsa_shared_vgpr_count 0
		.amdhsa_exception_fp_ieee_invalid_op 0
		.amdhsa_exception_fp_denorm_src 0
		.amdhsa_exception_fp_ieee_div_zero 0
		.amdhsa_exception_fp_ieee_overflow 0
		.amdhsa_exception_fp_ieee_underflow 0
		.amdhsa_exception_fp_ieee_inexact 0
		.amdhsa_exception_int_div_zero 0
	.end_amdhsa_kernel
	.section	.text._ZL32rocblas_syrkx_herkx_small_kernelIl19rocblas_complex_numIfELi16ELb1ELb1ELc84ELc85EKPKS1_KPS1_EviT_T0_PT6_S7_lSA_S7_lS8_PT7_S7_li,"axG",@progbits,_ZL32rocblas_syrkx_herkx_small_kernelIl19rocblas_complex_numIfELi16ELb1ELb1ELc84ELc85EKPKS1_KPS1_EviT_T0_PT6_S7_lSA_S7_lS8_PT7_S7_li,comdat
.Lfunc_end1747:
	.size	_ZL32rocblas_syrkx_herkx_small_kernelIl19rocblas_complex_numIfELi16ELb1ELb1ELc84ELc85EKPKS1_KPS1_EviT_T0_PT6_S7_lSA_S7_lS8_PT7_S7_li, .Lfunc_end1747-_ZL32rocblas_syrkx_herkx_small_kernelIl19rocblas_complex_numIfELi16ELb1ELb1ELc84ELc85EKPKS1_KPS1_EviT_T0_PT6_S7_lSA_S7_lS8_PT7_S7_li
                                        ; -- End function
	.section	.AMDGPU.csdata,"",@progbits
; Kernel info:
; codeLenInByte = 1524
; NumSgprs: 24
; NumVgprs: 70
; ScratchSize: 0
; MemoryBound: 1
; FloatMode: 240
; IeeeMode: 1
; LDSByteSize: 4096 bytes/workgroup (compile time only)
; SGPRBlocks: 2
; VGPRBlocks: 8
; NumSGPRsForWavesPerEU: 24
; NumVGPRsForWavesPerEU: 70
; Occupancy: 16
; WaveLimiterHint : 1
; COMPUTE_PGM_RSRC2:SCRATCH_EN: 0
; COMPUTE_PGM_RSRC2:USER_SGPR: 13
; COMPUTE_PGM_RSRC2:TRAP_HANDLER: 0
; COMPUTE_PGM_RSRC2:TGID_X_EN: 1
; COMPUTE_PGM_RSRC2:TGID_Y_EN: 1
; COMPUTE_PGM_RSRC2:TGID_Z_EN: 1
; COMPUTE_PGM_RSRC2:TIDIG_COMP_CNT: 1
	.section	.text._ZL32rocblas_syrkx_herkx_small_kernelIl19rocblas_complex_numIfELi16ELb1ELb1ELc67ELc85EKPKS1_KPS1_EviT_T0_PT6_S7_lSA_S7_lS8_PT7_S7_li,"axG",@progbits,_ZL32rocblas_syrkx_herkx_small_kernelIl19rocblas_complex_numIfELi16ELb1ELb1ELc67ELc85EKPKS1_KPS1_EviT_T0_PT6_S7_lSA_S7_lS8_PT7_S7_li,comdat
	.globl	_ZL32rocblas_syrkx_herkx_small_kernelIl19rocblas_complex_numIfELi16ELb1ELb1ELc67ELc85EKPKS1_KPS1_EviT_T0_PT6_S7_lSA_S7_lS8_PT7_S7_li ; -- Begin function _ZL32rocblas_syrkx_herkx_small_kernelIl19rocblas_complex_numIfELi16ELb1ELb1ELc67ELc85EKPKS1_KPS1_EviT_T0_PT6_S7_lSA_S7_lS8_PT7_S7_li
	.p2align	8
	.type	_ZL32rocblas_syrkx_herkx_small_kernelIl19rocblas_complex_numIfELi16ELb1ELb1ELc67ELc85EKPKS1_KPS1_EviT_T0_PT6_S7_lSA_S7_lS8_PT7_S7_li,@function
_ZL32rocblas_syrkx_herkx_small_kernelIl19rocblas_complex_numIfELi16ELb1ELb1ELc67ELc85EKPKS1_KPS1_EviT_T0_PT6_S7_lSA_S7_lS8_PT7_S7_li: ; @_ZL32rocblas_syrkx_herkx_small_kernelIl19rocblas_complex_numIfELi16ELb1ELb1ELc67ELc85EKPKS1_KPS1_EviT_T0_PT6_S7_lSA_S7_lS8_PT7_S7_li
; %bb.0:
	s_clause 0x2
	s_load_b128 s[16:19], s[0:1], 0x50
	s_load_b256 s[4:11], s[0:1], 0x8
	s_load_b32 s3, s[0:1], 0x0
	s_mov_b32 s20, s15
	s_mov_b32 s21, 0
	v_dual_mov_b32 v17, 0 :: v_dual_and_b32 v10, 0x3ff, v0
	s_lshl_b64 s[20:21], s[20:21], 3
	v_bfe_u32 v11, v0, 10, 10
	v_mov_b32_e32 v16, 0
	s_delay_alu instid0(VALU_DEP_3) | instskip(NEXT) | instid1(VALU_DEP_3)
	v_lshl_add_u32 v0, s13, 4, v10
	v_lshl_add_u32 v8, s14, 4, v11
	s_delay_alu instid0(VALU_DEP_2) | instskip(NEXT) | instid1(VALU_DEP_2)
	v_ashrrev_i32_e32 v1, 31, v0
	v_ashrrev_i32_e32 v9, 31, v8
	s_waitcnt lgkmcnt(0)
	s_add_u32 s16, s16, s20
	s_addc_u32 s17, s17, s21
	v_cmp_lt_i64_e64 s2, s[4:5], 1
	s_load_b64 s[16:17], s[16:17], 0x0
	s_delay_alu instid0(VALU_DEP_1)
	s_and_b32 vcc_lo, exec_lo, s2
	v_cmp_gt_i32_e64 s2, s3, v8
	s_cbranch_vccnz .LBB1748_11
; %bb.1:
	s_load_b128 s[12:15], s[0:1], 0x30
	v_mul_lo_u32 v13, s11, v0
	v_mul_lo_u32 v14, s10, v1
	v_mad_u64_u32 v[3:4], null, s10, v0, 0
	v_lshlrev_b32_e32 v17, 3, v11
	v_lshlrev_b32_e32 v12, 3, v10
	v_dual_mov_b32 v2, 0 :: v_dual_lshlrev_b32 v7, 7, v11
	v_cmp_gt_i32_e32 vcc_lo, s3, v0
	v_add3_u32 v4, v4, v14, v13
	s_delay_alu instid0(VALU_DEP_3) | instskip(NEXT) | instid1(VALU_DEP_2)
	v_add_nc_u32_e32 v13, 0x800, v7
	v_lshlrev_b64 v[3:4], 3, v[3:4]
	s_waitcnt lgkmcnt(0)
	s_add_u32 s0, s12, s20
	s_addc_u32 s1, s13, s21
	s_add_u32 s8, s8, s20
	v_mul_lo_u32 v15, s15, v8
	v_mul_lo_u32 v16, s14, v9
	v_mad_u64_u32 v[5:6], null, s14, v8, 0
	s_addc_u32 s9, s9, s21
	s_load_b64 s[10:11], s[0:1], 0x0
	s_load_b64 s[8:9], s[8:9], 0x0
	s_xor_b32 s2, s2, -1
	s_delay_alu instid0(VALU_DEP_1) | instskip(SKIP_2) | instid1(VALU_DEP_1)
	v_add3_u32 v6, v6, v16, v15
	v_mov_b32_e32 v16, 0
	v_add_co_u32 v3, s0, v3, v17
	v_add_co_ci_u32_e64 v4, s0, 0, v4, s0
	s_delay_alu instid0(VALU_DEP_4) | instskip(SKIP_2) | instid1(VALU_DEP_3)
	v_lshlrev_b64 v[5:6], 3, v[5:6]
	v_dual_mov_b32 v17, 0 :: v_dual_add_nc_u32 v14, v12, v7
	v_add_nc_u32_e32 v15, v13, v12
	v_add_co_u32 v5, s0, v5, v12
	s_delay_alu instid0(VALU_DEP_1) | instskip(SKIP_2) | instid1(VALU_DEP_1)
	v_add_co_ci_u32_e64 v6, s0, 0, v6, s0
	s_waitcnt lgkmcnt(0)
	v_add_co_u32 v3, s0, v3, s8
	v_add_co_ci_u32_e64 v7, s0, s9, v4, s0
	v_add_co_u32 v4, s0, s10, v5
	s_delay_alu instid0(VALU_DEP_1) | instskip(NEXT) | instid1(VALU_DEP_4)
	v_add_co_ci_u32_e64 v5, s0, s11, v6, s0
	v_add_co_u32 v6, s0, v3, 4
	s_delay_alu instid0(VALU_DEP_1)
	v_add_co_ci_u32_e64 v7, s0, 0, v7, s0
	s_mov_b64 s[0:1], 0
	s_xor_b32 s8, vcc_lo, -1
	s_branch .LBB1748_3
.LBB1748_2:                             ;   in Loop: Header=BB1748_3 Depth=1
	s_or_b32 exec_lo, exec_lo, s9
	s_waitcnt lgkmcnt(0)
	s_barrier
	buffer_gl0_inv
	ds_load_2addr_b64 v[18:21], v12 offset1:16
	ds_load_b128 v[22:25], v13
	ds_load_b128 v[26:29], v13 offset:16
	ds_load_2addr_b64 v[30:33], v12 offset0:32 offset1:48
	ds_load_2addr_b64 v[34:37], v12 offset0:64 offset1:80
	ds_load_b128 v[38:41], v13 offset:32
	ds_load_b128 v[42:45], v13 offset:48
	ds_load_2addr_b64 v[46:49], v12 offset0:96 offset1:112
	ds_load_2addr_b64 v[50:53], v12 offset0:128 offset1:144
	;; [unrolled: 1-line block ×3, first 2 shown]
	ds_load_b128 v[58:61], v13 offset:64
	ds_load_b128 v[62:65], v13 offset:80
	s_add_u32 s0, s0, 16
	s_addc_u32 s1, s1, 0
	v_add_co_u32 v4, vcc_lo, 0x80, v4
	v_cmp_ge_i64_e64 s9, s[0:1], s[4:5]
	v_add_co_ci_u32_e32 v5, vcc_lo, 0, v5, vcc_lo
	v_add_co_u32 v6, vcc_lo, 0x80, v6
	s_waitcnt lgkmcnt(10)
	v_dual_mul_f32 v3, v23, v19 :: v_dual_mul_f32 v66, v25, v21
	s_waitcnt lgkmcnt(8)
	v_dual_mul_f32 v19, v22, v19 :: v_dual_mul_f32 v68, v29, v33
	v_mul_f32_e32 v21, v24, v21
	v_mul_f32_e32 v67, v27, v31
	;; [unrolled: 1-line block ×3, first 2 shown]
	s_delay_alu instid0(VALU_DEP_4)
	v_fmac_f32_e32 v19, v23, v18
	v_fma_f32 v3, v22, v18, -v3
	s_waitcnt lgkmcnt(6)
	v_dual_fmac_f32 v21, v25, v20 :: v_dual_mul_f32 v18, v40, v37
	v_mul_f32_e32 v33, v28, v33
	v_add_f32_e32 v16, v16, v19
	v_mul_f32_e32 v69, v39, v35
	v_fmac_f32_e32 v31, v27, v30
	v_fma_f32 v23, v24, v20, -v66
	v_fmac_f32_e32 v18, v41, v36
	v_dual_add_f32 v16, v16, v21 :: v_dual_fmac_f32 v33, v29, v32
	s_waitcnt lgkmcnt(1)
	v_mul_f32_e32 v24, v58, v51
	v_mul_f32_e32 v20, v42, v47
	v_add_f32_e32 v3, v17, v3
	v_add_f32_e32 v16, v16, v31
	v_mul_f32_e32 v35, v38, v35
	v_fma_f32 v21, v28, v32, -v68
	s_waitcnt lgkmcnt(0)
	v_mul_f32_e32 v32, v62, v55
	v_mul_f32_e32 v22, v41, v37
	v_dual_add_f32 v16, v16, v33 :: v_dual_fmac_f32 v35, v39, v34
	v_fma_f32 v19, v26, v30, -v67
	v_dual_fmac_f32 v20, v43, v46 :: v_dual_mul_f32 v27, v60, v53
	s_delay_alu instid0(VALU_DEP_4) | instskip(NEXT) | instid1(VALU_DEP_4)
	v_fma_f32 v22, v40, v36, -v22
	v_add_f32_e32 v16, v16, v35
	v_mul_f32_e32 v17, v43, v47
	v_add_co_ci_u32_e32 v7, vcc_lo, 0, v7, vcc_lo
	v_fmac_f32_e32 v24, v59, v50
	s_delay_alu instid0(VALU_DEP_4) | instskip(SKIP_3) | instid1(VALU_DEP_4)
	v_dual_add_f32 v16, v16, v18 :: v_dual_add_f32 v3, v3, v23
	v_mul_f32_e32 v26, v61, v53
	v_fma_f32 v23, v38, v34, -v69
	v_fmac_f32_e32 v27, v61, v52
	v_dual_add_f32 v20, v16, v20 :: v_dual_add_f32 v3, v3, v19
	v_mul_f32_e32 v19, v45, v49
	v_fma_f32 v17, v42, v46, -v17
	v_fmac_f32_e32 v32, v63, v54
	s_and_b32 vcc_lo, exec_lo, s9
	v_add_f32_e32 v3, v3, v21
	v_mul_f32_e32 v21, v44, v49
	s_delay_alu instid0(VALU_DEP_1) | instskip(NEXT) | instid1(VALU_DEP_1)
	v_dual_mul_f32 v36, v64, v57 :: v_dual_fmac_f32 v21, v45, v48
	v_dual_fmac_f32 v36, v65, v56 :: v_dual_add_f32 v25, v20, v21
	s_delay_alu instid0(VALU_DEP_1) | instskip(SKIP_2) | instid1(VALU_DEP_3)
	v_dual_add_f32 v24, v25, v24 :: v_dual_add_f32 v3, v3, v23
	v_fma_f32 v25, v60, v52, -v26
	v_mul_f32_e32 v26, v63, v55
	v_add_f32_e32 v33, v24, v27
	s_delay_alu instid0(VALU_DEP_4) | instskip(SKIP_3) | instid1(VALU_DEP_4)
	v_add_f32_e32 v3, v3, v22
	v_mul_f32_e32 v23, v59, v51
	v_fma_f32 v22, v44, v48, -v19
	v_fma_f32 v34, v62, v54, -v26
	v_dual_add_f32 v32, v33, v32 :: v_dual_add_f32 v3, v3, v17
	ds_load_2addr_b64 v[16:19], v12 offset0:192 offset1:208
	v_fma_f32 v23, v58, v50, -v23
	v_dual_add_f32 v32, v32, v36 :: v_dual_add_f32 v3, v3, v22
	s_delay_alu instid0(VALU_DEP_1)
	v_add_f32_e32 v3, v3, v23
	ds_load_b128 v[20:23], v13 offset:96
	v_add_f32_e32 v3, v3, v25
	ds_load_2addr_b64 v[24:27], v12 offset0:224 offset1:240
	ds_load_b128 v[28:31], v13 offset:112
	v_mul_f32_e32 v35, v65, v57
	s_waitcnt lgkmcnt(0)
	s_barrier
	v_add_f32_e32 v3, v3, v34
	buffer_gl0_inv
	v_fma_f32 v33, v64, v56, -v35
	s_delay_alu instid0(VALU_DEP_1) | instskip(SKIP_2) | instid1(VALU_DEP_2)
	v_add_f32_e32 v3, v3, v33
	v_mul_f32_e32 v34, v21, v17
	v_mul_f32_e32 v17, v20, v17
	v_fma_f32 v20, v20, v16, -v34
	s_delay_alu instid0(VALU_DEP_2) | instskip(SKIP_1) | instid1(VALU_DEP_3)
	v_dual_fmac_f32 v17, v21, v16 :: v_dual_mul_f32 v16, v23, v19
	v_mul_f32_e32 v19, v22, v19
	v_add_f32_e32 v3, v3, v20
	s_delay_alu instid0(VALU_DEP_3) | instskip(NEXT) | instid1(VALU_DEP_4)
	v_add_f32_e32 v17, v32, v17
	v_fma_f32 v16, v22, v18, -v16
	s_delay_alu instid0(VALU_DEP_4) | instskip(NEXT) | instid1(VALU_DEP_2)
	v_dual_fmac_f32 v19, v23, v18 :: v_dual_mul_f32 v18, v29, v25
	v_dual_mul_f32 v20, v28, v25 :: v_dual_add_f32 v3, v3, v16
	s_delay_alu instid0(VALU_DEP_2) | instskip(NEXT) | instid1(VALU_DEP_3)
	v_add_f32_e32 v16, v17, v19
	v_fma_f32 v17, v28, v24, -v18
	s_delay_alu instid0(VALU_DEP_3) | instskip(SKIP_2) | instid1(VALU_DEP_3)
	v_fmac_f32_e32 v20, v29, v24
	v_mul_f32_e32 v18, v31, v27
	v_mul_f32_e32 v19, v30, v27
	v_dual_add_f32 v3, v3, v17 :: v_dual_add_f32 v16, v16, v20
	s_delay_alu instid0(VALU_DEP_3) | instskip(NEXT) | instid1(VALU_DEP_3)
	v_fma_f32 v17, v30, v26, -v18
	v_fmac_f32_e32 v19, v31, v26
	s_delay_alu instid0(VALU_DEP_1)
	v_dual_add_f32 v17, v3, v17 :: v_dual_add_f32 v16, v16, v19
	s_cbranch_vccnz .LBB1748_11
.LBB1748_3:                             ; =>This Inner Loop Header: Depth=1
	v_add_co_u32 v18, s9, v11, s0
	s_delay_alu instid0(VALU_DEP_1) | instskip(NEXT) | instid1(VALU_DEP_1)
	v_add_co_ci_u32_e64 v19, null, 0, s1, s9
                                        ; implicit-def: $sgpr10
	v_cmp_le_i64_e32 vcc_lo, s[4:5], v[18:19]
	s_or_b32 s9, s8, vcc_lo
	s_delay_alu instid0(SALU_CYCLE_1) | instskip(NEXT) | instid1(SALU_CYCLE_1)
	s_and_saveexec_b32 s11, s9
	s_xor_b32 s9, exec_lo, s11
	s_cbranch_execz .LBB1748_5
; %bb.4:                                ;   in Loop: Header=BB1748_3 Depth=1
	s_mov_b32 s10, 0
	ds_store_b32 v14, v2
.LBB1748_5:                             ;   in Loop: Header=BB1748_3 Depth=1
	s_or_saveexec_b32 s9, s9
	v_mov_b32_e32 v3, s10
	s_xor_b32 exec_lo, exec_lo, s9
	s_cbranch_execz .LBB1748_7
; %bb.6:                                ;   in Loop: Header=BB1748_3 Depth=1
	global_load_b64 v[18:19], v[6:7], off offset:-4
	s_waitcnt vmcnt(0)
	v_xor_b32_e32 v3, 0x80000000, v19
	ds_store_b32 v14, v18
.LBB1748_7:                             ;   in Loop: Header=BB1748_3 Depth=1
	s_or_b32 exec_lo, exec_lo, s9
	v_add_co_u32 v18, s9, v10, s0
	s_delay_alu instid0(VALU_DEP_1) | instskip(SKIP_3) | instid1(SALU_CYCLE_1)
	v_add_co_ci_u32_e64 v19, null, 0, s1, s9
	ds_store_b32 v14, v3 offset:4
	v_cmp_le_i64_e32 vcc_lo, s[4:5], v[18:19]
	s_or_b32 s9, s2, vcc_lo
	s_and_saveexec_b32 s10, s9
	s_delay_alu instid0(SALU_CYCLE_1)
	s_xor_b32 s9, exec_lo, s10
	s_cbranch_execz .LBB1748_9
; %bb.8:                                ;   in Loop: Header=BB1748_3 Depth=1
	v_mov_b32_e32 v3, v2
	ds_store_b64 v15, v[2:3]
.LBB1748_9:                             ;   in Loop: Header=BB1748_3 Depth=1
	s_and_not1_saveexec_b32 s9, s9
	s_cbranch_execz .LBB1748_2
; %bb.10:                               ;   in Loop: Header=BB1748_3 Depth=1
	global_load_b64 v[18:19], v[4:5], off
	s_waitcnt vmcnt(0)
	ds_store_b64 v15, v[18:19]
	s_branch .LBB1748_2
.LBB1748_11:
	v_cmp_le_i32_e32 vcc_lo, v0, v8
	v_cmp_gt_i32_e64 s0, s3, v8
	s_delay_alu instid0(VALU_DEP_1) | instskip(NEXT) | instid1(SALU_CYCLE_1)
	s_and_b32 s0, vcc_lo, s0
	s_and_saveexec_b32 s1, s0
	s_cbranch_execz .LBB1748_14
; %bb.12:
	v_mul_lo_u32 v4, v8, s19
	v_mul_lo_u32 v5, v9, s18
	v_mad_u64_u32 v[2:3], null, v8, s18, 0
	v_lshlrev_b64 v[6:7], 3, v[0:1]
	s_delay_alu instid0(VALU_DEP_2) | instskip(SKIP_2) | instid1(VALU_DEP_3)
	v_add3_u32 v3, v3, v4, v5
	v_mul_f32_e32 v5, s6, v16
	v_mul_f32_e32 v4, s7, v16
	v_lshlrev_b64 v[2:3], 3, v[2:3]
	s_delay_alu instid0(VALU_DEP_3) | instskip(NEXT) | instid1(VALU_DEP_3)
	v_fmac_f32_e32 v5, s7, v17
	v_fma_f32 v4, v17, s6, -v4
	s_waitcnt lgkmcnt(0)
	s_delay_alu instid0(VALU_DEP_3) | instskip(NEXT) | instid1(VALU_DEP_4)
	v_add_co_u32 v1, vcc_lo, s16, v2
	v_add_co_ci_u32_e32 v2, vcc_lo, s17, v3, vcc_lo
	s_delay_alu instid0(VALU_DEP_2) | instskip(NEXT) | instid1(VALU_DEP_2)
	v_add_co_u32 v1, vcc_lo, v1, v6
	v_add_co_ci_u32_e32 v2, vcc_lo, v2, v7, vcc_lo
	v_cmp_eq_u32_e32 vcc_lo, v0, v8
	global_store_b64 v[1:2], v[4:5], off
	s_and_b32 exec_lo, exec_lo, vcc_lo
	s_cbranch_execz .LBB1748_14
; %bb.13:
	v_mov_b32_e32 v0, 0
	global_store_b32 v[1:2], v0, off offset:4
.LBB1748_14:
	s_nop 0
	s_sendmsg sendmsg(MSG_DEALLOC_VGPRS)
	s_endpgm
	.section	.rodata,"a",@progbits
	.p2align	6, 0x0
	.amdhsa_kernel _ZL32rocblas_syrkx_herkx_small_kernelIl19rocblas_complex_numIfELi16ELb1ELb1ELc67ELc85EKPKS1_KPS1_EviT_T0_PT6_S7_lSA_S7_lS8_PT7_S7_li
		.amdhsa_group_segment_fixed_size 4096
		.amdhsa_private_segment_fixed_size 0
		.amdhsa_kernarg_size 108
		.amdhsa_user_sgpr_count 13
		.amdhsa_user_sgpr_dispatch_ptr 0
		.amdhsa_user_sgpr_queue_ptr 0
		.amdhsa_user_sgpr_kernarg_segment_ptr 1
		.amdhsa_user_sgpr_dispatch_id 0
		.amdhsa_user_sgpr_private_segment_size 0
		.amdhsa_wavefront_size32 1
		.amdhsa_uses_dynamic_stack 0
		.amdhsa_enable_private_segment 0
		.amdhsa_system_sgpr_workgroup_id_x 1
		.amdhsa_system_sgpr_workgroup_id_y 1
		.amdhsa_system_sgpr_workgroup_id_z 1
		.amdhsa_system_sgpr_workgroup_info 0
		.amdhsa_system_vgpr_workitem_id 1
		.amdhsa_next_free_vgpr 70
		.amdhsa_next_free_sgpr 22
		.amdhsa_reserve_vcc 1
		.amdhsa_float_round_mode_32 0
		.amdhsa_float_round_mode_16_64 0
		.amdhsa_float_denorm_mode_32 3
		.amdhsa_float_denorm_mode_16_64 3
		.amdhsa_dx10_clamp 1
		.amdhsa_ieee_mode 1
		.amdhsa_fp16_overflow 0
		.amdhsa_workgroup_processor_mode 1
		.amdhsa_memory_ordered 1
		.amdhsa_forward_progress 0
		.amdhsa_shared_vgpr_count 0
		.amdhsa_exception_fp_ieee_invalid_op 0
		.amdhsa_exception_fp_denorm_src 0
		.amdhsa_exception_fp_ieee_div_zero 0
		.amdhsa_exception_fp_ieee_overflow 0
		.amdhsa_exception_fp_ieee_underflow 0
		.amdhsa_exception_fp_ieee_inexact 0
		.amdhsa_exception_int_div_zero 0
	.end_amdhsa_kernel
	.section	.text._ZL32rocblas_syrkx_herkx_small_kernelIl19rocblas_complex_numIfELi16ELb1ELb1ELc67ELc85EKPKS1_KPS1_EviT_T0_PT6_S7_lSA_S7_lS8_PT7_S7_li,"axG",@progbits,_ZL32rocblas_syrkx_herkx_small_kernelIl19rocblas_complex_numIfELi16ELb1ELb1ELc67ELc85EKPKS1_KPS1_EviT_T0_PT6_S7_lSA_S7_lS8_PT7_S7_li,comdat
.Lfunc_end1748:
	.size	_ZL32rocblas_syrkx_herkx_small_kernelIl19rocblas_complex_numIfELi16ELb1ELb1ELc67ELc85EKPKS1_KPS1_EviT_T0_PT6_S7_lSA_S7_lS8_PT7_S7_li, .Lfunc_end1748-_ZL32rocblas_syrkx_herkx_small_kernelIl19rocblas_complex_numIfELi16ELb1ELb1ELc67ELc85EKPKS1_KPS1_EviT_T0_PT6_S7_lSA_S7_lS8_PT7_S7_li
                                        ; -- End function
	.section	.AMDGPU.csdata,"",@progbits
; Kernel info:
; codeLenInByte = 1568
; NumSgprs: 24
; NumVgprs: 70
; ScratchSize: 0
; MemoryBound: 1
; FloatMode: 240
; IeeeMode: 1
; LDSByteSize: 4096 bytes/workgroup (compile time only)
; SGPRBlocks: 2
; VGPRBlocks: 8
; NumSGPRsForWavesPerEU: 24
; NumVGPRsForWavesPerEU: 70
; Occupancy: 16
; WaveLimiterHint : 1
; COMPUTE_PGM_RSRC2:SCRATCH_EN: 0
; COMPUTE_PGM_RSRC2:USER_SGPR: 13
; COMPUTE_PGM_RSRC2:TRAP_HANDLER: 0
; COMPUTE_PGM_RSRC2:TGID_X_EN: 1
; COMPUTE_PGM_RSRC2:TGID_Y_EN: 1
; COMPUTE_PGM_RSRC2:TGID_Z_EN: 1
; COMPUTE_PGM_RSRC2:TIDIG_COMP_CNT: 1
	.section	.text._ZL32rocblas_syrkx_herkx_small_kernelIl19rocblas_complex_numIfELi16ELb1ELb1ELc78ELc85EKPKS1_KPS1_EviT_T0_PT6_S7_lSA_S7_lS8_PT7_S7_li,"axG",@progbits,_ZL32rocblas_syrkx_herkx_small_kernelIl19rocblas_complex_numIfELi16ELb1ELb1ELc78ELc85EKPKS1_KPS1_EviT_T0_PT6_S7_lSA_S7_lS8_PT7_S7_li,comdat
	.globl	_ZL32rocblas_syrkx_herkx_small_kernelIl19rocblas_complex_numIfELi16ELb1ELb1ELc78ELc85EKPKS1_KPS1_EviT_T0_PT6_S7_lSA_S7_lS8_PT7_S7_li ; -- Begin function _ZL32rocblas_syrkx_herkx_small_kernelIl19rocblas_complex_numIfELi16ELb1ELb1ELc78ELc85EKPKS1_KPS1_EviT_T0_PT6_S7_lSA_S7_lS8_PT7_S7_li
	.p2align	8
	.type	_ZL32rocblas_syrkx_herkx_small_kernelIl19rocblas_complex_numIfELi16ELb1ELb1ELc78ELc85EKPKS1_KPS1_EviT_T0_PT6_S7_lSA_S7_lS8_PT7_S7_li,@function
_ZL32rocblas_syrkx_herkx_small_kernelIl19rocblas_complex_numIfELi16ELb1ELb1ELc78ELc85EKPKS1_KPS1_EviT_T0_PT6_S7_lSA_S7_lS8_PT7_S7_li: ; @_ZL32rocblas_syrkx_herkx_small_kernelIl19rocblas_complex_numIfELi16ELb1ELb1ELc78ELc85EKPKS1_KPS1_EviT_T0_PT6_S7_lSA_S7_lS8_PT7_S7_li
; %bb.0:
	s_clause 0x2
	s_load_b128 s[16:19], s[0:1], 0x50
	s_load_b256 s[4:11], s[0:1], 0x8
	s_load_b32 s3, s[0:1], 0x0
	s_mov_b32 s20, s15
	s_mov_b32 s21, 0
	v_dual_mov_b32 v17, 0 :: v_dual_and_b32 v10, 0x3ff, v0
	s_lshl_b64 s[20:21], s[20:21], 3
	v_bfe_u32 v11, v0, 10, 10
	v_mov_b32_e32 v16, 0
	s_delay_alu instid0(VALU_DEP_3) | instskip(NEXT) | instid1(VALU_DEP_3)
	v_lshl_add_u32 v0, s13, 4, v10
	v_lshl_add_u32 v2, s14, 4, v11
	s_delay_alu instid0(VALU_DEP_2) | instskip(NEXT) | instid1(VALU_DEP_2)
	v_ashrrev_i32_e32 v1, 31, v0
	v_ashrrev_i32_e32 v3, 31, v2
	s_waitcnt lgkmcnt(0)
	s_add_u32 s16, s16, s20
	s_addc_u32 s17, s17, s21
	v_cmp_lt_i64_e64 s2, s[4:5], 1
	s_load_b64 s[16:17], s[16:17], 0x0
	s_delay_alu instid0(VALU_DEP_1)
	s_and_b32 vcc_lo, exec_lo, s2
	v_cmp_gt_i32_e64 s2, s3, v2
	s_cbranch_vccnz .LBB1749_11
; %bb.1:
	s_load_b128 s[12:15], s[0:1], 0x30
	v_mad_u64_u32 v[7:8], null, s10, v11, 0
	v_dual_mov_b32 v4, 0 :: v_dual_lshlrev_b32 v9, 7, v11
	v_lshlrev_b32_e32 v12, 3, v10
	v_mov_b32_e32 v16, 0
	v_lshlrev_b64 v[17:18], 3, v[2:3]
	v_lshlrev_b64 v[19:20], 3, v[0:1]
	v_add_nc_u32_e32 v13, 0x800, v9
	v_mad_u64_u32 v[21:22], null, s11, v11, v[8:9]
	v_cmp_gt_i32_e32 vcc_lo, s3, v0
	s_delay_alu instid0(VALU_DEP_2)
	v_mov_b32_e32 v8, v21
	s_waitcnt lgkmcnt(0)
	v_mad_u64_u32 v[5:6], null, s14, v10, 0
	s_add_u32 s0, s12, s20
	s_addc_u32 s1, s13, s21
	s_add_u32 s8, s8, s20
	s_load_b64 s[12:13], s[0:1], 0x0
	s_addc_u32 s9, s9, s21
	s_lshl_b64 s[10:11], s[10:11], 7
	s_delay_alu instid0(VALU_DEP_1) | instskip(SKIP_4) | instid1(VALU_DEP_2)
	v_mad_u64_u32 v[14:15], null, s15, v10, v[6:7]
	s_load_b64 s[20:21], s[8:9], 0x0
	v_lshlrev_b64 v[7:8], 3, v[7:8]
	s_lshl_b64 s[8:9], s[14:15], 7
	s_xor_b32 s2, s2, -1
	v_mov_b32_e32 v6, v14
	s_delay_alu instid0(VALU_DEP_1) | instskip(NEXT) | instid1(VALU_DEP_1)
	v_lshlrev_b64 v[5:6], 3, v[5:6]
	v_add_co_u32 v5, s0, v5, v17
	s_delay_alu instid0(VALU_DEP_1) | instskip(SKIP_1) | instid1(VALU_DEP_1)
	v_add_co_ci_u32_e64 v6, s0, v6, v18, s0
	v_add_co_u32 v7, s0, v7, v19
	v_add_co_ci_u32_e64 v8, s0, v8, v20, s0
	s_waitcnt lgkmcnt(0)
	v_add_co_u32 v5, s0, v5, s12
	v_mov_b32_e32 v17, 0
	v_add_nc_u32_e32 v15, v13, v12
	v_add_nc_u32_e32 v14, v12, v9
	v_add_co_ci_u32_e64 v9, s0, s13, v6, s0
	v_add_co_u32 v6, s0, s20, v7
	s_delay_alu instid0(VALU_DEP_1) | instskip(SKIP_1) | instid1(VALU_DEP_1)
	v_add_co_ci_u32_e64 v7, s0, s21, v8, s0
	v_add_co_u32 v8, s0, v5, 4
	v_add_co_ci_u32_e64 v9, s0, 0, v9, s0
	s_mov_b64 s[0:1], 0
	s_xor_b32 s12, vcc_lo, -1
	s_branch .LBB1749_3
.LBB1749_2:                             ;   in Loop: Header=BB1749_3 Depth=1
	s_or_b32 exec_lo, exec_lo, s13
	ds_store_b32 v15, v5 offset:4
	s_waitcnt lgkmcnt(0)
	s_barrier
	buffer_gl0_inv
	ds_load_2addr_b64 v[18:21], v12 offset1:16
	ds_load_b128 v[22:25], v13
	ds_load_b128 v[26:29], v13 offset:16
	ds_load_2addr_b64 v[30:33], v12 offset0:32 offset1:48
	ds_load_2addr_b64 v[34:37], v12 offset0:64 offset1:80
	ds_load_b128 v[38:41], v13 offset:32
	ds_load_b128 v[42:45], v13 offset:48
	ds_load_2addr_b64 v[46:49], v12 offset0:96 offset1:112
	ds_load_2addr_b64 v[50:53], v12 offset0:128 offset1:144
	;; [unrolled: 1-line block ×3, first 2 shown]
	ds_load_b128 v[58:61], v13 offset:64
	ds_load_b128 v[62:65], v13 offset:80
	s_add_u32 s0, s0, 16
	s_addc_u32 s1, s1, 0
	v_add_co_u32 v8, vcc_lo, v8, s8
	v_cmp_ge_i64_e64 s13, s[0:1], s[4:5]
	v_add_co_ci_u32_e32 v9, vcc_lo, s9, v9, vcc_lo
	v_add_co_u32 v6, vcc_lo, v6, s10
	s_waitcnt lgkmcnt(10)
	v_dual_mul_f32 v5, v23, v19 :: v_dual_mul_f32 v66, v25, v21
	s_waitcnt lgkmcnt(8)
	v_dual_mul_f32 v19, v22, v19 :: v_dual_mul_f32 v68, v29, v33
	v_mul_f32_e32 v21, v24, v21
	s_delay_alu instid0(VALU_DEP_3) | instskip(SKIP_1) | instid1(VALU_DEP_3)
	v_fma_f32 v5, v22, v18, -v5
	s_waitcnt lgkmcnt(6)
	v_dual_mul_f32 v22, v38, v35 :: v_dual_fmac_f32 v19, v23, v18
	v_fma_f32 v18, v24, v20, -v66
	v_fmac_f32_e32 v21, v25, v20
	v_add_f32_e32 v5, v17, v5
	v_fma_f32 v20, v28, v32, -v68
	v_add_f32_e32 v16, v16, v19
	v_mul_f32_e32 v67, v27, v31
	v_mul_f32_e32 v31, v26, v31
	v_add_f32_e32 v5, v5, v18
	s_waitcnt lgkmcnt(4)
	v_dual_mul_f32 v33, v28, v33 :: v_dual_mul_f32 v18, v43, v47
	v_add_f32_e32 v16, v16, v21
	v_fma_f32 v19, v26, v30, -v67
	v_mul_f32_e32 v17, v40, v37
	s_waitcnt lgkmcnt(1)
	v_dual_fmac_f32 v33, v29, v32 :: v_dual_mul_f32 v24, v58, v51
	v_fma_f32 v18, v42, v46, -v18
	v_add_f32_e32 v5, v5, v19
	v_dual_mul_f32 v25, v61, v53 :: v_dual_fmac_f32 v22, v39, v34
	s_delay_alu instid0(VALU_DEP_4) | instskip(SKIP_1) | instid1(VALU_DEP_4)
	v_fmac_f32_e32 v24, v59, v50
	v_add_co_ci_u32_e32 v7, vcc_lo, s11, v7, vcc_lo
	v_add_f32_e32 v5, v5, v20
	v_dual_mul_f32 v20, v45, v49 :: v_dual_fmac_f32 v31, v27, v30
	v_fma_f32 v25, v60, v52, -v25
	s_and_b32 vcc_lo, exec_lo, s13
	s_waitcnt lgkmcnt(0)
	v_mul_f32_e32 v32, v62, v55
	v_add_f32_e32 v16, v16, v31
	v_mul_f32_e32 v69, v39, v35
	s_delay_alu instid0(VALU_DEP_3) | instskip(NEXT) | instid1(VALU_DEP_3)
	v_dual_mul_f32 v35, v41, v37 :: v_dual_fmac_f32 v32, v63, v54
	v_add_f32_e32 v16, v16, v33
	s_delay_alu instid0(VALU_DEP_3) | instskip(NEXT) | instid1(VALU_DEP_3)
	v_fma_f32 v21, v38, v34, -v69
	v_fma_f32 v23, v40, v36, -v35
	s_delay_alu instid0(VALU_DEP_3) | instskip(NEXT) | instid1(VALU_DEP_3)
	v_dual_mul_f32 v35, v65, v57 :: v_dual_add_f32 v16, v16, v22
	v_add_f32_e32 v5, v5, v21
	v_dual_mul_f32 v21, v44, v49 :: v_dual_mul_f32 v22, v59, v51
	v_dual_fmac_f32 v17, v41, v36 :: v_dual_mul_f32 v36, v64, v57
	v_mul_f32_e32 v27, v60, v53
	s_delay_alu instid0(VALU_DEP_3) | instskip(NEXT) | instid1(VALU_DEP_3)
	v_fmac_f32_e32 v21, v45, v48
	v_dual_mul_f32 v19, v42, v47 :: v_dual_add_f32 v16, v16, v17
	v_fma_f32 v17, v44, v48, -v20
	v_fmac_f32_e32 v36, v65, v56
	v_fmac_f32_e32 v27, v61, v52
	s_delay_alu instid0(VALU_DEP_4) | instskip(NEXT) | instid1(VALU_DEP_1)
	v_fmac_f32_e32 v19, v43, v46
	v_add_f32_e32 v16, v16, v19
	s_delay_alu instid0(VALU_DEP_1) | instskip(NEXT) | instid1(VALU_DEP_1)
	v_add_f32_e32 v26, v16, v21
	v_dual_add_f32 v24, v26, v24 :: v_dual_add_f32 v5, v5, v23
	v_mul_f32_e32 v26, v63, v55
	s_delay_alu instid0(VALU_DEP_2) | instskip(NEXT) | instid1(VALU_DEP_2)
	v_add_f32_e32 v33, v24, v27
	v_fma_f32 v34, v62, v54, -v26
	s_delay_alu instid0(VALU_DEP_2) | instskip(SKIP_3) | instid1(VALU_DEP_3)
	v_add_f32_e32 v32, v33, v32
	v_add_f32_e32 v5, v5, v18
	v_fma_f32 v18, v58, v50, -v22
	v_fma_f32 v33, v64, v56, -v35
	v_dual_add_f32 v32, v32, v36 :: v_dual_add_f32 v5, v5, v17
	s_delay_alu instid0(VALU_DEP_1)
	v_add_f32_e32 v5, v5, v18
	ds_load_2addr_b64 v[16:19], v12 offset0:192 offset1:208
	ds_load_b128 v[20:23], v13 offset:96
	v_add_f32_e32 v5, v5, v25
	ds_load_2addr_b64 v[24:27], v12 offset0:224 offset1:240
	ds_load_b128 v[28:31], v13 offset:112
	s_waitcnt lgkmcnt(0)
	s_barrier
	buffer_gl0_inv
	v_add_f32_e32 v5, v5, v34
	s_delay_alu instid0(VALU_DEP_1) | instskip(SKIP_2) | instid1(VALU_DEP_2)
	v_add_f32_e32 v5, v5, v33
	v_mul_f32_e32 v34, v21, v17
	v_mul_f32_e32 v17, v20, v17
	v_fma_f32 v20, v20, v16, -v34
	s_delay_alu instid0(VALU_DEP_1) | instskip(NEXT) | instid1(VALU_DEP_1)
	v_dual_add_f32 v5, v5, v20 :: v_dual_mul_f32 v20, v28, v25
	v_fmac_f32_e32 v20, v29, v24
	s_delay_alu instid0(VALU_DEP_4) | instskip(SKIP_1) | instid1(VALU_DEP_2)
	v_dual_fmac_f32 v17, v21, v16 :: v_dual_mul_f32 v16, v23, v19
	v_mul_f32_e32 v19, v22, v19
	v_add_f32_e32 v17, v32, v17
	s_delay_alu instid0(VALU_DEP_3) | instskip(NEXT) | instid1(VALU_DEP_3)
	v_fma_f32 v16, v22, v18, -v16
	v_dual_fmac_f32 v19, v23, v18 :: v_dual_mul_f32 v18, v29, v25
	s_delay_alu instid0(VALU_DEP_2) | instskip(NEXT) | instid1(VALU_DEP_2)
	v_add_f32_e32 v5, v5, v16
	v_add_f32_e32 v16, v17, v19
	s_delay_alu instid0(VALU_DEP_3) | instskip(SKIP_2) | instid1(VALU_DEP_3)
	v_fma_f32 v17, v28, v24, -v18
	v_mul_f32_e32 v18, v31, v27
	v_mul_f32_e32 v19, v30, v27
	v_add_f32_e32 v5, v5, v17
	s_delay_alu instid0(VALU_DEP_3) | instskip(NEXT) | instid1(VALU_DEP_3)
	v_fma_f32 v17, v30, v26, -v18
	v_dual_fmac_f32 v19, v31, v26 :: v_dual_add_f32 v16, v16, v20
	s_delay_alu instid0(VALU_DEP_1)
	v_dual_add_f32 v17, v5, v17 :: v_dual_add_f32 v16, v16, v19
	s_cbranch_vccnz .LBB1749_11
.LBB1749_3:                             ; =>This Inner Loop Header: Depth=1
	v_add_co_u32 v18, s13, v11, s0
	s_delay_alu instid0(VALU_DEP_1) | instskip(NEXT) | instid1(VALU_DEP_1)
	v_add_co_ci_u32_e64 v19, null, 0, s1, s13
	v_cmp_le_i64_e32 vcc_lo, s[4:5], v[18:19]
	s_or_b32 s13, s12, vcc_lo
	s_delay_alu instid0(SALU_CYCLE_1) | instskip(NEXT) | instid1(SALU_CYCLE_1)
	s_and_saveexec_b32 s14, s13
	s_xor_b32 s13, exec_lo, s14
	s_cbranch_execz .LBB1749_5
; %bb.4:                                ;   in Loop: Header=BB1749_3 Depth=1
	v_mov_b32_e32 v5, v4
	ds_store_b64 v14, v[4:5]
.LBB1749_5:                             ;   in Loop: Header=BB1749_3 Depth=1
	s_and_not1_saveexec_b32 s13, s13
	s_cbranch_execz .LBB1749_7
; %bb.6:                                ;   in Loop: Header=BB1749_3 Depth=1
	global_load_b64 v[18:19], v[6:7], off
	s_waitcnt vmcnt(0)
	ds_store_b64 v14, v[18:19]
.LBB1749_7:                             ;   in Loop: Header=BB1749_3 Depth=1
	s_or_b32 exec_lo, exec_lo, s13
	v_add_co_u32 v18, s13, v10, s0
	s_delay_alu instid0(VALU_DEP_1) | instskip(NEXT) | instid1(VALU_DEP_1)
	v_add_co_ci_u32_e64 v19, null, 0, s1, s13
                                        ; implicit-def: $sgpr14
	v_cmp_le_i64_e32 vcc_lo, s[4:5], v[18:19]
	s_or_b32 s13, s2, vcc_lo
	s_delay_alu instid0(SALU_CYCLE_1) | instskip(NEXT) | instid1(SALU_CYCLE_1)
	s_and_saveexec_b32 s15, s13
	s_xor_b32 s13, exec_lo, s15
	s_cbranch_execz .LBB1749_9
; %bb.8:                                ;   in Loop: Header=BB1749_3 Depth=1
	s_mov_b32 s14, 0
	ds_store_b32 v15, v4
.LBB1749_9:                             ;   in Loop: Header=BB1749_3 Depth=1
	s_or_saveexec_b32 s13, s13
	v_mov_b32_e32 v5, s14
	s_xor_b32 exec_lo, exec_lo, s13
	s_cbranch_execz .LBB1749_2
; %bb.10:                               ;   in Loop: Header=BB1749_3 Depth=1
	global_load_b64 v[18:19], v[8:9], off offset:-4
	s_waitcnt vmcnt(0)
	v_xor_b32_e32 v5, 0x80000000, v19
	ds_store_b32 v15, v18
	s_branch .LBB1749_2
.LBB1749_11:
	v_cmp_le_i32_e32 vcc_lo, v0, v2
	v_cmp_gt_i32_e64 s0, s3, v2
	s_delay_alu instid0(VALU_DEP_1) | instskip(NEXT) | instid1(SALU_CYCLE_1)
	s_and_b32 s0, vcc_lo, s0
	s_and_saveexec_b32 s1, s0
	s_cbranch_execz .LBB1749_14
; %bb.12:
	v_mul_lo_u32 v5, v2, s19
	v_mul_lo_u32 v6, v3, s18
	v_mad_u64_u32 v[3:4], null, v2, s18, 0
	v_lshlrev_b64 v[7:8], 3, v[0:1]
	s_delay_alu instid0(VALU_DEP_2) | instskip(SKIP_2) | instid1(VALU_DEP_3)
	v_add3_u32 v4, v4, v5, v6
	v_mul_f32_e32 v6, s6, v16
	v_mul_f32_e32 v5, s7, v16
	v_lshlrev_b64 v[3:4], 3, v[3:4]
	s_delay_alu instid0(VALU_DEP_3) | instskip(NEXT) | instid1(VALU_DEP_3)
	v_fmac_f32_e32 v6, s7, v17
	v_fma_f32 v5, v17, s6, -v5
	s_waitcnt lgkmcnt(0)
	s_delay_alu instid0(VALU_DEP_3) | instskip(NEXT) | instid1(VALU_DEP_4)
	v_add_co_u32 v1, vcc_lo, s16, v3
	v_add_co_ci_u32_e32 v4, vcc_lo, s17, v4, vcc_lo
	s_delay_alu instid0(VALU_DEP_2) | instskip(NEXT) | instid1(VALU_DEP_2)
	v_add_co_u32 v3, vcc_lo, v1, v7
	v_add_co_ci_u32_e32 v4, vcc_lo, v4, v8, vcc_lo
	v_cmp_eq_u32_e32 vcc_lo, v0, v2
	global_store_b64 v[3:4], v[5:6], off
	s_and_b32 exec_lo, exec_lo, vcc_lo
	s_cbranch_execz .LBB1749_14
; %bb.13:
	v_mov_b32_e32 v0, 0
	global_store_b32 v[3:4], v0, off offset:4
.LBB1749_14:
	s_nop 0
	s_sendmsg sendmsg(MSG_DEALLOC_VGPRS)
	s_endpgm
	.section	.rodata,"a",@progbits
	.p2align	6, 0x0
	.amdhsa_kernel _ZL32rocblas_syrkx_herkx_small_kernelIl19rocblas_complex_numIfELi16ELb1ELb1ELc78ELc85EKPKS1_KPS1_EviT_T0_PT6_S7_lSA_S7_lS8_PT7_S7_li
		.amdhsa_group_segment_fixed_size 4096
		.amdhsa_private_segment_fixed_size 0
		.amdhsa_kernarg_size 108
		.amdhsa_user_sgpr_count 13
		.amdhsa_user_sgpr_dispatch_ptr 0
		.amdhsa_user_sgpr_queue_ptr 0
		.amdhsa_user_sgpr_kernarg_segment_ptr 1
		.amdhsa_user_sgpr_dispatch_id 0
		.amdhsa_user_sgpr_private_segment_size 0
		.amdhsa_wavefront_size32 1
		.amdhsa_uses_dynamic_stack 0
		.amdhsa_enable_private_segment 0
		.amdhsa_system_sgpr_workgroup_id_x 1
		.amdhsa_system_sgpr_workgroup_id_y 1
		.amdhsa_system_sgpr_workgroup_id_z 1
		.amdhsa_system_sgpr_workgroup_info 0
		.amdhsa_system_vgpr_workitem_id 1
		.amdhsa_next_free_vgpr 70
		.amdhsa_next_free_sgpr 22
		.amdhsa_reserve_vcc 1
		.amdhsa_float_round_mode_32 0
		.amdhsa_float_round_mode_16_64 0
		.amdhsa_float_denorm_mode_32 3
		.amdhsa_float_denorm_mode_16_64 3
		.amdhsa_dx10_clamp 1
		.amdhsa_ieee_mode 1
		.amdhsa_fp16_overflow 0
		.amdhsa_workgroup_processor_mode 1
		.amdhsa_memory_ordered 1
		.amdhsa_forward_progress 0
		.amdhsa_shared_vgpr_count 0
		.amdhsa_exception_fp_ieee_invalid_op 0
		.amdhsa_exception_fp_denorm_src 0
		.amdhsa_exception_fp_ieee_div_zero 0
		.amdhsa_exception_fp_ieee_overflow 0
		.amdhsa_exception_fp_ieee_underflow 0
		.amdhsa_exception_fp_ieee_inexact 0
		.amdhsa_exception_int_div_zero 0
	.end_amdhsa_kernel
	.section	.text._ZL32rocblas_syrkx_herkx_small_kernelIl19rocblas_complex_numIfELi16ELb1ELb1ELc78ELc85EKPKS1_KPS1_EviT_T0_PT6_S7_lSA_S7_lS8_PT7_S7_li,"axG",@progbits,_ZL32rocblas_syrkx_herkx_small_kernelIl19rocblas_complex_numIfELi16ELb1ELb1ELc78ELc85EKPKS1_KPS1_EviT_T0_PT6_S7_lSA_S7_lS8_PT7_S7_li,comdat
.Lfunc_end1749:
	.size	_ZL32rocblas_syrkx_herkx_small_kernelIl19rocblas_complex_numIfELi16ELb1ELb1ELc78ELc85EKPKS1_KPS1_EviT_T0_PT6_S7_lSA_S7_lS8_PT7_S7_li, .Lfunc_end1749-_ZL32rocblas_syrkx_herkx_small_kernelIl19rocblas_complex_numIfELi16ELb1ELb1ELc78ELc85EKPKS1_KPS1_EviT_T0_PT6_S7_lSA_S7_lS8_PT7_S7_li
                                        ; -- End function
	.section	.AMDGPU.csdata,"",@progbits
; Kernel info:
; codeLenInByte = 1572
; NumSgprs: 24
; NumVgprs: 70
; ScratchSize: 0
; MemoryBound: 1
; FloatMode: 240
; IeeeMode: 1
; LDSByteSize: 4096 bytes/workgroup (compile time only)
; SGPRBlocks: 2
; VGPRBlocks: 8
; NumSGPRsForWavesPerEU: 24
; NumVGPRsForWavesPerEU: 70
; Occupancy: 16
; WaveLimiterHint : 1
; COMPUTE_PGM_RSRC2:SCRATCH_EN: 0
; COMPUTE_PGM_RSRC2:USER_SGPR: 13
; COMPUTE_PGM_RSRC2:TRAP_HANDLER: 0
; COMPUTE_PGM_RSRC2:TGID_X_EN: 1
; COMPUTE_PGM_RSRC2:TGID_Y_EN: 1
; COMPUTE_PGM_RSRC2:TGID_Z_EN: 1
; COMPUTE_PGM_RSRC2:TIDIG_COMP_CNT: 1
	.section	.text._ZL32rocblas_syrkx_herkx_small_kernelIl19rocblas_complex_numIfELi16ELb0ELb1ELc84ELc76EKPKS1_KPS1_EviT_T0_PT6_S7_lSA_S7_lS8_PT7_S7_li,"axG",@progbits,_ZL32rocblas_syrkx_herkx_small_kernelIl19rocblas_complex_numIfELi16ELb0ELb1ELc84ELc76EKPKS1_KPS1_EviT_T0_PT6_S7_lSA_S7_lS8_PT7_S7_li,comdat
	.globl	_ZL32rocblas_syrkx_herkx_small_kernelIl19rocblas_complex_numIfELi16ELb0ELb1ELc84ELc76EKPKS1_KPS1_EviT_T0_PT6_S7_lSA_S7_lS8_PT7_S7_li ; -- Begin function _ZL32rocblas_syrkx_herkx_small_kernelIl19rocblas_complex_numIfELi16ELb0ELb1ELc84ELc76EKPKS1_KPS1_EviT_T0_PT6_S7_lSA_S7_lS8_PT7_S7_li
	.p2align	8
	.type	_ZL32rocblas_syrkx_herkx_small_kernelIl19rocblas_complex_numIfELi16ELb0ELb1ELc84ELc76EKPKS1_KPS1_EviT_T0_PT6_S7_lSA_S7_lS8_PT7_S7_li,@function
_ZL32rocblas_syrkx_herkx_small_kernelIl19rocblas_complex_numIfELi16ELb0ELb1ELc84ELc76EKPKS1_KPS1_EviT_T0_PT6_S7_lSA_S7_lS8_PT7_S7_li: ; @_ZL32rocblas_syrkx_herkx_small_kernelIl19rocblas_complex_numIfELi16ELb0ELb1ELc84ELc76EKPKS1_KPS1_EviT_T0_PT6_S7_lSA_S7_lS8_PT7_S7_li
; %bb.0:
	s_clause 0x2
	s_load_b128 s[16:19], s[0:1], 0x48
	s_load_b256 s[4:11], s[0:1], 0x8
	s_load_b32 s3, s[0:1], 0x0
	s_mov_b32 s20, s15
	s_mov_b32 s21, 0
	v_dual_mov_b32 v17, 0 :: v_dual_and_b32 v10, 0x3ff, v0
	s_lshl_b64 s[22:23], s[20:21], 3
	v_bfe_u32 v11, v0, 10, 10
	v_mov_b32_e32 v16, 0
	s_delay_alu instid0(VALU_DEP_3) | instskip(NEXT) | instid1(VALU_DEP_3)
	v_lshl_add_u32 v0, s13, 4, v10
	v_lshl_add_u32 v8, s14, 4, v11
	s_delay_alu instid0(VALU_DEP_2) | instskip(NEXT) | instid1(VALU_DEP_2)
	v_ashrrev_i32_e32 v1, 31, v0
	v_ashrrev_i32_e32 v9, 31, v8
	s_waitcnt lgkmcnt(0)
	s_add_u32 s18, s18, s22
	s_addc_u32 s19, s19, s23
	s_load_b64 s[20:21], s[0:1], 0x58
	s_load_b64 s[18:19], s[18:19], 0x0
	v_cmp_lt_i64_e64 s2, s[4:5], 1
	s_delay_alu instid0(VALU_DEP_1)
	s_and_b32 vcc_lo, exec_lo, s2
	v_cmp_gt_i32_e64 s2, s3, v0
	s_cbranch_vccnz .LBB1750_11
; %bb.1:
	s_load_b128 s[12:15], s[0:1], 0x30
	v_mul_lo_u32 v14, s11, v0
	v_mul_lo_u32 v15, s10, v1
	v_mad_u64_u32 v[5:6], null, s10, v0, 0
	v_lshlrev_b32_e32 v12, 3, v10
	v_dual_mov_b32 v2, 0 :: v_dual_lshlrev_b32 v7, 7, v11
	v_lshlrev_b32_e32 v17, 3, v11
	v_cmp_gt_i32_e32 vcc_lo, s3, v8
	v_add3_u32 v6, v6, v15, v14
	s_delay_alu instid0(VALU_DEP_4) | instskip(NEXT) | instid1(VALU_DEP_2)
	v_add_nc_u32_e32 v14, v12, v7
	v_lshlrev_b64 v[5:6], 3, v[5:6]
	s_waitcnt lgkmcnt(0)
	v_mul_lo_u32 v13, s15, v8
	v_mul_lo_u32 v16, s14, v9
	v_mad_u64_u32 v[3:4], null, s14, v8, 0
	s_add_u32 s0, s12, s22
	s_addc_u32 s1, s13, s23
	s_add_u32 s8, s8, s22
	s_load_b64 s[10:11], s[0:1], 0x0
	s_addc_u32 s9, s9, s23
	s_xor_b32 s2, s2, -1
	s_delay_alu instid0(VALU_DEP_1) | instskip(SKIP_3) | instid1(VALU_DEP_3)
	v_add3_u32 v4, v4, v16, v13
	v_mov_b32_e32 v16, 0
	s_load_b64 s[8:9], s[8:9], 0x0
	v_add_nc_u32_e32 v13, 0x800, v7
	v_lshlrev_b64 v[3:4], 3, v[3:4]
	s_delay_alu instid0(VALU_DEP_1) | instskip(NEXT) | instid1(VALU_DEP_1)
	v_add_co_u32 v3, s0, v3, v12
	v_add_co_ci_u32_e64 v7, s0, 0, v4, s0
	v_add_co_u32 v17, s0, v5, v17
	s_delay_alu instid0(VALU_DEP_1) | instskip(SKIP_2) | instid1(VALU_DEP_1)
	v_add_co_ci_u32_e64 v18, s0, 0, v6, s0
	s_waitcnt lgkmcnt(0)
	v_add_co_u32 v4, s0, s10, v3
	v_add_co_ci_u32_e64 v5, s0, s11, v7, s0
	v_add_co_u32 v6, s0, s8, v17
	s_delay_alu instid0(VALU_DEP_1)
	v_add_co_ci_u32_e64 v7, s0, s9, v18, s0
	v_mov_b32_e32 v17, 0
	v_add_nc_u32_e32 v15, v13, v12
	s_mov_b64 s[0:1], 0
	s_xor_b32 s8, vcc_lo, -1
	s_branch .LBB1750_3
.LBB1750_2:                             ;   in Loop: Header=BB1750_3 Depth=1
	s_or_b32 exec_lo, exec_lo, s9
	s_waitcnt lgkmcnt(0)
	s_barrier
	buffer_gl0_inv
	ds_load_2addr_b64 v[18:21], v12 offset1:16
	ds_load_b128 v[22:25], v13
	ds_load_b128 v[26:29], v13 offset:16
	ds_load_2addr_b64 v[30:33], v12 offset0:32 offset1:48
	ds_load_2addr_b64 v[34:37], v12 offset0:64 offset1:80
	ds_load_b128 v[38:41], v13 offset:32
	ds_load_b128 v[42:45], v13 offset:48
	ds_load_2addr_b64 v[46:49], v12 offset0:96 offset1:112
	ds_load_2addr_b64 v[50:53], v12 offset0:128 offset1:144
	;; [unrolled: 1-line block ×3, first 2 shown]
	ds_load_b128 v[58:61], v13 offset:64
	ds_load_b128 v[62:65], v13 offset:80
	s_add_u32 s0, s0, 16
	s_addc_u32 s1, s1, 0
	v_add_co_u32 v4, vcc_lo, 0x80, v4
	v_cmp_ge_i64_e64 s9, s[0:1], s[4:5]
	v_add_co_ci_u32_e32 v5, vcc_lo, 0, v5, vcc_lo
	v_add_co_u32 v6, vcc_lo, 0x80, v6
	s_waitcnt lgkmcnt(10)
	v_dual_mul_f32 v3, v23, v19 :: v_dual_mul_f32 v66, v25, v21
	s_waitcnt lgkmcnt(8)
	v_dual_mul_f32 v19, v22, v19 :: v_dual_mul_f32 v68, v29, v33
	v_mul_f32_e32 v21, v24, v21
	v_mul_f32_e32 v67, v27, v31
	;; [unrolled: 1-line block ×3, first 2 shown]
	s_delay_alu instid0(VALU_DEP_4)
	v_fmac_f32_e32 v19, v23, v18
	v_fma_f32 v3, v22, v18, -v3
	s_waitcnt lgkmcnt(6)
	v_dual_fmac_f32 v21, v25, v20 :: v_dual_mul_f32 v18, v40, v37
	v_mul_f32_e32 v33, v28, v33
	v_add_f32_e32 v16, v16, v19
	v_mul_f32_e32 v69, v39, v35
	v_fmac_f32_e32 v31, v27, v30
	v_fma_f32 v23, v24, v20, -v66
	v_fmac_f32_e32 v18, v41, v36
	v_dual_add_f32 v16, v16, v21 :: v_dual_fmac_f32 v33, v29, v32
	s_waitcnt lgkmcnt(1)
	v_mul_f32_e32 v24, v58, v51
	v_mul_f32_e32 v20, v42, v47
	v_add_f32_e32 v3, v17, v3
	v_add_f32_e32 v16, v16, v31
	v_mul_f32_e32 v35, v38, v35
	v_fma_f32 v21, v28, v32, -v68
	s_waitcnt lgkmcnt(0)
	v_mul_f32_e32 v32, v62, v55
	v_mul_f32_e32 v22, v41, v37
	v_dual_add_f32 v16, v16, v33 :: v_dual_fmac_f32 v35, v39, v34
	v_fma_f32 v19, v26, v30, -v67
	v_dual_fmac_f32 v20, v43, v46 :: v_dual_mul_f32 v27, v60, v53
	s_delay_alu instid0(VALU_DEP_4) | instskip(NEXT) | instid1(VALU_DEP_4)
	v_fma_f32 v22, v40, v36, -v22
	v_add_f32_e32 v16, v16, v35
	v_mul_f32_e32 v17, v43, v47
	v_add_co_ci_u32_e32 v7, vcc_lo, 0, v7, vcc_lo
	v_fmac_f32_e32 v24, v59, v50
	s_delay_alu instid0(VALU_DEP_4) | instskip(SKIP_3) | instid1(VALU_DEP_4)
	v_dual_add_f32 v16, v16, v18 :: v_dual_add_f32 v3, v3, v23
	v_mul_f32_e32 v26, v61, v53
	v_fma_f32 v23, v38, v34, -v69
	v_fmac_f32_e32 v27, v61, v52
	v_dual_add_f32 v20, v16, v20 :: v_dual_add_f32 v3, v3, v19
	v_mul_f32_e32 v19, v45, v49
	v_fma_f32 v17, v42, v46, -v17
	v_fmac_f32_e32 v32, v63, v54
	s_and_b32 vcc_lo, exec_lo, s9
	v_add_f32_e32 v3, v3, v21
	v_mul_f32_e32 v21, v44, v49
	s_delay_alu instid0(VALU_DEP_1) | instskip(NEXT) | instid1(VALU_DEP_1)
	v_dual_mul_f32 v36, v64, v57 :: v_dual_fmac_f32 v21, v45, v48
	v_dual_fmac_f32 v36, v65, v56 :: v_dual_add_f32 v25, v20, v21
	s_delay_alu instid0(VALU_DEP_1) | instskip(SKIP_2) | instid1(VALU_DEP_3)
	v_dual_add_f32 v24, v25, v24 :: v_dual_add_f32 v3, v3, v23
	v_fma_f32 v25, v60, v52, -v26
	v_mul_f32_e32 v26, v63, v55
	v_add_f32_e32 v33, v24, v27
	s_delay_alu instid0(VALU_DEP_4) | instskip(SKIP_3) | instid1(VALU_DEP_4)
	v_add_f32_e32 v3, v3, v22
	v_mul_f32_e32 v23, v59, v51
	v_fma_f32 v22, v44, v48, -v19
	v_fma_f32 v34, v62, v54, -v26
	v_dual_add_f32 v32, v33, v32 :: v_dual_add_f32 v3, v3, v17
	ds_load_2addr_b64 v[16:19], v12 offset0:192 offset1:208
	v_fma_f32 v23, v58, v50, -v23
	v_dual_add_f32 v32, v32, v36 :: v_dual_add_f32 v3, v3, v22
	s_delay_alu instid0(VALU_DEP_1)
	v_add_f32_e32 v3, v3, v23
	ds_load_b128 v[20:23], v13 offset:96
	v_add_f32_e32 v3, v3, v25
	ds_load_2addr_b64 v[24:27], v12 offset0:224 offset1:240
	ds_load_b128 v[28:31], v13 offset:112
	v_mul_f32_e32 v35, v65, v57
	s_waitcnt lgkmcnt(0)
	s_barrier
	v_add_f32_e32 v3, v3, v34
	buffer_gl0_inv
	v_fma_f32 v33, v64, v56, -v35
	s_delay_alu instid0(VALU_DEP_1) | instskip(SKIP_2) | instid1(VALU_DEP_2)
	v_add_f32_e32 v3, v3, v33
	v_mul_f32_e32 v34, v21, v17
	v_mul_f32_e32 v17, v20, v17
	v_fma_f32 v20, v20, v16, -v34
	s_delay_alu instid0(VALU_DEP_2) | instskip(SKIP_1) | instid1(VALU_DEP_3)
	v_dual_fmac_f32 v17, v21, v16 :: v_dual_mul_f32 v16, v23, v19
	v_mul_f32_e32 v19, v22, v19
	v_add_f32_e32 v3, v3, v20
	s_delay_alu instid0(VALU_DEP_3) | instskip(NEXT) | instid1(VALU_DEP_4)
	v_add_f32_e32 v17, v32, v17
	v_fma_f32 v16, v22, v18, -v16
	s_delay_alu instid0(VALU_DEP_4) | instskip(NEXT) | instid1(VALU_DEP_2)
	v_dual_fmac_f32 v19, v23, v18 :: v_dual_mul_f32 v18, v29, v25
	v_dual_mul_f32 v20, v28, v25 :: v_dual_add_f32 v3, v3, v16
	s_delay_alu instid0(VALU_DEP_2) | instskip(NEXT) | instid1(VALU_DEP_3)
	v_add_f32_e32 v16, v17, v19
	v_fma_f32 v17, v28, v24, -v18
	s_delay_alu instid0(VALU_DEP_3) | instskip(SKIP_2) | instid1(VALU_DEP_3)
	v_fmac_f32_e32 v20, v29, v24
	v_mul_f32_e32 v18, v31, v27
	v_mul_f32_e32 v19, v30, v27
	v_dual_add_f32 v3, v3, v17 :: v_dual_add_f32 v16, v16, v20
	s_delay_alu instid0(VALU_DEP_3) | instskip(NEXT) | instid1(VALU_DEP_3)
	v_fma_f32 v17, v30, v26, -v18
	v_fmac_f32_e32 v19, v31, v26
	s_delay_alu instid0(VALU_DEP_1)
	v_dual_add_f32 v17, v3, v17 :: v_dual_add_f32 v16, v16, v19
	s_cbranch_vccnz .LBB1750_11
.LBB1750_3:                             ; =>This Inner Loop Header: Depth=1
	v_add_co_u32 v18, s9, v11, s0
	s_delay_alu instid0(VALU_DEP_1) | instskip(NEXT) | instid1(VALU_DEP_1)
	v_add_co_ci_u32_e64 v19, null, 0, s1, s9
	v_cmp_le_i64_e32 vcc_lo, s[4:5], v[18:19]
	s_or_b32 s9, s2, vcc_lo
	s_delay_alu instid0(SALU_CYCLE_1) | instskip(NEXT) | instid1(SALU_CYCLE_1)
	s_and_saveexec_b32 s10, s9
	s_xor_b32 s9, exec_lo, s10
	s_cbranch_execz .LBB1750_5
; %bb.4:                                ;   in Loop: Header=BB1750_3 Depth=1
	v_mov_b32_e32 v3, v2
	ds_store_b64 v14, v[2:3]
.LBB1750_5:                             ;   in Loop: Header=BB1750_3 Depth=1
	s_and_not1_saveexec_b32 s9, s9
	s_cbranch_execz .LBB1750_7
; %bb.6:                                ;   in Loop: Header=BB1750_3 Depth=1
	global_load_b64 v[18:19], v[6:7], off
	s_waitcnt vmcnt(0)
	ds_store_b64 v14, v[18:19]
.LBB1750_7:                             ;   in Loop: Header=BB1750_3 Depth=1
	s_or_b32 exec_lo, exec_lo, s9
	v_add_co_u32 v18, s9, v10, s0
	s_delay_alu instid0(VALU_DEP_1) | instskip(NEXT) | instid1(VALU_DEP_1)
	v_add_co_ci_u32_e64 v19, null, 0, s1, s9
	v_cmp_le_i64_e32 vcc_lo, s[4:5], v[18:19]
	s_or_b32 s9, s8, vcc_lo
	s_delay_alu instid0(SALU_CYCLE_1) | instskip(NEXT) | instid1(SALU_CYCLE_1)
	s_and_saveexec_b32 s10, s9
	s_xor_b32 s9, exec_lo, s10
	s_cbranch_execz .LBB1750_9
; %bb.8:                                ;   in Loop: Header=BB1750_3 Depth=1
	v_mov_b32_e32 v3, v2
	ds_store_b64 v15, v[2:3]
.LBB1750_9:                             ;   in Loop: Header=BB1750_3 Depth=1
	s_and_not1_saveexec_b32 s9, s9
	s_cbranch_execz .LBB1750_2
; %bb.10:                               ;   in Loop: Header=BB1750_3 Depth=1
	global_load_b64 v[18:19], v[4:5], off
	s_waitcnt vmcnt(0)
	ds_store_b64 v15, v[18:19]
	s_branch .LBB1750_2
.LBB1750_11:
	v_cmp_le_i32_e32 vcc_lo, v8, v0
	v_cmp_gt_i32_e64 s0, s3, v0
	s_delay_alu instid0(VALU_DEP_1) | instskip(NEXT) | instid1(SALU_CYCLE_1)
	s_and_b32 s0, vcc_lo, s0
	s_and_saveexec_b32 s1, s0
	s_cbranch_execz .LBB1750_14
; %bb.12:
	s_waitcnt lgkmcnt(0)
	v_mul_lo_u32 v4, v8, s21
	v_mul_lo_u32 v5, v9, s20
	v_mad_u64_u32 v[2:3], null, v8, s20, 0
	s_delay_alu instid0(VALU_DEP_1) | instskip(SKIP_1) | instid1(VALU_DEP_2)
	v_add3_u32 v3, v3, v4, v5
	v_lshlrev_b64 v[4:5], 3, v[0:1]
	v_lshlrev_b64 v[2:3], 3, v[2:3]
	s_delay_alu instid0(VALU_DEP_1) | instskip(NEXT) | instid1(VALU_DEP_2)
	v_add_co_u32 v1, vcc_lo, s18, v2
	v_add_co_ci_u32_e32 v2, vcc_lo, s19, v3, vcc_lo
	s_delay_alu instid0(VALU_DEP_2) | instskip(NEXT) | instid1(VALU_DEP_2)
	v_add_co_u32 v1, vcc_lo, v1, v4
	v_add_co_ci_u32_e32 v2, vcc_lo, v2, v5, vcc_lo
	v_cmp_eq_u32_e32 vcc_lo, v0, v8
	global_load_b64 v[3:4], v[1:2], off
	s_waitcnt vmcnt(0)
	v_mul_f32_e32 v7, s17, v4
	v_mul_f32_e32 v4, s16, v4
	s_delay_alu instid0(VALU_DEP_1) | instskip(NEXT) | instid1(VALU_DEP_3)
	v_fmac_f32_e32 v4, s17, v3
	v_fma_f32 v7, v3, s16, -v7
	v_mul_f32_e32 v6, s6, v16
	s_delay_alu instid0(VALU_DEP_1) | instskip(NEXT) | instid1(VALU_DEP_1)
	v_dual_mul_f32 v5, s7, v16 :: v_dual_fmac_f32 v6, s7, v17
	v_fma_f32 v5, v17, s6, -v5
	s_delay_alu instid0(VALU_DEP_1)
	v_dual_add_f32 v4, v6, v4 :: v_dual_add_f32 v3, v5, v7
	global_store_b64 v[1:2], v[3:4], off
	s_and_b32 exec_lo, exec_lo, vcc_lo
	s_cbranch_execz .LBB1750_14
; %bb.13:
	v_mov_b32_e32 v0, 0
	global_store_b32 v[1:2], v0, off offset:4
.LBB1750_14:
	s_nop 0
	s_sendmsg sendmsg(MSG_DEALLOC_VGPRS)
	s_endpgm
	.section	.rodata,"a",@progbits
	.p2align	6, 0x0
	.amdhsa_kernel _ZL32rocblas_syrkx_herkx_small_kernelIl19rocblas_complex_numIfELi16ELb0ELb1ELc84ELc76EKPKS1_KPS1_EviT_T0_PT6_S7_lSA_S7_lS8_PT7_S7_li
		.amdhsa_group_segment_fixed_size 4096
		.amdhsa_private_segment_fixed_size 0
		.amdhsa_kernarg_size 108
		.amdhsa_user_sgpr_count 13
		.amdhsa_user_sgpr_dispatch_ptr 0
		.amdhsa_user_sgpr_queue_ptr 0
		.amdhsa_user_sgpr_kernarg_segment_ptr 1
		.amdhsa_user_sgpr_dispatch_id 0
		.amdhsa_user_sgpr_private_segment_size 0
		.amdhsa_wavefront_size32 1
		.amdhsa_uses_dynamic_stack 0
		.amdhsa_enable_private_segment 0
		.amdhsa_system_sgpr_workgroup_id_x 1
		.amdhsa_system_sgpr_workgroup_id_y 1
		.amdhsa_system_sgpr_workgroup_id_z 1
		.amdhsa_system_sgpr_workgroup_info 0
		.amdhsa_system_vgpr_workitem_id 1
		.amdhsa_next_free_vgpr 70
		.amdhsa_next_free_sgpr 24
		.amdhsa_reserve_vcc 1
		.amdhsa_float_round_mode_32 0
		.amdhsa_float_round_mode_16_64 0
		.amdhsa_float_denorm_mode_32 3
		.amdhsa_float_denorm_mode_16_64 3
		.amdhsa_dx10_clamp 1
		.amdhsa_ieee_mode 1
		.amdhsa_fp16_overflow 0
		.amdhsa_workgroup_processor_mode 1
		.amdhsa_memory_ordered 1
		.amdhsa_forward_progress 0
		.amdhsa_shared_vgpr_count 0
		.amdhsa_exception_fp_ieee_invalid_op 0
		.amdhsa_exception_fp_denorm_src 0
		.amdhsa_exception_fp_ieee_div_zero 0
		.amdhsa_exception_fp_ieee_overflow 0
		.amdhsa_exception_fp_ieee_underflow 0
		.amdhsa_exception_fp_ieee_inexact 0
		.amdhsa_exception_int_div_zero 0
	.end_amdhsa_kernel
	.section	.text._ZL32rocblas_syrkx_herkx_small_kernelIl19rocblas_complex_numIfELi16ELb0ELb1ELc84ELc76EKPKS1_KPS1_EviT_T0_PT6_S7_lSA_S7_lS8_PT7_S7_li,"axG",@progbits,_ZL32rocblas_syrkx_herkx_small_kernelIl19rocblas_complex_numIfELi16ELb0ELb1ELc84ELc76EKPKS1_KPS1_EviT_T0_PT6_S7_lSA_S7_lS8_PT7_S7_li,comdat
.Lfunc_end1750:
	.size	_ZL32rocblas_syrkx_herkx_small_kernelIl19rocblas_complex_numIfELi16ELb0ELb1ELc84ELc76EKPKS1_KPS1_EviT_T0_PT6_S7_lSA_S7_lS8_PT7_S7_li, .Lfunc_end1750-_ZL32rocblas_syrkx_herkx_small_kernelIl19rocblas_complex_numIfELi16ELb0ELb1ELc84ELc76EKPKS1_KPS1_EviT_T0_PT6_S7_lSA_S7_lS8_PT7_S7_li
                                        ; -- End function
	.section	.AMDGPU.csdata,"",@progbits
; Kernel info:
; codeLenInByte = 1580
; NumSgprs: 26
; NumVgprs: 70
; ScratchSize: 0
; MemoryBound: 1
; FloatMode: 240
; IeeeMode: 1
; LDSByteSize: 4096 bytes/workgroup (compile time only)
; SGPRBlocks: 3
; VGPRBlocks: 8
; NumSGPRsForWavesPerEU: 26
; NumVGPRsForWavesPerEU: 70
; Occupancy: 16
; WaveLimiterHint : 1
; COMPUTE_PGM_RSRC2:SCRATCH_EN: 0
; COMPUTE_PGM_RSRC2:USER_SGPR: 13
; COMPUTE_PGM_RSRC2:TRAP_HANDLER: 0
; COMPUTE_PGM_RSRC2:TGID_X_EN: 1
; COMPUTE_PGM_RSRC2:TGID_Y_EN: 1
; COMPUTE_PGM_RSRC2:TGID_Z_EN: 1
; COMPUTE_PGM_RSRC2:TIDIG_COMP_CNT: 1
	.section	.text._ZL32rocblas_syrkx_herkx_small_kernelIl19rocblas_complex_numIfELi16ELb0ELb1ELc67ELc76EKPKS1_KPS1_EviT_T0_PT6_S7_lSA_S7_lS8_PT7_S7_li,"axG",@progbits,_ZL32rocblas_syrkx_herkx_small_kernelIl19rocblas_complex_numIfELi16ELb0ELb1ELc67ELc76EKPKS1_KPS1_EviT_T0_PT6_S7_lSA_S7_lS8_PT7_S7_li,comdat
	.globl	_ZL32rocblas_syrkx_herkx_small_kernelIl19rocblas_complex_numIfELi16ELb0ELb1ELc67ELc76EKPKS1_KPS1_EviT_T0_PT6_S7_lSA_S7_lS8_PT7_S7_li ; -- Begin function _ZL32rocblas_syrkx_herkx_small_kernelIl19rocblas_complex_numIfELi16ELb0ELb1ELc67ELc76EKPKS1_KPS1_EviT_T0_PT6_S7_lSA_S7_lS8_PT7_S7_li
	.p2align	8
	.type	_ZL32rocblas_syrkx_herkx_small_kernelIl19rocblas_complex_numIfELi16ELb0ELb1ELc67ELc76EKPKS1_KPS1_EviT_T0_PT6_S7_lSA_S7_lS8_PT7_S7_li,@function
_ZL32rocblas_syrkx_herkx_small_kernelIl19rocblas_complex_numIfELi16ELb0ELb1ELc67ELc76EKPKS1_KPS1_EviT_T0_PT6_S7_lSA_S7_lS8_PT7_S7_li: ; @_ZL32rocblas_syrkx_herkx_small_kernelIl19rocblas_complex_numIfELi16ELb0ELb1ELc67ELc76EKPKS1_KPS1_EviT_T0_PT6_S7_lSA_S7_lS8_PT7_S7_li
; %bb.0:
	s_clause 0x2
	s_load_b128 s[16:19], s[0:1], 0x48
	s_load_b256 s[4:11], s[0:1], 0x8
	s_load_b32 s3, s[0:1], 0x0
	s_mov_b32 s20, s15
	s_mov_b32 s21, 0
	v_dual_mov_b32 v17, 0 :: v_dual_and_b32 v10, 0x3ff, v0
	s_lshl_b64 s[22:23], s[20:21], 3
	v_bfe_u32 v11, v0, 10, 10
	v_mov_b32_e32 v16, 0
	s_delay_alu instid0(VALU_DEP_3) | instskip(NEXT) | instid1(VALU_DEP_3)
	v_lshl_add_u32 v0, s13, 4, v10
	v_lshl_add_u32 v8, s14, 4, v11
	s_delay_alu instid0(VALU_DEP_2) | instskip(NEXT) | instid1(VALU_DEP_2)
	v_ashrrev_i32_e32 v1, 31, v0
	v_ashrrev_i32_e32 v9, 31, v8
	s_waitcnt lgkmcnt(0)
	s_add_u32 s18, s18, s22
	s_addc_u32 s19, s19, s23
	s_load_b64 s[20:21], s[0:1], 0x58
	s_load_b64 s[18:19], s[18:19], 0x0
	v_cmp_lt_i64_e64 s2, s[4:5], 1
	s_delay_alu instid0(VALU_DEP_1)
	s_and_b32 vcc_lo, exec_lo, s2
	v_cmp_gt_i32_e64 s2, s3, v0
	s_cbranch_vccnz .LBB1751_11
; %bb.1:
	s_load_b128 s[12:15], s[0:1], 0x30
	v_mul_lo_u32 v13, s11, v0
	v_mul_lo_u32 v14, s10, v1
	v_mad_u64_u32 v[3:4], null, s10, v0, 0
	v_lshlrev_b32_e32 v17, 3, v11
	v_lshlrev_b32_e32 v12, 3, v10
	v_dual_mov_b32 v2, 0 :: v_dual_lshlrev_b32 v7, 7, v11
	v_cmp_gt_i32_e32 vcc_lo, s3, v8
	v_add3_u32 v4, v4, v14, v13
	s_delay_alu instid0(VALU_DEP_3) | instskip(NEXT) | instid1(VALU_DEP_2)
	v_add_nc_u32_e32 v13, 0x800, v7
	v_lshlrev_b64 v[3:4], 3, v[3:4]
	s_waitcnt lgkmcnt(0)
	s_add_u32 s0, s12, s22
	s_addc_u32 s1, s13, s23
	s_add_u32 s8, s8, s22
	v_mul_lo_u32 v15, s15, v8
	v_mul_lo_u32 v16, s14, v9
	v_mad_u64_u32 v[5:6], null, s14, v8, 0
	s_addc_u32 s9, s9, s23
	s_load_b64 s[10:11], s[0:1], 0x0
	s_load_b64 s[8:9], s[8:9], 0x0
	s_xor_b32 s2, s2, -1
	s_delay_alu instid0(VALU_DEP_1) | instskip(SKIP_2) | instid1(VALU_DEP_1)
	v_add3_u32 v6, v6, v16, v15
	v_mov_b32_e32 v16, 0
	v_add_co_u32 v3, s0, v3, v17
	v_add_co_ci_u32_e64 v4, s0, 0, v4, s0
	s_delay_alu instid0(VALU_DEP_4) | instskip(SKIP_2) | instid1(VALU_DEP_3)
	v_lshlrev_b64 v[5:6], 3, v[5:6]
	v_dual_mov_b32 v17, 0 :: v_dual_add_nc_u32 v14, v12, v7
	v_add_nc_u32_e32 v15, v13, v12
	v_add_co_u32 v5, s0, v5, v12
	s_delay_alu instid0(VALU_DEP_1) | instskip(SKIP_2) | instid1(VALU_DEP_1)
	v_add_co_ci_u32_e64 v6, s0, 0, v6, s0
	s_waitcnt lgkmcnt(0)
	v_add_co_u32 v3, s0, v3, s8
	v_add_co_ci_u32_e64 v7, s0, s9, v4, s0
	v_add_co_u32 v4, s0, s10, v5
	s_delay_alu instid0(VALU_DEP_1) | instskip(NEXT) | instid1(VALU_DEP_4)
	v_add_co_ci_u32_e64 v5, s0, s11, v6, s0
	v_add_co_u32 v6, s0, v3, 4
	s_delay_alu instid0(VALU_DEP_1)
	v_add_co_ci_u32_e64 v7, s0, 0, v7, s0
	s_mov_b64 s[0:1], 0
	s_xor_b32 s8, vcc_lo, -1
	s_branch .LBB1751_3
.LBB1751_2:                             ;   in Loop: Header=BB1751_3 Depth=1
	s_or_b32 exec_lo, exec_lo, s9
	s_waitcnt lgkmcnt(0)
	s_barrier
	buffer_gl0_inv
	ds_load_2addr_b64 v[18:21], v12 offset1:16
	ds_load_b128 v[22:25], v13
	ds_load_b128 v[26:29], v13 offset:16
	ds_load_2addr_b64 v[30:33], v12 offset0:32 offset1:48
	ds_load_2addr_b64 v[34:37], v12 offset0:64 offset1:80
	ds_load_b128 v[38:41], v13 offset:32
	ds_load_b128 v[42:45], v13 offset:48
	ds_load_2addr_b64 v[46:49], v12 offset0:96 offset1:112
	ds_load_2addr_b64 v[50:53], v12 offset0:128 offset1:144
	;; [unrolled: 1-line block ×3, first 2 shown]
	ds_load_b128 v[58:61], v13 offset:64
	ds_load_b128 v[62:65], v13 offset:80
	s_add_u32 s0, s0, 16
	s_addc_u32 s1, s1, 0
	v_add_co_u32 v4, vcc_lo, 0x80, v4
	v_cmp_ge_i64_e64 s9, s[0:1], s[4:5]
	v_add_co_ci_u32_e32 v5, vcc_lo, 0, v5, vcc_lo
	v_add_co_u32 v6, vcc_lo, 0x80, v6
	s_waitcnt lgkmcnt(10)
	v_dual_mul_f32 v3, v23, v19 :: v_dual_mul_f32 v66, v25, v21
	s_waitcnt lgkmcnt(8)
	v_dual_mul_f32 v19, v22, v19 :: v_dual_mul_f32 v68, v29, v33
	v_mul_f32_e32 v21, v24, v21
	v_mul_f32_e32 v67, v27, v31
	v_mul_f32_e32 v31, v26, v31
	s_delay_alu instid0(VALU_DEP_4)
	v_fmac_f32_e32 v19, v23, v18
	v_fma_f32 v3, v22, v18, -v3
	s_waitcnt lgkmcnt(6)
	v_dual_fmac_f32 v21, v25, v20 :: v_dual_mul_f32 v18, v40, v37
	v_mul_f32_e32 v33, v28, v33
	v_add_f32_e32 v16, v16, v19
	v_mul_f32_e32 v69, v39, v35
	v_fmac_f32_e32 v31, v27, v30
	v_fma_f32 v23, v24, v20, -v66
	v_fmac_f32_e32 v18, v41, v36
	v_dual_add_f32 v16, v16, v21 :: v_dual_fmac_f32 v33, v29, v32
	s_waitcnt lgkmcnt(1)
	v_mul_f32_e32 v24, v58, v51
	v_mul_f32_e32 v20, v42, v47
	v_add_f32_e32 v3, v17, v3
	v_add_f32_e32 v16, v16, v31
	v_mul_f32_e32 v35, v38, v35
	v_fma_f32 v21, v28, v32, -v68
	s_waitcnt lgkmcnt(0)
	v_mul_f32_e32 v32, v62, v55
	v_mul_f32_e32 v22, v41, v37
	v_dual_add_f32 v16, v16, v33 :: v_dual_fmac_f32 v35, v39, v34
	v_fma_f32 v19, v26, v30, -v67
	v_dual_fmac_f32 v20, v43, v46 :: v_dual_mul_f32 v27, v60, v53
	s_delay_alu instid0(VALU_DEP_4) | instskip(NEXT) | instid1(VALU_DEP_4)
	v_fma_f32 v22, v40, v36, -v22
	v_add_f32_e32 v16, v16, v35
	v_mul_f32_e32 v17, v43, v47
	v_add_co_ci_u32_e32 v7, vcc_lo, 0, v7, vcc_lo
	v_fmac_f32_e32 v24, v59, v50
	s_delay_alu instid0(VALU_DEP_4) | instskip(SKIP_3) | instid1(VALU_DEP_4)
	v_dual_add_f32 v16, v16, v18 :: v_dual_add_f32 v3, v3, v23
	v_mul_f32_e32 v26, v61, v53
	v_fma_f32 v23, v38, v34, -v69
	v_fmac_f32_e32 v27, v61, v52
	v_dual_add_f32 v20, v16, v20 :: v_dual_add_f32 v3, v3, v19
	v_mul_f32_e32 v19, v45, v49
	v_fma_f32 v17, v42, v46, -v17
	v_fmac_f32_e32 v32, v63, v54
	s_and_b32 vcc_lo, exec_lo, s9
	v_add_f32_e32 v3, v3, v21
	v_mul_f32_e32 v21, v44, v49
	s_delay_alu instid0(VALU_DEP_1) | instskip(NEXT) | instid1(VALU_DEP_1)
	v_dual_mul_f32 v36, v64, v57 :: v_dual_fmac_f32 v21, v45, v48
	v_dual_fmac_f32 v36, v65, v56 :: v_dual_add_f32 v25, v20, v21
	s_delay_alu instid0(VALU_DEP_1) | instskip(SKIP_2) | instid1(VALU_DEP_3)
	v_dual_add_f32 v24, v25, v24 :: v_dual_add_f32 v3, v3, v23
	v_fma_f32 v25, v60, v52, -v26
	v_mul_f32_e32 v26, v63, v55
	v_add_f32_e32 v33, v24, v27
	s_delay_alu instid0(VALU_DEP_4) | instskip(SKIP_3) | instid1(VALU_DEP_4)
	v_add_f32_e32 v3, v3, v22
	v_mul_f32_e32 v23, v59, v51
	v_fma_f32 v22, v44, v48, -v19
	v_fma_f32 v34, v62, v54, -v26
	v_dual_add_f32 v32, v33, v32 :: v_dual_add_f32 v3, v3, v17
	ds_load_2addr_b64 v[16:19], v12 offset0:192 offset1:208
	v_fma_f32 v23, v58, v50, -v23
	v_dual_add_f32 v32, v32, v36 :: v_dual_add_f32 v3, v3, v22
	s_delay_alu instid0(VALU_DEP_1)
	v_add_f32_e32 v3, v3, v23
	ds_load_b128 v[20:23], v13 offset:96
	v_add_f32_e32 v3, v3, v25
	ds_load_2addr_b64 v[24:27], v12 offset0:224 offset1:240
	ds_load_b128 v[28:31], v13 offset:112
	v_mul_f32_e32 v35, v65, v57
	s_waitcnt lgkmcnt(0)
	s_barrier
	v_add_f32_e32 v3, v3, v34
	buffer_gl0_inv
	v_fma_f32 v33, v64, v56, -v35
	s_delay_alu instid0(VALU_DEP_1) | instskip(SKIP_2) | instid1(VALU_DEP_2)
	v_add_f32_e32 v3, v3, v33
	v_mul_f32_e32 v34, v21, v17
	v_mul_f32_e32 v17, v20, v17
	v_fma_f32 v20, v20, v16, -v34
	s_delay_alu instid0(VALU_DEP_2) | instskip(SKIP_1) | instid1(VALU_DEP_3)
	v_dual_fmac_f32 v17, v21, v16 :: v_dual_mul_f32 v16, v23, v19
	v_mul_f32_e32 v19, v22, v19
	v_add_f32_e32 v3, v3, v20
	s_delay_alu instid0(VALU_DEP_3) | instskip(NEXT) | instid1(VALU_DEP_4)
	v_add_f32_e32 v17, v32, v17
	v_fma_f32 v16, v22, v18, -v16
	s_delay_alu instid0(VALU_DEP_4) | instskip(NEXT) | instid1(VALU_DEP_2)
	v_dual_fmac_f32 v19, v23, v18 :: v_dual_mul_f32 v18, v29, v25
	v_dual_mul_f32 v20, v28, v25 :: v_dual_add_f32 v3, v3, v16
	s_delay_alu instid0(VALU_DEP_2) | instskip(NEXT) | instid1(VALU_DEP_3)
	v_add_f32_e32 v16, v17, v19
	v_fma_f32 v17, v28, v24, -v18
	s_delay_alu instid0(VALU_DEP_3) | instskip(SKIP_2) | instid1(VALU_DEP_3)
	v_fmac_f32_e32 v20, v29, v24
	v_mul_f32_e32 v18, v31, v27
	v_mul_f32_e32 v19, v30, v27
	v_dual_add_f32 v3, v3, v17 :: v_dual_add_f32 v16, v16, v20
	s_delay_alu instid0(VALU_DEP_3) | instskip(NEXT) | instid1(VALU_DEP_3)
	v_fma_f32 v17, v30, v26, -v18
	v_fmac_f32_e32 v19, v31, v26
	s_delay_alu instid0(VALU_DEP_1)
	v_dual_add_f32 v17, v3, v17 :: v_dual_add_f32 v16, v16, v19
	s_cbranch_vccnz .LBB1751_11
.LBB1751_3:                             ; =>This Inner Loop Header: Depth=1
	v_add_co_u32 v18, s9, v11, s0
	s_delay_alu instid0(VALU_DEP_1) | instskip(NEXT) | instid1(VALU_DEP_1)
	v_add_co_ci_u32_e64 v19, null, 0, s1, s9
                                        ; implicit-def: $sgpr10
	v_cmp_le_i64_e32 vcc_lo, s[4:5], v[18:19]
	s_or_b32 s9, s2, vcc_lo
	s_delay_alu instid0(SALU_CYCLE_1) | instskip(NEXT) | instid1(SALU_CYCLE_1)
	s_and_saveexec_b32 s11, s9
	s_xor_b32 s9, exec_lo, s11
	s_cbranch_execz .LBB1751_5
; %bb.4:                                ;   in Loop: Header=BB1751_3 Depth=1
	s_mov_b32 s10, 0
	ds_store_b32 v14, v2
.LBB1751_5:                             ;   in Loop: Header=BB1751_3 Depth=1
	s_or_saveexec_b32 s9, s9
	v_mov_b32_e32 v3, s10
	s_xor_b32 exec_lo, exec_lo, s9
	s_cbranch_execz .LBB1751_7
; %bb.6:                                ;   in Loop: Header=BB1751_3 Depth=1
	global_load_b64 v[18:19], v[6:7], off offset:-4
	s_waitcnt vmcnt(0)
	v_xor_b32_e32 v3, 0x80000000, v19
	ds_store_b32 v14, v18
.LBB1751_7:                             ;   in Loop: Header=BB1751_3 Depth=1
	s_or_b32 exec_lo, exec_lo, s9
	v_add_co_u32 v18, s9, v10, s0
	s_delay_alu instid0(VALU_DEP_1) | instskip(SKIP_3) | instid1(SALU_CYCLE_1)
	v_add_co_ci_u32_e64 v19, null, 0, s1, s9
	ds_store_b32 v14, v3 offset:4
	v_cmp_le_i64_e32 vcc_lo, s[4:5], v[18:19]
	s_or_b32 s9, s8, vcc_lo
	s_and_saveexec_b32 s10, s9
	s_delay_alu instid0(SALU_CYCLE_1)
	s_xor_b32 s9, exec_lo, s10
	s_cbranch_execz .LBB1751_9
; %bb.8:                                ;   in Loop: Header=BB1751_3 Depth=1
	v_mov_b32_e32 v3, v2
	ds_store_b64 v15, v[2:3]
.LBB1751_9:                             ;   in Loop: Header=BB1751_3 Depth=1
	s_and_not1_saveexec_b32 s9, s9
	s_cbranch_execz .LBB1751_2
; %bb.10:                               ;   in Loop: Header=BB1751_3 Depth=1
	global_load_b64 v[18:19], v[4:5], off
	s_waitcnt vmcnt(0)
	ds_store_b64 v15, v[18:19]
	s_branch .LBB1751_2
.LBB1751_11:
	v_cmp_le_i32_e32 vcc_lo, v8, v0
	v_cmp_gt_i32_e64 s0, s3, v0
	s_delay_alu instid0(VALU_DEP_1) | instskip(NEXT) | instid1(SALU_CYCLE_1)
	s_and_b32 s0, vcc_lo, s0
	s_and_saveexec_b32 s1, s0
	s_cbranch_execz .LBB1751_14
; %bb.12:
	s_waitcnt lgkmcnt(0)
	v_mul_lo_u32 v4, v8, s21
	v_mul_lo_u32 v5, v9, s20
	v_mad_u64_u32 v[2:3], null, v8, s20, 0
	s_delay_alu instid0(VALU_DEP_1) | instskip(SKIP_1) | instid1(VALU_DEP_2)
	v_add3_u32 v3, v3, v4, v5
	v_lshlrev_b64 v[4:5], 3, v[0:1]
	v_lshlrev_b64 v[2:3], 3, v[2:3]
	s_delay_alu instid0(VALU_DEP_1) | instskip(NEXT) | instid1(VALU_DEP_2)
	v_add_co_u32 v1, vcc_lo, s18, v2
	v_add_co_ci_u32_e32 v2, vcc_lo, s19, v3, vcc_lo
	s_delay_alu instid0(VALU_DEP_2) | instskip(NEXT) | instid1(VALU_DEP_2)
	v_add_co_u32 v1, vcc_lo, v1, v4
	v_add_co_ci_u32_e32 v2, vcc_lo, v2, v5, vcc_lo
	v_cmp_eq_u32_e32 vcc_lo, v0, v8
	global_load_b64 v[3:4], v[1:2], off
	s_waitcnt vmcnt(0)
	v_mul_f32_e32 v7, s17, v4
	v_mul_f32_e32 v4, s16, v4
	s_delay_alu instid0(VALU_DEP_1) | instskip(NEXT) | instid1(VALU_DEP_3)
	v_fmac_f32_e32 v4, s17, v3
	v_fma_f32 v7, v3, s16, -v7
	v_mul_f32_e32 v6, s6, v16
	s_delay_alu instid0(VALU_DEP_1) | instskip(NEXT) | instid1(VALU_DEP_1)
	v_dual_mul_f32 v5, s7, v16 :: v_dual_fmac_f32 v6, s7, v17
	v_fma_f32 v5, v17, s6, -v5
	s_delay_alu instid0(VALU_DEP_1)
	v_dual_add_f32 v4, v6, v4 :: v_dual_add_f32 v3, v5, v7
	global_store_b64 v[1:2], v[3:4], off
	s_and_b32 exec_lo, exec_lo, vcc_lo
	s_cbranch_execz .LBB1751_14
; %bb.13:
	v_mov_b32_e32 v0, 0
	global_store_b32 v[1:2], v0, off offset:4
.LBB1751_14:
	s_nop 0
	s_sendmsg sendmsg(MSG_DEALLOC_VGPRS)
	s_endpgm
	.section	.rodata,"a",@progbits
	.p2align	6, 0x0
	.amdhsa_kernel _ZL32rocblas_syrkx_herkx_small_kernelIl19rocblas_complex_numIfELi16ELb0ELb1ELc67ELc76EKPKS1_KPS1_EviT_T0_PT6_S7_lSA_S7_lS8_PT7_S7_li
		.amdhsa_group_segment_fixed_size 4096
		.amdhsa_private_segment_fixed_size 0
		.amdhsa_kernarg_size 108
		.amdhsa_user_sgpr_count 13
		.amdhsa_user_sgpr_dispatch_ptr 0
		.amdhsa_user_sgpr_queue_ptr 0
		.amdhsa_user_sgpr_kernarg_segment_ptr 1
		.amdhsa_user_sgpr_dispatch_id 0
		.amdhsa_user_sgpr_private_segment_size 0
		.amdhsa_wavefront_size32 1
		.amdhsa_uses_dynamic_stack 0
		.amdhsa_enable_private_segment 0
		.amdhsa_system_sgpr_workgroup_id_x 1
		.amdhsa_system_sgpr_workgroup_id_y 1
		.amdhsa_system_sgpr_workgroup_id_z 1
		.amdhsa_system_sgpr_workgroup_info 0
		.amdhsa_system_vgpr_workitem_id 1
		.amdhsa_next_free_vgpr 70
		.amdhsa_next_free_sgpr 24
		.amdhsa_reserve_vcc 1
		.amdhsa_float_round_mode_32 0
		.amdhsa_float_round_mode_16_64 0
		.amdhsa_float_denorm_mode_32 3
		.amdhsa_float_denorm_mode_16_64 3
		.amdhsa_dx10_clamp 1
		.amdhsa_ieee_mode 1
		.amdhsa_fp16_overflow 0
		.amdhsa_workgroup_processor_mode 1
		.amdhsa_memory_ordered 1
		.amdhsa_forward_progress 0
		.amdhsa_shared_vgpr_count 0
		.amdhsa_exception_fp_ieee_invalid_op 0
		.amdhsa_exception_fp_denorm_src 0
		.amdhsa_exception_fp_ieee_div_zero 0
		.amdhsa_exception_fp_ieee_overflow 0
		.amdhsa_exception_fp_ieee_underflow 0
		.amdhsa_exception_fp_ieee_inexact 0
		.amdhsa_exception_int_div_zero 0
	.end_amdhsa_kernel
	.section	.text._ZL32rocblas_syrkx_herkx_small_kernelIl19rocblas_complex_numIfELi16ELb0ELb1ELc67ELc76EKPKS1_KPS1_EviT_T0_PT6_S7_lSA_S7_lS8_PT7_S7_li,"axG",@progbits,_ZL32rocblas_syrkx_herkx_small_kernelIl19rocblas_complex_numIfELi16ELb0ELb1ELc67ELc76EKPKS1_KPS1_EviT_T0_PT6_S7_lSA_S7_lS8_PT7_S7_li,comdat
.Lfunc_end1751:
	.size	_ZL32rocblas_syrkx_herkx_small_kernelIl19rocblas_complex_numIfELi16ELb0ELb1ELc67ELc76EKPKS1_KPS1_EviT_T0_PT6_S7_lSA_S7_lS8_PT7_S7_li, .Lfunc_end1751-_ZL32rocblas_syrkx_herkx_small_kernelIl19rocblas_complex_numIfELi16ELb0ELb1ELc67ELc76EKPKS1_KPS1_EviT_T0_PT6_S7_lSA_S7_lS8_PT7_S7_li
                                        ; -- End function
	.section	.AMDGPU.csdata,"",@progbits
; Kernel info:
; codeLenInByte = 1624
; NumSgprs: 26
; NumVgprs: 70
; ScratchSize: 0
; MemoryBound: 1
; FloatMode: 240
; IeeeMode: 1
; LDSByteSize: 4096 bytes/workgroup (compile time only)
; SGPRBlocks: 3
; VGPRBlocks: 8
; NumSGPRsForWavesPerEU: 26
; NumVGPRsForWavesPerEU: 70
; Occupancy: 16
; WaveLimiterHint : 1
; COMPUTE_PGM_RSRC2:SCRATCH_EN: 0
; COMPUTE_PGM_RSRC2:USER_SGPR: 13
; COMPUTE_PGM_RSRC2:TRAP_HANDLER: 0
; COMPUTE_PGM_RSRC2:TGID_X_EN: 1
; COMPUTE_PGM_RSRC2:TGID_Y_EN: 1
; COMPUTE_PGM_RSRC2:TGID_Z_EN: 1
; COMPUTE_PGM_RSRC2:TIDIG_COMP_CNT: 1
	.section	.text._ZL32rocblas_syrkx_herkx_small_kernelIl19rocblas_complex_numIfELi16ELb0ELb1ELc78ELc76EKPKS1_KPS1_EviT_T0_PT6_S7_lSA_S7_lS8_PT7_S7_li,"axG",@progbits,_ZL32rocblas_syrkx_herkx_small_kernelIl19rocblas_complex_numIfELi16ELb0ELb1ELc78ELc76EKPKS1_KPS1_EviT_T0_PT6_S7_lSA_S7_lS8_PT7_S7_li,comdat
	.globl	_ZL32rocblas_syrkx_herkx_small_kernelIl19rocblas_complex_numIfELi16ELb0ELb1ELc78ELc76EKPKS1_KPS1_EviT_T0_PT6_S7_lSA_S7_lS8_PT7_S7_li ; -- Begin function _ZL32rocblas_syrkx_herkx_small_kernelIl19rocblas_complex_numIfELi16ELb0ELb1ELc78ELc76EKPKS1_KPS1_EviT_T0_PT6_S7_lSA_S7_lS8_PT7_S7_li
	.p2align	8
	.type	_ZL32rocblas_syrkx_herkx_small_kernelIl19rocblas_complex_numIfELi16ELb0ELb1ELc78ELc76EKPKS1_KPS1_EviT_T0_PT6_S7_lSA_S7_lS8_PT7_S7_li,@function
_ZL32rocblas_syrkx_herkx_small_kernelIl19rocblas_complex_numIfELi16ELb0ELb1ELc78ELc76EKPKS1_KPS1_EviT_T0_PT6_S7_lSA_S7_lS8_PT7_S7_li: ; @_ZL32rocblas_syrkx_herkx_small_kernelIl19rocblas_complex_numIfELi16ELb0ELb1ELc78ELc76EKPKS1_KPS1_EviT_T0_PT6_S7_lSA_S7_lS8_PT7_S7_li
; %bb.0:
	s_clause 0x2
	s_load_b128 s[16:19], s[0:1], 0x48
	s_load_b256 s[4:11], s[0:1], 0x8
	s_load_b32 s3, s[0:1], 0x0
	s_mov_b32 s20, s15
	s_mov_b32 s21, 0
	v_dual_mov_b32 v17, 0 :: v_dual_and_b32 v10, 0x3ff, v0
	s_lshl_b64 s[22:23], s[20:21], 3
	v_bfe_u32 v11, v0, 10, 10
	v_mov_b32_e32 v16, 0
	s_delay_alu instid0(VALU_DEP_3) | instskip(NEXT) | instid1(VALU_DEP_3)
	v_lshl_add_u32 v0, s13, 4, v10
	v_lshl_add_u32 v2, s14, 4, v11
	s_delay_alu instid0(VALU_DEP_2) | instskip(NEXT) | instid1(VALU_DEP_2)
	v_ashrrev_i32_e32 v1, 31, v0
	v_ashrrev_i32_e32 v3, 31, v2
	s_waitcnt lgkmcnt(0)
	s_add_u32 s18, s18, s22
	s_addc_u32 s19, s19, s23
	s_load_b64 s[20:21], s[0:1], 0x58
	s_load_b64 s[18:19], s[18:19], 0x0
	v_cmp_lt_i64_e64 s2, s[4:5], 1
	s_delay_alu instid0(VALU_DEP_1)
	s_and_b32 vcc_lo, exec_lo, s2
	v_cmp_gt_i32_e64 s2, s3, v0
	s_cbranch_vccnz .LBB1752_11
; %bb.1:
	s_load_b128 s[12:15], s[0:1], 0x30
	v_mad_u64_u32 v[7:8], null, s10, v11, 0
	v_dual_mov_b32 v4, 0 :: v_dual_lshlrev_b32 v9, 7, v11
	v_lshlrev_b32_e32 v12, 3, v10
	v_mov_b32_e32 v16, 0
	v_lshlrev_b64 v[17:18], 3, v[2:3]
	v_lshlrev_b64 v[19:20], 3, v[0:1]
	v_add_nc_u32_e32 v13, 0x800, v9
	v_mad_u64_u32 v[21:22], null, s11, v11, v[8:9]
	v_cmp_gt_i32_e32 vcc_lo, s3, v2
	s_delay_alu instid0(VALU_DEP_2)
	v_mov_b32_e32 v8, v21
	s_waitcnt lgkmcnt(0)
	v_mad_u64_u32 v[5:6], null, s14, v10, 0
	s_add_u32 s0, s12, s22
	s_addc_u32 s1, s13, s23
	s_add_u32 s8, s8, s22
	s_load_b64 s[12:13], s[0:1], 0x0
	s_addc_u32 s9, s9, s23
	s_lshl_b64 s[10:11], s[10:11], 7
	s_delay_alu instid0(VALU_DEP_1) | instskip(SKIP_4) | instid1(VALU_DEP_2)
	v_mad_u64_u32 v[14:15], null, s15, v10, v[6:7]
	s_load_b64 s[22:23], s[8:9], 0x0
	v_lshlrev_b64 v[7:8], 3, v[7:8]
	s_lshl_b64 s[8:9], s[14:15], 7
	s_xor_b32 s2, s2, -1
	v_mov_b32_e32 v6, v14
	s_delay_alu instid0(VALU_DEP_1) | instskip(NEXT) | instid1(VALU_DEP_1)
	v_lshlrev_b64 v[5:6], 3, v[5:6]
	v_add_co_u32 v5, s0, v5, v17
	s_delay_alu instid0(VALU_DEP_1) | instskip(SKIP_1) | instid1(VALU_DEP_1)
	v_add_co_ci_u32_e64 v6, s0, v6, v18, s0
	v_add_co_u32 v7, s0, v7, v19
	v_add_co_ci_u32_e64 v8, s0, v8, v20, s0
	s_waitcnt lgkmcnt(0)
	v_add_co_u32 v5, s0, v5, s12
	v_mov_b32_e32 v17, 0
	v_add_nc_u32_e32 v15, v13, v12
	v_add_nc_u32_e32 v14, v12, v9
	v_add_co_ci_u32_e64 v9, s0, s13, v6, s0
	v_add_co_u32 v6, s0, s22, v7
	s_delay_alu instid0(VALU_DEP_1) | instskip(SKIP_1) | instid1(VALU_DEP_1)
	v_add_co_ci_u32_e64 v7, s0, s23, v8, s0
	v_add_co_u32 v8, s0, v5, 4
	v_add_co_ci_u32_e64 v9, s0, 0, v9, s0
	s_mov_b64 s[0:1], 0
	s_xor_b32 s12, vcc_lo, -1
	s_branch .LBB1752_3
.LBB1752_2:                             ;   in Loop: Header=BB1752_3 Depth=1
	s_or_b32 exec_lo, exec_lo, s13
	ds_store_b32 v15, v5 offset:4
	s_waitcnt lgkmcnt(0)
	s_barrier
	buffer_gl0_inv
	ds_load_2addr_b64 v[18:21], v12 offset1:16
	ds_load_b128 v[22:25], v13
	ds_load_b128 v[26:29], v13 offset:16
	ds_load_2addr_b64 v[30:33], v12 offset0:32 offset1:48
	ds_load_2addr_b64 v[34:37], v12 offset0:64 offset1:80
	ds_load_b128 v[38:41], v13 offset:32
	ds_load_b128 v[42:45], v13 offset:48
	ds_load_2addr_b64 v[46:49], v12 offset0:96 offset1:112
	ds_load_2addr_b64 v[50:53], v12 offset0:128 offset1:144
	;; [unrolled: 1-line block ×3, first 2 shown]
	ds_load_b128 v[58:61], v13 offset:64
	ds_load_b128 v[62:65], v13 offset:80
	s_add_u32 s0, s0, 16
	s_addc_u32 s1, s1, 0
	v_add_co_u32 v8, vcc_lo, v8, s8
	v_cmp_ge_i64_e64 s13, s[0:1], s[4:5]
	v_add_co_ci_u32_e32 v9, vcc_lo, s9, v9, vcc_lo
	v_add_co_u32 v6, vcc_lo, v6, s10
	s_waitcnt lgkmcnt(10)
	v_dual_mul_f32 v5, v23, v19 :: v_dual_mul_f32 v66, v25, v21
	s_waitcnt lgkmcnt(8)
	v_dual_mul_f32 v19, v22, v19 :: v_dual_mul_f32 v68, v29, v33
	v_mul_f32_e32 v21, v24, v21
	s_delay_alu instid0(VALU_DEP_3) | instskip(SKIP_1) | instid1(VALU_DEP_3)
	v_fma_f32 v5, v22, v18, -v5
	s_waitcnt lgkmcnt(6)
	v_dual_mul_f32 v22, v38, v35 :: v_dual_fmac_f32 v19, v23, v18
	v_fma_f32 v18, v24, v20, -v66
	v_fmac_f32_e32 v21, v25, v20
	v_add_f32_e32 v5, v17, v5
	v_fma_f32 v20, v28, v32, -v68
	v_add_f32_e32 v16, v16, v19
	v_mul_f32_e32 v67, v27, v31
	v_mul_f32_e32 v31, v26, v31
	v_add_f32_e32 v5, v5, v18
	s_waitcnt lgkmcnt(4)
	v_dual_mul_f32 v33, v28, v33 :: v_dual_mul_f32 v18, v43, v47
	v_add_f32_e32 v16, v16, v21
	v_fma_f32 v19, v26, v30, -v67
	v_mul_f32_e32 v17, v40, v37
	s_waitcnt lgkmcnt(1)
	v_dual_fmac_f32 v33, v29, v32 :: v_dual_mul_f32 v24, v58, v51
	v_fma_f32 v18, v42, v46, -v18
	v_add_f32_e32 v5, v5, v19
	v_dual_mul_f32 v25, v61, v53 :: v_dual_fmac_f32 v22, v39, v34
	s_delay_alu instid0(VALU_DEP_4) | instskip(SKIP_1) | instid1(VALU_DEP_4)
	v_fmac_f32_e32 v24, v59, v50
	v_add_co_ci_u32_e32 v7, vcc_lo, s11, v7, vcc_lo
	v_add_f32_e32 v5, v5, v20
	v_dual_mul_f32 v20, v45, v49 :: v_dual_fmac_f32 v31, v27, v30
	v_fma_f32 v25, v60, v52, -v25
	s_and_b32 vcc_lo, exec_lo, s13
	s_waitcnt lgkmcnt(0)
	v_mul_f32_e32 v32, v62, v55
	v_add_f32_e32 v16, v16, v31
	v_mul_f32_e32 v69, v39, v35
	s_delay_alu instid0(VALU_DEP_3) | instskip(NEXT) | instid1(VALU_DEP_3)
	v_dual_mul_f32 v35, v41, v37 :: v_dual_fmac_f32 v32, v63, v54
	v_add_f32_e32 v16, v16, v33
	s_delay_alu instid0(VALU_DEP_3) | instskip(NEXT) | instid1(VALU_DEP_3)
	v_fma_f32 v21, v38, v34, -v69
	v_fma_f32 v23, v40, v36, -v35
	s_delay_alu instid0(VALU_DEP_3) | instskip(NEXT) | instid1(VALU_DEP_3)
	v_dual_mul_f32 v35, v65, v57 :: v_dual_add_f32 v16, v16, v22
	v_add_f32_e32 v5, v5, v21
	v_dual_mul_f32 v21, v44, v49 :: v_dual_mul_f32 v22, v59, v51
	v_dual_fmac_f32 v17, v41, v36 :: v_dual_mul_f32 v36, v64, v57
	v_mul_f32_e32 v27, v60, v53
	s_delay_alu instid0(VALU_DEP_3) | instskip(NEXT) | instid1(VALU_DEP_3)
	v_fmac_f32_e32 v21, v45, v48
	v_dual_mul_f32 v19, v42, v47 :: v_dual_add_f32 v16, v16, v17
	v_fma_f32 v17, v44, v48, -v20
	v_fmac_f32_e32 v36, v65, v56
	v_fmac_f32_e32 v27, v61, v52
	s_delay_alu instid0(VALU_DEP_4) | instskip(NEXT) | instid1(VALU_DEP_1)
	v_fmac_f32_e32 v19, v43, v46
	v_add_f32_e32 v16, v16, v19
	s_delay_alu instid0(VALU_DEP_1) | instskip(NEXT) | instid1(VALU_DEP_1)
	v_add_f32_e32 v26, v16, v21
	v_dual_add_f32 v24, v26, v24 :: v_dual_add_f32 v5, v5, v23
	v_mul_f32_e32 v26, v63, v55
	s_delay_alu instid0(VALU_DEP_2) | instskip(NEXT) | instid1(VALU_DEP_2)
	v_add_f32_e32 v33, v24, v27
	v_fma_f32 v34, v62, v54, -v26
	s_delay_alu instid0(VALU_DEP_2) | instskip(SKIP_3) | instid1(VALU_DEP_3)
	v_add_f32_e32 v32, v33, v32
	v_add_f32_e32 v5, v5, v18
	v_fma_f32 v18, v58, v50, -v22
	v_fma_f32 v33, v64, v56, -v35
	v_dual_add_f32 v32, v32, v36 :: v_dual_add_f32 v5, v5, v17
	s_delay_alu instid0(VALU_DEP_1)
	v_add_f32_e32 v5, v5, v18
	ds_load_2addr_b64 v[16:19], v12 offset0:192 offset1:208
	ds_load_b128 v[20:23], v13 offset:96
	v_add_f32_e32 v5, v5, v25
	ds_load_2addr_b64 v[24:27], v12 offset0:224 offset1:240
	ds_load_b128 v[28:31], v13 offset:112
	s_waitcnt lgkmcnt(0)
	s_barrier
	buffer_gl0_inv
	v_add_f32_e32 v5, v5, v34
	s_delay_alu instid0(VALU_DEP_1) | instskip(SKIP_2) | instid1(VALU_DEP_2)
	v_add_f32_e32 v5, v5, v33
	v_mul_f32_e32 v34, v21, v17
	v_mul_f32_e32 v17, v20, v17
	v_fma_f32 v20, v20, v16, -v34
	s_delay_alu instid0(VALU_DEP_1) | instskip(NEXT) | instid1(VALU_DEP_1)
	v_dual_add_f32 v5, v5, v20 :: v_dual_mul_f32 v20, v28, v25
	v_fmac_f32_e32 v20, v29, v24
	s_delay_alu instid0(VALU_DEP_4) | instskip(SKIP_1) | instid1(VALU_DEP_2)
	v_dual_fmac_f32 v17, v21, v16 :: v_dual_mul_f32 v16, v23, v19
	v_mul_f32_e32 v19, v22, v19
	v_add_f32_e32 v17, v32, v17
	s_delay_alu instid0(VALU_DEP_3) | instskip(NEXT) | instid1(VALU_DEP_3)
	v_fma_f32 v16, v22, v18, -v16
	v_dual_fmac_f32 v19, v23, v18 :: v_dual_mul_f32 v18, v29, v25
	s_delay_alu instid0(VALU_DEP_2) | instskip(NEXT) | instid1(VALU_DEP_2)
	v_add_f32_e32 v5, v5, v16
	v_add_f32_e32 v16, v17, v19
	s_delay_alu instid0(VALU_DEP_3) | instskip(SKIP_2) | instid1(VALU_DEP_3)
	v_fma_f32 v17, v28, v24, -v18
	v_mul_f32_e32 v18, v31, v27
	v_mul_f32_e32 v19, v30, v27
	v_add_f32_e32 v5, v5, v17
	s_delay_alu instid0(VALU_DEP_3) | instskip(NEXT) | instid1(VALU_DEP_3)
	v_fma_f32 v17, v30, v26, -v18
	v_dual_fmac_f32 v19, v31, v26 :: v_dual_add_f32 v16, v16, v20
	s_delay_alu instid0(VALU_DEP_1)
	v_dual_add_f32 v17, v5, v17 :: v_dual_add_f32 v16, v16, v19
	s_cbranch_vccnz .LBB1752_11
.LBB1752_3:                             ; =>This Inner Loop Header: Depth=1
	v_add_co_u32 v18, s13, v11, s0
	s_delay_alu instid0(VALU_DEP_1) | instskip(NEXT) | instid1(VALU_DEP_1)
	v_add_co_ci_u32_e64 v19, null, 0, s1, s13
	v_cmp_le_i64_e32 vcc_lo, s[4:5], v[18:19]
	s_or_b32 s13, s2, vcc_lo
	s_delay_alu instid0(SALU_CYCLE_1) | instskip(NEXT) | instid1(SALU_CYCLE_1)
	s_and_saveexec_b32 s14, s13
	s_xor_b32 s13, exec_lo, s14
	s_cbranch_execz .LBB1752_5
; %bb.4:                                ;   in Loop: Header=BB1752_3 Depth=1
	v_mov_b32_e32 v5, v4
	ds_store_b64 v14, v[4:5]
.LBB1752_5:                             ;   in Loop: Header=BB1752_3 Depth=1
	s_and_not1_saveexec_b32 s13, s13
	s_cbranch_execz .LBB1752_7
; %bb.6:                                ;   in Loop: Header=BB1752_3 Depth=1
	global_load_b64 v[18:19], v[6:7], off
	s_waitcnt vmcnt(0)
	ds_store_b64 v14, v[18:19]
.LBB1752_7:                             ;   in Loop: Header=BB1752_3 Depth=1
	s_or_b32 exec_lo, exec_lo, s13
	v_add_co_u32 v18, s13, v10, s0
	s_delay_alu instid0(VALU_DEP_1) | instskip(NEXT) | instid1(VALU_DEP_1)
	v_add_co_ci_u32_e64 v19, null, 0, s1, s13
                                        ; implicit-def: $sgpr14
	v_cmp_le_i64_e32 vcc_lo, s[4:5], v[18:19]
	s_or_b32 s13, s12, vcc_lo
	s_delay_alu instid0(SALU_CYCLE_1) | instskip(NEXT) | instid1(SALU_CYCLE_1)
	s_and_saveexec_b32 s15, s13
	s_xor_b32 s13, exec_lo, s15
	s_cbranch_execz .LBB1752_9
; %bb.8:                                ;   in Loop: Header=BB1752_3 Depth=1
	s_mov_b32 s14, 0
	ds_store_b32 v15, v4
.LBB1752_9:                             ;   in Loop: Header=BB1752_3 Depth=1
	s_or_saveexec_b32 s13, s13
	v_mov_b32_e32 v5, s14
	s_xor_b32 exec_lo, exec_lo, s13
	s_cbranch_execz .LBB1752_2
; %bb.10:                               ;   in Loop: Header=BB1752_3 Depth=1
	global_load_b64 v[18:19], v[8:9], off offset:-4
	s_waitcnt vmcnt(0)
	v_xor_b32_e32 v5, 0x80000000, v19
	ds_store_b32 v15, v18
	s_branch .LBB1752_2
.LBB1752_11:
	v_cmp_le_i32_e32 vcc_lo, v2, v0
	v_cmp_gt_i32_e64 s0, s3, v0
	s_delay_alu instid0(VALU_DEP_1) | instskip(NEXT) | instid1(SALU_CYCLE_1)
	s_and_b32 s0, vcc_lo, s0
	s_and_saveexec_b32 s1, s0
	s_cbranch_execz .LBB1752_14
; %bb.12:
	s_waitcnt lgkmcnt(0)
	v_mul_lo_u32 v5, v2, s21
	v_mul_lo_u32 v6, v3, s20
	v_mad_u64_u32 v[3:4], null, v2, s20, 0
	s_delay_alu instid0(VALU_DEP_1) | instskip(SKIP_1) | instid1(VALU_DEP_2)
	v_add3_u32 v4, v4, v5, v6
	v_lshlrev_b64 v[5:6], 3, v[0:1]
	v_lshlrev_b64 v[3:4], 3, v[3:4]
	s_delay_alu instid0(VALU_DEP_1) | instskip(NEXT) | instid1(VALU_DEP_2)
	v_add_co_u32 v1, vcc_lo, s18, v3
	v_add_co_ci_u32_e32 v4, vcc_lo, s19, v4, vcc_lo
	s_delay_alu instid0(VALU_DEP_2) | instskip(NEXT) | instid1(VALU_DEP_2)
	v_add_co_u32 v3, vcc_lo, v1, v5
	v_add_co_ci_u32_e32 v4, vcc_lo, v4, v6, vcc_lo
	v_cmp_eq_u32_e32 vcc_lo, v0, v2
	global_load_b64 v[5:6], v[3:4], off
	v_mul_f32_e32 v1, s7, v16
	s_waitcnt vmcnt(0)
	v_dual_mul_f32 v7, s6, v16 :: v_dual_mul_f32 v8, s17, v6
	v_mul_f32_e32 v6, s16, v6
	s_delay_alu instid0(VALU_DEP_3) | instskip(NEXT) | instid1(VALU_DEP_3)
	v_fma_f32 v1, v17, s6, -v1
	v_fmac_f32_e32 v7, s7, v17
	s_delay_alu instid0(VALU_DEP_4) | instskip(NEXT) | instid1(VALU_DEP_1)
	v_fma_f32 v8, v5, s16, -v8
	v_dual_fmac_f32 v6, s17, v5 :: v_dual_add_f32 v5, v1, v8
	s_delay_alu instid0(VALU_DEP_1)
	v_add_f32_e32 v6, v7, v6
	global_store_b64 v[3:4], v[5:6], off
	s_and_b32 exec_lo, exec_lo, vcc_lo
	s_cbranch_execz .LBB1752_14
; %bb.13:
	v_mov_b32_e32 v0, 0
	global_store_b32 v[3:4], v0, off offset:4
.LBB1752_14:
	s_nop 0
	s_sendmsg sendmsg(MSG_DEALLOC_VGPRS)
	s_endpgm
	.section	.rodata,"a",@progbits
	.p2align	6, 0x0
	.amdhsa_kernel _ZL32rocblas_syrkx_herkx_small_kernelIl19rocblas_complex_numIfELi16ELb0ELb1ELc78ELc76EKPKS1_KPS1_EviT_T0_PT6_S7_lSA_S7_lS8_PT7_S7_li
		.amdhsa_group_segment_fixed_size 4096
		.amdhsa_private_segment_fixed_size 0
		.amdhsa_kernarg_size 108
		.amdhsa_user_sgpr_count 13
		.amdhsa_user_sgpr_dispatch_ptr 0
		.amdhsa_user_sgpr_queue_ptr 0
		.amdhsa_user_sgpr_kernarg_segment_ptr 1
		.amdhsa_user_sgpr_dispatch_id 0
		.amdhsa_user_sgpr_private_segment_size 0
		.amdhsa_wavefront_size32 1
		.amdhsa_uses_dynamic_stack 0
		.amdhsa_enable_private_segment 0
		.amdhsa_system_sgpr_workgroup_id_x 1
		.amdhsa_system_sgpr_workgroup_id_y 1
		.amdhsa_system_sgpr_workgroup_id_z 1
		.amdhsa_system_sgpr_workgroup_info 0
		.amdhsa_system_vgpr_workitem_id 1
		.amdhsa_next_free_vgpr 70
		.amdhsa_next_free_sgpr 24
		.amdhsa_reserve_vcc 1
		.amdhsa_float_round_mode_32 0
		.amdhsa_float_round_mode_16_64 0
		.amdhsa_float_denorm_mode_32 3
		.amdhsa_float_denorm_mode_16_64 3
		.amdhsa_dx10_clamp 1
		.amdhsa_ieee_mode 1
		.amdhsa_fp16_overflow 0
		.amdhsa_workgroup_processor_mode 1
		.amdhsa_memory_ordered 1
		.amdhsa_forward_progress 0
		.amdhsa_shared_vgpr_count 0
		.amdhsa_exception_fp_ieee_invalid_op 0
		.amdhsa_exception_fp_denorm_src 0
		.amdhsa_exception_fp_ieee_div_zero 0
		.amdhsa_exception_fp_ieee_overflow 0
		.amdhsa_exception_fp_ieee_underflow 0
		.amdhsa_exception_fp_ieee_inexact 0
		.amdhsa_exception_int_div_zero 0
	.end_amdhsa_kernel
	.section	.text._ZL32rocblas_syrkx_herkx_small_kernelIl19rocblas_complex_numIfELi16ELb0ELb1ELc78ELc76EKPKS1_KPS1_EviT_T0_PT6_S7_lSA_S7_lS8_PT7_S7_li,"axG",@progbits,_ZL32rocblas_syrkx_herkx_small_kernelIl19rocblas_complex_numIfELi16ELb0ELb1ELc78ELc76EKPKS1_KPS1_EviT_T0_PT6_S7_lSA_S7_lS8_PT7_S7_li,comdat
.Lfunc_end1752:
	.size	_ZL32rocblas_syrkx_herkx_small_kernelIl19rocblas_complex_numIfELi16ELb0ELb1ELc78ELc76EKPKS1_KPS1_EviT_T0_PT6_S7_lSA_S7_lS8_PT7_S7_li, .Lfunc_end1752-_ZL32rocblas_syrkx_herkx_small_kernelIl19rocblas_complex_numIfELi16ELb0ELb1ELc78ELc76EKPKS1_KPS1_EviT_T0_PT6_S7_lSA_S7_lS8_PT7_S7_li
                                        ; -- End function
	.section	.AMDGPU.csdata,"",@progbits
; Kernel info:
; codeLenInByte = 1628
; NumSgprs: 26
; NumVgprs: 70
; ScratchSize: 0
; MemoryBound: 1
; FloatMode: 240
; IeeeMode: 1
; LDSByteSize: 4096 bytes/workgroup (compile time only)
; SGPRBlocks: 3
; VGPRBlocks: 8
; NumSGPRsForWavesPerEU: 26
; NumVGPRsForWavesPerEU: 70
; Occupancy: 16
; WaveLimiterHint : 1
; COMPUTE_PGM_RSRC2:SCRATCH_EN: 0
; COMPUTE_PGM_RSRC2:USER_SGPR: 13
; COMPUTE_PGM_RSRC2:TRAP_HANDLER: 0
; COMPUTE_PGM_RSRC2:TGID_X_EN: 1
; COMPUTE_PGM_RSRC2:TGID_Y_EN: 1
; COMPUTE_PGM_RSRC2:TGID_Z_EN: 1
; COMPUTE_PGM_RSRC2:TIDIG_COMP_CNT: 1
	.section	.text._ZL32rocblas_syrkx_herkx_small_kernelIl19rocblas_complex_numIfELi16ELb0ELb1ELc84ELc85EKPKS1_KPS1_EviT_T0_PT6_S7_lSA_S7_lS8_PT7_S7_li,"axG",@progbits,_ZL32rocblas_syrkx_herkx_small_kernelIl19rocblas_complex_numIfELi16ELb0ELb1ELc84ELc85EKPKS1_KPS1_EviT_T0_PT6_S7_lSA_S7_lS8_PT7_S7_li,comdat
	.globl	_ZL32rocblas_syrkx_herkx_small_kernelIl19rocblas_complex_numIfELi16ELb0ELb1ELc84ELc85EKPKS1_KPS1_EviT_T0_PT6_S7_lSA_S7_lS8_PT7_S7_li ; -- Begin function _ZL32rocblas_syrkx_herkx_small_kernelIl19rocblas_complex_numIfELi16ELb0ELb1ELc84ELc85EKPKS1_KPS1_EviT_T0_PT6_S7_lSA_S7_lS8_PT7_S7_li
	.p2align	8
	.type	_ZL32rocblas_syrkx_herkx_small_kernelIl19rocblas_complex_numIfELi16ELb0ELb1ELc84ELc85EKPKS1_KPS1_EviT_T0_PT6_S7_lSA_S7_lS8_PT7_S7_li,@function
_ZL32rocblas_syrkx_herkx_small_kernelIl19rocblas_complex_numIfELi16ELb0ELb1ELc84ELc85EKPKS1_KPS1_EviT_T0_PT6_S7_lSA_S7_lS8_PT7_S7_li: ; @_ZL32rocblas_syrkx_herkx_small_kernelIl19rocblas_complex_numIfELi16ELb0ELb1ELc84ELc85EKPKS1_KPS1_EviT_T0_PT6_S7_lSA_S7_lS8_PT7_S7_li
; %bb.0:
	s_clause 0x2
	s_load_b128 s[16:19], s[0:1], 0x48
	s_load_b256 s[4:11], s[0:1], 0x8
	s_load_b32 s3, s[0:1], 0x0
	s_mov_b32 s20, s15
	s_mov_b32 s21, 0
	v_dual_mov_b32 v17, 0 :: v_dual_and_b32 v10, 0x3ff, v0
	s_lshl_b64 s[22:23], s[20:21], 3
	v_bfe_u32 v11, v0, 10, 10
	v_mov_b32_e32 v16, 0
	s_delay_alu instid0(VALU_DEP_3) | instskip(NEXT) | instid1(VALU_DEP_3)
	v_lshl_add_u32 v0, s13, 4, v10
	v_lshl_add_u32 v8, s14, 4, v11
	s_delay_alu instid0(VALU_DEP_2) | instskip(NEXT) | instid1(VALU_DEP_2)
	v_ashrrev_i32_e32 v1, 31, v0
	v_ashrrev_i32_e32 v9, 31, v8
	s_waitcnt lgkmcnt(0)
	s_add_u32 s18, s18, s22
	s_addc_u32 s19, s19, s23
	s_load_b64 s[20:21], s[0:1], 0x58
	s_load_b64 s[18:19], s[18:19], 0x0
	v_cmp_lt_i64_e64 s2, s[4:5], 1
	s_delay_alu instid0(VALU_DEP_1)
	s_and_b32 vcc_lo, exec_lo, s2
	v_cmp_gt_i32_e64 s2, s3, v8
	s_cbranch_vccnz .LBB1753_11
; %bb.1:
	s_load_b128 s[12:15], s[0:1], 0x30
	v_mul_lo_u32 v14, s11, v0
	v_mul_lo_u32 v15, s10, v1
	v_mad_u64_u32 v[5:6], null, s10, v0, 0
	v_lshlrev_b32_e32 v12, 3, v10
	v_dual_mov_b32 v2, 0 :: v_dual_lshlrev_b32 v7, 7, v11
	v_lshlrev_b32_e32 v17, 3, v11
	v_cmp_gt_i32_e32 vcc_lo, s3, v0
	v_add3_u32 v6, v6, v15, v14
	s_delay_alu instid0(VALU_DEP_4) | instskip(NEXT) | instid1(VALU_DEP_2)
	v_add_nc_u32_e32 v14, v12, v7
	v_lshlrev_b64 v[5:6], 3, v[5:6]
	s_waitcnt lgkmcnt(0)
	v_mul_lo_u32 v13, s15, v8
	v_mul_lo_u32 v16, s14, v9
	v_mad_u64_u32 v[3:4], null, s14, v8, 0
	s_add_u32 s0, s12, s22
	s_addc_u32 s1, s13, s23
	s_add_u32 s8, s8, s22
	s_load_b64 s[10:11], s[0:1], 0x0
	s_addc_u32 s9, s9, s23
	s_xor_b32 s2, s2, -1
	s_delay_alu instid0(VALU_DEP_1) | instskip(SKIP_3) | instid1(VALU_DEP_3)
	v_add3_u32 v4, v4, v16, v13
	v_mov_b32_e32 v16, 0
	s_load_b64 s[8:9], s[8:9], 0x0
	v_add_nc_u32_e32 v13, 0x800, v7
	v_lshlrev_b64 v[3:4], 3, v[3:4]
	s_delay_alu instid0(VALU_DEP_1) | instskip(NEXT) | instid1(VALU_DEP_1)
	v_add_co_u32 v3, s0, v3, v12
	v_add_co_ci_u32_e64 v7, s0, 0, v4, s0
	v_add_co_u32 v17, s0, v5, v17
	s_delay_alu instid0(VALU_DEP_1) | instskip(SKIP_2) | instid1(VALU_DEP_1)
	v_add_co_ci_u32_e64 v18, s0, 0, v6, s0
	s_waitcnt lgkmcnt(0)
	v_add_co_u32 v4, s0, s10, v3
	v_add_co_ci_u32_e64 v5, s0, s11, v7, s0
	v_add_co_u32 v6, s0, s8, v17
	s_delay_alu instid0(VALU_DEP_1)
	v_add_co_ci_u32_e64 v7, s0, s9, v18, s0
	v_mov_b32_e32 v17, 0
	v_add_nc_u32_e32 v15, v13, v12
	s_mov_b64 s[0:1], 0
	s_xor_b32 s8, vcc_lo, -1
	s_branch .LBB1753_3
.LBB1753_2:                             ;   in Loop: Header=BB1753_3 Depth=1
	s_or_b32 exec_lo, exec_lo, s9
	s_waitcnt lgkmcnt(0)
	s_barrier
	buffer_gl0_inv
	ds_load_2addr_b64 v[18:21], v12 offset1:16
	ds_load_b128 v[22:25], v13
	ds_load_b128 v[26:29], v13 offset:16
	ds_load_2addr_b64 v[30:33], v12 offset0:32 offset1:48
	ds_load_2addr_b64 v[34:37], v12 offset0:64 offset1:80
	ds_load_b128 v[38:41], v13 offset:32
	ds_load_b128 v[42:45], v13 offset:48
	ds_load_2addr_b64 v[46:49], v12 offset0:96 offset1:112
	ds_load_2addr_b64 v[50:53], v12 offset0:128 offset1:144
	ds_load_2addr_b64 v[54:57], v12 offset0:160 offset1:176
	ds_load_b128 v[58:61], v13 offset:64
	ds_load_b128 v[62:65], v13 offset:80
	s_add_u32 s0, s0, 16
	s_addc_u32 s1, s1, 0
	v_add_co_u32 v4, vcc_lo, 0x80, v4
	v_cmp_ge_i64_e64 s9, s[0:1], s[4:5]
	v_add_co_ci_u32_e32 v5, vcc_lo, 0, v5, vcc_lo
	v_add_co_u32 v6, vcc_lo, 0x80, v6
	s_waitcnt lgkmcnt(10)
	v_dual_mul_f32 v3, v23, v19 :: v_dual_mul_f32 v66, v25, v21
	s_waitcnt lgkmcnt(8)
	v_dual_mul_f32 v19, v22, v19 :: v_dual_mul_f32 v68, v29, v33
	v_mul_f32_e32 v21, v24, v21
	v_mul_f32_e32 v67, v27, v31
	;; [unrolled: 1-line block ×3, first 2 shown]
	s_delay_alu instid0(VALU_DEP_4)
	v_fmac_f32_e32 v19, v23, v18
	v_fma_f32 v3, v22, v18, -v3
	s_waitcnt lgkmcnt(6)
	v_dual_fmac_f32 v21, v25, v20 :: v_dual_mul_f32 v18, v40, v37
	v_mul_f32_e32 v33, v28, v33
	v_add_f32_e32 v16, v16, v19
	v_mul_f32_e32 v69, v39, v35
	v_fmac_f32_e32 v31, v27, v30
	v_fma_f32 v23, v24, v20, -v66
	v_fmac_f32_e32 v18, v41, v36
	v_dual_add_f32 v16, v16, v21 :: v_dual_fmac_f32 v33, v29, v32
	s_waitcnt lgkmcnt(1)
	v_mul_f32_e32 v24, v58, v51
	v_mul_f32_e32 v20, v42, v47
	v_add_f32_e32 v3, v17, v3
	v_add_f32_e32 v16, v16, v31
	v_mul_f32_e32 v35, v38, v35
	v_fma_f32 v21, v28, v32, -v68
	s_waitcnt lgkmcnt(0)
	v_mul_f32_e32 v32, v62, v55
	v_mul_f32_e32 v22, v41, v37
	v_dual_add_f32 v16, v16, v33 :: v_dual_fmac_f32 v35, v39, v34
	v_fma_f32 v19, v26, v30, -v67
	v_dual_fmac_f32 v20, v43, v46 :: v_dual_mul_f32 v27, v60, v53
	s_delay_alu instid0(VALU_DEP_4) | instskip(NEXT) | instid1(VALU_DEP_4)
	v_fma_f32 v22, v40, v36, -v22
	v_add_f32_e32 v16, v16, v35
	v_mul_f32_e32 v17, v43, v47
	v_add_co_ci_u32_e32 v7, vcc_lo, 0, v7, vcc_lo
	v_fmac_f32_e32 v24, v59, v50
	s_delay_alu instid0(VALU_DEP_4) | instskip(SKIP_3) | instid1(VALU_DEP_4)
	v_dual_add_f32 v16, v16, v18 :: v_dual_add_f32 v3, v3, v23
	v_mul_f32_e32 v26, v61, v53
	v_fma_f32 v23, v38, v34, -v69
	v_fmac_f32_e32 v27, v61, v52
	v_dual_add_f32 v20, v16, v20 :: v_dual_add_f32 v3, v3, v19
	v_mul_f32_e32 v19, v45, v49
	v_fma_f32 v17, v42, v46, -v17
	v_fmac_f32_e32 v32, v63, v54
	s_and_b32 vcc_lo, exec_lo, s9
	v_add_f32_e32 v3, v3, v21
	v_mul_f32_e32 v21, v44, v49
	s_delay_alu instid0(VALU_DEP_1) | instskip(NEXT) | instid1(VALU_DEP_1)
	v_dual_mul_f32 v36, v64, v57 :: v_dual_fmac_f32 v21, v45, v48
	v_dual_fmac_f32 v36, v65, v56 :: v_dual_add_f32 v25, v20, v21
	s_delay_alu instid0(VALU_DEP_1) | instskip(SKIP_2) | instid1(VALU_DEP_3)
	v_dual_add_f32 v24, v25, v24 :: v_dual_add_f32 v3, v3, v23
	v_fma_f32 v25, v60, v52, -v26
	v_mul_f32_e32 v26, v63, v55
	v_add_f32_e32 v33, v24, v27
	s_delay_alu instid0(VALU_DEP_4) | instskip(SKIP_3) | instid1(VALU_DEP_4)
	v_add_f32_e32 v3, v3, v22
	v_mul_f32_e32 v23, v59, v51
	v_fma_f32 v22, v44, v48, -v19
	v_fma_f32 v34, v62, v54, -v26
	v_dual_add_f32 v32, v33, v32 :: v_dual_add_f32 v3, v3, v17
	ds_load_2addr_b64 v[16:19], v12 offset0:192 offset1:208
	v_fma_f32 v23, v58, v50, -v23
	v_dual_add_f32 v32, v32, v36 :: v_dual_add_f32 v3, v3, v22
	s_delay_alu instid0(VALU_DEP_1)
	v_add_f32_e32 v3, v3, v23
	ds_load_b128 v[20:23], v13 offset:96
	v_add_f32_e32 v3, v3, v25
	ds_load_2addr_b64 v[24:27], v12 offset0:224 offset1:240
	ds_load_b128 v[28:31], v13 offset:112
	v_mul_f32_e32 v35, v65, v57
	s_waitcnt lgkmcnt(0)
	s_barrier
	v_add_f32_e32 v3, v3, v34
	buffer_gl0_inv
	v_fma_f32 v33, v64, v56, -v35
	s_delay_alu instid0(VALU_DEP_1) | instskip(SKIP_2) | instid1(VALU_DEP_2)
	v_add_f32_e32 v3, v3, v33
	v_mul_f32_e32 v34, v21, v17
	v_mul_f32_e32 v17, v20, v17
	v_fma_f32 v20, v20, v16, -v34
	s_delay_alu instid0(VALU_DEP_2) | instskip(SKIP_1) | instid1(VALU_DEP_3)
	v_dual_fmac_f32 v17, v21, v16 :: v_dual_mul_f32 v16, v23, v19
	v_mul_f32_e32 v19, v22, v19
	v_add_f32_e32 v3, v3, v20
	s_delay_alu instid0(VALU_DEP_3) | instskip(NEXT) | instid1(VALU_DEP_4)
	v_add_f32_e32 v17, v32, v17
	v_fma_f32 v16, v22, v18, -v16
	s_delay_alu instid0(VALU_DEP_4) | instskip(NEXT) | instid1(VALU_DEP_2)
	v_dual_fmac_f32 v19, v23, v18 :: v_dual_mul_f32 v18, v29, v25
	v_dual_mul_f32 v20, v28, v25 :: v_dual_add_f32 v3, v3, v16
	s_delay_alu instid0(VALU_DEP_2) | instskip(NEXT) | instid1(VALU_DEP_3)
	v_add_f32_e32 v16, v17, v19
	v_fma_f32 v17, v28, v24, -v18
	s_delay_alu instid0(VALU_DEP_3) | instskip(SKIP_2) | instid1(VALU_DEP_3)
	v_fmac_f32_e32 v20, v29, v24
	v_mul_f32_e32 v18, v31, v27
	v_mul_f32_e32 v19, v30, v27
	v_dual_add_f32 v3, v3, v17 :: v_dual_add_f32 v16, v16, v20
	s_delay_alu instid0(VALU_DEP_3) | instskip(NEXT) | instid1(VALU_DEP_3)
	v_fma_f32 v17, v30, v26, -v18
	v_fmac_f32_e32 v19, v31, v26
	s_delay_alu instid0(VALU_DEP_1)
	v_dual_add_f32 v17, v3, v17 :: v_dual_add_f32 v16, v16, v19
	s_cbranch_vccnz .LBB1753_11
.LBB1753_3:                             ; =>This Inner Loop Header: Depth=1
	v_add_co_u32 v18, s9, v11, s0
	s_delay_alu instid0(VALU_DEP_1) | instskip(NEXT) | instid1(VALU_DEP_1)
	v_add_co_ci_u32_e64 v19, null, 0, s1, s9
	v_cmp_le_i64_e32 vcc_lo, s[4:5], v[18:19]
	s_or_b32 s9, s8, vcc_lo
	s_delay_alu instid0(SALU_CYCLE_1) | instskip(NEXT) | instid1(SALU_CYCLE_1)
	s_and_saveexec_b32 s10, s9
	s_xor_b32 s9, exec_lo, s10
	s_cbranch_execz .LBB1753_5
; %bb.4:                                ;   in Loop: Header=BB1753_3 Depth=1
	v_mov_b32_e32 v3, v2
	ds_store_b64 v14, v[2:3]
.LBB1753_5:                             ;   in Loop: Header=BB1753_3 Depth=1
	s_and_not1_saveexec_b32 s9, s9
	s_cbranch_execz .LBB1753_7
; %bb.6:                                ;   in Loop: Header=BB1753_3 Depth=1
	global_load_b64 v[18:19], v[6:7], off
	s_waitcnt vmcnt(0)
	ds_store_b64 v14, v[18:19]
.LBB1753_7:                             ;   in Loop: Header=BB1753_3 Depth=1
	s_or_b32 exec_lo, exec_lo, s9
	v_add_co_u32 v18, s9, v10, s0
	s_delay_alu instid0(VALU_DEP_1) | instskip(NEXT) | instid1(VALU_DEP_1)
	v_add_co_ci_u32_e64 v19, null, 0, s1, s9
	v_cmp_le_i64_e32 vcc_lo, s[4:5], v[18:19]
	s_or_b32 s9, s2, vcc_lo
	s_delay_alu instid0(SALU_CYCLE_1) | instskip(NEXT) | instid1(SALU_CYCLE_1)
	s_and_saveexec_b32 s10, s9
	s_xor_b32 s9, exec_lo, s10
	s_cbranch_execz .LBB1753_9
; %bb.8:                                ;   in Loop: Header=BB1753_3 Depth=1
	v_mov_b32_e32 v3, v2
	ds_store_b64 v15, v[2:3]
.LBB1753_9:                             ;   in Loop: Header=BB1753_3 Depth=1
	s_and_not1_saveexec_b32 s9, s9
	s_cbranch_execz .LBB1753_2
; %bb.10:                               ;   in Loop: Header=BB1753_3 Depth=1
	global_load_b64 v[18:19], v[4:5], off
	s_waitcnt vmcnt(0)
	ds_store_b64 v15, v[18:19]
	s_branch .LBB1753_2
.LBB1753_11:
	v_cmp_le_i32_e32 vcc_lo, v0, v8
	v_cmp_gt_i32_e64 s0, s3, v8
	s_delay_alu instid0(VALU_DEP_1) | instskip(NEXT) | instid1(SALU_CYCLE_1)
	s_and_b32 s0, vcc_lo, s0
	s_and_saveexec_b32 s1, s0
	s_cbranch_execz .LBB1753_14
; %bb.12:
	s_waitcnt lgkmcnt(0)
	v_mul_lo_u32 v4, v8, s21
	v_mul_lo_u32 v5, v9, s20
	v_mad_u64_u32 v[2:3], null, v8, s20, 0
	s_delay_alu instid0(VALU_DEP_1) | instskip(SKIP_1) | instid1(VALU_DEP_2)
	v_add3_u32 v3, v3, v4, v5
	v_lshlrev_b64 v[4:5], 3, v[0:1]
	v_lshlrev_b64 v[2:3], 3, v[2:3]
	s_delay_alu instid0(VALU_DEP_1) | instskip(NEXT) | instid1(VALU_DEP_2)
	v_add_co_u32 v1, vcc_lo, s18, v2
	v_add_co_ci_u32_e32 v2, vcc_lo, s19, v3, vcc_lo
	s_delay_alu instid0(VALU_DEP_2) | instskip(NEXT) | instid1(VALU_DEP_2)
	v_add_co_u32 v1, vcc_lo, v1, v4
	v_add_co_ci_u32_e32 v2, vcc_lo, v2, v5, vcc_lo
	v_cmp_eq_u32_e32 vcc_lo, v0, v8
	global_load_b64 v[3:4], v[1:2], off
	s_waitcnt vmcnt(0)
	v_mul_f32_e32 v7, s17, v4
	v_mul_f32_e32 v4, s16, v4
	s_delay_alu instid0(VALU_DEP_1) | instskip(NEXT) | instid1(VALU_DEP_3)
	v_fmac_f32_e32 v4, s17, v3
	v_fma_f32 v7, v3, s16, -v7
	v_mul_f32_e32 v6, s6, v16
	s_delay_alu instid0(VALU_DEP_1) | instskip(NEXT) | instid1(VALU_DEP_1)
	v_dual_mul_f32 v5, s7, v16 :: v_dual_fmac_f32 v6, s7, v17
	v_fma_f32 v5, v17, s6, -v5
	s_delay_alu instid0(VALU_DEP_1)
	v_dual_add_f32 v4, v6, v4 :: v_dual_add_f32 v3, v5, v7
	global_store_b64 v[1:2], v[3:4], off
	s_and_b32 exec_lo, exec_lo, vcc_lo
	s_cbranch_execz .LBB1753_14
; %bb.13:
	v_mov_b32_e32 v0, 0
	global_store_b32 v[1:2], v0, off offset:4
.LBB1753_14:
	s_nop 0
	s_sendmsg sendmsg(MSG_DEALLOC_VGPRS)
	s_endpgm
	.section	.rodata,"a",@progbits
	.p2align	6, 0x0
	.amdhsa_kernel _ZL32rocblas_syrkx_herkx_small_kernelIl19rocblas_complex_numIfELi16ELb0ELb1ELc84ELc85EKPKS1_KPS1_EviT_T0_PT6_S7_lSA_S7_lS8_PT7_S7_li
		.amdhsa_group_segment_fixed_size 4096
		.amdhsa_private_segment_fixed_size 0
		.amdhsa_kernarg_size 108
		.amdhsa_user_sgpr_count 13
		.amdhsa_user_sgpr_dispatch_ptr 0
		.amdhsa_user_sgpr_queue_ptr 0
		.amdhsa_user_sgpr_kernarg_segment_ptr 1
		.amdhsa_user_sgpr_dispatch_id 0
		.amdhsa_user_sgpr_private_segment_size 0
		.amdhsa_wavefront_size32 1
		.amdhsa_uses_dynamic_stack 0
		.amdhsa_enable_private_segment 0
		.amdhsa_system_sgpr_workgroup_id_x 1
		.amdhsa_system_sgpr_workgroup_id_y 1
		.amdhsa_system_sgpr_workgroup_id_z 1
		.amdhsa_system_sgpr_workgroup_info 0
		.amdhsa_system_vgpr_workitem_id 1
		.amdhsa_next_free_vgpr 70
		.amdhsa_next_free_sgpr 24
		.amdhsa_reserve_vcc 1
		.amdhsa_float_round_mode_32 0
		.amdhsa_float_round_mode_16_64 0
		.amdhsa_float_denorm_mode_32 3
		.amdhsa_float_denorm_mode_16_64 3
		.amdhsa_dx10_clamp 1
		.amdhsa_ieee_mode 1
		.amdhsa_fp16_overflow 0
		.amdhsa_workgroup_processor_mode 1
		.amdhsa_memory_ordered 1
		.amdhsa_forward_progress 0
		.amdhsa_shared_vgpr_count 0
		.amdhsa_exception_fp_ieee_invalid_op 0
		.amdhsa_exception_fp_denorm_src 0
		.amdhsa_exception_fp_ieee_div_zero 0
		.amdhsa_exception_fp_ieee_overflow 0
		.amdhsa_exception_fp_ieee_underflow 0
		.amdhsa_exception_fp_ieee_inexact 0
		.amdhsa_exception_int_div_zero 0
	.end_amdhsa_kernel
	.section	.text._ZL32rocblas_syrkx_herkx_small_kernelIl19rocblas_complex_numIfELi16ELb0ELb1ELc84ELc85EKPKS1_KPS1_EviT_T0_PT6_S7_lSA_S7_lS8_PT7_S7_li,"axG",@progbits,_ZL32rocblas_syrkx_herkx_small_kernelIl19rocblas_complex_numIfELi16ELb0ELb1ELc84ELc85EKPKS1_KPS1_EviT_T0_PT6_S7_lSA_S7_lS8_PT7_S7_li,comdat
.Lfunc_end1753:
	.size	_ZL32rocblas_syrkx_herkx_small_kernelIl19rocblas_complex_numIfELi16ELb0ELb1ELc84ELc85EKPKS1_KPS1_EviT_T0_PT6_S7_lSA_S7_lS8_PT7_S7_li, .Lfunc_end1753-_ZL32rocblas_syrkx_herkx_small_kernelIl19rocblas_complex_numIfELi16ELb0ELb1ELc84ELc85EKPKS1_KPS1_EviT_T0_PT6_S7_lSA_S7_lS8_PT7_S7_li
                                        ; -- End function
	.section	.AMDGPU.csdata,"",@progbits
; Kernel info:
; codeLenInByte = 1580
; NumSgprs: 26
; NumVgprs: 70
; ScratchSize: 0
; MemoryBound: 1
; FloatMode: 240
; IeeeMode: 1
; LDSByteSize: 4096 bytes/workgroup (compile time only)
; SGPRBlocks: 3
; VGPRBlocks: 8
; NumSGPRsForWavesPerEU: 26
; NumVGPRsForWavesPerEU: 70
; Occupancy: 16
; WaveLimiterHint : 1
; COMPUTE_PGM_RSRC2:SCRATCH_EN: 0
; COMPUTE_PGM_RSRC2:USER_SGPR: 13
; COMPUTE_PGM_RSRC2:TRAP_HANDLER: 0
; COMPUTE_PGM_RSRC2:TGID_X_EN: 1
; COMPUTE_PGM_RSRC2:TGID_Y_EN: 1
; COMPUTE_PGM_RSRC2:TGID_Z_EN: 1
; COMPUTE_PGM_RSRC2:TIDIG_COMP_CNT: 1
	.section	.text._ZL32rocblas_syrkx_herkx_small_kernelIl19rocblas_complex_numIfELi16ELb0ELb1ELc67ELc85EKPKS1_KPS1_EviT_T0_PT6_S7_lSA_S7_lS8_PT7_S7_li,"axG",@progbits,_ZL32rocblas_syrkx_herkx_small_kernelIl19rocblas_complex_numIfELi16ELb0ELb1ELc67ELc85EKPKS1_KPS1_EviT_T0_PT6_S7_lSA_S7_lS8_PT7_S7_li,comdat
	.globl	_ZL32rocblas_syrkx_herkx_small_kernelIl19rocblas_complex_numIfELi16ELb0ELb1ELc67ELc85EKPKS1_KPS1_EviT_T0_PT6_S7_lSA_S7_lS8_PT7_S7_li ; -- Begin function _ZL32rocblas_syrkx_herkx_small_kernelIl19rocblas_complex_numIfELi16ELb0ELb1ELc67ELc85EKPKS1_KPS1_EviT_T0_PT6_S7_lSA_S7_lS8_PT7_S7_li
	.p2align	8
	.type	_ZL32rocblas_syrkx_herkx_small_kernelIl19rocblas_complex_numIfELi16ELb0ELb1ELc67ELc85EKPKS1_KPS1_EviT_T0_PT6_S7_lSA_S7_lS8_PT7_S7_li,@function
_ZL32rocblas_syrkx_herkx_small_kernelIl19rocblas_complex_numIfELi16ELb0ELb1ELc67ELc85EKPKS1_KPS1_EviT_T0_PT6_S7_lSA_S7_lS8_PT7_S7_li: ; @_ZL32rocblas_syrkx_herkx_small_kernelIl19rocblas_complex_numIfELi16ELb0ELb1ELc67ELc85EKPKS1_KPS1_EviT_T0_PT6_S7_lSA_S7_lS8_PT7_S7_li
; %bb.0:
	s_clause 0x2
	s_load_b128 s[16:19], s[0:1], 0x48
	s_load_b256 s[4:11], s[0:1], 0x8
	s_load_b32 s3, s[0:1], 0x0
	s_mov_b32 s20, s15
	s_mov_b32 s21, 0
	v_dual_mov_b32 v17, 0 :: v_dual_and_b32 v10, 0x3ff, v0
	s_lshl_b64 s[22:23], s[20:21], 3
	v_bfe_u32 v11, v0, 10, 10
	v_mov_b32_e32 v16, 0
	s_delay_alu instid0(VALU_DEP_3) | instskip(NEXT) | instid1(VALU_DEP_3)
	v_lshl_add_u32 v0, s13, 4, v10
	v_lshl_add_u32 v8, s14, 4, v11
	s_delay_alu instid0(VALU_DEP_2) | instskip(NEXT) | instid1(VALU_DEP_2)
	v_ashrrev_i32_e32 v1, 31, v0
	v_ashrrev_i32_e32 v9, 31, v8
	s_waitcnt lgkmcnt(0)
	s_add_u32 s18, s18, s22
	s_addc_u32 s19, s19, s23
	s_load_b64 s[20:21], s[0:1], 0x58
	s_load_b64 s[18:19], s[18:19], 0x0
	v_cmp_lt_i64_e64 s2, s[4:5], 1
	s_delay_alu instid0(VALU_DEP_1)
	s_and_b32 vcc_lo, exec_lo, s2
	v_cmp_gt_i32_e64 s2, s3, v8
	s_cbranch_vccnz .LBB1754_11
; %bb.1:
	s_load_b128 s[12:15], s[0:1], 0x30
	v_mul_lo_u32 v13, s11, v0
	v_mul_lo_u32 v14, s10, v1
	v_mad_u64_u32 v[3:4], null, s10, v0, 0
	v_lshlrev_b32_e32 v17, 3, v11
	v_lshlrev_b32_e32 v12, 3, v10
	v_dual_mov_b32 v2, 0 :: v_dual_lshlrev_b32 v7, 7, v11
	v_cmp_gt_i32_e32 vcc_lo, s3, v0
	v_add3_u32 v4, v4, v14, v13
	s_delay_alu instid0(VALU_DEP_3) | instskip(NEXT) | instid1(VALU_DEP_2)
	v_add_nc_u32_e32 v13, 0x800, v7
	v_lshlrev_b64 v[3:4], 3, v[3:4]
	s_waitcnt lgkmcnt(0)
	s_add_u32 s0, s12, s22
	s_addc_u32 s1, s13, s23
	s_add_u32 s8, s8, s22
	v_mul_lo_u32 v15, s15, v8
	v_mul_lo_u32 v16, s14, v9
	v_mad_u64_u32 v[5:6], null, s14, v8, 0
	s_addc_u32 s9, s9, s23
	s_load_b64 s[10:11], s[0:1], 0x0
	s_load_b64 s[8:9], s[8:9], 0x0
	s_xor_b32 s2, s2, -1
	s_delay_alu instid0(VALU_DEP_1) | instskip(SKIP_2) | instid1(VALU_DEP_1)
	v_add3_u32 v6, v6, v16, v15
	v_mov_b32_e32 v16, 0
	v_add_co_u32 v3, s0, v3, v17
	v_add_co_ci_u32_e64 v4, s0, 0, v4, s0
	s_delay_alu instid0(VALU_DEP_4) | instskip(SKIP_2) | instid1(VALU_DEP_3)
	v_lshlrev_b64 v[5:6], 3, v[5:6]
	v_dual_mov_b32 v17, 0 :: v_dual_add_nc_u32 v14, v12, v7
	v_add_nc_u32_e32 v15, v13, v12
	v_add_co_u32 v5, s0, v5, v12
	s_delay_alu instid0(VALU_DEP_1) | instskip(SKIP_2) | instid1(VALU_DEP_1)
	v_add_co_ci_u32_e64 v6, s0, 0, v6, s0
	s_waitcnt lgkmcnt(0)
	v_add_co_u32 v3, s0, v3, s8
	v_add_co_ci_u32_e64 v7, s0, s9, v4, s0
	v_add_co_u32 v4, s0, s10, v5
	s_delay_alu instid0(VALU_DEP_1) | instskip(NEXT) | instid1(VALU_DEP_4)
	v_add_co_ci_u32_e64 v5, s0, s11, v6, s0
	v_add_co_u32 v6, s0, v3, 4
	s_delay_alu instid0(VALU_DEP_1)
	v_add_co_ci_u32_e64 v7, s0, 0, v7, s0
	s_mov_b64 s[0:1], 0
	s_xor_b32 s8, vcc_lo, -1
	s_branch .LBB1754_3
.LBB1754_2:                             ;   in Loop: Header=BB1754_3 Depth=1
	s_or_b32 exec_lo, exec_lo, s9
	s_waitcnt lgkmcnt(0)
	s_barrier
	buffer_gl0_inv
	ds_load_2addr_b64 v[18:21], v12 offset1:16
	ds_load_b128 v[22:25], v13
	ds_load_b128 v[26:29], v13 offset:16
	ds_load_2addr_b64 v[30:33], v12 offset0:32 offset1:48
	ds_load_2addr_b64 v[34:37], v12 offset0:64 offset1:80
	ds_load_b128 v[38:41], v13 offset:32
	ds_load_b128 v[42:45], v13 offset:48
	ds_load_2addr_b64 v[46:49], v12 offset0:96 offset1:112
	ds_load_2addr_b64 v[50:53], v12 offset0:128 offset1:144
	ds_load_2addr_b64 v[54:57], v12 offset0:160 offset1:176
	ds_load_b128 v[58:61], v13 offset:64
	ds_load_b128 v[62:65], v13 offset:80
	s_add_u32 s0, s0, 16
	s_addc_u32 s1, s1, 0
	v_add_co_u32 v4, vcc_lo, 0x80, v4
	v_cmp_ge_i64_e64 s9, s[0:1], s[4:5]
	v_add_co_ci_u32_e32 v5, vcc_lo, 0, v5, vcc_lo
	v_add_co_u32 v6, vcc_lo, 0x80, v6
	s_waitcnt lgkmcnt(10)
	v_dual_mul_f32 v3, v23, v19 :: v_dual_mul_f32 v66, v25, v21
	s_waitcnt lgkmcnt(8)
	v_dual_mul_f32 v19, v22, v19 :: v_dual_mul_f32 v68, v29, v33
	v_mul_f32_e32 v21, v24, v21
	v_mul_f32_e32 v67, v27, v31
	;; [unrolled: 1-line block ×3, first 2 shown]
	s_delay_alu instid0(VALU_DEP_4)
	v_fmac_f32_e32 v19, v23, v18
	v_fma_f32 v3, v22, v18, -v3
	s_waitcnt lgkmcnt(6)
	v_dual_fmac_f32 v21, v25, v20 :: v_dual_mul_f32 v18, v40, v37
	v_mul_f32_e32 v33, v28, v33
	v_add_f32_e32 v16, v16, v19
	v_mul_f32_e32 v69, v39, v35
	v_fmac_f32_e32 v31, v27, v30
	v_fma_f32 v23, v24, v20, -v66
	v_fmac_f32_e32 v18, v41, v36
	v_dual_add_f32 v16, v16, v21 :: v_dual_fmac_f32 v33, v29, v32
	s_waitcnt lgkmcnt(1)
	v_mul_f32_e32 v24, v58, v51
	v_mul_f32_e32 v20, v42, v47
	v_add_f32_e32 v3, v17, v3
	v_add_f32_e32 v16, v16, v31
	v_mul_f32_e32 v35, v38, v35
	v_fma_f32 v21, v28, v32, -v68
	s_waitcnt lgkmcnt(0)
	v_mul_f32_e32 v32, v62, v55
	v_mul_f32_e32 v22, v41, v37
	v_dual_add_f32 v16, v16, v33 :: v_dual_fmac_f32 v35, v39, v34
	v_fma_f32 v19, v26, v30, -v67
	v_dual_fmac_f32 v20, v43, v46 :: v_dual_mul_f32 v27, v60, v53
	s_delay_alu instid0(VALU_DEP_4) | instskip(NEXT) | instid1(VALU_DEP_4)
	v_fma_f32 v22, v40, v36, -v22
	v_add_f32_e32 v16, v16, v35
	v_mul_f32_e32 v17, v43, v47
	v_add_co_ci_u32_e32 v7, vcc_lo, 0, v7, vcc_lo
	v_fmac_f32_e32 v24, v59, v50
	s_delay_alu instid0(VALU_DEP_4) | instskip(SKIP_3) | instid1(VALU_DEP_4)
	v_dual_add_f32 v16, v16, v18 :: v_dual_add_f32 v3, v3, v23
	v_mul_f32_e32 v26, v61, v53
	v_fma_f32 v23, v38, v34, -v69
	v_fmac_f32_e32 v27, v61, v52
	v_dual_add_f32 v20, v16, v20 :: v_dual_add_f32 v3, v3, v19
	v_mul_f32_e32 v19, v45, v49
	v_fma_f32 v17, v42, v46, -v17
	v_fmac_f32_e32 v32, v63, v54
	s_and_b32 vcc_lo, exec_lo, s9
	v_add_f32_e32 v3, v3, v21
	v_mul_f32_e32 v21, v44, v49
	s_delay_alu instid0(VALU_DEP_1) | instskip(NEXT) | instid1(VALU_DEP_1)
	v_dual_mul_f32 v36, v64, v57 :: v_dual_fmac_f32 v21, v45, v48
	v_dual_fmac_f32 v36, v65, v56 :: v_dual_add_f32 v25, v20, v21
	s_delay_alu instid0(VALU_DEP_1) | instskip(SKIP_2) | instid1(VALU_DEP_3)
	v_dual_add_f32 v24, v25, v24 :: v_dual_add_f32 v3, v3, v23
	v_fma_f32 v25, v60, v52, -v26
	v_mul_f32_e32 v26, v63, v55
	v_add_f32_e32 v33, v24, v27
	s_delay_alu instid0(VALU_DEP_4) | instskip(SKIP_3) | instid1(VALU_DEP_4)
	v_add_f32_e32 v3, v3, v22
	v_mul_f32_e32 v23, v59, v51
	v_fma_f32 v22, v44, v48, -v19
	v_fma_f32 v34, v62, v54, -v26
	v_dual_add_f32 v32, v33, v32 :: v_dual_add_f32 v3, v3, v17
	ds_load_2addr_b64 v[16:19], v12 offset0:192 offset1:208
	v_fma_f32 v23, v58, v50, -v23
	v_dual_add_f32 v32, v32, v36 :: v_dual_add_f32 v3, v3, v22
	s_delay_alu instid0(VALU_DEP_1)
	v_add_f32_e32 v3, v3, v23
	ds_load_b128 v[20:23], v13 offset:96
	v_add_f32_e32 v3, v3, v25
	ds_load_2addr_b64 v[24:27], v12 offset0:224 offset1:240
	ds_load_b128 v[28:31], v13 offset:112
	v_mul_f32_e32 v35, v65, v57
	s_waitcnt lgkmcnt(0)
	s_barrier
	v_add_f32_e32 v3, v3, v34
	buffer_gl0_inv
	v_fma_f32 v33, v64, v56, -v35
	s_delay_alu instid0(VALU_DEP_1) | instskip(SKIP_2) | instid1(VALU_DEP_2)
	v_add_f32_e32 v3, v3, v33
	v_mul_f32_e32 v34, v21, v17
	v_mul_f32_e32 v17, v20, v17
	v_fma_f32 v20, v20, v16, -v34
	s_delay_alu instid0(VALU_DEP_2) | instskip(SKIP_1) | instid1(VALU_DEP_3)
	v_dual_fmac_f32 v17, v21, v16 :: v_dual_mul_f32 v16, v23, v19
	v_mul_f32_e32 v19, v22, v19
	v_add_f32_e32 v3, v3, v20
	s_delay_alu instid0(VALU_DEP_3) | instskip(NEXT) | instid1(VALU_DEP_4)
	v_add_f32_e32 v17, v32, v17
	v_fma_f32 v16, v22, v18, -v16
	s_delay_alu instid0(VALU_DEP_4) | instskip(NEXT) | instid1(VALU_DEP_2)
	v_dual_fmac_f32 v19, v23, v18 :: v_dual_mul_f32 v18, v29, v25
	v_dual_mul_f32 v20, v28, v25 :: v_dual_add_f32 v3, v3, v16
	s_delay_alu instid0(VALU_DEP_2) | instskip(NEXT) | instid1(VALU_DEP_3)
	v_add_f32_e32 v16, v17, v19
	v_fma_f32 v17, v28, v24, -v18
	s_delay_alu instid0(VALU_DEP_3) | instskip(SKIP_2) | instid1(VALU_DEP_3)
	v_fmac_f32_e32 v20, v29, v24
	v_mul_f32_e32 v18, v31, v27
	v_mul_f32_e32 v19, v30, v27
	v_dual_add_f32 v3, v3, v17 :: v_dual_add_f32 v16, v16, v20
	s_delay_alu instid0(VALU_DEP_3) | instskip(NEXT) | instid1(VALU_DEP_3)
	v_fma_f32 v17, v30, v26, -v18
	v_fmac_f32_e32 v19, v31, v26
	s_delay_alu instid0(VALU_DEP_1)
	v_dual_add_f32 v17, v3, v17 :: v_dual_add_f32 v16, v16, v19
	s_cbranch_vccnz .LBB1754_11
.LBB1754_3:                             ; =>This Inner Loop Header: Depth=1
	v_add_co_u32 v18, s9, v11, s0
	s_delay_alu instid0(VALU_DEP_1) | instskip(NEXT) | instid1(VALU_DEP_1)
	v_add_co_ci_u32_e64 v19, null, 0, s1, s9
                                        ; implicit-def: $sgpr10
	v_cmp_le_i64_e32 vcc_lo, s[4:5], v[18:19]
	s_or_b32 s9, s8, vcc_lo
	s_delay_alu instid0(SALU_CYCLE_1) | instskip(NEXT) | instid1(SALU_CYCLE_1)
	s_and_saveexec_b32 s11, s9
	s_xor_b32 s9, exec_lo, s11
	s_cbranch_execz .LBB1754_5
; %bb.4:                                ;   in Loop: Header=BB1754_3 Depth=1
	s_mov_b32 s10, 0
	ds_store_b32 v14, v2
.LBB1754_5:                             ;   in Loop: Header=BB1754_3 Depth=1
	s_or_saveexec_b32 s9, s9
	v_mov_b32_e32 v3, s10
	s_xor_b32 exec_lo, exec_lo, s9
	s_cbranch_execz .LBB1754_7
; %bb.6:                                ;   in Loop: Header=BB1754_3 Depth=1
	global_load_b64 v[18:19], v[6:7], off offset:-4
	s_waitcnt vmcnt(0)
	v_xor_b32_e32 v3, 0x80000000, v19
	ds_store_b32 v14, v18
.LBB1754_7:                             ;   in Loop: Header=BB1754_3 Depth=1
	s_or_b32 exec_lo, exec_lo, s9
	v_add_co_u32 v18, s9, v10, s0
	s_delay_alu instid0(VALU_DEP_1) | instskip(SKIP_3) | instid1(SALU_CYCLE_1)
	v_add_co_ci_u32_e64 v19, null, 0, s1, s9
	ds_store_b32 v14, v3 offset:4
	v_cmp_le_i64_e32 vcc_lo, s[4:5], v[18:19]
	s_or_b32 s9, s2, vcc_lo
	s_and_saveexec_b32 s10, s9
	s_delay_alu instid0(SALU_CYCLE_1)
	s_xor_b32 s9, exec_lo, s10
	s_cbranch_execz .LBB1754_9
; %bb.8:                                ;   in Loop: Header=BB1754_3 Depth=1
	v_mov_b32_e32 v3, v2
	ds_store_b64 v15, v[2:3]
.LBB1754_9:                             ;   in Loop: Header=BB1754_3 Depth=1
	s_and_not1_saveexec_b32 s9, s9
	s_cbranch_execz .LBB1754_2
; %bb.10:                               ;   in Loop: Header=BB1754_3 Depth=1
	global_load_b64 v[18:19], v[4:5], off
	s_waitcnt vmcnt(0)
	ds_store_b64 v15, v[18:19]
	s_branch .LBB1754_2
.LBB1754_11:
	v_cmp_le_i32_e32 vcc_lo, v0, v8
	v_cmp_gt_i32_e64 s0, s3, v8
	s_delay_alu instid0(VALU_DEP_1) | instskip(NEXT) | instid1(SALU_CYCLE_1)
	s_and_b32 s0, vcc_lo, s0
	s_and_saveexec_b32 s1, s0
	s_cbranch_execz .LBB1754_14
; %bb.12:
	s_waitcnt lgkmcnt(0)
	v_mul_lo_u32 v4, v8, s21
	v_mul_lo_u32 v5, v9, s20
	v_mad_u64_u32 v[2:3], null, v8, s20, 0
	s_delay_alu instid0(VALU_DEP_1) | instskip(SKIP_1) | instid1(VALU_DEP_2)
	v_add3_u32 v3, v3, v4, v5
	v_lshlrev_b64 v[4:5], 3, v[0:1]
	v_lshlrev_b64 v[2:3], 3, v[2:3]
	s_delay_alu instid0(VALU_DEP_1) | instskip(NEXT) | instid1(VALU_DEP_2)
	v_add_co_u32 v1, vcc_lo, s18, v2
	v_add_co_ci_u32_e32 v2, vcc_lo, s19, v3, vcc_lo
	s_delay_alu instid0(VALU_DEP_2) | instskip(NEXT) | instid1(VALU_DEP_2)
	v_add_co_u32 v1, vcc_lo, v1, v4
	v_add_co_ci_u32_e32 v2, vcc_lo, v2, v5, vcc_lo
	v_cmp_eq_u32_e32 vcc_lo, v0, v8
	global_load_b64 v[3:4], v[1:2], off
	s_waitcnt vmcnt(0)
	v_mul_f32_e32 v7, s17, v4
	v_mul_f32_e32 v4, s16, v4
	s_delay_alu instid0(VALU_DEP_1) | instskip(NEXT) | instid1(VALU_DEP_3)
	v_fmac_f32_e32 v4, s17, v3
	v_fma_f32 v7, v3, s16, -v7
	v_mul_f32_e32 v6, s6, v16
	s_delay_alu instid0(VALU_DEP_1) | instskip(NEXT) | instid1(VALU_DEP_1)
	v_dual_mul_f32 v5, s7, v16 :: v_dual_fmac_f32 v6, s7, v17
	v_fma_f32 v5, v17, s6, -v5
	s_delay_alu instid0(VALU_DEP_1)
	v_dual_add_f32 v4, v6, v4 :: v_dual_add_f32 v3, v5, v7
	global_store_b64 v[1:2], v[3:4], off
	s_and_b32 exec_lo, exec_lo, vcc_lo
	s_cbranch_execz .LBB1754_14
; %bb.13:
	v_mov_b32_e32 v0, 0
	global_store_b32 v[1:2], v0, off offset:4
.LBB1754_14:
	s_nop 0
	s_sendmsg sendmsg(MSG_DEALLOC_VGPRS)
	s_endpgm
	.section	.rodata,"a",@progbits
	.p2align	6, 0x0
	.amdhsa_kernel _ZL32rocblas_syrkx_herkx_small_kernelIl19rocblas_complex_numIfELi16ELb0ELb1ELc67ELc85EKPKS1_KPS1_EviT_T0_PT6_S7_lSA_S7_lS8_PT7_S7_li
		.amdhsa_group_segment_fixed_size 4096
		.amdhsa_private_segment_fixed_size 0
		.amdhsa_kernarg_size 108
		.amdhsa_user_sgpr_count 13
		.amdhsa_user_sgpr_dispatch_ptr 0
		.amdhsa_user_sgpr_queue_ptr 0
		.amdhsa_user_sgpr_kernarg_segment_ptr 1
		.amdhsa_user_sgpr_dispatch_id 0
		.amdhsa_user_sgpr_private_segment_size 0
		.amdhsa_wavefront_size32 1
		.amdhsa_uses_dynamic_stack 0
		.amdhsa_enable_private_segment 0
		.amdhsa_system_sgpr_workgroup_id_x 1
		.amdhsa_system_sgpr_workgroup_id_y 1
		.amdhsa_system_sgpr_workgroup_id_z 1
		.amdhsa_system_sgpr_workgroup_info 0
		.amdhsa_system_vgpr_workitem_id 1
		.amdhsa_next_free_vgpr 70
		.amdhsa_next_free_sgpr 24
		.amdhsa_reserve_vcc 1
		.amdhsa_float_round_mode_32 0
		.amdhsa_float_round_mode_16_64 0
		.amdhsa_float_denorm_mode_32 3
		.amdhsa_float_denorm_mode_16_64 3
		.amdhsa_dx10_clamp 1
		.amdhsa_ieee_mode 1
		.amdhsa_fp16_overflow 0
		.amdhsa_workgroup_processor_mode 1
		.amdhsa_memory_ordered 1
		.amdhsa_forward_progress 0
		.amdhsa_shared_vgpr_count 0
		.amdhsa_exception_fp_ieee_invalid_op 0
		.amdhsa_exception_fp_denorm_src 0
		.amdhsa_exception_fp_ieee_div_zero 0
		.amdhsa_exception_fp_ieee_overflow 0
		.amdhsa_exception_fp_ieee_underflow 0
		.amdhsa_exception_fp_ieee_inexact 0
		.amdhsa_exception_int_div_zero 0
	.end_amdhsa_kernel
	.section	.text._ZL32rocblas_syrkx_herkx_small_kernelIl19rocblas_complex_numIfELi16ELb0ELb1ELc67ELc85EKPKS1_KPS1_EviT_T0_PT6_S7_lSA_S7_lS8_PT7_S7_li,"axG",@progbits,_ZL32rocblas_syrkx_herkx_small_kernelIl19rocblas_complex_numIfELi16ELb0ELb1ELc67ELc85EKPKS1_KPS1_EviT_T0_PT6_S7_lSA_S7_lS8_PT7_S7_li,comdat
.Lfunc_end1754:
	.size	_ZL32rocblas_syrkx_herkx_small_kernelIl19rocblas_complex_numIfELi16ELb0ELb1ELc67ELc85EKPKS1_KPS1_EviT_T0_PT6_S7_lSA_S7_lS8_PT7_S7_li, .Lfunc_end1754-_ZL32rocblas_syrkx_herkx_small_kernelIl19rocblas_complex_numIfELi16ELb0ELb1ELc67ELc85EKPKS1_KPS1_EviT_T0_PT6_S7_lSA_S7_lS8_PT7_S7_li
                                        ; -- End function
	.section	.AMDGPU.csdata,"",@progbits
; Kernel info:
; codeLenInByte = 1624
; NumSgprs: 26
; NumVgprs: 70
; ScratchSize: 0
; MemoryBound: 1
; FloatMode: 240
; IeeeMode: 1
; LDSByteSize: 4096 bytes/workgroup (compile time only)
; SGPRBlocks: 3
; VGPRBlocks: 8
; NumSGPRsForWavesPerEU: 26
; NumVGPRsForWavesPerEU: 70
; Occupancy: 16
; WaveLimiterHint : 1
; COMPUTE_PGM_RSRC2:SCRATCH_EN: 0
; COMPUTE_PGM_RSRC2:USER_SGPR: 13
; COMPUTE_PGM_RSRC2:TRAP_HANDLER: 0
; COMPUTE_PGM_RSRC2:TGID_X_EN: 1
; COMPUTE_PGM_RSRC2:TGID_Y_EN: 1
; COMPUTE_PGM_RSRC2:TGID_Z_EN: 1
; COMPUTE_PGM_RSRC2:TIDIG_COMP_CNT: 1
	.section	.text._ZL32rocblas_syrkx_herkx_small_kernelIl19rocblas_complex_numIfELi16ELb0ELb1ELc78ELc85EKPKS1_KPS1_EviT_T0_PT6_S7_lSA_S7_lS8_PT7_S7_li,"axG",@progbits,_ZL32rocblas_syrkx_herkx_small_kernelIl19rocblas_complex_numIfELi16ELb0ELb1ELc78ELc85EKPKS1_KPS1_EviT_T0_PT6_S7_lSA_S7_lS8_PT7_S7_li,comdat
	.globl	_ZL32rocblas_syrkx_herkx_small_kernelIl19rocblas_complex_numIfELi16ELb0ELb1ELc78ELc85EKPKS1_KPS1_EviT_T0_PT6_S7_lSA_S7_lS8_PT7_S7_li ; -- Begin function _ZL32rocblas_syrkx_herkx_small_kernelIl19rocblas_complex_numIfELi16ELb0ELb1ELc78ELc85EKPKS1_KPS1_EviT_T0_PT6_S7_lSA_S7_lS8_PT7_S7_li
	.p2align	8
	.type	_ZL32rocblas_syrkx_herkx_small_kernelIl19rocblas_complex_numIfELi16ELb0ELb1ELc78ELc85EKPKS1_KPS1_EviT_T0_PT6_S7_lSA_S7_lS8_PT7_S7_li,@function
_ZL32rocblas_syrkx_herkx_small_kernelIl19rocblas_complex_numIfELi16ELb0ELb1ELc78ELc85EKPKS1_KPS1_EviT_T0_PT6_S7_lSA_S7_lS8_PT7_S7_li: ; @_ZL32rocblas_syrkx_herkx_small_kernelIl19rocblas_complex_numIfELi16ELb0ELb1ELc78ELc85EKPKS1_KPS1_EviT_T0_PT6_S7_lSA_S7_lS8_PT7_S7_li
; %bb.0:
	s_clause 0x2
	s_load_b128 s[16:19], s[0:1], 0x48
	s_load_b256 s[4:11], s[0:1], 0x8
	s_load_b32 s3, s[0:1], 0x0
	s_mov_b32 s20, s15
	s_mov_b32 s21, 0
	v_dual_mov_b32 v17, 0 :: v_dual_and_b32 v10, 0x3ff, v0
	s_lshl_b64 s[22:23], s[20:21], 3
	v_bfe_u32 v11, v0, 10, 10
	v_mov_b32_e32 v16, 0
	s_delay_alu instid0(VALU_DEP_3) | instskip(NEXT) | instid1(VALU_DEP_3)
	v_lshl_add_u32 v0, s13, 4, v10
	v_lshl_add_u32 v2, s14, 4, v11
	s_delay_alu instid0(VALU_DEP_2) | instskip(NEXT) | instid1(VALU_DEP_2)
	v_ashrrev_i32_e32 v1, 31, v0
	v_ashrrev_i32_e32 v3, 31, v2
	s_waitcnt lgkmcnt(0)
	s_add_u32 s18, s18, s22
	s_addc_u32 s19, s19, s23
	s_load_b64 s[20:21], s[0:1], 0x58
	s_load_b64 s[18:19], s[18:19], 0x0
	v_cmp_lt_i64_e64 s2, s[4:5], 1
	s_delay_alu instid0(VALU_DEP_1)
	s_and_b32 vcc_lo, exec_lo, s2
	v_cmp_gt_i32_e64 s2, s3, v2
	s_cbranch_vccnz .LBB1755_11
; %bb.1:
	s_load_b128 s[12:15], s[0:1], 0x30
	v_mad_u64_u32 v[7:8], null, s10, v11, 0
	v_dual_mov_b32 v4, 0 :: v_dual_lshlrev_b32 v9, 7, v11
	v_lshlrev_b32_e32 v12, 3, v10
	v_mov_b32_e32 v16, 0
	v_lshlrev_b64 v[17:18], 3, v[2:3]
	v_lshlrev_b64 v[19:20], 3, v[0:1]
	v_add_nc_u32_e32 v13, 0x800, v9
	v_mad_u64_u32 v[21:22], null, s11, v11, v[8:9]
	v_cmp_gt_i32_e32 vcc_lo, s3, v0
	s_delay_alu instid0(VALU_DEP_2)
	v_mov_b32_e32 v8, v21
	s_waitcnt lgkmcnt(0)
	v_mad_u64_u32 v[5:6], null, s14, v10, 0
	s_add_u32 s0, s12, s22
	s_addc_u32 s1, s13, s23
	s_add_u32 s8, s8, s22
	s_load_b64 s[12:13], s[0:1], 0x0
	s_addc_u32 s9, s9, s23
	s_lshl_b64 s[10:11], s[10:11], 7
	s_delay_alu instid0(VALU_DEP_1) | instskip(SKIP_4) | instid1(VALU_DEP_2)
	v_mad_u64_u32 v[14:15], null, s15, v10, v[6:7]
	s_load_b64 s[22:23], s[8:9], 0x0
	v_lshlrev_b64 v[7:8], 3, v[7:8]
	s_lshl_b64 s[8:9], s[14:15], 7
	s_xor_b32 s2, s2, -1
	v_mov_b32_e32 v6, v14
	s_delay_alu instid0(VALU_DEP_1) | instskip(NEXT) | instid1(VALU_DEP_1)
	v_lshlrev_b64 v[5:6], 3, v[5:6]
	v_add_co_u32 v5, s0, v5, v17
	s_delay_alu instid0(VALU_DEP_1) | instskip(SKIP_1) | instid1(VALU_DEP_1)
	v_add_co_ci_u32_e64 v6, s0, v6, v18, s0
	v_add_co_u32 v7, s0, v7, v19
	v_add_co_ci_u32_e64 v8, s0, v8, v20, s0
	s_waitcnt lgkmcnt(0)
	v_add_co_u32 v5, s0, v5, s12
	v_mov_b32_e32 v17, 0
	v_add_nc_u32_e32 v15, v13, v12
	v_add_nc_u32_e32 v14, v12, v9
	v_add_co_ci_u32_e64 v9, s0, s13, v6, s0
	v_add_co_u32 v6, s0, s22, v7
	s_delay_alu instid0(VALU_DEP_1) | instskip(SKIP_1) | instid1(VALU_DEP_1)
	v_add_co_ci_u32_e64 v7, s0, s23, v8, s0
	v_add_co_u32 v8, s0, v5, 4
	v_add_co_ci_u32_e64 v9, s0, 0, v9, s0
	s_mov_b64 s[0:1], 0
	s_xor_b32 s12, vcc_lo, -1
	s_branch .LBB1755_3
.LBB1755_2:                             ;   in Loop: Header=BB1755_3 Depth=1
	s_or_b32 exec_lo, exec_lo, s13
	ds_store_b32 v15, v5 offset:4
	s_waitcnt lgkmcnt(0)
	s_barrier
	buffer_gl0_inv
	ds_load_2addr_b64 v[18:21], v12 offset1:16
	ds_load_b128 v[22:25], v13
	ds_load_b128 v[26:29], v13 offset:16
	ds_load_2addr_b64 v[30:33], v12 offset0:32 offset1:48
	ds_load_2addr_b64 v[34:37], v12 offset0:64 offset1:80
	ds_load_b128 v[38:41], v13 offset:32
	ds_load_b128 v[42:45], v13 offset:48
	ds_load_2addr_b64 v[46:49], v12 offset0:96 offset1:112
	ds_load_2addr_b64 v[50:53], v12 offset0:128 offset1:144
	;; [unrolled: 1-line block ×3, first 2 shown]
	ds_load_b128 v[58:61], v13 offset:64
	ds_load_b128 v[62:65], v13 offset:80
	s_add_u32 s0, s0, 16
	s_addc_u32 s1, s1, 0
	v_add_co_u32 v8, vcc_lo, v8, s8
	v_cmp_ge_i64_e64 s13, s[0:1], s[4:5]
	v_add_co_ci_u32_e32 v9, vcc_lo, s9, v9, vcc_lo
	v_add_co_u32 v6, vcc_lo, v6, s10
	s_waitcnt lgkmcnt(10)
	v_dual_mul_f32 v5, v23, v19 :: v_dual_mul_f32 v66, v25, v21
	s_waitcnt lgkmcnt(8)
	v_dual_mul_f32 v19, v22, v19 :: v_dual_mul_f32 v68, v29, v33
	v_mul_f32_e32 v21, v24, v21
	s_delay_alu instid0(VALU_DEP_3) | instskip(SKIP_1) | instid1(VALU_DEP_3)
	v_fma_f32 v5, v22, v18, -v5
	s_waitcnt lgkmcnt(6)
	v_dual_mul_f32 v22, v38, v35 :: v_dual_fmac_f32 v19, v23, v18
	v_fma_f32 v18, v24, v20, -v66
	v_fmac_f32_e32 v21, v25, v20
	v_add_f32_e32 v5, v17, v5
	v_fma_f32 v20, v28, v32, -v68
	v_add_f32_e32 v16, v16, v19
	v_mul_f32_e32 v67, v27, v31
	v_mul_f32_e32 v31, v26, v31
	v_add_f32_e32 v5, v5, v18
	s_waitcnt lgkmcnt(4)
	v_dual_mul_f32 v33, v28, v33 :: v_dual_mul_f32 v18, v43, v47
	v_add_f32_e32 v16, v16, v21
	v_fma_f32 v19, v26, v30, -v67
	v_mul_f32_e32 v17, v40, v37
	s_waitcnt lgkmcnt(1)
	v_dual_fmac_f32 v33, v29, v32 :: v_dual_mul_f32 v24, v58, v51
	v_fma_f32 v18, v42, v46, -v18
	v_add_f32_e32 v5, v5, v19
	v_dual_mul_f32 v25, v61, v53 :: v_dual_fmac_f32 v22, v39, v34
	s_delay_alu instid0(VALU_DEP_4) | instskip(SKIP_1) | instid1(VALU_DEP_4)
	v_fmac_f32_e32 v24, v59, v50
	v_add_co_ci_u32_e32 v7, vcc_lo, s11, v7, vcc_lo
	v_add_f32_e32 v5, v5, v20
	v_dual_mul_f32 v20, v45, v49 :: v_dual_fmac_f32 v31, v27, v30
	v_fma_f32 v25, v60, v52, -v25
	s_and_b32 vcc_lo, exec_lo, s13
	s_waitcnt lgkmcnt(0)
	v_mul_f32_e32 v32, v62, v55
	v_add_f32_e32 v16, v16, v31
	v_mul_f32_e32 v69, v39, v35
	s_delay_alu instid0(VALU_DEP_3) | instskip(NEXT) | instid1(VALU_DEP_3)
	v_dual_mul_f32 v35, v41, v37 :: v_dual_fmac_f32 v32, v63, v54
	v_add_f32_e32 v16, v16, v33
	s_delay_alu instid0(VALU_DEP_3) | instskip(NEXT) | instid1(VALU_DEP_3)
	v_fma_f32 v21, v38, v34, -v69
	v_fma_f32 v23, v40, v36, -v35
	s_delay_alu instid0(VALU_DEP_3) | instskip(NEXT) | instid1(VALU_DEP_3)
	v_dual_mul_f32 v35, v65, v57 :: v_dual_add_f32 v16, v16, v22
	v_add_f32_e32 v5, v5, v21
	v_dual_mul_f32 v21, v44, v49 :: v_dual_mul_f32 v22, v59, v51
	v_dual_fmac_f32 v17, v41, v36 :: v_dual_mul_f32 v36, v64, v57
	v_mul_f32_e32 v27, v60, v53
	s_delay_alu instid0(VALU_DEP_3) | instskip(NEXT) | instid1(VALU_DEP_3)
	v_fmac_f32_e32 v21, v45, v48
	v_dual_mul_f32 v19, v42, v47 :: v_dual_add_f32 v16, v16, v17
	v_fma_f32 v17, v44, v48, -v20
	v_fmac_f32_e32 v36, v65, v56
	v_fmac_f32_e32 v27, v61, v52
	s_delay_alu instid0(VALU_DEP_4) | instskip(NEXT) | instid1(VALU_DEP_1)
	v_fmac_f32_e32 v19, v43, v46
	v_add_f32_e32 v16, v16, v19
	s_delay_alu instid0(VALU_DEP_1) | instskip(NEXT) | instid1(VALU_DEP_1)
	v_add_f32_e32 v26, v16, v21
	v_dual_add_f32 v24, v26, v24 :: v_dual_add_f32 v5, v5, v23
	v_mul_f32_e32 v26, v63, v55
	s_delay_alu instid0(VALU_DEP_2) | instskip(NEXT) | instid1(VALU_DEP_2)
	v_add_f32_e32 v33, v24, v27
	v_fma_f32 v34, v62, v54, -v26
	s_delay_alu instid0(VALU_DEP_2) | instskip(SKIP_3) | instid1(VALU_DEP_3)
	v_add_f32_e32 v32, v33, v32
	v_add_f32_e32 v5, v5, v18
	v_fma_f32 v18, v58, v50, -v22
	v_fma_f32 v33, v64, v56, -v35
	v_dual_add_f32 v32, v32, v36 :: v_dual_add_f32 v5, v5, v17
	s_delay_alu instid0(VALU_DEP_1)
	v_add_f32_e32 v5, v5, v18
	ds_load_2addr_b64 v[16:19], v12 offset0:192 offset1:208
	ds_load_b128 v[20:23], v13 offset:96
	v_add_f32_e32 v5, v5, v25
	ds_load_2addr_b64 v[24:27], v12 offset0:224 offset1:240
	ds_load_b128 v[28:31], v13 offset:112
	s_waitcnt lgkmcnt(0)
	s_barrier
	buffer_gl0_inv
	v_add_f32_e32 v5, v5, v34
	s_delay_alu instid0(VALU_DEP_1) | instskip(SKIP_2) | instid1(VALU_DEP_2)
	v_add_f32_e32 v5, v5, v33
	v_mul_f32_e32 v34, v21, v17
	v_mul_f32_e32 v17, v20, v17
	v_fma_f32 v20, v20, v16, -v34
	s_delay_alu instid0(VALU_DEP_1) | instskip(NEXT) | instid1(VALU_DEP_1)
	v_dual_add_f32 v5, v5, v20 :: v_dual_mul_f32 v20, v28, v25
	v_fmac_f32_e32 v20, v29, v24
	s_delay_alu instid0(VALU_DEP_4) | instskip(SKIP_1) | instid1(VALU_DEP_2)
	v_dual_fmac_f32 v17, v21, v16 :: v_dual_mul_f32 v16, v23, v19
	v_mul_f32_e32 v19, v22, v19
	v_add_f32_e32 v17, v32, v17
	s_delay_alu instid0(VALU_DEP_3) | instskip(NEXT) | instid1(VALU_DEP_3)
	v_fma_f32 v16, v22, v18, -v16
	v_dual_fmac_f32 v19, v23, v18 :: v_dual_mul_f32 v18, v29, v25
	s_delay_alu instid0(VALU_DEP_2) | instskip(NEXT) | instid1(VALU_DEP_2)
	v_add_f32_e32 v5, v5, v16
	v_add_f32_e32 v16, v17, v19
	s_delay_alu instid0(VALU_DEP_3) | instskip(SKIP_2) | instid1(VALU_DEP_3)
	v_fma_f32 v17, v28, v24, -v18
	v_mul_f32_e32 v18, v31, v27
	v_mul_f32_e32 v19, v30, v27
	v_add_f32_e32 v5, v5, v17
	s_delay_alu instid0(VALU_DEP_3) | instskip(NEXT) | instid1(VALU_DEP_3)
	v_fma_f32 v17, v30, v26, -v18
	v_dual_fmac_f32 v19, v31, v26 :: v_dual_add_f32 v16, v16, v20
	s_delay_alu instid0(VALU_DEP_1)
	v_dual_add_f32 v17, v5, v17 :: v_dual_add_f32 v16, v16, v19
	s_cbranch_vccnz .LBB1755_11
.LBB1755_3:                             ; =>This Inner Loop Header: Depth=1
	v_add_co_u32 v18, s13, v11, s0
	s_delay_alu instid0(VALU_DEP_1) | instskip(NEXT) | instid1(VALU_DEP_1)
	v_add_co_ci_u32_e64 v19, null, 0, s1, s13
	v_cmp_le_i64_e32 vcc_lo, s[4:5], v[18:19]
	s_or_b32 s13, s12, vcc_lo
	s_delay_alu instid0(SALU_CYCLE_1) | instskip(NEXT) | instid1(SALU_CYCLE_1)
	s_and_saveexec_b32 s14, s13
	s_xor_b32 s13, exec_lo, s14
	s_cbranch_execz .LBB1755_5
; %bb.4:                                ;   in Loop: Header=BB1755_3 Depth=1
	v_mov_b32_e32 v5, v4
	ds_store_b64 v14, v[4:5]
.LBB1755_5:                             ;   in Loop: Header=BB1755_3 Depth=1
	s_and_not1_saveexec_b32 s13, s13
	s_cbranch_execz .LBB1755_7
; %bb.6:                                ;   in Loop: Header=BB1755_3 Depth=1
	global_load_b64 v[18:19], v[6:7], off
	s_waitcnt vmcnt(0)
	ds_store_b64 v14, v[18:19]
.LBB1755_7:                             ;   in Loop: Header=BB1755_3 Depth=1
	s_or_b32 exec_lo, exec_lo, s13
	v_add_co_u32 v18, s13, v10, s0
	s_delay_alu instid0(VALU_DEP_1) | instskip(NEXT) | instid1(VALU_DEP_1)
	v_add_co_ci_u32_e64 v19, null, 0, s1, s13
                                        ; implicit-def: $sgpr14
	v_cmp_le_i64_e32 vcc_lo, s[4:5], v[18:19]
	s_or_b32 s13, s2, vcc_lo
	s_delay_alu instid0(SALU_CYCLE_1) | instskip(NEXT) | instid1(SALU_CYCLE_1)
	s_and_saveexec_b32 s15, s13
	s_xor_b32 s13, exec_lo, s15
	s_cbranch_execz .LBB1755_9
; %bb.8:                                ;   in Loop: Header=BB1755_3 Depth=1
	s_mov_b32 s14, 0
	ds_store_b32 v15, v4
.LBB1755_9:                             ;   in Loop: Header=BB1755_3 Depth=1
	s_or_saveexec_b32 s13, s13
	v_mov_b32_e32 v5, s14
	s_xor_b32 exec_lo, exec_lo, s13
	s_cbranch_execz .LBB1755_2
; %bb.10:                               ;   in Loop: Header=BB1755_3 Depth=1
	global_load_b64 v[18:19], v[8:9], off offset:-4
	s_waitcnt vmcnt(0)
	v_xor_b32_e32 v5, 0x80000000, v19
	ds_store_b32 v15, v18
	s_branch .LBB1755_2
.LBB1755_11:
	v_cmp_le_i32_e32 vcc_lo, v0, v2
	v_cmp_gt_i32_e64 s0, s3, v2
	s_delay_alu instid0(VALU_DEP_1) | instskip(NEXT) | instid1(SALU_CYCLE_1)
	s_and_b32 s0, vcc_lo, s0
	s_and_saveexec_b32 s1, s0
	s_cbranch_execz .LBB1755_14
; %bb.12:
	s_waitcnt lgkmcnt(0)
	v_mul_lo_u32 v5, v2, s21
	v_mul_lo_u32 v6, v3, s20
	v_mad_u64_u32 v[3:4], null, v2, s20, 0
	s_delay_alu instid0(VALU_DEP_1) | instskip(SKIP_1) | instid1(VALU_DEP_2)
	v_add3_u32 v4, v4, v5, v6
	v_lshlrev_b64 v[5:6], 3, v[0:1]
	v_lshlrev_b64 v[3:4], 3, v[3:4]
	s_delay_alu instid0(VALU_DEP_1) | instskip(NEXT) | instid1(VALU_DEP_2)
	v_add_co_u32 v1, vcc_lo, s18, v3
	v_add_co_ci_u32_e32 v4, vcc_lo, s19, v4, vcc_lo
	s_delay_alu instid0(VALU_DEP_2) | instskip(NEXT) | instid1(VALU_DEP_2)
	v_add_co_u32 v3, vcc_lo, v1, v5
	v_add_co_ci_u32_e32 v4, vcc_lo, v4, v6, vcc_lo
	v_cmp_eq_u32_e32 vcc_lo, v0, v2
	global_load_b64 v[5:6], v[3:4], off
	v_mul_f32_e32 v1, s7, v16
	s_waitcnt vmcnt(0)
	v_dual_mul_f32 v7, s6, v16 :: v_dual_mul_f32 v8, s17, v6
	v_mul_f32_e32 v6, s16, v6
	s_delay_alu instid0(VALU_DEP_3) | instskip(NEXT) | instid1(VALU_DEP_3)
	v_fma_f32 v1, v17, s6, -v1
	v_fmac_f32_e32 v7, s7, v17
	s_delay_alu instid0(VALU_DEP_4) | instskip(NEXT) | instid1(VALU_DEP_1)
	v_fma_f32 v8, v5, s16, -v8
	v_dual_fmac_f32 v6, s17, v5 :: v_dual_add_f32 v5, v1, v8
	s_delay_alu instid0(VALU_DEP_1)
	v_add_f32_e32 v6, v7, v6
	global_store_b64 v[3:4], v[5:6], off
	s_and_b32 exec_lo, exec_lo, vcc_lo
	s_cbranch_execz .LBB1755_14
; %bb.13:
	v_mov_b32_e32 v0, 0
	global_store_b32 v[3:4], v0, off offset:4
.LBB1755_14:
	s_nop 0
	s_sendmsg sendmsg(MSG_DEALLOC_VGPRS)
	s_endpgm
	.section	.rodata,"a",@progbits
	.p2align	6, 0x0
	.amdhsa_kernel _ZL32rocblas_syrkx_herkx_small_kernelIl19rocblas_complex_numIfELi16ELb0ELb1ELc78ELc85EKPKS1_KPS1_EviT_T0_PT6_S7_lSA_S7_lS8_PT7_S7_li
		.amdhsa_group_segment_fixed_size 4096
		.amdhsa_private_segment_fixed_size 0
		.amdhsa_kernarg_size 108
		.amdhsa_user_sgpr_count 13
		.amdhsa_user_sgpr_dispatch_ptr 0
		.amdhsa_user_sgpr_queue_ptr 0
		.amdhsa_user_sgpr_kernarg_segment_ptr 1
		.amdhsa_user_sgpr_dispatch_id 0
		.amdhsa_user_sgpr_private_segment_size 0
		.amdhsa_wavefront_size32 1
		.amdhsa_uses_dynamic_stack 0
		.amdhsa_enable_private_segment 0
		.amdhsa_system_sgpr_workgroup_id_x 1
		.amdhsa_system_sgpr_workgroup_id_y 1
		.amdhsa_system_sgpr_workgroup_id_z 1
		.amdhsa_system_sgpr_workgroup_info 0
		.amdhsa_system_vgpr_workitem_id 1
		.amdhsa_next_free_vgpr 70
		.amdhsa_next_free_sgpr 24
		.amdhsa_reserve_vcc 1
		.amdhsa_float_round_mode_32 0
		.amdhsa_float_round_mode_16_64 0
		.amdhsa_float_denorm_mode_32 3
		.amdhsa_float_denorm_mode_16_64 3
		.amdhsa_dx10_clamp 1
		.amdhsa_ieee_mode 1
		.amdhsa_fp16_overflow 0
		.amdhsa_workgroup_processor_mode 1
		.amdhsa_memory_ordered 1
		.amdhsa_forward_progress 0
		.amdhsa_shared_vgpr_count 0
		.amdhsa_exception_fp_ieee_invalid_op 0
		.amdhsa_exception_fp_denorm_src 0
		.amdhsa_exception_fp_ieee_div_zero 0
		.amdhsa_exception_fp_ieee_overflow 0
		.amdhsa_exception_fp_ieee_underflow 0
		.amdhsa_exception_fp_ieee_inexact 0
		.amdhsa_exception_int_div_zero 0
	.end_amdhsa_kernel
	.section	.text._ZL32rocblas_syrkx_herkx_small_kernelIl19rocblas_complex_numIfELi16ELb0ELb1ELc78ELc85EKPKS1_KPS1_EviT_T0_PT6_S7_lSA_S7_lS8_PT7_S7_li,"axG",@progbits,_ZL32rocblas_syrkx_herkx_small_kernelIl19rocblas_complex_numIfELi16ELb0ELb1ELc78ELc85EKPKS1_KPS1_EviT_T0_PT6_S7_lSA_S7_lS8_PT7_S7_li,comdat
.Lfunc_end1755:
	.size	_ZL32rocblas_syrkx_herkx_small_kernelIl19rocblas_complex_numIfELi16ELb0ELb1ELc78ELc85EKPKS1_KPS1_EviT_T0_PT6_S7_lSA_S7_lS8_PT7_S7_li, .Lfunc_end1755-_ZL32rocblas_syrkx_herkx_small_kernelIl19rocblas_complex_numIfELi16ELb0ELb1ELc78ELc85EKPKS1_KPS1_EviT_T0_PT6_S7_lSA_S7_lS8_PT7_S7_li
                                        ; -- End function
	.section	.AMDGPU.csdata,"",@progbits
; Kernel info:
; codeLenInByte = 1628
; NumSgprs: 26
; NumVgprs: 70
; ScratchSize: 0
; MemoryBound: 1
; FloatMode: 240
; IeeeMode: 1
; LDSByteSize: 4096 bytes/workgroup (compile time only)
; SGPRBlocks: 3
; VGPRBlocks: 8
; NumSGPRsForWavesPerEU: 26
; NumVGPRsForWavesPerEU: 70
; Occupancy: 16
; WaveLimiterHint : 1
; COMPUTE_PGM_RSRC2:SCRATCH_EN: 0
; COMPUTE_PGM_RSRC2:USER_SGPR: 13
; COMPUTE_PGM_RSRC2:TRAP_HANDLER: 0
; COMPUTE_PGM_RSRC2:TGID_X_EN: 1
; COMPUTE_PGM_RSRC2:TGID_Y_EN: 1
; COMPUTE_PGM_RSRC2:TGID_Z_EN: 1
; COMPUTE_PGM_RSRC2:TIDIG_COMP_CNT: 1
	.section	.text._ZL34rocblas_syrkx_herkx_general_kernelIl19rocblas_complex_numIfELi16ELi32ELi8ELb1ELb1ELc84ELc76EKPKS1_KPS1_EviT_T0_PT8_S7_lSA_S7_lS8_PT9_S7_li,"axG",@progbits,_ZL34rocblas_syrkx_herkx_general_kernelIl19rocblas_complex_numIfELi16ELi32ELi8ELb1ELb1ELc84ELc76EKPKS1_KPS1_EviT_T0_PT8_S7_lSA_S7_lS8_PT9_S7_li,comdat
	.globl	_ZL34rocblas_syrkx_herkx_general_kernelIl19rocblas_complex_numIfELi16ELi32ELi8ELb1ELb1ELc84ELc76EKPKS1_KPS1_EviT_T0_PT8_S7_lSA_S7_lS8_PT9_S7_li ; -- Begin function _ZL34rocblas_syrkx_herkx_general_kernelIl19rocblas_complex_numIfELi16ELi32ELi8ELb1ELb1ELc84ELc76EKPKS1_KPS1_EviT_T0_PT8_S7_lSA_S7_lS8_PT9_S7_li
	.p2align	8
	.type	_ZL34rocblas_syrkx_herkx_general_kernelIl19rocblas_complex_numIfELi16ELi32ELi8ELb1ELb1ELc84ELc76EKPKS1_KPS1_EviT_T0_PT8_S7_lSA_S7_lS8_PT9_S7_li,@function
_ZL34rocblas_syrkx_herkx_general_kernelIl19rocblas_complex_numIfELi16ELi32ELi8ELb1ELb1ELc84ELc76EKPKS1_KPS1_EviT_T0_PT8_S7_lSA_S7_lS8_PT9_S7_li: ; @_ZL34rocblas_syrkx_herkx_general_kernelIl19rocblas_complex_numIfELi16ELi32ELi8ELb1ELb1ELc84ELc76EKPKS1_KPS1_EviT_T0_PT8_S7_lSA_S7_lS8_PT9_S7_li
; %bb.0:
	s_clause 0x1
	s_load_b128 s[16:19], s[0:1], 0x50
	s_load_b256 s[4:11], s[0:1], 0x8
	s_mov_b32 s2, s15
	s_mov_b32 s3, 0
	v_dual_mov_b32 v21, 0 :: v_dual_and_b32 v6, 0x3ff, v0
	s_lshl_b64 s[20:21], s[2:3], 3
	v_bfe_u32 v7, v0, 10, 10
	v_dual_mov_b32 v20, 0 :: v_dual_mov_b32 v19, 0
	v_dual_mov_b32 v18, 0 :: v_dual_mov_b32 v17, 0
	;; [unrolled: 1-line block ×3, first 2 shown]
	v_mov_b32_e32 v14, 0
	s_waitcnt lgkmcnt(0)
	s_add_u32 s2, s16, s20
	s_addc_u32 s3, s17, s21
	s_load_b32 s12, s[0:1], 0x0
	s_load_b64 s[16:17], s[2:3], 0x0
	v_cmp_lt_i64_e64 s2, s[4:5], 1
	s_lshl_b32 s13, s13, 5
	s_lshl_b32 s14, s14, 5
	s_delay_alu instid0(VALU_DEP_1)
	s_and_b32 vcc_lo, exec_lo, s2
	s_cbranch_vccnz .LBB1756_11
; %bb.1:
	s_load_b128 s[0:3], s[0:1], 0x30
	v_lshl_add_u32 v0, v7, 4, v6
	v_and_b32_e32 v8, 7, v6
	v_dual_mov_b32 v20, 0 :: v_dual_mov_b32 v19, 0
	v_mov_b32_e32 v21, 0
	s_delay_alu instid0(VALU_DEP_4) | instskip(SKIP_3) | instid1(VALU_DEP_4)
	v_lshrrev_b32_e32 v5, 3, v0
	v_and_b32_e32 v1, 31, v0
	v_lshrrev_b32_e32 v9, 5, v0
	v_lshlrev_b32_e32 v14, 3, v8
	v_dual_mov_b32 v18, 0 :: v_dual_add_nc_u32 v11, s14, v5
	s_delay_alu instid0(VALU_DEP_4)
	v_add_nc_u32_e32 v0, s13, v1
	v_or_b32_e32 v10, s13, v1
	v_lshlrev_b32_e32 v12, 3, v1
	v_lshl_or_b32 v5, v5, 6, v14
	v_ashrrev_i32_e32 v3, 31, v11
	v_ashrrev_i32_e32 v4, 31, v0
	s_waitcnt lgkmcnt(0)
	v_cmp_gt_i32_e32 vcc_lo, s12, v10
	v_lshl_or_b32 v10, v9, 8, v12
	v_mul_lo_u32 v17, s3, v11
	v_mul_lo_u32 v16, s2, v3
	;; [unrolled: 1-line block ×3, first 2 shown]
	v_mad_u64_u32 v[3:4], null, s2, v11, 0
	s_add_u32 s0, s0, s20
	s_addc_u32 s1, s1, s21
	s_add_u32 s8, s8, s20
	s_addc_u32 s9, s9, s21
	v_lshlrev_b32_e32 v12, 3, v6
	s_mov_b64 s[2:3], 0
	s_delay_alu instid0(VALU_DEP_2)
	v_add3_u32 v4, v4, v16, v17
	v_mov_b32_e32 v17, 0
	v_mul_lo_u32 v13, s11, v0
	v_mad_u64_u32 v[1:2], null, s10, v0, 0
	s_load_b64 s[10:11], s[0:1], 0x0
	s_load_b64 s[8:9], s[8:9], 0x0
	v_cmp_gt_i32_e64 s0, s12, v11
	v_dual_mov_b32 v16, 0 :: v_dual_add_nc_u32 v11, 0x800, v5
	v_lshlrev_b32_e32 v5, 3, v9
	v_lshlrev_b64 v[3:4], 3, v[3:4]
	v_add3_u32 v2, v2, v15, v13
	v_mov_b32_e32 v0, 0
	v_lshl_add_u32 v13, v7, 6, 0x800
	s_xor_b32 s0, s0, -1
	s_delay_alu instid0(VALU_DEP_3) | instskip(NEXT) | instid1(VALU_DEP_1)
	v_lshlrev_b64 v[1:2], 3, v[1:2]
	v_add_co_u32 v1, s1, v1, v5
	s_delay_alu instid0(VALU_DEP_1) | instskip(SKIP_1) | instid1(VALU_DEP_1)
	v_add_co_ci_u32_e64 v5, s1, 0, v2, s1
	v_add_co_u32 v14, s1, v3, v14
	v_add_co_ci_u32_e64 v15, s1, 0, v4, s1
	s_waitcnt lgkmcnt(0)
	v_add_co_u32 v2, s1, s8, v1
	s_delay_alu instid0(VALU_DEP_1) | instskip(SKIP_1) | instid1(VALU_DEP_1)
	v_add_co_ci_u32_e64 v3, s1, s9, v5, s1
	v_add_co_u32 v4, s1, s10, v14
	v_add_co_ci_u32_e64 v5, s1, s11, v15, s1
	v_dual_mov_b32 v15, 0 :: v_dual_mov_b32 v14, 0
	s_xor_b32 s1, vcc_lo, -1
	s_branch .LBB1756_3
.LBB1756_2:                             ;   in Loop: Header=BB1756_3 Depth=1
	s_or_b32 exec_lo, exec_lo, s8
	s_waitcnt lgkmcnt(0)
	s_barrier
	buffer_gl0_inv
	ds_load_2addr_b64 v[22:25], v12 offset1:16
	ds_load_b128 v[26:29], v13
	ds_load_b128 v[30:33], v13 offset:1024
	ds_load_b128 v[34:37], v13 offset:16
	;; [unrolled: 1-line block ×4, first 2 shown]
	ds_load_2addr_b64 v[46:49], v12 offset0:32 offset1:48
	ds_load_b128 v[50:53], v13 offset:1040
	s_add_u32 s2, s2, 8
	s_addc_u32 s3, s3, 0
	v_add_co_u32 v2, vcc_lo, v2, 64
	v_cmp_ge_i64_e64 s8, s[2:3], s[4:5]
	v_add_co_ci_u32_e32 v3, vcc_lo, 0, v3, vcc_lo
	v_add_co_u32 v4, vcc_lo, v4, 64
	v_add_co_ci_u32_e32 v5, vcc_lo, 0, v5, vcc_lo
	s_delay_alu instid0(VALU_DEP_4)
	s_and_b32 vcc_lo, exec_lo, s8
	s_waitcnt lgkmcnt(6)
	v_dual_mul_f32 v1, v27, v23 :: v_dual_mul_f32 v56, v26, v25
	v_dual_mul_f32 v54, v26, v23 :: v_dual_mul_f32 v55, v27, v25
	s_waitcnt lgkmcnt(5)
	v_mul_f32_e32 v58, v31, v25
	s_delay_alu instid0(VALU_DEP_3) | instskip(SKIP_3) | instid1(VALU_DEP_4)
	v_fma_f32 v1, v26, v22, -v1
	v_dual_mul_f32 v25, v30, v25 :: v_dual_fmac_f32 v56, v27, v24
	v_fmac_f32_e32 v54, v27, v22
	v_fma_f32 v26, v26, v24, -v55
	v_add_f32_e32 v1, v20, v1
	v_mul_f32_e32 v57, v31, v23
	s_delay_alu instid0(VALU_DEP_4) | instskip(SKIP_2) | instid1(VALU_DEP_4)
	v_dual_mul_f32 v23, v30, v23 :: v_dual_add_f32 v20, v21, v54
	v_fmac_f32_e32 v25, v31, v24
	v_dual_add_f32 v21, v18, v26 :: v_dual_add_f32 v26, v19, v56
	v_fma_f32 v27, v30, v22, -v57
	s_delay_alu instid0(VALU_DEP_4) | instskip(SKIP_3) | instid1(VALU_DEP_2)
	v_fmac_f32_e32 v23, v31, v22
	v_fma_f32 v22, v30, v24, -v58
	s_waitcnt lgkmcnt(1)
	v_mul_f32_e32 v30, v29, v47
	v_dual_add_f32 v27, v16, v27 :: v_dual_add_f32 v14, v14, v22
	v_dual_mul_f32 v22, v28, v47 :: v_dual_add_f32 v15, v15, v25
	v_mul_f32_e32 v25, v28, v49
	s_delay_alu instid0(VALU_DEP_4) | instskip(NEXT) | instid1(VALU_DEP_3)
	v_fma_f32 v24, v28, v46, -v30
	v_fmac_f32_e32 v22, v29, v46
	v_add_f32_e32 v23, v17, v23
	ds_load_2addr_b64 v[16:19], v12 offset0:64 offset1:80
	v_mul_f32_e32 v30, v29, v49
	v_fmac_f32_e32 v25, v29, v48
	v_add_f32_e32 v1, v1, v24
	s_delay_alu instid0(VALU_DEP_2) | instskip(SKIP_1) | instid1(VALU_DEP_1)
	v_add_f32_e32 v25, v26, v25
	v_mul_f32_e32 v26, v32, v49
	v_fmac_f32_e32 v26, v33, v48
	s_waitcnt lgkmcnt(0)
	s_delay_alu instid0(VALU_DEP_1) | instskip(SKIP_1) | instid1(VALU_DEP_2)
	v_dual_add_f32 v26, v15, v26 :: v_dual_mul_f32 v29, v34, v17
	v_mul_f32_e32 v15, v34, v19
	v_fmac_f32_e32 v29, v35, v16
	v_fma_f32 v24, v28, v48, -v30
	v_mul_f32_e32 v28, v33, v47
	v_add_f32_e32 v30, v20, v22
	v_mul_f32_e32 v20, v32, v47
	v_mul_f32_e32 v22, v33, v49
	v_add_f32_e32 v24, v21, v24
	v_fma_f32 v21, v32, v46, -v28
	s_delay_alu instid0(VALU_DEP_4) | instskip(SKIP_1) | instid1(VALU_DEP_3)
	v_dual_add_f32 v29, v30, v29 :: v_dual_fmac_f32 v20, v33, v46
	v_fmac_f32_e32 v15, v35, v18
	v_add_f32_e32 v27, v27, v21
	v_fma_f32 v21, v32, v48, -v22
	v_mul_f32_e32 v22, v35, v17
	v_mul_f32_e32 v32, v35, v19
	v_add_f32_e32 v28, v23, v20
	s_delay_alu instid0(VALU_DEP_4) | instskip(NEXT) | instid1(VALU_DEP_4)
	v_add_f32_e32 v14, v14, v21
	v_fma_f32 v31, v34, v16, -v22
	ds_load_2addr_b64 v[20:23], v12 offset0:96 offset1:112
	v_add_f32_e32 v1, v1, v31
	v_fma_f32 v31, v34, v18, -v32
	s_delay_alu instid0(VALU_DEP_1) | instskip(SKIP_3) | instid1(VALU_DEP_3)
	v_add_f32_e32 v24, v24, v31
	v_mul_f32_e32 v31, v51, v19
	v_mul_f32_e32 v19, v50, v19
	v_add_f32_e32 v32, v25, v15
	v_fma_f32 v15, v50, v18, -v31
	s_delay_alu instid0(VALU_DEP_3)
	v_fmac_f32_e32 v19, v51, v18
	v_mul_f32_e32 v30, v51, v17
	v_mul_f32_e32 v17, v50, v17
	s_waitcnt lgkmcnt(0)
	v_dual_mul_f32 v18, v37, v21 :: v_dual_add_f32 v31, v14, v15
	v_add_f32_e32 v33, v26, v19
	v_fma_f32 v30, v50, v16, -v30
	v_fmac_f32_e32 v17, v51, v16
	s_delay_alu instid0(VALU_DEP_4) | instskip(SKIP_1) | instid1(VALU_DEP_4)
	v_fma_f32 v18, v36, v20, -v18
	v_mul_f32_e32 v25, v36, v21
	v_dual_mul_f32 v19, v36, v23 :: v_dual_add_f32 v30, v27, v30
	s_delay_alu instid0(VALU_DEP_4) | instskip(SKIP_4) | instid1(VALU_DEP_2)
	v_add_f32_e32 v28, v28, v17
	ds_load_2addr_b64 v[14:17], v12 offset0:128 offset1:144
	v_add_f32_e32 v1, v1, v18
	v_mul_f32_e32 v18, v53, v21
	v_fmac_f32_e32 v19, v37, v22
	v_fma_f32 v18, v52, v20, -v18
	v_mul_f32_e32 v27, v37, v23
	s_delay_alu instid0(VALU_DEP_1) | instskip(NEXT) | instid1(VALU_DEP_3)
	v_fma_f32 v26, v36, v22, -v27
	v_add_f32_e32 v36, v30, v18
	s_waitcnt lgkmcnt(0)
	s_delay_alu instid0(VALU_DEP_2) | instskip(SKIP_2) | instid1(VALU_DEP_3)
	v_dual_add_f32 v35, v24, v26 :: v_dual_mul_f32 v46, v38, v15
	v_dual_fmac_f32 v25, v37, v20 :: v_dual_add_f32 v32, v32, v19
	v_mul_f32_e32 v18, v39, v15
	v_fmac_f32_e32 v46, v39, v14
	s_delay_alu instid0(VALU_DEP_3)
	v_add_f32_e32 v34, v29, v25
	v_mul_f32_e32 v29, v53, v23
	v_mul_f32_e32 v23, v52, v23
	ds_load_b128 v[24:27], v13 offset:1056
	v_add_f32_e32 v34, v34, v46
	v_fma_f32 v19, v52, v22, -v29
	v_mul_f32_e32 v21, v52, v21
	v_fmac_f32_e32 v23, v53, v22
	v_mul_f32_e32 v29, v39, v17
	s_delay_alu instid0(VALU_DEP_3) | instskip(NEXT) | instid1(VALU_DEP_3)
	v_dual_add_f32 v22, v31, v19 :: v_dual_fmac_f32 v21, v53, v20
	v_add_f32_e32 v23, v33, v23
	s_delay_alu instid0(VALU_DEP_2) | instskip(SKIP_4) | instid1(VALU_DEP_2)
	v_add_f32_e32 v37, v28, v21
	v_fma_f32 v28, v38, v14, -v18
	ds_load_2addr_b64 v[18:21], v12 offset0:160 offset1:176
	v_mul_f32_e32 v33, v38, v17
	v_fma_f32 v38, v38, v16, -v29
	v_fmac_f32_e32 v33, v39, v16
	s_delay_alu instid0(VALU_DEP_1)
	v_dual_add_f32 v35, v35, v38 :: v_dual_add_f32 v32, v32, v33
	v_add_f32_e32 v1, v1, v28
	ds_load_b128 v[28:31], v13 offset:1072
	s_waitcnt lgkmcnt(2)
	v_mul_f32_e32 v47, v25, v15
	v_mul_f32_e32 v15, v24, v15
	v_mul_f32_e32 v39, v25, v17
	v_mul_f32_e32 v33, v24, v17
	s_delay_alu instid0(VALU_DEP_4) | instskip(NEXT) | instid1(VALU_DEP_4)
	v_fma_f32 v38, v24, v14, -v47
	v_fmac_f32_e32 v15, v25, v14
	s_delay_alu instid0(VALU_DEP_4)
	v_fma_f32 v14, v24, v16, -v39
	s_waitcnt lgkmcnt(1)
	v_mul_f32_e32 v17, v41, v19
	v_dual_fmac_f32 v33, v25, v16 :: v_dual_add_f32 v36, v36, v38
	v_add_f32_e32 v24, v37, v15
	v_add_f32_e32 v22, v22, v14
	s_delay_alu instid0(VALU_DEP_4) | instskip(SKIP_2) | instid1(VALU_DEP_1)
	v_fma_f32 v37, v40, v18, -v17
	ds_load_2addr_b64 v[14:17], v12 offset0:192 offset1:208
	v_dual_mul_f32 v25, v40, v19 :: v_dual_mul_f32 v38, v41, v21
	v_fmac_f32_e32 v25, v41, v18
	s_delay_alu instid0(VALU_DEP_1) | instskip(SKIP_4) | instid1(VALU_DEP_3)
	v_add_f32_e32 v34, v34, v25
	v_add_f32_e32 v33, v23, v33
	v_mul_f32_e32 v23, v40, v21
	v_mul_f32_e32 v25, v27, v19
	;; [unrolled: 1-line block ×3, first 2 shown]
	v_fmac_f32_e32 v23, v41, v20
	s_delay_alu instid0(VALU_DEP_3) | instskip(NEXT) | instid1(VALU_DEP_2)
	v_fma_f32 v25, v26, v18, -v25
	v_dual_fmac_f32 v19, v27, v18 :: v_dual_add_f32 v18, v32, v23
	s_waitcnt lgkmcnt(0)
	v_dual_mul_f32 v32, v43, v15 :: v_dual_add_f32 v1, v1, v37
	v_fma_f32 v37, v40, v20, -v38
	s_delay_alu instid0(VALU_DEP_3) | instskip(NEXT) | instid1(VALU_DEP_3)
	v_add_f32_e32 v19, v24, v19
	v_fma_f32 v32, v42, v14, -v32
	s_delay_alu instid0(VALU_DEP_1) | instskip(NEXT) | instid1(VALU_DEP_4)
	v_add_f32_e32 v1, v1, v32
	v_add_f32_e32 v35, v35, v37
	v_mul_f32_e32 v37, v27, v21
	v_dual_mul_f32 v21, v26, v21 :: v_dual_mul_f32 v32, v29, v15
	s_delay_alu instid0(VALU_DEP_2) | instskip(NEXT) | instid1(VALU_DEP_2)
	v_fma_f32 v23, v26, v20, -v37
	v_dual_add_f32 v26, v36, v25 :: v_dual_fmac_f32 v21, v27, v20
	v_mul_f32_e32 v27, v42, v15
	v_mul_f32_e32 v15, v28, v15
	s_delay_alu instid0(VALU_DEP_4)
	v_add_f32_e32 v20, v22, v23
	ds_load_2addr_b64 v[22:25], v12 offset0:224 offset1:240
	v_fma_f32 v32, v28, v14, -v32
	v_dual_fmac_f32 v27, v43, v14 :: v_dual_mul_f32 v36, v42, v17
	v_fmac_f32_e32 v15, v29, v14
	s_waitcnt lgkmcnt(0)
	s_delay_alu instid0(VALU_DEP_3) | instskip(NEXT) | instid1(VALU_DEP_3)
	v_add_f32_e32 v14, v26, v32
	v_dual_add_f32 v27, v34, v27 :: v_dual_fmac_f32 v36, v43, v16
	s_delay_alu instid0(VALU_DEP_3)
	v_dual_mul_f32 v34, v29, v17 :: v_dual_add_f32 v15, v19, v15
	s_barrier
	buffer_gl0_inv
	v_mul_f32_e32 v26, v45, v23
	v_add_f32_e32 v21, v33, v21
	v_mul_f32_e32 v33, v43, v17
	v_mul_f32_e32 v17, v28, v17
	;; [unrolled: 1-line block ×3, first 2 shown]
	s_delay_alu instid0(VALU_DEP_3) | instskip(NEXT) | instid1(VALU_DEP_3)
	v_fma_f32 v33, v42, v16, -v33
	v_fmac_f32_e32 v17, v29, v16
	s_delay_alu instid0(VALU_DEP_3) | instskip(NEXT) | instid1(VALU_DEP_3)
	v_fmac_f32_e32 v19, v45, v24
	v_add_f32_e32 v33, v35, v33
	v_add_f32_e32 v35, v18, v36
	v_fma_f32 v18, v28, v16, -v34
	v_fma_f32 v16, v44, v22, -v26
	v_mul_f32_e32 v28, v44, v23
	v_dual_add_f32 v26, v21, v17 :: v_dual_mul_f32 v17, v30, v23
	s_delay_alu instid0(VALU_DEP_4) | instskip(NEXT) | instid1(VALU_DEP_4)
	v_dual_add_f32 v29, v20, v18 :: v_dual_mul_f32 v18, v45, v25
	v_add_f32_e32 v20, v1, v16
	v_mul_f32_e32 v16, v31, v23
	v_mul_f32_e32 v23, v31, v25
	;; [unrolled: 1-line block ×3, first 2 shown]
	v_fma_f32 v1, v44, v24, -v18
	v_fmac_f32_e32 v28, v45, v22
	v_fmac_f32_e32 v17, v31, v22
	v_add_f32_e32 v19, v35, v19
	s_delay_alu instid0(VALU_DEP_4)
	v_dual_fmac_f32 v25, v31, v24 :: v_dual_add_f32 v18, v33, v1
	v_fma_f32 v1, v30, v22, -v16
	v_fma_f32 v22, v30, v24, -v23
	v_add_f32_e32 v21, v27, v28
	v_add_f32_e32 v17, v15, v17
	v_add_f32_e32 v15, v26, v25
	v_add_f32_e32 v16, v14, v1
	v_add_f32_e32 v14, v29, v22
	s_cbranch_vccnz .LBB1756_11
.LBB1756_3:                             ; =>This Inner Loop Header: Depth=1
	v_add_co_u32 v22, s8, v9, s2
	s_delay_alu instid0(VALU_DEP_1) | instskip(NEXT) | instid1(VALU_DEP_1)
	v_add_co_ci_u32_e64 v23, null, 0, s3, s8
	v_cmp_le_i64_e32 vcc_lo, s[4:5], v[22:23]
	s_or_b32 s8, s1, vcc_lo
	s_delay_alu instid0(SALU_CYCLE_1) | instskip(NEXT) | instid1(SALU_CYCLE_1)
	s_and_saveexec_b32 s9, s8
	s_xor_b32 s8, exec_lo, s9
	s_cbranch_execz .LBB1756_5
; %bb.4:                                ;   in Loop: Header=BB1756_3 Depth=1
	v_mov_b32_e32 v1, v0
	ds_store_b64 v10, v[0:1]
.LBB1756_5:                             ;   in Loop: Header=BB1756_3 Depth=1
	s_and_not1_saveexec_b32 s8, s8
	s_cbranch_execz .LBB1756_7
; %bb.6:                                ;   in Loop: Header=BB1756_3 Depth=1
	global_load_b64 v[22:23], v[2:3], off
	s_waitcnt vmcnt(0)
	ds_store_b64 v10, v[22:23]
.LBB1756_7:                             ;   in Loop: Header=BB1756_3 Depth=1
	s_or_b32 exec_lo, exec_lo, s8
	v_add_co_u32 v22, s8, v8, s2
	s_delay_alu instid0(VALU_DEP_1) | instskip(NEXT) | instid1(VALU_DEP_1)
	v_add_co_ci_u32_e64 v23, null, 0, s3, s8
	v_cmp_le_i64_e32 vcc_lo, s[4:5], v[22:23]
	s_or_b32 s8, vcc_lo, s0
	s_delay_alu instid0(SALU_CYCLE_1) | instskip(NEXT) | instid1(SALU_CYCLE_1)
	s_and_saveexec_b32 s9, s8
	s_xor_b32 s8, exec_lo, s9
	s_cbranch_execz .LBB1756_9
; %bb.8:                                ;   in Loop: Header=BB1756_3 Depth=1
	v_mov_b32_e32 v1, v0
	ds_store_b64 v11, v[0:1]
.LBB1756_9:                             ;   in Loop: Header=BB1756_3 Depth=1
	s_and_not1_saveexec_b32 s8, s8
	s_cbranch_execz .LBB1756_2
; %bb.10:                               ;   in Loop: Header=BB1756_3 Depth=1
	global_load_b64 v[22:23], v[4:5], off
	s_waitcnt vmcnt(0)
	ds_store_b64 v11, v[22:23]
	s_branch .LBB1756_2
.LBB1756_11:
	v_add_nc_u32_e32 v5, s14, v7
	s_delay_alu instid0(VALU_DEP_1) | instskip(SKIP_2) | instid1(VALU_DEP_3)
	v_ashrrev_i32_e32 v0, 31, v5
	v_mul_lo_u32 v3, v5, s19
	v_mad_u64_u32 v[1:2], null, v5, s18, 0
	v_mul_lo_u32 v0, v0, s18
	s_delay_alu instid0(VALU_DEP_1) | instskip(SKIP_1) | instid1(VALU_DEP_2)
	v_add3_u32 v2, v2, v3, v0
	v_add_nc_u32_e32 v0, s13, v6
	v_lshlrev_b64 v[1:2], 3, v[1:2]
	s_delay_alu instid0(VALU_DEP_2) | instskip(SKIP_2) | instid1(VALU_DEP_3)
	v_cmp_le_i32_e64 s0, v5, v0
	s_waitcnt lgkmcnt(0)
	v_cmp_gt_i32_e32 vcc_lo, s12, v0
	v_add_co_u32 v4, s1, s16, v1
	s_delay_alu instid0(VALU_DEP_1) | instskip(SKIP_1) | instid1(SALU_CYCLE_1)
	v_add_co_ci_u32_e64 v6, s1, s17, v2, s1
	s_and_b32 s0, s0, vcc_lo
	s_and_saveexec_b32 s1, s0
	s_cbranch_execz .LBB1756_14
; %bb.12:
	v_ashrrev_i32_e32 v1, 31, v0
	v_mul_f32_e32 v8, s6, v21
	v_mul_f32_e32 v3, s7, v21
	s_delay_alu instid0(VALU_DEP_3) | instskip(NEXT) | instid1(VALU_DEP_3)
	v_lshlrev_b64 v[1:2], 3, v[0:1]
	v_fmac_f32_e32 v8, s7, v20
	s_delay_alu instid0(VALU_DEP_3) | instskip(NEXT) | instid1(VALU_DEP_3)
	v_fma_f32 v7, v20, s6, -v3
	v_add_co_u32 v1, s0, v4, v1
	s_delay_alu instid0(VALU_DEP_1)
	v_add_co_ci_u32_e64 v2, s0, v6, v2, s0
	v_cmp_eq_u32_e64 s0, v5, v0
	global_store_b64 v[1:2], v[7:8], off
	s_and_b32 exec_lo, exec_lo, s0
	s_cbranch_execz .LBB1756_14
; %bb.13:
	v_mov_b32_e32 v3, 0
	global_store_b32 v[1:2], v3, off offset:4
.LBB1756_14:
	s_or_b32 exec_lo, exec_lo, s1
	v_add_nc_u32_e32 v2, 16, v0
	s_delay_alu instid0(VALU_DEP_1) | instskip(SKIP_1) | instid1(VALU_DEP_1)
	v_cmp_le_i32_e64 s1, v5, v2
	v_cmp_gt_i32_e64 s0, s12, v2
	s_and_b32 s1, s1, s0
	s_delay_alu instid0(SALU_CYCLE_1)
	s_and_saveexec_b32 s2, s1
	s_cbranch_execz .LBB1756_17
; %bb.15:
	v_ashrrev_i32_e32 v3, 31, v2
	v_mul_f32_e32 v8, s6, v19
	v_mul_f32_e32 v1, s7, v19
	s_delay_alu instid0(VALU_DEP_3) | instskip(NEXT) | instid1(VALU_DEP_3)
	v_lshlrev_b64 v[9:10], 3, v[2:3]
	v_fmac_f32_e32 v8, s7, v18
	s_delay_alu instid0(VALU_DEP_3) | instskip(NEXT) | instid1(VALU_DEP_3)
	v_fma_f32 v7, v18, s6, -v1
	v_add_co_u32 v3, s1, v4, v9
	s_delay_alu instid0(VALU_DEP_1)
	v_add_co_ci_u32_e64 v4, s1, v6, v10, s1
	v_cmp_eq_u32_e64 s1, v5, v2
	global_store_b64 v[3:4], v[7:8], off
	s_and_b32 exec_lo, exec_lo, s1
	s_cbranch_execz .LBB1756_17
; %bb.16:
	v_mov_b32_e32 v1, 0
	global_store_b32 v[3:4], v1, off offset:4
.LBB1756_17:
	s_or_b32 exec_lo, exec_lo, s2
	v_add_nc_u32_e32 v8, 16, v5
	s_delay_alu instid0(VALU_DEP_1) | instskip(SKIP_3) | instid1(VALU_DEP_4)
	v_ashrrev_i32_e32 v1, 31, v8
	v_mul_lo_u32 v6, v8, s19
	v_mad_u64_u32 v[3:4], null, v8, s18, 0
	v_cmp_le_i32_e64 s1, v8, v0
	v_mul_lo_u32 v1, v1, s18
	s_delay_alu instid0(VALU_DEP_1) | instskip(NEXT) | instid1(VALU_DEP_1)
	v_add3_u32 v4, v4, v6, v1
	v_lshlrev_b64 v[3:4], 3, v[3:4]
	s_delay_alu instid0(VALU_DEP_1) | instskip(NEXT) | instid1(VALU_DEP_1)
	v_add_co_u32 v6, s2, s16, v3
	v_add_co_ci_u32_e64 v7, s2, s17, v4, s2
	s_and_b32 s2, s1, vcc_lo
	s_delay_alu instid0(SALU_CYCLE_1)
	s_and_saveexec_b32 s1, s2
	s_cbranch_execz .LBB1756_20
; %bb.18:
	v_ashrrev_i32_e32 v1, 31, v0
	v_mul_f32_e32 v10, s6, v17
	v_mul_f32_e32 v9, s7, v17
	s_delay_alu instid0(VALU_DEP_3) | instskip(NEXT) | instid1(VALU_DEP_3)
	v_lshlrev_b64 v[3:4], 3, v[0:1]
	v_fmac_f32_e32 v10, s7, v16
	s_delay_alu instid0(VALU_DEP_3) | instskip(NEXT) | instid1(VALU_DEP_3)
	v_fma_f32 v9, v16, s6, -v9
	v_add_co_u32 v3, vcc_lo, v6, v3
	s_delay_alu instid0(VALU_DEP_4)
	v_add_co_ci_u32_e32 v4, vcc_lo, v7, v4, vcc_lo
	v_cmp_eq_u32_e32 vcc_lo, v8, v0
	global_store_b64 v[3:4], v[9:10], off
	s_and_b32 exec_lo, exec_lo, vcc_lo
	s_cbranch_execz .LBB1756_20
; %bb.19:
	v_mov_b32_e32 v1, 0
	global_store_b32 v[3:4], v1, off offset:4
.LBB1756_20:
	s_or_b32 exec_lo, exec_lo, s1
	v_cmp_le_i32_e32 vcc_lo, v8, v2
	s_and_b32 s0, vcc_lo, s0
	s_delay_alu instid0(SALU_CYCLE_1)
	s_and_saveexec_b32 s1, s0
	s_cbranch_execz .LBB1756_23
; %bb.21:
	v_ashrrev_i32_e32 v3, 31, v2
	v_mul_f32_e32 v8, s7, v15
	v_mul_f32_e32 v4, s6, v15
	s_delay_alu instid0(VALU_DEP_3) | instskip(NEXT) | instid1(VALU_DEP_3)
	v_lshlrev_b64 v[1:2], 3, v[2:3]
	v_fma_f32 v3, v14, s6, -v8
	s_delay_alu instid0(VALU_DEP_3) | instskip(NEXT) | instid1(VALU_DEP_3)
	v_fmac_f32_e32 v4, s7, v14
	v_add_co_u32 v1, vcc_lo, v6, v1
	s_delay_alu instid0(VALU_DEP_4)
	v_add_co_ci_u32_e32 v2, vcc_lo, v7, v2, vcc_lo
	v_cmp_eq_u32_e32 vcc_lo, v5, v0
	global_store_b64 v[1:2], v[3:4], off
	s_and_b32 exec_lo, exec_lo, vcc_lo
	s_cbranch_execz .LBB1756_23
; %bb.22:
	v_mov_b32_e32 v0, 0
	global_store_b32 v[1:2], v0, off offset:4
.LBB1756_23:
	s_nop 0
	s_sendmsg sendmsg(MSG_DEALLOC_VGPRS)
	s_endpgm
	.section	.rodata,"a",@progbits
	.p2align	6, 0x0
	.amdhsa_kernel _ZL34rocblas_syrkx_herkx_general_kernelIl19rocblas_complex_numIfELi16ELi32ELi8ELb1ELb1ELc84ELc76EKPKS1_KPS1_EviT_T0_PT8_S7_lSA_S7_lS8_PT9_S7_li
		.amdhsa_group_segment_fixed_size 4096
		.amdhsa_private_segment_fixed_size 0
		.amdhsa_kernarg_size 108
		.amdhsa_user_sgpr_count 13
		.amdhsa_user_sgpr_dispatch_ptr 0
		.amdhsa_user_sgpr_queue_ptr 0
		.amdhsa_user_sgpr_kernarg_segment_ptr 1
		.amdhsa_user_sgpr_dispatch_id 0
		.amdhsa_user_sgpr_private_segment_size 0
		.amdhsa_wavefront_size32 1
		.amdhsa_uses_dynamic_stack 0
		.amdhsa_enable_private_segment 0
		.amdhsa_system_sgpr_workgroup_id_x 1
		.amdhsa_system_sgpr_workgroup_id_y 1
		.amdhsa_system_sgpr_workgroup_id_z 1
		.amdhsa_system_sgpr_workgroup_info 0
		.amdhsa_system_vgpr_workitem_id 1
		.amdhsa_next_free_vgpr 59
		.amdhsa_next_free_sgpr 22
		.amdhsa_reserve_vcc 1
		.amdhsa_float_round_mode_32 0
		.amdhsa_float_round_mode_16_64 0
		.amdhsa_float_denorm_mode_32 3
		.amdhsa_float_denorm_mode_16_64 3
		.amdhsa_dx10_clamp 1
		.amdhsa_ieee_mode 1
		.amdhsa_fp16_overflow 0
		.amdhsa_workgroup_processor_mode 1
		.amdhsa_memory_ordered 1
		.amdhsa_forward_progress 0
		.amdhsa_shared_vgpr_count 0
		.amdhsa_exception_fp_ieee_invalid_op 0
		.amdhsa_exception_fp_denorm_src 0
		.amdhsa_exception_fp_ieee_div_zero 0
		.amdhsa_exception_fp_ieee_overflow 0
		.amdhsa_exception_fp_ieee_underflow 0
		.amdhsa_exception_fp_ieee_inexact 0
		.amdhsa_exception_int_div_zero 0
	.end_amdhsa_kernel
	.section	.text._ZL34rocblas_syrkx_herkx_general_kernelIl19rocblas_complex_numIfELi16ELi32ELi8ELb1ELb1ELc84ELc76EKPKS1_KPS1_EviT_T0_PT8_S7_lSA_S7_lS8_PT9_S7_li,"axG",@progbits,_ZL34rocblas_syrkx_herkx_general_kernelIl19rocblas_complex_numIfELi16ELi32ELi8ELb1ELb1ELc84ELc76EKPKS1_KPS1_EviT_T0_PT8_S7_lSA_S7_lS8_PT9_S7_li,comdat
.Lfunc_end1756:
	.size	_ZL34rocblas_syrkx_herkx_general_kernelIl19rocblas_complex_numIfELi16ELi32ELi8ELb1ELb1ELc84ELc76EKPKS1_KPS1_EviT_T0_PT8_S7_lSA_S7_lS8_PT9_S7_li, .Lfunc_end1756-_ZL34rocblas_syrkx_herkx_general_kernelIl19rocblas_complex_numIfELi16ELi32ELi8ELb1ELb1ELc84ELc76EKPKS1_KPS1_EviT_T0_PT8_S7_lSA_S7_lS8_PT9_S7_li
                                        ; -- End function
	.section	.AMDGPU.csdata,"",@progbits
; Kernel info:
; codeLenInByte = 2632
; NumSgprs: 24
; NumVgprs: 59
; ScratchSize: 0
; MemoryBound: 1
; FloatMode: 240
; IeeeMode: 1
; LDSByteSize: 4096 bytes/workgroup (compile time only)
; SGPRBlocks: 2
; VGPRBlocks: 7
; NumSGPRsForWavesPerEU: 24
; NumVGPRsForWavesPerEU: 59
; Occupancy: 16
; WaveLimiterHint : 1
; COMPUTE_PGM_RSRC2:SCRATCH_EN: 0
; COMPUTE_PGM_RSRC2:USER_SGPR: 13
; COMPUTE_PGM_RSRC2:TRAP_HANDLER: 0
; COMPUTE_PGM_RSRC2:TGID_X_EN: 1
; COMPUTE_PGM_RSRC2:TGID_Y_EN: 1
; COMPUTE_PGM_RSRC2:TGID_Z_EN: 1
; COMPUTE_PGM_RSRC2:TIDIG_COMP_CNT: 1
	.section	.text._ZL34rocblas_syrkx_herkx_general_kernelIl19rocblas_complex_numIfELi16ELi32ELi8ELb1ELb1ELc67ELc76EKPKS1_KPS1_EviT_T0_PT8_S7_lSA_S7_lS8_PT9_S7_li,"axG",@progbits,_ZL34rocblas_syrkx_herkx_general_kernelIl19rocblas_complex_numIfELi16ELi32ELi8ELb1ELb1ELc67ELc76EKPKS1_KPS1_EviT_T0_PT8_S7_lSA_S7_lS8_PT9_S7_li,comdat
	.globl	_ZL34rocblas_syrkx_herkx_general_kernelIl19rocblas_complex_numIfELi16ELi32ELi8ELb1ELb1ELc67ELc76EKPKS1_KPS1_EviT_T0_PT8_S7_lSA_S7_lS8_PT9_S7_li ; -- Begin function _ZL34rocblas_syrkx_herkx_general_kernelIl19rocblas_complex_numIfELi16ELi32ELi8ELb1ELb1ELc67ELc76EKPKS1_KPS1_EviT_T0_PT8_S7_lSA_S7_lS8_PT9_S7_li
	.p2align	8
	.type	_ZL34rocblas_syrkx_herkx_general_kernelIl19rocblas_complex_numIfELi16ELi32ELi8ELb1ELb1ELc67ELc76EKPKS1_KPS1_EviT_T0_PT8_S7_lSA_S7_lS8_PT9_S7_li,@function
_ZL34rocblas_syrkx_herkx_general_kernelIl19rocblas_complex_numIfELi16ELi32ELi8ELb1ELb1ELc67ELc76EKPKS1_KPS1_EviT_T0_PT8_S7_lSA_S7_lS8_PT9_S7_li: ; @_ZL34rocblas_syrkx_herkx_general_kernelIl19rocblas_complex_numIfELi16ELi32ELi8ELb1ELb1ELc67ELc76EKPKS1_KPS1_EviT_T0_PT8_S7_lSA_S7_lS8_PT9_S7_li
; %bb.0:
	s_clause 0x1
	s_load_b128 s[16:19], s[0:1], 0x50
	s_load_b256 s[4:11], s[0:1], 0x8
	s_mov_b32 s2, s15
	s_mov_b32 s3, 0
	v_dual_mov_b32 v21, 0 :: v_dual_and_b32 v6, 0x3ff, v0
	s_lshl_b64 s[20:21], s[2:3], 3
	v_bfe_u32 v7, v0, 10, 10
	v_dual_mov_b32 v20, 0 :: v_dual_mov_b32 v19, 0
	v_dual_mov_b32 v18, 0 :: v_dual_mov_b32 v17, 0
	;; [unrolled: 1-line block ×3, first 2 shown]
	v_mov_b32_e32 v14, 0
	s_waitcnt lgkmcnt(0)
	s_add_u32 s2, s16, s20
	s_addc_u32 s3, s17, s21
	s_load_b32 s12, s[0:1], 0x0
	s_load_b64 s[16:17], s[2:3], 0x0
	v_cmp_lt_i64_e64 s2, s[4:5], 1
	s_lshl_b32 s13, s13, 5
	s_lshl_b32 s14, s14, 5
	s_delay_alu instid0(VALU_DEP_1)
	s_and_b32 vcc_lo, exec_lo, s2
	s_cbranch_vccnz .LBB1757_11
; %bb.1:
	s_load_b128 s[0:3], s[0:1], 0x30
	v_lshl_add_u32 v1, v7, 4, v6
	v_and_b32_e32 v8, 7, v6
	v_dual_mov_b32 v0, 0 :: v_dual_lshlrev_b32 v9, 3, v6
	s_delay_alu instid0(VALU_DEP_3) | instskip(SKIP_3) | instid1(VALU_DEP_4)
	v_dual_mov_b32 v21, 0 :: v_dual_and_b32 v2, 31, v1
	v_lshrrev_b32_e32 v3, 3, v1
	v_lshrrev_b32_e32 v11, 5, v1
	v_dual_mov_b32 v19, 0 :: v_dual_lshlrev_b32 v14, 3, v8
	v_add_nc_u32_e32 v4, s13, v2
	s_delay_alu instid0(VALU_DEP_4)
	v_add_nc_u32_e32 v5, s14, v3
	v_or_b32_e32 v12, s13, v2
	v_lshlrev_b32_e32 v13, 3, v2
	v_lshl_add_u32 v10, v7, 6, 0x800
	v_ashrrev_i32_e32 v16, 31, v4
	v_mul_lo_u32 v17, s11, v4
	v_mad_u64_u32 v[1:2], null, s10, v4, 0
	s_waitcnt lgkmcnt(0)
	s_add_u32 s22, s0, s20
	v_mul_lo_u32 v4, s10, v16
	s_addc_u32 s23, s1, s21
	s_add_u32 s0, s8, s20
	s_addc_u32 s1, s9, s21
	v_ashrrev_i32_e32 v15, 31, v5
	s_load_b64 s[8:9], s[0:1], 0x0
	v_lshl_or_b32 v16, v3, 6, v14
	v_mul_lo_u32 v18, s3, v5
	v_add3_u32 v2, v2, v4, v17
	v_mul_lo_u32 v15, s2, v15
	v_mad_u64_u32 v[3:4], null, s2, v5, 0
	s_load_b64 s[2:3], s[22:23], 0x0
	s_delay_alu instid0(VALU_DEP_3)
	v_lshlrev_b64 v[1:2], 3, v[1:2]
	v_lshlrev_b32_e32 v17, 3, v11
	v_cmp_gt_i32_e64 s0, s12, v5
	v_cmp_gt_i32_e32 vcc_lo, s12, v12
	v_lshl_or_b32 v12, v11, 8, v13
	v_add3_u32 v4, v4, v15, v18
	v_mov_b32_e32 v18, 0
	v_add_co_u32 v5, s1, v1, v17
	s_delay_alu instid0(VALU_DEP_1) | instskip(NEXT) | instid1(VALU_DEP_4)
	v_add_co_ci_u32_e64 v15, s1, 0, v2, s1
	v_lshlrev_b64 v[1:2], 3, v[3:4]
	s_waitcnt lgkmcnt(0)
	s_delay_alu instid0(VALU_DEP_3) | instskip(NEXT) | instid1(VALU_DEP_1)
	v_add_co_u32 v3, s1, v5, s8
	v_add_co_ci_u32_e64 v4, s1, s9, v15, s1
	v_dual_mov_b32 v20, 0 :: v_dual_add_nc_u32 v13, 0x800, v16
	s_delay_alu instid0(VALU_DEP_4) | instskip(NEXT) | instid1(VALU_DEP_1)
	v_add_co_u32 v1, s1, v1, v14
	v_add_co_ci_u32_e64 v5, s1, 0, v2, s1
	v_add_co_u32 v2, s1, v3, 4
	s_delay_alu instid0(VALU_DEP_1) | instskip(NEXT) | instid1(VALU_DEP_4)
	v_add_co_ci_u32_e64 v3, s1, 0, v4, s1
	v_add_co_u32 v4, s1, s2, v1
	s_delay_alu instid0(VALU_DEP_1)
	v_add_co_ci_u32_e64 v5, s1, s3, v5, s1
	v_dual_mov_b32 v15, 0 :: v_dual_mov_b32 v14, 0
	v_dual_mov_b32 v17, 0 :: v_dual_mov_b32 v16, 0
	s_mov_b64 s[2:3], 0
	s_xor_b32 s1, vcc_lo, -1
	s_xor_b32 s0, s0, -1
	s_branch .LBB1757_3
.LBB1757_2:                             ;   in Loop: Header=BB1757_3 Depth=1
	s_or_b32 exec_lo, exec_lo, s8
	s_waitcnt lgkmcnt(0)
	s_barrier
	buffer_gl0_inv
	ds_load_2addr_b64 v[22:25], v9 offset1:16
	ds_load_b128 v[26:29], v10
	ds_load_b128 v[30:33], v10 offset:1024
	ds_load_b128 v[34:37], v10 offset:16
	;; [unrolled: 1-line block ×4, first 2 shown]
	ds_load_2addr_b64 v[46:49], v9 offset0:32 offset1:48
	ds_load_b128 v[50:53], v10 offset:1040
	s_add_u32 s2, s2, 8
	s_addc_u32 s3, s3, 0
	v_add_co_u32 v2, vcc_lo, v2, 64
	v_cmp_ge_i64_e64 s8, s[2:3], s[4:5]
	v_add_co_ci_u32_e32 v3, vcc_lo, 0, v3, vcc_lo
	v_add_co_u32 v4, vcc_lo, v4, 64
	v_add_co_ci_u32_e32 v5, vcc_lo, 0, v5, vcc_lo
	s_delay_alu instid0(VALU_DEP_4)
	s_and_b32 vcc_lo, exec_lo, s8
	s_waitcnt lgkmcnt(6)
	v_dual_mul_f32 v1, v27, v23 :: v_dual_mul_f32 v56, v26, v25
	v_dual_mul_f32 v54, v26, v23 :: v_dual_mul_f32 v55, v27, v25
	s_waitcnt lgkmcnt(5)
	v_mul_f32_e32 v58, v31, v25
	s_delay_alu instid0(VALU_DEP_3) | instskip(SKIP_3) | instid1(VALU_DEP_4)
	v_fma_f32 v1, v26, v22, -v1
	v_dual_mul_f32 v25, v30, v25 :: v_dual_fmac_f32 v56, v27, v24
	v_fmac_f32_e32 v54, v27, v22
	v_fma_f32 v26, v26, v24, -v55
	v_add_f32_e32 v1, v20, v1
	v_mul_f32_e32 v57, v31, v23
	s_delay_alu instid0(VALU_DEP_4) | instskip(SKIP_2) | instid1(VALU_DEP_4)
	v_dual_mul_f32 v23, v30, v23 :: v_dual_add_f32 v20, v21, v54
	v_fmac_f32_e32 v25, v31, v24
	v_dual_add_f32 v21, v18, v26 :: v_dual_add_f32 v26, v19, v56
	v_fma_f32 v27, v30, v22, -v57
	s_delay_alu instid0(VALU_DEP_4) | instskip(SKIP_3) | instid1(VALU_DEP_2)
	v_fmac_f32_e32 v23, v31, v22
	v_fma_f32 v22, v30, v24, -v58
	s_waitcnt lgkmcnt(1)
	v_mul_f32_e32 v30, v29, v47
	v_dual_add_f32 v27, v16, v27 :: v_dual_add_f32 v14, v14, v22
	v_dual_mul_f32 v22, v28, v47 :: v_dual_add_f32 v15, v15, v25
	v_mul_f32_e32 v25, v28, v49
	s_delay_alu instid0(VALU_DEP_4) | instskip(NEXT) | instid1(VALU_DEP_3)
	v_fma_f32 v24, v28, v46, -v30
	v_fmac_f32_e32 v22, v29, v46
	v_add_f32_e32 v23, v17, v23
	ds_load_2addr_b64 v[16:19], v9 offset0:64 offset1:80
	v_mul_f32_e32 v30, v29, v49
	v_fmac_f32_e32 v25, v29, v48
	v_add_f32_e32 v1, v1, v24
	s_delay_alu instid0(VALU_DEP_2) | instskip(SKIP_1) | instid1(VALU_DEP_1)
	v_add_f32_e32 v25, v26, v25
	v_mul_f32_e32 v26, v32, v49
	v_fmac_f32_e32 v26, v33, v48
	s_waitcnt lgkmcnt(0)
	s_delay_alu instid0(VALU_DEP_1) | instskip(SKIP_1) | instid1(VALU_DEP_2)
	v_dual_add_f32 v26, v15, v26 :: v_dual_mul_f32 v29, v34, v17
	v_mul_f32_e32 v15, v34, v19
	v_fmac_f32_e32 v29, v35, v16
	v_fma_f32 v24, v28, v48, -v30
	v_mul_f32_e32 v28, v33, v47
	v_add_f32_e32 v30, v20, v22
	v_mul_f32_e32 v20, v32, v47
	v_mul_f32_e32 v22, v33, v49
	v_add_f32_e32 v24, v21, v24
	v_fma_f32 v21, v32, v46, -v28
	s_delay_alu instid0(VALU_DEP_4) | instskip(SKIP_1) | instid1(VALU_DEP_3)
	v_dual_add_f32 v29, v30, v29 :: v_dual_fmac_f32 v20, v33, v46
	v_fmac_f32_e32 v15, v35, v18
	v_add_f32_e32 v27, v27, v21
	v_fma_f32 v21, v32, v48, -v22
	v_mul_f32_e32 v22, v35, v17
	v_mul_f32_e32 v32, v35, v19
	v_add_f32_e32 v28, v23, v20
	s_delay_alu instid0(VALU_DEP_4) | instskip(NEXT) | instid1(VALU_DEP_4)
	v_add_f32_e32 v14, v14, v21
	v_fma_f32 v31, v34, v16, -v22
	ds_load_2addr_b64 v[20:23], v9 offset0:96 offset1:112
	v_add_f32_e32 v1, v1, v31
	v_fma_f32 v31, v34, v18, -v32
	s_delay_alu instid0(VALU_DEP_1) | instskip(SKIP_3) | instid1(VALU_DEP_3)
	v_add_f32_e32 v24, v24, v31
	v_mul_f32_e32 v31, v51, v19
	v_mul_f32_e32 v19, v50, v19
	v_add_f32_e32 v32, v25, v15
	v_fma_f32 v15, v50, v18, -v31
	s_delay_alu instid0(VALU_DEP_3)
	v_fmac_f32_e32 v19, v51, v18
	v_mul_f32_e32 v30, v51, v17
	v_mul_f32_e32 v17, v50, v17
	s_waitcnt lgkmcnt(0)
	v_dual_mul_f32 v18, v37, v21 :: v_dual_add_f32 v31, v14, v15
	v_add_f32_e32 v33, v26, v19
	v_fma_f32 v30, v50, v16, -v30
	v_fmac_f32_e32 v17, v51, v16
	s_delay_alu instid0(VALU_DEP_4) | instskip(SKIP_1) | instid1(VALU_DEP_4)
	v_fma_f32 v18, v36, v20, -v18
	v_mul_f32_e32 v25, v36, v21
	v_dual_mul_f32 v19, v36, v23 :: v_dual_add_f32 v30, v27, v30
	s_delay_alu instid0(VALU_DEP_4) | instskip(SKIP_4) | instid1(VALU_DEP_2)
	v_add_f32_e32 v28, v28, v17
	ds_load_2addr_b64 v[14:17], v9 offset0:128 offset1:144
	v_add_f32_e32 v1, v1, v18
	v_mul_f32_e32 v18, v53, v21
	v_fmac_f32_e32 v19, v37, v22
	v_fma_f32 v18, v52, v20, -v18
	v_mul_f32_e32 v27, v37, v23
	s_delay_alu instid0(VALU_DEP_1) | instskip(NEXT) | instid1(VALU_DEP_3)
	v_fma_f32 v26, v36, v22, -v27
	v_add_f32_e32 v36, v30, v18
	s_waitcnt lgkmcnt(0)
	s_delay_alu instid0(VALU_DEP_2) | instskip(SKIP_2) | instid1(VALU_DEP_3)
	v_dual_add_f32 v35, v24, v26 :: v_dual_mul_f32 v46, v38, v15
	v_dual_fmac_f32 v25, v37, v20 :: v_dual_add_f32 v32, v32, v19
	v_mul_f32_e32 v18, v39, v15
	v_fmac_f32_e32 v46, v39, v14
	s_delay_alu instid0(VALU_DEP_3)
	v_add_f32_e32 v34, v29, v25
	v_mul_f32_e32 v29, v53, v23
	v_mul_f32_e32 v23, v52, v23
	ds_load_b128 v[24:27], v10 offset:1056
	v_add_f32_e32 v34, v34, v46
	v_fma_f32 v19, v52, v22, -v29
	v_mul_f32_e32 v21, v52, v21
	v_fmac_f32_e32 v23, v53, v22
	v_mul_f32_e32 v29, v39, v17
	s_delay_alu instid0(VALU_DEP_3) | instskip(NEXT) | instid1(VALU_DEP_3)
	v_dual_add_f32 v22, v31, v19 :: v_dual_fmac_f32 v21, v53, v20
	v_add_f32_e32 v23, v33, v23
	s_delay_alu instid0(VALU_DEP_2) | instskip(SKIP_4) | instid1(VALU_DEP_2)
	v_add_f32_e32 v37, v28, v21
	v_fma_f32 v28, v38, v14, -v18
	ds_load_2addr_b64 v[18:21], v9 offset0:160 offset1:176
	v_mul_f32_e32 v33, v38, v17
	v_fma_f32 v38, v38, v16, -v29
	v_fmac_f32_e32 v33, v39, v16
	s_delay_alu instid0(VALU_DEP_1)
	v_dual_add_f32 v35, v35, v38 :: v_dual_add_f32 v32, v32, v33
	v_add_f32_e32 v1, v1, v28
	ds_load_b128 v[28:31], v10 offset:1072
	s_waitcnt lgkmcnt(2)
	v_mul_f32_e32 v47, v25, v15
	v_mul_f32_e32 v15, v24, v15
	;; [unrolled: 1-line block ×4, first 2 shown]
	s_delay_alu instid0(VALU_DEP_4) | instskip(NEXT) | instid1(VALU_DEP_4)
	v_fma_f32 v38, v24, v14, -v47
	v_fmac_f32_e32 v15, v25, v14
	s_delay_alu instid0(VALU_DEP_4)
	v_fma_f32 v14, v24, v16, -v39
	s_waitcnt lgkmcnt(1)
	v_mul_f32_e32 v17, v41, v19
	v_dual_fmac_f32 v33, v25, v16 :: v_dual_add_f32 v36, v36, v38
	v_add_f32_e32 v24, v37, v15
	v_add_f32_e32 v22, v22, v14
	s_delay_alu instid0(VALU_DEP_4) | instskip(SKIP_2) | instid1(VALU_DEP_1)
	v_fma_f32 v37, v40, v18, -v17
	ds_load_2addr_b64 v[14:17], v9 offset0:192 offset1:208
	v_dual_mul_f32 v25, v40, v19 :: v_dual_mul_f32 v38, v41, v21
	v_fmac_f32_e32 v25, v41, v18
	s_delay_alu instid0(VALU_DEP_1) | instskip(SKIP_4) | instid1(VALU_DEP_3)
	v_add_f32_e32 v34, v34, v25
	v_add_f32_e32 v33, v23, v33
	v_mul_f32_e32 v23, v40, v21
	v_mul_f32_e32 v25, v27, v19
	;; [unrolled: 1-line block ×3, first 2 shown]
	v_fmac_f32_e32 v23, v41, v20
	s_delay_alu instid0(VALU_DEP_3) | instskip(NEXT) | instid1(VALU_DEP_2)
	v_fma_f32 v25, v26, v18, -v25
	v_dual_fmac_f32 v19, v27, v18 :: v_dual_add_f32 v18, v32, v23
	s_waitcnt lgkmcnt(0)
	v_dual_mul_f32 v32, v43, v15 :: v_dual_add_f32 v1, v1, v37
	v_fma_f32 v37, v40, v20, -v38
	s_delay_alu instid0(VALU_DEP_3) | instskip(NEXT) | instid1(VALU_DEP_3)
	v_add_f32_e32 v19, v24, v19
	v_fma_f32 v32, v42, v14, -v32
	s_delay_alu instid0(VALU_DEP_1) | instskip(NEXT) | instid1(VALU_DEP_4)
	v_add_f32_e32 v1, v1, v32
	v_add_f32_e32 v35, v35, v37
	v_mul_f32_e32 v37, v27, v21
	v_dual_mul_f32 v21, v26, v21 :: v_dual_mul_f32 v32, v29, v15
	s_delay_alu instid0(VALU_DEP_2) | instskip(NEXT) | instid1(VALU_DEP_2)
	v_fma_f32 v23, v26, v20, -v37
	v_dual_add_f32 v26, v36, v25 :: v_dual_fmac_f32 v21, v27, v20
	v_mul_f32_e32 v27, v42, v15
	v_mul_f32_e32 v15, v28, v15
	s_delay_alu instid0(VALU_DEP_4)
	v_add_f32_e32 v20, v22, v23
	ds_load_2addr_b64 v[22:25], v9 offset0:224 offset1:240
	v_fma_f32 v32, v28, v14, -v32
	v_dual_fmac_f32 v27, v43, v14 :: v_dual_mul_f32 v36, v42, v17
	v_fmac_f32_e32 v15, v29, v14
	s_waitcnt lgkmcnt(0)
	s_delay_alu instid0(VALU_DEP_3) | instskip(NEXT) | instid1(VALU_DEP_3)
	v_add_f32_e32 v14, v26, v32
	v_dual_add_f32 v27, v34, v27 :: v_dual_fmac_f32 v36, v43, v16
	s_delay_alu instid0(VALU_DEP_3)
	v_dual_mul_f32 v34, v29, v17 :: v_dual_add_f32 v15, v19, v15
	s_barrier
	buffer_gl0_inv
	v_mul_f32_e32 v26, v45, v23
	v_add_f32_e32 v21, v33, v21
	v_mul_f32_e32 v33, v43, v17
	v_mul_f32_e32 v17, v28, v17
	;; [unrolled: 1-line block ×3, first 2 shown]
	s_delay_alu instid0(VALU_DEP_3) | instskip(NEXT) | instid1(VALU_DEP_3)
	v_fma_f32 v33, v42, v16, -v33
	v_fmac_f32_e32 v17, v29, v16
	s_delay_alu instid0(VALU_DEP_3) | instskip(NEXT) | instid1(VALU_DEP_3)
	v_fmac_f32_e32 v19, v45, v24
	v_add_f32_e32 v33, v35, v33
	v_add_f32_e32 v35, v18, v36
	v_fma_f32 v18, v28, v16, -v34
	v_fma_f32 v16, v44, v22, -v26
	v_mul_f32_e32 v28, v44, v23
	v_dual_add_f32 v26, v21, v17 :: v_dual_mul_f32 v17, v30, v23
	s_delay_alu instid0(VALU_DEP_4) | instskip(NEXT) | instid1(VALU_DEP_4)
	v_dual_add_f32 v29, v20, v18 :: v_dual_mul_f32 v18, v45, v25
	v_add_f32_e32 v20, v1, v16
	v_mul_f32_e32 v16, v31, v23
	v_mul_f32_e32 v23, v31, v25
	v_mul_f32_e32 v25, v30, v25
	v_fma_f32 v1, v44, v24, -v18
	v_fmac_f32_e32 v28, v45, v22
	v_fmac_f32_e32 v17, v31, v22
	v_add_f32_e32 v19, v35, v19
	s_delay_alu instid0(VALU_DEP_4)
	v_dual_fmac_f32 v25, v31, v24 :: v_dual_add_f32 v18, v33, v1
	v_fma_f32 v1, v30, v22, -v16
	v_fma_f32 v22, v30, v24, -v23
	v_add_f32_e32 v21, v27, v28
	v_add_f32_e32 v17, v15, v17
	;; [unrolled: 1-line block ×5, first 2 shown]
	s_cbranch_vccnz .LBB1757_11
.LBB1757_3:                             ; =>This Inner Loop Header: Depth=1
	v_add_co_u32 v22, s8, v11, s2
	s_delay_alu instid0(VALU_DEP_1) | instskip(NEXT) | instid1(VALU_DEP_1)
	v_add_co_ci_u32_e64 v23, null, 0, s3, s8
                                        ; implicit-def: $sgpr9
	v_cmp_le_i64_e32 vcc_lo, s[4:5], v[22:23]
	s_or_b32 s8, s1, vcc_lo
	s_delay_alu instid0(SALU_CYCLE_1) | instskip(NEXT) | instid1(SALU_CYCLE_1)
	s_and_saveexec_b32 s10, s8
	s_xor_b32 s8, exec_lo, s10
	s_cbranch_execz .LBB1757_5
; %bb.4:                                ;   in Loop: Header=BB1757_3 Depth=1
	s_mov_b32 s9, 0
	ds_store_b32 v12, v0
.LBB1757_5:                             ;   in Loop: Header=BB1757_3 Depth=1
	s_or_saveexec_b32 s8, s8
	v_mov_b32_e32 v1, s9
	s_xor_b32 exec_lo, exec_lo, s8
	s_cbranch_execz .LBB1757_7
; %bb.6:                                ;   in Loop: Header=BB1757_3 Depth=1
	global_load_b64 v[22:23], v[2:3], off offset:-4
	s_waitcnt vmcnt(0)
	v_xor_b32_e32 v1, 0x80000000, v23
	ds_store_b32 v12, v22
.LBB1757_7:                             ;   in Loop: Header=BB1757_3 Depth=1
	s_or_b32 exec_lo, exec_lo, s8
	v_add_co_u32 v22, s8, v8, s2
	s_delay_alu instid0(VALU_DEP_1) | instskip(SKIP_3) | instid1(SALU_CYCLE_1)
	v_add_co_ci_u32_e64 v23, null, 0, s3, s8
	ds_store_b32 v12, v1 offset:4
	v_cmp_le_i64_e32 vcc_lo, s[4:5], v[22:23]
	s_or_b32 s8, vcc_lo, s0
	s_and_saveexec_b32 s9, s8
	s_delay_alu instid0(SALU_CYCLE_1)
	s_xor_b32 s8, exec_lo, s9
	s_cbranch_execz .LBB1757_9
; %bb.8:                                ;   in Loop: Header=BB1757_3 Depth=1
	v_mov_b32_e32 v1, v0
	ds_store_b64 v13, v[0:1]
.LBB1757_9:                             ;   in Loop: Header=BB1757_3 Depth=1
	s_and_not1_saveexec_b32 s8, s8
	s_cbranch_execz .LBB1757_2
; %bb.10:                               ;   in Loop: Header=BB1757_3 Depth=1
	global_load_b64 v[22:23], v[4:5], off
	s_waitcnt vmcnt(0)
	ds_store_b64 v13, v[22:23]
	s_branch .LBB1757_2
.LBB1757_11:
	v_add_nc_u32_e32 v5, s14, v7
	s_delay_alu instid0(VALU_DEP_1) | instskip(SKIP_2) | instid1(VALU_DEP_3)
	v_ashrrev_i32_e32 v0, 31, v5
	v_mul_lo_u32 v3, v5, s19
	v_mad_u64_u32 v[1:2], null, v5, s18, 0
	v_mul_lo_u32 v0, v0, s18
	s_delay_alu instid0(VALU_DEP_1) | instskip(SKIP_1) | instid1(VALU_DEP_2)
	v_add3_u32 v2, v2, v3, v0
	v_add_nc_u32_e32 v0, s13, v6
	v_lshlrev_b64 v[1:2], 3, v[1:2]
	s_delay_alu instid0(VALU_DEP_2) | instskip(SKIP_2) | instid1(VALU_DEP_3)
	v_cmp_le_i32_e64 s0, v5, v0
	s_waitcnt lgkmcnt(0)
	v_cmp_gt_i32_e32 vcc_lo, s12, v0
	v_add_co_u32 v4, s1, s16, v1
	s_delay_alu instid0(VALU_DEP_1) | instskip(SKIP_1) | instid1(SALU_CYCLE_1)
	v_add_co_ci_u32_e64 v6, s1, s17, v2, s1
	s_and_b32 s0, s0, vcc_lo
	s_and_saveexec_b32 s1, s0
	s_cbranch_execz .LBB1757_14
; %bb.12:
	v_ashrrev_i32_e32 v1, 31, v0
	v_mul_f32_e32 v8, s6, v21
	v_mul_f32_e32 v3, s7, v21
	s_delay_alu instid0(VALU_DEP_3) | instskip(NEXT) | instid1(VALU_DEP_3)
	v_lshlrev_b64 v[1:2], 3, v[0:1]
	v_fmac_f32_e32 v8, s7, v20
	s_delay_alu instid0(VALU_DEP_3) | instskip(NEXT) | instid1(VALU_DEP_3)
	v_fma_f32 v7, v20, s6, -v3
	v_add_co_u32 v1, s0, v4, v1
	s_delay_alu instid0(VALU_DEP_1)
	v_add_co_ci_u32_e64 v2, s0, v6, v2, s0
	v_cmp_eq_u32_e64 s0, v5, v0
	global_store_b64 v[1:2], v[7:8], off
	s_and_b32 exec_lo, exec_lo, s0
	s_cbranch_execz .LBB1757_14
; %bb.13:
	v_mov_b32_e32 v3, 0
	global_store_b32 v[1:2], v3, off offset:4
.LBB1757_14:
	s_or_b32 exec_lo, exec_lo, s1
	v_add_nc_u32_e32 v2, 16, v0
	s_delay_alu instid0(VALU_DEP_1) | instskip(SKIP_1) | instid1(VALU_DEP_1)
	v_cmp_le_i32_e64 s1, v5, v2
	v_cmp_gt_i32_e64 s0, s12, v2
	s_and_b32 s1, s1, s0
	s_delay_alu instid0(SALU_CYCLE_1)
	s_and_saveexec_b32 s2, s1
	s_cbranch_execz .LBB1757_17
; %bb.15:
	v_ashrrev_i32_e32 v3, 31, v2
	v_mul_f32_e32 v8, s6, v19
	v_mul_f32_e32 v1, s7, v19
	s_delay_alu instid0(VALU_DEP_3) | instskip(NEXT) | instid1(VALU_DEP_3)
	v_lshlrev_b64 v[9:10], 3, v[2:3]
	v_fmac_f32_e32 v8, s7, v18
	s_delay_alu instid0(VALU_DEP_3) | instskip(NEXT) | instid1(VALU_DEP_3)
	v_fma_f32 v7, v18, s6, -v1
	v_add_co_u32 v3, s1, v4, v9
	s_delay_alu instid0(VALU_DEP_1)
	v_add_co_ci_u32_e64 v4, s1, v6, v10, s1
	v_cmp_eq_u32_e64 s1, v5, v2
	global_store_b64 v[3:4], v[7:8], off
	s_and_b32 exec_lo, exec_lo, s1
	s_cbranch_execz .LBB1757_17
; %bb.16:
	v_mov_b32_e32 v1, 0
	global_store_b32 v[3:4], v1, off offset:4
.LBB1757_17:
	s_or_b32 exec_lo, exec_lo, s2
	v_add_nc_u32_e32 v8, 16, v5
	s_delay_alu instid0(VALU_DEP_1) | instskip(SKIP_3) | instid1(VALU_DEP_4)
	v_ashrrev_i32_e32 v1, 31, v8
	v_mul_lo_u32 v6, v8, s19
	v_mad_u64_u32 v[3:4], null, v8, s18, 0
	v_cmp_le_i32_e64 s1, v8, v0
	v_mul_lo_u32 v1, v1, s18
	s_delay_alu instid0(VALU_DEP_1) | instskip(NEXT) | instid1(VALU_DEP_1)
	v_add3_u32 v4, v4, v6, v1
	v_lshlrev_b64 v[3:4], 3, v[3:4]
	s_delay_alu instid0(VALU_DEP_1) | instskip(NEXT) | instid1(VALU_DEP_1)
	v_add_co_u32 v6, s2, s16, v3
	v_add_co_ci_u32_e64 v7, s2, s17, v4, s2
	s_and_b32 s2, s1, vcc_lo
	s_delay_alu instid0(SALU_CYCLE_1)
	s_and_saveexec_b32 s1, s2
	s_cbranch_execz .LBB1757_20
; %bb.18:
	v_ashrrev_i32_e32 v1, 31, v0
	v_mul_f32_e32 v10, s6, v17
	v_mul_f32_e32 v9, s7, v17
	s_delay_alu instid0(VALU_DEP_3) | instskip(NEXT) | instid1(VALU_DEP_3)
	v_lshlrev_b64 v[3:4], 3, v[0:1]
	v_fmac_f32_e32 v10, s7, v16
	s_delay_alu instid0(VALU_DEP_3) | instskip(NEXT) | instid1(VALU_DEP_3)
	v_fma_f32 v9, v16, s6, -v9
	v_add_co_u32 v3, vcc_lo, v6, v3
	s_delay_alu instid0(VALU_DEP_4)
	v_add_co_ci_u32_e32 v4, vcc_lo, v7, v4, vcc_lo
	v_cmp_eq_u32_e32 vcc_lo, v8, v0
	global_store_b64 v[3:4], v[9:10], off
	s_and_b32 exec_lo, exec_lo, vcc_lo
	s_cbranch_execz .LBB1757_20
; %bb.19:
	v_mov_b32_e32 v1, 0
	global_store_b32 v[3:4], v1, off offset:4
.LBB1757_20:
	s_or_b32 exec_lo, exec_lo, s1
	v_cmp_le_i32_e32 vcc_lo, v8, v2
	s_and_b32 s0, vcc_lo, s0
	s_delay_alu instid0(SALU_CYCLE_1)
	s_and_saveexec_b32 s1, s0
	s_cbranch_execz .LBB1757_23
; %bb.21:
	v_ashrrev_i32_e32 v3, 31, v2
	v_mul_f32_e32 v8, s7, v15
	v_mul_f32_e32 v4, s6, v15
	s_delay_alu instid0(VALU_DEP_3) | instskip(NEXT) | instid1(VALU_DEP_3)
	v_lshlrev_b64 v[1:2], 3, v[2:3]
	v_fma_f32 v3, v14, s6, -v8
	s_delay_alu instid0(VALU_DEP_3) | instskip(NEXT) | instid1(VALU_DEP_3)
	v_fmac_f32_e32 v4, s7, v14
	v_add_co_u32 v1, vcc_lo, v6, v1
	s_delay_alu instid0(VALU_DEP_4)
	v_add_co_ci_u32_e32 v2, vcc_lo, v7, v2, vcc_lo
	v_cmp_eq_u32_e32 vcc_lo, v5, v0
	global_store_b64 v[1:2], v[3:4], off
	s_and_b32 exec_lo, exec_lo, vcc_lo
	s_cbranch_execz .LBB1757_23
; %bb.22:
	v_mov_b32_e32 v0, 0
	global_store_b32 v[1:2], v0, off offset:4
.LBB1757_23:
	s_nop 0
	s_sendmsg sendmsg(MSG_DEALLOC_VGPRS)
	s_endpgm
	.section	.rodata,"a",@progbits
	.p2align	6, 0x0
	.amdhsa_kernel _ZL34rocblas_syrkx_herkx_general_kernelIl19rocblas_complex_numIfELi16ELi32ELi8ELb1ELb1ELc67ELc76EKPKS1_KPS1_EviT_T0_PT8_S7_lSA_S7_lS8_PT9_S7_li
		.amdhsa_group_segment_fixed_size 4096
		.amdhsa_private_segment_fixed_size 0
		.amdhsa_kernarg_size 108
		.amdhsa_user_sgpr_count 13
		.amdhsa_user_sgpr_dispatch_ptr 0
		.amdhsa_user_sgpr_queue_ptr 0
		.amdhsa_user_sgpr_kernarg_segment_ptr 1
		.amdhsa_user_sgpr_dispatch_id 0
		.amdhsa_user_sgpr_private_segment_size 0
		.amdhsa_wavefront_size32 1
		.amdhsa_uses_dynamic_stack 0
		.amdhsa_enable_private_segment 0
		.amdhsa_system_sgpr_workgroup_id_x 1
		.amdhsa_system_sgpr_workgroup_id_y 1
		.amdhsa_system_sgpr_workgroup_id_z 1
		.amdhsa_system_sgpr_workgroup_info 0
		.amdhsa_system_vgpr_workitem_id 1
		.amdhsa_next_free_vgpr 59
		.amdhsa_next_free_sgpr 24
		.amdhsa_reserve_vcc 1
		.amdhsa_float_round_mode_32 0
		.amdhsa_float_round_mode_16_64 0
		.amdhsa_float_denorm_mode_32 3
		.amdhsa_float_denorm_mode_16_64 3
		.amdhsa_dx10_clamp 1
		.amdhsa_ieee_mode 1
		.amdhsa_fp16_overflow 0
		.amdhsa_workgroup_processor_mode 1
		.amdhsa_memory_ordered 1
		.amdhsa_forward_progress 0
		.amdhsa_shared_vgpr_count 0
		.amdhsa_exception_fp_ieee_invalid_op 0
		.amdhsa_exception_fp_denorm_src 0
		.amdhsa_exception_fp_ieee_div_zero 0
		.amdhsa_exception_fp_ieee_overflow 0
		.amdhsa_exception_fp_ieee_underflow 0
		.amdhsa_exception_fp_ieee_inexact 0
		.amdhsa_exception_int_div_zero 0
	.end_amdhsa_kernel
	.section	.text._ZL34rocblas_syrkx_herkx_general_kernelIl19rocblas_complex_numIfELi16ELi32ELi8ELb1ELb1ELc67ELc76EKPKS1_KPS1_EviT_T0_PT8_S7_lSA_S7_lS8_PT9_S7_li,"axG",@progbits,_ZL34rocblas_syrkx_herkx_general_kernelIl19rocblas_complex_numIfELi16ELi32ELi8ELb1ELb1ELc67ELc76EKPKS1_KPS1_EviT_T0_PT8_S7_lSA_S7_lS8_PT9_S7_li,comdat
.Lfunc_end1757:
	.size	_ZL34rocblas_syrkx_herkx_general_kernelIl19rocblas_complex_numIfELi16ELi32ELi8ELb1ELb1ELc67ELc76EKPKS1_KPS1_EviT_T0_PT8_S7_lSA_S7_lS8_PT9_S7_li, .Lfunc_end1757-_ZL34rocblas_syrkx_herkx_general_kernelIl19rocblas_complex_numIfELi16ELi32ELi8ELb1ELb1ELc67ELc76EKPKS1_KPS1_EviT_T0_PT8_S7_lSA_S7_lS8_PT9_S7_li
                                        ; -- End function
	.section	.AMDGPU.csdata,"",@progbits
; Kernel info:
; codeLenInByte = 2680
; NumSgprs: 26
; NumVgprs: 59
; ScratchSize: 0
; MemoryBound: 1
; FloatMode: 240
; IeeeMode: 1
; LDSByteSize: 4096 bytes/workgroup (compile time only)
; SGPRBlocks: 3
; VGPRBlocks: 7
; NumSGPRsForWavesPerEU: 26
; NumVGPRsForWavesPerEU: 59
; Occupancy: 16
; WaveLimiterHint : 1
; COMPUTE_PGM_RSRC2:SCRATCH_EN: 0
; COMPUTE_PGM_RSRC2:USER_SGPR: 13
; COMPUTE_PGM_RSRC2:TRAP_HANDLER: 0
; COMPUTE_PGM_RSRC2:TGID_X_EN: 1
; COMPUTE_PGM_RSRC2:TGID_Y_EN: 1
; COMPUTE_PGM_RSRC2:TGID_Z_EN: 1
; COMPUTE_PGM_RSRC2:TIDIG_COMP_CNT: 1
	.section	.text._ZL34rocblas_syrkx_herkx_general_kernelIl19rocblas_complex_numIfELi16ELi32ELi8ELb1ELb1ELc78ELc76EKPKS1_KPS1_EviT_T0_PT8_S7_lSA_S7_lS8_PT9_S7_li,"axG",@progbits,_ZL34rocblas_syrkx_herkx_general_kernelIl19rocblas_complex_numIfELi16ELi32ELi8ELb1ELb1ELc78ELc76EKPKS1_KPS1_EviT_T0_PT8_S7_lSA_S7_lS8_PT9_S7_li,comdat
	.globl	_ZL34rocblas_syrkx_herkx_general_kernelIl19rocblas_complex_numIfELi16ELi32ELi8ELb1ELb1ELc78ELc76EKPKS1_KPS1_EviT_T0_PT8_S7_lSA_S7_lS8_PT9_S7_li ; -- Begin function _ZL34rocblas_syrkx_herkx_general_kernelIl19rocblas_complex_numIfELi16ELi32ELi8ELb1ELb1ELc78ELc76EKPKS1_KPS1_EviT_T0_PT8_S7_lSA_S7_lS8_PT9_S7_li
	.p2align	8
	.type	_ZL34rocblas_syrkx_herkx_general_kernelIl19rocblas_complex_numIfELi16ELi32ELi8ELb1ELb1ELc78ELc76EKPKS1_KPS1_EviT_T0_PT8_S7_lSA_S7_lS8_PT9_S7_li,@function
_ZL34rocblas_syrkx_herkx_general_kernelIl19rocblas_complex_numIfELi16ELi32ELi8ELb1ELb1ELc78ELc76EKPKS1_KPS1_EviT_T0_PT8_S7_lSA_S7_lS8_PT9_S7_li: ; @_ZL34rocblas_syrkx_herkx_general_kernelIl19rocblas_complex_numIfELi16ELi32ELi8ELb1ELb1ELc78ELc76EKPKS1_KPS1_EviT_T0_PT8_S7_lSA_S7_lS8_PT9_S7_li
; %bb.0:
	s_clause 0x1
	s_load_b128 s[16:19], s[0:1], 0x50
	s_load_b256 s[4:11], s[0:1], 0x8
	s_mov_b32 s2, s15
	s_mov_b32 s3, 0
	v_dual_mov_b32 v21, 0 :: v_dual_and_b32 v6, 0x3ff, v0
	s_lshl_b64 s[20:21], s[2:3], 3
	v_bfe_u32 v7, v0, 10, 10
	v_dual_mov_b32 v20, 0 :: v_dual_mov_b32 v19, 0
	v_dual_mov_b32 v18, 0 :: v_dual_mov_b32 v17, 0
	;; [unrolled: 1-line block ×3, first 2 shown]
	v_mov_b32_e32 v14, 0
	s_waitcnt lgkmcnt(0)
	s_add_u32 s2, s16, s20
	s_addc_u32 s3, s17, s21
	s_load_b32 s16, s[0:1], 0x0
	s_load_b64 s[2:3], s[2:3], 0x0
	v_cmp_lt_i64_e64 s12, s[4:5], 1
	s_lshl_b32 s17, s13, 5
	s_lshl_b32 s22, s14, 5
	s_delay_alu instid0(VALU_DEP_1)
	s_and_b32 vcc_lo, exec_lo, s12
	s_cbranch_vccnz .LBB1758_11
; %bb.1:
	s_load_b128 s[12:15], s[0:1], 0x30
	v_lshl_add_u32 v1, v7, 4, v6
	v_dual_mov_b32 v0, 0 :: v_dual_lshlrev_b32 v9, 3, v6
	v_lshl_add_u32 v10, v7, 6, 0x800
	s_delay_alu instid0(VALU_DEP_3) | instskip(SKIP_2) | instid1(VALU_DEP_3)
	v_lshrrev_b32_e32 v11, 5, v1
	v_and_b32_e32 v5, 31, v1
	v_lshrrev_b32_e32 v2, 3, v1
	v_mad_u64_u32 v[14:15], null, s10, v11, 0
	v_and_b32_e32 v8, 7, v6
	s_delay_alu instid0(VALU_DEP_4)
	v_or_b32_e32 v13, s17, v5
	v_lshlrev_b32_e32 v17, 3, v5
	v_add_nc_u32_e32 v16, s17, v5
	v_add_nc_u32_e32 v1, s22, v2
	v_mov_b32_e32 v5, v15
	s_waitcnt lgkmcnt(0)
	v_mad_u64_u32 v[3:4], null, s14, v8, 0
	s_add_u32 s12, s12, s20
	s_addc_u32 s13, s13, s21
	s_add_u32 s8, s8, s20
	s_load_b64 s[12:13], s[12:13], 0x0
	s_addc_u32 s9, s9, s21
	v_cmp_gt_i32_e64 s0, s16, v1
	s_delay_alu instid0(VALU_DEP_2)
	v_mad_u64_u32 v[18:19], null, s15, v8, v[4:5]
	v_mad_u64_u32 v[19:20], null, s11, v11, v[5:6]
	v_lshlrev_b32_e32 v12, 3, v8
	s_load_b64 s[20:21], s[8:9], 0x0
	v_cmp_gt_i32_e32 vcc_lo, s16, v13
	s_lshl_b64 s[8:9], s[10:11], 6
	s_delay_alu instid0(VALU_DEP_4) | instskip(SKIP_1) | instid1(VALU_DEP_4)
	v_mov_b32_e32 v4, v18
	s_lshl_b64 s[10:11], s[14:15], 6
	v_mov_b32_e32 v15, v19
	v_lshl_or_b32 v21, v2, 6, v12
	v_ashrrev_i32_e32 v2, 31, v1
	v_lshl_or_b32 v12, v11, 8, v17
	v_ashrrev_i32_e32 v17, 31, v16
	v_lshlrev_b64 v[3:4], 3, v[3:4]
	v_lshlrev_b64 v[14:15], 3, v[14:15]
	;; [unrolled: 1-line block ×3, first 2 shown]
	v_dual_mov_b32 v18, 0 :: v_dual_add_nc_u32 v13, 0x800, v21
	v_lshlrev_b64 v[16:17], 3, v[16:17]
	v_mov_b32_e32 v19, 0
	v_mov_b32_e32 v21, 0
	v_add_co_u32 v1, s1, v3, v1
	s_delay_alu instid0(VALU_DEP_1) | instskip(SKIP_1) | instid1(VALU_DEP_1)
	v_add_co_ci_u32_e64 v2, s1, v4, v2, s1
	v_add_co_u32 v3, s1, v14, v16
	v_add_co_ci_u32_e64 v4, s1, v15, v17, s1
	s_waitcnt lgkmcnt(0)
	v_add_co_u32 v1, s1, v1, s12
	s_delay_alu instid0(VALU_DEP_1) | instskip(SKIP_1) | instid1(VALU_DEP_1)
	v_add_co_ci_u32_e64 v5, s1, s13, v2, s1
	v_add_co_u32 v2, s1, s20, v3
	v_add_co_ci_u32_e64 v3, s1, s21, v4, s1
	s_delay_alu instid0(VALU_DEP_4) | instskip(NEXT) | instid1(VALU_DEP_1)
	v_add_co_u32 v4, s1, v1, 4
	v_add_co_ci_u32_e64 v5, s1, 0, v5, s1
	v_dual_mov_b32 v15, 0 :: v_dual_mov_b32 v14, 0
	v_dual_mov_b32 v17, 0 :: v_dual_mov_b32 v20, 0
	v_mov_b32_e32 v16, 0
	s_mov_b64 s[12:13], 0
	s_xor_b32 s1, vcc_lo, -1
	s_xor_b32 s0, s0, -1
	s_branch .LBB1758_3
.LBB1758_2:                             ;   in Loop: Header=BB1758_3 Depth=1
	s_or_b32 exec_lo, exec_lo, s14
	ds_store_b32 v13, v1 offset:4
	s_waitcnt lgkmcnt(0)
	s_barrier
	buffer_gl0_inv
	ds_load_2addr_b64 v[22:25], v9 offset1:16
	ds_load_b128 v[26:29], v10
	ds_load_b128 v[30:33], v10 offset:1024
	ds_load_b128 v[34:37], v10 offset:16
	;; [unrolled: 1-line block ×4, first 2 shown]
	ds_load_2addr_b64 v[46:49], v9 offset0:32 offset1:48
	ds_load_b128 v[50:53], v10 offset:1040
	s_add_u32 s12, s12, 8
	s_addc_u32 s13, s13, 0
	v_add_co_u32 v2, vcc_lo, v2, s8
	v_cmp_ge_i64_e64 s14, s[12:13], s[4:5]
	v_add_co_ci_u32_e32 v3, vcc_lo, s9, v3, vcc_lo
	v_add_co_u32 v4, vcc_lo, v4, s10
	v_add_co_ci_u32_e32 v5, vcc_lo, s11, v5, vcc_lo
	s_delay_alu instid0(VALU_DEP_4)
	s_and_b32 vcc_lo, exec_lo, s14
	s_waitcnt lgkmcnt(6)
	v_dual_mul_f32 v1, v27, v23 :: v_dual_mul_f32 v56, v26, v25
	v_dual_mul_f32 v54, v26, v23 :: v_dual_mul_f32 v55, v27, v25
	s_waitcnt lgkmcnt(5)
	v_mul_f32_e32 v58, v31, v25
	s_delay_alu instid0(VALU_DEP_3) | instskip(SKIP_3) | instid1(VALU_DEP_4)
	v_fma_f32 v1, v26, v22, -v1
	v_dual_mul_f32 v25, v30, v25 :: v_dual_fmac_f32 v56, v27, v24
	v_fmac_f32_e32 v54, v27, v22
	v_fma_f32 v26, v26, v24, -v55
	v_add_f32_e32 v1, v20, v1
	v_mul_f32_e32 v57, v31, v23
	s_delay_alu instid0(VALU_DEP_4) | instskip(SKIP_2) | instid1(VALU_DEP_4)
	v_dual_mul_f32 v23, v30, v23 :: v_dual_add_f32 v20, v21, v54
	v_fmac_f32_e32 v25, v31, v24
	v_dual_add_f32 v21, v18, v26 :: v_dual_add_f32 v26, v19, v56
	v_fma_f32 v27, v30, v22, -v57
	s_delay_alu instid0(VALU_DEP_4) | instskip(SKIP_3) | instid1(VALU_DEP_2)
	v_fmac_f32_e32 v23, v31, v22
	v_fma_f32 v22, v30, v24, -v58
	s_waitcnt lgkmcnt(1)
	v_mul_f32_e32 v30, v29, v47
	v_dual_add_f32 v27, v16, v27 :: v_dual_add_f32 v14, v14, v22
	v_dual_mul_f32 v22, v28, v47 :: v_dual_add_f32 v15, v15, v25
	v_mul_f32_e32 v25, v28, v49
	s_delay_alu instid0(VALU_DEP_4) | instskip(NEXT) | instid1(VALU_DEP_3)
	v_fma_f32 v24, v28, v46, -v30
	v_fmac_f32_e32 v22, v29, v46
	v_add_f32_e32 v23, v17, v23
	ds_load_2addr_b64 v[16:19], v9 offset0:64 offset1:80
	v_mul_f32_e32 v30, v29, v49
	v_fmac_f32_e32 v25, v29, v48
	v_add_f32_e32 v1, v1, v24
	s_delay_alu instid0(VALU_DEP_2) | instskip(SKIP_1) | instid1(VALU_DEP_1)
	v_add_f32_e32 v25, v26, v25
	v_mul_f32_e32 v26, v32, v49
	v_fmac_f32_e32 v26, v33, v48
	s_waitcnt lgkmcnt(0)
	s_delay_alu instid0(VALU_DEP_1) | instskip(SKIP_1) | instid1(VALU_DEP_2)
	v_dual_add_f32 v26, v15, v26 :: v_dual_mul_f32 v29, v34, v17
	v_mul_f32_e32 v15, v34, v19
	v_fmac_f32_e32 v29, v35, v16
	v_fma_f32 v24, v28, v48, -v30
	v_mul_f32_e32 v28, v33, v47
	v_add_f32_e32 v30, v20, v22
	v_mul_f32_e32 v20, v32, v47
	v_mul_f32_e32 v22, v33, v49
	v_add_f32_e32 v24, v21, v24
	v_fma_f32 v21, v32, v46, -v28
	s_delay_alu instid0(VALU_DEP_4) | instskip(SKIP_1) | instid1(VALU_DEP_3)
	v_dual_add_f32 v29, v30, v29 :: v_dual_fmac_f32 v20, v33, v46
	v_fmac_f32_e32 v15, v35, v18
	v_add_f32_e32 v27, v27, v21
	v_fma_f32 v21, v32, v48, -v22
	v_mul_f32_e32 v22, v35, v17
	v_mul_f32_e32 v32, v35, v19
	v_add_f32_e32 v28, v23, v20
	s_delay_alu instid0(VALU_DEP_4) | instskip(NEXT) | instid1(VALU_DEP_4)
	v_add_f32_e32 v14, v14, v21
	v_fma_f32 v31, v34, v16, -v22
	ds_load_2addr_b64 v[20:23], v9 offset0:96 offset1:112
	v_add_f32_e32 v1, v1, v31
	v_fma_f32 v31, v34, v18, -v32
	s_delay_alu instid0(VALU_DEP_1) | instskip(SKIP_3) | instid1(VALU_DEP_3)
	v_add_f32_e32 v24, v24, v31
	v_mul_f32_e32 v31, v51, v19
	v_mul_f32_e32 v19, v50, v19
	v_add_f32_e32 v32, v25, v15
	v_fma_f32 v15, v50, v18, -v31
	s_delay_alu instid0(VALU_DEP_3)
	v_fmac_f32_e32 v19, v51, v18
	v_mul_f32_e32 v30, v51, v17
	v_mul_f32_e32 v17, v50, v17
	s_waitcnt lgkmcnt(0)
	v_dual_mul_f32 v18, v37, v21 :: v_dual_add_f32 v31, v14, v15
	v_add_f32_e32 v33, v26, v19
	v_fma_f32 v30, v50, v16, -v30
	v_fmac_f32_e32 v17, v51, v16
	s_delay_alu instid0(VALU_DEP_4) | instskip(SKIP_1) | instid1(VALU_DEP_4)
	v_fma_f32 v18, v36, v20, -v18
	v_mul_f32_e32 v25, v36, v21
	v_dual_mul_f32 v19, v36, v23 :: v_dual_add_f32 v30, v27, v30
	s_delay_alu instid0(VALU_DEP_4) | instskip(SKIP_4) | instid1(VALU_DEP_2)
	v_add_f32_e32 v28, v28, v17
	ds_load_2addr_b64 v[14:17], v9 offset0:128 offset1:144
	v_add_f32_e32 v1, v1, v18
	v_mul_f32_e32 v18, v53, v21
	v_fmac_f32_e32 v19, v37, v22
	v_fma_f32 v18, v52, v20, -v18
	v_mul_f32_e32 v27, v37, v23
	s_delay_alu instid0(VALU_DEP_1) | instskip(NEXT) | instid1(VALU_DEP_3)
	v_fma_f32 v26, v36, v22, -v27
	v_add_f32_e32 v36, v30, v18
	s_waitcnt lgkmcnt(0)
	s_delay_alu instid0(VALU_DEP_2) | instskip(SKIP_2) | instid1(VALU_DEP_3)
	v_dual_add_f32 v35, v24, v26 :: v_dual_mul_f32 v46, v38, v15
	v_dual_fmac_f32 v25, v37, v20 :: v_dual_add_f32 v32, v32, v19
	v_mul_f32_e32 v18, v39, v15
	v_fmac_f32_e32 v46, v39, v14
	s_delay_alu instid0(VALU_DEP_3)
	v_add_f32_e32 v34, v29, v25
	v_mul_f32_e32 v29, v53, v23
	v_mul_f32_e32 v23, v52, v23
	ds_load_b128 v[24:27], v10 offset:1056
	v_add_f32_e32 v34, v34, v46
	v_fma_f32 v19, v52, v22, -v29
	v_mul_f32_e32 v21, v52, v21
	v_fmac_f32_e32 v23, v53, v22
	v_mul_f32_e32 v29, v39, v17
	s_delay_alu instid0(VALU_DEP_3) | instskip(NEXT) | instid1(VALU_DEP_3)
	v_dual_add_f32 v22, v31, v19 :: v_dual_fmac_f32 v21, v53, v20
	v_add_f32_e32 v23, v33, v23
	s_delay_alu instid0(VALU_DEP_2) | instskip(SKIP_4) | instid1(VALU_DEP_2)
	v_add_f32_e32 v37, v28, v21
	v_fma_f32 v28, v38, v14, -v18
	ds_load_2addr_b64 v[18:21], v9 offset0:160 offset1:176
	v_mul_f32_e32 v33, v38, v17
	v_fma_f32 v38, v38, v16, -v29
	v_fmac_f32_e32 v33, v39, v16
	s_delay_alu instid0(VALU_DEP_1)
	v_dual_add_f32 v35, v35, v38 :: v_dual_add_f32 v32, v32, v33
	v_add_f32_e32 v1, v1, v28
	ds_load_b128 v[28:31], v10 offset:1072
	s_waitcnt lgkmcnt(2)
	v_mul_f32_e32 v47, v25, v15
	v_mul_f32_e32 v15, v24, v15
	;; [unrolled: 1-line block ×4, first 2 shown]
	s_delay_alu instid0(VALU_DEP_4) | instskip(NEXT) | instid1(VALU_DEP_4)
	v_fma_f32 v38, v24, v14, -v47
	v_fmac_f32_e32 v15, v25, v14
	s_delay_alu instid0(VALU_DEP_4)
	v_fma_f32 v14, v24, v16, -v39
	s_waitcnt lgkmcnt(1)
	v_mul_f32_e32 v17, v41, v19
	v_dual_fmac_f32 v33, v25, v16 :: v_dual_add_f32 v36, v36, v38
	v_add_f32_e32 v24, v37, v15
	v_add_f32_e32 v22, v22, v14
	s_delay_alu instid0(VALU_DEP_4) | instskip(SKIP_2) | instid1(VALU_DEP_1)
	v_fma_f32 v37, v40, v18, -v17
	ds_load_2addr_b64 v[14:17], v9 offset0:192 offset1:208
	v_dual_mul_f32 v25, v40, v19 :: v_dual_mul_f32 v38, v41, v21
	v_fmac_f32_e32 v25, v41, v18
	s_delay_alu instid0(VALU_DEP_1) | instskip(SKIP_4) | instid1(VALU_DEP_3)
	v_add_f32_e32 v34, v34, v25
	v_add_f32_e32 v33, v23, v33
	v_mul_f32_e32 v23, v40, v21
	v_mul_f32_e32 v25, v27, v19
	;; [unrolled: 1-line block ×3, first 2 shown]
	v_fmac_f32_e32 v23, v41, v20
	s_delay_alu instid0(VALU_DEP_3) | instskip(NEXT) | instid1(VALU_DEP_2)
	v_fma_f32 v25, v26, v18, -v25
	v_dual_fmac_f32 v19, v27, v18 :: v_dual_add_f32 v18, v32, v23
	s_waitcnt lgkmcnt(0)
	v_dual_mul_f32 v32, v43, v15 :: v_dual_add_f32 v1, v1, v37
	v_fma_f32 v37, v40, v20, -v38
	s_delay_alu instid0(VALU_DEP_3) | instskip(NEXT) | instid1(VALU_DEP_3)
	v_add_f32_e32 v19, v24, v19
	v_fma_f32 v32, v42, v14, -v32
	s_delay_alu instid0(VALU_DEP_1) | instskip(NEXT) | instid1(VALU_DEP_4)
	v_add_f32_e32 v1, v1, v32
	v_add_f32_e32 v35, v35, v37
	v_mul_f32_e32 v37, v27, v21
	v_dual_mul_f32 v21, v26, v21 :: v_dual_mul_f32 v32, v29, v15
	s_delay_alu instid0(VALU_DEP_2) | instskip(NEXT) | instid1(VALU_DEP_2)
	v_fma_f32 v23, v26, v20, -v37
	v_dual_add_f32 v26, v36, v25 :: v_dual_fmac_f32 v21, v27, v20
	v_mul_f32_e32 v27, v42, v15
	v_mul_f32_e32 v15, v28, v15
	s_delay_alu instid0(VALU_DEP_4)
	v_add_f32_e32 v20, v22, v23
	ds_load_2addr_b64 v[22:25], v9 offset0:224 offset1:240
	v_fma_f32 v32, v28, v14, -v32
	v_dual_fmac_f32 v27, v43, v14 :: v_dual_mul_f32 v36, v42, v17
	v_fmac_f32_e32 v15, v29, v14
	s_waitcnt lgkmcnt(0)
	s_delay_alu instid0(VALU_DEP_3) | instskip(NEXT) | instid1(VALU_DEP_3)
	v_add_f32_e32 v14, v26, v32
	v_dual_add_f32 v27, v34, v27 :: v_dual_fmac_f32 v36, v43, v16
	s_delay_alu instid0(VALU_DEP_3)
	v_dual_mul_f32 v34, v29, v17 :: v_dual_add_f32 v15, v19, v15
	s_barrier
	buffer_gl0_inv
	v_mul_f32_e32 v26, v45, v23
	v_add_f32_e32 v21, v33, v21
	v_mul_f32_e32 v33, v43, v17
	v_mul_f32_e32 v17, v28, v17
	;; [unrolled: 1-line block ×3, first 2 shown]
	s_delay_alu instid0(VALU_DEP_3) | instskip(NEXT) | instid1(VALU_DEP_3)
	v_fma_f32 v33, v42, v16, -v33
	v_fmac_f32_e32 v17, v29, v16
	s_delay_alu instid0(VALU_DEP_3) | instskip(NEXT) | instid1(VALU_DEP_3)
	v_fmac_f32_e32 v19, v45, v24
	v_add_f32_e32 v33, v35, v33
	v_add_f32_e32 v35, v18, v36
	v_fma_f32 v18, v28, v16, -v34
	v_fma_f32 v16, v44, v22, -v26
	v_mul_f32_e32 v28, v44, v23
	v_dual_add_f32 v26, v21, v17 :: v_dual_mul_f32 v17, v30, v23
	s_delay_alu instid0(VALU_DEP_4) | instskip(NEXT) | instid1(VALU_DEP_4)
	v_dual_add_f32 v29, v20, v18 :: v_dual_mul_f32 v18, v45, v25
	v_add_f32_e32 v20, v1, v16
	v_mul_f32_e32 v16, v31, v23
	v_mul_f32_e32 v23, v31, v25
	;; [unrolled: 1-line block ×3, first 2 shown]
	v_fma_f32 v1, v44, v24, -v18
	v_fmac_f32_e32 v28, v45, v22
	v_fmac_f32_e32 v17, v31, v22
	v_add_f32_e32 v19, v35, v19
	s_delay_alu instid0(VALU_DEP_4)
	v_dual_fmac_f32 v25, v31, v24 :: v_dual_add_f32 v18, v33, v1
	v_fma_f32 v1, v30, v22, -v16
	v_fma_f32 v22, v30, v24, -v23
	v_add_f32_e32 v21, v27, v28
	v_add_f32_e32 v17, v15, v17
	;; [unrolled: 1-line block ×5, first 2 shown]
	s_cbranch_vccnz .LBB1758_11
.LBB1758_3:                             ; =>This Inner Loop Header: Depth=1
	v_add_co_u32 v22, s14, v11, s12
	s_delay_alu instid0(VALU_DEP_1) | instskip(NEXT) | instid1(VALU_DEP_1)
	v_add_co_ci_u32_e64 v23, null, 0, s13, s14
	v_cmp_le_i64_e32 vcc_lo, s[4:5], v[22:23]
	s_or_b32 s14, s1, vcc_lo
	s_delay_alu instid0(SALU_CYCLE_1) | instskip(NEXT) | instid1(SALU_CYCLE_1)
	s_and_saveexec_b32 s15, s14
	s_xor_b32 s14, exec_lo, s15
	s_cbranch_execz .LBB1758_5
; %bb.4:                                ;   in Loop: Header=BB1758_3 Depth=1
	v_mov_b32_e32 v1, v0
	ds_store_b64 v12, v[0:1]
.LBB1758_5:                             ;   in Loop: Header=BB1758_3 Depth=1
	s_and_not1_saveexec_b32 s14, s14
	s_cbranch_execz .LBB1758_7
; %bb.6:                                ;   in Loop: Header=BB1758_3 Depth=1
	global_load_b64 v[22:23], v[2:3], off
	s_waitcnt vmcnt(0)
	ds_store_b64 v12, v[22:23]
.LBB1758_7:                             ;   in Loop: Header=BB1758_3 Depth=1
	s_or_b32 exec_lo, exec_lo, s14
	v_add_co_u32 v22, s14, v8, s12
	s_delay_alu instid0(VALU_DEP_1) | instskip(NEXT) | instid1(VALU_DEP_1)
	v_add_co_ci_u32_e64 v23, null, 0, s13, s14
                                        ; implicit-def: $sgpr15
	v_cmp_le_i64_e32 vcc_lo, s[4:5], v[22:23]
	s_or_b32 s14, vcc_lo, s0
	s_delay_alu instid0(SALU_CYCLE_1) | instskip(NEXT) | instid1(SALU_CYCLE_1)
	s_and_saveexec_b32 s20, s14
	s_xor_b32 s14, exec_lo, s20
	s_cbranch_execz .LBB1758_9
; %bb.8:                                ;   in Loop: Header=BB1758_3 Depth=1
	s_mov_b32 s15, 0
	ds_store_b32 v13, v0
.LBB1758_9:                             ;   in Loop: Header=BB1758_3 Depth=1
	s_or_saveexec_b32 s14, s14
	v_mov_b32_e32 v1, s15
	s_xor_b32 exec_lo, exec_lo, s14
	s_cbranch_execz .LBB1758_2
; %bb.10:                               ;   in Loop: Header=BB1758_3 Depth=1
	global_load_b64 v[22:23], v[4:5], off offset:-4
	s_waitcnt vmcnt(0)
	v_xor_b32_e32 v1, 0x80000000, v23
	ds_store_b32 v13, v22
	s_branch .LBB1758_2
.LBB1758_11:
	v_add_nc_u32_e32 v5, s22, v7
	s_delay_alu instid0(VALU_DEP_1) | instskip(SKIP_2) | instid1(VALU_DEP_3)
	v_ashrrev_i32_e32 v0, 31, v5
	v_mul_lo_u32 v3, v5, s19
	v_mad_u64_u32 v[1:2], null, v5, s18, 0
	v_mul_lo_u32 v0, v0, s18
	s_delay_alu instid0(VALU_DEP_1) | instskip(SKIP_1) | instid1(VALU_DEP_2)
	v_add3_u32 v2, v2, v3, v0
	v_add_nc_u32_e32 v0, s17, v6
	v_lshlrev_b64 v[1:2], 3, v[1:2]
	s_delay_alu instid0(VALU_DEP_2) | instskip(SKIP_2) | instid1(VALU_DEP_3)
	v_cmp_le_i32_e64 s0, v5, v0
	s_waitcnt lgkmcnt(0)
	v_cmp_gt_i32_e32 vcc_lo, s16, v0
	v_add_co_u32 v4, s1, s2, v1
	s_delay_alu instid0(VALU_DEP_1) | instskip(SKIP_1) | instid1(SALU_CYCLE_1)
	v_add_co_ci_u32_e64 v6, s1, s3, v2, s1
	s_and_b32 s0, s0, vcc_lo
	s_and_saveexec_b32 s1, s0
	s_cbranch_execz .LBB1758_14
; %bb.12:
	v_ashrrev_i32_e32 v1, 31, v0
	v_mul_f32_e32 v8, s6, v21
	v_mul_f32_e32 v3, s7, v21
	s_delay_alu instid0(VALU_DEP_3) | instskip(NEXT) | instid1(VALU_DEP_3)
	v_lshlrev_b64 v[1:2], 3, v[0:1]
	v_fmac_f32_e32 v8, s7, v20
	s_delay_alu instid0(VALU_DEP_3) | instskip(NEXT) | instid1(VALU_DEP_3)
	v_fma_f32 v7, v20, s6, -v3
	v_add_co_u32 v1, s0, v4, v1
	s_delay_alu instid0(VALU_DEP_1)
	v_add_co_ci_u32_e64 v2, s0, v6, v2, s0
	v_cmp_eq_u32_e64 s0, v5, v0
	global_store_b64 v[1:2], v[7:8], off
	s_and_b32 exec_lo, exec_lo, s0
	s_cbranch_execz .LBB1758_14
; %bb.13:
	v_mov_b32_e32 v3, 0
	global_store_b32 v[1:2], v3, off offset:4
.LBB1758_14:
	s_or_b32 exec_lo, exec_lo, s1
	v_add_nc_u32_e32 v2, 16, v0
	s_delay_alu instid0(VALU_DEP_1) | instskip(SKIP_1) | instid1(VALU_DEP_1)
	v_cmp_le_i32_e64 s1, v5, v2
	v_cmp_gt_i32_e64 s0, s16, v2
	s_and_b32 s1, s1, s0
	s_delay_alu instid0(SALU_CYCLE_1)
	s_and_saveexec_b32 s4, s1
	s_cbranch_execz .LBB1758_17
; %bb.15:
	v_ashrrev_i32_e32 v3, 31, v2
	v_mul_f32_e32 v8, s6, v19
	v_mul_f32_e32 v1, s7, v19
	s_delay_alu instid0(VALU_DEP_3) | instskip(NEXT) | instid1(VALU_DEP_3)
	v_lshlrev_b64 v[9:10], 3, v[2:3]
	v_fmac_f32_e32 v8, s7, v18
	s_delay_alu instid0(VALU_DEP_3) | instskip(NEXT) | instid1(VALU_DEP_3)
	v_fma_f32 v7, v18, s6, -v1
	v_add_co_u32 v3, s1, v4, v9
	s_delay_alu instid0(VALU_DEP_1)
	v_add_co_ci_u32_e64 v4, s1, v6, v10, s1
	v_cmp_eq_u32_e64 s1, v5, v2
	global_store_b64 v[3:4], v[7:8], off
	s_and_b32 exec_lo, exec_lo, s1
	s_cbranch_execz .LBB1758_17
; %bb.16:
	v_mov_b32_e32 v1, 0
	global_store_b32 v[3:4], v1, off offset:4
.LBB1758_17:
	s_or_b32 exec_lo, exec_lo, s4
	v_add_nc_u32_e32 v8, 16, v5
	s_delay_alu instid0(VALU_DEP_1) | instskip(SKIP_3) | instid1(VALU_DEP_4)
	v_ashrrev_i32_e32 v1, 31, v8
	v_mul_lo_u32 v6, v8, s19
	v_mad_u64_u32 v[3:4], null, v8, s18, 0
	v_cmp_le_i32_e64 s1, v8, v0
	v_mul_lo_u32 v1, v1, s18
	s_delay_alu instid0(VALU_DEP_1) | instskip(NEXT) | instid1(VALU_DEP_1)
	v_add3_u32 v4, v4, v6, v1
	v_lshlrev_b64 v[3:4], 3, v[3:4]
	s_delay_alu instid0(VALU_DEP_1) | instskip(NEXT) | instid1(VALU_DEP_1)
	v_add_co_u32 v6, s2, s2, v3
	v_add_co_ci_u32_e64 v7, s2, s3, v4, s2
	s_and_b32 s2, s1, vcc_lo
	s_delay_alu instid0(SALU_CYCLE_1)
	s_and_saveexec_b32 s1, s2
	s_cbranch_execz .LBB1758_20
; %bb.18:
	v_ashrrev_i32_e32 v1, 31, v0
	v_mul_f32_e32 v10, s6, v17
	v_mul_f32_e32 v9, s7, v17
	s_delay_alu instid0(VALU_DEP_3) | instskip(NEXT) | instid1(VALU_DEP_3)
	v_lshlrev_b64 v[3:4], 3, v[0:1]
	v_fmac_f32_e32 v10, s7, v16
	s_delay_alu instid0(VALU_DEP_3) | instskip(NEXT) | instid1(VALU_DEP_3)
	v_fma_f32 v9, v16, s6, -v9
	v_add_co_u32 v3, vcc_lo, v6, v3
	s_delay_alu instid0(VALU_DEP_4)
	v_add_co_ci_u32_e32 v4, vcc_lo, v7, v4, vcc_lo
	v_cmp_eq_u32_e32 vcc_lo, v8, v0
	global_store_b64 v[3:4], v[9:10], off
	s_and_b32 exec_lo, exec_lo, vcc_lo
	s_cbranch_execz .LBB1758_20
; %bb.19:
	v_mov_b32_e32 v1, 0
	global_store_b32 v[3:4], v1, off offset:4
.LBB1758_20:
	s_or_b32 exec_lo, exec_lo, s1
	v_cmp_le_i32_e32 vcc_lo, v8, v2
	s_and_b32 s0, vcc_lo, s0
	s_delay_alu instid0(SALU_CYCLE_1)
	s_and_saveexec_b32 s1, s0
	s_cbranch_execz .LBB1758_23
; %bb.21:
	v_ashrrev_i32_e32 v3, 31, v2
	v_mul_f32_e32 v8, s7, v15
	v_mul_f32_e32 v4, s6, v15
	s_delay_alu instid0(VALU_DEP_3) | instskip(NEXT) | instid1(VALU_DEP_3)
	v_lshlrev_b64 v[1:2], 3, v[2:3]
	v_fma_f32 v3, v14, s6, -v8
	s_delay_alu instid0(VALU_DEP_3) | instskip(NEXT) | instid1(VALU_DEP_3)
	v_fmac_f32_e32 v4, s7, v14
	v_add_co_u32 v1, vcc_lo, v6, v1
	s_delay_alu instid0(VALU_DEP_4)
	v_add_co_ci_u32_e32 v2, vcc_lo, v7, v2, vcc_lo
	v_cmp_eq_u32_e32 vcc_lo, v5, v0
	global_store_b64 v[1:2], v[3:4], off
	s_and_b32 exec_lo, exec_lo, vcc_lo
	s_cbranch_execz .LBB1758_23
; %bb.22:
	v_mov_b32_e32 v0, 0
	global_store_b32 v[1:2], v0, off offset:4
.LBB1758_23:
	s_nop 0
	s_sendmsg sendmsg(MSG_DEALLOC_VGPRS)
	s_endpgm
	.section	.rodata,"a",@progbits
	.p2align	6, 0x0
	.amdhsa_kernel _ZL34rocblas_syrkx_herkx_general_kernelIl19rocblas_complex_numIfELi16ELi32ELi8ELb1ELb1ELc78ELc76EKPKS1_KPS1_EviT_T0_PT8_S7_lSA_S7_lS8_PT9_S7_li
		.amdhsa_group_segment_fixed_size 4096
		.amdhsa_private_segment_fixed_size 0
		.amdhsa_kernarg_size 108
		.amdhsa_user_sgpr_count 13
		.amdhsa_user_sgpr_dispatch_ptr 0
		.amdhsa_user_sgpr_queue_ptr 0
		.amdhsa_user_sgpr_kernarg_segment_ptr 1
		.amdhsa_user_sgpr_dispatch_id 0
		.amdhsa_user_sgpr_private_segment_size 0
		.amdhsa_wavefront_size32 1
		.amdhsa_uses_dynamic_stack 0
		.amdhsa_enable_private_segment 0
		.amdhsa_system_sgpr_workgroup_id_x 1
		.amdhsa_system_sgpr_workgroup_id_y 1
		.amdhsa_system_sgpr_workgroup_id_z 1
		.amdhsa_system_sgpr_workgroup_info 0
		.amdhsa_system_vgpr_workitem_id 1
		.amdhsa_next_free_vgpr 59
		.amdhsa_next_free_sgpr 23
		.amdhsa_reserve_vcc 1
		.amdhsa_float_round_mode_32 0
		.amdhsa_float_round_mode_16_64 0
		.amdhsa_float_denorm_mode_32 3
		.amdhsa_float_denorm_mode_16_64 3
		.amdhsa_dx10_clamp 1
		.amdhsa_ieee_mode 1
		.amdhsa_fp16_overflow 0
		.amdhsa_workgroup_processor_mode 1
		.amdhsa_memory_ordered 1
		.amdhsa_forward_progress 0
		.amdhsa_shared_vgpr_count 0
		.amdhsa_exception_fp_ieee_invalid_op 0
		.amdhsa_exception_fp_denorm_src 0
		.amdhsa_exception_fp_ieee_div_zero 0
		.amdhsa_exception_fp_ieee_overflow 0
		.amdhsa_exception_fp_ieee_underflow 0
		.amdhsa_exception_fp_ieee_inexact 0
		.amdhsa_exception_int_div_zero 0
	.end_amdhsa_kernel
	.section	.text._ZL34rocblas_syrkx_herkx_general_kernelIl19rocblas_complex_numIfELi16ELi32ELi8ELb1ELb1ELc78ELc76EKPKS1_KPS1_EviT_T0_PT8_S7_lSA_S7_lS8_PT9_S7_li,"axG",@progbits,_ZL34rocblas_syrkx_herkx_general_kernelIl19rocblas_complex_numIfELi16ELi32ELi8ELb1ELb1ELc78ELc76EKPKS1_KPS1_EviT_T0_PT8_S7_lSA_S7_lS8_PT9_S7_li,comdat
.Lfunc_end1758:
	.size	_ZL34rocblas_syrkx_herkx_general_kernelIl19rocblas_complex_numIfELi16ELi32ELi8ELb1ELb1ELc78ELc76EKPKS1_KPS1_EviT_T0_PT8_S7_lSA_S7_lS8_PT9_S7_li, .Lfunc_end1758-_ZL34rocblas_syrkx_herkx_general_kernelIl19rocblas_complex_numIfELi16ELi32ELi8ELb1ELb1ELc78ELc76EKPKS1_KPS1_EviT_T0_PT8_S7_lSA_S7_lS8_PT9_S7_li
                                        ; -- End function
	.section	.AMDGPU.csdata,"",@progbits
; Kernel info:
; codeLenInByte = 2676
; NumSgprs: 25
; NumVgprs: 59
; ScratchSize: 0
; MemoryBound: 1
; FloatMode: 240
; IeeeMode: 1
; LDSByteSize: 4096 bytes/workgroup (compile time only)
; SGPRBlocks: 3
; VGPRBlocks: 7
; NumSGPRsForWavesPerEU: 25
; NumVGPRsForWavesPerEU: 59
; Occupancy: 16
; WaveLimiterHint : 1
; COMPUTE_PGM_RSRC2:SCRATCH_EN: 0
; COMPUTE_PGM_RSRC2:USER_SGPR: 13
; COMPUTE_PGM_RSRC2:TRAP_HANDLER: 0
; COMPUTE_PGM_RSRC2:TGID_X_EN: 1
; COMPUTE_PGM_RSRC2:TGID_Y_EN: 1
; COMPUTE_PGM_RSRC2:TGID_Z_EN: 1
; COMPUTE_PGM_RSRC2:TIDIG_COMP_CNT: 1
	.section	.text._ZL34rocblas_syrkx_herkx_general_kernelIl19rocblas_complex_numIfELi16ELi32ELi8ELb1ELb1ELc84ELc85EKPKS1_KPS1_EviT_T0_PT8_S7_lSA_S7_lS8_PT9_S7_li,"axG",@progbits,_ZL34rocblas_syrkx_herkx_general_kernelIl19rocblas_complex_numIfELi16ELi32ELi8ELb1ELb1ELc84ELc85EKPKS1_KPS1_EviT_T0_PT8_S7_lSA_S7_lS8_PT9_S7_li,comdat
	.globl	_ZL34rocblas_syrkx_herkx_general_kernelIl19rocblas_complex_numIfELi16ELi32ELi8ELb1ELb1ELc84ELc85EKPKS1_KPS1_EviT_T0_PT8_S7_lSA_S7_lS8_PT9_S7_li ; -- Begin function _ZL34rocblas_syrkx_herkx_general_kernelIl19rocblas_complex_numIfELi16ELi32ELi8ELb1ELb1ELc84ELc85EKPKS1_KPS1_EviT_T0_PT8_S7_lSA_S7_lS8_PT9_S7_li
	.p2align	8
	.type	_ZL34rocblas_syrkx_herkx_general_kernelIl19rocblas_complex_numIfELi16ELi32ELi8ELb1ELb1ELc84ELc85EKPKS1_KPS1_EviT_T0_PT8_S7_lSA_S7_lS8_PT9_S7_li,@function
_ZL34rocblas_syrkx_herkx_general_kernelIl19rocblas_complex_numIfELi16ELi32ELi8ELb1ELb1ELc84ELc85EKPKS1_KPS1_EviT_T0_PT8_S7_lSA_S7_lS8_PT9_S7_li: ; @_ZL34rocblas_syrkx_herkx_general_kernelIl19rocblas_complex_numIfELi16ELi32ELi8ELb1ELb1ELc84ELc85EKPKS1_KPS1_EviT_T0_PT8_S7_lSA_S7_lS8_PT9_S7_li
; %bb.0:
	s_clause 0x1
	s_load_b128 s[16:19], s[0:1], 0x50
	s_load_b256 s[4:11], s[0:1], 0x8
	s_mov_b32 s2, s15
	s_mov_b32 s3, 0
	v_dual_mov_b32 v21, 0 :: v_dual_and_b32 v6, 0x3ff, v0
	s_lshl_b64 s[20:21], s[2:3], 3
	v_bfe_u32 v7, v0, 10, 10
	v_dual_mov_b32 v20, 0 :: v_dual_mov_b32 v19, 0
	v_dual_mov_b32 v18, 0 :: v_dual_mov_b32 v17, 0
	;; [unrolled: 1-line block ×3, first 2 shown]
	v_mov_b32_e32 v14, 0
	s_waitcnt lgkmcnt(0)
	s_add_u32 s2, s16, s20
	s_addc_u32 s3, s17, s21
	s_load_b32 s12, s[0:1], 0x0
	s_load_b64 s[16:17], s[2:3], 0x0
	v_cmp_lt_i64_e64 s2, s[4:5], 1
	s_lshl_b32 s13, s13, 5
	s_lshl_b32 s14, s14, 5
	s_delay_alu instid0(VALU_DEP_1)
	s_and_b32 vcc_lo, exec_lo, s2
	s_cbranch_vccnz .LBB1759_11
; %bb.1:
	s_load_b128 s[0:3], s[0:1], 0x30
	v_lshl_add_u32 v0, v7, 4, v6
	v_and_b32_e32 v8, 7, v6
	v_dual_mov_b32 v20, 0 :: v_dual_mov_b32 v19, 0
	v_mov_b32_e32 v21, 0
	s_delay_alu instid0(VALU_DEP_4) | instskip(SKIP_3) | instid1(VALU_DEP_4)
	v_lshrrev_b32_e32 v5, 3, v0
	v_and_b32_e32 v1, 31, v0
	v_lshrrev_b32_e32 v9, 5, v0
	v_lshlrev_b32_e32 v14, 3, v8
	v_dual_mov_b32 v18, 0 :: v_dual_add_nc_u32 v11, s14, v5
	s_delay_alu instid0(VALU_DEP_4)
	v_add_nc_u32_e32 v0, s13, v1
	v_or_b32_e32 v10, s13, v1
	v_lshlrev_b32_e32 v12, 3, v1
	v_lshl_or_b32 v5, v5, 6, v14
	v_ashrrev_i32_e32 v3, 31, v11
	v_ashrrev_i32_e32 v4, 31, v0
	s_waitcnt lgkmcnt(0)
	v_cmp_gt_i32_e32 vcc_lo, s12, v10
	v_lshl_or_b32 v10, v9, 8, v12
	v_mul_lo_u32 v17, s3, v11
	v_mul_lo_u32 v16, s2, v3
	;; [unrolled: 1-line block ×3, first 2 shown]
	v_mad_u64_u32 v[3:4], null, s2, v11, 0
	s_add_u32 s0, s0, s20
	s_addc_u32 s1, s1, s21
	s_add_u32 s8, s8, s20
	s_addc_u32 s9, s9, s21
	v_lshlrev_b32_e32 v12, 3, v6
	s_mov_b64 s[2:3], 0
	s_delay_alu instid0(VALU_DEP_2)
	v_add3_u32 v4, v4, v16, v17
	v_mov_b32_e32 v17, 0
	v_mul_lo_u32 v13, s11, v0
	v_mad_u64_u32 v[1:2], null, s10, v0, 0
	s_load_b64 s[10:11], s[0:1], 0x0
	s_load_b64 s[8:9], s[8:9], 0x0
	v_cmp_gt_i32_e64 s0, s12, v11
	v_dual_mov_b32 v16, 0 :: v_dual_add_nc_u32 v11, 0x800, v5
	v_lshlrev_b32_e32 v5, 3, v9
	v_lshlrev_b64 v[3:4], 3, v[3:4]
	v_add3_u32 v2, v2, v15, v13
	v_mov_b32_e32 v0, 0
	v_lshl_add_u32 v13, v7, 6, 0x800
	s_xor_b32 s0, s0, -1
	s_delay_alu instid0(VALU_DEP_3) | instskip(NEXT) | instid1(VALU_DEP_1)
	v_lshlrev_b64 v[1:2], 3, v[1:2]
	v_add_co_u32 v1, s1, v1, v5
	s_delay_alu instid0(VALU_DEP_1) | instskip(SKIP_1) | instid1(VALU_DEP_1)
	v_add_co_ci_u32_e64 v5, s1, 0, v2, s1
	v_add_co_u32 v14, s1, v3, v14
	v_add_co_ci_u32_e64 v15, s1, 0, v4, s1
	s_waitcnt lgkmcnt(0)
	v_add_co_u32 v2, s1, s8, v1
	s_delay_alu instid0(VALU_DEP_1) | instskip(SKIP_1) | instid1(VALU_DEP_1)
	v_add_co_ci_u32_e64 v3, s1, s9, v5, s1
	v_add_co_u32 v4, s1, s10, v14
	v_add_co_ci_u32_e64 v5, s1, s11, v15, s1
	v_dual_mov_b32 v15, 0 :: v_dual_mov_b32 v14, 0
	s_xor_b32 s1, vcc_lo, -1
	s_branch .LBB1759_3
.LBB1759_2:                             ;   in Loop: Header=BB1759_3 Depth=1
	s_or_b32 exec_lo, exec_lo, s8
	s_waitcnt lgkmcnt(0)
	s_barrier
	buffer_gl0_inv
	ds_load_2addr_b64 v[22:25], v12 offset1:16
	ds_load_b128 v[26:29], v13
	ds_load_b128 v[30:33], v13 offset:1024
	ds_load_b128 v[34:37], v13 offset:16
	;; [unrolled: 1-line block ×4, first 2 shown]
	ds_load_2addr_b64 v[46:49], v12 offset0:32 offset1:48
	ds_load_b128 v[50:53], v13 offset:1040
	s_add_u32 s2, s2, 8
	s_addc_u32 s3, s3, 0
	v_add_co_u32 v2, vcc_lo, v2, 64
	v_cmp_ge_i64_e64 s8, s[2:3], s[4:5]
	v_add_co_ci_u32_e32 v3, vcc_lo, 0, v3, vcc_lo
	v_add_co_u32 v4, vcc_lo, v4, 64
	v_add_co_ci_u32_e32 v5, vcc_lo, 0, v5, vcc_lo
	s_delay_alu instid0(VALU_DEP_4)
	s_and_b32 vcc_lo, exec_lo, s8
	s_waitcnt lgkmcnt(6)
	v_dual_mul_f32 v1, v27, v23 :: v_dual_mul_f32 v56, v26, v25
	v_dual_mul_f32 v54, v26, v23 :: v_dual_mul_f32 v55, v27, v25
	s_waitcnt lgkmcnt(5)
	v_mul_f32_e32 v58, v31, v25
	s_delay_alu instid0(VALU_DEP_3) | instskip(SKIP_3) | instid1(VALU_DEP_4)
	v_fma_f32 v1, v26, v22, -v1
	v_dual_mul_f32 v25, v30, v25 :: v_dual_fmac_f32 v56, v27, v24
	v_fmac_f32_e32 v54, v27, v22
	v_fma_f32 v26, v26, v24, -v55
	v_add_f32_e32 v1, v20, v1
	v_mul_f32_e32 v57, v31, v23
	s_delay_alu instid0(VALU_DEP_4) | instskip(SKIP_2) | instid1(VALU_DEP_4)
	v_dual_mul_f32 v23, v30, v23 :: v_dual_add_f32 v20, v21, v54
	v_fmac_f32_e32 v25, v31, v24
	v_dual_add_f32 v21, v18, v26 :: v_dual_add_f32 v26, v19, v56
	v_fma_f32 v27, v30, v22, -v57
	s_delay_alu instid0(VALU_DEP_4) | instskip(SKIP_3) | instid1(VALU_DEP_2)
	v_fmac_f32_e32 v23, v31, v22
	v_fma_f32 v22, v30, v24, -v58
	s_waitcnt lgkmcnt(1)
	v_mul_f32_e32 v30, v29, v47
	v_dual_add_f32 v27, v16, v27 :: v_dual_add_f32 v14, v14, v22
	v_dual_mul_f32 v22, v28, v47 :: v_dual_add_f32 v15, v15, v25
	v_mul_f32_e32 v25, v28, v49
	s_delay_alu instid0(VALU_DEP_4) | instskip(NEXT) | instid1(VALU_DEP_3)
	v_fma_f32 v24, v28, v46, -v30
	v_fmac_f32_e32 v22, v29, v46
	v_add_f32_e32 v23, v17, v23
	ds_load_2addr_b64 v[16:19], v12 offset0:64 offset1:80
	v_mul_f32_e32 v30, v29, v49
	v_fmac_f32_e32 v25, v29, v48
	v_add_f32_e32 v1, v1, v24
	s_delay_alu instid0(VALU_DEP_2) | instskip(SKIP_1) | instid1(VALU_DEP_1)
	v_add_f32_e32 v25, v26, v25
	v_mul_f32_e32 v26, v32, v49
	v_fmac_f32_e32 v26, v33, v48
	s_waitcnt lgkmcnt(0)
	s_delay_alu instid0(VALU_DEP_1) | instskip(SKIP_1) | instid1(VALU_DEP_2)
	v_dual_add_f32 v26, v15, v26 :: v_dual_mul_f32 v29, v34, v17
	v_mul_f32_e32 v15, v34, v19
	v_fmac_f32_e32 v29, v35, v16
	v_fma_f32 v24, v28, v48, -v30
	v_mul_f32_e32 v28, v33, v47
	v_add_f32_e32 v30, v20, v22
	v_mul_f32_e32 v20, v32, v47
	v_mul_f32_e32 v22, v33, v49
	v_add_f32_e32 v24, v21, v24
	v_fma_f32 v21, v32, v46, -v28
	s_delay_alu instid0(VALU_DEP_4) | instskip(SKIP_1) | instid1(VALU_DEP_3)
	v_dual_add_f32 v29, v30, v29 :: v_dual_fmac_f32 v20, v33, v46
	v_fmac_f32_e32 v15, v35, v18
	v_add_f32_e32 v27, v27, v21
	v_fma_f32 v21, v32, v48, -v22
	v_mul_f32_e32 v22, v35, v17
	v_mul_f32_e32 v32, v35, v19
	v_add_f32_e32 v28, v23, v20
	s_delay_alu instid0(VALU_DEP_4) | instskip(NEXT) | instid1(VALU_DEP_4)
	v_add_f32_e32 v14, v14, v21
	v_fma_f32 v31, v34, v16, -v22
	ds_load_2addr_b64 v[20:23], v12 offset0:96 offset1:112
	v_add_f32_e32 v1, v1, v31
	v_fma_f32 v31, v34, v18, -v32
	s_delay_alu instid0(VALU_DEP_1) | instskip(SKIP_3) | instid1(VALU_DEP_3)
	v_add_f32_e32 v24, v24, v31
	v_mul_f32_e32 v31, v51, v19
	v_mul_f32_e32 v19, v50, v19
	v_add_f32_e32 v32, v25, v15
	v_fma_f32 v15, v50, v18, -v31
	s_delay_alu instid0(VALU_DEP_3)
	v_fmac_f32_e32 v19, v51, v18
	v_mul_f32_e32 v30, v51, v17
	v_mul_f32_e32 v17, v50, v17
	s_waitcnt lgkmcnt(0)
	v_dual_mul_f32 v18, v37, v21 :: v_dual_add_f32 v31, v14, v15
	v_add_f32_e32 v33, v26, v19
	v_fma_f32 v30, v50, v16, -v30
	v_fmac_f32_e32 v17, v51, v16
	s_delay_alu instid0(VALU_DEP_4) | instskip(SKIP_1) | instid1(VALU_DEP_4)
	v_fma_f32 v18, v36, v20, -v18
	v_mul_f32_e32 v25, v36, v21
	v_dual_mul_f32 v19, v36, v23 :: v_dual_add_f32 v30, v27, v30
	s_delay_alu instid0(VALU_DEP_4) | instskip(SKIP_4) | instid1(VALU_DEP_2)
	v_add_f32_e32 v28, v28, v17
	ds_load_2addr_b64 v[14:17], v12 offset0:128 offset1:144
	v_add_f32_e32 v1, v1, v18
	v_mul_f32_e32 v18, v53, v21
	v_fmac_f32_e32 v19, v37, v22
	v_fma_f32 v18, v52, v20, -v18
	v_mul_f32_e32 v27, v37, v23
	s_delay_alu instid0(VALU_DEP_1) | instskip(NEXT) | instid1(VALU_DEP_3)
	v_fma_f32 v26, v36, v22, -v27
	v_add_f32_e32 v36, v30, v18
	s_waitcnt lgkmcnt(0)
	s_delay_alu instid0(VALU_DEP_2) | instskip(SKIP_2) | instid1(VALU_DEP_3)
	v_dual_add_f32 v35, v24, v26 :: v_dual_mul_f32 v46, v38, v15
	v_dual_fmac_f32 v25, v37, v20 :: v_dual_add_f32 v32, v32, v19
	v_mul_f32_e32 v18, v39, v15
	v_fmac_f32_e32 v46, v39, v14
	s_delay_alu instid0(VALU_DEP_3)
	v_add_f32_e32 v34, v29, v25
	v_mul_f32_e32 v29, v53, v23
	v_mul_f32_e32 v23, v52, v23
	ds_load_b128 v[24:27], v13 offset:1056
	v_add_f32_e32 v34, v34, v46
	v_fma_f32 v19, v52, v22, -v29
	v_mul_f32_e32 v21, v52, v21
	v_fmac_f32_e32 v23, v53, v22
	v_mul_f32_e32 v29, v39, v17
	s_delay_alu instid0(VALU_DEP_3) | instskip(NEXT) | instid1(VALU_DEP_3)
	v_dual_add_f32 v22, v31, v19 :: v_dual_fmac_f32 v21, v53, v20
	v_add_f32_e32 v23, v33, v23
	s_delay_alu instid0(VALU_DEP_2) | instskip(SKIP_4) | instid1(VALU_DEP_2)
	v_add_f32_e32 v37, v28, v21
	v_fma_f32 v28, v38, v14, -v18
	ds_load_2addr_b64 v[18:21], v12 offset0:160 offset1:176
	v_mul_f32_e32 v33, v38, v17
	v_fma_f32 v38, v38, v16, -v29
	v_fmac_f32_e32 v33, v39, v16
	s_delay_alu instid0(VALU_DEP_1)
	v_dual_add_f32 v35, v35, v38 :: v_dual_add_f32 v32, v32, v33
	v_add_f32_e32 v1, v1, v28
	ds_load_b128 v[28:31], v13 offset:1072
	s_waitcnt lgkmcnt(2)
	v_mul_f32_e32 v47, v25, v15
	v_mul_f32_e32 v15, v24, v15
	;; [unrolled: 1-line block ×4, first 2 shown]
	s_delay_alu instid0(VALU_DEP_4) | instskip(NEXT) | instid1(VALU_DEP_4)
	v_fma_f32 v38, v24, v14, -v47
	v_fmac_f32_e32 v15, v25, v14
	s_delay_alu instid0(VALU_DEP_4)
	v_fma_f32 v14, v24, v16, -v39
	s_waitcnt lgkmcnt(1)
	v_mul_f32_e32 v17, v41, v19
	v_dual_fmac_f32 v33, v25, v16 :: v_dual_add_f32 v36, v36, v38
	v_add_f32_e32 v24, v37, v15
	v_add_f32_e32 v22, v22, v14
	s_delay_alu instid0(VALU_DEP_4) | instskip(SKIP_2) | instid1(VALU_DEP_1)
	v_fma_f32 v37, v40, v18, -v17
	ds_load_2addr_b64 v[14:17], v12 offset0:192 offset1:208
	v_dual_mul_f32 v25, v40, v19 :: v_dual_mul_f32 v38, v41, v21
	v_fmac_f32_e32 v25, v41, v18
	s_delay_alu instid0(VALU_DEP_1) | instskip(SKIP_4) | instid1(VALU_DEP_3)
	v_add_f32_e32 v34, v34, v25
	v_add_f32_e32 v33, v23, v33
	v_mul_f32_e32 v23, v40, v21
	v_mul_f32_e32 v25, v27, v19
	;; [unrolled: 1-line block ×3, first 2 shown]
	v_fmac_f32_e32 v23, v41, v20
	s_delay_alu instid0(VALU_DEP_3) | instskip(NEXT) | instid1(VALU_DEP_2)
	v_fma_f32 v25, v26, v18, -v25
	v_dual_fmac_f32 v19, v27, v18 :: v_dual_add_f32 v18, v32, v23
	s_waitcnt lgkmcnt(0)
	v_dual_mul_f32 v32, v43, v15 :: v_dual_add_f32 v1, v1, v37
	v_fma_f32 v37, v40, v20, -v38
	s_delay_alu instid0(VALU_DEP_3) | instskip(NEXT) | instid1(VALU_DEP_3)
	v_add_f32_e32 v19, v24, v19
	v_fma_f32 v32, v42, v14, -v32
	s_delay_alu instid0(VALU_DEP_1) | instskip(NEXT) | instid1(VALU_DEP_4)
	v_add_f32_e32 v1, v1, v32
	v_add_f32_e32 v35, v35, v37
	v_mul_f32_e32 v37, v27, v21
	v_dual_mul_f32 v21, v26, v21 :: v_dual_mul_f32 v32, v29, v15
	s_delay_alu instid0(VALU_DEP_2) | instskip(NEXT) | instid1(VALU_DEP_2)
	v_fma_f32 v23, v26, v20, -v37
	v_dual_add_f32 v26, v36, v25 :: v_dual_fmac_f32 v21, v27, v20
	v_mul_f32_e32 v27, v42, v15
	v_mul_f32_e32 v15, v28, v15
	s_delay_alu instid0(VALU_DEP_4)
	v_add_f32_e32 v20, v22, v23
	ds_load_2addr_b64 v[22:25], v12 offset0:224 offset1:240
	v_fma_f32 v32, v28, v14, -v32
	v_dual_fmac_f32 v27, v43, v14 :: v_dual_mul_f32 v36, v42, v17
	v_fmac_f32_e32 v15, v29, v14
	s_waitcnt lgkmcnt(0)
	s_delay_alu instid0(VALU_DEP_3) | instskip(NEXT) | instid1(VALU_DEP_3)
	v_add_f32_e32 v14, v26, v32
	v_dual_add_f32 v27, v34, v27 :: v_dual_fmac_f32 v36, v43, v16
	s_delay_alu instid0(VALU_DEP_3)
	v_dual_mul_f32 v34, v29, v17 :: v_dual_add_f32 v15, v19, v15
	s_barrier
	buffer_gl0_inv
	v_mul_f32_e32 v26, v45, v23
	v_add_f32_e32 v21, v33, v21
	v_mul_f32_e32 v33, v43, v17
	v_mul_f32_e32 v17, v28, v17
	;; [unrolled: 1-line block ×3, first 2 shown]
	s_delay_alu instid0(VALU_DEP_3) | instskip(NEXT) | instid1(VALU_DEP_3)
	v_fma_f32 v33, v42, v16, -v33
	v_fmac_f32_e32 v17, v29, v16
	s_delay_alu instid0(VALU_DEP_3) | instskip(NEXT) | instid1(VALU_DEP_3)
	v_fmac_f32_e32 v19, v45, v24
	v_add_f32_e32 v33, v35, v33
	v_add_f32_e32 v35, v18, v36
	v_fma_f32 v18, v28, v16, -v34
	v_fma_f32 v16, v44, v22, -v26
	v_mul_f32_e32 v28, v44, v23
	v_dual_add_f32 v26, v21, v17 :: v_dual_mul_f32 v17, v30, v23
	s_delay_alu instid0(VALU_DEP_4) | instskip(NEXT) | instid1(VALU_DEP_4)
	v_dual_add_f32 v29, v20, v18 :: v_dual_mul_f32 v18, v45, v25
	v_add_f32_e32 v20, v1, v16
	v_mul_f32_e32 v16, v31, v23
	v_mul_f32_e32 v23, v31, v25
	v_mul_f32_e32 v25, v30, v25
	v_fma_f32 v1, v44, v24, -v18
	v_fmac_f32_e32 v28, v45, v22
	v_fmac_f32_e32 v17, v31, v22
	v_add_f32_e32 v19, v35, v19
	s_delay_alu instid0(VALU_DEP_4)
	v_dual_fmac_f32 v25, v31, v24 :: v_dual_add_f32 v18, v33, v1
	v_fma_f32 v1, v30, v22, -v16
	v_fma_f32 v22, v30, v24, -v23
	v_add_f32_e32 v21, v27, v28
	v_add_f32_e32 v17, v15, v17
	;; [unrolled: 1-line block ×5, first 2 shown]
	s_cbranch_vccnz .LBB1759_11
.LBB1759_3:                             ; =>This Inner Loop Header: Depth=1
	v_add_co_u32 v22, s8, v9, s2
	s_delay_alu instid0(VALU_DEP_1) | instskip(NEXT) | instid1(VALU_DEP_1)
	v_add_co_ci_u32_e64 v23, null, 0, s3, s8
	v_cmp_le_i64_e32 vcc_lo, s[4:5], v[22:23]
	s_or_b32 s8, s1, vcc_lo
	s_delay_alu instid0(SALU_CYCLE_1) | instskip(NEXT) | instid1(SALU_CYCLE_1)
	s_and_saveexec_b32 s9, s8
	s_xor_b32 s8, exec_lo, s9
	s_cbranch_execz .LBB1759_5
; %bb.4:                                ;   in Loop: Header=BB1759_3 Depth=1
	v_mov_b32_e32 v1, v0
	ds_store_b64 v10, v[0:1]
.LBB1759_5:                             ;   in Loop: Header=BB1759_3 Depth=1
	s_and_not1_saveexec_b32 s8, s8
	s_cbranch_execz .LBB1759_7
; %bb.6:                                ;   in Loop: Header=BB1759_3 Depth=1
	global_load_b64 v[22:23], v[2:3], off
	s_waitcnt vmcnt(0)
	ds_store_b64 v10, v[22:23]
.LBB1759_7:                             ;   in Loop: Header=BB1759_3 Depth=1
	s_or_b32 exec_lo, exec_lo, s8
	v_add_co_u32 v22, s8, v8, s2
	s_delay_alu instid0(VALU_DEP_1) | instskip(NEXT) | instid1(VALU_DEP_1)
	v_add_co_ci_u32_e64 v23, null, 0, s3, s8
	v_cmp_le_i64_e32 vcc_lo, s[4:5], v[22:23]
	s_or_b32 s8, vcc_lo, s0
	s_delay_alu instid0(SALU_CYCLE_1) | instskip(NEXT) | instid1(SALU_CYCLE_1)
	s_and_saveexec_b32 s9, s8
	s_xor_b32 s8, exec_lo, s9
	s_cbranch_execz .LBB1759_9
; %bb.8:                                ;   in Loop: Header=BB1759_3 Depth=1
	v_mov_b32_e32 v1, v0
	ds_store_b64 v11, v[0:1]
.LBB1759_9:                             ;   in Loop: Header=BB1759_3 Depth=1
	s_and_not1_saveexec_b32 s8, s8
	s_cbranch_execz .LBB1759_2
; %bb.10:                               ;   in Loop: Header=BB1759_3 Depth=1
	global_load_b64 v[22:23], v[4:5], off
	s_waitcnt vmcnt(0)
	ds_store_b64 v11, v[22:23]
	s_branch .LBB1759_2
.LBB1759_11:
	v_add_nc_u32_e32 v5, s14, v7
	s_delay_alu instid0(VALU_DEP_1)
	v_ashrrev_i32_e32 v0, 31, v5
	v_mul_lo_u32 v3, v5, s19
	v_mad_u64_u32 v[1:2], null, v5, s18, 0
	s_waitcnt lgkmcnt(0)
	v_cmp_gt_i32_e32 vcc_lo, s12, v5
	v_mul_lo_u32 v0, v0, s18
	s_delay_alu instid0(VALU_DEP_1) | instskip(SKIP_1) | instid1(VALU_DEP_2)
	v_add3_u32 v2, v2, v3, v0
	v_add_nc_u32_e32 v0, s13, v6
	v_lshlrev_b64 v[1:2], 3, v[1:2]
	s_delay_alu instid0(VALU_DEP_2) | instskip(NEXT) | instid1(VALU_DEP_1)
	v_cmp_le_i32_e64 s0, v0, v5
	s_and_b32 s0, vcc_lo, s0
	s_delay_alu instid0(VALU_DEP_2) | instskip(NEXT) | instid1(VALU_DEP_1)
	v_add_co_u32 v4, s1, s16, v1
	v_add_co_ci_u32_e64 v6, s1, s17, v2, s1
	s_and_saveexec_b32 s1, s0
	s_cbranch_execz .LBB1759_14
; %bb.12:
	v_ashrrev_i32_e32 v1, 31, v0
	v_mul_f32_e32 v8, s6, v21
	v_mul_f32_e32 v3, s7, v21
	s_delay_alu instid0(VALU_DEP_3) | instskip(NEXT) | instid1(VALU_DEP_3)
	v_lshlrev_b64 v[1:2], 3, v[0:1]
	v_fmac_f32_e32 v8, s7, v20
	s_delay_alu instid0(VALU_DEP_3) | instskip(NEXT) | instid1(VALU_DEP_3)
	v_fma_f32 v7, v20, s6, -v3
	v_add_co_u32 v1, s0, v4, v1
	s_delay_alu instid0(VALU_DEP_1)
	v_add_co_ci_u32_e64 v2, s0, v6, v2, s0
	v_cmp_eq_u32_e64 s0, v5, v0
	global_store_b64 v[1:2], v[7:8], off
	s_and_b32 exec_lo, exec_lo, s0
	s_cbranch_execz .LBB1759_14
; %bb.13:
	v_mov_b32_e32 v3, 0
	global_store_b32 v[1:2], v3, off offset:4
.LBB1759_14:
	s_or_b32 exec_lo, exec_lo, s1
	v_add_nc_u32_e32 v2, 16, v0
	s_delay_alu instid0(VALU_DEP_1) | instskip(NEXT) | instid1(VALU_DEP_1)
	v_cmp_le_i32_e64 s0, v2, v5
	s_and_b32 s1, vcc_lo, s0
	s_delay_alu instid0(SALU_CYCLE_1)
	s_and_saveexec_b32 s0, s1
	s_cbranch_execz .LBB1759_17
; %bb.15:
	v_ashrrev_i32_e32 v3, 31, v2
	v_mul_f32_e32 v8, s6, v19
	v_mul_f32_e32 v1, s7, v19
	s_delay_alu instid0(VALU_DEP_3) | instskip(NEXT) | instid1(VALU_DEP_3)
	v_lshlrev_b64 v[9:10], 3, v[2:3]
	v_fmac_f32_e32 v8, s7, v18
	s_delay_alu instid0(VALU_DEP_3) | instskip(NEXT) | instid1(VALU_DEP_3)
	v_fma_f32 v7, v18, s6, -v1
	v_add_co_u32 v3, vcc_lo, v4, v9
	s_delay_alu instid0(VALU_DEP_4)
	v_add_co_ci_u32_e32 v4, vcc_lo, v6, v10, vcc_lo
	v_cmp_eq_u32_e32 vcc_lo, v5, v2
	global_store_b64 v[3:4], v[7:8], off
	s_and_b32 exec_lo, exec_lo, vcc_lo
	s_cbranch_execz .LBB1759_17
; %bb.16:
	v_mov_b32_e32 v1, 0
	global_store_b32 v[3:4], v1, off offset:4
.LBB1759_17:
	s_or_b32 exec_lo, exec_lo, s0
	v_add_nc_u32_e32 v8, 16, v5
	s_delay_alu instid0(VALU_DEP_1) | instskip(SKIP_3) | instid1(VALU_DEP_4)
	v_ashrrev_i32_e32 v1, 31, v8
	v_mul_lo_u32 v6, v8, s19
	v_mad_u64_u32 v[3:4], null, v8, s18, 0
	v_cmp_gt_i32_e32 vcc_lo, s12, v8
	v_mul_lo_u32 v1, v1, s18
	v_cmp_le_i32_e64 s0, v0, v8
	s_delay_alu instid0(VALU_DEP_1) | instskip(NEXT) | instid1(VALU_DEP_2)
	s_and_b32 s0, vcc_lo, s0
	v_add3_u32 v4, v4, v6, v1
	s_delay_alu instid0(VALU_DEP_1) | instskip(NEXT) | instid1(VALU_DEP_1)
	v_lshlrev_b64 v[3:4], 3, v[3:4]
	v_add_co_u32 v6, s1, s16, v3
	s_delay_alu instid0(VALU_DEP_1)
	v_add_co_ci_u32_e64 v7, s1, s17, v4, s1
	s_and_saveexec_b32 s1, s0
	s_cbranch_execz .LBB1759_20
; %bb.18:
	v_ashrrev_i32_e32 v1, 31, v0
	v_mul_f32_e32 v10, s6, v17
	v_mul_f32_e32 v9, s7, v17
	s_delay_alu instid0(VALU_DEP_3) | instskip(NEXT) | instid1(VALU_DEP_3)
	v_lshlrev_b64 v[3:4], 3, v[0:1]
	v_fmac_f32_e32 v10, s7, v16
	s_delay_alu instid0(VALU_DEP_3) | instskip(NEXT) | instid1(VALU_DEP_3)
	v_fma_f32 v9, v16, s6, -v9
	v_add_co_u32 v3, s0, v6, v3
	s_delay_alu instid0(VALU_DEP_1)
	v_add_co_ci_u32_e64 v4, s0, v7, v4, s0
	v_cmp_eq_u32_e64 s0, v8, v0
	global_store_b64 v[3:4], v[9:10], off
	s_and_b32 exec_lo, exec_lo, s0
	s_cbranch_execz .LBB1759_20
; %bb.19:
	v_mov_b32_e32 v1, 0
	global_store_b32 v[3:4], v1, off offset:4
.LBB1759_20:
	s_or_b32 exec_lo, exec_lo, s1
	v_cmp_le_i32_e64 s0, v2, v8
	s_delay_alu instid0(VALU_DEP_1) | instskip(NEXT) | instid1(SALU_CYCLE_1)
	s_and_b32 s0, vcc_lo, s0
	s_and_saveexec_b32 s1, s0
	s_cbranch_execz .LBB1759_23
; %bb.21:
	v_ashrrev_i32_e32 v3, 31, v2
	v_mul_f32_e32 v8, s7, v15
	v_mul_f32_e32 v4, s6, v15
	s_delay_alu instid0(VALU_DEP_3) | instskip(NEXT) | instid1(VALU_DEP_3)
	v_lshlrev_b64 v[1:2], 3, v[2:3]
	v_fma_f32 v3, v14, s6, -v8
	s_delay_alu instid0(VALU_DEP_3) | instskip(NEXT) | instid1(VALU_DEP_3)
	v_fmac_f32_e32 v4, s7, v14
	v_add_co_u32 v1, vcc_lo, v6, v1
	s_delay_alu instid0(VALU_DEP_4)
	v_add_co_ci_u32_e32 v2, vcc_lo, v7, v2, vcc_lo
	v_cmp_eq_u32_e32 vcc_lo, v5, v0
	global_store_b64 v[1:2], v[3:4], off
	s_and_b32 exec_lo, exec_lo, vcc_lo
	s_cbranch_execz .LBB1759_23
; %bb.22:
	v_mov_b32_e32 v0, 0
	global_store_b32 v[1:2], v0, off offset:4
.LBB1759_23:
	s_nop 0
	s_sendmsg sendmsg(MSG_DEALLOC_VGPRS)
	s_endpgm
	.section	.rodata,"a",@progbits
	.p2align	6, 0x0
	.amdhsa_kernel _ZL34rocblas_syrkx_herkx_general_kernelIl19rocblas_complex_numIfELi16ELi32ELi8ELb1ELb1ELc84ELc85EKPKS1_KPS1_EviT_T0_PT8_S7_lSA_S7_lS8_PT9_S7_li
		.amdhsa_group_segment_fixed_size 4096
		.amdhsa_private_segment_fixed_size 0
		.amdhsa_kernarg_size 108
		.amdhsa_user_sgpr_count 13
		.amdhsa_user_sgpr_dispatch_ptr 0
		.amdhsa_user_sgpr_queue_ptr 0
		.amdhsa_user_sgpr_kernarg_segment_ptr 1
		.amdhsa_user_sgpr_dispatch_id 0
		.amdhsa_user_sgpr_private_segment_size 0
		.amdhsa_wavefront_size32 1
		.amdhsa_uses_dynamic_stack 0
		.amdhsa_enable_private_segment 0
		.amdhsa_system_sgpr_workgroup_id_x 1
		.amdhsa_system_sgpr_workgroup_id_y 1
		.amdhsa_system_sgpr_workgroup_id_z 1
		.amdhsa_system_sgpr_workgroup_info 0
		.amdhsa_system_vgpr_workitem_id 1
		.amdhsa_next_free_vgpr 59
		.amdhsa_next_free_sgpr 22
		.amdhsa_reserve_vcc 1
		.amdhsa_float_round_mode_32 0
		.amdhsa_float_round_mode_16_64 0
		.amdhsa_float_denorm_mode_32 3
		.amdhsa_float_denorm_mode_16_64 3
		.amdhsa_dx10_clamp 1
		.amdhsa_ieee_mode 1
		.amdhsa_fp16_overflow 0
		.amdhsa_workgroup_processor_mode 1
		.amdhsa_memory_ordered 1
		.amdhsa_forward_progress 0
		.amdhsa_shared_vgpr_count 0
		.amdhsa_exception_fp_ieee_invalid_op 0
		.amdhsa_exception_fp_denorm_src 0
		.amdhsa_exception_fp_ieee_div_zero 0
		.amdhsa_exception_fp_ieee_overflow 0
		.amdhsa_exception_fp_ieee_underflow 0
		.amdhsa_exception_fp_ieee_inexact 0
		.amdhsa_exception_int_div_zero 0
	.end_amdhsa_kernel
	.section	.text._ZL34rocblas_syrkx_herkx_general_kernelIl19rocblas_complex_numIfELi16ELi32ELi8ELb1ELb1ELc84ELc85EKPKS1_KPS1_EviT_T0_PT8_S7_lSA_S7_lS8_PT9_S7_li,"axG",@progbits,_ZL34rocblas_syrkx_herkx_general_kernelIl19rocblas_complex_numIfELi16ELi32ELi8ELb1ELb1ELc84ELc85EKPKS1_KPS1_EviT_T0_PT8_S7_lSA_S7_lS8_PT9_S7_li,comdat
.Lfunc_end1759:
	.size	_ZL34rocblas_syrkx_herkx_general_kernelIl19rocblas_complex_numIfELi16ELi32ELi8ELb1ELb1ELc84ELc85EKPKS1_KPS1_EviT_T0_PT8_S7_lSA_S7_lS8_PT9_S7_li, .Lfunc_end1759-_ZL34rocblas_syrkx_herkx_general_kernelIl19rocblas_complex_numIfELi16ELi32ELi8ELb1ELb1ELc84ELc85EKPKS1_KPS1_EviT_T0_PT8_S7_lSA_S7_lS8_PT9_S7_li
                                        ; -- End function
	.section	.AMDGPU.csdata,"",@progbits
; Kernel info:
; codeLenInByte = 2632
; NumSgprs: 24
; NumVgprs: 59
; ScratchSize: 0
; MemoryBound: 1
; FloatMode: 240
; IeeeMode: 1
; LDSByteSize: 4096 bytes/workgroup (compile time only)
; SGPRBlocks: 2
; VGPRBlocks: 7
; NumSGPRsForWavesPerEU: 24
; NumVGPRsForWavesPerEU: 59
; Occupancy: 16
; WaveLimiterHint : 1
; COMPUTE_PGM_RSRC2:SCRATCH_EN: 0
; COMPUTE_PGM_RSRC2:USER_SGPR: 13
; COMPUTE_PGM_RSRC2:TRAP_HANDLER: 0
; COMPUTE_PGM_RSRC2:TGID_X_EN: 1
; COMPUTE_PGM_RSRC2:TGID_Y_EN: 1
; COMPUTE_PGM_RSRC2:TGID_Z_EN: 1
; COMPUTE_PGM_RSRC2:TIDIG_COMP_CNT: 1
	.section	.text._ZL34rocblas_syrkx_herkx_general_kernelIl19rocblas_complex_numIfELi16ELi32ELi8ELb1ELb1ELc67ELc85EKPKS1_KPS1_EviT_T0_PT8_S7_lSA_S7_lS8_PT9_S7_li,"axG",@progbits,_ZL34rocblas_syrkx_herkx_general_kernelIl19rocblas_complex_numIfELi16ELi32ELi8ELb1ELb1ELc67ELc85EKPKS1_KPS1_EviT_T0_PT8_S7_lSA_S7_lS8_PT9_S7_li,comdat
	.globl	_ZL34rocblas_syrkx_herkx_general_kernelIl19rocblas_complex_numIfELi16ELi32ELi8ELb1ELb1ELc67ELc85EKPKS1_KPS1_EviT_T0_PT8_S7_lSA_S7_lS8_PT9_S7_li ; -- Begin function _ZL34rocblas_syrkx_herkx_general_kernelIl19rocblas_complex_numIfELi16ELi32ELi8ELb1ELb1ELc67ELc85EKPKS1_KPS1_EviT_T0_PT8_S7_lSA_S7_lS8_PT9_S7_li
	.p2align	8
	.type	_ZL34rocblas_syrkx_herkx_general_kernelIl19rocblas_complex_numIfELi16ELi32ELi8ELb1ELb1ELc67ELc85EKPKS1_KPS1_EviT_T0_PT8_S7_lSA_S7_lS8_PT9_S7_li,@function
_ZL34rocblas_syrkx_herkx_general_kernelIl19rocblas_complex_numIfELi16ELi32ELi8ELb1ELb1ELc67ELc85EKPKS1_KPS1_EviT_T0_PT8_S7_lSA_S7_lS8_PT9_S7_li: ; @_ZL34rocblas_syrkx_herkx_general_kernelIl19rocblas_complex_numIfELi16ELi32ELi8ELb1ELb1ELc67ELc85EKPKS1_KPS1_EviT_T0_PT8_S7_lSA_S7_lS8_PT9_S7_li
; %bb.0:
	s_clause 0x1
	s_load_b128 s[16:19], s[0:1], 0x50
	s_load_b256 s[4:11], s[0:1], 0x8
	s_mov_b32 s2, s15
	s_mov_b32 s3, 0
	v_dual_mov_b32 v21, 0 :: v_dual_and_b32 v6, 0x3ff, v0
	s_lshl_b64 s[20:21], s[2:3], 3
	v_bfe_u32 v7, v0, 10, 10
	v_dual_mov_b32 v20, 0 :: v_dual_mov_b32 v19, 0
	v_dual_mov_b32 v18, 0 :: v_dual_mov_b32 v17, 0
	v_dual_mov_b32 v16, 0 :: v_dual_mov_b32 v15, 0
	v_mov_b32_e32 v14, 0
	s_waitcnt lgkmcnt(0)
	s_add_u32 s2, s16, s20
	s_addc_u32 s3, s17, s21
	s_load_b32 s12, s[0:1], 0x0
	s_load_b64 s[16:17], s[2:3], 0x0
	v_cmp_lt_i64_e64 s2, s[4:5], 1
	s_lshl_b32 s13, s13, 5
	s_lshl_b32 s14, s14, 5
	s_delay_alu instid0(VALU_DEP_1)
	s_and_b32 vcc_lo, exec_lo, s2
	s_cbranch_vccnz .LBB1760_11
; %bb.1:
	s_load_b128 s[0:3], s[0:1], 0x30
	v_lshl_add_u32 v1, v7, 4, v6
	v_and_b32_e32 v8, 7, v6
	v_dual_mov_b32 v0, 0 :: v_dual_lshlrev_b32 v9, 3, v6
	s_delay_alu instid0(VALU_DEP_3) | instskip(SKIP_3) | instid1(VALU_DEP_4)
	v_dual_mov_b32 v21, 0 :: v_dual_and_b32 v2, 31, v1
	v_lshrrev_b32_e32 v3, 3, v1
	v_lshrrev_b32_e32 v11, 5, v1
	v_dual_mov_b32 v19, 0 :: v_dual_lshlrev_b32 v14, 3, v8
	v_add_nc_u32_e32 v4, s13, v2
	s_delay_alu instid0(VALU_DEP_4)
	v_add_nc_u32_e32 v5, s14, v3
	v_or_b32_e32 v12, s13, v2
	v_lshlrev_b32_e32 v13, 3, v2
	v_lshl_add_u32 v10, v7, 6, 0x800
	v_ashrrev_i32_e32 v16, 31, v4
	v_mul_lo_u32 v17, s11, v4
	v_mad_u64_u32 v[1:2], null, s10, v4, 0
	s_waitcnt lgkmcnt(0)
	s_add_u32 s22, s0, s20
	v_mul_lo_u32 v4, s10, v16
	s_addc_u32 s23, s1, s21
	s_add_u32 s0, s8, s20
	s_addc_u32 s1, s9, s21
	v_ashrrev_i32_e32 v15, 31, v5
	s_load_b64 s[8:9], s[0:1], 0x0
	v_lshl_or_b32 v16, v3, 6, v14
	v_mul_lo_u32 v18, s3, v5
	v_add3_u32 v2, v2, v4, v17
	v_mul_lo_u32 v15, s2, v15
	v_mad_u64_u32 v[3:4], null, s2, v5, 0
	s_load_b64 s[2:3], s[22:23], 0x0
	s_delay_alu instid0(VALU_DEP_3)
	v_lshlrev_b64 v[1:2], 3, v[1:2]
	v_lshlrev_b32_e32 v17, 3, v11
	v_cmp_gt_i32_e64 s0, s12, v5
	v_cmp_gt_i32_e32 vcc_lo, s12, v12
	v_lshl_or_b32 v12, v11, 8, v13
	v_add3_u32 v4, v4, v15, v18
	v_mov_b32_e32 v18, 0
	v_add_co_u32 v5, s1, v1, v17
	s_delay_alu instid0(VALU_DEP_1) | instskip(NEXT) | instid1(VALU_DEP_4)
	v_add_co_ci_u32_e64 v15, s1, 0, v2, s1
	v_lshlrev_b64 v[1:2], 3, v[3:4]
	s_waitcnt lgkmcnt(0)
	s_delay_alu instid0(VALU_DEP_3) | instskip(NEXT) | instid1(VALU_DEP_1)
	v_add_co_u32 v3, s1, v5, s8
	v_add_co_ci_u32_e64 v4, s1, s9, v15, s1
	v_dual_mov_b32 v20, 0 :: v_dual_add_nc_u32 v13, 0x800, v16
	s_delay_alu instid0(VALU_DEP_4) | instskip(NEXT) | instid1(VALU_DEP_1)
	v_add_co_u32 v1, s1, v1, v14
	v_add_co_ci_u32_e64 v5, s1, 0, v2, s1
	v_add_co_u32 v2, s1, v3, 4
	s_delay_alu instid0(VALU_DEP_1) | instskip(NEXT) | instid1(VALU_DEP_4)
	v_add_co_ci_u32_e64 v3, s1, 0, v4, s1
	v_add_co_u32 v4, s1, s2, v1
	s_delay_alu instid0(VALU_DEP_1)
	v_add_co_ci_u32_e64 v5, s1, s3, v5, s1
	v_dual_mov_b32 v15, 0 :: v_dual_mov_b32 v14, 0
	v_dual_mov_b32 v17, 0 :: v_dual_mov_b32 v16, 0
	s_mov_b64 s[2:3], 0
	s_xor_b32 s1, vcc_lo, -1
	s_xor_b32 s0, s0, -1
	s_branch .LBB1760_3
.LBB1760_2:                             ;   in Loop: Header=BB1760_3 Depth=1
	s_or_b32 exec_lo, exec_lo, s8
	s_waitcnt lgkmcnt(0)
	s_barrier
	buffer_gl0_inv
	ds_load_2addr_b64 v[22:25], v9 offset1:16
	ds_load_b128 v[26:29], v10
	ds_load_b128 v[30:33], v10 offset:1024
	ds_load_b128 v[34:37], v10 offset:16
	;; [unrolled: 1-line block ×4, first 2 shown]
	ds_load_2addr_b64 v[46:49], v9 offset0:32 offset1:48
	ds_load_b128 v[50:53], v10 offset:1040
	s_add_u32 s2, s2, 8
	s_addc_u32 s3, s3, 0
	v_add_co_u32 v2, vcc_lo, v2, 64
	v_cmp_ge_i64_e64 s8, s[2:3], s[4:5]
	v_add_co_ci_u32_e32 v3, vcc_lo, 0, v3, vcc_lo
	v_add_co_u32 v4, vcc_lo, v4, 64
	v_add_co_ci_u32_e32 v5, vcc_lo, 0, v5, vcc_lo
	s_delay_alu instid0(VALU_DEP_4)
	s_and_b32 vcc_lo, exec_lo, s8
	s_waitcnt lgkmcnt(6)
	v_dual_mul_f32 v1, v27, v23 :: v_dual_mul_f32 v56, v26, v25
	v_dual_mul_f32 v54, v26, v23 :: v_dual_mul_f32 v55, v27, v25
	s_waitcnt lgkmcnt(5)
	v_mul_f32_e32 v58, v31, v25
	s_delay_alu instid0(VALU_DEP_3) | instskip(SKIP_3) | instid1(VALU_DEP_4)
	v_fma_f32 v1, v26, v22, -v1
	v_dual_mul_f32 v25, v30, v25 :: v_dual_fmac_f32 v56, v27, v24
	v_fmac_f32_e32 v54, v27, v22
	v_fma_f32 v26, v26, v24, -v55
	v_add_f32_e32 v1, v20, v1
	v_mul_f32_e32 v57, v31, v23
	s_delay_alu instid0(VALU_DEP_4) | instskip(SKIP_2) | instid1(VALU_DEP_4)
	v_dual_mul_f32 v23, v30, v23 :: v_dual_add_f32 v20, v21, v54
	v_fmac_f32_e32 v25, v31, v24
	v_dual_add_f32 v21, v18, v26 :: v_dual_add_f32 v26, v19, v56
	v_fma_f32 v27, v30, v22, -v57
	s_delay_alu instid0(VALU_DEP_4) | instskip(SKIP_3) | instid1(VALU_DEP_2)
	v_fmac_f32_e32 v23, v31, v22
	v_fma_f32 v22, v30, v24, -v58
	s_waitcnt lgkmcnt(1)
	v_mul_f32_e32 v30, v29, v47
	v_dual_add_f32 v27, v16, v27 :: v_dual_add_f32 v14, v14, v22
	v_dual_mul_f32 v22, v28, v47 :: v_dual_add_f32 v15, v15, v25
	v_mul_f32_e32 v25, v28, v49
	s_delay_alu instid0(VALU_DEP_4) | instskip(NEXT) | instid1(VALU_DEP_3)
	v_fma_f32 v24, v28, v46, -v30
	v_fmac_f32_e32 v22, v29, v46
	v_add_f32_e32 v23, v17, v23
	ds_load_2addr_b64 v[16:19], v9 offset0:64 offset1:80
	v_mul_f32_e32 v30, v29, v49
	v_fmac_f32_e32 v25, v29, v48
	v_add_f32_e32 v1, v1, v24
	s_delay_alu instid0(VALU_DEP_2) | instskip(SKIP_1) | instid1(VALU_DEP_1)
	v_add_f32_e32 v25, v26, v25
	v_mul_f32_e32 v26, v32, v49
	v_fmac_f32_e32 v26, v33, v48
	s_waitcnt lgkmcnt(0)
	s_delay_alu instid0(VALU_DEP_1) | instskip(SKIP_1) | instid1(VALU_DEP_2)
	v_dual_add_f32 v26, v15, v26 :: v_dual_mul_f32 v29, v34, v17
	v_mul_f32_e32 v15, v34, v19
	v_fmac_f32_e32 v29, v35, v16
	v_fma_f32 v24, v28, v48, -v30
	v_mul_f32_e32 v28, v33, v47
	v_add_f32_e32 v30, v20, v22
	v_mul_f32_e32 v20, v32, v47
	v_mul_f32_e32 v22, v33, v49
	v_add_f32_e32 v24, v21, v24
	v_fma_f32 v21, v32, v46, -v28
	s_delay_alu instid0(VALU_DEP_4) | instskip(SKIP_1) | instid1(VALU_DEP_3)
	v_dual_add_f32 v29, v30, v29 :: v_dual_fmac_f32 v20, v33, v46
	v_fmac_f32_e32 v15, v35, v18
	v_add_f32_e32 v27, v27, v21
	v_fma_f32 v21, v32, v48, -v22
	v_mul_f32_e32 v22, v35, v17
	v_mul_f32_e32 v32, v35, v19
	v_add_f32_e32 v28, v23, v20
	s_delay_alu instid0(VALU_DEP_4) | instskip(NEXT) | instid1(VALU_DEP_4)
	v_add_f32_e32 v14, v14, v21
	v_fma_f32 v31, v34, v16, -v22
	ds_load_2addr_b64 v[20:23], v9 offset0:96 offset1:112
	v_add_f32_e32 v1, v1, v31
	v_fma_f32 v31, v34, v18, -v32
	s_delay_alu instid0(VALU_DEP_1) | instskip(SKIP_3) | instid1(VALU_DEP_3)
	v_add_f32_e32 v24, v24, v31
	v_mul_f32_e32 v31, v51, v19
	v_mul_f32_e32 v19, v50, v19
	v_add_f32_e32 v32, v25, v15
	v_fma_f32 v15, v50, v18, -v31
	s_delay_alu instid0(VALU_DEP_3)
	v_fmac_f32_e32 v19, v51, v18
	v_mul_f32_e32 v30, v51, v17
	v_mul_f32_e32 v17, v50, v17
	s_waitcnt lgkmcnt(0)
	v_dual_mul_f32 v18, v37, v21 :: v_dual_add_f32 v31, v14, v15
	v_add_f32_e32 v33, v26, v19
	v_fma_f32 v30, v50, v16, -v30
	v_fmac_f32_e32 v17, v51, v16
	s_delay_alu instid0(VALU_DEP_4) | instskip(SKIP_1) | instid1(VALU_DEP_4)
	v_fma_f32 v18, v36, v20, -v18
	v_mul_f32_e32 v25, v36, v21
	v_dual_mul_f32 v19, v36, v23 :: v_dual_add_f32 v30, v27, v30
	s_delay_alu instid0(VALU_DEP_4) | instskip(SKIP_4) | instid1(VALU_DEP_2)
	v_add_f32_e32 v28, v28, v17
	ds_load_2addr_b64 v[14:17], v9 offset0:128 offset1:144
	v_add_f32_e32 v1, v1, v18
	v_mul_f32_e32 v18, v53, v21
	v_fmac_f32_e32 v19, v37, v22
	v_fma_f32 v18, v52, v20, -v18
	v_mul_f32_e32 v27, v37, v23
	s_delay_alu instid0(VALU_DEP_1) | instskip(NEXT) | instid1(VALU_DEP_3)
	v_fma_f32 v26, v36, v22, -v27
	v_add_f32_e32 v36, v30, v18
	s_waitcnt lgkmcnt(0)
	s_delay_alu instid0(VALU_DEP_2) | instskip(SKIP_2) | instid1(VALU_DEP_3)
	v_dual_add_f32 v35, v24, v26 :: v_dual_mul_f32 v46, v38, v15
	v_dual_fmac_f32 v25, v37, v20 :: v_dual_add_f32 v32, v32, v19
	v_mul_f32_e32 v18, v39, v15
	v_fmac_f32_e32 v46, v39, v14
	s_delay_alu instid0(VALU_DEP_3)
	v_add_f32_e32 v34, v29, v25
	v_mul_f32_e32 v29, v53, v23
	v_mul_f32_e32 v23, v52, v23
	ds_load_b128 v[24:27], v10 offset:1056
	v_add_f32_e32 v34, v34, v46
	v_fma_f32 v19, v52, v22, -v29
	v_mul_f32_e32 v21, v52, v21
	v_fmac_f32_e32 v23, v53, v22
	v_mul_f32_e32 v29, v39, v17
	s_delay_alu instid0(VALU_DEP_3) | instskip(NEXT) | instid1(VALU_DEP_3)
	v_dual_add_f32 v22, v31, v19 :: v_dual_fmac_f32 v21, v53, v20
	v_add_f32_e32 v23, v33, v23
	s_delay_alu instid0(VALU_DEP_2) | instskip(SKIP_4) | instid1(VALU_DEP_2)
	v_add_f32_e32 v37, v28, v21
	v_fma_f32 v28, v38, v14, -v18
	ds_load_2addr_b64 v[18:21], v9 offset0:160 offset1:176
	v_mul_f32_e32 v33, v38, v17
	v_fma_f32 v38, v38, v16, -v29
	v_fmac_f32_e32 v33, v39, v16
	s_delay_alu instid0(VALU_DEP_1)
	v_dual_add_f32 v35, v35, v38 :: v_dual_add_f32 v32, v32, v33
	v_add_f32_e32 v1, v1, v28
	ds_load_b128 v[28:31], v10 offset:1072
	s_waitcnt lgkmcnt(2)
	v_mul_f32_e32 v47, v25, v15
	v_mul_f32_e32 v15, v24, v15
	;; [unrolled: 1-line block ×4, first 2 shown]
	s_delay_alu instid0(VALU_DEP_4) | instskip(NEXT) | instid1(VALU_DEP_4)
	v_fma_f32 v38, v24, v14, -v47
	v_fmac_f32_e32 v15, v25, v14
	s_delay_alu instid0(VALU_DEP_4)
	v_fma_f32 v14, v24, v16, -v39
	s_waitcnt lgkmcnt(1)
	v_mul_f32_e32 v17, v41, v19
	v_dual_fmac_f32 v33, v25, v16 :: v_dual_add_f32 v36, v36, v38
	v_add_f32_e32 v24, v37, v15
	v_add_f32_e32 v22, v22, v14
	s_delay_alu instid0(VALU_DEP_4) | instskip(SKIP_2) | instid1(VALU_DEP_1)
	v_fma_f32 v37, v40, v18, -v17
	ds_load_2addr_b64 v[14:17], v9 offset0:192 offset1:208
	v_dual_mul_f32 v25, v40, v19 :: v_dual_mul_f32 v38, v41, v21
	v_fmac_f32_e32 v25, v41, v18
	s_delay_alu instid0(VALU_DEP_1) | instskip(SKIP_4) | instid1(VALU_DEP_3)
	v_add_f32_e32 v34, v34, v25
	v_add_f32_e32 v33, v23, v33
	v_mul_f32_e32 v23, v40, v21
	v_mul_f32_e32 v25, v27, v19
	;; [unrolled: 1-line block ×3, first 2 shown]
	v_fmac_f32_e32 v23, v41, v20
	s_delay_alu instid0(VALU_DEP_3) | instskip(NEXT) | instid1(VALU_DEP_2)
	v_fma_f32 v25, v26, v18, -v25
	v_dual_fmac_f32 v19, v27, v18 :: v_dual_add_f32 v18, v32, v23
	s_waitcnt lgkmcnt(0)
	v_dual_mul_f32 v32, v43, v15 :: v_dual_add_f32 v1, v1, v37
	v_fma_f32 v37, v40, v20, -v38
	s_delay_alu instid0(VALU_DEP_3) | instskip(NEXT) | instid1(VALU_DEP_3)
	v_add_f32_e32 v19, v24, v19
	v_fma_f32 v32, v42, v14, -v32
	s_delay_alu instid0(VALU_DEP_1) | instskip(NEXT) | instid1(VALU_DEP_4)
	v_add_f32_e32 v1, v1, v32
	v_add_f32_e32 v35, v35, v37
	v_mul_f32_e32 v37, v27, v21
	v_dual_mul_f32 v21, v26, v21 :: v_dual_mul_f32 v32, v29, v15
	s_delay_alu instid0(VALU_DEP_2) | instskip(NEXT) | instid1(VALU_DEP_2)
	v_fma_f32 v23, v26, v20, -v37
	v_dual_add_f32 v26, v36, v25 :: v_dual_fmac_f32 v21, v27, v20
	v_mul_f32_e32 v27, v42, v15
	v_mul_f32_e32 v15, v28, v15
	s_delay_alu instid0(VALU_DEP_4)
	v_add_f32_e32 v20, v22, v23
	ds_load_2addr_b64 v[22:25], v9 offset0:224 offset1:240
	v_fma_f32 v32, v28, v14, -v32
	v_dual_fmac_f32 v27, v43, v14 :: v_dual_mul_f32 v36, v42, v17
	v_fmac_f32_e32 v15, v29, v14
	s_waitcnt lgkmcnt(0)
	s_delay_alu instid0(VALU_DEP_3) | instskip(NEXT) | instid1(VALU_DEP_3)
	v_add_f32_e32 v14, v26, v32
	v_dual_add_f32 v27, v34, v27 :: v_dual_fmac_f32 v36, v43, v16
	s_delay_alu instid0(VALU_DEP_3)
	v_dual_mul_f32 v34, v29, v17 :: v_dual_add_f32 v15, v19, v15
	s_barrier
	buffer_gl0_inv
	v_mul_f32_e32 v26, v45, v23
	v_add_f32_e32 v21, v33, v21
	v_mul_f32_e32 v33, v43, v17
	v_mul_f32_e32 v17, v28, v17
	;; [unrolled: 1-line block ×3, first 2 shown]
	s_delay_alu instid0(VALU_DEP_3) | instskip(NEXT) | instid1(VALU_DEP_3)
	v_fma_f32 v33, v42, v16, -v33
	v_fmac_f32_e32 v17, v29, v16
	s_delay_alu instid0(VALU_DEP_3) | instskip(NEXT) | instid1(VALU_DEP_3)
	v_fmac_f32_e32 v19, v45, v24
	v_add_f32_e32 v33, v35, v33
	v_add_f32_e32 v35, v18, v36
	v_fma_f32 v18, v28, v16, -v34
	v_fma_f32 v16, v44, v22, -v26
	v_mul_f32_e32 v28, v44, v23
	v_dual_add_f32 v26, v21, v17 :: v_dual_mul_f32 v17, v30, v23
	s_delay_alu instid0(VALU_DEP_4) | instskip(NEXT) | instid1(VALU_DEP_4)
	v_dual_add_f32 v29, v20, v18 :: v_dual_mul_f32 v18, v45, v25
	v_add_f32_e32 v20, v1, v16
	v_mul_f32_e32 v16, v31, v23
	v_mul_f32_e32 v23, v31, v25
	;; [unrolled: 1-line block ×3, first 2 shown]
	v_fma_f32 v1, v44, v24, -v18
	v_fmac_f32_e32 v28, v45, v22
	v_fmac_f32_e32 v17, v31, v22
	v_add_f32_e32 v19, v35, v19
	s_delay_alu instid0(VALU_DEP_4)
	v_dual_fmac_f32 v25, v31, v24 :: v_dual_add_f32 v18, v33, v1
	v_fma_f32 v1, v30, v22, -v16
	v_fma_f32 v22, v30, v24, -v23
	v_add_f32_e32 v21, v27, v28
	v_add_f32_e32 v17, v15, v17
	;; [unrolled: 1-line block ×5, first 2 shown]
	s_cbranch_vccnz .LBB1760_11
.LBB1760_3:                             ; =>This Inner Loop Header: Depth=1
	v_add_co_u32 v22, s8, v11, s2
	s_delay_alu instid0(VALU_DEP_1) | instskip(NEXT) | instid1(VALU_DEP_1)
	v_add_co_ci_u32_e64 v23, null, 0, s3, s8
                                        ; implicit-def: $sgpr9
	v_cmp_le_i64_e32 vcc_lo, s[4:5], v[22:23]
	s_or_b32 s8, s1, vcc_lo
	s_delay_alu instid0(SALU_CYCLE_1) | instskip(NEXT) | instid1(SALU_CYCLE_1)
	s_and_saveexec_b32 s10, s8
	s_xor_b32 s8, exec_lo, s10
	s_cbranch_execz .LBB1760_5
; %bb.4:                                ;   in Loop: Header=BB1760_3 Depth=1
	s_mov_b32 s9, 0
	ds_store_b32 v12, v0
.LBB1760_5:                             ;   in Loop: Header=BB1760_3 Depth=1
	s_or_saveexec_b32 s8, s8
	v_mov_b32_e32 v1, s9
	s_xor_b32 exec_lo, exec_lo, s8
	s_cbranch_execz .LBB1760_7
; %bb.6:                                ;   in Loop: Header=BB1760_3 Depth=1
	global_load_b64 v[22:23], v[2:3], off offset:-4
	s_waitcnt vmcnt(0)
	v_xor_b32_e32 v1, 0x80000000, v23
	ds_store_b32 v12, v22
.LBB1760_7:                             ;   in Loop: Header=BB1760_3 Depth=1
	s_or_b32 exec_lo, exec_lo, s8
	v_add_co_u32 v22, s8, v8, s2
	s_delay_alu instid0(VALU_DEP_1) | instskip(SKIP_3) | instid1(SALU_CYCLE_1)
	v_add_co_ci_u32_e64 v23, null, 0, s3, s8
	ds_store_b32 v12, v1 offset:4
	v_cmp_le_i64_e32 vcc_lo, s[4:5], v[22:23]
	s_or_b32 s8, vcc_lo, s0
	s_and_saveexec_b32 s9, s8
	s_delay_alu instid0(SALU_CYCLE_1)
	s_xor_b32 s8, exec_lo, s9
	s_cbranch_execz .LBB1760_9
; %bb.8:                                ;   in Loop: Header=BB1760_3 Depth=1
	v_mov_b32_e32 v1, v0
	ds_store_b64 v13, v[0:1]
.LBB1760_9:                             ;   in Loop: Header=BB1760_3 Depth=1
	s_and_not1_saveexec_b32 s8, s8
	s_cbranch_execz .LBB1760_2
; %bb.10:                               ;   in Loop: Header=BB1760_3 Depth=1
	global_load_b64 v[22:23], v[4:5], off
	s_waitcnt vmcnt(0)
	ds_store_b64 v13, v[22:23]
	s_branch .LBB1760_2
.LBB1760_11:
	v_add_nc_u32_e32 v5, s14, v7
	s_delay_alu instid0(VALU_DEP_1)
	v_ashrrev_i32_e32 v0, 31, v5
	v_mul_lo_u32 v3, v5, s19
	v_mad_u64_u32 v[1:2], null, v5, s18, 0
	s_waitcnt lgkmcnt(0)
	v_cmp_gt_i32_e32 vcc_lo, s12, v5
	v_mul_lo_u32 v0, v0, s18
	s_delay_alu instid0(VALU_DEP_1) | instskip(SKIP_1) | instid1(VALU_DEP_2)
	v_add3_u32 v2, v2, v3, v0
	v_add_nc_u32_e32 v0, s13, v6
	v_lshlrev_b64 v[1:2], 3, v[1:2]
	s_delay_alu instid0(VALU_DEP_2) | instskip(NEXT) | instid1(VALU_DEP_1)
	v_cmp_le_i32_e64 s0, v0, v5
	s_and_b32 s0, vcc_lo, s0
	s_delay_alu instid0(VALU_DEP_2) | instskip(NEXT) | instid1(VALU_DEP_1)
	v_add_co_u32 v4, s1, s16, v1
	v_add_co_ci_u32_e64 v6, s1, s17, v2, s1
	s_and_saveexec_b32 s1, s0
	s_cbranch_execz .LBB1760_14
; %bb.12:
	v_ashrrev_i32_e32 v1, 31, v0
	v_mul_f32_e32 v8, s6, v21
	v_mul_f32_e32 v3, s7, v21
	s_delay_alu instid0(VALU_DEP_3) | instskip(NEXT) | instid1(VALU_DEP_3)
	v_lshlrev_b64 v[1:2], 3, v[0:1]
	v_fmac_f32_e32 v8, s7, v20
	s_delay_alu instid0(VALU_DEP_3) | instskip(NEXT) | instid1(VALU_DEP_3)
	v_fma_f32 v7, v20, s6, -v3
	v_add_co_u32 v1, s0, v4, v1
	s_delay_alu instid0(VALU_DEP_1)
	v_add_co_ci_u32_e64 v2, s0, v6, v2, s0
	v_cmp_eq_u32_e64 s0, v5, v0
	global_store_b64 v[1:2], v[7:8], off
	s_and_b32 exec_lo, exec_lo, s0
	s_cbranch_execz .LBB1760_14
; %bb.13:
	v_mov_b32_e32 v3, 0
	global_store_b32 v[1:2], v3, off offset:4
.LBB1760_14:
	s_or_b32 exec_lo, exec_lo, s1
	v_add_nc_u32_e32 v2, 16, v0
	s_delay_alu instid0(VALU_DEP_1) | instskip(NEXT) | instid1(VALU_DEP_1)
	v_cmp_le_i32_e64 s0, v2, v5
	s_and_b32 s1, vcc_lo, s0
	s_delay_alu instid0(SALU_CYCLE_1)
	s_and_saveexec_b32 s0, s1
	s_cbranch_execz .LBB1760_17
; %bb.15:
	v_ashrrev_i32_e32 v3, 31, v2
	v_mul_f32_e32 v8, s6, v19
	v_mul_f32_e32 v1, s7, v19
	s_delay_alu instid0(VALU_DEP_3) | instskip(NEXT) | instid1(VALU_DEP_3)
	v_lshlrev_b64 v[9:10], 3, v[2:3]
	v_fmac_f32_e32 v8, s7, v18
	s_delay_alu instid0(VALU_DEP_3) | instskip(NEXT) | instid1(VALU_DEP_3)
	v_fma_f32 v7, v18, s6, -v1
	v_add_co_u32 v3, vcc_lo, v4, v9
	s_delay_alu instid0(VALU_DEP_4)
	v_add_co_ci_u32_e32 v4, vcc_lo, v6, v10, vcc_lo
	v_cmp_eq_u32_e32 vcc_lo, v5, v2
	global_store_b64 v[3:4], v[7:8], off
	s_and_b32 exec_lo, exec_lo, vcc_lo
	s_cbranch_execz .LBB1760_17
; %bb.16:
	v_mov_b32_e32 v1, 0
	global_store_b32 v[3:4], v1, off offset:4
.LBB1760_17:
	s_or_b32 exec_lo, exec_lo, s0
	v_add_nc_u32_e32 v8, 16, v5
	s_delay_alu instid0(VALU_DEP_1) | instskip(SKIP_3) | instid1(VALU_DEP_4)
	v_ashrrev_i32_e32 v1, 31, v8
	v_mul_lo_u32 v6, v8, s19
	v_mad_u64_u32 v[3:4], null, v8, s18, 0
	v_cmp_gt_i32_e32 vcc_lo, s12, v8
	v_mul_lo_u32 v1, v1, s18
	v_cmp_le_i32_e64 s0, v0, v8
	s_delay_alu instid0(VALU_DEP_1) | instskip(NEXT) | instid1(VALU_DEP_2)
	s_and_b32 s0, vcc_lo, s0
	v_add3_u32 v4, v4, v6, v1
	s_delay_alu instid0(VALU_DEP_1) | instskip(NEXT) | instid1(VALU_DEP_1)
	v_lshlrev_b64 v[3:4], 3, v[3:4]
	v_add_co_u32 v6, s1, s16, v3
	s_delay_alu instid0(VALU_DEP_1)
	v_add_co_ci_u32_e64 v7, s1, s17, v4, s1
	s_and_saveexec_b32 s1, s0
	s_cbranch_execz .LBB1760_20
; %bb.18:
	v_ashrrev_i32_e32 v1, 31, v0
	v_mul_f32_e32 v10, s6, v17
	v_mul_f32_e32 v9, s7, v17
	s_delay_alu instid0(VALU_DEP_3) | instskip(NEXT) | instid1(VALU_DEP_3)
	v_lshlrev_b64 v[3:4], 3, v[0:1]
	v_fmac_f32_e32 v10, s7, v16
	s_delay_alu instid0(VALU_DEP_3) | instskip(NEXT) | instid1(VALU_DEP_3)
	v_fma_f32 v9, v16, s6, -v9
	v_add_co_u32 v3, s0, v6, v3
	s_delay_alu instid0(VALU_DEP_1)
	v_add_co_ci_u32_e64 v4, s0, v7, v4, s0
	v_cmp_eq_u32_e64 s0, v8, v0
	global_store_b64 v[3:4], v[9:10], off
	s_and_b32 exec_lo, exec_lo, s0
	s_cbranch_execz .LBB1760_20
; %bb.19:
	v_mov_b32_e32 v1, 0
	global_store_b32 v[3:4], v1, off offset:4
.LBB1760_20:
	s_or_b32 exec_lo, exec_lo, s1
	v_cmp_le_i32_e64 s0, v2, v8
	s_delay_alu instid0(VALU_DEP_1) | instskip(NEXT) | instid1(SALU_CYCLE_1)
	s_and_b32 s0, vcc_lo, s0
	s_and_saveexec_b32 s1, s0
	s_cbranch_execz .LBB1760_23
; %bb.21:
	v_ashrrev_i32_e32 v3, 31, v2
	v_mul_f32_e32 v8, s7, v15
	v_mul_f32_e32 v4, s6, v15
	s_delay_alu instid0(VALU_DEP_3) | instskip(NEXT) | instid1(VALU_DEP_3)
	v_lshlrev_b64 v[1:2], 3, v[2:3]
	v_fma_f32 v3, v14, s6, -v8
	s_delay_alu instid0(VALU_DEP_3) | instskip(NEXT) | instid1(VALU_DEP_3)
	v_fmac_f32_e32 v4, s7, v14
	v_add_co_u32 v1, vcc_lo, v6, v1
	s_delay_alu instid0(VALU_DEP_4)
	v_add_co_ci_u32_e32 v2, vcc_lo, v7, v2, vcc_lo
	v_cmp_eq_u32_e32 vcc_lo, v5, v0
	global_store_b64 v[1:2], v[3:4], off
	s_and_b32 exec_lo, exec_lo, vcc_lo
	s_cbranch_execz .LBB1760_23
; %bb.22:
	v_mov_b32_e32 v0, 0
	global_store_b32 v[1:2], v0, off offset:4
.LBB1760_23:
	s_nop 0
	s_sendmsg sendmsg(MSG_DEALLOC_VGPRS)
	s_endpgm
	.section	.rodata,"a",@progbits
	.p2align	6, 0x0
	.amdhsa_kernel _ZL34rocblas_syrkx_herkx_general_kernelIl19rocblas_complex_numIfELi16ELi32ELi8ELb1ELb1ELc67ELc85EKPKS1_KPS1_EviT_T0_PT8_S7_lSA_S7_lS8_PT9_S7_li
		.amdhsa_group_segment_fixed_size 4096
		.amdhsa_private_segment_fixed_size 0
		.amdhsa_kernarg_size 108
		.amdhsa_user_sgpr_count 13
		.amdhsa_user_sgpr_dispatch_ptr 0
		.amdhsa_user_sgpr_queue_ptr 0
		.amdhsa_user_sgpr_kernarg_segment_ptr 1
		.amdhsa_user_sgpr_dispatch_id 0
		.amdhsa_user_sgpr_private_segment_size 0
		.amdhsa_wavefront_size32 1
		.amdhsa_uses_dynamic_stack 0
		.amdhsa_enable_private_segment 0
		.amdhsa_system_sgpr_workgroup_id_x 1
		.amdhsa_system_sgpr_workgroup_id_y 1
		.amdhsa_system_sgpr_workgroup_id_z 1
		.amdhsa_system_sgpr_workgroup_info 0
		.amdhsa_system_vgpr_workitem_id 1
		.amdhsa_next_free_vgpr 59
		.amdhsa_next_free_sgpr 24
		.amdhsa_reserve_vcc 1
		.amdhsa_float_round_mode_32 0
		.amdhsa_float_round_mode_16_64 0
		.amdhsa_float_denorm_mode_32 3
		.amdhsa_float_denorm_mode_16_64 3
		.amdhsa_dx10_clamp 1
		.amdhsa_ieee_mode 1
		.amdhsa_fp16_overflow 0
		.amdhsa_workgroup_processor_mode 1
		.amdhsa_memory_ordered 1
		.amdhsa_forward_progress 0
		.amdhsa_shared_vgpr_count 0
		.amdhsa_exception_fp_ieee_invalid_op 0
		.amdhsa_exception_fp_denorm_src 0
		.amdhsa_exception_fp_ieee_div_zero 0
		.amdhsa_exception_fp_ieee_overflow 0
		.amdhsa_exception_fp_ieee_underflow 0
		.amdhsa_exception_fp_ieee_inexact 0
		.amdhsa_exception_int_div_zero 0
	.end_amdhsa_kernel
	.section	.text._ZL34rocblas_syrkx_herkx_general_kernelIl19rocblas_complex_numIfELi16ELi32ELi8ELb1ELb1ELc67ELc85EKPKS1_KPS1_EviT_T0_PT8_S7_lSA_S7_lS8_PT9_S7_li,"axG",@progbits,_ZL34rocblas_syrkx_herkx_general_kernelIl19rocblas_complex_numIfELi16ELi32ELi8ELb1ELb1ELc67ELc85EKPKS1_KPS1_EviT_T0_PT8_S7_lSA_S7_lS8_PT9_S7_li,comdat
.Lfunc_end1760:
	.size	_ZL34rocblas_syrkx_herkx_general_kernelIl19rocblas_complex_numIfELi16ELi32ELi8ELb1ELb1ELc67ELc85EKPKS1_KPS1_EviT_T0_PT8_S7_lSA_S7_lS8_PT9_S7_li, .Lfunc_end1760-_ZL34rocblas_syrkx_herkx_general_kernelIl19rocblas_complex_numIfELi16ELi32ELi8ELb1ELb1ELc67ELc85EKPKS1_KPS1_EviT_T0_PT8_S7_lSA_S7_lS8_PT9_S7_li
                                        ; -- End function
	.section	.AMDGPU.csdata,"",@progbits
; Kernel info:
; codeLenInByte = 2680
; NumSgprs: 26
; NumVgprs: 59
; ScratchSize: 0
; MemoryBound: 1
; FloatMode: 240
; IeeeMode: 1
; LDSByteSize: 4096 bytes/workgroup (compile time only)
; SGPRBlocks: 3
; VGPRBlocks: 7
; NumSGPRsForWavesPerEU: 26
; NumVGPRsForWavesPerEU: 59
; Occupancy: 16
; WaveLimiterHint : 1
; COMPUTE_PGM_RSRC2:SCRATCH_EN: 0
; COMPUTE_PGM_RSRC2:USER_SGPR: 13
; COMPUTE_PGM_RSRC2:TRAP_HANDLER: 0
; COMPUTE_PGM_RSRC2:TGID_X_EN: 1
; COMPUTE_PGM_RSRC2:TGID_Y_EN: 1
; COMPUTE_PGM_RSRC2:TGID_Z_EN: 1
; COMPUTE_PGM_RSRC2:TIDIG_COMP_CNT: 1
	.section	.text._ZL34rocblas_syrkx_herkx_general_kernelIl19rocblas_complex_numIfELi16ELi32ELi8ELb1ELb1ELc78ELc85EKPKS1_KPS1_EviT_T0_PT8_S7_lSA_S7_lS8_PT9_S7_li,"axG",@progbits,_ZL34rocblas_syrkx_herkx_general_kernelIl19rocblas_complex_numIfELi16ELi32ELi8ELb1ELb1ELc78ELc85EKPKS1_KPS1_EviT_T0_PT8_S7_lSA_S7_lS8_PT9_S7_li,comdat
	.globl	_ZL34rocblas_syrkx_herkx_general_kernelIl19rocblas_complex_numIfELi16ELi32ELi8ELb1ELb1ELc78ELc85EKPKS1_KPS1_EviT_T0_PT8_S7_lSA_S7_lS8_PT9_S7_li ; -- Begin function _ZL34rocblas_syrkx_herkx_general_kernelIl19rocblas_complex_numIfELi16ELi32ELi8ELb1ELb1ELc78ELc85EKPKS1_KPS1_EviT_T0_PT8_S7_lSA_S7_lS8_PT9_S7_li
	.p2align	8
	.type	_ZL34rocblas_syrkx_herkx_general_kernelIl19rocblas_complex_numIfELi16ELi32ELi8ELb1ELb1ELc78ELc85EKPKS1_KPS1_EviT_T0_PT8_S7_lSA_S7_lS8_PT9_S7_li,@function
_ZL34rocblas_syrkx_herkx_general_kernelIl19rocblas_complex_numIfELi16ELi32ELi8ELb1ELb1ELc78ELc85EKPKS1_KPS1_EviT_T0_PT8_S7_lSA_S7_lS8_PT9_S7_li: ; @_ZL34rocblas_syrkx_herkx_general_kernelIl19rocblas_complex_numIfELi16ELi32ELi8ELb1ELb1ELc78ELc85EKPKS1_KPS1_EviT_T0_PT8_S7_lSA_S7_lS8_PT9_S7_li
; %bb.0:
	s_clause 0x1
	s_load_b128 s[16:19], s[0:1], 0x50
	s_load_b256 s[4:11], s[0:1], 0x8
	s_mov_b32 s2, s15
	s_mov_b32 s3, 0
	v_dual_mov_b32 v21, 0 :: v_dual_and_b32 v6, 0x3ff, v0
	s_lshl_b64 s[20:21], s[2:3], 3
	v_bfe_u32 v7, v0, 10, 10
	v_dual_mov_b32 v20, 0 :: v_dual_mov_b32 v19, 0
	v_dual_mov_b32 v18, 0 :: v_dual_mov_b32 v17, 0
	;; [unrolled: 1-line block ×3, first 2 shown]
	v_mov_b32_e32 v14, 0
	s_waitcnt lgkmcnt(0)
	s_add_u32 s2, s16, s20
	s_addc_u32 s3, s17, s21
	s_load_b32 s16, s[0:1], 0x0
	s_load_b64 s[2:3], s[2:3], 0x0
	v_cmp_lt_i64_e64 s12, s[4:5], 1
	s_lshl_b32 s17, s13, 5
	s_lshl_b32 s22, s14, 5
	s_delay_alu instid0(VALU_DEP_1)
	s_and_b32 vcc_lo, exec_lo, s12
	s_cbranch_vccnz .LBB1761_11
; %bb.1:
	s_load_b128 s[12:15], s[0:1], 0x30
	v_lshl_add_u32 v1, v7, 4, v6
	v_dual_mov_b32 v0, 0 :: v_dual_lshlrev_b32 v9, 3, v6
	v_lshl_add_u32 v10, v7, 6, 0x800
	s_delay_alu instid0(VALU_DEP_3) | instskip(SKIP_2) | instid1(VALU_DEP_3)
	v_lshrrev_b32_e32 v11, 5, v1
	v_and_b32_e32 v5, 31, v1
	v_lshrrev_b32_e32 v2, 3, v1
	v_mad_u64_u32 v[14:15], null, s10, v11, 0
	v_and_b32_e32 v8, 7, v6
	s_delay_alu instid0(VALU_DEP_4)
	v_or_b32_e32 v13, s17, v5
	v_lshlrev_b32_e32 v17, 3, v5
	v_add_nc_u32_e32 v16, s17, v5
	v_add_nc_u32_e32 v1, s22, v2
	v_mov_b32_e32 v5, v15
	s_waitcnt lgkmcnt(0)
	v_mad_u64_u32 v[3:4], null, s14, v8, 0
	s_add_u32 s12, s12, s20
	s_addc_u32 s13, s13, s21
	s_add_u32 s8, s8, s20
	s_load_b64 s[12:13], s[12:13], 0x0
	s_addc_u32 s9, s9, s21
	v_cmp_gt_i32_e64 s0, s16, v1
	s_delay_alu instid0(VALU_DEP_2)
	v_mad_u64_u32 v[18:19], null, s15, v8, v[4:5]
	v_mad_u64_u32 v[19:20], null, s11, v11, v[5:6]
	v_lshlrev_b32_e32 v12, 3, v8
	s_load_b64 s[20:21], s[8:9], 0x0
	v_cmp_gt_i32_e32 vcc_lo, s16, v13
	s_lshl_b64 s[8:9], s[10:11], 6
	s_delay_alu instid0(VALU_DEP_4) | instskip(SKIP_1) | instid1(VALU_DEP_4)
	v_mov_b32_e32 v4, v18
	s_lshl_b64 s[10:11], s[14:15], 6
	v_mov_b32_e32 v15, v19
	v_lshl_or_b32 v21, v2, 6, v12
	v_ashrrev_i32_e32 v2, 31, v1
	v_lshl_or_b32 v12, v11, 8, v17
	v_ashrrev_i32_e32 v17, 31, v16
	v_lshlrev_b64 v[3:4], 3, v[3:4]
	v_lshlrev_b64 v[14:15], 3, v[14:15]
	;; [unrolled: 1-line block ×3, first 2 shown]
	v_dual_mov_b32 v18, 0 :: v_dual_add_nc_u32 v13, 0x800, v21
	v_lshlrev_b64 v[16:17], 3, v[16:17]
	v_mov_b32_e32 v19, 0
	v_mov_b32_e32 v21, 0
	v_add_co_u32 v1, s1, v3, v1
	s_delay_alu instid0(VALU_DEP_1) | instskip(SKIP_1) | instid1(VALU_DEP_1)
	v_add_co_ci_u32_e64 v2, s1, v4, v2, s1
	v_add_co_u32 v3, s1, v14, v16
	v_add_co_ci_u32_e64 v4, s1, v15, v17, s1
	s_waitcnt lgkmcnt(0)
	v_add_co_u32 v1, s1, v1, s12
	s_delay_alu instid0(VALU_DEP_1) | instskip(SKIP_1) | instid1(VALU_DEP_1)
	v_add_co_ci_u32_e64 v5, s1, s13, v2, s1
	v_add_co_u32 v2, s1, s20, v3
	v_add_co_ci_u32_e64 v3, s1, s21, v4, s1
	s_delay_alu instid0(VALU_DEP_4) | instskip(NEXT) | instid1(VALU_DEP_1)
	v_add_co_u32 v4, s1, v1, 4
	v_add_co_ci_u32_e64 v5, s1, 0, v5, s1
	v_dual_mov_b32 v15, 0 :: v_dual_mov_b32 v14, 0
	v_dual_mov_b32 v17, 0 :: v_dual_mov_b32 v20, 0
	v_mov_b32_e32 v16, 0
	s_mov_b64 s[12:13], 0
	s_xor_b32 s1, vcc_lo, -1
	s_xor_b32 s0, s0, -1
	s_branch .LBB1761_3
.LBB1761_2:                             ;   in Loop: Header=BB1761_3 Depth=1
	s_or_b32 exec_lo, exec_lo, s14
	ds_store_b32 v13, v1 offset:4
	s_waitcnt lgkmcnt(0)
	s_barrier
	buffer_gl0_inv
	ds_load_2addr_b64 v[22:25], v9 offset1:16
	ds_load_b128 v[26:29], v10
	ds_load_b128 v[30:33], v10 offset:1024
	ds_load_b128 v[34:37], v10 offset:16
	;; [unrolled: 1-line block ×4, first 2 shown]
	ds_load_2addr_b64 v[46:49], v9 offset0:32 offset1:48
	ds_load_b128 v[50:53], v10 offset:1040
	s_add_u32 s12, s12, 8
	s_addc_u32 s13, s13, 0
	v_add_co_u32 v2, vcc_lo, v2, s8
	v_cmp_ge_i64_e64 s14, s[12:13], s[4:5]
	v_add_co_ci_u32_e32 v3, vcc_lo, s9, v3, vcc_lo
	v_add_co_u32 v4, vcc_lo, v4, s10
	v_add_co_ci_u32_e32 v5, vcc_lo, s11, v5, vcc_lo
	s_delay_alu instid0(VALU_DEP_4)
	s_and_b32 vcc_lo, exec_lo, s14
	s_waitcnt lgkmcnt(6)
	v_dual_mul_f32 v1, v27, v23 :: v_dual_mul_f32 v56, v26, v25
	v_dual_mul_f32 v54, v26, v23 :: v_dual_mul_f32 v55, v27, v25
	s_waitcnt lgkmcnt(5)
	v_mul_f32_e32 v58, v31, v25
	s_delay_alu instid0(VALU_DEP_3) | instskip(SKIP_3) | instid1(VALU_DEP_4)
	v_fma_f32 v1, v26, v22, -v1
	v_dual_mul_f32 v25, v30, v25 :: v_dual_fmac_f32 v56, v27, v24
	v_fmac_f32_e32 v54, v27, v22
	v_fma_f32 v26, v26, v24, -v55
	v_add_f32_e32 v1, v20, v1
	v_mul_f32_e32 v57, v31, v23
	s_delay_alu instid0(VALU_DEP_4) | instskip(SKIP_2) | instid1(VALU_DEP_4)
	v_dual_mul_f32 v23, v30, v23 :: v_dual_add_f32 v20, v21, v54
	v_fmac_f32_e32 v25, v31, v24
	v_dual_add_f32 v21, v18, v26 :: v_dual_add_f32 v26, v19, v56
	v_fma_f32 v27, v30, v22, -v57
	s_delay_alu instid0(VALU_DEP_4) | instskip(SKIP_3) | instid1(VALU_DEP_2)
	v_fmac_f32_e32 v23, v31, v22
	v_fma_f32 v22, v30, v24, -v58
	s_waitcnt lgkmcnt(1)
	v_mul_f32_e32 v30, v29, v47
	v_dual_add_f32 v27, v16, v27 :: v_dual_add_f32 v14, v14, v22
	v_dual_mul_f32 v22, v28, v47 :: v_dual_add_f32 v15, v15, v25
	v_mul_f32_e32 v25, v28, v49
	s_delay_alu instid0(VALU_DEP_4) | instskip(NEXT) | instid1(VALU_DEP_3)
	v_fma_f32 v24, v28, v46, -v30
	v_fmac_f32_e32 v22, v29, v46
	v_add_f32_e32 v23, v17, v23
	ds_load_2addr_b64 v[16:19], v9 offset0:64 offset1:80
	v_mul_f32_e32 v30, v29, v49
	v_fmac_f32_e32 v25, v29, v48
	v_add_f32_e32 v1, v1, v24
	s_delay_alu instid0(VALU_DEP_2) | instskip(SKIP_1) | instid1(VALU_DEP_1)
	v_add_f32_e32 v25, v26, v25
	v_mul_f32_e32 v26, v32, v49
	v_fmac_f32_e32 v26, v33, v48
	s_waitcnt lgkmcnt(0)
	s_delay_alu instid0(VALU_DEP_1) | instskip(SKIP_1) | instid1(VALU_DEP_2)
	v_dual_add_f32 v26, v15, v26 :: v_dual_mul_f32 v29, v34, v17
	v_mul_f32_e32 v15, v34, v19
	v_fmac_f32_e32 v29, v35, v16
	v_fma_f32 v24, v28, v48, -v30
	v_mul_f32_e32 v28, v33, v47
	v_add_f32_e32 v30, v20, v22
	v_mul_f32_e32 v20, v32, v47
	v_mul_f32_e32 v22, v33, v49
	v_add_f32_e32 v24, v21, v24
	v_fma_f32 v21, v32, v46, -v28
	s_delay_alu instid0(VALU_DEP_4) | instskip(SKIP_1) | instid1(VALU_DEP_3)
	v_dual_add_f32 v29, v30, v29 :: v_dual_fmac_f32 v20, v33, v46
	v_fmac_f32_e32 v15, v35, v18
	v_add_f32_e32 v27, v27, v21
	v_fma_f32 v21, v32, v48, -v22
	v_mul_f32_e32 v22, v35, v17
	v_mul_f32_e32 v32, v35, v19
	v_add_f32_e32 v28, v23, v20
	s_delay_alu instid0(VALU_DEP_4) | instskip(NEXT) | instid1(VALU_DEP_4)
	v_add_f32_e32 v14, v14, v21
	v_fma_f32 v31, v34, v16, -v22
	ds_load_2addr_b64 v[20:23], v9 offset0:96 offset1:112
	v_add_f32_e32 v1, v1, v31
	v_fma_f32 v31, v34, v18, -v32
	s_delay_alu instid0(VALU_DEP_1) | instskip(SKIP_3) | instid1(VALU_DEP_3)
	v_add_f32_e32 v24, v24, v31
	v_mul_f32_e32 v31, v51, v19
	v_mul_f32_e32 v19, v50, v19
	v_add_f32_e32 v32, v25, v15
	v_fma_f32 v15, v50, v18, -v31
	s_delay_alu instid0(VALU_DEP_3)
	v_fmac_f32_e32 v19, v51, v18
	v_mul_f32_e32 v30, v51, v17
	v_mul_f32_e32 v17, v50, v17
	s_waitcnt lgkmcnt(0)
	v_dual_mul_f32 v18, v37, v21 :: v_dual_add_f32 v31, v14, v15
	v_add_f32_e32 v33, v26, v19
	v_fma_f32 v30, v50, v16, -v30
	v_fmac_f32_e32 v17, v51, v16
	s_delay_alu instid0(VALU_DEP_4) | instskip(SKIP_1) | instid1(VALU_DEP_4)
	v_fma_f32 v18, v36, v20, -v18
	v_mul_f32_e32 v25, v36, v21
	v_dual_mul_f32 v19, v36, v23 :: v_dual_add_f32 v30, v27, v30
	s_delay_alu instid0(VALU_DEP_4) | instskip(SKIP_4) | instid1(VALU_DEP_2)
	v_add_f32_e32 v28, v28, v17
	ds_load_2addr_b64 v[14:17], v9 offset0:128 offset1:144
	v_add_f32_e32 v1, v1, v18
	v_mul_f32_e32 v18, v53, v21
	v_fmac_f32_e32 v19, v37, v22
	v_fma_f32 v18, v52, v20, -v18
	v_mul_f32_e32 v27, v37, v23
	s_delay_alu instid0(VALU_DEP_1) | instskip(NEXT) | instid1(VALU_DEP_3)
	v_fma_f32 v26, v36, v22, -v27
	v_add_f32_e32 v36, v30, v18
	s_waitcnt lgkmcnt(0)
	s_delay_alu instid0(VALU_DEP_2) | instskip(SKIP_2) | instid1(VALU_DEP_3)
	v_dual_add_f32 v35, v24, v26 :: v_dual_mul_f32 v46, v38, v15
	v_dual_fmac_f32 v25, v37, v20 :: v_dual_add_f32 v32, v32, v19
	v_mul_f32_e32 v18, v39, v15
	v_fmac_f32_e32 v46, v39, v14
	s_delay_alu instid0(VALU_DEP_3)
	v_add_f32_e32 v34, v29, v25
	v_mul_f32_e32 v29, v53, v23
	v_mul_f32_e32 v23, v52, v23
	ds_load_b128 v[24:27], v10 offset:1056
	v_add_f32_e32 v34, v34, v46
	v_fma_f32 v19, v52, v22, -v29
	v_mul_f32_e32 v21, v52, v21
	v_fmac_f32_e32 v23, v53, v22
	v_mul_f32_e32 v29, v39, v17
	s_delay_alu instid0(VALU_DEP_3) | instskip(NEXT) | instid1(VALU_DEP_3)
	v_dual_add_f32 v22, v31, v19 :: v_dual_fmac_f32 v21, v53, v20
	v_add_f32_e32 v23, v33, v23
	s_delay_alu instid0(VALU_DEP_2) | instskip(SKIP_4) | instid1(VALU_DEP_2)
	v_add_f32_e32 v37, v28, v21
	v_fma_f32 v28, v38, v14, -v18
	ds_load_2addr_b64 v[18:21], v9 offset0:160 offset1:176
	v_mul_f32_e32 v33, v38, v17
	v_fma_f32 v38, v38, v16, -v29
	v_fmac_f32_e32 v33, v39, v16
	s_delay_alu instid0(VALU_DEP_1)
	v_dual_add_f32 v35, v35, v38 :: v_dual_add_f32 v32, v32, v33
	v_add_f32_e32 v1, v1, v28
	ds_load_b128 v[28:31], v10 offset:1072
	s_waitcnt lgkmcnt(2)
	v_mul_f32_e32 v47, v25, v15
	v_mul_f32_e32 v15, v24, v15
	;; [unrolled: 1-line block ×4, first 2 shown]
	s_delay_alu instid0(VALU_DEP_4) | instskip(NEXT) | instid1(VALU_DEP_4)
	v_fma_f32 v38, v24, v14, -v47
	v_fmac_f32_e32 v15, v25, v14
	s_delay_alu instid0(VALU_DEP_4)
	v_fma_f32 v14, v24, v16, -v39
	s_waitcnt lgkmcnt(1)
	v_mul_f32_e32 v17, v41, v19
	v_dual_fmac_f32 v33, v25, v16 :: v_dual_add_f32 v36, v36, v38
	v_add_f32_e32 v24, v37, v15
	v_add_f32_e32 v22, v22, v14
	s_delay_alu instid0(VALU_DEP_4) | instskip(SKIP_2) | instid1(VALU_DEP_1)
	v_fma_f32 v37, v40, v18, -v17
	ds_load_2addr_b64 v[14:17], v9 offset0:192 offset1:208
	v_dual_mul_f32 v25, v40, v19 :: v_dual_mul_f32 v38, v41, v21
	v_fmac_f32_e32 v25, v41, v18
	s_delay_alu instid0(VALU_DEP_1) | instskip(SKIP_4) | instid1(VALU_DEP_3)
	v_add_f32_e32 v34, v34, v25
	v_add_f32_e32 v33, v23, v33
	v_mul_f32_e32 v23, v40, v21
	v_mul_f32_e32 v25, v27, v19
	;; [unrolled: 1-line block ×3, first 2 shown]
	v_fmac_f32_e32 v23, v41, v20
	s_delay_alu instid0(VALU_DEP_3) | instskip(NEXT) | instid1(VALU_DEP_2)
	v_fma_f32 v25, v26, v18, -v25
	v_dual_fmac_f32 v19, v27, v18 :: v_dual_add_f32 v18, v32, v23
	s_waitcnt lgkmcnt(0)
	v_dual_mul_f32 v32, v43, v15 :: v_dual_add_f32 v1, v1, v37
	v_fma_f32 v37, v40, v20, -v38
	s_delay_alu instid0(VALU_DEP_3) | instskip(NEXT) | instid1(VALU_DEP_3)
	v_add_f32_e32 v19, v24, v19
	v_fma_f32 v32, v42, v14, -v32
	s_delay_alu instid0(VALU_DEP_1) | instskip(NEXT) | instid1(VALU_DEP_4)
	v_add_f32_e32 v1, v1, v32
	v_add_f32_e32 v35, v35, v37
	v_mul_f32_e32 v37, v27, v21
	v_dual_mul_f32 v21, v26, v21 :: v_dual_mul_f32 v32, v29, v15
	s_delay_alu instid0(VALU_DEP_2) | instskip(NEXT) | instid1(VALU_DEP_2)
	v_fma_f32 v23, v26, v20, -v37
	v_dual_add_f32 v26, v36, v25 :: v_dual_fmac_f32 v21, v27, v20
	v_mul_f32_e32 v27, v42, v15
	v_mul_f32_e32 v15, v28, v15
	s_delay_alu instid0(VALU_DEP_4)
	v_add_f32_e32 v20, v22, v23
	ds_load_2addr_b64 v[22:25], v9 offset0:224 offset1:240
	v_fma_f32 v32, v28, v14, -v32
	v_dual_fmac_f32 v27, v43, v14 :: v_dual_mul_f32 v36, v42, v17
	v_fmac_f32_e32 v15, v29, v14
	s_waitcnt lgkmcnt(0)
	s_delay_alu instid0(VALU_DEP_3) | instskip(NEXT) | instid1(VALU_DEP_3)
	v_add_f32_e32 v14, v26, v32
	v_dual_add_f32 v27, v34, v27 :: v_dual_fmac_f32 v36, v43, v16
	s_delay_alu instid0(VALU_DEP_3)
	v_dual_mul_f32 v34, v29, v17 :: v_dual_add_f32 v15, v19, v15
	s_barrier
	buffer_gl0_inv
	v_mul_f32_e32 v26, v45, v23
	v_add_f32_e32 v21, v33, v21
	v_mul_f32_e32 v33, v43, v17
	v_mul_f32_e32 v17, v28, v17
	;; [unrolled: 1-line block ×3, first 2 shown]
	s_delay_alu instid0(VALU_DEP_3) | instskip(NEXT) | instid1(VALU_DEP_3)
	v_fma_f32 v33, v42, v16, -v33
	v_fmac_f32_e32 v17, v29, v16
	s_delay_alu instid0(VALU_DEP_3) | instskip(NEXT) | instid1(VALU_DEP_3)
	v_fmac_f32_e32 v19, v45, v24
	v_add_f32_e32 v33, v35, v33
	v_add_f32_e32 v35, v18, v36
	v_fma_f32 v18, v28, v16, -v34
	v_fma_f32 v16, v44, v22, -v26
	v_mul_f32_e32 v28, v44, v23
	v_dual_add_f32 v26, v21, v17 :: v_dual_mul_f32 v17, v30, v23
	s_delay_alu instid0(VALU_DEP_4) | instskip(NEXT) | instid1(VALU_DEP_4)
	v_dual_add_f32 v29, v20, v18 :: v_dual_mul_f32 v18, v45, v25
	v_add_f32_e32 v20, v1, v16
	v_mul_f32_e32 v16, v31, v23
	v_mul_f32_e32 v23, v31, v25
	;; [unrolled: 1-line block ×3, first 2 shown]
	v_fma_f32 v1, v44, v24, -v18
	v_fmac_f32_e32 v28, v45, v22
	v_fmac_f32_e32 v17, v31, v22
	v_add_f32_e32 v19, v35, v19
	s_delay_alu instid0(VALU_DEP_4)
	v_dual_fmac_f32 v25, v31, v24 :: v_dual_add_f32 v18, v33, v1
	v_fma_f32 v1, v30, v22, -v16
	v_fma_f32 v22, v30, v24, -v23
	v_add_f32_e32 v21, v27, v28
	v_add_f32_e32 v17, v15, v17
	;; [unrolled: 1-line block ×5, first 2 shown]
	s_cbranch_vccnz .LBB1761_11
.LBB1761_3:                             ; =>This Inner Loop Header: Depth=1
	v_add_co_u32 v22, s14, v11, s12
	s_delay_alu instid0(VALU_DEP_1) | instskip(NEXT) | instid1(VALU_DEP_1)
	v_add_co_ci_u32_e64 v23, null, 0, s13, s14
	v_cmp_le_i64_e32 vcc_lo, s[4:5], v[22:23]
	s_or_b32 s14, s1, vcc_lo
	s_delay_alu instid0(SALU_CYCLE_1) | instskip(NEXT) | instid1(SALU_CYCLE_1)
	s_and_saveexec_b32 s15, s14
	s_xor_b32 s14, exec_lo, s15
	s_cbranch_execz .LBB1761_5
; %bb.4:                                ;   in Loop: Header=BB1761_3 Depth=1
	v_mov_b32_e32 v1, v0
	ds_store_b64 v12, v[0:1]
.LBB1761_5:                             ;   in Loop: Header=BB1761_3 Depth=1
	s_and_not1_saveexec_b32 s14, s14
	s_cbranch_execz .LBB1761_7
; %bb.6:                                ;   in Loop: Header=BB1761_3 Depth=1
	global_load_b64 v[22:23], v[2:3], off
	s_waitcnt vmcnt(0)
	ds_store_b64 v12, v[22:23]
.LBB1761_7:                             ;   in Loop: Header=BB1761_3 Depth=1
	s_or_b32 exec_lo, exec_lo, s14
	v_add_co_u32 v22, s14, v8, s12
	s_delay_alu instid0(VALU_DEP_1) | instskip(NEXT) | instid1(VALU_DEP_1)
	v_add_co_ci_u32_e64 v23, null, 0, s13, s14
                                        ; implicit-def: $sgpr15
	v_cmp_le_i64_e32 vcc_lo, s[4:5], v[22:23]
	s_or_b32 s14, vcc_lo, s0
	s_delay_alu instid0(SALU_CYCLE_1) | instskip(NEXT) | instid1(SALU_CYCLE_1)
	s_and_saveexec_b32 s20, s14
	s_xor_b32 s14, exec_lo, s20
	s_cbranch_execz .LBB1761_9
; %bb.8:                                ;   in Loop: Header=BB1761_3 Depth=1
	s_mov_b32 s15, 0
	ds_store_b32 v13, v0
.LBB1761_9:                             ;   in Loop: Header=BB1761_3 Depth=1
	s_or_saveexec_b32 s14, s14
	v_mov_b32_e32 v1, s15
	s_xor_b32 exec_lo, exec_lo, s14
	s_cbranch_execz .LBB1761_2
; %bb.10:                               ;   in Loop: Header=BB1761_3 Depth=1
	global_load_b64 v[22:23], v[4:5], off offset:-4
	s_waitcnt vmcnt(0)
	v_xor_b32_e32 v1, 0x80000000, v23
	ds_store_b32 v13, v22
	s_branch .LBB1761_2
.LBB1761_11:
	v_add_nc_u32_e32 v5, s22, v7
	s_delay_alu instid0(VALU_DEP_1)
	v_ashrrev_i32_e32 v0, 31, v5
	v_mul_lo_u32 v3, v5, s19
	v_mad_u64_u32 v[1:2], null, v5, s18, 0
	s_waitcnt lgkmcnt(0)
	v_cmp_gt_i32_e32 vcc_lo, s16, v5
	v_mul_lo_u32 v0, v0, s18
	s_delay_alu instid0(VALU_DEP_1) | instskip(SKIP_1) | instid1(VALU_DEP_2)
	v_add3_u32 v2, v2, v3, v0
	v_add_nc_u32_e32 v0, s17, v6
	v_lshlrev_b64 v[1:2], 3, v[1:2]
	s_delay_alu instid0(VALU_DEP_2) | instskip(NEXT) | instid1(VALU_DEP_1)
	v_cmp_le_i32_e64 s0, v0, v5
	s_and_b32 s0, vcc_lo, s0
	s_delay_alu instid0(VALU_DEP_2) | instskip(NEXT) | instid1(VALU_DEP_1)
	v_add_co_u32 v4, s1, s2, v1
	v_add_co_ci_u32_e64 v6, s1, s3, v2, s1
	s_and_saveexec_b32 s1, s0
	s_cbranch_execz .LBB1761_14
; %bb.12:
	v_ashrrev_i32_e32 v1, 31, v0
	v_mul_f32_e32 v8, s6, v21
	v_mul_f32_e32 v3, s7, v21
	s_delay_alu instid0(VALU_DEP_3) | instskip(NEXT) | instid1(VALU_DEP_3)
	v_lshlrev_b64 v[1:2], 3, v[0:1]
	v_fmac_f32_e32 v8, s7, v20
	s_delay_alu instid0(VALU_DEP_3) | instskip(NEXT) | instid1(VALU_DEP_3)
	v_fma_f32 v7, v20, s6, -v3
	v_add_co_u32 v1, s0, v4, v1
	s_delay_alu instid0(VALU_DEP_1)
	v_add_co_ci_u32_e64 v2, s0, v6, v2, s0
	v_cmp_eq_u32_e64 s0, v5, v0
	global_store_b64 v[1:2], v[7:8], off
	s_and_b32 exec_lo, exec_lo, s0
	s_cbranch_execz .LBB1761_14
; %bb.13:
	v_mov_b32_e32 v3, 0
	global_store_b32 v[1:2], v3, off offset:4
.LBB1761_14:
	s_or_b32 exec_lo, exec_lo, s1
	v_add_nc_u32_e32 v2, 16, v0
	s_delay_alu instid0(VALU_DEP_1) | instskip(NEXT) | instid1(VALU_DEP_1)
	v_cmp_le_i32_e64 s0, v2, v5
	s_and_b32 s1, vcc_lo, s0
	s_delay_alu instid0(SALU_CYCLE_1)
	s_and_saveexec_b32 s0, s1
	s_cbranch_execz .LBB1761_17
; %bb.15:
	v_ashrrev_i32_e32 v3, 31, v2
	v_mul_f32_e32 v8, s6, v19
	v_mul_f32_e32 v1, s7, v19
	s_delay_alu instid0(VALU_DEP_3) | instskip(NEXT) | instid1(VALU_DEP_3)
	v_lshlrev_b64 v[9:10], 3, v[2:3]
	v_fmac_f32_e32 v8, s7, v18
	s_delay_alu instid0(VALU_DEP_3) | instskip(NEXT) | instid1(VALU_DEP_3)
	v_fma_f32 v7, v18, s6, -v1
	v_add_co_u32 v3, vcc_lo, v4, v9
	s_delay_alu instid0(VALU_DEP_4)
	v_add_co_ci_u32_e32 v4, vcc_lo, v6, v10, vcc_lo
	v_cmp_eq_u32_e32 vcc_lo, v5, v2
	global_store_b64 v[3:4], v[7:8], off
	s_and_b32 exec_lo, exec_lo, vcc_lo
	s_cbranch_execz .LBB1761_17
; %bb.16:
	v_mov_b32_e32 v1, 0
	global_store_b32 v[3:4], v1, off offset:4
.LBB1761_17:
	s_or_b32 exec_lo, exec_lo, s0
	v_add_nc_u32_e32 v8, 16, v5
	s_delay_alu instid0(VALU_DEP_1) | instskip(SKIP_3) | instid1(VALU_DEP_4)
	v_ashrrev_i32_e32 v1, 31, v8
	v_mul_lo_u32 v6, v8, s19
	v_mad_u64_u32 v[3:4], null, v8, s18, 0
	v_cmp_gt_i32_e32 vcc_lo, s16, v8
	v_mul_lo_u32 v1, v1, s18
	v_cmp_le_i32_e64 s0, v0, v8
	s_delay_alu instid0(VALU_DEP_1) | instskip(NEXT) | instid1(VALU_DEP_2)
	s_and_b32 s0, vcc_lo, s0
	v_add3_u32 v4, v4, v6, v1
	s_delay_alu instid0(VALU_DEP_1) | instskip(NEXT) | instid1(VALU_DEP_1)
	v_lshlrev_b64 v[3:4], 3, v[3:4]
	v_add_co_u32 v6, s1, s2, v3
	s_delay_alu instid0(VALU_DEP_1)
	v_add_co_ci_u32_e64 v7, s1, s3, v4, s1
	s_and_saveexec_b32 s1, s0
	s_cbranch_execz .LBB1761_20
; %bb.18:
	v_ashrrev_i32_e32 v1, 31, v0
	v_mul_f32_e32 v10, s6, v17
	v_mul_f32_e32 v9, s7, v17
	s_delay_alu instid0(VALU_DEP_3) | instskip(NEXT) | instid1(VALU_DEP_3)
	v_lshlrev_b64 v[3:4], 3, v[0:1]
	v_fmac_f32_e32 v10, s7, v16
	s_delay_alu instid0(VALU_DEP_3) | instskip(NEXT) | instid1(VALU_DEP_3)
	v_fma_f32 v9, v16, s6, -v9
	v_add_co_u32 v3, s0, v6, v3
	s_delay_alu instid0(VALU_DEP_1)
	v_add_co_ci_u32_e64 v4, s0, v7, v4, s0
	v_cmp_eq_u32_e64 s0, v8, v0
	global_store_b64 v[3:4], v[9:10], off
	s_and_b32 exec_lo, exec_lo, s0
	s_cbranch_execz .LBB1761_20
; %bb.19:
	v_mov_b32_e32 v1, 0
	global_store_b32 v[3:4], v1, off offset:4
.LBB1761_20:
	s_or_b32 exec_lo, exec_lo, s1
	v_cmp_le_i32_e64 s0, v2, v8
	s_delay_alu instid0(VALU_DEP_1) | instskip(NEXT) | instid1(SALU_CYCLE_1)
	s_and_b32 s0, vcc_lo, s0
	s_and_saveexec_b32 s1, s0
	s_cbranch_execz .LBB1761_23
; %bb.21:
	v_ashrrev_i32_e32 v3, 31, v2
	v_mul_f32_e32 v8, s7, v15
	v_mul_f32_e32 v4, s6, v15
	s_delay_alu instid0(VALU_DEP_3) | instskip(NEXT) | instid1(VALU_DEP_3)
	v_lshlrev_b64 v[1:2], 3, v[2:3]
	v_fma_f32 v3, v14, s6, -v8
	s_delay_alu instid0(VALU_DEP_3) | instskip(NEXT) | instid1(VALU_DEP_3)
	v_fmac_f32_e32 v4, s7, v14
	v_add_co_u32 v1, vcc_lo, v6, v1
	s_delay_alu instid0(VALU_DEP_4)
	v_add_co_ci_u32_e32 v2, vcc_lo, v7, v2, vcc_lo
	v_cmp_eq_u32_e32 vcc_lo, v5, v0
	global_store_b64 v[1:2], v[3:4], off
	s_and_b32 exec_lo, exec_lo, vcc_lo
	s_cbranch_execz .LBB1761_23
; %bb.22:
	v_mov_b32_e32 v0, 0
	global_store_b32 v[1:2], v0, off offset:4
.LBB1761_23:
	s_nop 0
	s_sendmsg sendmsg(MSG_DEALLOC_VGPRS)
	s_endpgm
	.section	.rodata,"a",@progbits
	.p2align	6, 0x0
	.amdhsa_kernel _ZL34rocblas_syrkx_herkx_general_kernelIl19rocblas_complex_numIfELi16ELi32ELi8ELb1ELb1ELc78ELc85EKPKS1_KPS1_EviT_T0_PT8_S7_lSA_S7_lS8_PT9_S7_li
		.amdhsa_group_segment_fixed_size 4096
		.amdhsa_private_segment_fixed_size 0
		.amdhsa_kernarg_size 108
		.amdhsa_user_sgpr_count 13
		.amdhsa_user_sgpr_dispatch_ptr 0
		.amdhsa_user_sgpr_queue_ptr 0
		.amdhsa_user_sgpr_kernarg_segment_ptr 1
		.amdhsa_user_sgpr_dispatch_id 0
		.amdhsa_user_sgpr_private_segment_size 0
		.amdhsa_wavefront_size32 1
		.amdhsa_uses_dynamic_stack 0
		.amdhsa_enable_private_segment 0
		.amdhsa_system_sgpr_workgroup_id_x 1
		.amdhsa_system_sgpr_workgroup_id_y 1
		.amdhsa_system_sgpr_workgroup_id_z 1
		.amdhsa_system_sgpr_workgroup_info 0
		.amdhsa_system_vgpr_workitem_id 1
		.amdhsa_next_free_vgpr 59
		.amdhsa_next_free_sgpr 23
		.amdhsa_reserve_vcc 1
		.amdhsa_float_round_mode_32 0
		.amdhsa_float_round_mode_16_64 0
		.amdhsa_float_denorm_mode_32 3
		.amdhsa_float_denorm_mode_16_64 3
		.amdhsa_dx10_clamp 1
		.amdhsa_ieee_mode 1
		.amdhsa_fp16_overflow 0
		.amdhsa_workgroup_processor_mode 1
		.amdhsa_memory_ordered 1
		.amdhsa_forward_progress 0
		.amdhsa_shared_vgpr_count 0
		.amdhsa_exception_fp_ieee_invalid_op 0
		.amdhsa_exception_fp_denorm_src 0
		.amdhsa_exception_fp_ieee_div_zero 0
		.amdhsa_exception_fp_ieee_overflow 0
		.amdhsa_exception_fp_ieee_underflow 0
		.amdhsa_exception_fp_ieee_inexact 0
		.amdhsa_exception_int_div_zero 0
	.end_amdhsa_kernel
	.section	.text._ZL34rocblas_syrkx_herkx_general_kernelIl19rocblas_complex_numIfELi16ELi32ELi8ELb1ELb1ELc78ELc85EKPKS1_KPS1_EviT_T0_PT8_S7_lSA_S7_lS8_PT9_S7_li,"axG",@progbits,_ZL34rocblas_syrkx_herkx_general_kernelIl19rocblas_complex_numIfELi16ELi32ELi8ELb1ELb1ELc78ELc85EKPKS1_KPS1_EviT_T0_PT8_S7_lSA_S7_lS8_PT9_S7_li,comdat
.Lfunc_end1761:
	.size	_ZL34rocblas_syrkx_herkx_general_kernelIl19rocblas_complex_numIfELi16ELi32ELi8ELb1ELb1ELc78ELc85EKPKS1_KPS1_EviT_T0_PT8_S7_lSA_S7_lS8_PT9_S7_li, .Lfunc_end1761-_ZL34rocblas_syrkx_herkx_general_kernelIl19rocblas_complex_numIfELi16ELi32ELi8ELb1ELb1ELc78ELc85EKPKS1_KPS1_EviT_T0_PT8_S7_lSA_S7_lS8_PT9_S7_li
                                        ; -- End function
	.section	.AMDGPU.csdata,"",@progbits
; Kernel info:
; codeLenInByte = 2676
; NumSgprs: 25
; NumVgprs: 59
; ScratchSize: 0
; MemoryBound: 1
; FloatMode: 240
; IeeeMode: 1
; LDSByteSize: 4096 bytes/workgroup (compile time only)
; SGPRBlocks: 3
; VGPRBlocks: 7
; NumSGPRsForWavesPerEU: 25
; NumVGPRsForWavesPerEU: 59
; Occupancy: 16
; WaveLimiterHint : 1
; COMPUTE_PGM_RSRC2:SCRATCH_EN: 0
; COMPUTE_PGM_RSRC2:USER_SGPR: 13
; COMPUTE_PGM_RSRC2:TRAP_HANDLER: 0
; COMPUTE_PGM_RSRC2:TGID_X_EN: 1
; COMPUTE_PGM_RSRC2:TGID_Y_EN: 1
; COMPUTE_PGM_RSRC2:TGID_Z_EN: 1
; COMPUTE_PGM_RSRC2:TIDIG_COMP_CNT: 1
	.section	.text._ZL34rocblas_syrkx_herkx_general_kernelIl19rocblas_complex_numIfELi16ELi32ELi8ELb0ELb1ELc84ELc76EKPKS1_KPS1_EviT_T0_PT8_S7_lSA_S7_lS8_PT9_S7_li,"axG",@progbits,_ZL34rocblas_syrkx_herkx_general_kernelIl19rocblas_complex_numIfELi16ELi32ELi8ELb0ELb1ELc84ELc76EKPKS1_KPS1_EviT_T0_PT8_S7_lSA_S7_lS8_PT9_S7_li,comdat
	.globl	_ZL34rocblas_syrkx_herkx_general_kernelIl19rocblas_complex_numIfELi16ELi32ELi8ELb0ELb1ELc84ELc76EKPKS1_KPS1_EviT_T0_PT8_S7_lSA_S7_lS8_PT9_S7_li ; -- Begin function _ZL34rocblas_syrkx_herkx_general_kernelIl19rocblas_complex_numIfELi16ELi32ELi8ELb0ELb1ELc84ELc76EKPKS1_KPS1_EviT_T0_PT8_S7_lSA_S7_lS8_PT9_S7_li
	.p2align	8
	.type	_ZL34rocblas_syrkx_herkx_general_kernelIl19rocblas_complex_numIfELi16ELi32ELi8ELb0ELb1ELc84ELc76EKPKS1_KPS1_EviT_T0_PT8_S7_lSA_S7_lS8_PT9_S7_li,@function
_ZL34rocblas_syrkx_herkx_general_kernelIl19rocblas_complex_numIfELi16ELi32ELi8ELb0ELb1ELc84ELc76EKPKS1_KPS1_EviT_T0_PT8_S7_lSA_S7_lS8_PT9_S7_li: ; @_ZL34rocblas_syrkx_herkx_general_kernelIl19rocblas_complex_numIfELi16ELi32ELi8ELb0ELb1ELc84ELc76EKPKS1_KPS1_EviT_T0_PT8_S7_lSA_S7_lS8_PT9_S7_li
; %bb.0:
	s_clause 0x1
	s_load_b128 s[16:19], s[0:1], 0x48
	s_load_b256 s[4:11], s[0:1], 0x8
	s_mov_b32 s2, s15
	s_mov_b32 s3, 0
	s_load_b64 s[20:21], s[0:1], 0x58
	s_lshl_b64 s[22:23], s[2:3], 3
	v_dual_mov_b32 v21, 0 :: v_dual_and_b32 v6, 0x3ff, v0
	v_bfe_u32 v7, v0, 10, 10
	v_dual_mov_b32 v20, 0 :: v_dual_mov_b32 v19, 0
	v_dual_mov_b32 v18, 0 :: v_dual_mov_b32 v17, 0
	;; [unrolled: 1-line block ×3, first 2 shown]
	v_mov_b32_e32 v14, 0
	s_waitcnt lgkmcnt(0)
	s_add_u32 s2, s18, s22
	s_addc_u32 s3, s19, s23
	s_load_b32 s12, s[0:1], 0x0
	s_load_b64 s[18:19], s[2:3], 0x0
	v_cmp_lt_i64_e64 s2, s[4:5], 1
	s_lshl_b32 s13, s13, 5
	s_lshl_b32 s14, s14, 5
	s_delay_alu instid0(VALU_DEP_1)
	s_and_b32 vcc_lo, exec_lo, s2
	s_cbranch_vccnz .LBB1762_11
; %bb.1:
	s_load_b128 s[0:3], s[0:1], 0x30
	v_lshl_add_u32 v0, v7, 4, v6
	v_and_b32_e32 v8, 7, v6
	v_dual_mov_b32 v20, 0 :: v_dual_mov_b32 v19, 0
	v_mov_b32_e32 v21, 0
	s_delay_alu instid0(VALU_DEP_4) | instskip(SKIP_3) | instid1(VALU_DEP_4)
	v_lshrrev_b32_e32 v5, 3, v0
	v_and_b32_e32 v1, 31, v0
	v_lshrrev_b32_e32 v9, 5, v0
	v_lshlrev_b32_e32 v14, 3, v8
	v_dual_mov_b32 v18, 0 :: v_dual_add_nc_u32 v11, s14, v5
	s_delay_alu instid0(VALU_DEP_4)
	v_add_nc_u32_e32 v0, s13, v1
	v_or_b32_e32 v10, s13, v1
	v_lshlrev_b32_e32 v12, 3, v1
	v_lshl_or_b32 v5, v5, 6, v14
	v_ashrrev_i32_e32 v3, 31, v11
	v_ashrrev_i32_e32 v4, 31, v0
	s_waitcnt lgkmcnt(0)
	v_cmp_gt_i32_e32 vcc_lo, s12, v10
	v_lshl_or_b32 v10, v9, 8, v12
	v_mul_lo_u32 v17, s3, v11
	v_mul_lo_u32 v16, s2, v3
	;; [unrolled: 1-line block ×3, first 2 shown]
	v_mad_u64_u32 v[3:4], null, s2, v11, 0
	s_add_u32 s0, s0, s22
	s_addc_u32 s1, s1, s23
	s_add_u32 s8, s8, s22
	s_addc_u32 s9, s9, s23
	v_lshlrev_b32_e32 v12, 3, v6
	s_mov_b64 s[2:3], 0
	s_delay_alu instid0(VALU_DEP_2)
	v_add3_u32 v4, v4, v16, v17
	v_mov_b32_e32 v17, 0
	v_mul_lo_u32 v13, s11, v0
	v_mad_u64_u32 v[1:2], null, s10, v0, 0
	s_load_b64 s[10:11], s[0:1], 0x0
	s_load_b64 s[8:9], s[8:9], 0x0
	v_cmp_gt_i32_e64 s0, s12, v11
	v_dual_mov_b32 v16, 0 :: v_dual_add_nc_u32 v11, 0x800, v5
	v_lshlrev_b32_e32 v5, 3, v9
	v_lshlrev_b64 v[3:4], 3, v[3:4]
	v_add3_u32 v2, v2, v15, v13
	v_mov_b32_e32 v0, 0
	v_lshl_add_u32 v13, v7, 6, 0x800
	s_xor_b32 s0, s0, -1
	s_delay_alu instid0(VALU_DEP_3) | instskip(NEXT) | instid1(VALU_DEP_1)
	v_lshlrev_b64 v[1:2], 3, v[1:2]
	v_add_co_u32 v1, s1, v1, v5
	s_delay_alu instid0(VALU_DEP_1) | instskip(SKIP_1) | instid1(VALU_DEP_1)
	v_add_co_ci_u32_e64 v5, s1, 0, v2, s1
	v_add_co_u32 v14, s1, v3, v14
	v_add_co_ci_u32_e64 v15, s1, 0, v4, s1
	s_waitcnt lgkmcnt(0)
	v_add_co_u32 v2, s1, s8, v1
	s_delay_alu instid0(VALU_DEP_1) | instskip(SKIP_1) | instid1(VALU_DEP_1)
	v_add_co_ci_u32_e64 v3, s1, s9, v5, s1
	v_add_co_u32 v4, s1, s10, v14
	v_add_co_ci_u32_e64 v5, s1, s11, v15, s1
	v_dual_mov_b32 v15, 0 :: v_dual_mov_b32 v14, 0
	s_xor_b32 s1, vcc_lo, -1
	s_branch .LBB1762_3
.LBB1762_2:                             ;   in Loop: Header=BB1762_3 Depth=1
	s_or_b32 exec_lo, exec_lo, s8
	s_waitcnt lgkmcnt(0)
	s_barrier
	buffer_gl0_inv
	ds_load_2addr_b64 v[22:25], v12 offset1:16
	ds_load_b128 v[26:29], v13
	ds_load_b128 v[30:33], v13 offset:1024
	ds_load_b128 v[34:37], v13 offset:16
	;; [unrolled: 1-line block ×4, first 2 shown]
	ds_load_2addr_b64 v[46:49], v12 offset0:32 offset1:48
	ds_load_b128 v[50:53], v13 offset:1040
	s_add_u32 s2, s2, 8
	s_addc_u32 s3, s3, 0
	v_add_co_u32 v2, vcc_lo, v2, 64
	v_cmp_ge_i64_e64 s8, s[2:3], s[4:5]
	v_add_co_ci_u32_e32 v3, vcc_lo, 0, v3, vcc_lo
	v_add_co_u32 v4, vcc_lo, v4, 64
	v_add_co_ci_u32_e32 v5, vcc_lo, 0, v5, vcc_lo
	s_delay_alu instid0(VALU_DEP_4)
	s_and_b32 vcc_lo, exec_lo, s8
	s_waitcnt lgkmcnt(6)
	v_dual_mul_f32 v1, v27, v23 :: v_dual_mul_f32 v56, v26, v25
	v_dual_mul_f32 v54, v26, v23 :: v_dual_mul_f32 v55, v27, v25
	s_waitcnt lgkmcnt(5)
	v_mul_f32_e32 v58, v31, v25
	s_delay_alu instid0(VALU_DEP_3) | instskip(SKIP_3) | instid1(VALU_DEP_4)
	v_fma_f32 v1, v26, v22, -v1
	v_dual_mul_f32 v25, v30, v25 :: v_dual_fmac_f32 v56, v27, v24
	v_fmac_f32_e32 v54, v27, v22
	v_fma_f32 v26, v26, v24, -v55
	v_add_f32_e32 v1, v20, v1
	v_mul_f32_e32 v57, v31, v23
	s_delay_alu instid0(VALU_DEP_4) | instskip(SKIP_2) | instid1(VALU_DEP_4)
	v_dual_mul_f32 v23, v30, v23 :: v_dual_add_f32 v20, v21, v54
	v_fmac_f32_e32 v25, v31, v24
	v_dual_add_f32 v21, v18, v26 :: v_dual_add_f32 v26, v19, v56
	v_fma_f32 v27, v30, v22, -v57
	s_delay_alu instid0(VALU_DEP_4) | instskip(SKIP_3) | instid1(VALU_DEP_2)
	v_fmac_f32_e32 v23, v31, v22
	v_fma_f32 v22, v30, v24, -v58
	s_waitcnt lgkmcnt(1)
	v_mul_f32_e32 v30, v29, v47
	v_dual_add_f32 v27, v16, v27 :: v_dual_add_f32 v14, v14, v22
	v_dual_mul_f32 v22, v28, v47 :: v_dual_add_f32 v15, v15, v25
	v_mul_f32_e32 v25, v28, v49
	s_delay_alu instid0(VALU_DEP_4) | instskip(NEXT) | instid1(VALU_DEP_3)
	v_fma_f32 v24, v28, v46, -v30
	v_fmac_f32_e32 v22, v29, v46
	v_add_f32_e32 v23, v17, v23
	ds_load_2addr_b64 v[16:19], v12 offset0:64 offset1:80
	v_mul_f32_e32 v30, v29, v49
	v_fmac_f32_e32 v25, v29, v48
	v_add_f32_e32 v1, v1, v24
	s_delay_alu instid0(VALU_DEP_2) | instskip(SKIP_1) | instid1(VALU_DEP_1)
	v_add_f32_e32 v25, v26, v25
	v_mul_f32_e32 v26, v32, v49
	v_fmac_f32_e32 v26, v33, v48
	s_waitcnt lgkmcnt(0)
	s_delay_alu instid0(VALU_DEP_1) | instskip(SKIP_1) | instid1(VALU_DEP_2)
	v_dual_add_f32 v26, v15, v26 :: v_dual_mul_f32 v29, v34, v17
	v_mul_f32_e32 v15, v34, v19
	v_fmac_f32_e32 v29, v35, v16
	v_fma_f32 v24, v28, v48, -v30
	v_mul_f32_e32 v28, v33, v47
	v_add_f32_e32 v30, v20, v22
	v_mul_f32_e32 v20, v32, v47
	v_mul_f32_e32 v22, v33, v49
	v_add_f32_e32 v24, v21, v24
	v_fma_f32 v21, v32, v46, -v28
	s_delay_alu instid0(VALU_DEP_4) | instskip(SKIP_1) | instid1(VALU_DEP_3)
	v_dual_add_f32 v29, v30, v29 :: v_dual_fmac_f32 v20, v33, v46
	v_fmac_f32_e32 v15, v35, v18
	v_add_f32_e32 v27, v27, v21
	v_fma_f32 v21, v32, v48, -v22
	v_mul_f32_e32 v22, v35, v17
	v_mul_f32_e32 v32, v35, v19
	v_add_f32_e32 v28, v23, v20
	s_delay_alu instid0(VALU_DEP_4) | instskip(NEXT) | instid1(VALU_DEP_4)
	v_add_f32_e32 v14, v14, v21
	v_fma_f32 v31, v34, v16, -v22
	ds_load_2addr_b64 v[20:23], v12 offset0:96 offset1:112
	v_add_f32_e32 v1, v1, v31
	v_fma_f32 v31, v34, v18, -v32
	s_delay_alu instid0(VALU_DEP_1) | instskip(SKIP_3) | instid1(VALU_DEP_3)
	v_add_f32_e32 v24, v24, v31
	v_mul_f32_e32 v31, v51, v19
	v_mul_f32_e32 v19, v50, v19
	v_add_f32_e32 v32, v25, v15
	v_fma_f32 v15, v50, v18, -v31
	s_delay_alu instid0(VALU_DEP_3)
	v_fmac_f32_e32 v19, v51, v18
	v_mul_f32_e32 v30, v51, v17
	v_mul_f32_e32 v17, v50, v17
	s_waitcnt lgkmcnt(0)
	v_dual_mul_f32 v18, v37, v21 :: v_dual_add_f32 v31, v14, v15
	v_add_f32_e32 v33, v26, v19
	v_fma_f32 v30, v50, v16, -v30
	v_fmac_f32_e32 v17, v51, v16
	s_delay_alu instid0(VALU_DEP_4) | instskip(SKIP_1) | instid1(VALU_DEP_4)
	v_fma_f32 v18, v36, v20, -v18
	v_mul_f32_e32 v25, v36, v21
	v_dual_mul_f32 v19, v36, v23 :: v_dual_add_f32 v30, v27, v30
	s_delay_alu instid0(VALU_DEP_4) | instskip(SKIP_4) | instid1(VALU_DEP_2)
	v_add_f32_e32 v28, v28, v17
	ds_load_2addr_b64 v[14:17], v12 offset0:128 offset1:144
	v_add_f32_e32 v1, v1, v18
	v_mul_f32_e32 v18, v53, v21
	v_fmac_f32_e32 v19, v37, v22
	v_fma_f32 v18, v52, v20, -v18
	v_mul_f32_e32 v27, v37, v23
	s_delay_alu instid0(VALU_DEP_1) | instskip(NEXT) | instid1(VALU_DEP_3)
	v_fma_f32 v26, v36, v22, -v27
	v_add_f32_e32 v36, v30, v18
	s_waitcnt lgkmcnt(0)
	s_delay_alu instid0(VALU_DEP_2) | instskip(SKIP_2) | instid1(VALU_DEP_3)
	v_dual_add_f32 v35, v24, v26 :: v_dual_mul_f32 v46, v38, v15
	v_dual_fmac_f32 v25, v37, v20 :: v_dual_add_f32 v32, v32, v19
	v_mul_f32_e32 v18, v39, v15
	v_fmac_f32_e32 v46, v39, v14
	s_delay_alu instid0(VALU_DEP_3)
	v_add_f32_e32 v34, v29, v25
	v_mul_f32_e32 v29, v53, v23
	v_mul_f32_e32 v23, v52, v23
	ds_load_b128 v[24:27], v13 offset:1056
	v_add_f32_e32 v34, v34, v46
	v_fma_f32 v19, v52, v22, -v29
	v_mul_f32_e32 v21, v52, v21
	v_fmac_f32_e32 v23, v53, v22
	v_mul_f32_e32 v29, v39, v17
	s_delay_alu instid0(VALU_DEP_3) | instskip(NEXT) | instid1(VALU_DEP_3)
	v_dual_add_f32 v22, v31, v19 :: v_dual_fmac_f32 v21, v53, v20
	v_add_f32_e32 v23, v33, v23
	s_delay_alu instid0(VALU_DEP_2) | instskip(SKIP_4) | instid1(VALU_DEP_2)
	v_add_f32_e32 v37, v28, v21
	v_fma_f32 v28, v38, v14, -v18
	ds_load_2addr_b64 v[18:21], v12 offset0:160 offset1:176
	v_mul_f32_e32 v33, v38, v17
	v_fma_f32 v38, v38, v16, -v29
	v_fmac_f32_e32 v33, v39, v16
	s_delay_alu instid0(VALU_DEP_1)
	v_dual_add_f32 v35, v35, v38 :: v_dual_add_f32 v32, v32, v33
	v_add_f32_e32 v1, v1, v28
	ds_load_b128 v[28:31], v13 offset:1072
	s_waitcnt lgkmcnt(2)
	v_mul_f32_e32 v47, v25, v15
	v_mul_f32_e32 v15, v24, v15
	;; [unrolled: 1-line block ×4, first 2 shown]
	s_delay_alu instid0(VALU_DEP_4) | instskip(NEXT) | instid1(VALU_DEP_4)
	v_fma_f32 v38, v24, v14, -v47
	v_fmac_f32_e32 v15, v25, v14
	s_delay_alu instid0(VALU_DEP_4)
	v_fma_f32 v14, v24, v16, -v39
	s_waitcnt lgkmcnt(1)
	v_mul_f32_e32 v17, v41, v19
	v_dual_fmac_f32 v33, v25, v16 :: v_dual_add_f32 v36, v36, v38
	v_add_f32_e32 v24, v37, v15
	v_add_f32_e32 v22, v22, v14
	s_delay_alu instid0(VALU_DEP_4) | instskip(SKIP_2) | instid1(VALU_DEP_1)
	v_fma_f32 v37, v40, v18, -v17
	ds_load_2addr_b64 v[14:17], v12 offset0:192 offset1:208
	v_dual_mul_f32 v25, v40, v19 :: v_dual_mul_f32 v38, v41, v21
	v_fmac_f32_e32 v25, v41, v18
	s_delay_alu instid0(VALU_DEP_1) | instskip(SKIP_4) | instid1(VALU_DEP_3)
	v_add_f32_e32 v34, v34, v25
	v_add_f32_e32 v33, v23, v33
	v_mul_f32_e32 v23, v40, v21
	v_mul_f32_e32 v25, v27, v19
	;; [unrolled: 1-line block ×3, first 2 shown]
	v_fmac_f32_e32 v23, v41, v20
	s_delay_alu instid0(VALU_DEP_3) | instskip(NEXT) | instid1(VALU_DEP_2)
	v_fma_f32 v25, v26, v18, -v25
	v_dual_fmac_f32 v19, v27, v18 :: v_dual_add_f32 v18, v32, v23
	s_waitcnt lgkmcnt(0)
	v_dual_mul_f32 v32, v43, v15 :: v_dual_add_f32 v1, v1, v37
	v_fma_f32 v37, v40, v20, -v38
	s_delay_alu instid0(VALU_DEP_3) | instskip(NEXT) | instid1(VALU_DEP_3)
	v_add_f32_e32 v19, v24, v19
	v_fma_f32 v32, v42, v14, -v32
	s_delay_alu instid0(VALU_DEP_1) | instskip(NEXT) | instid1(VALU_DEP_4)
	v_add_f32_e32 v1, v1, v32
	v_add_f32_e32 v35, v35, v37
	v_mul_f32_e32 v37, v27, v21
	v_dual_mul_f32 v21, v26, v21 :: v_dual_mul_f32 v32, v29, v15
	s_delay_alu instid0(VALU_DEP_2) | instskip(NEXT) | instid1(VALU_DEP_2)
	v_fma_f32 v23, v26, v20, -v37
	v_dual_add_f32 v26, v36, v25 :: v_dual_fmac_f32 v21, v27, v20
	v_mul_f32_e32 v27, v42, v15
	v_mul_f32_e32 v15, v28, v15
	s_delay_alu instid0(VALU_DEP_4)
	v_add_f32_e32 v20, v22, v23
	ds_load_2addr_b64 v[22:25], v12 offset0:224 offset1:240
	v_fma_f32 v32, v28, v14, -v32
	v_dual_fmac_f32 v27, v43, v14 :: v_dual_mul_f32 v36, v42, v17
	v_fmac_f32_e32 v15, v29, v14
	s_waitcnt lgkmcnt(0)
	s_delay_alu instid0(VALU_DEP_3) | instskip(NEXT) | instid1(VALU_DEP_3)
	v_add_f32_e32 v14, v26, v32
	v_dual_add_f32 v27, v34, v27 :: v_dual_fmac_f32 v36, v43, v16
	s_delay_alu instid0(VALU_DEP_3)
	v_dual_mul_f32 v34, v29, v17 :: v_dual_add_f32 v15, v19, v15
	s_barrier
	buffer_gl0_inv
	v_mul_f32_e32 v26, v45, v23
	v_add_f32_e32 v21, v33, v21
	v_mul_f32_e32 v33, v43, v17
	v_mul_f32_e32 v17, v28, v17
	v_mul_f32_e32 v19, v44, v25
	s_delay_alu instid0(VALU_DEP_3) | instskip(NEXT) | instid1(VALU_DEP_3)
	v_fma_f32 v33, v42, v16, -v33
	v_fmac_f32_e32 v17, v29, v16
	s_delay_alu instid0(VALU_DEP_3) | instskip(NEXT) | instid1(VALU_DEP_3)
	v_fmac_f32_e32 v19, v45, v24
	v_add_f32_e32 v33, v35, v33
	v_add_f32_e32 v35, v18, v36
	v_fma_f32 v18, v28, v16, -v34
	v_fma_f32 v16, v44, v22, -v26
	v_mul_f32_e32 v28, v44, v23
	v_dual_add_f32 v26, v21, v17 :: v_dual_mul_f32 v17, v30, v23
	s_delay_alu instid0(VALU_DEP_4) | instskip(NEXT) | instid1(VALU_DEP_4)
	v_dual_add_f32 v29, v20, v18 :: v_dual_mul_f32 v18, v45, v25
	v_add_f32_e32 v20, v1, v16
	v_mul_f32_e32 v16, v31, v23
	v_mul_f32_e32 v23, v31, v25
	;; [unrolled: 1-line block ×3, first 2 shown]
	v_fma_f32 v1, v44, v24, -v18
	v_fmac_f32_e32 v28, v45, v22
	v_fmac_f32_e32 v17, v31, v22
	v_add_f32_e32 v19, v35, v19
	s_delay_alu instid0(VALU_DEP_4)
	v_dual_fmac_f32 v25, v31, v24 :: v_dual_add_f32 v18, v33, v1
	v_fma_f32 v1, v30, v22, -v16
	v_fma_f32 v22, v30, v24, -v23
	v_add_f32_e32 v21, v27, v28
	v_add_f32_e32 v17, v15, v17
	;; [unrolled: 1-line block ×5, first 2 shown]
	s_cbranch_vccnz .LBB1762_11
.LBB1762_3:                             ; =>This Inner Loop Header: Depth=1
	v_add_co_u32 v22, s8, v9, s2
	s_delay_alu instid0(VALU_DEP_1) | instskip(NEXT) | instid1(VALU_DEP_1)
	v_add_co_ci_u32_e64 v23, null, 0, s3, s8
	v_cmp_le_i64_e32 vcc_lo, s[4:5], v[22:23]
	s_or_b32 s8, s1, vcc_lo
	s_delay_alu instid0(SALU_CYCLE_1) | instskip(NEXT) | instid1(SALU_CYCLE_1)
	s_and_saveexec_b32 s9, s8
	s_xor_b32 s8, exec_lo, s9
	s_cbranch_execz .LBB1762_5
; %bb.4:                                ;   in Loop: Header=BB1762_3 Depth=1
	v_mov_b32_e32 v1, v0
	ds_store_b64 v10, v[0:1]
.LBB1762_5:                             ;   in Loop: Header=BB1762_3 Depth=1
	s_and_not1_saveexec_b32 s8, s8
	s_cbranch_execz .LBB1762_7
; %bb.6:                                ;   in Loop: Header=BB1762_3 Depth=1
	global_load_b64 v[22:23], v[2:3], off
	s_waitcnt vmcnt(0)
	ds_store_b64 v10, v[22:23]
.LBB1762_7:                             ;   in Loop: Header=BB1762_3 Depth=1
	s_or_b32 exec_lo, exec_lo, s8
	v_add_co_u32 v22, s8, v8, s2
	s_delay_alu instid0(VALU_DEP_1) | instskip(NEXT) | instid1(VALU_DEP_1)
	v_add_co_ci_u32_e64 v23, null, 0, s3, s8
	v_cmp_le_i64_e32 vcc_lo, s[4:5], v[22:23]
	s_or_b32 s8, vcc_lo, s0
	s_delay_alu instid0(SALU_CYCLE_1) | instskip(NEXT) | instid1(SALU_CYCLE_1)
	s_and_saveexec_b32 s9, s8
	s_xor_b32 s8, exec_lo, s9
	s_cbranch_execz .LBB1762_9
; %bb.8:                                ;   in Loop: Header=BB1762_3 Depth=1
	v_mov_b32_e32 v1, v0
	ds_store_b64 v11, v[0:1]
.LBB1762_9:                             ;   in Loop: Header=BB1762_3 Depth=1
	s_and_not1_saveexec_b32 s8, s8
	s_cbranch_execz .LBB1762_2
; %bb.10:                               ;   in Loop: Header=BB1762_3 Depth=1
	global_load_b64 v[22:23], v[4:5], off
	s_waitcnt vmcnt(0)
	ds_store_b64 v11, v[22:23]
	s_branch .LBB1762_2
.LBB1762_11:
	v_add_nc_u32_e32 v5, s14, v7
	s_delay_alu instid0(VALU_DEP_1) | instskip(SKIP_2) | instid1(VALU_DEP_3)
	v_ashrrev_i32_e32 v0, 31, v5
	v_mul_lo_u32 v3, v5, s21
	v_mad_u64_u32 v[1:2], null, v5, s20, 0
	v_mul_lo_u32 v0, v0, s20
	s_delay_alu instid0(VALU_DEP_1) | instskip(SKIP_1) | instid1(VALU_DEP_2)
	v_add3_u32 v2, v2, v3, v0
	v_add_nc_u32_e32 v0, s13, v6
	v_lshlrev_b64 v[1:2], 3, v[1:2]
	s_delay_alu instid0(VALU_DEP_2) | instskip(SKIP_2) | instid1(VALU_DEP_3)
	v_cmp_le_i32_e64 s0, v5, v0
	s_waitcnt lgkmcnt(0)
	v_cmp_gt_i32_e32 vcc_lo, s12, v0
	v_add_co_u32 v4, s1, s18, v1
	s_delay_alu instid0(VALU_DEP_1) | instskip(SKIP_1) | instid1(SALU_CYCLE_1)
	v_add_co_ci_u32_e64 v6, s1, s19, v2, s1
	s_and_b32 s0, s0, vcc_lo
	s_and_saveexec_b32 s1, s0
	s_cbranch_execz .LBB1762_14
; %bb.12:
	v_ashrrev_i32_e32 v1, 31, v0
	s_delay_alu instid0(VALU_DEP_1) | instskip(NEXT) | instid1(VALU_DEP_1)
	v_lshlrev_b64 v[1:2], 3, v[0:1]
	v_add_co_u32 v1, s0, v4, v1
	s_delay_alu instid0(VALU_DEP_1)
	v_add_co_ci_u32_e64 v2, s0, v6, v2, s0
	v_cmp_eq_u32_e64 s0, v5, v0
	global_load_b64 v[7:8], v[1:2], off
	v_mul_f32_e32 v3, s7, v21
	s_waitcnt vmcnt(0)
	v_dual_mul_f32 v9, s6, v21 :: v_dual_mul_f32 v10, s17, v8
	v_mul_f32_e32 v8, s16, v8
	s_delay_alu instid0(VALU_DEP_3) | instskip(NEXT) | instid1(VALU_DEP_3)
	v_fma_f32 v3, v20, s6, -v3
	v_fmac_f32_e32 v9, s7, v20
	s_delay_alu instid0(VALU_DEP_4) | instskip(NEXT) | instid1(VALU_DEP_1)
	v_fma_f32 v10, v7, s16, -v10
	v_dual_fmac_f32 v8, s17, v7 :: v_dual_add_f32 v7, v3, v10
	s_delay_alu instid0(VALU_DEP_1)
	v_add_f32_e32 v8, v9, v8
	global_store_b64 v[1:2], v[7:8], off
	s_and_b32 exec_lo, exec_lo, s0
	s_cbranch_execz .LBB1762_14
; %bb.13:
	v_mov_b32_e32 v3, 0
	global_store_b32 v[1:2], v3, off offset:4
.LBB1762_14:
	s_or_b32 exec_lo, exec_lo, s1
	v_add_nc_u32_e32 v2, 16, v0
	s_delay_alu instid0(VALU_DEP_1) | instskip(SKIP_1) | instid1(VALU_DEP_1)
	v_cmp_le_i32_e64 s1, v5, v2
	v_cmp_gt_i32_e64 s0, s12, v2
	s_and_b32 s1, s1, s0
	s_delay_alu instid0(SALU_CYCLE_1)
	s_and_saveexec_b32 s2, s1
	s_cbranch_execz .LBB1762_17
; %bb.15:
	v_ashrrev_i32_e32 v3, 31, v2
	s_delay_alu instid0(VALU_DEP_1) | instskip(NEXT) | instid1(VALU_DEP_1)
	v_lshlrev_b64 v[7:8], 3, v[2:3]
	v_add_co_u32 v3, s1, v4, v7
	s_delay_alu instid0(VALU_DEP_1) | instskip(SKIP_4) | instid1(VALU_DEP_1)
	v_add_co_ci_u32_e64 v4, s1, v6, v8, s1
	v_cmp_eq_u32_e64 s1, v5, v2
	global_load_b64 v[6:7], v[3:4], off
	s_waitcnt vmcnt(0)
	v_mul_f32_e32 v9, s17, v7
	v_fma_f32 v9, v6, s16, -v9
	v_mul_f32_e32 v7, s16, v7
	s_delay_alu instid0(VALU_DEP_1) | instskip(NEXT) | instid1(VALU_DEP_1)
	v_dual_mul_f32 v8, s6, v19 :: v_dual_fmac_f32 v7, s17, v6
	v_dual_mul_f32 v1, s7, v19 :: v_dual_fmac_f32 v8, s7, v18
	s_delay_alu instid0(VALU_DEP_1) | instskip(NEXT) | instid1(VALU_DEP_1)
	v_fma_f32 v1, v18, s6, -v1
	v_dual_add_f32 v7, v8, v7 :: v_dual_add_f32 v6, v1, v9
	global_store_b64 v[3:4], v[6:7], off
	s_and_b32 exec_lo, exec_lo, s1
	s_cbranch_execz .LBB1762_17
; %bb.16:
	v_mov_b32_e32 v1, 0
	global_store_b32 v[3:4], v1, off offset:4
.LBB1762_17:
	s_or_b32 exec_lo, exec_lo, s2
	v_add_nc_u32_e32 v8, 16, v5
	s_delay_alu instid0(VALU_DEP_1) | instskip(SKIP_3) | instid1(VALU_DEP_4)
	v_ashrrev_i32_e32 v1, 31, v8
	v_mul_lo_u32 v6, v8, s21
	v_mad_u64_u32 v[3:4], null, v8, s20, 0
	v_cmp_le_i32_e64 s1, v8, v0
	v_mul_lo_u32 v1, v1, s20
	s_delay_alu instid0(VALU_DEP_1) | instskip(NEXT) | instid1(VALU_DEP_1)
	v_add3_u32 v4, v4, v6, v1
	v_lshlrev_b64 v[3:4], 3, v[3:4]
	s_delay_alu instid0(VALU_DEP_1) | instskip(NEXT) | instid1(VALU_DEP_1)
	v_add_co_u32 v6, s2, s18, v3
	v_add_co_ci_u32_e64 v7, s2, s19, v4, s2
	s_and_b32 s2, s1, vcc_lo
	s_delay_alu instid0(SALU_CYCLE_1)
	s_and_saveexec_b32 s1, s2
	s_cbranch_execz .LBB1762_20
; %bb.18:
	v_ashrrev_i32_e32 v1, 31, v0
	s_delay_alu instid0(VALU_DEP_1) | instskip(NEXT) | instid1(VALU_DEP_1)
	v_lshlrev_b64 v[3:4], 3, v[0:1]
	v_add_co_u32 v3, vcc_lo, v6, v3
	s_delay_alu instid0(VALU_DEP_2)
	v_add_co_ci_u32_e32 v4, vcc_lo, v7, v4, vcc_lo
	v_cmp_eq_u32_e32 vcc_lo, v8, v0
	global_load_b64 v[9:10], v[3:4], off
	v_mul_f32_e32 v1, s7, v17
	s_waitcnt vmcnt(0)
	v_dual_mul_f32 v11, s6, v17 :: v_dual_mul_f32 v12, s17, v10
	v_mul_f32_e32 v10, s16, v10
	s_delay_alu instid0(VALU_DEP_3) | instskip(NEXT) | instid1(VALU_DEP_3)
	v_fma_f32 v1, v16, s6, -v1
	v_fmac_f32_e32 v11, s7, v16
	s_delay_alu instid0(VALU_DEP_4) | instskip(NEXT) | instid1(VALU_DEP_1)
	v_fma_f32 v12, v9, s16, -v12
	v_dual_fmac_f32 v10, s17, v9 :: v_dual_add_f32 v9, v1, v12
	s_delay_alu instid0(VALU_DEP_1)
	v_add_f32_e32 v10, v11, v10
	global_store_b64 v[3:4], v[9:10], off
	s_and_b32 exec_lo, exec_lo, vcc_lo
	s_cbranch_execz .LBB1762_20
; %bb.19:
	v_mov_b32_e32 v1, 0
	global_store_b32 v[3:4], v1, off offset:4
.LBB1762_20:
	s_or_b32 exec_lo, exec_lo, s1
	v_cmp_le_i32_e32 vcc_lo, v8, v2
	s_and_b32 s0, vcc_lo, s0
	s_delay_alu instid0(SALU_CYCLE_1)
	s_and_saveexec_b32 s1, s0
	s_cbranch_execz .LBB1762_23
; %bb.21:
	v_ashrrev_i32_e32 v3, 31, v2
	s_delay_alu instid0(VALU_DEP_1) | instskip(NEXT) | instid1(VALU_DEP_1)
	v_lshlrev_b64 v[1:2], 3, v[2:3]
	v_add_co_u32 v1, vcc_lo, v6, v1
	s_delay_alu instid0(VALU_DEP_2) | instskip(SKIP_4) | instid1(VALU_DEP_1)
	v_add_co_ci_u32_e32 v2, vcc_lo, v7, v2, vcc_lo
	v_cmp_eq_u32_e32 vcc_lo, v5, v0
	global_load_b64 v[3:4], v[1:2], off
	s_waitcnt vmcnt(0)
	v_dual_mul_f32 v7, s6, v15 :: v_dual_mul_f32 v8, s17, v4
	v_dual_mul_f32 v6, s7, v15 :: v_dual_fmac_f32 v7, s7, v14
	v_mul_f32_e32 v4, s16, v4
	s_delay_alu instid0(VALU_DEP_3) | instskip(NEXT) | instid1(VALU_DEP_3)
	v_fma_f32 v8, v3, s16, -v8
	v_fma_f32 v6, v14, s6, -v6
	s_delay_alu instid0(VALU_DEP_1) | instskip(NEXT) | instid1(VALU_DEP_1)
	v_dual_fmac_f32 v4, s17, v3 :: v_dual_add_f32 v3, v6, v8
	v_add_f32_e32 v4, v7, v4
	global_store_b64 v[1:2], v[3:4], off
	s_and_b32 exec_lo, exec_lo, vcc_lo
	s_cbranch_execz .LBB1762_23
; %bb.22:
	v_mov_b32_e32 v0, 0
	global_store_b32 v[1:2], v0, off offset:4
.LBB1762_23:
	s_nop 0
	s_sendmsg sendmsg(MSG_DEALLOC_VGPRS)
	s_endpgm
	.section	.rodata,"a",@progbits
	.p2align	6, 0x0
	.amdhsa_kernel _ZL34rocblas_syrkx_herkx_general_kernelIl19rocblas_complex_numIfELi16ELi32ELi8ELb0ELb1ELc84ELc76EKPKS1_KPS1_EviT_T0_PT8_S7_lSA_S7_lS8_PT9_S7_li
		.amdhsa_group_segment_fixed_size 4096
		.amdhsa_private_segment_fixed_size 0
		.amdhsa_kernarg_size 108
		.amdhsa_user_sgpr_count 13
		.amdhsa_user_sgpr_dispatch_ptr 0
		.amdhsa_user_sgpr_queue_ptr 0
		.amdhsa_user_sgpr_kernarg_segment_ptr 1
		.amdhsa_user_sgpr_dispatch_id 0
		.amdhsa_user_sgpr_private_segment_size 0
		.amdhsa_wavefront_size32 1
		.amdhsa_uses_dynamic_stack 0
		.amdhsa_enable_private_segment 0
		.amdhsa_system_sgpr_workgroup_id_x 1
		.amdhsa_system_sgpr_workgroup_id_y 1
		.amdhsa_system_sgpr_workgroup_id_z 1
		.amdhsa_system_sgpr_workgroup_info 0
		.amdhsa_system_vgpr_workitem_id 1
		.amdhsa_next_free_vgpr 59
		.amdhsa_next_free_sgpr 24
		.amdhsa_reserve_vcc 1
		.amdhsa_float_round_mode_32 0
		.amdhsa_float_round_mode_16_64 0
		.amdhsa_float_denorm_mode_32 3
		.amdhsa_float_denorm_mode_16_64 3
		.amdhsa_dx10_clamp 1
		.amdhsa_ieee_mode 1
		.amdhsa_fp16_overflow 0
		.amdhsa_workgroup_processor_mode 1
		.amdhsa_memory_ordered 1
		.amdhsa_forward_progress 0
		.amdhsa_shared_vgpr_count 0
		.amdhsa_exception_fp_ieee_invalid_op 0
		.amdhsa_exception_fp_denorm_src 0
		.amdhsa_exception_fp_ieee_div_zero 0
		.amdhsa_exception_fp_ieee_overflow 0
		.amdhsa_exception_fp_ieee_underflow 0
		.amdhsa_exception_fp_ieee_inexact 0
		.amdhsa_exception_int_div_zero 0
	.end_amdhsa_kernel
	.section	.text._ZL34rocblas_syrkx_herkx_general_kernelIl19rocblas_complex_numIfELi16ELi32ELi8ELb0ELb1ELc84ELc76EKPKS1_KPS1_EviT_T0_PT8_S7_lSA_S7_lS8_PT9_S7_li,"axG",@progbits,_ZL34rocblas_syrkx_herkx_general_kernelIl19rocblas_complex_numIfELi16ELi32ELi8ELb0ELb1ELc84ELc76EKPKS1_KPS1_EviT_T0_PT8_S7_lSA_S7_lS8_PT9_S7_li,comdat
.Lfunc_end1762:
	.size	_ZL34rocblas_syrkx_herkx_general_kernelIl19rocblas_complex_numIfELi16ELi32ELi8ELb0ELb1ELc84ELc76EKPKS1_KPS1_EviT_T0_PT8_S7_lSA_S7_lS8_PT9_S7_li, .Lfunc_end1762-_ZL34rocblas_syrkx_herkx_general_kernelIl19rocblas_complex_numIfELi16ELi32ELi8ELb0ELb1ELc84ELc76EKPKS1_KPS1_EviT_T0_PT8_S7_lSA_S7_lS8_PT9_S7_li
                                        ; -- End function
	.section	.AMDGPU.csdata,"",@progbits
; Kernel info:
; codeLenInByte = 2824
; NumSgprs: 26
; NumVgprs: 59
; ScratchSize: 0
; MemoryBound: 1
; FloatMode: 240
; IeeeMode: 1
; LDSByteSize: 4096 bytes/workgroup (compile time only)
; SGPRBlocks: 3
; VGPRBlocks: 7
; NumSGPRsForWavesPerEU: 26
; NumVGPRsForWavesPerEU: 59
; Occupancy: 16
; WaveLimiterHint : 1
; COMPUTE_PGM_RSRC2:SCRATCH_EN: 0
; COMPUTE_PGM_RSRC2:USER_SGPR: 13
; COMPUTE_PGM_RSRC2:TRAP_HANDLER: 0
; COMPUTE_PGM_RSRC2:TGID_X_EN: 1
; COMPUTE_PGM_RSRC2:TGID_Y_EN: 1
; COMPUTE_PGM_RSRC2:TGID_Z_EN: 1
; COMPUTE_PGM_RSRC2:TIDIG_COMP_CNT: 1
	.section	.text._ZL34rocblas_syrkx_herkx_general_kernelIl19rocblas_complex_numIfELi16ELi32ELi8ELb0ELb1ELc67ELc76EKPKS1_KPS1_EviT_T0_PT8_S7_lSA_S7_lS8_PT9_S7_li,"axG",@progbits,_ZL34rocblas_syrkx_herkx_general_kernelIl19rocblas_complex_numIfELi16ELi32ELi8ELb0ELb1ELc67ELc76EKPKS1_KPS1_EviT_T0_PT8_S7_lSA_S7_lS8_PT9_S7_li,comdat
	.globl	_ZL34rocblas_syrkx_herkx_general_kernelIl19rocblas_complex_numIfELi16ELi32ELi8ELb0ELb1ELc67ELc76EKPKS1_KPS1_EviT_T0_PT8_S7_lSA_S7_lS8_PT9_S7_li ; -- Begin function _ZL34rocblas_syrkx_herkx_general_kernelIl19rocblas_complex_numIfELi16ELi32ELi8ELb0ELb1ELc67ELc76EKPKS1_KPS1_EviT_T0_PT8_S7_lSA_S7_lS8_PT9_S7_li
	.p2align	8
	.type	_ZL34rocblas_syrkx_herkx_general_kernelIl19rocblas_complex_numIfELi16ELi32ELi8ELb0ELb1ELc67ELc76EKPKS1_KPS1_EviT_T0_PT8_S7_lSA_S7_lS8_PT9_S7_li,@function
_ZL34rocblas_syrkx_herkx_general_kernelIl19rocblas_complex_numIfELi16ELi32ELi8ELb0ELb1ELc67ELc76EKPKS1_KPS1_EviT_T0_PT8_S7_lSA_S7_lS8_PT9_S7_li: ; @_ZL34rocblas_syrkx_herkx_general_kernelIl19rocblas_complex_numIfELi16ELi32ELi8ELb0ELb1ELc67ELc76EKPKS1_KPS1_EviT_T0_PT8_S7_lSA_S7_lS8_PT9_S7_li
; %bb.0:
	s_clause 0x1
	s_load_b128 s[16:19], s[0:1], 0x48
	s_load_b256 s[4:11], s[0:1], 0x8
	s_mov_b32 s2, s15
	s_mov_b32 s3, 0
	s_load_b64 s[20:21], s[0:1], 0x58
	s_lshl_b64 s[22:23], s[2:3], 3
	v_dual_mov_b32 v21, 0 :: v_dual_and_b32 v6, 0x3ff, v0
	v_bfe_u32 v7, v0, 10, 10
	v_dual_mov_b32 v20, 0 :: v_dual_mov_b32 v19, 0
	v_dual_mov_b32 v18, 0 :: v_dual_mov_b32 v17, 0
	v_dual_mov_b32 v16, 0 :: v_dual_mov_b32 v15, 0
	v_mov_b32_e32 v14, 0
	s_waitcnt lgkmcnt(0)
	s_add_u32 s2, s18, s22
	s_addc_u32 s3, s19, s23
	s_load_b32 s12, s[0:1], 0x0
	s_load_b64 s[18:19], s[2:3], 0x0
	v_cmp_lt_i64_e64 s2, s[4:5], 1
	s_lshl_b32 s13, s13, 5
	s_lshl_b32 s14, s14, 5
	s_delay_alu instid0(VALU_DEP_1)
	s_and_b32 vcc_lo, exec_lo, s2
	s_cbranch_vccnz .LBB1763_11
; %bb.1:
	s_load_b128 s[0:3], s[0:1], 0x30
	v_lshl_add_u32 v1, v7, 4, v6
	v_and_b32_e32 v8, 7, v6
	v_dual_mov_b32 v0, 0 :: v_dual_lshlrev_b32 v9, 3, v6
	s_delay_alu instid0(VALU_DEP_3) | instskip(SKIP_3) | instid1(VALU_DEP_4)
	v_dual_mov_b32 v21, 0 :: v_dual_and_b32 v2, 31, v1
	v_lshrrev_b32_e32 v3, 3, v1
	v_lshrrev_b32_e32 v11, 5, v1
	v_dual_mov_b32 v19, 0 :: v_dual_lshlrev_b32 v14, 3, v8
	v_add_nc_u32_e32 v4, s13, v2
	s_delay_alu instid0(VALU_DEP_4)
	v_add_nc_u32_e32 v5, s14, v3
	v_or_b32_e32 v12, s13, v2
	v_lshlrev_b32_e32 v13, 3, v2
	v_lshl_add_u32 v10, v7, 6, 0x800
	v_ashrrev_i32_e32 v16, 31, v4
	v_mul_lo_u32 v17, s11, v4
	v_mad_u64_u32 v[1:2], null, s10, v4, 0
	s_waitcnt lgkmcnt(0)
	s_add_u32 s24, s0, s22
	v_mul_lo_u32 v4, s10, v16
	s_addc_u32 s25, s1, s23
	s_add_u32 s0, s8, s22
	s_addc_u32 s1, s9, s23
	v_ashrrev_i32_e32 v15, 31, v5
	s_load_b64 s[8:9], s[0:1], 0x0
	v_lshl_or_b32 v16, v3, 6, v14
	v_mul_lo_u32 v18, s3, v5
	v_add3_u32 v2, v2, v4, v17
	v_mul_lo_u32 v15, s2, v15
	v_mad_u64_u32 v[3:4], null, s2, v5, 0
	s_load_b64 s[2:3], s[24:25], 0x0
	s_delay_alu instid0(VALU_DEP_3)
	v_lshlrev_b64 v[1:2], 3, v[1:2]
	v_lshlrev_b32_e32 v17, 3, v11
	v_cmp_gt_i32_e64 s0, s12, v5
	v_cmp_gt_i32_e32 vcc_lo, s12, v12
	v_lshl_or_b32 v12, v11, 8, v13
	v_add3_u32 v4, v4, v15, v18
	v_mov_b32_e32 v18, 0
	v_add_co_u32 v5, s1, v1, v17
	s_delay_alu instid0(VALU_DEP_1) | instskip(NEXT) | instid1(VALU_DEP_4)
	v_add_co_ci_u32_e64 v15, s1, 0, v2, s1
	v_lshlrev_b64 v[1:2], 3, v[3:4]
	s_waitcnt lgkmcnt(0)
	s_delay_alu instid0(VALU_DEP_3) | instskip(NEXT) | instid1(VALU_DEP_1)
	v_add_co_u32 v3, s1, v5, s8
	v_add_co_ci_u32_e64 v4, s1, s9, v15, s1
	v_dual_mov_b32 v20, 0 :: v_dual_add_nc_u32 v13, 0x800, v16
	s_delay_alu instid0(VALU_DEP_4) | instskip(NEXT) | instid1(VALU_DEP_1)
	v_add_co_u32 v1, s1, v1, v14
	v_add_co_ci_u32_e64 v5, s1, 0, v2, s1
	v_add_co_u32 v2, s1, v3, 4
	s_delay_alu instid0(VALU_DEP_1) | instskip(NEXT) | instid1(VALU_DEP_4)
	v_add_co_ci_u32_e64 v3, s1, 0, v4, s1
	v_add_co_u32 v4, s1, s2, v1
	s_delay_alu instid0(VALU_DEP_1)
	v_add_co_ci_u32_e64 v5, s1, s3, v5, s1
	v_dual_mov_b32 v15, 0 :: v_dual_mov_b32 v14, 0
	v_dual_mov_b32 v17, 0 :: v_dual_mov_b32 v16, 0
	s_mov_b64 s[2:3], 0
	s_xor_b32 s1, vcc_lo, -1
	s_xor_b32 s0, s0, -1
	s_branch .LBB1763_3
.LBB1763_2:                             ;   in Loop: Header=BB1763_3 Depth=1
	s_or_b32 exec_lo, exec_lo, s8
	s_waitcnt lgkmcnt(0)
	s_barrier
	buffer_gl0_inv
	ds_load_2addr_b64 v[22:25], v9 offset1:16
	ds_load_b128 v[26:29], v10
	ds_load_b128 v[30:33], v10 offset:1024
	ds_load_b128 v[34:37], v10 offset:16
	;; [unrolled: 1-line block ×4, first 2 shown]
	ds_load_2addr_b64 v[46:49], v9 offset0:32 offset1:48
	ds_load_b128 v[50:53], v10 offset:1040
	s_add_u32 s2, s2, 8
	s_addc_u32 s3, s3, 0
	v_add_co_u32 v2, vcc_lo, v2, 64
	v_cmp_ge_i64_e64 s8, s[2:3], s[4:5]
	v_add_co_ci_u32_e32 v3, vcc_lo, 0, v3, vcc_lo
	v_add_co_u32 v4, vcc_lo, v4, 64
	v_add_co_ci_u32_e32 v5, vcc_lo, 0, v5, vcc_lo
	s_delay_alu instid0(VALU_DEP_4)
	s_and_b32 vcc_lo, exec_lo, s8
	s_waitcnt lgkmcnt(6)
	v_dual_mul_f32 v1, v27, v23 :: v_dual_mul_f32 v56, v26, v25
	v_dual_mul_f32 v54, v26, v23 :: v_dual_mul_f32 v55, v27, v25
	s_waitcnt lgkmcnt(5)
	v_mul_f32_e32 v58, v31, v25
	s_delay_alu instid0(VALU_DEP_3) | instskip(SKIP_3) | instid1(VALU_DEP_4)
	v_fma_f32 v1, v26, v22, -v1
	v_dual_mul_f32 v25, v30, v25 :: v_dual_fmac_f32 v56, v27, v24
	v_fmac_f32_e32 v54, v27, v22
	v_fma_f32 v26, v26, v24, -v55
	v_add_f32_e32 v1, v20, v1
	v_mul_f32_e32 v57, v31, v23
	s_delay_alu instid0(VALU_DEP_4) | instskip(SKIP_2) | instid1(VALU_DEP_4)
	v_dual_mul_f32 v23, v30, v23 :: v_dual_add_f32 v20, v21, v54
	v_fmac_f32_e32 v25, v31, v24
	v_dual_add_f32 v21, v18, v26 :: v_dual_add_f32 v26, v19, v56
	v_fma_f32 v27, v30, v22, -v57
	s_delay_alu instid0(VALU_DEP_4) | instskip(SKIP_3) | instid1(VALU_DEP_2)
	v_fmac_f32_e32 v23, v31, v22
	v_fma_f32 v22, v30, v24, -v58
	s_waitcnt lgkmcnt(1)
	v_mul_f32_e32 v30, v29, v47
	v_dual_add_f32 v27, v16, v27 :: v_dual_add_f32 v14, v14, v22
	v_dual_mul_f32 v22, v28, v47 :: v_dual_add_f32 v15, v15, v25
	v_mul_f32_e32 v25, v28, v49
	s_delay_alu instid0(VALU_DEP_4) | instskip(NEXT) | instid1(VALU_DEP_3)
	v_fma_f32 v24, v28, v46, -v30
	v_fmac_f32_e32 v22, v29, v46
	v_add_f32_e32 v23, v17, v23
	ds_load_2addr_b64 v[16:19], v9 offset0:64 offset1:80
	v_mul_f32_e32 v30, v29, v49
	v_fmac_f32_e32 v25, v29, v48
	v_add_f32_e32 v1, v1, v24
	s_delay_alu instid0(VALU_DEP_2) | instskip(SKIP_1) | instid1(VALU_DEP_1)
	v_add_f32_e32 v25, v26, v25
	v_mul_f32_e32 v26, v32, v49
	v_fmac_f32_e32 v26, v33, v48
	s_waitcnt lgkmcnt(0)
	s_delay_alu instid0(VALU_DEP_1) | instskip(SKIP_1) | instid1(VALU_DEP_2)
	v_dual_add_f32 v26, v15, v26 :: v_dual_mul_f32 v29, v34, v17
	v_mul_f32_e32 v15, v34, v19
	v_fmac_f32_e32 v29, v35, v16
	v_fma_f32 v24, v28, v48, -v30
	v_mul_f32_e32 v28, v33, v47
	v_add_f32_e32 v30, v20, v22
	v_mul_f32_e32 v20, v32, v47
	v_mul_f32_e32 v22, v33, v49
	v_add_f32_e32 v24, v21, v24
	v_fma_f32 v21, v32, v46, -v28
	s_delay_alu instid0(VALU_DEP_4) | instskip(SKIP_1) | instid1(VALU_DEP_3)
	v_dual_add_f32 v29, v30, v29 :: v_dual_fmac_f32 v20, v33, v46
	v_fmac_f32_e32 v15, v35, v18
	v_add_f32_e32 v27, v27, v21
	v_fma_f32 v21, v32, v48, -v22
	v_mul_f32_e32 v22, v35, v17
	v_mul_f32_e32 v32, v35, v19
	v_add_f32_e32 v28, v23, v20
	s_delay_alu instid0(VALU_DEP_4) | instskip(NEXT) | instid1(VALU_DEP_4)
	v_add_f32_e32 v14, v14, v21
	v_fma_f32 v31, v34, v16, -v22
	ds_load_2addr_b64 v[20:23], v9 offset0:96 offset1:112
	v_add_f32_e32 v1, v1, v31
	v_fma_f32 v31, v34, v18, -v32
	s_delay_alu instid0(VALU_DEP_1) | instskip(SKIP_3) | instid1(VALU_DEP_3)
	v_add_f32_e32 v24, v24, v31
	v_mul_f32_e32 v31, v51, v19
	v_mul_f32_e32 v19, v50, v19
	v_add_f32_e32 v32, v25, v15
	v_fma_f32 v15, v50, v18, -v31
	s_delay_alu instid0(VALU_DEP_3)
	v_fmac_f32_e32 v19, v51, v18
	v_mul_f32_e32 v30, v51, v17
	v_mul_f32_e32 v17, v50, v17
	s_waitcnt lgkmcnt(0)
	v_dual_mul_f32 v18, v37, v21 :: v_dual_add_f32 v31, v14, v15
	v_add_f32_e32 v33, v26, v19
	v_fma_f32 v30, v50, v16, -v30
	v_fmac_f32_e32 v17, v51, v16
	s_delay_alu instid0(VALU_DEP_4) | instskip(SKIP_1) | instid1(VALU_DEP_4)
	v_fma_f32 v18, v36, v20, -v18
	v_mul_f32_e32 v25, v36, v21
	v_dual_mul_f32 v19, v36, v23 :: v_dual_add_f32 v30, v27, v30
	s_delay_alu instid0(VALU_DEP_4) | instskip(SKIP_4) | instid1(VALU_DEP_2)
	v_add_f32_e32 v28, v28, v17
	ds_load_2addr_b64 v[14:17], v9 offset0:128 offset1:144
	v_add_f32_e32 v1, v1, v18
	v_mul_f32_e32 v18, v53, v21
	v_fmac_f32_e32 v19, v37, v22
	v_fma_f32 v18, v52, v20, -v18
	v_mul_f32_e32 v27, v37, v23
	s_delay_alu instid0(VALU_DEP_1) | instskip(NEXT) | instid1(VALU_DEP_3)
	v_fma_f32 v26, v36, v22, -v27
	v_add_f32_e32 v36, v30, v18
	s_waitcnt lgkmcnt(0)
	s_delay_alu instid0(VALU_DEP_2) | instskip(SKIP_2) | instid1(VALU_DEP_3)
	v_dual_add_f32 v35, v24, v26 :: v_dual_mul_f32 v46, v38, v15
	v_dual_fmac_f32 v25, v37, v20 :: v_dual_add_f32 v32, v32, v19
	v_mul_f32_e32 v18, v39, v15
	v_fmac_f32_e32 v46, v39, v14
	s_delay_alu instid0(VALU_DEP_3)
	v_add_f32_e32 v34, v29, v25
	v_mul_f32_e32 v29, v53, v23
	v_mul_f32_e32 v23, v52, v23
	ds_load_b128 v[24:27], v10 offset:1056
	v_add_f32_e32 v34, v34, v46
	v_fma_f32 v19, v52, v22, -v29
	v_mul_f32_e32 v21, v52, v21
	v_fmac_f32_e32 v23, v53, v22
	v_mul_f32_e32 v29, v39, v17
	s_delay_alu instid0(VALU_DEP_3) | instskip(NEXT) | instid1(VALU_DEP_3)
	v_dual_add_f32 v22, v31, v19 :: v_dual_fmac_f32 v21, v53, v20
	v_add_f32_e32 v23, v33, v23
	s_delay_alu instid0(VALU_DEP_2) | instskip(SKIP_4) | instid1(VALU_DEP_2)
	v_add_f32_e32 v37, v28, v21
	v_fma_f32 v28, v38, v14, -v18
	ds_load_2addr_b64 v[18:21], v9 offset0:160 offset1:176
	v_mul_f32_e32 v33, v38, v17
	v_fma_f32 v38, v38, v16, -v29
	v_fmac_f32_e32 v33, v39, v16
	s_delay_alu instid0(VALU_DEP_1)
	v_dual_add_f32 v35, v35, v38 :: v_dual_add_f32 v32, v32, v33
	v_add_f32_e32 v1, v1, v28
	ds_load_b128 v[28:31], v10 offset:1072
	s_waitcnt lgkmcnt(2)
	v_mul_f32_e32 v47, v25, v15
	v_mul_f32_e32 v15, v24, v15
	;; [unrolled: 1-line block ×4, first 2 shown]
	s_delay_alu instid0(VALU_DEP_4) | instskip(NEXT) | instid1(VALU_DEP_4)
	v_fma_f32 v38, v24, v14, -v47
	v_fmac_f32_e32 v15, v25, v14
	s_delay_alu instid0(VALU_DEP_4)
	v_fma_f32 v14, v24, v16, -v39
	s_waitcnt lgkmcnt(1)
	v_mul_f32_e32 v17, v41, v19
	v_dual_fmac_f32 v33, v25, v16 :: v_dual_add_f32 v36, v36, v38
	v_add_f32_e32 v24, v37, v15
	v_add_f32_e32 v22, v22, v14
	s_delay_alu instid0(VALU_DEP_4) | instskip(SKIP_2) | instid1(VALU_DEP_1)
	v_fma_f32 v37, v40, v18, -v17
	ds_load_2addr_b64 v[14:17], v9 offset0:192 offset1:208
	v_dual_mul_f32 v25, v40, v19 :: v_dual_mul_f32 v38, v41, v21
	v_fmac_f32_e32 v25, v41, v18
	s_delay_alu instid0(VALU_DEP_1) | instskip(SKIP_4) | instid1(VALU_DEP_3)
	v_add_f32_e32 v34, v34, v25
	v_add_f32_e32 v33, v23, v33
	v_mul_f32_e32 v23, v40, v21
	v_mul_f32_e32 v25, v27, v19
	;; [unrolled: 1-line block ×3, first 2 shown]
	v_fmac_f32_e32 v23, v41, v20
	s_delay_alu instid0(VALU_DEP_3) | instskip(NEXT) | instid1(VALU_DEP_2)
	v_fma_f32 v25, v26, v18, -v25
	v_dual_fmac_f32 v19, v27, v18 :: v_dual_add_f32 v18, v32, v23
	s_waitcnt lgkmcnt(0)
	v_dual_mul_f32 v32, v43, v15 :: v_dual_add_f32 v1, v1, v37
	v_fma_f32 v37, v40, v20, -v38
	s_delay_alu instid0(VALU_DEP_3) | instskip(NEXT) | instid1(VALU_DEP_3)
	v_add_f32_e32 v19, v24, v19
	v_fma_f32 v32, v42, v14, -v32
	s_delay_alu instid0(VALU_DEP_1) | instskip(NEXT) | instid1(VALU_DEP_4)
	v_add_f32_e32 v1, v1, v32
	v_add_f32_e32 v35, v35, v37
	v_mul_f32_e32 v37, v27, v21
	v_dual_mul_f32 v21, v26, v21 :: v_dual_mul_f32 v32, v29, v15
	s_delay_alu instid0(VALU_DEP_2) | instskip(NEXT) | instid1(VALU_DEP_2)
	v_fma_f32 v23, v26, v20, -v37
	v_dual_add_f32 v26, v36, v25 :: v_dual_fmac_f32 v21, v27, v20
	v_mul_f32_e32 v27, v42, v15
	v_mul_f32_e32 v15, v28, v15
	s_delay_alu instid0(VALU_DEP_4)
	v_add_f32_e32 v20, v22, v23
	ds_load_2addr_b64 v[22:25], v9 offset0:224 offset1:240
	v_fma_f32 v32, v28, v14, -v32
	v_dual_fmac_f32 v27, v43, v14 :: v_dual_mul_f32 v36, v42, v17
	v_fmac_f32_e32 v15, v29, v14
	s_waitcnt lgkmcnt(0)
	s_delay_alu instid0(VALU_DEP_3) | instskip(NEXT) | instid1(VALU_DEP_3)
	v_add_f32_e32 v14, v26, v32
	v_dual_add_f32 v27, v34, v27 :: v_dual_fmac_f32 v36, v43, v16
	s_delay_alu instid0(VALU_DEP_3)
	v_dual_mul_f32 v34, v29, v17 :: v_dual_add_f32 v15, v19, v15
	s_barrier
	buffer_gl0_inv
	v_mul_f32_e32 v26, v45, v23
	v_add_f32_e32 v21, v33, v21
	v_mul_f32_e32 v33, v43, v17
	v_mul_f32_e32 v17, v28, v17
	;; [unrolled: 1-line block ×3, first 2 shown]
	s_delay_alu instid0(VALU_DEP_3) | instskip(NEXT) | instid1(VALU_DEP_3)
	v_fma_f32 v33, v42, v16, -v33
	v_fmac_f32_e32 v17, v29, v16
	s_delay_alu instid0(VALU_DEP_3) | instskip(NEXT) | instid1(VALU_DEP_3)
	v_fmac_f32_e32 v19, v45, v24
	v_add_f32_e32 v33, v35, v33
	v_add_f32_e32 v35, v18, v36
	v_fma_f32 v18, v28, v16, -v34
	v_fma_f32 v16, v44, v22, -v26
	v_mul_f32_e32 v28, v44, v23
	v_dual_add_f32 v26, v21, v17 :: v_dual_mul_f32 v17, v30, v23
	s_delay_alu instid0(VALU_DEP_4) | instskip(NEXT) | instid1(VALU_DEP_4)
	v_dual_add_f32 v29, v20, v18 :: v_dual_mul_f32 v18, v45, v25
	v_add_f32_e32 v20, v1, v16
	v_mul_f32_e32 v16, v31, v23
	v_mul_f32_e32 v23, v31, v25
	;; [unrolled: 1-line block ×3, first 2 shown]
	v_fma_f32 v1, v44, v24, -v18
	v_fmac_f32_e32 v28, v45, v22
	v_fmac_f32_e32 v17, v31, v22
	v_add_f32_e32 v19, v35, v19
	s_delay_alu instid0(VALU_DEP_4)
	v_dual_fmac_f32 v25, v31, v24 :: v_dual_add_f32 v18, v33, v1
	v_fma_f32 v1, v30, v22, -v16
	v_fma_f32 v22, v30, v24, -v23
	v_add_f32_e32 v21, v27, v28
	v_add_f32_e32 v17, v15, v17
	;; [unrolled: 1-line block ×5, first 2 shown]
	s_cbranch_vccnz .LBB1763_11
.LBB1763_3:                             ; =>This Inner Loop Header: Depth=1
	v_add_co_u32 v22, s8, v11, s2
	s_delay_alu instid0(VALU_DEP_1) | instskip(NEXT) | instid1(VALU_DEP_1)
	v_add_co_ci_u32_e64 v23, null, 0, s3, s8
                                        ; implicit-def: $sgpr9
	v_cmp_le_i64_e32 vcc_lo, s[4:5], v[22:23]
	s_or_b32 s8, s1, vcc_lo
	s_delay_alu instid0(SALU_CYCLE_1) | instskip(NEXT) | instid1(SALU_CYCLE_1)
	s_and_saveexec_b32 s10, s8
	s_xor_b32 s8, exec_lo, s10
	s_cbranch_execz .LBB1763_5
; %bb.4:                                ;   in Loop: Header=BB1763_3 Depth=1
	s_mov_b32 s9, 0
	ds_store_b32 v12, v0
.LBB1763_5:                             ;   in Loop: Header=BB1763_3 Depth=1
	s_or_saveexec_b32 s8, s8
	v_mov_b32_e32 v1, s9
	s_xor_b32 exec_lo, exec_lo, s8
	s_cbranch_execz .LBB1763_7
; %bb.6:                                ;   in Loop: Header=BB1763_3 Depth=1
	global_load_b64 v[22:23], v[2:3], off offset:-4
	s_waitcnt vmcnt(0)
	v_xor_b32_e32 v1, 0x80000000, v23
	ds_store_b32 v12, v22
.LBB1763_7:                             ;   in Loop: Header=BB1763_3 Depth=1
	s_or_b32 exec_lo, exec_lo, s8
	v_add_co_u32 v22, s8, v8, s2
	s_delay_alu instid0(VALU_DEP_1) | instskip(SKIP_3) | instid1(SALU_CYCLE_1)
	v_add_co_ci_u32_e64 v23, null, 0, s3, s8
	ds_store_b32 v12, v1 offset:4
	v_cmp_le_i64_e32 vcc_lo, s[4:5], v[22:23]
	s_or_b32 s8, vcc_lo, s0
	s_and_saveexec_b32 s9, s8
	s_delay_alu instid0(SALU_CYCLE_1)
	s_xor_b32 s8, exec_lo, s9
	s_cbranch_execz .LBB1763_9
; %bb.8:                                ;   in Loop: Header=BB1763_3 Depth=1
	v_mov_b32_e32 v1, v0
	ds_store_b64 v13, v[0:1]
.LBB1763_9:                             ;   in Loop: Header=BB1763_3 Depth=1
	s_and_not1_saveexec_b32 s8, s8
	s_cbranch_execz .LBB1763_2
; %bb.10:                               ;   in Loop: Header=BB1763_3 Depth=1
	global_load_b64 v[22:23], v[4:5], off
	s_waitcnt vmcnt(0)
	ds_store_b64 v13, v[22:23]
	s_branch .LBB1763_2
.LBB1763_11:
	v_add_nc_u32_e32 v5, s14, v7
	s_delay_alu instid0(VALU_DEP_1) | instskip(SKIP_2) | instid1(VALU_DEP_3)
	v_ashrrev_i32_e32 v0, 31, v5
	v_mul_lo_u32 v3, v5, s21
	v_mad_u64_u32 v[1:2], null, v5, s20, 0
	v_mul_lo_u32 v0, v0, s20
	s_delay_alu instid0(VALU_DEP_1) | instskip(SKIP_1) | instid1(VALU_DEP_2)
	v_add3_u32 v2, v2, v3, v0
	v_add_nc_u32_e32 v0, s13, v6
	v_lshlrev_b64 v[1:2], 3, v[1:2]
	s_delay_alu instid0(VALU_DEP_2) | instskip(SKIP_2) | instid1(VALU_DEP_3)
	v_cmp_le_i32_e64 s0, v5, v0
	s_waitcnt lgkmcnt(0)
	v_cmp_gt_i32_e32 vcc_lo, s12, v0
	v_add_co_u32 v4, s1, s18, v1
	s_delay_alu instid0(VALU_DEP_1) | instskip(SKIP_1) | instid1(SALU_CYCLE_1)
	v_add_co_ci_u32_e64 v6, s1, s19, v2, s1
	s_and_b32 s0, s0, vcc_lo
	s_and_saveexec_b32 s1, s0
	s_cbranch_execz .LBB1763_14
; %bb.12:
	v_ashrrev_i32_e32 v1, 31, v0
	s_delay_alu instid0(VALU_DEP_1) | instskip(NEXT) | instid1(VALU_DEP_1)
	v_lshlrev_b64 v[1:2], 3, v[0:1]
	v_add_co_u32 v1, s0, v4, v1
	s_delay_alu instid0(VALU_DEP_1)
	v_add_co_ci_u32_e64 v2, s0, v6, v2, s0
	v_cmp_eq_u32_e64 s0, v5, v0
	global_load_b64 v[7:8], v[1:2], off
	v_mul_f32_e32 v3, s7, v21
	s_waitcnt vmcnt(0)
	v_dual_mul_f32 v9, s6, v21 :: v_dual_mul_f32 v10, s17, v8
	v_mul_f32_e32 v8, s16, v8
	s_delay_alu instid0(VALU_DEP_3) | instskip(NEXT) | instid1(VALU_DEP_3)
	v_fma_f32 v3, v20, s6, -v3
	v_fmac_f32_e32 v9, s7, v20
	s_delay_alu instid0(VALU_DEP_4) | instskip(NEXT) | instid1(VALU_DEP_1)
	v_fma_f32 v10, v7, s16, -v10
	v_dual_fmac_f32 v8, s17, v7 :: v_dual_add_f32 v7, v3, v10
	s_delay_alu instid0(VALU_DEP_1)
	v_add_f32_e32 v8, v9, v8
	global_store_b64 v[1:2], v[7:8], off
	s_and_b32 exec_lo, exec_lo, s0
	s_cbranch_execz .LBB1763_14
; %bb.13:
	v_mov_b32_e32 v3, 0
	global_store_b32 v[1:2], v3, off offset:4
.LBB1763_14:
	s_or_b32 exec_lo, exec_lo, s1
	v_add_nc_u32_e32 v2, 16, v0
	s_delay_alu instid0(VALU_DEP_1) | instskip(SKIP_1) | instid1(VALU_DEP_1)
	v_cmp_le_i32_e64 s1, v5, v2
	v_cmp_gt_i32_e64 s0, s12, v2
	s_and_b32 s1, s1, s0
	s_delay_alu instid0(SALU_CYCLE_1)
	s_and_saveexec_b32 s2, s1
	s_cbranch_execz .LBB1763_17
; %bb.15:
	v_ashrrev_i32_e32 v3, 31, v2
	s_delay_alu instid0(VALU_DEP_1) | instskip(NEXT) | instid1(VALU_DEP_1)
	v_lshlrev_b64 v[7:8], 3, v[2:3]
	v_add_co_u32 v3, s1, v4, v7
	s_delay_alu instid0(VALU_DEP_1) | instskip(SKIP_4) | instid1(VALU_DEP_1)
	v_add_co_ci_u32_e64 v4, s1, v6, v8, s1
	v_cmp_eq_u32_e64 s1, v5, v2
	global_load_b64 v[6:7], v[3:4], off
	s_waitcnt vmcnt(0)
	v_mul_f32_e32 v9, s17, v7
	v_fma_f32 v9, v6, s16, -v9
	v_mul_f32_e32 v7, s16, v7
	s_delay_alu instid0(VALU_DEP_1) | instskip(NEXT) | instid1(VALU_DEP_1)
	v_dual_mul_f32 v8, s6, v19 :: v_dual_fmac_f32 v7, s17, v6
	v_dual_mul_f32 v1, s7, v19 :: v_dual_fmac_f32 v8, s7, v18
	s_delay_alu instid0(VALU_DEP_1) | instskip(NEXT) | instid1(VALU_DEP_1)
	v_fma_f32 v1, v18, s6, -v1
	v_dual_add_f32 v7, v8, v7 :: v_dual_add_f32 v6, v1, v9
	global_store_b64 v[3:4], v[6:7], off
	s_and_b32 exec_lo, exec_lo, s1
	s_cbranch_execz .LBB1763_17
; %bb.16:
	v_mov_b32_e32 v1, 0
	global_store_b32 v[3:4], v1, off offset:4
.LBB1763_17:
	s_or_b32 exec_lo, exec_lo, s2
	v_add_nc_u32_e32 v8, 16, v5
	s_delay_alu instid0(VALU_DEP_1) | instskip(SKIP_3) | instid1(VALU_DEP_4)
	v_ashrrev_i32_e32 v1, 31, v8
	v_mul_lo_u32 v6, v8, s21
	v_mad_u64_u32 v[3:4], null, v8, s20, 0
	v_cmp_le_i32_e64 s1, v8, v0
	v_mul_lo_u32 v1, v1, s20
	s_delay_alu instid0(VALU_DEP_1) | instskip(NEXT) | instid1(VALU_DEP_1)
	v_add3_u32 v4, v4, v6, v1
	v_lshlrev_b64 v[3:4], 3, v[3:4]
	s_delay_alu instid0(VALU_DEP_1) | instskip(NEXT) | instid1(VALU_DEP_1)
	v_add_co_u32 v6, s2, s18, v3
	v_add_co_ci_u32_e64 v7, s2, s19, v4, s2
	s_and_b32 s2, s1, vcc_lo
	s_delay_alu instid0(SALU_CYCLE_1)
	s_and_saveexec_b32 s1, s2
	s_cbranch_execz .LBB1763_20
; %bb.18:
	v_ashrrev_i32_e32 v1, 31, v0
	s_delay_alu instid0(VALU_DEP_1) | instskip(NEXT) | instid1(VALU_DEP_1)
	v_lshlrev_b64 v[3:4], 3, v[0:1]
	v_add_co_u32 v3, vcc_lo, v6, v3
	s_delay_alu instid0(VALU_DEP_2)
	v_add_co_ci_u32_e32 v4, vcc_lo, v7, v4, vcc_lo
	v_cmp_eq_u32_e32 vcc_lo, v8, v0
	global_load_b64 v[9:10], v[3:4], off
	v_mul_f32_e32 v1, s7, v17
	s_waitcnt vmcnt(0)
	v_dual_mul_f32 v11, s6, v17 :: v_dual_mul_f32 v12, s17, v10
	v_mul_f32_e32 v10, s16, v10
	s_delay_alu instid0(VALU_DEP_3) | instskip(NEXT) | instid1(VALU_DEP_3)
	v_fma_f32 v1, v16, s6, -v1
	v_fmac_f32_e32 v11, s7, v16
	s_delay_alu instid0(VALU_DEP_4) | instskip(NEXT) | instid1(VALU_DEP_1)
	v_fma_f32 v12, v9, s16, -v12
	v_dual_fmac_f32 v10, s17, v9 :: v_dual_add_f32 v9, v1, v12
	s_delay_alu instid0(VALU_DEP_1)
	v_add_f32_e32 v10, v11, v10
	global_store_b64 v[3:4], v[9:10], off
	s_and_b32 exec_lo, exec_lo, vcc_lo
	s_cbranch_execz .LBB1763_20
; %bb.19:
	v_mov_b32_e32 v1, 0
	global_store_b32 v[3:4], v1, off offset:4
.LBB1763_20:
	s_or_b32 exec_lo, exec_lo, s1
	v_cmp_le_i32_e32 vcc_lo, v8, v2
	s_and_b32 s0, vcc_lo, s0
	s_delay_alu instid0(SALU_CYCLE_1)
	s_and_saveexec_b32 s1, s0
	s_cbranch_execz .LBB1763_23
; %bb.21:
	v_ashrrev_i32_e32 v3, 31, v2
	s_delay_alu instid0(VALU_DEP_1) | instskip(NEXT) | instid1(VALU_DEP_1)
	v_lshlrev_b64 v[1:2], 3, v[2:3]
	v_add_co_u32 v1, vcc_lo, v6, v1
	s_delay_alu instid0(VALU_DEP_2) | instskip(SKIP_4) | instid1(VALU_DEP_1)
	v_add_co_ci_u32_e32 v2, vcc_lo, v7, v2, vcc_lo
	v_cmp_eq_u32_e32 vcc_lo, v5, v0
	global_load_b64 v[3:4], v[1:2], off
	s_waitcnt vmcnt(0)
	v_dual_mul_f32 v7, s6, v15 :: v_dual_mul_f32 v8, s17, v4
	v_dual_mul_f32 v6, s7, v15 :: v_dual_fmac_f32 v7, s7, v14
	v_mul_f32_e32 v4, s16, v4
	s_delay_alu instid0(VALU_DEP_3) | instskip(NEXT) | instid1(VALU_DEP_3)
	v_fma_f32 v8, v3, s16, -v8
	v_fma_f32 v6, v14, s6, -v6
	s_delay_alu instid0(VALU_DEP_1) | instskip(NEXT) | instid1(VALU_DEP_1)
	v_dual_fmac_f32 v4, s17, v3 :: v_dual_add_f32 v3, v6, v8
	v_add_f32_e32 v4, v7, v4
	global_store_b64 v[1:2], v[3:4], off
	s_and_b32 exec_lo, exec_lo, vcc_lo
	s_cbranch_execz .LBB1763_23
; %bb.22:
	v_mov_b32_e32 v0, 0
	global_store_b32 v[1:2], v0, off offset:4
.LBB1763_23:
	s_nop 0
	s_sendmsg sendmsg(MSG_DEALLOC_VGPRS)
	s_endpgm
	.section	.rodata,"a",@progbits
	.p2align	6, 0x0
	.amdhsa_kernel _ZL34rocblas_syrkx_herkx_general_kernelIl19rocblas_complex_numIfELi16ELi32ELi8ELb0ELb1ELc67ELc76EKPKS1_KPS1_EviT_T0_PT8_S7_lSA_S7_lS8_PT9_S7_li
		.amdhsa_group_segment_fixed_size 4096
		.amdhsa_private_segment_fixed_size 0
		.amdhsa_kernarg_size 108
		.amdhsa_user_sgpr_count 13
		.amdhsa_user_sgpr_dispatch_ptr 0
		.amdhsa_user_sgpr_queue_ptr 0
		.amdhsa_user_sgpr_kernarg_segment_ptr 1
		.amdhsa_user_sgpr_dispatch_id 0
		.amdhsa_user_sgpr_private_segment_size 0
		.amdhsa_wavefront_size32 1
		.amdhsa_uses_dynamic_stack 0
		.amdhsa_enable_private_segment 0
		.amdhsa_system_sgpr_workgroup_id_x 1
		.amdhsa_system_sgpr_workgroup_id_y 1
		.amdhsa_system_sgpr_workgroup_id_z 1
		.amdhsa_system_sgpr_workgroup_info 0
		.amdhsa_system_vgpr_workitem_id 1
		.amdhsa_next_free_vgpr 59
		.amdhsa_next_free_sgpr 26
		.amdhsa_reserve_vcc 1
		.amdhsa_float_round_mode_32 0
		.amdhsa_float_round_mode_16_64 0
		.amdhsa_float_denorm_mode_32 3
		.amdhsa_float_denorm_mode_16_64 3
		.amdhsa_dx10_clamp 1
		.amdhsa_ieee_mode 1
		.amdhsa_fp16_overflow 0
		.amdhsa_workgroup_processor_mode 1
		.amdhsa_memory_ordered 1
		.amdhsa_forward_progress 0
		.amdhsa_shared_vgpr_count 0
		.amdhsa_exception_fp_ieee_invalid_op 0
		.amdhsa_exception_fp_denorm_src 0
		.amdhsa_exception_fp_ieee_div_zero 0
		.amdhsa_exception_fp_ieee_overflow 0
		.amdhsa_exception_fp_ieee_underflow 0
		.amdhsa_exception_fp_ieee_inexact 0
		.amdhsa_exception_int_div_zero 0
	.end_amdhsa_kernel
	.section	.text._ZL34rocblas_syrkx_herkx_general_kernelIl19rocblas_complex_numIfELi16ELi32ELi8ELb0ELb1ELc67ELc76EKPKS1_KPS1_EviT_T0_PT8_S7_lSA_S7_lS8_PT9_S7_li,"axG",@progbits,_ZL34rocblas_syrkx_herkx_general_kernelIl19rocblas_complex_numIfELi16ELi32ELi8ELb0ELb1ELc67ELc76EKPKS1_KPS1_EviT_T0_PT8_S7_lSA_S7_lS8_PT9_S7_li,comdat
.Lfunc_end1763:
	.size	_ZL34rocblas_syrkx_herkx_general_kernelIl19rocblas_complex_numIfELi16ELi32ELi8ELb0ELb1ELc67ELc76EKPKS1_KPS1_EviT_T0_PT8_S7_lSA_S7_lS8_PT9_S7_li, .Lfunc_end1763-_ZL34rocblas_syrkx_herkx_general_kernelIl19rocblas_complex_numIfELi16ELi32ELi8ELb0ELb1ELc67ELc76EKPKS1_KPS1_EviT_T0_PT8_S7_lSA_S7_lS8_PT9_S7_li
                                        ; -- End function
	.section	.AMDGPU.csdata,"",@progbits
; Kernel info:
; codeLenInByte = 2872
; NumSgprs: 28
; NumVgprs: 59
; ScratchSize: 0
; MemoryBound: 1
; FloatMode: 240
; IeeeMode: 1
; LDSByteSize: 4096 bytes/workgroup (compile time only)
; SGPRBlocks: 3
; VGPRBlocks: 7
; NumSGPRsForWavesPerEU: 28
; NumVGPRsForWavesPerEU: 59
; Occupancy: 16
; WaveLimiterHint : 1
; COMPUTE_PGM_RSRC2:SCRATCH_EN: 0
; COMPUTE_PGM_RSRC2:USER_SGPR: 13
; COMPUTE_PGM_RSRC2:TRAP_HANDLER: 0
; COMPUTE_PGM_RSRC2:TGID_X_EN: 1
; COMPUTE_PGM_RSRC2:TGID_Y_EN: 1
; COMPUTE_PGM_RSRC2:TGID_Z_EN: 1
; COMPUTE_PGM_RSRC2:TIDIG_COMP_CNT: 1
	.section	.text._ZL34rocblas_syrkx_herkx_general_kernelIl19rocblas_complex_numIfELi16ELi32ELi8ELb0ELb1ELc78ELc76EKPKS1_KPS1_EviT_T0_PT8_S7_lSA_S7_lS8_PT9_S7_li,"axG",@progbits,_ZL34rocblas_syrkx_herkx_general_kernelIl19rocblas_complex_numIfELi16ELi32ELi8ELb0ELb1ELc78ELc76EKPKS1_KPS1_EviT_T0_PT8_S7_lSA_S7_lS8_PT9_S7_li,comdat
	.globl	_ZL34rocblas_syrkx_herkx_general_kernelIl19rocblas_complex_numIfELi16ELi32ELi8ELb0ELb1ELc78ELc76EKPKS1_KPS1_EviT_T0_PT8_S7_lSA_S7_lS8_PT9_S7_li ; -- Begin function _ZL34rocblas_syrkx_herkx_general_kernelIl19rocblas_complex_numIfELi16ELi32ELi8ELb0ELb1ELc78ELc76EKPKS1_KPS1_EviT_T0_PT8_S7_lSA_S7_lS8_PT9_S7_li
	.p2align	8
	.type	_ZL34rocblas_syrkx_herkx_general_kernelIl19rocblas_complex_numIfELi16ELi32ELi8ELb0ELb1ELc78ELc76EKPKS1_KPS1_EviT_T0_PT8_S7_lSA_S7_lS8_PT9_S7_li,@function
_ZL34rocblas_syrkx_herkx_general_kernelIl19rocblas_complex_numIfELi16ELi32ELi8ELb0ELb1ELc78ELc76EKPKS1_KPS1_EviT_T0_PT8_S7_lSA_S7_lS8_PT9_S7_li: ; @_ZL34rocblas_syrkx_herkx_general_kernelIl19rocblas_complex_numIfELi16ELi32ELi8ELb0ELb1ELc78ELc76EKPKS1_KPS1_EviT_T0_PT8_S7_lSA_S7_lS8_PT9_S7_li
; %bb.0:
	s_clause 0x1
	s_load_b128 s[16:19], s[0:1], 0x48
	s_load_b256 s[4:11], s[0:1], 0x8
	s_mov_b32 s2, s15
	s_mov_b32 s3, 0
	s_load_b64 s[20:21], s[0:1], 0x58
	s_lshl_b64 s[22:23], s[2:3], 3
	v_dual_mov_b32 v21, 0 :: v_dual_and_b32 v6, 0x3ff, v0
	v_bfe_u32 v7, v0, 10, 10
	v_dual_mov_b32 v20, 0 :: v_dual_mov_b32 v19, 0
	v_dual_mov_b32 v18, 0 :: v_dual_mov_b32 v17, 0
	;; [unrolled: 1-line block ×3, first 2 shown]
	v_mov_b32_e32 v14, 0
	s_waitcnt lgkmcnt(0)
	s_add_u32 s2, s18, s22
	s_addc_u32 s3, s19, s23
	s_load_b32 s18, s[0:1], 0x0
	s_load_b64 s[2:3], s[2:3], 0x0
	v_cmp_lt_i64_e64 s12, s[4:5], 1
	s_lshl_b32 s19, s13, 5
	s_lshl_b32 s24, s14, 5
	s_delay_alu instid0(VALU_DEP_1)
	s_and_b32 vcc_lo, exec_lo, s12
	s_cbranch_vccnz .LBB1764_11
; %bb.1:
	s_load_b128 s[12:15], s[0:1], 0x30
	v_lshl_add_u32 v1, v7, 4, v6
	v_dual_mov_b32 v0, 0 :: v_dual_lshlrev_b32 v9, 3, v6
	v_lshl_add_u32 v10, v7, 6, 0x800
	s_delay_alu instid0(VALU_DEP_3) | instskip(SKIP_2) | instid1(VALU_DEP_3)
	v_lshrrev_b32_e32 v11, 5, v1
	v_and_b32_e32 v5, 31, v1
	v_lshrrev_b32_e32 v2, 3, v1
	v_mad_u64_u32 v[14:15], null, s10, v11, 0
	v_and_b32_e32 v8, 7, v6
	s_delay_alu instid0(VALU_DEP_4)
	v_or_b32_e32 v13, s19, v5
	v_lshlrev_b32_e32 v17, 3, v5
	v_add_nc_u32_e32 v16, s19, v5
	v_add_nc_u32_e32 v1, s24, v2
	v_mov_b32_e32 v5, v15
	s_waitcnt lgkmcnt(0)
	v_mad_u64_u32 v[3:4], null, s14, v8, 0
	s_add_u32 s12, s12, s22
	s_addc_u32 s13, s13, s23
	s_add_u32 s8, s8, s22
	s_load_b64 s[12:13], s[12:13], 0x0
	s_addc_u32 s9, s9, s23
	v_cmp_gt_i32_e64 s0, s18, v1
	s_delay_alu instid0(VALU_DEP_2)
	v_mad_u64_u32 v[18:19], null, s15, v8, v[4:5]
	v_mad_u64_u32 v[19:20], null, s11, v11, v[5:6]
	v_lshlrev_b32_e32 v12, 3, v8
	s_load_b64 s[22:23], s[8:9], 0x0
	v_cmp_gt_i32_e32 vcc_lo, s18, v13
	s_lshl_b64 s[8:9], s[10:11], 6
	s_delay_alu instid0(VALU_DEP_4) | instskip(SKIP_1) | instid1(VALU_DEP_4)
	v_mov_b32_e32 v4, v18
	s_lshl_b64 s[10:11], s[14:15], 6
	v_mov_b32_e32 v15, v19
	v_lshl_or_b32 v21, v2, 6, v12
	v_ashrrev_i32_e32 v2, 31, v1
	v_lshl_or_b32 v12, v11, 8, v17
	v_ashrrev_i32_e32 v17, 31, v16
	v_lshlrev_b64 v[3:4], 3, v[3:4]
	v_lshlrev_b64 v[14:15], 3, v[14:15]
	;; [unrolled: 1-line block ×3, first 2 shown]
	v_dual_mov_b32 v18, 0 :: v_dual_add_nc_u32 v13, 0x800, v21
	v_lshlrev_b64 v[16:17], 3, v[16:17]
	v_mov_b32_e32 v19, 0
	v_mov_b32_e32 v21, 0
	v_add_co_u32 v1, s1, v3, v1
	s_delay_alu instid0(VALU_DEP_1) | instskip(SKIP_1) | instid1(VALU_DEP_1)
	v_add_co_ci_u32_e64 v2, s1, v4, v2, s1
	v_add_co_u32 v3, s1, v14, v16
	v_add_co_ci_u32_e64 v4, s1, v15, v17, s1
	s_waitcnt lgkmcnt(0)
	v_add_co_u32 v1, s1, v1, s12
	s_delay_alu instid0(VALU_DEP_1) | instskip(SKIP_1) | instid1(VALU_DEP_1)
	v_add_co_ci_u32_e64 v5, s1, s13, v2, s1
	v_add_co_u32 v2, s1, s22, v3
	v_add_co_ci_u32_e64 v3, s1, s23, v4, s1
	s_delay_alu instid0(VALU_DEP_4) | instskip(NEXT) | instid1(VALU_DEP_1)
	v_add_co_u32 v4, s1, v1, 4
	v_add_co_ci_u32_e64 v5, s1, 0, v5, s1
	v_dual_mov_b32 v15, 0 :: v_dual_mov_b32 v14, 0
	v_dual_mov_b32 v17, 0 :: v_dual_mov_b32 v20, 0
	v_mov_b32_e32 v16, 0
	s_mov_b64 s[12:13], 0
	s_xor_b32 s1, vcc_lo, -1
	s_xor_b32 s0, s0, -1
	s_branch .LBB1764_3
.LBB1764_2:                             ;   in Loop: Header=BB1764_3 Depth=1
	s_or_b32 exec_lo, exec_lo, s14
	ds_store_b32 v13, v1 offset:4
	s_waitcnt lgkmcnt(0)
	s_barrier
	buffer_gl0_inv
	ds_load_2addr_b64 v[22:25], v9 offset1:16
	ds_load_b128 v[26:29], v10
	ds_load_b128 v[30:33], v10 offset:1024
	ds_load_b128 v[34:37], v10 offset:16
	;; [unrolled: 1-line block ×4, first 2 shown]
	ds_load_2addr_b64 v[46:49], v9 offset0:32 offset1:48
	ds_load_b128 v[50:53], v10 offset:1040
	s_add_u32 s12, s12, 8
	s_addc_u32 s13, s13, 0
	v_add_co_u32 v2, vcc_lo, v2, s8
	v_cmp_ge_i64_e64 s14, s[12:13], s[4:5]
	v_add_co_ci_u32_e32 v3, vcc_lo, s9, v3, vcc_lo
	v_add_co_u32 v4, vcc_lo, v4, s10
	v_add_co_ci_u32_e32 v5, vcc_lo, s11, v5, vcc_lo
	s_delay_alu instid0(VALU_DEP_4)
	s_and_b32 vcc_lo, exec_lo, s14
	s_waitcnt lgkmcnt(6)
	v_dual_mul_f32 v1, v27, v23 :: v_dual_mul_f32 v56, v26, v25
	v_dual_mul_f32 v54, v26, v23 :: v_dual_mul_f32 v55, v27, v25
	s_waitcnt lgkmcnt(5)
	v_mul_f32_e32 v58, v31, v25
	s_delay_alu instid0(VALU_DEP_3) | instskip(SKIP_3) | instid1(VALU_DEP_4)
	v_fma_f32 v1, v26, v22, -v1
	v_dual_mul_f32 v25, v30, v25 :: v_dual_fmac_f32 v56, v27, v24
	v_fmac_f32_e32 v54, v27, v22
	v_fma_f32 v26, v26, v24, -v55
	v_add_f32_e32 v1, v20, v1
	v_mul_f32_e32 v57, v31, v23
	s_delay_alu instid0(VALU_DEP_4) | instskip(SKIP_2) | instid1(VALU_DEP_4)
	v_dual_mul_f32 v23, v30, v23 :: v_dual_add_f32 v20, v21, v54
	v_fmac_f32_e32 v25, v31, v24
	v_dual_add_f32 v21, v18, v26 :: v_dual_add_f32 v26, v19, v56
	v_fma_f32 v27, v30, v22, -v57
	s_delay_alu instid0(VALU_DEP_4) | instskip(SKIP_3) | instid1(VALU_DEP_2)
	v_fmac_f32_e32 v23, v31, v22
	v_fma_f32 v22, v30, v24, -v58
	s_waitcnt lgkmcnt(1)
	v_mul_f32_e32 v30, v29, v47
	v_dual_add_f32 v27, v16, v27 :: v_dual_add_f32 v14, v14, v22
	v_dual_mul_f32 v22, v28, v47 :: v_dual_add_f32 v15, v15, v25
	v_mul_f32_e32 v25, v28, v49
	s_delay_alu instid0(VALU_DEP_4) | instskip(NEXT) | instid1(VALU_DEP_3)
	v_fma_f32 v24, v28, v46, -v30
	v_fmac_f32_e32 v22, v29, v46
	v_add_f32_e32 v23, v17, v23
	ds_load_2addr_b64 v[16:19], v9 offset0:64 offset1:80
	v_mul_f32_e32 v30, v29, v49
	v_fmac_f32_e32 v25, v29, v48
	v_add_f32_e32 v1, v1, v24
	s_delay_alu instid0(VALU_DEP_2) | instskip(SKIP_1) | instid1(VALU_DEP_1)
	v_add_f32_e32 v25, v26, v25
	v_mul_f32_e32 v26, v32, v49
	v_fmac_f32_e32 v26, v33, v48
	s_waitcnt lgkmcnt(0)
	s_delay_alu instid0(VALU_DEP_1) | instskip(SKIP_1) | instid1(VALU_DEP_2)
	v_dual_add_f32 v26, v15, v26 :: v_dual_mul_f32 v29, v34, v17
	v_mul_f32_e32 v15, v34, v19
	v_fmac_f32_e32 v29, v35, v16
	v_fma_f32 v24, v28, v48, -v30
	v_mul_f32_e32 v28, v33, v47
	v_add_f32_e32 v30, v20, v22
	v_mul_f32_e32 v20, v32, v47
	v_mul_f32_e32 v22, v33, v49
	v_add_f32_e32 v24, v21, v24
	v_fma_f32 v21, v32, v46, -v28
	s_delay_alu instid0(VALU_DEP_4) | instskip(SKIP_1) | instid1(VALU_DEP_3)
	v_dual_add_f32 v29, v30, v29 :: v_dual_fmac_f32 v20, v33, v46
	v_fmac_f32_e32 v15, v35, v18
	v_add_f32_e32 v27, v27, v21
	v_fma_f32 v21, v32, v48, -v22
	v_mul_f32_e32 v22, v35, v17
	v_mul_f32_e32 v32, v35, v19
	v_add_f32_e32 v28, v23, v20
	s_delay_alu instid0(VALU_DEP_4) | instskip(NEXT) | instid1(VALU_DEP_4)
	v_add_f32_e32 v14, v14, v21
	v_fma_f32 v31, v34, v16, -v22
	ds_load_2addr_b64 v[20:23], v9 offset0:96 offset1:112
	v_add_f32_e32 v1, v1, v31
	v_fma_f32 v31, v34, v18, -v32
	s_delay_alu instid0(VALU_DEP_1) | instskip(SKIP_3) | instid1(VALU_DEP_3)
	v_add_f32_e32 v24, v24, v31
	v_mul_f32_e32 v31, v51, v19
	v_mul_f32_e32 v19, v50, v19
	v_add_f32_e32 v32, v25, v15
	v_fma_f32 v15, v50, v18, -v31
	s_delay_alu instid0(VALU_DEP_3)
	v_fmac_f32_e32 v19, v51, v18
	v_mul_f32_e32 v30, v51, v17
	v_mul_f32_e32 v17, v50, v17
	s_waitcnt lgkmcnt(0)
	v_dual_mul_f32 v18, v37, v21 :: v_dual_add_f32 v31, v14, v15
	v_add_f32_e32 v33, v26, v19
	v_fma_f32 v30, v50, v16, -v30
	v_fmac_f32_e32 v17, v51, v16
	s_delay_alu instid0(VALU_DEP_4) | instskip(SKIP_1) | instid1(VALU_DEP_4)
	v_fma_f32 v18, v36, v20, -v18
	v_mul_f32_e32 v25, v36, v21
	v_dual_mul_f32 v19, v36, v23 :: v_dual_add_f32 v30, v27, v30
	s_delay_alu instid0(VALU_DEP_4) | instskip(SKIP_4) | instid1(VALU_DEP_2)
	v_add_f32_e32 v28, v28, v17
	ds_load_2addr_b64 v[14:17], v9 offset0:128 offset1:144
	v_add_f32_e32 v1, v1, v18
	v_mul_f32_e32 v18, v53, v21
	v_fmac_f32_e32 v19, v37, v22
	v_fma_f32 v18, v52, v20, -v18
	v_mul_f32_e32 v27, v37, v23
	s_delay_alu instid0(VALU_DEP_1) | instskip(NEXT) | instid1(VALU_DEP_3)
	v_fma_f32 v26, v36, v22, -v27
	v_add_f32_e32 v36, v30, v18
	s_waitcnt lgkmcnt(0)
	s_delay_alu instid0(VALU_DEP_2) | instskip(SKIP_2) | instid1(VALU_DEP_3)
	v_dual_add_f32 v35, v24, v26 :: v_dual_mul_f32 v46, v38, v15
	v_dual_fmac_f32 v25, v37, v20 :: v_dual_add_f32 v32, v32, v19
	v_mul_f32_e32 v18, v39, v15
	v_fmac_f32_e32 v46, v39, v14
	s_delay_alu instid0(VALU_DEP_3)
	v_add_f32_e32 v34, v29, v25
	v_mul_f32_e32 v29, v53, v23
	v_mul_f32_e32 v23, v52, v23
	ds_load_b128 v[24:27], v10 offset:1056
	v_add_f32_e32 v34, v34, v46
	v_fma_f32 v19, v52, v22, -v29
	v_mul_f32_e32 v21, v52, v21
	v_fmac_f32_e32 v23, v53, v22
	v_mul_f32_e32 v29, v39, v17
	s_delay_alu instid0(VALU_DEP_3) | instskip(NEXT) | instid1(VALU_DEP_3)
	v_dual_add_f32 v22, v31, v19 :: v_dual_fmac_f32 v21, v53, v20
	v_add_f32_e32 v23, v33, v23
	s_delay_alu instid0(VALU_DEP_2) | instskip(SKIP_4) | instid1(VALU_DEP_2)
	v_add_f32_e32 v37, v28, v21
	v_fma_f32 v28, v38, v14, -v18
	ds_load_2addr_b64 v[18:21], v9 offset0:160 offset1:176
	v_mul_f32_e32 v33, v38, v17
	v_fma_f32 v38, v38, v16, -v29
	v_fmac_f32_e32 v33, v39, v16
	s_delay_alu instid0(VALU_DEP_1)
	v_dual_add_f32 v35, v35, v38 :: v_dual_add_f32 v32, v32, v33
	v_add_f32_e32 v1, v1, v28
	ds_load_b128 v[28:31], v10 offset:1072
	s_waitcnt lgkmcnt(2)
	v_mul_f32_e32 v47, v25, v15
	v_mul_f32_e32 v15, v24, v15
	;; [unrolled: 1-line block ×4, first 2 shown]
	s_delay_alu instid0(VALU_DEP_4) | instskip(NEXT) | instid1(VALU_DEP_4)
	v_fma_f32 v38, v24, v14, -v47
	v_fmac_f32_e32 v15, v25, v14
	s_delay_alu instid0(VALU_DEP_4)
	v_fma_f32 v14, v24, v16, -v39
	s_waitcnt lgkmcnt(1)
	v_mul_f32_e32 v17, v41, v19
	v_dual_fmac_f32 v33, v25, v16 :: v_dual_add_f32 v36, v36, v38
	v_add_f32_e32 v24, v37, v15
	v_add_f32_e32 v22, v22, v14
	s_delay_alu instid0(VALU_DEP_4) | instskip(SKIP_2) | instid1(VALU_DEP_1)
	v_fma_f32 v37, v40, v18, -v17
	ds_load_2addr_b64 v[14:17], v9 offset0:192 offset1:208
	v_dual_mul_f32 v25, v40, v19 :: v_dual_mul_f32 v38, v41, v21
	v_fmac_f32_e32 v25, v41, v18
	s_delay_alu instid0(VALU_DEP_1) | instskip(SKIP_4) | instid1(VALU_DEP_3)
	v_add_f32_e32 v34, v34, v25
	v_add_f32_e32 v33, v23, v33
	v_mul_f32_e32 v23, v40, v21
	v_mul_f32_e32 v25, v27, v19
	;; [unrolled: 1-line block ×3, first 2 shown]
	v_fmac_f32_e32 v23, v41, v20
	s_delay_alu instid0(VALU_DEP_3) | instskip(NEXT) | instid1(VALU_DEP_2)
	v_fma_f32 v25, v26, v18, -v25
	v_dual_fmac_f32 v19, v27, v18 :: v_dual_add_f32 v18, v32, v23
	s_waitcnt lgkmcnt(0)
	v_dual_mul_f32 v32, v43, v15 :: v_dual_add_f32 v1, v1, v37
	v_fma_f32 v37, v40, v20, -v38
	s_delay_alu instid0(VALU_DEP_3) | instskip(NEXT) | instid1(VALU_DEP_3)
	v_add_f32_e32 v19, v24, v19
	v_fma_f32 v32, v42, v14, -v32
	s_delay_alu instid0(VALU_DEP_1) | instskip(NEXT) | instid1(VALU_DEP_4)
	v_add_f32_e32 v1, v1, v32
	v_add_f32_e32 v35, v35, v37
	v_mul_f32_e32 v37, v27, v21
	v_dual_mul_f32 v21, v26, v21 :: v_dual_mul_f32 v32, v29, v15
	s_delay_alu instid0(VALU_DEP_2) | instskip(NEXT) | instid1(VALU_DEP_2)
	v_fma_f32 v23, v26, v20, -v37
	v_dual_add_f32 v26, v36, v25 :: v_dual_fmac_f32 v21, v27, v20
	v_mul_f32_e32 v27, v42, v15
	v_mul_f32_e32 v15, v28, v15
	s_delay_alu instid0(VALU_DEP_4)
	v_add_f32_e32 v20, v22, v23
	ds_load_2addr_b64 v[22:25], v9 offset0:224 offset1:240
	v_fma_f32 v32, v28, v14, -v32
	v_dual_fmac_f32 v27, v43, v14 :: v_dual_mul_f32 v36, v42, v17
	v_fmac_f32_e32 v15, v29, v14
	s_waitcnt lgkmcnt(0)
	s_delay_alu instid0(VALU_DEP_3) | instskip(NEXT) | instid1(VALU_DEP_3)
	v_add_f32_e32 v14, v26, v32
	v_dual_add_f32 v27, v34, v27 :: v_dual_fmac_f32 v36, v43, v16
	s_delay_alu instid0(VALU_DEP_3)
	v_dual_mul_f32 v34, v29, v17 :: v_dual_add_f32 v15, v19, v15
	s_barrier
	buffer_gl0_inv
	v_mul_f32_e32 v26, v45, v23
	v_add_f32_e32 v21, v33, v21
	v_mul_f32_e32 v33, v43, v17
	v_mul_f32_e32 v17, v28, v17
	;; [unrolled: 1-line block ×3, first 2 shown]
	s_delay_alu instid0(VALU_DEP_3) | instskip(NEXT) | instid1(VALU_DEP_3)
	v_fma_f32 v33, v42, v16, -v33
	v_fmac_f32_e32 v17, v29, v16
	s_delay_alu instid0(VALU_DEP_3) | instskip(NEXT) | instid1(VALU_DEP_3)
	v_fmac_f32_e32 v19, v45, v24
	v_add_f32_e32 v33, v35, v33
	v_add_f32_e32 v35, v18, v36
	v_fma_f32 v18, v28, v16, -v34
	v_fma_f32 v16, v44, v22, -v26
	v_mul_f32_e32 v28, v44, v23
	v_dual_add_f32 v26, v21, v17 :: v_dual_mul_f32 v17, v30, v23
	s_delay_alu instid0(VALU_DEP_4) | instskip(NEXT) | instid1(VALU_DEP_4)
	v_dual_add_f32 v29, v20, v18 :: v_dual_mul_f32 v18, v45, v25
	v_add_f32_e32 v20, v1, v16
	v_mul_f32_e32 v16, v31, v23
	v_mul_f32_e32 v23, v31, v25
	;; [unrolled: 1-line block ×3, first 2 shown]
	v_fma_f32 v1, v44, v24, -v18
	v_fmac_f32_e32 v28, v45, v22
	v_fmac_f32_e32 v17, v31, v22
	v_add_f32_e32 v19, v35, v19
	s_delay_alu instid0(VALU_DEP_4)
	v_dual_fmac_f32 v25, v31, v24 :: v_dual_add_f32 v18, v33, v1
	v_fma_f32 v1, v30, v22, -v16
	v_fma_f32 v22, v30, v24, -v23
	v_add_f32_e32 v21, v27, v28
	v_add_f32_e32 v17, v15, v17
	;; [unrolled: 1-line block ×5, first 2 shown]
	s_cbranch_vccnz .LBB1764_11
.LBB1764_3:                             ; =>This Inner Loop Header: Depth=1
	v_add_co_u32 v22, s14, v11, s12
	s_delay_alu instid0(VALU_DEP_1) | instskip(NEXT) | instid1(VALU_DEP_1)
	v_add_co_ci_u32_e64 v23, null, 0, s13, s14
	v_cmp_le_i64_e32 vcc_lo, s[4:5], v[22:23]
	s_or_b32 s14, s1, vcc_lo
	s_delay_alu instid0(SALU_CYCLE_1) | instskip(NEXT) | instid1(SALU_CYCLE_1)
	s_and_saveexec_b32 s15, s14
	s_xor_b32 s14, exec_lo, s15
	s_cbranch_execz .LBB1764_5
; %bb.4:                                ;   in Loop: Header=BB1764_3 Depth=1
	v_mov_b32_e32 v1, v0
	ds_store_b64 v12, v[0:1]
.LBB1764_5:                             ;   in Loop: Header=BB1764_3 Depth=1
	s_and_not1_saveexec_b32 s14, s14
	s_cbranch_execz .LBB1764_7
; %bb.6:                                ;   in Loop: Header=BB1764_3 Depth=1
	global_load_b64 v[22:23], v[2:3], off
	s_waitcnt vmcnt(0)
	ds_store_b64 v12, v[22:23]
.LBB1764_7:                             ;   in Loop: Header=BB1764_3 Depth=1
	s_or_b32 exec_lo, exec_lo, s14
	v_add_co_u32 v22, s14, v8, s12
	s_delay_alu instid0(VALU_DEP_1) | instskip(NEXT) | instid1(VALU_DEP_1)
	v_add_co_ci_u32_e64 v23, null, 0, s13, s14
                                        ; implicit-def: $sgpr15
	v_cmp_le_i64_e32 vcc_lo, s[4:5], v[22:23]
	s_or_b32 s14, vcc_lo, s0
	s_delay_alu instid0(SALU_CYCLE_1) | instskip(NEXT) | instid1(SALU_CYCLE_1)
	s_and_saveexec_b32 s22, s14
	s_xor_b32 s14, exec_lo, s22
	s_cbranch_execz .LBB1764_9
; %bb.8:                                ;   in Loop: Header=BB1764_3 Depth=1
	s_mov_b32 s15, 0
	ds_store_b32 v13, v0
.LBB1764_9:                             ;   in Loop: Header=BB1764_3 Depth=1
	s_or_saveexec_b32 s14, s14
	v_mov_b32_e32 v1, s15
	s_xor_b32 exec_lo, exec_lo, s14
	s_cbranch_execz .LBB1764_2
; %bb.10:                               ;   in Loop: Header=BB1764_3 Depth=1
	global_load_b64 v[22:23], v[4:5], off offset:-4
	s_waitcnt vmcnt(0)
	v_xor_b32_e32 v1, 0x80000000, v23
	ds_store_b32 v13, v22
	s_branch .LBB1764_2
.LBB1764_11:
	v_add_nc_u32_e32 v5, s24, v7
	s_delay_alu instid0(VALU_DEP_1) | instskip(SKIP_2) | instid1(VALU_DEP_3)
	v_ashrrev_i32_e32 v0, 31, v5
	v_mul_lo_u32 v3, v5, s21
	v_mad_u64_u32 v[1:2], null, v5, s20, 0
	v_mul_lo_u32 v0, v0, s20
	s_delay_alu instid0(VALU_DEP_1) | instskip(SKIP_1) | instid1(VALU_DEP_2)
	v_add3_u32 v2, v2, v3, v0
	v_add_nc_u32_e32 v0, s19, v6
	v_lshlrev_b64 v[1:2], 3, v[1:2]
	s_delay_alu instid0(VALU_DEP_2) | instskip(SKIP_2) | instid1(VALU_DEP_3)
	v_cmp_le_i32_e64 s0, v5, v0
	s_waitcnt lgkmcnt(0)
	v_cmp_gt_i32_e32 vcc_lo, s18, v0
	v_add_co_u32 v4, s1, s2, v1
	s_delay_alu instid0(VALU_DEP_1) | instskip(SKIP_1) | instid1(SALU_CYCLE_1)
	v_add_co_ci_u32_e64 v6, s1, s3, v2, s1
	s_and_b32 s0, s0, vcc_lo
	s_and_saveexec_b32 s1, s0
	s_cbranch_execz .LBB1764_14
; %bb.12:
	v_ashrrev_i32_e32 v1, 31, v0
	s_delay_alu instid0(VALU_DEP_1) | instskip(NEXT) | instid1(VALU_DEP_1)
	v_lshlrev_b64 v[1:2], 3, v[0:1]
	v_add_co_u32 v1, s0, v4, v1
	s_delay_alu instid0(VALU_DEP_1)
	v_add_co_ci_u32_e64 v2, s0, v6, v2, s0
	v_cmp_eq_u32_e64 s0, v5, v0
	global_load_b64 v[7:8], v[1:2], off
	v_mul_f32_e32 v3, s7, v21
	s_waitcnt vmcnt(0)
	v_dual_mul_f32 v9, s6, v21 :: v_dual_mul_f32 v10, s17, v8
	v_mul_f32_e32 v8, s16, v8
	s_delay_alu instid0(VALU_DEP_3) | instskip(NEXT) | instid1(VALU_DEP_3)
	v_fma_f32 v3, v20, s6, -v3
	v_fmac_f32_e32 v9, s7, v20
	s_delay_alu instid0(VALU_DEP_4) | instskip(NEXT) | instid1(VALU_DEP_1)
	v_fma_f32 v10, v7, s16, -v10
	v_dual_fmac_f32 v8, s17, v7 :: v_dual_add_f32 v7, v3, v10
	s_delay_alu instid0(VALU_DEP_1)
	v_add_f32_e32 v8, v9, v8
	global_store_b64 v[1:2], v[7:8], off
	s_and_b32 exec_lo, exec_lo, s0
	s_cbranch_execz .LBB1764_14
; %bb.13:
	v_mov_b32_e32 v3, 0
	global_store_b32 v[1:2], v3, off offset:4
.LBB1764_14:
	s_or_b32 exec_lo, exec_lo, s1
	v_add_nc_u32_e32 v2, 16, v0
	s_delay_alu instid0(VALU_DEP_1) | instskip(SKIP_1) | instid1(VALU_DEP_1)
	v_cmp_le_i32_e64 s1, v5, v2
	v_cmp_gt_i32_e64 s0, s18, v2
	s_and_b32 s1, s1, s0
	s_delay_alu instid0(SALU_CYCLE_1)
	s_and_saveexec_b32 s4, s1
	s_cbranch_execz .LBB1764_17
; %bb.15:
	v_ashrrev_i32_e32 v3, 31, v2
	s_delay_alu instid0(VALU_DEP_1) | instskip(NEXT) | instid1(VALU_DEP_1)
	v_lshlrev_b64 v[7:8], 3, v[2:3]
	v_add_co_u32 v3, s1, v4, v7
	s_delay_alu instid0(VALU_DEP_1) | instskip(SKIP_4) | instid1(VALU_DEP_1)
	v_add_co_ci_u32_e64 v4, s1, v6, v8, s1
	v_cmp_eq_u32_e64 s1, v5, v2
	global_load_b64 v[6:7], v[3:4], off
	s_waitcnt vmcnt(0)
	v_mul_f32_e32 v9, s17, v7
	v_fma_f32 v9, v6, s16, -v9
	v_mul_f32_e32 v7, s16, v7
	s_delay_alu instid0(VALU_DEP_1) | instskip(NEXT) | instid1(VALU_DEP_1)
	v_dual_mul_f32 v8, s6, v19 :: v_dual_fmac_f32 v7, s17, v6
	v_dual_mul_f32 v1, s7, v19 :: v_dual_fmac_f32 v8, s7, v18
	s_delay_alu instid0(VALU_DEP_1) | instskip(NEXT) | instid1(VALU_DEP_1)
	v_fma_f32 v1, v18, s6, -v1
	v_dual_add_f32 v7, v8, v7 :: v_dual_add_f32 v6, v1, v9
	global_store_b64 v[3:4], v[6:7], off
	s_and_b32 exec_lo, exec_lo, s1
	s_cbranch_execz .LBB1764_17
; %bb.16:
	v_mov_b32_e32 v1, 0
	global_store_b32 v[3:4], v1, off offset:4
.LBB1764_17:
	s_or_b32 exec_lo, exec_lo, s4
	v_add_nc_u32_e32 v8, 16, v5
	s_delay_alu instid0(VALU_DEP_1) | instskip(SKIP_3) | instid1(VALU_DEP_4)
	v_ashrrev_i32_e32 v1, 31, v8
	v_mul_lo_u32 v6, v8, s21
	v_mad_u64_u32 v[3:4], null, v8, s20, 0
	v_cmp_le_i32_e64 s1, v8, v0
	v_mul_lo_u32 v1, v1, s20
	s_delay_alu instid0(VALU_DEP_1) | instskip(NEXT) | instid1(VALU_DEP_1)
	v_add3_u32 v4, v4, v6, v1
	v_lshlrev_b64 v[3:4], 3, v[3:4]
	s_delay_alu instid0(VALU_DEP_1) | instskip(NEXT) | instid1(VALU_DEP_1)
	v_add_co_u32 v6, s2, s2, v3
	v_add_co_ci_u32_e64 v7, s2, s3, v4, s2
	s_and_b32 s2, s1, vcc_lo
	s_delay_alu instid0(SALU_CYCLE_1)
	s_and_saveexec_b32 s1, s2
	s_cbranch_execz .LBB1764_20
; %bb.18:
	v_ashrrev_i32_e32 v1, 31, v0
	s_delay_alu instid0(VALU_DEP_1) | instskip(NEXT) | instid1(VALU_DEP_1)
	v_lshlrev_b64 v[3:4], 3, v[0:1]
	v_add_co_u32 v3, vcc_lo, v6, v3
	s_delay_alu instid0(VALU_DEP_2)
	v_add_co_ci_u32_e32 v4, vcc_lo, v7, v4, vcc_lo
	v_cmp_eq_u32_e32 vcc_lo, v8, v0
	global_load_b64 v[9:10], v[3:4], off
	v_mul_f32_e32 v1, s7, v17
	s_waitcnt vmcnt(0)
	v_dual_mul_f32 v11, s6, v17 :: v_dual_mul_f32 v12, s17, v10
	v_mul_f32_e32 v10, s16, v10
	s_delay_alu instid0(VALU_DEP_3) | instskip(NEXT) | instid1(VALU_DEP_3)
	v_fma_f32 v1, v16, s6, -v1
	v_fmac_f32_e32 v11, s7, v16
	s_delay_alu instid0(VALU_DEP_4) | instskip(NEXT) | instid1(VALU_DEP_1)
	v_fma_f32 v12, v9, s16, -v12
	v_dual_fmac_f32 v10, s17, v9 :: v_dual_add_f32 v9, v1, v12
	s_delay_alu instid0(VALU_DEP_1)
	v_add_f32_e32 v10, v11, v10
	global_store_b64 v[3:4], v[9:10], off
	s_and_b32 exec_lo, exec_lo, vcc_lo
	s_cbranch_execz .LBB1764_20
; %bb.19:
	v_mov_b32_e32 v1, 0
	global_store_b32 v[3:4], v1, off offset:4
.LBB1764_20:
	s_or_b32 exec_lo, exec_lo, s1
	v_cmp_le_i32_e32 vcc_lo, v8, v2
	s_and_b32 s0, vcc_lo, s0
	s_delay_alu instid0(SALU_CYCLE_1)
	s_and_saveexec_b32 s1, s0
	s_cbranch_execz .LBB1764_23
; %bb.21:
	v_ashrrev_i32_e32 v3, 31, v2
	s_delay_alu instid0(VALU_DEP_1) | instskip(NEXT) | instid1(VALU_DEP_1)
	v_lshlrev_b64 v[1:2], 3, v[2:3]
	v_add_co_u32 v1, vcc_lo, v6, v1
	s_delay_alu instid0(VALU_DEP_2) | instskip(SKIP_4) | instid1(VALU_DEP_1)
	v_add_co_ci_u32_e32 v2, vcc_lo, v7, v2, vcc_lo
	v_cmp_eq_u32_e32 vcc_lo, v5, v0
	global_load_b64 v[3:4], v[1:2], off
	s_waitcnt vmcnt(0)
	v_dual_mul_f32 v7, s6, v15 :: v_dual_mul_f32 v8, s17, v4
	v_dual_mul_f32 v6, s7, v15 :: v_dual_fmac_f32 v7, s7, v14
	v_mul_f32_e32 v4, s16, v4
	s_delay_alu instid0(VALU_DEP_3) | instskip(NEXT) | instid1(VALU_DEP_3)
	v_fma_f32 v8, v3, s16, -v8
	v_fma_f32 v6, v14, s6, -v6
	s_delay_alu instid0(VALU_DEP_1) | instskip(NEXT) | instid1(VALU_DEP_1)
	v_dual_fmac_f32 v4, s17, v3 :: v_dual_add_f32 v3, v6, v8
	v_add_f32_e32 v4, v7, v4
	global_store_b64 v[1:2], v[3:4], off
	s_and_b32 exec_lo, exec_lo, vcc_lo
	s_cbranch_execz .LBB1764_23
; %bb.22:
	v_mov_b32_e32 v0, 0
	global_store_b32 v[1:2], v0, off offset:4
.LBB1764_23:
	s_nop 0
	s_sendmsg sendmsg(MSG_DEALLOC_VGPRS)
	s_endpgm
	.section	.rodata,"a",@progbits
	.p2align	6, 0x0
	.amdhsa_kernel _ZL34rocblas_syrkx_herkx_general_kernelIl19rocblas_complex_numIfELi16ELi32ELi8ELb0ELb1ELc78ELc76EKPKS1_KPS1_EviT_T0_PT8_S7_lSA_S7_lS8_PT9_S7_li
		.amdhsa_group_segment_fixed_size 4096
		.amdhsa_private_segment_fixed_size 0
		.amdhsa_kernarg_size 108
		.amdhsa_user_sgpr_count 13
		.amdhsa_user_sgpr_dispatch_ptr 0
		.amdhsa_user_sgpr_queue_ptr 0
		.amdhsa_user_sgpr_kernarg_segment_ptr 1
		.amdhsa_user_sgpr_dispatch_id 0
		.amdhsa_user_sgpr_private_segment_size 0
		.amdhsa_wavefront_size32 1
		.amdhsa_uses_dynamic_stack 0
		.amdhsa_enable_private_segment 0
		.amdhsa_system_sgpr_workgroup_id_x 1
		.amdhsa_system_sgpr_workgroup_id_y 1
		.amdhsa_system_sgpr_workgroup_id_z 1
		.amdhsa_system_sgpr_workgroup_info 0
		.amdhsa_system_vgpr_workitem_id 1
		.amdhsa_next_free_vgpr 59
		.amdhsa_next_free_sgpr 25
		.amdhsa_reserve_vcc 1
		.amdhsa_float_round_mode_32 0
		.amdhsa_float_round_mode_16_64 0
		.amdhsa_float_denorm_mode_32 3
		.amdhsa_float_denorm_mode_16_64 3
		.amdhsa_dx10_clamp 1
		.amdhsa_ieee_mode 1
		.amdhsa_fp16_overflow 0
		.amdhsa_workgroup_processor_mode 1
		.amdhsa_memory_ordered 1
		.amdhsa_forward_progress 0
		.amdhsa_shared_vgpr_count 0
		.amdhsa_exception_fp_ieee_invalid_op 0
		.amdhsa_exception_fp_denorm_src 0
		.amdhsa_exception_fp_ieee_div_zero 0
		.amdhsa_exception_fp_ieee_overflow 0
		.amdhsa_exception_fp_ieee_underflow 0
		.amdhsa_exception_fp_ieee_inexact 0
		.amdhsa_exception_int_div_zero 0
	.end_amdhsa_kernel
	.section	.text._ZL34rocblas_syrkx_herkx_general_kernelIl19rocblas_complex_numIfELi16ELi32ELi8ELb0ELb1ELc78ELc76EKPKS1_KPS1_EviT_T0_PT8_S7_lSA_S7_lS8_PT9_S7_li,"axG",@progbits,_ZL34rocblas_syrkx_herkx_general_kernelIl19rocblas_complex_numIfELi16ELi32ELi8ELb0ELb1ELc78ELc76EKPKS1_KPS1_EviT_T0_PT8_S7_lSA_S7_lS8_PT9_S7_li,comdat
.Lfunc_end1764:
	.size	_ZL34rocblas_syrkx_herkx_general_kernelIl19rocblas_complex_numIfELi16ELi32ELi8ELb0ELb1ELc78ELc76EKPKS1_KPS1_EviT_T0_PT8_S7_lSA_S7_lS8_PT9_S7_li, .Lfunc_end1764-_ZL34rocblas_syrkx_herkx_general_kernelIl19rocblas_complex_numIfELi16ELi32ELi8ELb0ELb1ELc78ELc76EKPKS1_KPS1_EviT_T0_PT8_S7_lSA_S7_lS8_PT9_S7_li
                                        ; -- End function
	.section	.AMDGPU.csdata,"",@progbits
; Kernel info:
; codeLenInByte = 2868
; NumSgprs: 27
; NumVgprs: 59
; ScratchSize: 0
; MemoryBound: 1
; FloatMode: 240
; IeeeMode: 1
; LDSByteSize: 4096 bytes/workgroup (compile time only)
; SGPRBlocks: 3
; VGPRBlocks: 7
; NumSGPRsForWavesPerEU: 27
; NumVGPRsForWavesPerEU: 59
; Occupancy: 16
; WaveLimiterHint : 1
; COMPUTE_PGM_RSRC2:SCRATCH_EN: 0
; COMPUTE_PGM_RSRC2:USER_SGPR: 13
; COMPUTE_PGM_RSRC2:TRAP_HANDLER: 0
; COMPUTE_PGM_RSRC2:TGID_X_EN: 1
; COMPUTE_PGM_RSRC2:TGID_Y_EN: 1
; COMPUTE_PGM_RSRC2:TGID_Z_EN: 1
; COMPUTE_PGM_RSRC2:TIDIG_COMP_CNT: 1
	.section	.text._ZL34rocblas_syrkx_herkx_general_kernelIl19rocblas_complex_numIfELi16ELi32ELi8ELb0ELb1ELc84ELc85EKPKS1_KPS1_EviT_T0_PT8_S7_lSA_S7_lS8_PT9_S7_li,"axG",@progbits,_ZL34rocblas_syrkx_herkx_general_kernelIl19rocblas_complex_numIfELi16ELi32ELi8ELb0ELb1ELc84ELc85EKPKS1_KPS1_EviT_T0_PT8_S7_lSA_S7_lS8_PT9_S7_li,comdat
	.globl	_ZL34rocblas_syrkx_herkx_general_kernelIl19rocblas_complex_numIfELi16ELi32ELi8ELb0ELb1ELc84ELc85EKPKS1_KPS1_EviT_T0_PT8_S7_lSA_S7_lS8_PT9_S7_li ; -- Begin function _ZL34rocblas_syrkx_herkx_general_kernelIl19rocblas_complex_numIfELi16ELi32ELi8ELb0ELb1ELc84ELc85EKPKS1_KPS1_EviT_T0_PT8_S7_lSA_S7_lS8_PT9_S7_li
	.p2align	8
	.type	_ZL34rocblas_syrkx_herkx_general_kernelIl19rocblas_complex_numIfELi16ELi32ELi8ELb0ELb1ELc84ELc85EKPKS1_KPS1_EviT_T0_PT8_S7_lSA_S7_lS8_PT9_S7_li,@function
_ZL34rocblas_syrkx_herkx_general_kernelIl19rocblas_complex_numIfELi16ELi32ELi8ELb0ELb1ELc84ELc85EKPKS1_KPS1_EviT_T0_PT8_S7_lSA_S7_lS8_PT9_S7_li: ; @_ZL34rocblas_syrkx_herkx_general_kernelIl19rocblas_complex_numIfELi16ELi32ELi8ELb0ELb1ELc84ELc85EKPKS1_KPS1_EviT_T0_PT8_S7_lSA_S7_lS8_PT9_S7_li
; %bb.0:
	s_clause 0x1
	s_load_b128 s[16:19], s[0:1], 0x48
	s_load_b256 s[4:11], s[0:1], 0x8
	s_mov_b32 s2, s15
	s_mov_b32 s3, 0
	s_load_b64 s[20:21], s[0:1], 0x58
	s_lshl_b64 s[22:23], s[2:3], 3
	v_dual_mov_b32 v21, 0 :: v_dual_and_b32 v6, 0x3ff, v0
	v_bfe_u32 v7, v0, 10, 10
	v_dual_mov_b32 v20, 0 :: v_dual_mov_b32 v19, 0
	v_dual_mov_b32 v18, 0 :: v_dual_mov_b32 v17, 0
	;; [unrolled: 1-line block ×3, first 2 shown]
	v_mov_b32_e32 v14, 0
	s_waitcnt lgkmcnt(0)
	s_add_u32 s2, s18, s22
	s_addc_u32 s3, s19, s23
	s_load_b32 s12, s[0:1], 0x0
	s_load_b64 s[18:19], s[2:3], 0x0
	v_cmp_lt_i64_e64 s2, s[4:5], 1
	s_lshl_b32 s13, s13, 5
	s_lshl_b32 s14, s14, 5
	s_delay_alu instid0(VALU_DEP_1)
	s_and_b32 vcc_lo, exec_lo, s2
	s_cbranch_vccnz .LBB1765_11
; %bb.1:
	s_load_b128 s[0:3], s[0:1], 0x30
	v_lshl_add_u32 v0, v7, 4, v6
	v_and_b32_e32 v8, 7, v6
	v_dual_mov_b32 v20, 0 :: v_dual_mov_b32 v19, 0
	v_mov_b32_e32 v21, 0
	s_delay_alu instid0(VALU_DEP_4) | instskip(SKIP_3) | instid1(VALU_DEP_4)
	v_lshrrev_b32_e32 v5, 3, v0
	v_and_b32_e32 v1, 31, v0
	v_lshrrev_b32_e32 v9, 5, v0
	v_lshlrev_b32_e32 v14, 3, v8
	v_dual_mov_b32 v18, 0 :: v_dual_add_nc_u32 v11, s14, v5
	s_delay_alu instid0(VALU_DEP_4)
	v_add_nc_u32_e32 v0, s13, v1
	v_or_b32_e32 v10, s13, v1
	v_lshlrev_b32_e32 v12, 3, v1
	v_lshl_or_b32 v5, v5, 6, v14
	v_ashrrev_i32_e32 v3, 31, v11
	v_ashrrev_i32_e32 v4, 31, v0
	s_waitcnt lgkmcnt(0)
	v_cmp_gt_i32_e32 vcc_lo, s12, v10
	v_lshl_or_b32 v10, v9, 8, v12
	v_mul_lo_u32 v17, s3, v11
	v_mul_lo_u32 v16, s2, v3
	v_mul_lo_u32 v15, s10, v4
	v_mad_u64_u32 v[3:4], null, s2, v11, 0
	s_add_u32 s0, s0, s22
	s_addc_u32 s1, s1, s23
	s_add_u32 s8, s8, s22
	s_addc_u32 s9, s9, s23
	v_lshlrev_b32_e32 v12, 3, v6
	s_mov_b64 s[2:3], 0
	s_delay_alu instid0(VALU_DEP_2)
	v_add3_u32 v4, v4, v16, v17
	v_mov_b32_e32 v17, 0
	v_mul_lo_u32 v13, s11, v0
	v_mad_u64_u32 v[1:2], null, s10, v0, 0
	s_load_b64 s[10:11], s[0:1], 0x0
	s_load_b64 s[8:9], s[8:9], 0x0
	v_cmp_gt_i32_e64 s0, s12, v11
	v_dual_mov_b32 v16, 0 :: v_dual_add_nc_u32 v11, 0x800, v5
	v_lshlrev_b32_e32 v5, 3, v9
	v_lshlrev_b64 v[3:4], 3, v[3:4]
	v_add3_u32 v2, v2, v15, v13
	v_mov_b32_e32 v0, 0
	v_lshl_add_u32 v13, v7, 6, 0x800
	s_xor_b32 s0, s0, -1
	s_delay_alu instid0(VALU_DEP_3) | instskip(NEXT) | instid1(VALU_DEP_1)
	v_lshlrev_b64 v[1:2], 3, v[1:2]
	v_add_co_u32 v1, s1, v1, v5
	s_delay_alu instid0(VALU_DEP_1) | instskip(SKIP_1) | instid1(VALU_DEP_1)
	v_add_co_ci_u32_e64 v5, s1, 0, v2, s1
	v_add_co_u32 v14, s1, v3, v14
	v_add_co_ci_u32_e64 v15, s1, 0, v4, s1
	s_waitcnt lgkmcnt(0)
	v_add_co_u32 v2, s1, s8, v1
	s_delay_alu instid0(VALU_DEP_1) | instskip(SKIP_1) | instid1(VALU_DEP_1)
	v_add_co_ci_u32_e64 v3, s1, s9, v5, s1
	v_add_co_u32 v4, s1, s10, v14
	v_add_co_ci_u32_e64 v5, s1, s11, v15, s1
	v_dual_mov_b32 v15, 0 :: v_dual_mov_b32 v14, 0
	s_xor_b32 s1, vcc_lo, -1
	s_branch .LBB1765_3
.LBB1765_2:                             ;   in Loop: Header=BB1765_3 Depth=1
	s_or_b32 exec_lo, exec_lo, s8
	s_waitcnt lgkmcnt(0)
	s_barrier
	buffer_gl0_inv
	ds_load_2addr_b64 v[22:25], v12 offset1:16
	ds_load_b128 v[26:29], v13
	ds_load_b128 v[30:33], v13 offset:1024
	ds_load_b128 v[34:37], v13 offset:16
	;; [unrolled: 1-line block ×4, first 2 shown]
	ds_load_2addr_b64 v[46:49], v12 offset0:32 offset1:48
	ds_load_b128 v[50:53], v13 offset:1040
	s_add_u32 s2, s2, 8
	s_addc_u32 s3, s3, 0
	v_add_co_u32 v2, vcc_lo, v2, 64
	v_cmp_ge_i64_e64 s8, s[2:3], s[4:5]
	v_add_co_ci_u32_e32 v3, vcc_lo, 0, v3, vcc_lo
	v_add_co_u32 v4, vcc_lo, v4, 64
	v_add_co_ci_u32_e32 v5, vcc_lo, 0, v5, vcc_lo
	s_delay_alu instid0(VALU_DEP_4)
	s_and_b32 vcc_lo, exec_lo, s8
	s_waitcnt lgkmcnt(6)
	v_dual_mul_f32 v1, v27, v23 :: v_dual_mul_f32 v56, v26, v25
	v_dual_mul_f32 v54, v26, v23 :: v_dual_mul_f32 v55, v27, v25
	s_waitcnt lgkmcnt(5)
	v_mul_f32_e32 v58, v31, v25
	s_delay_alu instid0(VALU_DEP_3) | instskip(SKIP_3) | instid1(VALU_DEP_4)
	v_fma_f32 v1, v26, v22, -v1
	v_dual_mul_f32 v25, v30, v25 :: v_dual_fmac_f32 v56, v27, v24
	v_fmac_f32_e32 v54, v27, v22
	v_fma_f32 v26, v26, v24, -v55
	v_add_f32_e32 v1, v20, v1
	v_mul_f32_e32 v57, v31, v23
	s_delay_alu instid0(VALU_DEP_4) | instskip(SKIP_2) | instid1(VALU_DEP_4)
	v_dual_mul_f32 v23, v30, v23 :: v_dual_add_f32 v20, v21, v54
	v_fmac_f32_e32 v25, v31, v24
	v_dual_add_f32 v21, v18, v26 :: v_dual_add_f32 v26, v19, v56
	v_fma_f32 v27, v30, v22, -v57
	s_delay_alu instid0(VALU_DEP_4) | instskip(SKIP_3) | instid1(VALU_DEP_2)
	v_fmac_f32_e32 v23, v31, v22
	v_fma_f32 v22, v30, v24, -v58
	s_waitcnt lgkmcnt(1)
	v_mul_f32_e32 v30, v29, v47
	v_dual_add_f32 v27, v16, v27 :: v_dual_add_f32 v14, v14, v22
	v_dual_mul_f32 v22, v28, v47 :: v_dual_add_f32 v15, v15, v25
	v_mul_f32_e32 v25, v28, v49
	s_delay_alu instid0(VALU_DEP_4) | instskip(NEXT) | instid1(VALU_DEP_3)
	v_fma_f32 v24, v28, v46, -v30
	v_fmac_f32_e32 v22, v29, v46
	v_add_f32_e32 v23, v17, v23
	ds_load_2addr_b64 v[16:19], v12 offset0:64 offset1:80
	v_mul_f32_e32 v30, v29, v49
	v_fmac_f32_e32 v25, v29, v48
	v_add_f32_e32 v1, v1, v24
	s_delay_alu instid0(VALU_DEP_2) | instskip(SKIP_1) | instid1(VALU_DEP_1)
	v_add_f32_e32 v25, v26, v25
	v_mul_f32_e32 v26, v32, v49
	v_fmac_f32_e32 v26, v33, v48
	s_waitcnt lgkmcnt(0)
	s_delay_alu instid0(VALU_DEP_1) | instskip(SKIP_1) | instid1(VALU_DEP_2)
	v_dual_add_f32 v26, v15, v26 :: v_dual_mul_f32 v29, v34, v17
	v_mul_f32_e32 v15, v34, v19
	v_fmac_f32_e32 v29, v35, v16
	v_fma_f32 v24, v28, v48, -v30
	v_mul_f32_e32 v28, v33, v47
	v_add_f32_e32 v30, v20, v22
	v_mul_f32_e32 v20, v32, v47
	v_mul_f32_e32 v22, v33, v49
	v_add_f32_e32 v24, v21, v24
	v_fma_f32 v21, v32, v46, -v28
	s_delay_alu instid0(VALU_DEP_4) | instskip(SKIP_1) | instid1(VALU_DEP_3)
	v_dual_add_f32 v29, v30, v29 :: v_dual_fmac_f32 v20, v33, v46
	v_fmac_f32_e32 v15, v35, v18
	v_add_f32_e32 v27, v27, v21
	v_fma_f32 v21, v32, v48, -v22
	v_mul_f32_e32 v22, v35, v17
	v_mul_f32_e32 v32, v35, v19
	v_add_f32_e32 v28, v23, v20
	s_delay_alu instid0(VALU_DEP_4) | instskip(NEXT) | instid1(VALU_DEP_4)
	v_add_f32_e32 v14, v14, v21
	v_fma_f32 v31, v34, v16, -v22
	ds_load_2addr_b64 v[20:23], v12 offset0:96 offset1:112
	v_add_f32_e32 v1, v1, v31
	v_fma_f32 v31, v34, v18, -v32
	s_delay_alu instid0(VALU_DEP_1) | instskip(SKIP_3) | instid1(VALU_DEP_3)
	v_add_f32_e32 v24, v24, v31
	v_mul_f32_e32 v31, v51, v19
	v_mul_f32_e32 v19, v50, v19
	v_add_f32_e32 v32, v25, v15
	v_fma_f32 v15, v50, v18, -v31
	s_delay_alu instid0(VALU_DEP_3)
	v_fmac_f32_e32 v19, v51, v18
	v_mul_f32_e32 v30, v51, v17
	v_mul_f32_e32 v17, v50, v17
	s_waitcnt lgkmcnt(0)
	v_dual_mul_f32 v18, v37, v21 :: v_dual_add_f32 v31, v14, v15
	v_add_f32_e32 v33, v26, v19
	v_fma_f32 v30, v50, v16, -v30
	v_fmac_f32_e32 v17, v51, v16
	s_delay_alu instid0(VALU_DEP_4) | instskip(SKIP_1) | instid1(VALU_DEP_4)
	v_fma_f32 v18, v36, v20, -v18
	v_mul_f32_e32 v25, v36, v21
	v_dual_mul_f32 v19, v36, v23 :: v_dual_add_f32 v30, v27, v30
	s_delay_alu instid0(VALU_DEP_4) | instskip(SKIP_4) | instid1(VALU_DEP_2)
	v_add_f32_e32 v28, v28, v17
	ds_load_2addr_b64 v[14:17], v12 offset0:128 offset1:144
	v_add_f32_e32 v1, v1, v18
	v_mul_f32_e32 v18, v53, v21
	v_fmac_f32_e32 v19, v37, v22
	v_fma_f32 v18, v52, v20, -v18
	v_mul_f32_e32 v27, v37, v23
	s_delay_alu instid0(VALU_DEP_1) | instskip(NEXT) | instid1(VALU_DEP_3)
	v_fma_f32 v26, v36, v22, -v27
	v_add_f32_e32 v36, v30, v18
	s_waitcnt lgkmcnt(0)
	s_delay_alu instid0(VALU_DEP_2) | instskip(SKIP_2) | instid1(VALU_DEP_3)
	v_dual_add_f32 v35, v24, v26 :: v_dual_mul_f32 v46, v38, v15
	v_dual_fmac_f32 v25, v37, v20 :: v_dual_add_f32 v32, v32, v19
	v_mul_f32_e32 v18, v39, v15
	v_fmac_f32_e32 v46, v39, v14
	s_delay_alu instid0(VALU_DEP_3)
	v_add_f32_e32 v34, v29, v25
	v_mul_f32_e32 v29, v53, v23
	v_mul_f32_e32 v23, v52, v23
	ds_load_b128 v[24:27], v13 offset:1056
	v_add_f32_e32 v34, v34, v46
	v_fma_f32 v19, v52, v22, -v29
	v_mul_f32_e32 v21, v52, v21
	v_fmac_f32_e32 v23, v53, v22
	v_mul_f32_e32 v29, v39, v17
	s_delay_alu instid0(VALU_DEP_3) | instskip(NEXT) | instid1(VALU_DEP_3)
	v_dual_add_f32 v22, v31, v19 :: v_dual_fmac_f32 v21, v53, v20
	v_add_f32_e32 v23, v33, v23
	s_delay_alu instid0(VALU_DEP_2) | instskip(SKIP_4) | instid1(VALU_DEP_2)
	v_add_f32_e32 v37, v28, v21
	v_fma_f32 v28, v38, v14, -v18
	ds_load_2addr_b64 v[18:21], v12 offset0:160 offset1:176
	v_mul_f32_e32 v33, v38, v17
	v_fma_f32 v38, v38, v16, -v29
	v_fmac_f32_e32 v33, v39, v16
	s_delay_alu instid0(VALU_DEP_1)
	v_dual_add_f32 v35, v35, v38 :: v_dual_add_f32 v32, v32, v33
	v_add_f32_e32 v1, v1, v28
	ds_load_b128 v[28:31], v13 offset:1072
	s_waitcnt lgkmcnt(2)
	v_mul_f32_e32 v47, v25, v15
	v_mul_f32_e32 v15, v24, v15
	;; [unrolled: 1-line block ×4, first 2 shown]
	s_delay_alu instid0(VALU_DEP_4) | instskip(NEXT) | instid1(VALU_DEP_4)
	v_fma_f32 v38, v24, v14, -v47
	v_fmac_f32_e32 v15, v25, v14
	s_delay_alu instid0(VALU_DEP_4)
	v_fma_f32 v14, v24, v16, -v39
	s_waitcnt lgkmcnt(1)
	v_mul_f32_e32 v17, v41, v19
	v_dual_fmac_f32 v33, v25, v16 :: v_dual_add_f32 v36, v36, v38
	v_add_f32_e32 v24, v37, v15
	v_add_f32_e32 v22, v22, v14
	s_delay_alu instid0(VALU_DEP_4) | instskip(SKIP_2) | instid1(VALU_DEP_1)
	v_fma_f32 v37, v40, v18, -v17
	ds_load_2addr_b64 v[14:17], v12 offset0:192 offset1:208
	v_dual_mul_f32 v25, v40, v19 :: v_dual_mul_f32 v38, v41, v21
	v_fmac_f32_e32 v25, v41, v18
	s_delay_alu instid0(VALU_DEP_1) | instskip(SKIP_4) | instid1(VALU_DEP_3)
	v_add_f32_e32 v34, v34, v25
	v_add_f32_e32 v33, v23, v33
	v_mul_f32_e32 v23, v40, v21
	v_mul_f32_e32 v25, v27, v19
	;; [unrolled: 1-line block ×3, first 2 shown]
	v_fmac_f32_e32 v23, v41, v20
	s_delay_alu instid0(VALU_DEP_3) | instskip(NEXT) | instid1(VALU_DEP_2)
	v_fma_f32 v25, v26, v18, -v25
	v_dual_fmac_f32 v19, v27, v18 :: v_dual_add_f32 v18, v32, v23
	s_waitcnt lgkmcnt(0)
	v_dual_mul_f32 v32, v43, v15 :: v_dual_add_f32 v1, v1, v37
	v_fma_f32 v37, v40, v20, -v38
	s_delay_alu instid0(VALU_DEP_3) | instskip(NEXT) | instid1(VALU_DEP_3)
	v_add_f32_e32 v19, v24, v19
	v_fma_f32 v32, v42, v14, -v32
	s_delay_alu instid0(VALU_DEP_1) | instskip(NEXT) | instid1(VALU_DEP_4)
	v_add_f32_e32 v1, v1, v32
	v_add_f32_e32 v35, v35, v37
	v_mul_f32_e32 v37, v27, v21
	v_dual_mul_f32 v21, v26, v21 :: v_dual_mul_f32 v32, v29, v15
	s_delay_alu instid0(VALU_DEP_2) | instskip(NEXT) | instid1(VALU_DEP_2)
	v_fma_f32 v23, v26, v20, -v37
	v_dual_add_f32 v26, v36, v25 :: v_dual_fmac_f32 v21, v27, v20
	v_mul_f32_e32 v27, v42, v15
	v_mul_f32_e32 v15, v28, v15
	s_delay_alu instid0(VALU_DEP_4)
	v_add_f32_e32 v20, v22, v23
	ds_load_2addr_b64 v[22:25], v12 offset0:224 offset1:240
	v_fma_f32 v32, v28, v14, -v32
	v_dual_fmac_f32 v27, v43, v14 :: v_dual_mul_f32 v36, v42, v17
	v_fmac_f32_e32 v15, v29, v14
	s_waitcnt lgkmcnt(0)
	s_delay_alu instid0(VALU_DEP_3) | instskip(NEXT) | instid1(VALU_DEP_3)
	v_add_f32_e32 v14, v26, v32
	v_dual_add_f32 v27, v34, v27 :: v_dual_fmac_f32 v36, v43, v16
	s_delay_alu instid0(VALU_DEP_3)
	v_dual_mul_f32 v34, v29, v17 :: v_dual_add_f32 v15, v19, v15
	s_barrier
	buffer_gl0_inv
	v_mul_f32_e32 v26, v45, v23
	v_add_f32_e32 v21, v33, v21
	v_mul_f32_e32 v33, v43, v17
	v_mul_f32_e32 v17, v28, v17
	;; [unrolled: 1-line block ×3, first 2 shown]
	s_delay_alu instid0(VALU_DEP_3) | instskip(NEXT) | instid1(VALU_DEP_3)
	v_fma_f32 v33, v42, v16, -v33
	v_fmac_f32_e32 v17, v29, v16
	s_delay_alu instid0(VALU_DEP_3) | instskip(NEXT) | instid1(VALU_DEP_3)
	v_fmac_f32_e32 v19, v45, v24
	v_add_f32_e32 v33, v35, v33
	v_add_f32_e32 v35, v18, v36
	v_fma_f32 v18, v28, v16, -v34
	v_fma_f32 v16, v44, v22, -v26
	v_mul_f32_e32 v28, v44, v23
	v_dual_add_f32 v26, v21, v17 :: v_dual_mul_f32 v17, v30, v23
	s_delay_alu instid0(VALU_DEP_4) | instskip(NEXT) | instid1(VALU_DEP_4)
	v_dual_add_f32 v29, v20, v18 :: v_dual_mul_f32 v18, v45, v25
	v_add_f32_e32 v20, v1, v16
	v_mul_f32_e32 v16, v31, v23
	v_mul_f32_e32 v23, v31, v25
	;; [unrolled: 1-line block ×3, first 2 shown]
	v_fma_f32 v1, v44, v24, -v18
	v_fmac_f32_e32 v28, v45, v22
	v_fmac_f32_e32 v17, v31, v22
	v_add_f32_e32 v19, v35, v19
	s_delay_alu instid0(VALU_DEP_4)
	v_dual_fmac_f32 v25, v31, v24 :: v_dual_add_f32 v18, v33, v1
	v_fma_f32 v1, v30, v22, -v16
	v_fma_f32 v22, v30, v24, -v23
	v_add_f32_e32 v21, v27, v28
	v_add_f32_e32 v17, v15, v17
	;; [unrolled: 1-line block ×5, first 2 shown]
	s_cbranch_vccnz .LBB1765_11
.LBB1765_3:                             ; =>This Inner Loop Header: Depth=1
	v_add_co_u32 v22, s8, v9, s2
	s_delay_alu instid0(VALU_DEP_1) | instskip(NEXT) | instid1(VALU_DEP_1)
	v_add_co_ci_u32_e64 v23, null, 0, s3, s8
	v_cmp_le_i64_e32 vcc_lo, s[4:5], v[22:23]
	s_or_b32 s8, s1, vcc_lo
	s_delay_alu instid0(SALU_CYCLE_1) | instskip(NEXT) | instid1(SALU_CYCLE_1)
	s_and_saveexec_b32 s9, s8
	s_xor_b32 s8, exec_lo, s9
	s_cbranch_execz .LBB1765_5
; %bb.4:                                ;   in Loop: Header=BB1765_3 Depth=1
	v_mov_b32_e32 v1, v0
	ds_store_b64 v10, v[0:1]
.LBB1765_5:                             ;   in Loop: Header=BB1765_3 Depth=1
	s_and_not1_saveexec_b32 s8, s8
	s_cbranch_execz .LBB1765_7
; %bb.6:                                ;   in Loop: Header=BB1765_3 Depth=1
	global_load_b64 v[22:23], v[2:3], off
	s_waitcnt vmcnt(0)
	ds_store_b64 v10, v[22:23]
.LBB1765_7:                             ;   in Loop: Header=BB1765_3 Depth=1
	s_or_b32 exec_lo, exec_lo, s8
	v_add_co_u32 v22, s8, v8, s2
	s_delay_alu instid0(VALU_DEP_1) | instskip(NEXT) | instid1(VALU_DEP_1)
	v_add_co_ci_u32_e64 v23, null, 0, s3, s8
	v_cmp_le_i64_e32 vcc_lo, s[4:5], v[22:23]
	s_or_b32 s8, vcc_lo, s0
	s_delay_alu instid0(SALU_CYCLE_1) | instskip(NEXT) | instid1(SALU_CYCLE_1)
	s_and_saveexec_b32 s9, s8
	s_xor_b32 s8, exec_lo, s9
	s_cbranch_execz .LBB1765_9
; %bb.8:                                ;   in Loop: Header=BB1765_3 Depth=1
	v_mov_b32_e32 v1, v0
	ds_store_b64 v11, v[0:1]
.LBB1765_9:                             ;   in Loop: Header=BB1765_3 Depth=1
	s_and_not1_saveexec_b32 s8, s8
	s_cbranch_execz .LBB1765_2
; %bb.10:                               ;   in Loop: Header=BB1765_3 Depth=1
	global_load_b64 v[22:23], v[4:5], off
	s_waitcnt vmcnt(0)
	ds_store_b64 v11, v[22:23]
	s_branch .LBB1765_2
.LBB1765_11:
	v_add_nc_u32_e32 v5, s14, v7
	s_delay_alu instid0(VALU_DEP_1)
	v_ashrrev_i32_e32 v0, 31, v5
	v_mul_lo_u32 v3, v5, s21
	v_mad_u64_u32 v[1:2], null, v5, s20, 0
	s_waitcnt lgkmcnt(0)
	v_cmp_gt_i32_e32 vcc_lo, s12, v5
	v_mul_lo_u32 v0, v0, s20
	s_delay_alu instid0(VALU_DEP_1) | instskip(SKIP_1) | instid1(VALU_DEP_2)
	v_add3_u32 v2, v2, v3, v0
	v_add_nc_u32_e32 v0, s13, v6
	v_lshlrev_b64 v[1:2], 3, v[1:2]
	s_delay_alu instid0(VALU_DEP_2) | instskip(NEXT) | instid1(VALU_DEP_1)
	v_cmp_le_i32_e64 s0, v0, v5
	s_and_b32 s0, vcc_lo, s0
	s_delay_alu instid0(VALU_DEP_2) | instskip(NEXT) | instid1(VALU_DEP_1)
	v_add_co_u32 v4, s1, s18, v1
	v_add_co_ci_u32_e64 v6, s1, s19, v2, s1
	s_and_saveexec_b32 s1, s0
	s_cbranch_execz .LBB1765_14
; %bb.12:
	v_ashrrev_i32_e32 v1, 31, v0
	s_delay_alu instid0(VALU_DEP_1) | instskip(NEXT) | instid1(VALU_DEP_1)
	v_lshlrev_b64 v[1:2], 3, v[0:1]
	v_add_co_u32 v1, s0, v4, v1
	s_delay_alu instid0(VALU_DEP_1)
	v_add_co_ci_u32_e64 v2, s0, v6, v2, s0
	v_cmp_eq_u32_e64 s0, v5, v0
	global_load_b64 v[7:8], v[1:2], off
	v_mul_f32_e32 v3, s7, v21
	s_waitcnt vmcnt(0)
	v_dual_mul_f32 v9, s6, v21 :: v_dual_mul_f32 v10, s17, v8
	v_mul_f32_e32 v8, s16, v8
	s_delay_alu instid0(VALU_DEP_3) | instskip(NEXT) | instid1(VALU_DEP_3)
	v_fma_f32 v3, v20, s6, -v3
	v_fmac_f32_e32 v9, s7, v20
	s_delay_alu instid0(VALU_DEP_4) | instskip(NEXT) | instid1(VALU_DEP_1)
	v_fma_f32 v10, v7, s16, -v10
	v_dual_fmac_f32 v8, s17, v7 :: v_dual_add_f32 v7, v3, v10
	s_delay_alu instid0(VALU_DEP_1)
	v_add_f32_e32 v8, v9, v8
	global_store_b64 v[1:2], v[7:8], off
	s_and_b32 exec_lo, exec_lo, s0
	s_cbranch_execz .LBB1765_14
; %bb.13:
	v_mov_b32_e32 v3, 0
	global_store_b32 v[1:2], v3, off offset:4
.LBB1765_14:
	s_or_b32 exec_lo, exec_lo, s1
	v_add_nc_u32_e32 v2, 16, v0
	s_delay_alu instid0(VALU_DEP_1) | instskip(NEXT) | instid1(VALU_DEP_1)
	v_cmp_le_i32_e64 s0, v2, v5
	s_and_b32 s1, vcc_lo, s0
	s_delay_alu instid0(SALU_CYCLE_1)
	s_and_saveexec_b32 s0, s1
	s_cbranch_execz .LBB1765_17
; %bb.15:
	v_ashrrev_i32_e32 v3, 31, v2
	s_delay_alu instid0(VALU_DEP_1) | instskip(NEXT) | instid1(VALU_DEP_1)
	v_lshlrev_b64 v[7:8], 3, v[2:3]
	v_add_co_u32 v3, vcc_lo, v4, v7
	s_delay_alu instid0(VALU_DEP_2) | instskip(SKIP_4) | instid1(VALU_DEP_1)
	v_add_co_ci_u32_e32 v4, vcc_lo, v6, v8, vcc_lo
	v_cmp_eq_u32_e32 vcc_lo, v5, v2
	global_load_b64 v[6:7], v[3:4], off
	s_waitcnt vmcnt(0)
	v_mul_f32_e32 v9, s17, v7
	v_fma_f32 v9, v6, s16, -v9
	v_mul_f32_e32 v7, s16, v7
	s_delay_alu instid0(VALU_DEP_1) | instskip(NEXT) | instid1(VALU_DEP_1)
	v_dual_mul_f32 v8, s6, v19 :: v_dual_fmac_f32 v7, s17, v6
	v_dual_mul_f32 v1, s7, v19 :: v_dual_fmac_f32 v8, s7, v18
	s_delay_alu instid0(VALU_DEP_1) | instskip(NEXT) | instid1(VALU_DEP_1)
	v_fma_f32 v1, v18, s6, -v1
	v_dual_add_f32 v7, v8, v7 :: v_dual_add_f32 v6, v1, v9
	global_store_b64 v[3:4], v[6:7], off
	s_and_b32 exec_lo, exec_lo, vcc_lo
	s_cbranch_execz .LBB1765_17
; %bb.16:
	v_mov_b32_e32 v1, 0
	global_store_b32 v[3:4], v1, off offset:4
.LBB1765_17:
	s_or_b32 exec_lo, exec_lo, s0
	v_add_nc_u32_e32 v8, 16, v5
	s_delay_alu instid0(VALU_DEP_1) | instskip(SKIP_3) | instid1(VALU_DEP_4)
	v_ashrrev_i32_e32 v1, 31, v8
	v_mul_lo_u32 v6, v8, s21
	v_mad_u64_u32 v[3:4], null, v8, s20, 0
	v_cmp_gt_i32_e32 vcc_lo, s12, v8
	v_mul_lo_u32 v1, v1, s20
	v_cmp_le_i32_e64 s0, v0, v8
	s_delay_alu instid0(VALU_DEP_1) | instskip(NEXT) | instid1(VALU_DEP_2)
	s_and_b32 s0, vcc_lo, s0
	v_add3_u32 v4, v4, v6, v1
	s_delay_alu instid0(VALU_DEP_1) | instskip(NEXT) | instid1(VALU_DEP_1)
	v_lshlrev_b64 v[3:4], 3, v[3:4]
	v_add_co_u32 v6, s1, s18, v3
	s_delay_alu instid0(VALU_DEP_1)
	v_add_co_ci_u32_e64 v7, s1, s19, v4, s1
	s_and_saveexec_b32 s1, s0
	s_cbranch_execz .LBB1765_20
; %bb.18:
	v_ashrrev_i32_e32 v1, 31, v0
	s_delay_alu instid0(VALU_DEP_1) | instskip(NEXT) | instid1(VALU_DEP_1)
	v_lshlrev_b64 v[3:4], 3, v[0:1]
	v_add_co_u32 v3, s0, v6, v3
	s_delay_alu instid0(VALU_DEP_1)
	v_add_co_ci_u32_e64 v4, s0, v7, v4, s0
	v_cmp_eq_u32_e64 s0, v8, v0
	global_load_b64 v[9:10], v[3:4], off
	v_mul_f32_e32 v1, s7, v17
	s_waitcnt vmcnt(0)
	v_dual_mul_f32 v11, s6, v17 :: v_dual_mul_f32 v12, s17, v10
	v_mul_f32_e32 v10, s16, v10
	s_delay_alu instid0(VALU_DEP_3) | instskip(NEXT) | instid1(VALU_DEP_3)
	v_fma_f32 v1, v16, s6, -v1
	v_fmac_f32_e32 v11, s7, v16
	s_delay_alu instid0(VALU_DEP_4) | instskip(NEXT) | instid1(VALU_DEP_1)
	v_fma_f32 v12, v9, s16, -v12
	v_dual_fmac_f32 v10, s17, v9 :: v_dual_add_f32 v9, v1, v12
	s_delay_alu instid0(VALU_DEP_1)
	v_add_f32_e32 v10, v11, v10
	global_store_b64 v[3:4], v[9:10], off
	s_and_b32 exec_lo, exec_lo, s0
	s_cbranch_execz .LBB1765_20
; %bb.19:
	v_mov_b32_e32 v1, 0
	global_store_b32 v[3:4], v1, off offset:4
.LBB1765_20:
	s_or_b32 exec_lo, exec_lo, s1
	v_cmp_le_i32_e64 s0, v2, v8
	s_delay_alu instid0(VALU_DEP_1) | instskip(NEXT) | instid1(SALU_CYCLE_1)
	s_and_b32 s0, vcc_lo, s0
	s_and_saveexec_b32 s1, s0
	s_cbranch_execz .LBB1765_23
; %bb.21:
	v_ashrrev_i32_e32 v3, 31, v2
	s_delay_alu instid0(VALU_DEP_1) | instskip(NEXT) | instid1(VALU_DEP_1)
	v_lshlrev_b64 v[1:2], 3, v[2:3]
	v_add_co_u32 v1, vcc_lo, v6, v1
	s_delay_alu instid0(VALU_DEP_2) | instskip(SKIP_4) | instid1(VALU_DEP_1)
	v_add_co_ci_u32_e32 v2, vcc_lo, v7, v2, vcc_lo
	v_cmp_eq_u32_e32 vcc_lo, v5, v0
	global_load_b64 v[3:4], v[1:2], off
	s_waitcnt vmcnt(0)
	v_dual_mul_f32 v7, s6, v15 :: v_dual_mul_f32 v8, s17, v4
	v_dual_mul_f32 v6, s7, v15 :: v_dual_fmac_f32 v7, s7, v14
	v_mul_f32_e32 v4, s16, v4
	s_delay_alu instid0(VALU_DEP_3) | instskip(NEXT) | instid1(VALU_DEP_3)
	v_fma_f32 v8, v3, s16, -v8
	v_fma_f32 v6, v14, s6, -v6
	s_delay_alu instid0(VALU_DEP_1) | instskip(NEXT) | instid1(VALU_DEP_1)
	v_dual_fmac_f32 v4, s17, v3 :: v_dual_add_f32 v3, v6, v8
	v_add_f32_e32 v4, v7, v4
	global_store_b64 v[1:2], v[3:4], off
	s_and_b32 exec_lo, exec_lo, vcc_lo
	s_cbranch_execz .LBB1765_23
; %bb.22:
	v_mov_b32_e32 v0, 0
	global_store_b32 v[1:2], v0, off offset:4
.LBB1765_23:
	s_nop 0
	s_sendmsg sendmsg(MSG_DEALLOC_VGPRS)
	s_endpgm
	.section	.rodata,"a",@progbits
	.p2align	6, 0x0
	.amdhsa_kernel _ZL34rocblas_syrkx_herkx_general_kernelIl19rocblas_complex_numIfELi16ELi32ELi8ELb0ELb1ELc84ELc85EKPKS1_KPS1_EviT_T0_PT8_S7_lSA_S7_lS8_PT9_S7_li
		.amdhsa_group_segment_fixed_size 4096
		.amdhsa_private_segment_fixed_size 0
		.amdhsa_kernarg_size 108
		.amdhsa_user_sgpr_count 13
		.amdhsa_user_sgpr_dispatch_ptr 0
		.amdhsa_user_sgpr_queue_ptr 0
		.amdhsa_user_sgpr_kernarg_segment_ptr 1
		.amdhsa_user_sgpr_dispatch_id 0
		.amdhsa_user_sgpr_private_segment_size 0
		.amdhsa_wavefront_size32 1
		.amdhsa_uses_dynamic_stack 0
		.amdhsa_enable_private_segment 0
		.amdhsa_system_sgpr_workgroup_id_x 1
		.amdhsa_system_sgpr_workgroup_id_y 1
		.amdhsa_system_sgpr_workgroup_id_z 1
		.amdhsa_system_sgpr_workgroup_info 0
		.amdhsa_system_vgpr_workitem_id 1
		.amdhsa_next_free_vgpr 59
		.amdhsa_next_free_sgpr 24
		.amdhsa_reserve_vcc 1
		.amdhsa_float_round_mode_32 0
		.amdhsa_float_round_mode_16_64 0
		.amdhsa_float_denorm_mode_32 3
		.amdhsa_float_denorm_mode_16_64 3
		.amdhsa_dx10_clamp 1
		.amdhsa_ieee_mode 1
		.amdhsa_fp16_overflow 0
		.amdhsa_workgroup_processor_mode 1
		.amdhsa_memory_ordered 1
		.amdhsa_forward_progress 0
		.amdhsa_shared_vgpr_count 0
		.amdhsa_exception_fp_ieee_invalid_op 0
		.amdhsa_exception_fp_denorm_src 0
		.amdhsa_exception_fp_ieee_div_zero 0
		.amdhsa_exception_fp_ieee_overflow 0
		.amdhsa_exception_fp_ieee_underflow 0
		.amdhsa_exception_fp_ieee_inexact 0
		.amdhsa_exception_int_div_zero 0
	.end_amdhsa_kernel
	.section	.text._ZL34rocblas_syrkx_herkx_general_kernelIl19rocblas_complex_numIfELi16ELi32ELi8ELb0ELb1ELc84ELc85EKPKS1_KPS1_EviT_T0_PT8_S7_lSA_S7_lS8_PT9_S7_li,"axG",@progbits,_ZL34rocblas_syrkx_herkx_general_kernelIl19rocblas_complex_numIfELi16ELi32ELi8ELb0ELb1ELc84ELc85EKPKS1_KPS1_EviT_T0_PT8_S7_lSA_S7_lS8_PT9_S7_li,comdat
.Lfunc_end1765:
	.size	_ZL34rocblas_syrkx_herkx_general_kernelIl19rocblas_complex_numIfELi16ELi32ELi8ELb0ELb1ELc84ELc85EKPKS1_KPS1_EviT_T0_PT8_S7_lSA_S7_lS8_PT9_S7_li, .Lfunc_end1765-_ZL34rocblas_syrkx_herkx_general_kernelIl19rocblas_complex_numIfELi16ELi32ELi8ELb0ELb1ELc84ELc85EKPKS1_KPS1_EviT_T0_PT8_S7_lSA_S7_lS8_PT9_S7_li
                                        ; -- End function
	.section	.AMDGPU.csdata,"",@progbits
; Kernel info:
; codeLenInByte = 2824
; NumSgprs: 26
; NumVgprs: 59
; ScratchSize: 0
; MemoryBound: 1
; FloatMode: 240
; IeeeMode: 1
; LDSByteSize: 4096 bytes/workgroup (compile time only)
; SGPRBlocks: 3
; VGPRBlocks: 7
; NumSGPRsForWavesPerEU: 26
; NumVGPRsForWavesPerEU: 59
; Occupancy: 16
; WaveLimiterHint : 1
; COMPUTE_PGM_RSRC2:SCRATCH_EN: 0
; COMPUTE_PGM_RSRC2:USER_SGPR: 13
; COMPUTE_PGM_RSRC2:TRAP_HANDLER: 0
; COMPUTE_PGM_RSRC2:TGID_X_EN: 1
; COMPUTE_PGM_RSRC2:TGID_Y_EN: 1
; COMPUTE_PGM_RSRC2:TGID_Z_EN: 1
; COMPUTE_PGM_RSRC2:TIDIG_COMP_CNT: 1
	.section	.text._ZL34rocblas_syrkx_herkx_general_kernelIl19rocblas_complex_numIfELi16ELi32ELi8ELb0ELb1ELc67ELc85EKPKS1_KPS1_EviT_T0_PT8_S7_lSA_S7_lS8_PT9_S7_li,"axG",@progbits,_ZL34rocblas_syrkx_herkx_general_kernelIl19rocblas_complex_numIfELi16ELi32ELi8ELb0ELb1ELc67ELc85EKPKS1_KPS1_EviT_T0_PT8_S7_lSA_S7_lS8_PT9_S7_li,comdat
	.globl	_ZL34rocblas_syrkx_herkx_general_kernelIl19rocblas_complex_numIfELi16ELi32ELi8ELb0ELb1ELc67ELc85EKPKS1_KPS1_EviT_T0_PT8_S7_lSA_S7_lS8_PT9_S7_li ; -- Begin function _ZL34rocblas_syrkx_herkx_general_kernelIl19rocblas_complex_numIfELi16ELi32ELi8ELb0ELb1ELc67ELc85EKPKS1_KPS1_EviT_T0_PT8_S7_lSA_S7_lS8_PT9_S7_li
	.p2align	8
	.type	_ZL34rocblas_syrkx_herkx_general_kernelIl19rocblas_complex_numIfELi16ELi32ELi8ELb0ELb1ELc67ELc85EKPKS1_KPS1_EviT_T0_PT8_S7_lSA_S7_lS8_PT9_S7_li,@function
_ZL34rocblas_syrkx_herkx_general_kernelIl19rocblas_complex_numIfELi16ELi32ELi8ELb0ELb1ELc67ELc85EKPKS1_KPS1_EviT_T0_PT8_S7_lSA_S7_lS8_PT9_S7_li: ; @_ZL34rocblas_syrkx_herkx_general_kernelIl19rocblas_complex_numIfELi16ELi32ELi8ELb0ELb1ELc67ELc85EKPKS1_KPS1_EviT_T0_PT8_S7_lSA_S7_lS8_PT9_S7_li
; %bb.0:
	s_clause 0x1
	s_load_b128 s[16:19], s[0:1], 0x48
	s_load_b256 s[4:11], s[0:1], 0x8
	s_mov_b32 s2, s15
	s_mov_b32 s3, 0
	s_load_b64 s[20:21], s[0:1], 0x58
	s_lshl_b64 s[22:23], s[2:3], 3
	v_dual_mov_b32 v21, 0 :: v_dual_and_b32 v6, 0x3ff, v0
	v_bfe_u32 v7, v0, 10, 10
	v_dual_mov_b32 v20, 0 :: v_dual_mov_b32 v19, 0
	v_dual_mov_b32 v18, 0 :: v_dual_mov_b32 v17, 0
	;; [unrolled: 1-line block ×3, first 2 shown]
	v_mov_b32_e32 v14, 0
	s_waitcnt lgkmcnt(0)
	s_add_u32 s2, s18, s22
	s_addc_u32 s3, s19, s23
	s_load_b32 s12, s[0:1], 0x0
	s_load_b64 s[18:19], s[2:3], 0x0
	v_cmp_lt_i64_e64 s2, s[4:5], 1
	s_lshl_b32 s13, s13, 5
	s_lshl_b32 s14, s14, 5
	s_delay_alu instid0(VALU_DEP_1)
	s_and_b32 vcc_lo, exec_lo, s2
	s_cbranch_vccnz .LBB1766_11
; %bb.1:
	s_load_b128 s[0:3], s[0:1], 0x30
	v_lshl_add_u32 v1, v7, 4, v6
	v_and_b32_e32 v8, 7, v6
	v_dual_mov_b32 v0, 0 :: v_dual_lshlrev_b32 v9, 3, v6
	s_delay_alu instid0(VALU_DEP_3) | instskip(SKIP_3) | instid1(VALU_DEP_4)
	v_dual_mov_b32 v21, 0 :: v_dual_and_b32 v2, 31, v1
	v_lshrrev_b32_e32 v3, 3, v1
	v_lshrrev_b32_e32 v11, 5, v1
	v_dual_mov_b32 v19, 0 :: v_dual_lshlrev_b32 v14, 3, v8
	v_add_nc_u32_e32 v4, s13, v2
	s_delay_alu instid0(VALU_DEP_4)
	v_add_nc_u32_e32 v5, s14, v3
	v_or_b32_e32 v12, s13, v2
	v_lshlrev_b32_e32 v13, 3, v2
	v_lshl_add_u32 v10, v7, 6, 0x800
	v_ashrrev_i32_e32 v16, 31, v4
	v_mul_lo_u32 v17, s11, v4
	v_mad_u64_u32 v[1:2], null, s10, v4, 0
	s_waitcnt lgkmcnt(0)
	s_add_u32 s24, s0, s22
	v_mul_lo_u32 v4, s10, v16
	s_addc_u32 s25, s1, s23
	s_add_u32 s0, s8, s22
	s_addc_u32 s1, s9, s23
	v_ashrrev_i32_e32 v15, 31, v5
	s_load_b64 s[8:9], s[0:1], 0x0
	v_lshl_or_b32 v16, v3, 6, v14
	v_mul_lo_u32 v18, s3, v5
	v_add3_u32 v2, v2, v4, v17
	v_mul_lo_u32 v15, s2, v15
	v_mad_u64_u32 v[3:4], null, s2, v5, 0
	s_load_b64 s[2:3], s[24:25], 0x0
	s_delay_alu instid0(VALU_DEP_3)
	v_lshlrev_b64 v[1:2], 3, v[1:2]
	v_lshlrev_b32_e32 v17, 3, v11
	v_cmp_gt_i32_e64 s0, s12, v5
	v_cmp_gt_i32_e32 vcc_lo, s12, v12
	v_lshl_or_b32 v12, v11, 8, v13
	v_add3_u32 v4, v4, v15, v18
	v_mov_b32_e32 v18, 0
	v_add_co_u32 v5, s1, v1, v17
	s_delay_alu instid0(VALU_DEP_1) | instskip(NEXT) | instid1(VALU_DEP_4)
	v_add_co_ci_u32_e64 v15, s1, 0, v2, s1
	v_lshlrev_b64 v[1:2], 3, v[3:4]
	s_waitcnt lgkmcnt(0)
	s_delay_alu instid0(VALU_DEP_3) | instskip(NEXT) | instid1(VALU_DEP_1)
	v_add_co_u32 v3, s1, v5, s8
	v_add_co_ci_u32_e64 v4, s1, s9, v15, s1
	v_dual_mov_b32 v20, 0 :: v_dual_add_nc_u32 v13, 0x800, v16
	s_delay_alu instid0(VALU_DEP_4) | instskip(NEXT) | instid1(VALU_DEP_1)
	v_add_co_u32 v1, s1, v1, v14
	v_add_co_ci_u32_e64 v5, s1, 0, v2, s1
	v_add_co_u32 v2, s1, v3, 4
	s_delay_alu instid0(VALU_DEP_1) | instskip(NEXT) | instid1(VALU_DEP_4)
	v_add_co_ci_u32_e64 v3, s1, 0, v4, s1
	v_add_co_u32 v4, s1, s2, v1
	s_delay_alu instid0(VALU_DEP_1)
	v_add_co_ci_u32_e64 v5, s1, s3, v5, s1
	v_dual_mov_b32 v15, 0 :: v_dual_mov_b32 v14, 0
	v_dual_mov_b32 v17, 0 :: v_dual_mov_b32 v16, 0
	s_mov_b64 s[2:3], 0
	s_xor_b32 s1, vcc_lo, -1
	s_xor_b32 s0, s0, -1
	s_branch .LBB1766_3
.LBB1766_2:                             ;   in Loop: Header=BB1766_3 Depth=1
	s_or_b32 exec_lo, exec_lo, s8
	s_waitcnt lgkmcnt(0)
	s_barrier
	buffer_gl0_inv
	ds_load_2addr_b64 v[22:25], v9 offset1:16
	ds_load_b128 v[26:29], v10
	ds_load_b128 v[30:33], v10 offset:1024
	ds_load_b128 v[34:37], v10 offset:16
	ds_load_b128 v[38:41], v10 offset:32
	ds_load_b128 v[42:45], v10 offset:48
	ds_load_2addr_b64 v[46:49], v9 offset0:32 offset1:48
	ds_load_b128 v[50:53], v10 offset:1040
	s_add_u32 s2, s2, 8
	s_addc_u32 s3, s3, 0
	v_add_co_u32 v2, vcc_lo, v2, 64
	v_cmp_ge_i64_e64 s8, s[2:3], s[4:5]
	v_add_co_ci_u32_e32 v3, vcc_lo, 0, v3, vcc_lo
	v_add_co_u32 v4, vcc_lo, v4, 64
	v_add_co_ci_u32_e32 v5, vcc_lo, 0, v5, vcc_lo
	s_delay_alu instid0(VALU_DEP_4)
	s_and_b32 vcc_lo, exec_lo, s8
	s_waitcnt lgkmcnt(6)
	v_dual_mul_f32 v1, v27, v23 :: v_dual_mul_f32 v56, v26, v25
	v_dual_mul_f32 v54, v26, v23 :: v_dual_mul_f32 v55, v27, v25
	s_waitcnt lgkmcnt(5)
	v_mul_f32_e32 v58, v31, v25
	s_delay_alu instid0(VALU_DEP_3) | instskip(SKIP_3) | instid1(VALU_DEP_4)
	v_fma_f32 v1, v26, v22, -v1
	v_dual_mul_f32 v25, v30, v25 :: v_dual_fmac_f32 v56, v27, v24
	v_fmac_f32_e32 v54, v27, v22
	v_fma_f32 v26, v26, v24, -v55
	v_add_f32_e32 v1, v20, v1
	v_mul_f32_e32 v57, v31, v23
	s_delay_alu instid0(VALU_DEP_4) | instskip(SKIP_2) | instid1(VALU_DEP_4)
	v_dual_mul_f32 v23, v30, v23 :: v_dual_add_f32 v20, v21, v54
	v_fmac_f32_e32 v25, v31, v24
	v_dual_add_f32 v21, v18, v26 :: v_dual_add_f32 v26, v19, v56
	v_fma_f32 v27, v30, v22, -v57
	s_delay_alu instid0(VALU_DEP_4) | instskip(SKIP_3) | instid1(VALU_DEP_2)
	v_fmac_f32_e32 v23, v31, v22
	v_fma_f32 v22, v30, v24, -v58
	s_waitcnt lgkmcnt(1)
	v_mul_f32_e32 v30, v29, v47
	v_dual_add_f32 v27, v16, v27 :: v_dual_add_f32 v14, v14, v22
	v_dual_mul_f32 v22, v28, v47 :: v_dual_add_f32 v15, v15, v25
	v_mul_f32_e32 v25, v28, v49
	s_delay_alu instid0(VALU_DEP_4) | instskip(NEXT) | instid1(VALU_DEP_3)
	v_fma_f32 v24, v28, v46, -v30
	v_fmac_f32_e32 v22, v29, v46
	v_add_f32_e32 v23, v17, v23
	ds_load_2addr_b64 v[16:19], v9 offset0:64 offset1:80
	v_mul_f32_e32 v30, v29, v49
	v_fmac_f32_e32 v25, v29, v48
	v_add_f32_e32 v1, v1, v24
	s_delay_alu instid0(VALU_DEP_2) | instskip(SKIP_1) | instid1(VALU_DEP_1)
	v_add_f32_e32 v25, v26, v25
	v_mul_f32_e32 v26, v32, v49
	v_fmac_f32_e32 v26, v33, v48
	s_waitcnt lgkmcnt(0)
	s_delay_alu instid0(VALU_DEP_1) | instskip(SKIP_1) | instid1(VALU_DEP_2)
	v_dual_add_f32 v26, v15, v26 :: v_dual_mul_f32 v29, v34, v17
	v_mul_f32_e32 v15, v34, v19
	v_fmac_f32_e32 v29, v35, v16
	v_fma_f32 v24, v28, v48, -v30
	v_mul_f32_e32 v28, v33, v47
	v_add_f32_e32 v30, v20, v22
	v_mul_f32_e32 v20, v32, v47
	v_mul_f32_e32 v22, v33, v49
	v_add_f32_e32 v24, v21, v24
	v_fma_f32 v21, v32, v46, -v28
	s_delay_alu instid0(VALU_DEP_4) | instskip(SKIP_1) | instid1(VALU_DEP_3)
	v_dual_add_f32 v29, v30, v29 :: v_dual_fmac_f32 v20, v33, v46
	v_fmac_f32_e32 v15, v35, v18
	v_add_f32_e32 v27, v27, v21
	v_fma_f32 v21, v32, v48, -v22
	v_mul_f32_e32 v22, v35, v17
	v_mul_f32_e32 v32, v35, v19
	v_add_f32_e32 v28, v23, v20
	s_delay_alu instid0(VALU_DEP_4) | instskip(NEXT) | instid1(VALU_DEP_4)
	v_add_f32_e32 v14, v14, v21
	v_fma_f32 v31, v34, v16, -v22
	ds_load_2addr_b64 v[20:23], v9 offset0:96 offset1:112
	v_add_f32_e32 v1, v1, v31
	v_fma_f32 v31, v34, v18, -v32
	s_delay_alu instid0(VALU_DEP_1) | instskip(SKIP_3) | instid1(VALU_DEP_3)
	v_add_f32_e32 v24, v24, v31
	v_mul_f32_e32 v31, v51, v19
	v_mul_f32_e32 v19, v50, v19
	v_add_f32_e32 v32, v25, v15
	v_fma_f32 v15, v50, v18, -v31
	s_delay_alu instid0(VALU_DEP_3)
	v_fmac_f32_e32 v19, v51, v18
	v_mul_f32_e32 v30, v51, v17
	v_mul_f32_e32 v17, v50, v17
	s_waitcnt lgkmcnt(0)
	v_dual_mul_f32 v18, v37, v21 :: v_dual_add_f32 v31, v14, v15
	v_add_f32_e32 v33, v26, v19
	v_fma_f32 v30, v50, v16, -v30
	v_fmac_f32_e32 v17, v51, v16
	s_delay_alu instid0(VALU_DEP_4) | instskip(SKIP_1) | instid1(VALU_DEP_4)
	v_fma_f32 v18, v36, v20, -v18
	v_mul_f32_e32 v25, v36, v21
	v_dual_mul_f32 v19, v36, v23 :: v_dual_add_f32 v30, v27, v30
	s_delay_alu instid0(VALU_DEP_4) | instskip(SKIP_4) | instid1(VALU_DEP_2)
	v_add_f32_e32 v28, v28, v17
	ds_load_2addr_b64 v[14:17], v9 offset0:128 offset1:144
	v_add_f32_e32 v1, v1, v18
	v_mul_f32_e32 v18, v53, v21
	v_fmac_f32_e32 v19, v37, v22
	v_fma_f32 v18, v52, v20, -v18
	v_mul_f32_e32 v27, v37, v23
	s_delay_alu instid0(VALU_DEP_1) | instskip(NEXT) | instid1(VALU_DEP_3)
	v_fma_f32 v26, v36, v22, -v27
	v_add_f32_e32 v36, v30, v18
	s_waitcnt lgkmcnt(0)
	s_delay_alu instid0(VALU_DEP_2) | instskip(SKIP_2) | instid1(VALU_DEP_3)
	v_dual_add_f32 v35, v24, v26 :: v_dual_mul_f32 v46, v38, v15
	v_dual_fmac_f32 v25, v37, v20 :: v_dual_add_f32 v32, v32, v19
	v_mul_f32_e32 v18, v39, v15
	v_fmac_f32_e32 v46, v39, v14
	s_delay_alu instid0(VALU_DEP_3)
	v_add_f32_e32 v34, v29, v25
	v_mul_f32_e32 v29, v53, v23
	v_mul_f32_e32 v23, v52, v23
	ds_load_b128 v[24:27], v10 offset:1056
	v_add_f32_e32 v34, v34, v46
	v_fma_f32 v19, v52, v22, -v29
	v_mul_f32_e32 v21, v52, v21
	v_fmac_f32_e32 v23, v53, v22
	v_mul_f32_e32 v29, v39, v17
	s_delay_alu instid0(VALU_DEP_3) | instskip(NEXT) | instid1(VALU_DEP_3)
	v_dual_add_f32 v22, v31, v19 :: v_dual_fmac_f32 v21, v53, v20
	v_add_f32_e32 v23, v33, v23
	s_delay_alu instid0(VALU_DEP_2) | instskip(SKIP_4) | instid1(VALU_DEP_2)
	v_add_f32_e32 v37, v28, v21
	v_fma_f32 v28, v38, v14, -v18
	ds_load_2addr_b64 v[18:21], v9 offset0:160 offset1:176
	v_mul_f32_e32 v33, v38, v17
	v_fma_f32 v38, v38, v16, -v29
	v_fmac_f32_e32 v33, v39, v16
	s_delay_alu instid0(VALU_DEP_1)
	v_dual_add_f32 v35, v35, v38 :: v_dual_add_f32 v32, v32, v33
	v_add_f32_e32 v1, v1, v28
	ds_load_b128 v[28:31], v10 offset:1072
	s_waitcnt lgkmcnt(2)
	v_mul_f32_e32 v47, v25, v15
	v_mul_f32_e32 v15, v24, v15
	;; [unrolled: 1-line block ×4, first 2 shown]
	s_delay_alu instid0(VALU_DEP_4) | instskip(NEXT) | instid1(VALU_DEP_4)
	v_fma_f32 v38, v24, v14, -v47
	v_fmac_f32_e32 v15, v25, v14
	s_delay_alu instid0(VALU_DEP_4)
	v_fma_f32 v14, v24, v16, -v39
	s_waitcnt lgkmcnt(1)
	v_mul_f32_e32 v17, v41, v19
	v_dual_fmac_f32 v33, v25, v16 :: v_dual_add_f32 v36, v36, v38
	v_add_f32_e32 v24, v37, v15
	v_add_f32_e32 v22, v22, v14
	s_delay_alu instid0(VALU_DEP_4) | instskip(SKIP_2) | instid1(VALU_DEP_1)
	v_fma_f32 v37, v40, v18, -v17
	ds_load_2addr_b64 v[14:17], v9 offset0:192 offset1:208
	v_dual_mul_f32 v25, v40, v19 :: v_dual_mul_f32 v38, v41, v21
	v_fmac_f32_e32 v25, v41, v18
	s_delay_alu instid0(VALU_DEP_1) | instskip(SKIP_4) | instid1(VALU_DEP_3)
	v_add_f32_e32 v34, v34, v25
	v_add_f32_e32 v33, v23, v33
	v_mul_f32_e32 v23, v40, v21
	v_mul_f32_e32 v25, v27, v19
	;; [unrolled: 1-line block ×3, first 2 shown]
	v_fmac_f32_e32 v23, v41, v20
	s_delay_alu instid0(VALU_DEP_3) | instskip(NEXT) | instid1(VALU_DEP_2)
	v_fma_f32 v25, v26, v18, -v25
	v_dual_fmac_f32 v19, v27, v18 :: v_dual_add_f32 v18, v32, v23
	s_waitcnt lgkmcnt(0)
	v_dual_mul_f32 v32, v43, v15 :: v_dual_add_f32 v1, v1, v37
	v_fma_f32 v37, v40, v20, -v38
	s_delay_alu instid0(VALU_DEP_3) | instskip(NEXT) | instid1(VALU_DEP_3)
	v_add_f32_e32 v19, v24, v19
	v_fma_f32 v32, v42, v14, -v32
	s_delay_alu instid0(VALU_DEP_1) | instskip(NEXT) | instid1(VALU_DEP_4)
	v_add_f32_e32 v1, v1, v32
	v_add_f32_e32 v35, v35, v37
	v_mul_f32_e32 v37, v27, v21
	v_dual_mul_f32 v21, v26, v21 :: v_dual_mul_f32 v32, v29, v15
	s_delay_alu instid0(VALU_DEP_2) | instskip(NEXT) | instid1(VALU_DEP_2)
	v_fma_f32 v23, v26, v20, -v37
	v_dual_add_f32 v26, v36, v25 :: v_dual_fmac_f32 v21, v27, v20
	v_mul_f32_e32 v27, v42, v15
	v_mul_f32_e32 v15, v28, v15
	s_delay_alu instid0(VALU_DEP_4)
	v_add_f32_e32 v20, v22, v23
	ds_load_2addr_b64 v[22:25], v9 offset0:224 offset1:240
	v_fma_f32 v32, v28, v14, -v32
	v_dual_fmac_f32 v27, v43, v14 :: v_dual_mul_f32 v36, v42, v17
	v_fmac_f32_e32 v15, v29, v14
	s_waitcnt lgkmcnt(0)
	s_delay_alu instid0(VALU_DEP_3) | instskip(NEXT) | instid1(VALU_DEP_3)
	v_add_f32_e32 v14, v26, v32
	v_dual_add_f32 v27, v34, v27 :: v_dual_fmac_f32 v36, v43, v16
	s_delay_alu instid0(VALU_DEP_3)
	v_dual_mul_f32 v34, v29, v17 :: v_dual_add_f32 v15, v19, v15
	s_barrier
	buffer_gl0_inv
	v_mul_f32_e32 v26, v45, v23
	v_add_f32_e32 v21, v33, v21
	v_mul_f32_e32 v33, v43, v17
	v_mul_f32_e32 v17, v28, v17
	;; [unrolled: 1-line block ×3, first 2 shown]
	s_delay_alu instid0(VALU_DEP_3) | instskip(NEXT) | instid1(VALU_DEP_3)
	v_fma_f32 v33, v42, v16, -v33
	v_fmac_f32_e32 v17, v29, v16
	s_delay_alu instid0(VALU_DEP_3) | instskip(NEXT) | instid1(VALU_DEP_3)
	v_fmac_f32_e32 v19, v45, v24
	v_add_f32_e32 v33, v35, v33
	v_add_f32_e32 v35, v18, v36
	v_fma_f32 v18, v28, v16, -v34
	v_fma_f32 v16, v44, v22, -v26
	v_mul_f32_e32 v28, v44, v23
	v_dual_add_f32 v26, v21, v17 :: v_dual_mul_f32 v17, v30, v23
	s_delay_alu instid0(VALU_DEP_4) | instskip(NEXT) | instid1(VALU_DEP_4)
	v_dual_add_f32 v29, v20, v18 :: v_dual_mul_f32 v18, v45, v25
	v_add_f32_e32 v20, v1, v16
	v_mul_f32_e32 v16, v31, v23
	v_mul_f32_e32 v23, v31, v25
	;; [unrolled: 1-line block ×3, first 2 shown]
	v_fma_f32 v1, v44, v24, -v18
	v_fmac_f32_e32 v28, v45, v22
	v_fmac_f32_e32 v17, v31, v22
	v_add_f32_e32 v19, v35, v19
	s_delay_alu instid0(VALU_DEP_4)
	v_dual_fmac_f32 v25, v31, v24 :: v_dual_add_f32 v18, v33, v1
	v_fma_f32 v1, v30, v22, -v16
	v_fma_f32 v22, v30, v24, -v23
	v_add_f32_e32 v21, v27, v28
	v_add_f32_e32 v17, v15, v17
	;; [unrolled: 1-line block ×5, first 2 shown]
	s_cbranch_vccnz .LBB1766_11
.LBB1766_3:                             ; =>This Inner Loop Header: Depth=1
	v_add_co_u32 v22, s8, v11, s2
	s_delay_alu instid0(VALU_DEP_1) | instskip(NEXT) | instid1(VALU_DEP_1)
	v_add_co_ci_u32_e64 v23, null, 0, s3, s8
                                        ; implicit-def: $sgpr9
	v_cmp_le_i64_e32 vcc_lo, s[4:5], v[22:23]
	s_or_b32 s8, s1, vcc_lo
	s_delay_alu instid0(SALU_CYCLE_1) | instskip(NEXT) | instid1(SALU_CYCLE_1)
	s_and_saveexec_b32 s10, s8
	s_xor_b32 s8, exec_lo, s10
	s_cbranch_execz .LBB1766_5
; %bb.4:                                ;   in Loop: Header=BB1766_3 Depth=1
	s_mov_b32 s9, 0
	ds_store_b32 v12, v0
.LBB1766_5:                             ;   in Loop: Header=BB1766_3 Depth=1
	s_or_saveexec_b32 s8, s8
	v_mov_b32_e32 v1, s9
	s_xor_b32 exec_lo, exec_lo, s8
	s_cbranch_execz .LBB1766_7
; %bb.6:                                ;   in Loop: Header=BB1766_3 Depth=1
	global_load_b64 v[22:23], v[2:3], off offset:-4
	s_waitcnt vmcnt(0)
	v_xor_b32_e32 v1, 0x80000000, v23
	ds_store_b32 v12, v22
.LBB1766_7:                             ;   in Loop: Header=BB1766_3 Depth=1
	s_or_b32 exec_lo, exec_lo, s8
	v_add_co_u32 v22, s8, v8, s2
	s_delay_alu instid0(VALU_DEP_1) | instskip(SKIP_3) | instid1(SALU_CYCLE_1)
	v_add_co_ci_u32_e64 v23, null, 0, s3, s8
	ds_store_b32 v12, v1 offset:4
	v_cmp_le_i64_e32 vcc_lo, s[4:5], v[22:23]
	s_or_b32 s8, vcc_lo, s0
	s_and_saveexec_b32 s9, s8
	s_delay_alu instid0(SALU_CYCLE_1)
	s_xor_b32 s8, exec_lo, s9
	s_cbranch_execz .LBB1766_9
; %bb.8:                                ;   in Loop: Header=BB1766_3 Depth=1
	v_mov_b32_e32 v1, v0
	ds_store_b64 v13, v[0:1]
.LBB1766_9:                             ;   in Loop: Header=BB1766_3 Depth=1
	s_and_not1_saveexec_b32 s8, s8
	s_cbranch_execz .LBB1766_2
; %bb.10:                               ;   in Loop: Header=BB1766_3 Depth=1
	global_load_b64 v[22:23], v[4:5], off
	s_waitcnt vmcnt(0)
	ds_store_b64 v13, v[22:23]
	s_branch .LBB1766_2
.LBB1766_11:
	v_add_nc_u32_e32 v5, s14, v7
	s_delay_alu instid0(VALU_DEP_1)
	v_ashrrev_i32_e32 v0, 31, v5
	v_mul_lo_u32 v3, v5, s21
	v_mad_u64_u32 v[1:2], null, v5, s20, 0
	s_waitcnt lgkmcnt(0)
	v_cmp_gt_i32_e32 vcc_lo, s12, v5
	v_mul_lo_u32 v0, v0, s20
	s_delay_alu instid0(VALU_DEP_1) | instskip(SKIP_1) | instid1(VALU_DEP_2)
	v_add3_u32 v2, v2, v3, v0
	v_add_nc_u32_e32 v0, s13, v6
	v_lshlrev_b64 v[1:2], 3, v[1:2]
	s_delay_alu instid0(VALU_DEP_2) | instskip(NEXT) | instid1(VALU_DEP_1)
	v_cmp_le_i32_e64 s0, v0, v5
	s_and_b32 s0, vcc_lo, s0
	s_delay_alu instid0(VALU_DEP_2) | instskip(NEXT) | instid1(VALU_DEP_1)
	v_add_co_u32 v4, s1, s18, v1
	v_add_co_ci_u32_e64 v6, s1, s19, v2, s1
	s_and_saveexec_b32 s1, s0
	s_cbranch_execz .LBB1766_14
; %bb.12:
	v_ashrrev_i32_e32 v1, 31, v0
	s_delay_alu instid0(VALU_DEP_1) | instskip(NEXT) | instid1(VALU_DEP_1)
	v_lshlrev_b64 v[1:2], 3, v[0:1]
	v_add_co_u32 v1, s0, v4, v1
	s_delay_alu instid0(VALU_DEP_1)
	v_add_co_ci_u32_e64 v2, s0, v6, v2, s0
	v_cmp_eq_u32_e64 s0, v5, v0
	global_load_b64 v[7:8], v[1:2], off
	v_mul_f32_e32 v3, s7, v21
	s_waitcnt vmcnt(0)
	v_dual_mul_f32 v9, s6, v21 :: v_dual_mul_f32 v10, s17, v8
	v_mul_f32_e32 v8, s16, v8
	s_delay_alu instid0(VALU_DEP_3) | instskip(NEXT) | instid1(VALU_DEP_3)
	v_fma_f32 v3, v20, s6, -v3
	v_fmac_f32_e32 v9, s7, v20
	s_delay_alu instid0(VALU_DEP_4) | instskip(NEXT) | instid1(VALU_DEP_1)
	v_fma_f32 v10, v7, s16, -v10
	v_dual_fmac_f32 v8, s17, v7 :: v_dual_add_f32 v7, v3, v10
	s_delay_alu instid0(VALU_DEP_1)
	v_add_f32_e32 v8, v9, v8
	global_store_b64 v[1:2], v[7:8], off
	s_and_b32 exec_lo, exec_lo, s0
	s_cbranch_execz .LBB1766_14
; %bb.13:
	v_mov_b32_e32 v3, 0
	global_store_b32 v[1:2], v3, off offset:4
.LBB1766_14:
	s_or_b32 exec_lo, exec_lo, s1
	v_add_nc_u32_e32 v2, 16, v0
	s_delay_alu instid0(VALU_DEP_1) | instskip(NEXT) | instid1(VALU_DEP_1)
	v_cmp_le_i32_e64 s0, v2, v5
	s_and_b32 s1, vcc_lo, s0
	s_delay_alu instid0(SALU_CYCLE_1)
	s_and_saveexec_b32 s0, s1
	s_cbranch_execz .LBB1766_17
; %bb.15:
	v_ashrrev_i32_e32 v3, 31, v2
	s_delay_alu instid0(VALU_DEP_1) | instskip(NEXT) | instid1(VALU_DEP_1)
	v_lshlrev_b64 v[7:8], 3, v[2:3]
	v_add_co_u32 v3, vcc_lo, v4, v7
	s_delay_alu instid0(VALU_DEP_2) | instskip(SKIP_4) | instid1(VALU_DEP_1)
	v_add_co_ci_u32_e32 v4, vcc_lo, v6, v8, vcc_lo
	v_cmp_eq_u32_e32 vcc_lo, v5, v2
	global_load_b64 v[6:7], v[3:4], off
	s_waitcnt vmcnt(0)
	v_mul_f32_e32 v9, s17, v7
	v_fma_f32 v9, v6, s16, -v9
	v_mul_f32_e32 v7, s16, v7
	s_delay_alu instid0(VALU_DEP_1) | instskip(NEXT) | instid1(VALU_DEP_1)
	v_dual_mul_f32 v8, s6, v19 :: v_dual_fmac_f32 v7, s17, v6
	v_dual_mul_f32 v1, s7, v19 :: v_dual_fmac_f32 v8, s7, v18
	s_delay_alu instid0(VALU_DEP_1) | instskip(NEXT) | instid1(VALU_DEP_1)
	v_fma_f32 v1, v18, s6, -v1
	v_dual_add_f32 v7, v8, v7 :: v_dual_add_f32 v6, v1, v9
	global_store_b64 v[3:4], v[6:7], off
	s_and_b32 exec_lo, exec_lo, vcc_lo
	s_cbranch_execz .LBB1766_17
; %bb.16:
	v_mov_b32_e32 v1, 0
	global_store_b32 v[3:4], v1, off offset:4
.LBB1766_17:
	s_or_b32 exec_lo, exec_lo, s0
	v_add_nc_u32_e32 v8, 16, v5
	s_delay_alu instid0(VALU_DEP_1) | instskip(SKIP_3) | instid1(VALU_DEP_4)
	v_ashrrev_i32_e32 v1, 31, v8
	v_mul_lo_u32 v6, v8, s21
	v_mad_u64_u32 v[3:4], null, v8, s20, 0
	v_cmp_gt_i32_e32 vcc_lo, s12, v8
	v_mul_lo_u32 v1, v1, s20
	v_cmp_le_i32_e64 s0, v0, v8
	s_delay_alu instid0(VALU_DEP_1) | instskip(NEXT) | instid1(VALU_DEP_2)
	s_and_b32 s0, vcc_lo, s0
	v_add3_u32 v4, v4, v6, v1
	s_delay_alu instid0(VALU_DEP_1) | instskip(NEXT) | instid1(VALU_DEP_1)
	v_lshlrev_b64 v[3:4], 3, v[3:4]
	v_add_co_u32 v6, s1, s18, v3
	s_delay_alu instid0(VALU_DEP_1)
	v_add_co_ci_u32_e64 v7, s1, s19, v4, s1
	s_and_saveexec_b32 s1, s0
	s_cbranch_execz .LBB1766_20
; %bb.18:
	v_ashrrev_i32_e32 v1, 31, v0
	s_delay_alu instid0(VALU_DEP_1) | instskip(NEXT) | instid1(VALU_DEP_1)
	v_lshlrev_b64 v[3:4], 3, v[0:1]
	v_add_co_u32 v3, s0, v6, v3
	s_delay_alu instid0(VALU_DEP_1)
	v_add_co_ci_u32_e64 v4, s0, v7, v4, s0
	v_cmp_eq_u32_e64 s0, v8, v0
	global_load_b64 v[9:10], v[3:4], off
	v_mul_f32_e32 v1, s7, v17
	s_waitcnt vmcnt(0)
	v_dual_mul_f32 v11, s6, v17 :: v_dual_mul_f32 v12, s17, v10
	v_mul_f32_e32 v10, s16, v10
	s_delay_alu instid0(VALU_DEP_3) | instskip(NEXT) | instid1(VALU_DEP_3)
	v_fma_f32 v1, v16, s6, -v1
	v_fmac_f32_e32 v11, s7, v16
	s_delay_alu instid0(VALU_DEP_4) | instskip(NEXT) | instid1(VALU_DEP_1)
	v_fma_f32 v12, v9, s16, -v12
	v_dual_fmac_f32 v10, s17, v9 :: v_dual_add_f32 v9, v1, v12
	s_delay_alu instid0(VALU_DEP_1)
	v_add_f32_e32 v10, v11, v10
	global_store_b64 v[3:4], v[9:10], off
	s_and_b32 exec_lo, exec_lo, s0
	s_cbranch_execz .LBB1766_20
; %bb.19:
	v_mov_b32_e32 v1, 0
	global_store_b32 v[3:4], v1, off offset:4
.LBB1766_20:
	s_or_b32 exec_lo, exec_lo, s1
	v_cmp_le_i32_e64 s0, v2, v8
	s_delay_alu instid0(VALU_DEP_1) | instskip(NEXT) | instid1(SALU_CYCLE_1)
	s_and_b32 s0, vcc_lo, s0
	s_and_saveexec_b32 s1, s0
	s_cbranch_execz .LBB1766_23
; %bb.21:
	v_ashrrev_i32_e32 v3, 31, v2
	s_delay_alu instid0(VALU_DEP_1) | instskip(NEXT) | instid1(VALU_DEP_1)
	v_lshlrev_b64 v[1:2], 3, v[2:3]
	v_add_co_u32 v1, vcc_lo, v6, v1
	s_delay_alu instid0(VALU_DEP_2) | instskip(SKIP_4) | instid1(VALU_DEP_1)
	v_add_co_ci_u32_e32 v2, vcc_lo, v7, v2, vcc_lo
	v_cmp_eq_u32_e32 vcc_lo, v5, v0
	global_load_b64 v[3:4], v[1:2], off
	s_waitcnt vmcnt(0)
	v_dual_mul_f32 v7, s6, v15 :: v_dual_mul_f32 v8, s17, v4
	v_dual_mul_f32 v6, s7, v15 :: v_dual_fmac_f32 v7, s7, v14
	v_mul_f32_e32 v4, s16, v4
	s_delay_alu instid0(VALU_DEP_3) | instskip(NEXT) | instid1(VALU_DEP_3)
	v_fma_f32 v8, v3, s16, -v8
	v_fma_f32 v6, v14, s6, -v6
	s_delay_alu instid0(VALU_DEP_1) | instskip(NEXT) | instid1(VALU_DEP_1)
	v_dual_fmac_f32 v4, s17, v3 :: v_dual_add_f32 v3, v6, v8
	v_add_f32_e32 v4, v7, v4
	global_store_b64 v[1:2], v[3:4], off
	s_and_b32 exec_lo, exec_lo, vcc_lo
	s_cbranch_execz .LBB1766_23
; %bb.22:
	v_mov_b32_e32 v0, 0
	global_store_b32 v[1:2], v0, off offset:4
.LBB1766_23:
	s_nop 0
	s_sendmsg sendmsg(MSG_DEALLOC_VGPRS)
	s_endpgm
	.section	.rodata,"a",@progbits
	.p2align	6, 0x0
	.amdhsa_kernel _ZL34rocblas_syrkx_herkx_general_kernelIl19rocblas_complex_numIfELi16ELi32ELi8ELb0ELb1ELc67ELc85EKPKS1_KPS1_EviT_T0_PT8_S7_lSA_S7_lS8_PT9_S7_li
		.amdhsa_group_segment_fixed_size 4096
		.amdhsa_private_segment_fixed_size 0
		.amdhsa_kernarg_size 108
		.amdhsa_user_sgpr_count 13
		.amdhsa_user_sgpr_dispatch_ptr 0
		.amdhsa_user_sgpr_queue_ptr 0
		.amdhsa_user_sgpr_kernarg_segment_ptr 1
		.amdhsa_user_sgpr_dispatch_id 0
		.amdhsa_user_sgpr_private_segment_size 0
		.amdhsa_wavefront_size32 1
		.amdhsa_uses_dynamic_stack 0
		.amdhsa_enable_private_segment 0
		.amdhsa_system_sgpr_workgroup_id_x 1
		.amdhsa_system_sgpr_workgroup_id_y 1
		.amdhsa_system_sgpr_workgroup_id_z 1
		.amdhsa_system_sgpr_workgroup_info 0
		.amdhsa_system_vgpr_workitem_id 1
		.amdhsa_next_free_vgpr 59
		.amdhsa_next_free_sgpr 26
		.amdhsa_reserve_vcc 1
		.amdhsa_float_round_mode_32 0
		.amdhsa_float_round_mode_16_64 0
		.amdhsa_float_denorm_mode_32 3
		.amdhsa_float_denorm_mode_16_64 3
		.amdhsa_dx10_clamp 1
		.amdhsa_ieee_mode 1
		.amdhsa_fp16_overflow 0
		.amdhsa_workgroup_processor_mode 1
		.amdhsa_memory_ordered 1
		.amdhsa_forward_progress 0
		.amdhsa_shared_vgpr_count 0
		.amdhsa_exception_fp_ieee_invalid_op 0
		.amdhsa_exception_fp_denorm_src 0
		.amdhsa_exception_fp_ieee_div_zero 0
		.amdhsa_exception_fp_ieee_overflow 0
		.amdhsa_exception_fp_ieee_underflow 0
		.amdhsa_exception_fp_ieee_inexact 0
		.amdhsa_exception_int_div_zero 0
	.end_amdhsa_kernel
	.section	.text._ZL34rocblas_syrkx_herkx_general_kernelIl19rocblas_complex_numIfELi16ELi32ELi8ELb0ELb1ELc67ELc85EKPKS1_KPS1_EviT_T0_PT8_S7_lSA_S7_lS8_PT9_S7_li,"axG",@progbits,_ZL34rocblas_syrkx_herkx_general_kernelIl19rocblas_complex_numIfELi16ELi32ELi8ELb0ELb1ELc67ELc85EKPKS1_KPS1_EviT_T0_PT8_S7_lSA_S7_lS8_PT9_S7_li,comdat
.Lfunc_end1766:
	.size	_ZL34rocblas_syrkx_herkx_general_kernelIl19rocblas_complex_numIfELi16ELi32ELi8ELb0ELb1ELc67ELc85EKPKS1_KPS1_EviT_T0_PT8_S7_lSA_S7_lS8_PT9_S7_li, .Lfunc_end1766-_ZL34rocblas_syrkx_herkx_general_kernelIl19rocblas_complex_numIfELi16ELi32ELi8ELb0ELb1ELc67ELc85EKPKS1_KPS1_EviT_T0_PT8_S7_lSA_S7_lS8_PT9_S7_li
                                        ; -- End function
	.section	.AMDGPU.csdata,"",@progbits
; Kernel info:
; codeLenInByte = 2872
; NumSgprs: 28
; NumVgprs: 59
; ScratchSize: 0
; MemoryBound: 1
; FloatMode: 240
; IeeeMode: 1
; LDSByteSize: 4096 bytes/workgroup (compile time only)
; SGPRBlocks: 3
; VGPRBlocks: 7
; NumSGPRsForWavesPerEU: 28
; NumVGPRsForWavesPerEU: 59
; Occupancy: 16
; WaveLimiterHint : 1
; COMPUTE_PGM_RSRC2:SCRATCH_EN: 0
; COMPUTE_PGM_RSRC2:USER_SGPR: 13
; COMPUTE_PGM_RSRC2:TRAP_HANDLER: 0
; COMPUTE_PGM_RSRC2:TGID_X_EN: 1
; COMPUTE_PGM_RSRC2:TGID_Y_EN: 1
; COMPUTE_PGM_RSRC2:TGID_Z_EN: 1
; COMPUTE_PGM_RSRC2:TIDIG_COMP_CNT: 1
	.section	.text._ZL34rocblas_syrkx_herkx_general_kernelIl19rocblas_complex_numIfELi16ELi32ELi8ELb0ELb1ELc78ELc85EKPKS1_KPS1_EviT_T0_PT8_S7_lSA_S7_lS8_PT9_S7_li,"axG",@progbits,_ZL34rocblas_syrkx_herkx_general_kernelIl19rocblas_complex_numIfELi16ELi32ELi8ELb0ELb1ELc78ELc85EKPKS1_KPS1_EviT_T0_PT8_S7_lSA_S7_lS8_PT9_S7_li,comdat
	.globl	_ZL34rocblas_syrkx_herkx_general_kernelIl19rocblas_complex_numIfELi16ELi32ELi8ELb0ELb1ELc78ELc85EKPKS1_KPS1_EviT_T0_PT8_S7_lSA_S7_lS8_PT9_S7_li ; -- Begin function _ZL34rocblas_syrkx_herkx_general_kernelIl19rocblas_complex_numIfELi16ELi32ELi8ELb0ELb1ELc78ELc85EKPKS1_KPS1_EviT_T0_PT8_S7_lSA_S7_lS8_PT9_S7_li
	.p2align	8
	.type	_ZL34rocblas_syrkx_herkx_general_kernelIl19rocblas_complex_numIfELi16ELi32ELi8ELb0ELb1ELc78ELc85EKPKS1_KPS1_EviT_T0_PT8_S7_lSA_S7_lS8_PT9_S7_li,@function
_ZL34rocblas_syrkx_herkx_general_kernelIl19rocblas_complex_numIfELi16ELi32ELi8ELb0ELb1ELc78ELc85EKPKS1_KPS1_EviT_T0_PT8_S7_lSA_S7_lS8_PT9_S7_li: ; @_ZL34rocblas_syrkx_herkx_general_kernelIl19rocblas_complex_numIfELi16ELi32ELi8ELb0ELb1ELc78ELc85EKPKS1_KPS1_EviT_T0_PT8_S7_lSA_S7_lS8_PT9_S7_li
; %bb.0:
	s_clause 0x1
	s_load_b128 s[16:19], s[0:1], 0x48
	s_load_b256 s[4:11], s[0:1], 0x8
	s_mov_b32 s2, s15
	s_mov_b32 s3, 0
	s_load_b64 s[20:21], s[0:1], 0x58
	s_lshl_b64 s[22:23], s[2:3], 3
	v_dual_mov_b32 v21, 0 :: v_dual_and_b32 v6, 0x3ff, v0
	v_bfe_u32 v7, v0, 10, 10
	v_dual_mov_b32 v20, 0 :: v_dual_mov_b32 v19, 0
	v_dual_mov_b32 v18, 0 :: v_dual_mov_b32 v17, 0
	;; [unrolled: 1-line block ×3, first 2 shown]
	v_mov_b32_e32 v14, 0
	s_waitcnt lgkmcnt(0)
	s_add_u32 s2, s18, s22
	s_addc_u32 s3, s19, s23
	s_load_b32 s18, s[0:1], 0x0
	s_load_b64 s[2:3], s[2:3], 0x0
	v_cmp_lt_i64_e64 s12, s[4:5], 1
	s_lshl_b32 s19, s13, 5
	s_lshl_b32 s24, s14, 5
	s_delay_alu instid0(VALU_DEP_1)
	s_and_b32 vcc_lo, exec_lo, s12
	s_cbranch_vccnz .LBB1767_11
; %bb.1:
	s_load_b128 s[12:15], s[0:1], 0x30
	v_lshl_add_u32 v1, v7, 4, v6
	v_dual_mov_b32 v0, 0 :: v_dual_lshlrev_b32 v9, 3, v6
	v_lshl_add_u32 v10, v7, 6, 0x800
	s_delay_alu instid0(VALU_DEP_3) | instskip(SKIP_2) | instid1(VALU_DEP_3)
	v_lshrrev_b32_e32 v11, 5, v1
	v_and_b32_e32 v5, 31, v1
	v_lshrrev_b32_e32 v2, 3, v1
	v_mad_u64_u32 v[14:15], null, s10, v11, 0
	v_and_b32_e32 v8, 7, v6
	s_delay_alu instid0(VALU_DEP_4)
	v_or_b32_e32 v13, s19, v5
	v_lshlrev_b32_e32 v17, 3, v5
	v_add_nc_u32_e32 v16, s19, v5
	v_add_nc_u32_e32 v1, s24, v2
	v_mov_b32_e32 v5, v15
	s_waitcnt lgkmcnt(0)
	v_mad_u64_u32 v[3:4], null, s14, v8, 0
	s_add_u32 s12, s12, s22
	s_addc_u32 s13, s13, s23
	s_add_u32 s8, s8, s22
	s_load_b64 s[12:13], s[12:13], 0x0
	s_addc_u32 s9, s9, s23
	v_cmp_gt_i32_e64 s0, s18, v1
	s_delay_alu instid0(VALU_DEP_2)
	v_mad_u64_u32 v[18:19], null, s15, v8, v[4:5]
	v_mad_u64_u32 v[19:20], null, s11, v11, v[5:6]
	v_lshlrev_b32_e32 v12, 3, v8
	s_load_b64 s[22:23], s[8:9], 0x0
	v_cmp_gt_i32_e32 vcc_lo, s18, v13
	s_lshl_b64 s[8:9], s[10:11], 6
	s_delay_alu instid0(VALU_DEP_4) | instskip(SKIP_1) | instid1(VALU_DEP_4)
	v_mov_b32_e32 v4, v18
	s_lshl_b64 s[10:11], s[14:15], 6
	v_mov_b32_e32 v15, v19
	v_lshl_or_b32 v21, v2, 6, v12
	v_ashrrev_i32_e32 v2, 31, v1
	v_lshl_or_b32 v12, v11, 8, v17
	v_ashrrev_i32_e32 v17, 31, v16
	v_lshlrev_b64 v[3:4], 3, v[3:4]
	v_lshlrev_b64 v[14:15], 3, v[14:15]
	;; [unrolled: 1-line block ×3, first 2 shown]
	v_dual_mov_b32 v18, 0 :: v_dual_add_nc_u32 v13, 0x800, v21
	v_lshlrev_b64 v[16:17], 3, v[16:17]
	v_mov_b32_e32 v19, 0
	v_mov_b32_e32 v21, 0
	v_add_co_u32 v1, s1, v3, v1
	s_delay_alu instid0(VALU_DEP_1) | instskip(SKIP_1) | instid1(VALU_DEP_1)
	v_add_co_ci_u32_e64 v2, s1, v4, v2, s1
	v_add_co_u32 v3, s1, v14, v16
	v_add_co_ci_u32_e64 v4, s1, v15, v17, s1
	s_waitcnt lgkmcnt(0)
	v_add_co_u32 v1, s1, v1, s12
	s_delay_alu instid0(VALU_DEP_1) | instskip(SKIP_1) | instid1(VALU_DEP_1)
	v_add_co_ci_u32_e64 v5, s1, s13, v2, s1
	v_add_co_u32 v2, s1, s22, v3
	v_add_co_ci_u32_e64 v3, s1, s23, v4, s1
	s_delay_alu instid0(VALU_DEP_4) | instskip(NEXT) | instid1(VALU_DEP_1)
	v_add_co_u32 v4, s1, v1, 4
	v_add_co_ci_u32_e64 v5, s1, 0, v5, s1
	v_dual_mov_b32 v15, 0 :: v_dual_mov_b32 v14, 0
	v_dual_mov_b32 v17, 0 :: v_dual_mov_b32 v20, 0
	v_mov_b32_e32 v16, 0
	s_mov_b64 s[12:13], 0
	s_xor_b32 s1, vcc_lo, -1
	s_xor_b32 s0, s0, -1
	s_branch .LBB1767_3
.LBB1767_2:                             ;   in Loop: Header=BB1767_3 Depth=1
	s_or_b32 exec_lo, exec_lo, s14
	ds_store_b32 v13, v1 offset:4
	s_waitcnt lgkmcnt(0)
	s_barrier
	buffer_gl0_inv
	ds_load_2addr_b64 v[22:25], v9 offset1:16
	ds_load_b128 v[26:29], v10
	ds_load_b128 v[30:33], v10 offset:1024
	ds_load_b128 v[34:37], v10 offset:16
	;; [unrolled: 1-line block ×4, first 2 shown]
	ds_load_2addr_b64 v[46:49], v9 offset0:32 offset1:48
	ds_load_b128 v[50:53], v10 offset:1040
	s_add_u32 s12, s12, 8
	s_addc_u32 s13, s13, 0
	v_add_co_u32 v2, vcc_lo, v2, s8
	v_cmp_ge_i64_e64 s14, s[12:13], s[4:5]
	v_add_co_ci_u32_e32 v3, vcc_lo, s9, v3, vcc_lo
	v_add_co_u32 v4, vcc_lo, v4, s10
	v_add_co_ci_u32_e32 v5, vcc_lo, s11, v5, vcc_lo
	s_delay_alu instid0(VALU_DEP_4)
	s_and_b32 vcc_lo, exec_lo, s14
	s_waitcnt lgkmcnt(6)
	v_dual_mul_f32 v1, v27, v23 :: v_dual_mul_f32 v56, v26, v25
	v_dual_mul_f32 v54, v26, v23 :: v_dual_mul_f32 v55, v27, v25
	s_waitcnt lgkmcnt(5)
	v_mul_f32_e32 v58, v31, v25
	s_delay_alu instid0(VALU_DEP_3) | instskip(SKIP_3) | instid1(VALU_DEP_4)
	v_fma_f32 v1, v26, v22, -v1
	v_dual_mul_f32 v25, v30, v25 :: v_dual_fmac_f32 v56, v27, v24
	v_fmac_f32_e32 v54, v27, v22
	v_fma_f32 v26, v26, v24, -v55
	v_add_f32_e32 v1, v20, v1
	v_mul_f32_e32 v57, v31, v23
	s_delay_alu instid0(VALU_DEP_4) | instskip(SKIP_2) | instid1(VALU_DEP_4)
	v_dual_mul_f32 v23, v30, v23 :: v_dual_add_f32 v20, v21, v54
	v_fmac_f32_e32 v25, v31, v24
	v_dual_add_f32 v21, v18, v26 :: v_dual_add_f32 v26, v19, v56
	v_fma_f32 v27, v30, v22, -v57
	s_delay_alu instid0(VALU_DEP_4) | instskip(SKIP_3) | instid1(VALU_DEP_2)
	v_fmac_f32_e32 v23, v31, v22
	v_fma_f32 v22, v30, v24, -v58
	s_waitcnt lgkmcnt(1)
	v_mul_f32_e32 v30, v29, v47
	v_dual_add_f32 v27, v16, v27 :: v_dual_add_f32 v14, v14, v22
	v_dual_mul_f32 v22, v28, v47 :: v_dual_add_f32 v15, v15, v25
	v_mul_f32_e32 v25, v28, v49
	s_delay_alu instid0(VALU_DEP_4) | instskip(NEXT) | instid1(VALU_DEP_3)
	v_fma_f32 v24, v28, v46, -v30
	v_fmac_f32_e32 v22, v29, v46
	v_add_f32_e32 v23, v17, v23
	ds_load_2addr_b64 v[16:19], v9 offset0:64 offset1:80
	v_mul_f32_e32 v30, v29, v49
	v_fmac_f32_e32 v25, v29, v48
	v_add_f32_e32 v1, v1, v24
	s_delay_alu instid0(VALU_DEP_2) | instskip(SKIP_1) | instid1(VALU_DEP_1)
	v_add_f32_e32 v25, v26, v25
	v_mul_f32_e32 v26, v32, v49
	v_fmac_f32_e32 v26, v33, v48
	s_waitcnt lgkmcnt(0)
	s_delay_alu instid0(VALU_DEP_1) | instskip(SKIP_1) | instid1(VALU_DEP_2)
	v_dual_add_f32 v26, v15, v26 :: v_dual_mul_f32 v29, v34, v17
	v_mul_f32_e32 v15, v34, v19
	v_fmac_f32_e32 v29, v35, v16
	v_fma_f32 v24, v28, v48, -v30
	v_mul_f32_e32 v28, v33, v47
	v_add_f32_e32 v30, v20, v22
	v_mul_f32_e32 v20, v32, v47
	v_mul_f32_e32 v22, v33, v49
	v_add_f32_e32 v24, v21, v24
	v_fma_f32 v21, v32, v46, -v28
	s_delay_alu instid0(VALU_DEP_4) | instskip(SKIP_1) | instid1(VALU_DEP_3)
	v_dual_add_f32 v29, v30, v29 :: v_dual_fmac_f32 v20, v33, v46
	v_fmac_f32_e32 v15, v35, v18
	v_add_f32_e32 v27, v27, v21
	v_fma_f32 v21, v32, v48, -v22
	v_mul_f32_e32 v22, v35, v17
	v_mul_f32_e32 v32, v35, v19
	v_add_f32_e32 v28, v23, v20
	s_delay_alu instid0(VALU_DEP_4) | instskip(NEXT) | instid1(VALU_DEP_4)
	v_add_f32_e32 v14, v14, v21
	v_fma_f32 v31, v34, v16, -v22
	ds_load_2addr_b64 v[20:23], v9 offset0:96 offset1:112
	v_add_f32_e32 v1, v1, v31
	v_fma_f32 v31, v34, v18, -v32
	s_delay_alu instid0(VALU_DEP_1) | instskip(SKIP_3) | instid1(VALU_DEP_3)
	v_add_f32_e32 v24, v24, v31
	v_mul_f32_e32 v31, v51, v19
	v_mul_f32_e32 v19, v50, v19
	v_add_f32_e32 v32, v25, v15
	v_fma_f32 v15, v50, v18, -v31
	s_delay_alu instid0(VALU_DEP_3)
	v_fmac_f32_e32 v19, v51, v18
	v_mul_f32_e32 v30, v51, v17
	v_mul_f32_e32 v17, v50, v17
	s_waitcnt lgkmcnt(0)
	v_dual_mul_f32 v18, v37, v21 :: v_dual_add_f32 v31, v14, v15
	v_add_f32_e32 v33, v26, v19
	v_fma_f32 v30, v50, v16, -v30
	v_fmac_f32_e32 v17, v51, v16
	s_delay_alu instid0(VALU_DEP_4) | instskip(SKIP_1) | instid1(VALU_DEP_4)
	v_fma_f32 v18, v36, v20, -v18
	v_mul_f32_e32 v25, v36, v21
	v_dual_mul_f32 v19, v36, v23 :: v_dual_add_f32 v30, v27, v30
	s_delay_alu instid0(VALU_DEP_4) | instskip(SKIP_4) | instid1(VALU_DEP_2)
	v_add_f32_e32 v28, v28, v17
	ds_load_2addr_b64 v[14:17], v9 offset0:128 offset1:144
	v_add_f32_e32 v1, v1, v18
	v_mul_f32_e32 v18, v53, v21
	v_fmac_f32_e32 v19, v37, v22
	v_fma_f32 v18, v52, v20, -v18
	v_mul_f32_e32 v27, v37, v23
	s_delay_alu instid0(VALU_DEP_1) | instskip(NEXT) | instid1(VALU_DEP_3)
	v_fma_f32 v26, v36, v22, -v27
	v_add_f32_e32 v36, v30, v18
	s_waitcnt lgkmcnt(0)
	s_delay_alu instid0(VALU_DEP_2) | instskip(SKIP_2) | instid1(VALU_DEP_3)
	v_dual_add_f32 v35, v24, v26 :: v_dual_mul_f32 v46, v38, v15
	v_dual_fmac_f32 v25, v37, v20 :: v_dual_add_f32 v32, v32, v19
	v_mul_f32_e32 v18, v39, v15
	v_fmac_f32_e32 v46, v39, v14
	s_delay_alu instid0(VALU_DEP_3)
	v_add_f32_e32 v34, v29, v25
	v_mul_f32_e32 v29, v53, v23
	v_mul_f32_e32 v23, v52, v23
	ds_load_b128 v[24:27], v10 offset:1056
	v_add_f32_e32 v34, v34, v46
	v_fma_f32 v19, v52, v22, -v29
	v_mul_f32_e32 v21, v52, v21
	v_fmac_f32_e32 v23, v53, v22
	v_mul_f32_e32 v29, v39, v17
	s_delay_alu instid0(VALU_DEP_3) | instskip(NEXT) | instid1(VALU_DEP_3)
	v_dual_add_f32 v22, v31, v19 :: v_dual_fmac_f32 v21, v53, v20
	v_add_f32_e32 v23, v33, v23
	s_delay_alu instid0(VALU_DEP_2) | instskip(SKIP_4) | instid1(VALU_DEP_2)
	v_add_f32_e32 v37, v28, v21
	v_fma_f32 v28, v38, v14, -v18
	ds_load_2addr_b64 v[18:21], v9 offset0:160 offset1:176
	v_mul_f32_e32 v33, v38, v17
	v_fma_f32 v38, v38, v16, -v29
	v_fmac_f32_e32 v33, v39, v16
	s_delay_alu instid0(VALU_DEP_1)
	v_dual_add_f32 v35, v35, v38 :: v_dual_add_f32 v32, v32, v33
	v_add_f32_e32 v1, v1, v28
	ds_load_b128 v[28:31], v10 offset:1072
	s_waitcnt lgkmcnt(2)
	v_mul_f32_e32 v47, v25, v15
	v_mul_f32_e32 v15, v24, v15
	;; [unrolled: 1-line block ×4, first 2 shown]
	s_delay_alu instid0(VALU_DEP_4) | instskip(NEXT) | instid1(VALU_DEP_4)
	v_fma_f32 v38, v24, v14, -v47
	v_fmac_f32_e32 v15, v25, v14
	s_delay_alu instid0(VALU_DEP_4)
	v_fma_f32 v14, v24, v16, -v39
	s_waitcnt lgkmcnt(1)
	v_mul_f32_e32 v17, v41, v19
	v_dual_fmac_f32 v33, v25, v16 :: v_dual_add_f32 v36, v36, v38
	v_add_f32_e32 v24, v37, v15
	v_add_f32_e32 v22, v22, v14
	s_delay_alu instid0(VALU_DEP_4) | instskip(SKIP_2) | instid1(VALU_DEP_1)
	v_fma_f32 v37, v40, v18, -v17
	ds_load_2addr_b64 v[14:17], v9 offset0:192 offset1:208
	v_dual_mul_f32 v25, v40, v19 :: v_dual_mul_f32 v38, v41, v21
	v_fmac_f32_e32 v25, v41, v18
	s_delay_alu instid0(VALU_DEP_1) | instskip(SKIP_4) | instid1(VALU_DEP_3)
	v_add_f32_e32 v34, v34, v25
	v_add_f32_e32 v33, v23, v33
	v_mul_f32_e32 v23, v40, v21
	v_mul_f32_e32 v25, v27, v19
	;; [unrolled: 1-line block ×3, first 2 shown]
	v_fmac_f32_e32 v23, v41, v20
	s_delay_alu instid0(VALU_DEP_3) | instskip(NEXT) | instid1(VALU_DEP_2)
	v_fma_f32 v25, v26, v18, -v25
	v_dual_fmac_f32 v19, v27, v18 :: v_dual_add_f32 v18, v32, v23
	s_waitcnt lgkmcnt(0)
	v_dual_mul_f32 v32, v43, v15 :: v_dual_add_f32 v1, v1, v37
	v_fma_f32 v37, v40, v20, -v38
	s_delay_alu instid0(VALU_DEP_3) | instskip(NEXT) | instid1(VALU_DEP_3)
	v_add_f32_e32 v19, v24, v19
	v_fma_f32 v32, v42, v14, -v32
	s_delay_alu instid0(VALU_DEP_1) | instskip(NEXT) | instid1(VALU_DEP_4)
	v_add_f32_e32 v1, v1, v32
	v_add_f32_e32 v35, v35, v37
	v_mul_f32_e32 v37, v27, v21
	v_dual_mul_f32 v21, v26, v21 :: v_dual_mul_f32 v32, v29, v15
	s_delay_alu instid0(VALU_DEP_2) | instskip(NEXT) | instid1(VALU_DEP_2)
	v_fma_f32 v23, v26, v20, -v37
	v_dual_add_f32 v26, v36, v25 :: v_dual_fmac_f32 v21, v27, v20
	v_mul_f32_e32 v27, v42, v15
	v_mul_f32_e32 v15, v28, v15
	s_delay_alu instid0(VALU_DEP_4)
	v_add_f32_e32 v20, v22, v23
	ds_load_2addr_b64 v[22:25], v9 offset0:224 offset1:240
	v_fma_f32 v32, v28, v14, -v32
	v_dual_fmac_f32 v27, v43, v14 :: v_dual_mul_f32 v36, v42, v17
	v_fmac_f32_e32 v15, v29, v14
	s_waitcnt lgkmcnt(0)
	s_delay_alu instid0(VALU_DEP_3) | instskip(NEXT) | instid1(VALU_DEP_3)
	v_add_f32_e32 v14, v26, v32
	v_dual_add_f32 v27, v34, v27 :: v_dual_fmac_f32 v36, v43, v16
	s_delay_alu instid0(VALU_DEP_3)
	v_dual_mul_f32 v34, v29, v17 :: v_dual_add_f32 v15, v19, v15
	s_barrier
	buffer_gl0_inv
	v_mul_f32_e32 v26, v45, v23
	v_add_f32_e32 v21, v33, v21
	v_mul_f32_e32 v33, v43, v17
	v_mul_f32_e32 v17, v28, v17
	;; [unrolled: 1-line block ×3, first 2 shown]
	s_delay_alu instid0(VALU_DEP_3) | instskip(NEXT) | instid1(VALU_DEP_3)
	v_fma_f32 v33, v42, v16, -v33
	v_fmac_f32_e32 v17, v29, v16
	s_delay_alu instid0(VALU_DEP_3) | instskip(NEXT) | instid1(VALU_DEP_3)
	v_fmac_f32_e32 v19, v45, v24
	v_add_f32_e32 v33, v35, v33
	v_add_f32_e32 v35, v18, v36
	v_fma_f32 v18, v28, v16, -v34
	v_fma_f32 v16, v44, v22, -v26
	v_mul_f32_e32 v28, v44, v23
	v_dual_add_f32 v26, v21, v17 :: v_dual_mul_f32 v17, v30, v23
	s_delay_alu instid0(VALU_DEP_4) | instskip(NEXT) | instid1(VALU_DEP_4)
	v_dual_add_f32 v29, v20, v18 :: v_dual_mul_f32 v18, v45, v25
	v_add_f32_e32 v20, v1, v16
	v_mul_f32_e32 v16, v31, v23
	v_mul_f32_e32 v23, v31, v25
	;; [unrolled: 1-line block ×3, first 2 shown]
	v_fma_f32 v1, v44, v24, -v18
	v_fmac_f32_e32 v28, v45, v22
	v_fmac_f32_e32 v17, v31, v22
	v_add_f32_e32 v19, v35, v19
	s_delay_alu instid0(VALU_DEP_4)
	v_dual_fmac_f32 v25, v31, v24 :: v_dual_add_f32 v18, v33, v1
	v_fma_f32 v1, v30, v22, -v16
	v_fma_f32 v22, v30, v24, -v23
	v_add_f32_e32 v21, v27, v28
	v_add_f32_e32 v17, v15, v17
	;; [unrolled: 1-line block ×5, first 2 shown]
	s_cbranch_vccnz .LBB1767_11
.LBB1767_3:                             ; =>This Inner Loop Header: Depth=1
	v_add_co_u32 v22, s14, v11, s12
	s_delay_alu instid0(VALU_DEP_1) | instskip(NEXT) | instid1(VALU_DEP_1)
	v_add_co_ci_u32_e64 v23, null, 0, s13, s14
	v_cmp_le_i64_e32 vcc_lo, s[4:5], v[22:23]
	s_or_b32 s14, s1, vcc_lo
	s_delay_alu instid0(SALU_CYCLE_1) | instskip(NEXT) | instid1(SALU_CYCLE_1)
	s_and_saveexec_b32 s15, s14
	s_xor_b32 s14, exec_lo, s15
	s_cbranch_execz .LBB1767_5
; %bb.4:                                ;   in Loop: Header=BB1767_3 Depth=1
	v_mov_b32_e32 v1, v0
	ds_store_b64 v12, v[0:1]
.LBB1767_5:                             ;   in Loop: Header=BB1767_3 Depth=1
	s_and_not1_saveexec_b32 s14, s14
	s_cbranch_execz .LBB1767_7
; %bb.6:                                ;   in Loop: Header=BB1767_3 Depth=1
	global_load_b64 v[22:23], v[2:3], off
	s_waitcnt vmcnt(0)
	ds_store_b64 v12, v[22:23]
.LBB1767_7:                             ;   in Loop: Header=BB1767_3 Depth=1
	s_or_b32 exec_lo, exec_lo, s14
	v_add_co_u32 v22, s14, v8, s12
	s_delay_alu instid0(VALU_DEP_1) | instskip(NEXT) | instid1(VALU_DEP_1)
	v_add_co_ci_u32_e64 v23, null, 0, s13, s14
                                        ; implicit-def: $sgpr15
	v_cmp_le_i64_e32 vcc_lo, s[4:5], v[22:23]
	s_or_b32 s14, vcc_lo, s0
	s_delay_alu instid0(SALU_CYCLE_1) | instskip(NEXT) | instid1(SALU_CYCLE_1)
	s_and_saveexec_b32 s22, s14
	s_xor_b32 s14, exec_lo, s22
	s_cbranch_execz .LBB1767_9
; %bb.8:                                ;   in Loop: Header=BB1767_3 Depth=1
	s_mov_b32 s15, 0
	ds_store_b32 v13, v0
.LBB1767_9:                             ;   in Loop: Header=BB1767_3 Depth=1
	s_or_saveexec_b32 s14, s14
	v_mov_b32_e32 v1, s15
	s_xor_b32 exec_lo, exec_lo, s14
	s_cbranch_execz .LBB1767_2
; %bb.10:                               ;   in Loop: Header=BB1767_3 Depth=1
	global_load_b64 v[22:23], v[4:5], off offset:-4
	s_waitcnt vmcnt(0)
	v_xor_b32_e32 v1, 0x80000000, v23
	ds_store_b32 v13, v22
	s_branch .LBB1767_2
.LBB1767_11:
	v_add_nc_u32_e32 v5, s24, v7
	s_delay_alu instid0(VALU_DEP_1)
	v_ashrrev_i32_e32 v0, 31, v5
	v_mul_lo_u32 v3, v5, s21
	v_mad_u64_u32 v[1:2], null, v5, s20, 0
	s_waitcnt lgkmcnt(0)
	v_cmp_gt_i32_e32 vcc_lo, s18, v5
	v_mul_lo_u32 v0, v0, s20
	s_delay_alu instid0(VALU_DEP_1) | instskip(SKIP_1) | instid1(VALU_DEP_2)
	v_add3_u32 v2, v2, v3, v0
	v_add_nc_u32_e32 v0, s19, v6
	v_lshlrev_b64 v[1:2], 3, v[1:2]
	s_delay_alu instid0(VALU_DEP_2) | instskip(NEXT) | instid1(VALU_DEP_1)
	v_cmp_le_i32_e64 s0, v0, v5
	s_and_b32 s0, vcc_lo, s0
	s_delay_alu instid0(VALU_DEP_2) | instskip(NEXT) | instid1(VALU_DEP_1)
	v_add_co_u32 v4, s1, s2, v1
	v_add_co_ci_u32_e64 v6, s1, s3, v2, s1
	s_and_saveexec_b32 s1, s0
	s_cbranch_execz .LBB1767_14
; %bb.12:
	v_ashrrev_i32_e32 v1, 31, v0
	s_delay_alu instid0(VALU_DEP_1) | instskip(NEXT) | instid1(VALU_DEP_1)
	v_lshlrev_b64 v[1:2], 3, v[0:1]
	v_add_co_u32 v1, s0, v4, v1
	s_delay_alu instid0(VALU_DEP_1)
	v_add_co_ci_u32_e64 v2, s0, v6, v2, s0
	v_cmp_eq_u32_e64 s0, v5, v0
	global_load_b64 v[7:8], v[1:2], off
	v_mul_f32_e32 v3, s7, v21
	s_waitcnt vmcnt(0)
	v_dual_mul_f32 v9, s6, v21 :: v_dual_mul_f32 v10, s17, v8
	v_mul_f32_e32 v8, s16, v8
	s_delay_alu instid0(VALU_DEP_3) | instskip(NEXT) | instid1(VALU_DEP_3)
	v_fma_f32 v3, v20, s6, -v3
	v_fmac_f32_e32 v9, s7, v20
	s_delay_alu instid0(VALU_DEP_4) | instskip(NEXT) | instid1(VALU_DEP_1)
	v_fma_f32 v10, v7, s16, -v10
	v_dual_fmac_f32 v8, s17, v7 :: v_dual_add_f32 v7, v3, v10
	s_delay_alu instid0(VALU_DEP_1)
	v_add_f32_e32 v8, v9, v8
	global_store_b64 v[1:2], v[7:8], off
	s_and_b32 exec_lo, exec_lo, s0
	s_cbranch_execz .LBB1767_14
; %bb.13:
	v_mov_b32_e32 v3, 0
	global_store_b32 v[1:2], v3, off offset:4
.LBB1767_14:
	s_or_b32 exec_lo, exec_lo, s1
	v_add_nc_u32_e32 v2, 16, v0
	s_delay_alu instid0(VALU_DEP_1) | instskip(NEXT) | instid1(VALU_DEP_1)
	v_cmp_le_i32_e64 s0, v2, v5
	s_and_b32 s1, vcc_lo, s0
	s_delay_alu instid0(SALU_CYCLE_1)
	s_and_saveexec_b32 s0, s1
	s_cbranch_execz .LBB1767_17
; %bb.15:
	v_ashrrev_i32_e32 v3, 31, v2
	s_delay_alu instid0(VALU_DEP_1) | instskip(NEXT) | instid1(VALU_DEP_1)
	v_lshlrev_b64 v[7:8], 3, v[2:3]
	v_add_co_u32 v3, vcc_lo, v4, v7
	s_delay_alu instid0(VALU_DEP_2) | instskip(SKIP_4) | instid1(VALU_DEP_1)
	v_add_co_ci_u32_e32 v4, vcc_lo, v6, v8, vcc_lo
	v_cmp_eq_u32_e32 vcc_lo, v5, v2
	global_load_b64 v[6:7], v[3:4], off
	s_waitcnt vmcnt(0)
	v_mul_f32_e32 v9, s17, v7
	v_fma_f32 v9, v6, s16, -v9
	v_mul_f32_e32 v7, s16, v7
	s_delay_alu instid0(VALU_DEP_1) | instskip(NEXT) | instid1(VALU_DEP_1)
	v_dual_mul_f32 v8, s6, v19 :: v_dual_fmac_f32 v7, s17, v6
	v_dual_mul_f32 v1, s7, v19 :: v_dual_fmac_f32 v8, s7, v18
	s_delay_alu instid0(VALU_DEP_1) | instskip(NEXT) | instid1(VALU_DEP_1)
	v_fma_f32 v1, v18, s6, -v1
	v_dual_add_f32 v7, v8, v7 :: v_dual_add_f32 v6, v1, v9
	global_store_b64 v[3:4], v[6:7], off
	s_and_b32 exec_lo, exec_lo, vcc_lo
	s_cbranch_execz .LBB1767_17
; %bb.16:
	v_mov_b32_e32 v1, 0
	global_store_b32 v[3:4], v1, off offset:4
.LBB1767_17:
	s_or_b32 exec_lo, exec_lo, s0
	v_add_nc_u32_e32 v8, 16, v5
	s_delay_alu instid0(VALU_DEP_1) | instskip(SKIP_3) | instid1(VALU_DEP_4)
	v_ashrrev_i32_e32 v1, 31, v8
	v_mul_lo_u32 v6, v8, s21
	v_mad_u64_u32 v[3:4], null, v8, s20, 0
	v_cmp_gt_i32_e32 vcc_lo, s18, v8
	v_mul_lo_u32 v1, v1, s20
	v_cmp_le_i32_e64 s0, v0, v8
	s_delay_alu instid0(VALU_DEP_1) | instskip(NEXT) | instid1(VALU_DEP_2)
	s_and_b32 s0, vcc_lo, s0
	v_add3_u32 v4, v4, v6, v1
	s_delay_alu instid0(VALU_DEP_1) | instskip(NEXT) | instid1(VALU_DEP_1)
	v_lshlrev_b64 v[3:4], 3, v[3:4]
	v_add_co_u32 v6, s1, s2, v3
	s_delay_alu instid0(VALU_DEP_1)
	v_add_co_ci_u32_e64 v7, s1, s3, v4, s1
	s_and_saveexec_b32 s1, s0
	s_cbranch_execz .LBB1767_20
; %bb.18:
	v_ashrrev_i32_e32 v1, 31, v0
	s_delay_alu instid0(VALU_DEP_1) | instskip(NEXT) | instid1(VALU_DEP_1)
	v_lshlrev_b64 v[3:4], 3, v[0:1]
	v_add_co_u32 v3, s0, v6, v3
	s_delay_alu instid0(VALU_DEP_1)
	v_add_co_ci_u32_e64 v4, s0, v7, v4, s0
	v_cmp_eq_u32_e64 s0, v8, v0
	global_load_b64 v[9:10], v[3:4], off
	v_mul_f32_e32 v1, s7, v17
	s_waitcnt vmcnt(0)
	v_dual_mul_f32 v11, s6, v17 :: v_dual_mul_f32 v12, s17, v10
	v_mul_f32_e32 v10, s16, v10
	s_delay_alu instid0(VALU_DEP_3) | instskip(NEXT) | instid1(VALU_DEP_3)
	v_fma_f32 v1, v16, s6, -v1
	v_fmac_f32_e32 v11, s7, v16
	s_delay_alu instid0(VALU_DEP_4) | instskip(NEXT) | instid1(VALU_DEP_1)
	v_fma_f32 v12, v9, s16, -v12
	v_dual_fmac_f32 v10, s17, v9 :: v_dual_add_f32 v9, v1, v12
	s_delay_alu instid0(VALU_DEP_1)
	v_add_f32_e32 v10, v11, v10
	global_store_b64 v[3:4], v[9:10], off
	s_and_b32 exec_lo, exec_lo, s0
	s_cbranch_execz .LBB1767_20
; %bb.19:
	v_mov_b32_e32 v1, 0
	global_store_b32 v[3:4], v1, off offset:4
.LBB1767_20:
	s_or_b32 exec_lo, exec_lo, s1
	v_cmp_le_i32_e64 s0, v2, v8
	s_delay_alu instid0(VALU_DEP_1) | instskip(NEXT) | instid1(SALU_CYCLE_1)
	s_and_b32 s0, vcc_lo, s0
	s_and_saveexec_b32 s1, s0
	s_cbranch_execz .LBB1767_23
; %bb.21:
	v_ashrrev_i32_e32 v3, 31, v2
	s_delay_alu instid0(VALU_DEP_1) | instskip(NEXT) | instid1(VALU_DEP_1)
	v_lshlrev_b64 v[1:2], 3, v[2:3]
	v_add_co_u32 v1, vcc_lo, v6, v1
	s_delay_alu instid0(VALU_DEP_2) | instskip(SKIP_4) | instid1(VALU_DEP_1)
	v_add_co_ci_u32_e32 v2, vcc_lo, v7, v2, vcc_lo
	v_cmp_eq_u32_e32 vcc_lo, v5, v0
	global_load_b64 v[3:4], v[1:2], off
	s_waitcnt vmcnt(0)
	v_dual_mul_f32 v7, s6, v15 :: v_dual_mul_f32 v8, s17, v4
	v_dual_mul_f32 v6, s7, v15 :: v_dual_fmac_f32 v7, s7, v14
	v_mul_f32_e32 v4, s16, v4
	s_delay_alu instid0(VALU_DEP_3) | instskip(NEXT) | instid1(VALU_DEP_3)
	v_fma_f32 v8, v3, s16, -v8
	v_fma_f32 v6, v14, s6, -v6
	s_delay_alu instid0(VALU_DEP_1) | instskip(NEXT) | instid1(VALU_DEP_1)
	v_dual_fmac_f32 v4, s17, v3 :: v_dual_add_f32 v3, v6, v8
	v_add_f32_e32 v4, v7, v4
	global_store_b64 v[1:2], v[3:4], off
	s_and_b32 exec_lo, exec_lo, vcc_lo
	s_cbranch_execz .LBB1767_23
; %bb.22:
	v_mov_b32_e32 v0, 0
	global_store_b32 v[1:2], v0, off offset:4
.LBB1767_23:
	s_nop 0
	s_sendmsg sendmsg(MSG_DEALLOC_VGPRS)
	s_endpgm
	.section	.rodata,"a",@progbits
	.p2align	6, 0x0
	.amdhsa_kernel _ZL34rocblas_syrkx_herkx_general_kernelIl19rocblas_complex_numIfELi16ELi32ELi8ELb0ELb1ELc78ELc85EKPKS1_KPS1_EviT_T0_PT8_S7_lSA_S7_lS8_PT9_S7_li
		.amdhsa_group_segment_fixed_size 4096
		.amdhsa_private_segment_fixed_size 0
		.amdhsa_kernarg_size 108
		.amdhsa_user_sgpr_count 13
		.amdhsa_user_sgpr_dispatch_ptr 0
		.amdhsa_user_sgpr_queue_ptr 0
		.amdhsa_user_sgpr_kernarg_segment_ptr 1
		.amdhsa_user_sgpr_dispatch_id 0
		.amdhsa_user_sgpr_private_segment_size 0
		.amdhsa_wavefront_size32 1
		.amdhsa_uses_dynamic_stack 0
		.amdhsa_enable_private_segment 0
		.amdhsa_system_sgpr_workgroup_id_x 1
		.amdhsa_system_sgpr_workgroup_id_y 1
		.amdhsa_system_sgpr_workgroup_id_z 1
		.amdhsa_system_sgpr_workgroup_info 0
		.amdhsa_system_vgpr_workitem_id 1
		.amdhsa_next_free_vgpr 59
		.amdhsa_next_free_sgpr 25
		.amdhsa_reserve_vcc 1
		.amdhsa_float_round_mode_32 0
		.amdhsa_float_round_mode_16_64 0
		.amdhsa_float_denorm_mode_32 3
		.amdhsa_float_denorm_mode_16_64 3
		.amdhsa_dx10_clamp 1
		.amdhsa_ieee_mode 1
		.amdhsa_fp16_overflow 0
		.amdhsa_workgroup_processor_mode 1
		.amdhsa_memory_ordered 1
		.amdhsa_forward_progress 0
		.amdhsa_shared_vgpr_count 0
		.amdhsa_exception_fp_ieee_invalid_op 0
		.amdhsa_exception_fp_denorm_src 0
		.amdhsa_exception_fp_ieee_div_zero 0
		.amdhsa_exception_fp_ieee_overflow 0
		.amdhsa_exception_fp_ieee_underflow 0
		.amdhsa_exception_fp_ieee_inexact 0
		.amdhsa_exception_int_div_zero 0
	.end_amdhsa_kernel
	.section	.text._ZL34rocblas_syrkx_herkx_general_kernelIl19rocblas_complex_numIfELi16ELi32ELi8ELb0ELb1ELc78ELc85EKPKS1_KPS1_EviT_T0_PT8_S7_lSA_S7_lS8_PT9_S7_li,"axG",@progbits,_ZL34rocblas_syrkx_herkx_general_kernelIl19rocblas_complex_numIfELi16ELi32ELi8ELb0ELb1ELc78ELc85EKPKS1_KPS1_EviT_T0_PT8_S7_lSA_S7_lS8_PT9_S7_li,comdat
.Lfunc_end1767:
	.size	_ZL34rocblas_syrkx_herkx_general_kernelIl19rocblas_complex_numIfELi16ELi32ELi8ELb0ELb1ELc78ELc85EKPKS1_KPS1_EviT_T0_PT8_S7_lSA_S7_lS8_PT9_S7_li, .Lfunc_end1767-_ZL34rocblas_syrkx_herkx_general_kernelIl19rocblas_complex_numIfELi16ELi32ELi8ELb0ELb1ELc78ELc85EKPKS1_KPS1_EviT_T0_PT8_S7_lSA_S7_lS8_PT9_S7_li
                                        ; -- End function
	.section	.AMDGPU.csdata,"",@progbits
; Kernel info:
; codeLenInByte = 2868
; NumSgprs: 27
; NumVgprs: 59
; ScratchSize: 0
; MemoryBound: 1
; FloatMode: 240
; IeeeMode: 1
; LDSByteSize: 4096 bytes/workgroup (compile time only)
; SGPRBlocks: 3
; VGPRBlocks: 7
; NumSGPRsForWavesPerEU: 27
; NumVGPRsForWavesPerEU: 59
; Occupancy: 16
; WaveLimiterHint : 1
; COMPUTE_PGM_RSRC2:SCRATCH_EN: 0
; COMPUTE_PGM_RSRC2:USER_SGPR: 13
; COMPUTE_PGM_RSRC2:TRAP_HANDLER: 0
; COMPUTE_PGM_RSRC2:TGID_X_EN: 1
; COMPUTE_PGM_RSRC2:TGID_Y_EN: 1
; COMPUTE_PGM_RSRC2:TGID_Z_EN: 1
; COMPUTE_PGM_RSRC2:TIDIG_COMP_CNT: 1
	.section	.text._ZL26rocblas_syr2k_scale_kernelIlLi128ELi8ELb1E19rocblas_complex_numIfES1_PKPS1_EvbiT_T3_T4_T5_S5_li,"axG",@progbits,_ZL26rocblas_syr2k_scale_kernelIlLi128ELi8ELb1E19rocblas_complex_numIfES1_PKPS1_EvbiT_T3_T4_T5_S5_li,comdat
	.globl	_ZL26rocblas_syr2k_scale_kernelIlLi128ELi8ELb1E19rocblas_complex_numIfES1_PKPS1_EvbiT_T3_T4_T5_S5_li ; -- Begin function _ZL26rocblas_syr2k_scale_kernelIlLi128ELi8ELb1E19rocblas_complex_numIfES1_PKPS1_EvbiT_T3_T4_T5_S5_li
	.p2align	8
	.type	_ZL26rocblas_syr2k_scale_kernelIlLi128ELi8ELb1E19rocblas_complex_numIfES1_PKPS1_EvbiT_T3_T4_T5_S5_li,@function
_ZL26rocblas_syr2k_scale_kernelIlLi128ELi8ELb1E19rocblas_complex_numIfES1_PKPS1_EvbiT_T3_T4_T5_S5_li: ; @_ZL26rocblas_syr2k_scale_kernelIlLi128ELi8ELb1E19rocblas_complex_numIfES1_PKPS1_EvbiT_T3_T4_T5_S5_li
; %bb.0:
	s_load_b128 s[4:7], s[0:1], 0x10
	s_mov_b32 s8, s15
	s_waitcnt lgkmcnt(0)
	v_cmp_eq_f32_e64 s2, s6, 1.0
	v_cmp_eq_f32_e64 s3, s7, 0
	s_delay_alu instid0(VALU_DEP_1)
	s_and_b32 s3, s2, s3
	s_mov_b32 s2, 0
	s_and_not1_b32 vcc_lo, exec_lo, s3
	s_mov_b32 s3, -1
	s_cbranch_vccnz .LBB1768_4
; %bb.1:
	s_load_b64 s[10:11], s[0:1], 0x8
	s_waitcnt lgkmcnt(0)
	s_cmp_lg_u64 s[10:11], 0
	s_cbranch_scc0 .LBB1768_3
; %bb.2:
	v_cmp_neq_f32_e64 s2, s4, 0
	v_cmp_neq_f32_e64 s3, s5, 0
	s_delay_alu instid0(VALU_DEP_1)
	s_or_b32 s2, s2, s3
.LBB1768_3:
	s_delay_alu instid0(SALU_CYCLE_1)
	s_mov_b32 s3, s2
.LBB1768_4:
	s_delay_alu instid0(SALU_CYCLE_1)
	s_and_b32 vcc_lo, exec_lo, s3
	s_cbranch_vccz .LBB1768_9
; %bb.5:
	s_clause 0x1
	s_load_b64 s[2:3], s[0:1], 0x0
	s_load_b32 s4, s[0:1], 0x4c
	v_and_b32_e32 v2, 0x3ff, v0
	v_bfe_u32 v4, v0, 10, 10
	s_waitcnt lgkmcnt(0)
	s_bitcmp1_b32 s2, 0
	s_cselect_b32 vcc_lo, -1, 0
	s_lshr_b32 s2, s4, 16
	s_and_b32 s4, s4, 0xffff
	s_delay_alu instid0(SALU_CYCLE_1) | instskip(SKIP_1) | instid1(VALU_DEP_1)
	v_mad_u64_u32 v[0:1], null, s13, s4, v[2:3]
	v_mad_u64_u32 v[2:3], null, s14, s2, v[4:5]
	v_dual_cndmask_b32 v1, v2, v0 :: v_dual_cndmask_b32 v4, v0, v2
	v_max_u32_e32 v3, v0, v2
	s_delay_alu instid0(VALU_DEP_2) | instskip(NEXT) | instid1(VALU_DEP_2)
	v_cmp_le_i32_e64 s2, v1, v4
	v_cmp_gt_u32_e32 vcc_lo, s3, v3
	s_delay_alu instid0(VALU_DEP_2) | instskip(NEXT) | instid1(SALU_CYCLE_1)
	s_and_b32 s2, vcc_lo, s2
	s_and_saveexec_b32 s3, s2
	s_cbranch_execz .LBB1768_9
; %bb.6:
	s_clause 0x1
	s_load_b128 s[12:15], s[0:1], 0x20
	s_load_b64 s[0:1], s[0:1], 0x30
	s_mov_b32 s9, 0
	s_delay_alu instid0(SALU_CYCLE_1)
	s_lshl_b64 s[2:3], s[8:9], 3
	s_waitcnt lgkmcnt(0)
	v_mad_u64_u32 v[3:4], null, v2, s14, 0
	s_add_u32 s2, s12, s2
	s_addc_u32 s3, s13, s3
	s_lshl_b64 s[0:1], s[0:1], 3
	s_load_b64 s[2:3], s[2:3], 0x0
	s_delay_alu instid0(VALU_DEP_1) | instskip(NEXT) | instid1(VALU_DEP_1)
	v_mov_b32_e32 v1, v4
	v_mad_u64_u32 v[4:5], null, v2, s15, v[1:2]
	v_mov_b32_e32 v1, 0
	s_delay_alu instid0(VALU_DEP_1) | instskip(NEXT) | instid1(VALU_DEP_3)
	v_lshlrev_b64 v[5:6], 3, v[0:1]
	v_lshlrev_b64 v[3:4], 3, v[3:4]
	s_waitcnt lgkmcnt(0)
	s_add_u32 s0, s2, s0
	s_addc_u32 s1, s3, s1
	s_delay_alu instid0(VALU_DEP_1) | instskip(NEXT) | instid1(VALU_DEP_2)
	v_add_co_u32 v3, vcc_lo, s0, v3
	v_add_co_ci_u32_e32 v4, vcc_lo, s1, v4, vcc_lo
	s_or_b32 s2, s6, s7
	s_delay_alu instid0(VALU_DEP_2) | instskip(NEXT) | instid1(VALU_DEP_2)
	v_add_co_u32 v3, vcc_lo, v3, v5
	v_add_co_ci_u32_e32 v4, vcc_lo, v4, v6, vcc_lo
	v_mov_b32_e32 v5, v1
	s_bitset0_b32 s2, 31
	s_delay_alu instid0(SALU_CYCLE_1)
	s_cmp_eq_u32 s2, 0
	s_cbranch_scc1 .LBB1768_8
; %bb.7:
	global_load_b64 v[6:7], v[3:4], off
	s_waitcnt vmcnt(0)
	v_mul_f32_e32 v1, s7, v7
	v_mul_f32_e32 v5, s6, v7
	s_delay_alu instid0(VALU_DEP_2) | instskip(NEXT) | instid1(VALU_DEP_2)
	v_fma_f32 v1, v6, s6, -v1
	v_fmac_f32_e32 v5, s7, v6
.LBB1768_8:
	v_cmp_ne_u32_e32 vcc_lo, v0, v2
	s_delay_alu instid0(VALU_DEP_2)
	v_cndmask_b32_e32 v2, 0, v5, vcc_lo
	global_store_b64 v[3:4], v[1:2], off
.LBB1768_9:
	s_nop 0
	s_sendmsg sendmsg(MSG_DEALLOC_VGPRS)
	s_endpgm
	.section	.rodata,"a",@progbits
	.p2align	6, 0x0
	.amdhsa_kernel _ZL26rocblas_syr2k_scale_kernelIlLi128ELi8ELb1E19rocblas_complex_numIfES1_PKPS1_EvbiT_T3_T4_T5_S5_li
		.amdhsa_group_segment_fixed_size 0
		.amdhsa_private_segment_fixed_size 0
		.amdhsa_kernarg_size 320
		.amdhsa_user_sgpr_count 13
		.amdhsa_user_sgpr_dispatch_ptr 0
		.amdhsa_user_sgpr_queue_ptr 0
		.amdhsa_user_sgpr_kernarg_segment_ptr 1
		.amdhsa_user_sgpr_dispatch_id 0
		.amdhsa_user_sgpr_private_segment_size 0
		.amdhsa_wavefront_size32 1
		.amdhsa_uses_dynamic_stack 0
		.amdhsa_enable_private_segment 0
		.amdhsa_system_sgpr_workgroup_id_x 1
		.amdhsa_system_sgpr_workgroup_id_y 1
		.amdhsa_system_sgpr_workgroup_id_z 1
		.amdhsa_system_sgpr_workgroup_info 0
		.amdhsa_system_vgpr_workitem_id 1
		.amdhsa_next_free_vgpr 8
		.amdhsa_next_free_sgpr 16
		.amdhsa_reserve_vcc 1
		.amdhsa_float_round_mode_32 0
		.amdhsa_float_round_mode_16_64 0
		.amdhsa_float_denorm_mode_32 3
		.amdhsa_float_denorm_mode_16_64 3
		.amdhsa_dx10_clamp 1
		.amdhsa_ieee_mode 1
		.amdhsa_fp16_overflow 0
		.amdhsa_workgroup_processor_mode 1
		.amdhsa_memory_ordered 1
		.amdhsa_forward_progress 0
		.amdhsa_shared_vgpr_count 0
		.amdhsa_exception_fp_ieee_invalid_op 0
		.amdhsa_exception_fp_denorm_src 0
		.amdhsa_exception_fp_ieee_div_zero 0
		.amdhsa_exception_fp_ieee_overflow 0
		.amdhsa_exception_fp_ieee_underflow 0
		.amdhsa_exception_fp_ieee_inexact 0
		.amdhsa_exception_int_div_zero 0
	.end_amdhsa_kernel
	.section	.text._ZL26rocblas_syr2k_scale_kernelIlLi128ELi8ELb1E19rocblas_complex_numIfES1_PKPS1_EvbiT_T3_T4_T5_S5_li,"axG",@progbits,_ZL26rocblas_syr2k_scale_kernelIlLi128ELi8ELb1E19rocblas_complex_numIfES1_PKPS1_EvbiT_T3_T4_T5_S5_li,comdat
.Lfunc_end1768:
	.size	_ZL26rocblas_syr2k_scale_kernelIlLi128ELi8ELb1E19rocblas_complex_numIfES1_PKPS1_EvbiT_T3_T4_T5_S5_li, .Lfunc_end1768-_ZL26rocblas_syr2k_scale_kernelIlLi128ELi8ELb1E19rocblas_complex_numIfES1_PKPS1_EvbiT_T3_T4_T5_S5_li
                                        ; -- End function
	.section	.AMDGPU.csdata,"",@progbits
; Kernel info:
; codeLenInByte = 484
; NumSgprs: 18
; NumVgprs: 8
; ScratchSize: 0
; MemoryBound: 0
; FloatMode: 240
; IeeeMode: 1
; LDSByteSize: 0 bytes/workgroup (compile time only)
; SGPRBlocks: 2
; VGPRBlocks: 0
; NumSGPRsForWavesPerEU: 18
; NumVGPRsForWavesPerEU: 8
; Occupancy: 16
; WaveLimiterHint : 1
; COMPUTE_PGM_RSRC2:SCRATCH_EN: 0
; COMPUTE_PGM_RSRC2:USER_SGPR: 13
; COMPUTE_PGM_RSRC2:TRAP_HANDLER: 0
; COMPUTE_PGM_RSRC2:TGID_X_EN: 1
; COMPUTE_PGM_RSRC2:TGID_Y_EN: 1
; COMPUTE_PGM_RSRC2:TGID_Z_EN: 1
; COMPUTE_PGM_RSRC2:TIDIG_COMP_CNT: 1
	.section	.text._ZL26rocblas_syr2k_her2k_kernelIlLb0ELb1ELb0ELi32EPK19rocblas_complex_numIfEPKS3_PKPS1_EvbiT_T4_T5_S9_lSB_S9_lT6_S9_li,"axG",@progbits,_ZL26rocblas_syr2k_her2k_kernelIlLb0ELb1ELb0ELi32EPK19rocblas_complex_numIfEPKS3_PKPS1_EvbiT_T4_T5_S9_lSB_S9_lT6_S9_li,comdat
	.globl	_ZL26rocblas_syr2k_her2k_kernelIlLb0ELb1ELb0ELi32EPK19rocblas_complex_numIfEPKS3_PKPS1_EvbiT_T4_T5_S9_lSB_S9_lT6_S9_li ; -- Begin function _ZL26rocblas_syr2k_her2k_kernelIlLb0ELb1ELb0ELi32EPK19rocblas_complex_numIfEPKS3_PKPS1_EvbiT_T4_T5_S9_lSB_S9_lT6_S9_li
	.p2align	8
	.type	_ZL26rocblas_syr2k_her2k_kernelIlLb0ELb1ELb0ELi32EPK19rocblas_complex_numIfEPKS3_PKPS1_EvbiT_T4_T5_S9_lSB_S9_lT6_S9_li,@function
_ZL26rocblas_syr2k_her2k_kernelIlLb0ELb1ELb0ELi32EPK19rocblas_complex_numIfEPKS3_PKPS1_EvbiT_T4_T5_S9_lSB_S9_lT6_S9_li: ; @_ZL26rocblas_syr2k_her2k_kernelIlLb0ELb1ELb0ELi32EPK19rocblas_complex_numIfEPKS3_PKPS1_EvbiT_T4_T5_S9_lSB_S9_lT6_S9_li
; %bb.0:
	s_load_b512 s[16:31], s[0:1], 0x8
	s_waitcnt lgkmcnt(0)
	s_load_b64 s[8:9], s[18:19], 0x0
	s_waitcnt lgkmcnt(0)
	v_cmp_eq_f32_e64 s2, s8, 0
	v_cmp_eq_f32_e64 s3, s9, 0
	s_delay_alu instid0(VALU_DEP_1) | instskip(NEXT) | instid1(SALU_CYCLE_1)
	s_and_b32 s2, s2, s3
	s_and_b32 vcc_lo, exec_lo, s2
	s_cbranch_vccnz .LBB1769_13
; %bb.1:
	s_load_b64 s[2:3], s[0:1], 0x0
	s_lshl_b32 s12, s14, 5
	s_lshl_b32 s13, s13, 5
	s_waitcnt lgkmcnt(0)
	s_and_b32 s2, 1, s2
	s_delay_alu instid0(SALU_CYCLE_1) | instskip(SKIP_1) | instid1(SALU_CYCLE_1)
	s_cmp_eq_u32 s2, 1
	s_cselect_b32 s2, -1, 0
	s_and_b32 s4, s2, exec_lo
	s_cselect_b32 s4, s13, s12
	s_cselect_b32 s5, s12, s13
	s_delay_alu instid0(SALU_CYCLE_1)
	s_cmp_gt_i32 s4, s5
	s_cbranch_scc1 .LBB1769_13
; %bb.2:
	s_load_b128 s[4:7], s[0:1], 0x48
	s_mov_b32 s10, s15
	s_mov_b32 s11, 0
	s_load_b64 s[0:1], s[0:1], 0x58
	s_lshl_b64 s[10:11], s[10:11], 3
	v_and_b32_e32 v14, 0x3ff, v0
	v_bfe_u32 v15, v0, 10, 10
	v_cmp_lt_i64_e64 s18, s[16:17], 1
	s_delay_alu instid0(VALU_DEP_3) | instskip(NEXT) | instid1(VALU_DEP_3)
	v_add_nc_u32_e32 v0, s13, v14
	v_add_nc_u32_e32 v4, s12, v15
	s_delay_alu instid0(VALU_DEP_2)
	v_ashrrev_i32_e32 v3, 31, v0
	s_waitcnt lgkmcnt(0)
	s_add_u32 s4, s4, s10
	s_addc_u32 s5, s5, s11
	s_lshl_b64 s[0:1], s[0:1], 3
	s_load_b64 s[4:5], s[4:5], 0x0
	s_waitcnt lgkmcnt(0)
	s_add_u32 s14, s4, s0
	s_addc_u32 s15, s5, s1
	s_and_b32 vcc_lo, exec_lo, s18
	s_cbranch_vccnz .LBB1769_11
; %bb.3:
	v_ashrrev_i32_e32 v8, 31, v4
	v_mul_lo_u32 v20, v4, s7
	v_mad_u64_u32 v[6:7], null, s28, v14, 0
	v_dual_mov_b32 v1, 0 :: v_dual_lshlrev_b32 v2, 3, v15
	s_delay_alu instid0(VALU_DEP_4) | instskip(SKIP_1) | instid1(VALU_DEP_3)
	v_mul_lo_u32 v21, v8, s6
	v_mad_u64_u32 v[8:9], null, v4, s6, 0
	v_dual_mov_b32 v5, v1 :: v_dual_lshlrev_b32 v16, 8, v14
	v_mad_u64_u32 v[10:11], null, s22, v15, 0
	v_cndmask_b32_e64 v12, v0, v4, s2
	v_cndmask_b32_e64 v13, v4, v0, s2
	v_add3_u32 v9, v9, v20, v21
	v_add_nc_u32_e32 v17, v16, v2
	v_or_b32_e32 v18, 0x2000, v2
	v_mov_b32_e32 v2, v7
	v_cmp_le_i32_e64 s2, v13, v12
	v_lshlrev_b64 v[8:9], 3, v[8:9]
	v_mov_b32_e32 v7, v11
	v_max_i32_e32 v22, v0, v4
	v_mad_u64_u32 v[12:13], null, s29, v14, v[2:3]
	v_dual_mov_b32 v2, v0 :: v_dual_add_nc_u32 v19, v18, v16
	s_delay_alu instid0(VALU_DEP_4) | instskip(NEXT) | instid1(VALU_DEP_4)
	v_mad_u64_u32 v[20:21], null, s23, v15, v[7:8]
	v_cmp_gt_i32_e32 vcc_lo, s3, v22
	s_add_u32 s0, s20, s10
	s_delay_alu instid0(VALU_DEP_4)
	v_mov_b32_e32 v7, v12
	s_addc_u32 s1, s21, s11
	s_add_u32 s10, s26, s10
	v_lshlrev_b64 v[21:22], 3, v[2:3]
	s_addc_u32 s11, s27, s11
	s_and_b32 s2, s2, vcc_lo
	v_add_co_u32 v2, vcc_lo, s14, v8
	s_load_b64 s[4:5], s[0:1], 0x0
	s_load_b64 s[10:11], s[10:11], 0x0
	v_add_co_ci_u32_e32 v12, vcc_lo, s15, v9, vcc_lo
	v_lshlrev_b64 v[8:9], 3, v[6:7]
	v_mov_b32_e32 v11, v20
	s_ashr_i32 s13, s3, 31
	s_mov_b32 s12, s3
	v_add_co_u32 v6, vcc_lo, v2, v21
	v_cmp_gt_i64_e64 s0, s[12:13], v[0:1]
	v_cmp_gt_i64_e64 s1, s[12:13], v[4:5]
	s_lshl_b64 s[12:13], s[30:31], 3
	v_add_co_ci_u32_e32 v7, vcc_lo, v12, v22, vcc_lo
	v_lshlrev_b64 v[10:11], 3, v[10:11]
	v_add_co_u32 v12, vcc_lo, v8, s12
	v_add_co_ci_u32_e32 v13, vcc_lo, s13, v9, vcc_lo
	v_lshlrev_b64 v[8:9], 3, v[4:5]
	s_lshl_b64 s[12:13], s[24:25], 3
	v_lshlrev_b64 v[1:2], 3, v[0:1]
	v_add_co_u32 v5, vcc_lo, v10, s12
	v_add_co_ci_u32_e32 v10, vcc_lo, s13, v11, vcc_lo
	s_delay_alu instid0(VALU_DEP_4) | instskip(SKIP_1) | instid1(VALU_DEP_4)
	v_add_co_u32 v8, vcc_lo, v12, v8
	v_add_co_ci_u32_e32 v9, vcc_lo, v13, v9, vcc_lo
	v_add_co_u32 v1, vcc_lo, v5, v1
	s_delay_alu instid0(VALU_DEP_4)
	v_add_co_ci_u32_e32 v2, vcc_lo, v10, v2, vcc_lo
	s_waitcnt lgkmcnt(0)
	v_add_co_u32 v5, vcc_lo, v8, s10
	v_add_co_ci_u32_e32 v8, vcc_lo, s11, v9, vcc_lo
	v_add_co_u32 v9, vcc_lo, v1, s4
	v_add_co_ci_u32_e32 v10, vcc_lo, s5, v2, vcc_lo
	s_delay_alu instid0(VALU_DEP_4) | instskip(NEXT) | instid1(VALU_DEP_4)
	v_add_co_u32 v1, vcc_lo, v5, 4
	v_add_co_ci_u32_e32 v2, vcc_lo, 0, v8, vcc_lo
	s_delay_alu instid0(VALU_DEP_4) | instskip(NEXT) | instid1(VALU_DEP_4)
	v_add_co_u32 v8, vcc_lo, v9, 4
	v_add_co_ci_u32_e32 v9, vcc_lo, 0, v10, vcc_lo
	v_add_nc_u32_e32 v5, 0x800, v18
	v_add_nc_u32_e32 v20, 0x1000, v18
	;; [unrolled: 1-line block ×3, first 2 shown]
	s_lshl_b64 s[4:5], s[28:29], 8
	s_lshl_b64 s[10:11], s[22:23], 8
	s_mov_b64 s[12:13], 0
	s_branch .LBB1769_5
.LBB1769_4:                             ;   in Loop: Header=BB1769_5 Depth=1
	s_or_b32 exec_lo, exec_lo, s18
	s_add_u32 s12, s12, 32
	s_addc_u32 s13, s13, 0
	v_add_co_u32 v1, vcc_lo, v1, s4
	v_cmp_ge_i64_e64 s18, s[12:13], s[16:17]
	v_add_co_ci_u32_e32 v2, vcc_lo, s5, v2, vcc_lo
	v_add_co_u32 v8, vcc_lo, v8, s10
	v_add_co_ci_u32_e32 v9, vcc_lo, s11, v9, vcc_lo
	s_delay_alu instid0(VALU_DEP_4)
	s_and_b32 vcc_lo, exec_lo, s18
	s_waitcnt_vscnt null, 0x0
	s_barrier
	buffer_gl0_inv
	s_cbranch_vccnz .LBB1769_11
.LBB1769_5:                             ; =>This Inner Loop Header: Depth=1
	v_add_co_u32 v10, s18, v15, s12
	s_delay_alu instid0(VALU_DEP_1) | instskip(NEXT) | instid1(VALU_DEP_1)
	v_add_co_ci_u32_e64 v11, null, 0, s13, s18
	v_cmp_gt_i64_e32 vcc_lo, s[16:17], v[10:11]
	v_dual_mov_b32 v10, 0 :: v_dual_mov_b32 v11, 0
	s_and_b32 s19, s0, vcc_lo
	s_delay_alu instid0(SALU_CYCLE_1)
	s_and_saveexec_b32 s18, s19
	s_cbranch_execz .LBB1769_7
; %bb.6:                                ;   in Loop: Header=BB1769_5 Depth=1
	global_load_b64 v[10:11], v[8:9], off offset:-4
.LBB1769_7:                             ;   in Loop: Header=BB1769_5 Depth=1
	s_or_b32 exec_lo, exec_lo, s18
	v_add_co_u32 v12, s18, v14, s12
	s_delay_alu instid0(VALU_DEP_1)
	v_add_co_ci_u32_e64 v13, null, 0, s13, s18
	s_waitcnt vmcnt(0)
	ds_store_b64 v17, v[10:11]
	v_cmp_gt_i64_e32 vcc_lo, s[16:17], v[12:13]
	v_dual_mov_b32 v12, 0 :: v_dual_mov_b32 v13, 0
	s_and_b32 s19, s1, vcc_lo
	s_delay_alu instid0(SALU_CYCLE_1)
	s_and_saveexec_b32 s18, s19
	s_cbranch_execz .LBB1769_9
; %bb.8:                                ;   in Loop: Header=BB1769_5 Depth=1
	global_load_b64 v[12:13], v[1:2], off offset:-4
	s_waitcnt vmcnt(0)
	v_xor_b32_e32 v13, 0x80000000, v13
.LBB1769_9:                             ;   in Loop: Header=BB1769_5 Depth=1
	s_or_b32 exec_lo, exec_lo, s18
	ds_store_b64 v19, v[12:13]
	s_waitcnt lgkmcnt(0)
	s_barrier
	buffer_gl0_inv
	s_and_saveexec_b32 s18, s2
	s_cbranch_execz .LBB1769_4
; %bb.10:                               ;   in Loop: Header=BB1769_5 Depth=1
	global_load_b64 v[10:11], v[6:7], off
	ds_load_2addr_b64 v[22:25], v18 offset1:32
	ds_load_b128 v[26:29], v16
	ds_load_b128 v[30:33], v16 offset:16
	ds_load_b128 v[34:37], v16 offset:32
	;; [unrolled: 1-line block ×3, first 2 shown]
	ds_load_2addr_b64 v[42:45], v18 offset0:64 offset1:96
	ds_load_2addr_b64 v[46:49], v18 offset0:128 offset1:160
	;; [unrolled: 1-line block ×3, first 2 shown]
	ds_load_2addr_b64 v[54:57], v5 offset1:32
	ds_load_b128 v[58:61], v16 offset:64
	ds_load_b128 v[62:65], v16 offset:80
	ds_load_2addr_b64 v[66:69], v5 offset0:64 offset1:96
	ds_load_2addr_b64 v[70:73], v5 offset0:128 offset1:160
	ds_load_b128 v[74:77], v16 offset:96
	ds_load_b128 v[78:81], v16 offset:112
	ds_load_2addr_b64 v[82:85], v5 offset0:192 offset1:224
	ds_load_2addr_b64 v[86:89], v20 offset1:32
	ds_load_b128 v[90:93], v16 offset:128
	ds_load_b128 v[94:97], v16 offset:144
	s_waitcnt lgkmcnt(17)
	v_mul_f32_e32 v12, v23, v27
	v_dual_mul_f32 v13, v22, v27 :: v_dual_mul_f32 v98, v24, v29
	s_waitcnt lgkmcnt(13)
	v_dual_mul_f32 v27, v25, v29 :: v_dual_mul_f32 v100, v42, v31
	v_mul_f32_e32 v101, v44, v33
	v_fma_f32 v12, v22, v26, -v12
	v_dual_fmac_f32 v13, v23, v26 :: v_dual_fmac_f32 v98, v25, v28
	s_delay_alu instid0(VALU_DEP_4)
	v_fma_f32 v99, v24, v28, -v27
	v_dual_mul_f32 v26, v43, v31 :: v_dual_mul_f32 v27, v45, v33
	s_waitcnt lgkmcnt(12)
	v_dual_mul_f32 v102, v46, v35 :: v_dual_mul_f32 v33, v49, v37
	v_mul_f32_e32 v105, v48, v37
	v_dual_add_f32 v13, 0, v13 :: v_dual_add_f32 v12, 0, v12
	v_mul_f32_e32 v31, v47, v35
	v_fma_f32 v103, v42, v30, -v26
	s_delay_alu instid0(VALU_DEP_4)
	v_dual_fmac_f32 v102, v47, v34 :: v_dual_fmac_f32 v105, v49, v36
	s_waitcnt lgkmcnt(11)
	v_dual_mul_f32 v42, v51, v39 :: v_dual_add_f32 v13, v13, v98
	v_dual_mul_f32 v98, v52, v41 :: v_dual_mul_f32 v107, v50, v39
	v_dual_mul_f32 v39, v53, v41 :: v_dual_add_f32 v12, v12, v99
	v_dual_fmac_f32 v100, v43, v30 :: v_dual_fmac_f32 v101, v45, v32
	v_fma_f32 v104, v44, v32, -v27
	v_fma_f32 v46, v46, v34, -v31
	s_delay_alu instid0(VALU_DEP_3) | instskip(SKIP_3) | instid1(VALU_DEP_3)
	v_dual_add_f32 v12, v12, v103 :: v_dual_add_f32 v13, v13, v100
	s_waitcnt lgkmcnt(9)
	v_dual_mul_f32 v100, v56, v61 :: v_dual_mul_f32 v47, v55, v59
	v_fma_f32 v106, v48, v36, -v33
	v_dual_add_f32 v12, v12, v104 :: v_dual_add_f32 v13, v13, v101
	v_fma_f32 v108, v50, v38, -v42
	s_delay_alu instid0(VALU_DEP_4) | instskip(SKIP_1) | instid1(VALU_DEP_3)
	v_dual_mul_f32 v99, v54, v59 :: v_dual_fmac_f32 v100, v57, v60
	s_waitcnt lgkmcnt(7)
	v_dual_add_f32 v12, v12, v46 :: v_dual_mul_f32 v101, v66, v63
	v_fma_f32 v109, v52, v40, -v39
	v_mul_f32_e32 v59, v67, v63
	v_add_f32_e32 v13, v13, v102
	s_delay_alu instid0(VALU_DEP_4) | instskip(SKIP_2) | instid1(VALU_DEP_3)
	v_add_f32_e32 v12, v12, v106
	v_dual_fmac_f32 v99, v55, v58 :: v_dual_fmac_f32 v98, v53, v40
	v_dual_fmac_f32 v107, v51, v38 :: v_dual_mul_f32 v48, v57, v61
	v_add_f32_e32 v12, v12, v108
	v_fma_f32 v63, v54, v58, -v47
	v_mul_f32_e32 v54, v69, v65
	v_fma_f32 v104, v66, v62, -v59
	v_fmac_f32_e32 v101, v67, v62
	s_waitcnt lgkmcnt(5)
	v_mul_f32_e32 v62, v71, v75
	v_dual_mul_f32 v75, v70, v75 :: v_dual_add_f32 v12, v12, v109
	v_add_f32_e32 v13, v13, v105
	v_fma_f32 v102, v56, v60, -v48
	v_mul_f32_e32 v103, v68, v65
	v_fma_f32 v105, v68, v64, -v54
	v_add_f32_e32 v12, v12, v63
	v_add_f32_e32 v13, v13, v107
	v_fmac_f32_e32 v75, v71, v74
	ds_load_2addr_b64 v[22:25], v20 offset0:64 offset1:96
	ds_load_2addr_b64 v[26:29], v20 offset0:128 offset1:160
	v_add_f32_e32 v12, v12, v102
	s_waitcnt lgkmcnt(5)
	v_dual_add_f32 v13, v13, v98 :: v_dual_mul_f32 v98, v83, v79
	v_fmac_f32_e32 v103, v69, v64
	v_mul_f32_e32 v64, v73, v77
	v_mul_f32_e32 v77, v72, v77
	s_delay_alu instid0(VALU_DEP_4) | instskip(SKIP_1) | instid1(VALU_DEP_4)
	v_dual_add_f32 v13, v13, v99 :: v_dual_add_f32 v12, v12, v104
	v_fma_f32 v99, v70, v74, -v62
	v_fma_f32 v74, v72, v76, -v64
	s_delay_alu instid0(VALU_DEP_4)
	v_fmac_f32_e32 v77, v73, v76
	v_dual_mul_f32 v79, v82, v79 :: v_dual_mul_f32 v70, v85, v81
	v_dual_add_f32 v12, v12, v105 :: v_dual_add_f32 v13, v13, v100
	v_mul_f32_e32 v76, v84, v81
	v_fma_f32 v81, v82, v78, -v98
	ds_load_b128 v[30:33], v16 offset:160
	ds_load_b128 v[34:37], v16 offset:176
	v_dual_add_f32 v12, v12, v99 :: v_dual_add_f32 v13, v13, v101
	ds_load_2addr_b64 v[38:41], v20 offset0:192 offset1:224
	v_fmac_f32_e32 v79, v83, v78
	v_fma_f32 v78, v84, v80, -v70
	s_waitcnt lgkmcnt(6)
	v_mul_f32_e32 v84, v89, v93
	v_dual_add_f32 v12, v12, v74 :: v_dual_add_f32 v13, v13, v103
	v_mul_f32_e32 v82, v86, v91
	ds_load_2addr_b64 v[42:45], v21 offset1:32
	v_fmac_f32_e32 v76, v85, v80
	v_dual_add_f32 v12, v12, v81 :: v_dual_add_f32 v13, v13, v75
	v_mul_f32_e32 v80, v87, v91
	ds_load_b128 v[46:49], v16 offset:192
	ds_load_b128 v[50:53], v16 offset:208
	s_waitcnt lgkmcnt(7)
	v_dual_mul_f32 v85, v23, v95 :: v_dual_add_f32 v12, v12, v78
	v_add_f32_e32 v13, v13, v77
	ds_load_2addr_b64 v[54:57], v21 offset0:64 offset1:96
	v_dual_mul_f32 v91, v22, v95 :: v_dual_fmac_f32 v82, v87, v90
	v_mul_f32_e32 v75, v25, v97
	v_add_f32_e32 v13, v13, v79
	v_fma_f32 v79, v86, v90, -v80
	v_fma_f32 v80, v88, v92, -v84
	ds_load_2addr_b64 v[58:61], v21 offset0:128 offset1:160
	s_waitcnt lgkmcnt(5)
	v_dual_mul_f32 v83, v88, v93 :: v_dual_mul_f32 v74, v39, v35
	v_add_f32_e32 v12, v12, v79
	v_mul_f32_e32 v95, v27, v31
	v_add_f32_e32 v13, v13, v76
	v_mul_f32_e32 v76, v41, v37
	v_fma_f32 v22, v22, v94, -v85
	v_add_f32_e32 v12, v12, v80
	v_mul_f32_e32 v93, v24, v97
	v_mul_f32_e32 v31, v26, v31
	s_waitcnt lgkmcnt(3)
	v_mul_f32_e32 v78, v43, v47
	v_fma_f32 v24, v24, v96, -v75
	v_add_f32_e32 v12, v12, v22
	ds_load_b128 v[62:65], v16 offset:224
	ds_load_b128 v[66:69], v16 offset:240
	v_mul_f32_e32 v77, v29, v33
	v_fma_f32 v26, v26, v30, -v95
	ds_load_2addr_b64 v[70:73], v21 offset0:192 offset1:224
	v_dual_add_f32 v12, v12, v24 :: v_dual_fmac_f32 v31, v27, v30
	v_fma_f32 v27, v28, v32, -v77
	v_mul_f32_e32 v33, v28, v33
	v_fma_f32 v28, v38, v34, -v74
	s_delay_alu instid0(VALU_DEP_4) | instskip(SKIP_3) | instid1(VALU_DEP_3)
	v_add_f32_e32 v12, v12, v26
	s_waitcnt lgkmcnt(4)
	v_dual_mul_f32 v26, v56, v53 :: v_dual_add_f32 v13, v13, v82
	v_dual_mul_f32 v35, v38, v35 :: v_dual_mul_f32 v24, v57, v53
	v_add_f32_e32 v12, v12, v27
	v_mul_f32_e32 v47, v42, v47
	v_fma_f32 v30, v42, v46, -v78
	v_dual_fmac_f32 v91, v23, v94 :: v_dual_fmac_f32 v26, v57, v52
	s_delay_alu instid0(VALU_DEP_4)
	v_add_f32_e32 v12, v12, v28
	s_waitcnt lgkmcnt(2)
	v_dual_mul_f32 v28, v58, v63 :: v_dual_fmac_f32 v33, v29, v32
	v_fma_f32 v29, v40, v36, -v76
	v_dual_fmac_f32 v83, v89, v92 :: v_dual_mul_f32 v22, v54, v51
	v_fma_f32 v24, v56, v52, -v24
	s_delay_alu instid0(VALU_DEP_4) | instskip(NEXT) | instid1(VALU_DEP_4)
	v_fmac_f32_e32 v28, v59, v62
	v_add_f32_e32 v12, v12, v29
	v_mul_f32_e32 v81, v45, v49
	v_add_f32_e32 v13, v13, v83
	v_dual_mul_f32 v37, v40, v37 :: v_dual_fmac_f32 v22, v55, v50
	s_delay_alu instid0(VALU_DEP_4) | instskip(SKIP_1) | instid1(VALU_DEP_3)
	v_dual_add_f32 v12, v12, v30 :: v_dual_fmac_f32 v93, v25, v96
	v_mul_f32_e32 v25, v55, v51
	v_fmac_f32_e32 v37, v41, v36
	v_mul_f32_e32 v23, v44, v49
	v_fmac_f32_e32 v47, v43, v46
	v_mul_f32_e32 v27, v59, v63
	v_fma_f32 v25, v54, v50, -v25
	v_add_f32_e32 v13, v13, v91
	v_fmac_f32_e32 v23, v45, v48
	v_mul_f32_e32 v29, v61, v65
	s_delay_alu instid0(VALU_DEP_3) | instskip(NEXT) | instid1(VALU_DEP_1)
	v_add_f32_e32 v13, v13, v93
	v_add_f32_e32 v13, v13, v31
	v_fma_f32 v31, v44, v48, -v81
	s_delay_alu instid0(VALU_DEP_1) | instskip(SKIP_1) | instid1(VALU_DEP_1)
	v_dual_add_f32 v13, v13, v33 :: v_dual_add_f32 v12, v12, v31
	s_waitcnt lgkmcnt(0)
	v_dual_add_f32 v12, v12, v25 :: v_dual_mul_f32 v25, v70, v67
	s_delay_alu instid0(VALU_DEP_1) | instskip(SKIP_1) | instid1(VALU_DEP_1)
	v_add_f32_e32 v12, v12, v24
	v_dual_mul_f32 v24, v72, v69 :: v_dual_fmac_f32 v35, v39, v34
	v_dual_fmac_f32 v25, v71, v66 :: v_dual_fmac_f32 v24, v73, v68
	s_delay_alu instid0(VALU_DEP_2) | instskip(NEXT) | instid1(VALU_DEP_1)
	v_add_f32_e32 v13, v13, v35
	v_add_f32_e32 v13, v13, v37
	s_delay_alu instid0(VALU_DEP_1) | instskip(NEXT) | instid1(VALU_DEP_1)
	v_add_f32_e32 v13, v13, v47
	v_add_f32_e32 v13, v13, v23
	v_mul_f32_e32 v23, v60, v65
	s_delay_alu instid0(VALU_DEP_2) | instskip(NEXT) | instid1(VALU_DEP_2)
	v_add_f32_e32 v13, v13, v22
	v_dual_fmac_f32 v23, v61, v64 :: v_dual_mul_f32 v22, v71, v67
	s_delay_alu instid0(VALU_DEP_2) | instskip(SKIP_2) | instid1(VALU_DEP_4)
	v_add_f32_e32 v13, v13, v26
	v_fma_f32 v26, v58, v62, -v27
	v_fma_f32 v27, v60, v64, -v29
	;; [unrolled: 1-line block ×3, first 2 shown]
	s_delay_alu instid0(VALU_DEP_3) | instskip(NEXT) | instid1(VALU_DEP_1)
	v_dual_add_f32 v13, v13, v28 :: v_dual_add_f32 v12, v12, v26
	v_add_f32_e32 v13, v13, v23
	s_delay_alu instid0(VALU_DEP_2) | instskip(NEXT) | instid1(VALU_DEP_2)
	v_dual_mul_f32 v23, v73, v69 :: v_dual_add_f32 v12, v12, v27
	v_add_f32_e32 v13, v13, v25
	s_delay_alu instid0(VALU_DEP_2) | instskip(NEXT) | instid1(VALU_DEP_2)
	v_fma_f32 v23, v72, v68, -v23
	v_dual_add_f32 v12, v12, v22 :: v_dual_add_f32 v13, v13, v24
	s_delay_alu instid0(VALU_DEP_1) | instskip(NEXT) | instid1(VALU_DEP_2)
	v_add_f32_e32 v12, v12, v23
	v_mul_f32_e32 v22, s9, v13
	v_mul_f32_e32 v13, s8, v13
	s_delay_alu instid0(VALU_DEP_2) | instskip(SKIP_1) | instid1(VALU_DEP_1)
	v_fma_f32 v22, s8, v12, -v22
	s_waitcnt vmcnt(0)
	v_dual_fmac_f32 v13, s9, v12 :: v_dual_add_f32 v10, v10, v22
	s_delay_alu instid0(VALU_DEP_1)
	v_add_f32_e32 v11, v11, v13
	global_store_b64 v[6:7], v[10:11], off
	s_branch .LBB1769_4
.LBB1769_11:
	v_cmp_eq_u32_e32 vcc_lo, v0, v4
	v_cmp_gt_i32_e64 s0, s3, v0
	s_delay_alu instid0(VALU_DEP_1) | instskip(NEXT) | instid1(SALU_CYCLE_1)
	s_and_b32 s0, vcc_lo, s0
	s_and_saveexec_b32 s1, s0
	s_cbranch_execz .LBB1769_13
; %bb.12:
	v_mul_lo_u32 v1, v0, s7
	v_mul_lo_u32 v2, v3, s6
	v_mad_u64_u32 v[4:5], null, v0, s6, 0
	s_delay_alu instid0(VALU_DEP_1) | instskip(SKIP_1) | instid1(VALU_DEP_2)
	v_add3_u32 v5, v5, v1, v2
	v_mov_b32_e32 v1, v3
	v_lshlrev_b64 v[2:3], 3, v[4:5]
	s_delay_alu instid0(VALU_DEP_2) | instskip(NEXT) | instid1(VALU_DEP_2)
	v_lshlrev_b64 v[0:1], 3, v[0:1]
	v_add_co_u32 v2, vcc_lo, s14, v2
	s_delay_alu instid0(VALU_DEP_3) | instskip(NEXT) | instid1(VALU_DEP_2)
	v_add_co_ci_u32_e32 v3, vcc_lo, s15, v3, vcc_lo
	v_add_co_u32 v0, vcc_lo, v2, v0
	v_mov_b32_e32 v2, 0
	s_delay_alu instid0(VALU_DEP_3)
	v_add_co_ci_u32_e32 v1, vcc_lo, v3, v1, vcc_lo
	global_store_b32 v[0:1], v2, off offset:4
.LBB1769_13:
	s_nop 0
	s_sendmsg sendmsg(MSG_DEALLOC_VGPRS)
	s_endpgm
	.section	.rodata,"a",@progbits
	.p2align	6, 0x0
	.amdhsa_kernel _ZL26rocblas_syr2k_her2k_kernelIlLb0ELb1ELb0ELi32EPK19rocblas_complex_numIfEPKS3_PKPS1_EvbiT_T4_T5_S9_lSB_S9_lT6_S9_li
		.amdhsa_group_segment_fixed_size 16384
		.amdhsa_private_segment_fixed_size 0
		.amdhsa_kernarg_size 100
		.amdhsa_user_sgpr_count 13
		.amdhsa_user_sgpr_dispatch_ptr 0
		.amdhsa_user_sgpr_queue_ptr 0
		.amdhsa_user_sgpr_kernarg_segment_ptr 1
		.amdhsa_user_sgpr_dispatch_id 0
		.amdhsa_user_sgpr_private_segment_size 0
		.amdhsa_wavefront_size32 1
		.amdhsa_uses_dynamic_stack 0
		.amdhsa_enable_private_segment 0
		.amdhsa_system_sgpr_workgroup_id_x 1
		.amdhsa_system_sgpr_workgroup_id_y 1
		.amdhsa_system_sgpr_workgroup_id_z 1
		.amdhsa_system_sgpr_workgroup_info 0
		.amdhsa_system_vgpr_workitem_id 1
		.amdhsa_next_free_vgpr 110
		.amdhsa_next_free_sgpr 32
		.amdhsa_reserve_vcc 1
		.amdhsa_float_round_mode_32 0
		.amdhsa_float_round_mode_16_64 0
		.amdhsa_float_denorm_mode_32 3
		.amdhsa_float_denorm_mode_16_64 3
		.amdhsa_dx10_clamp 1
		.amdhsa_ieee_mode 1
		.amdhsa_fp16_overflow 0
		.amdhsa_workgroup_processor_mode 1
		.amdhsa_memory_ordered 1
		.amdhsa_forward_progress 0
		.amdhsa_shared_vgpr_count 0
		.amdhsa_exception_fp_ieee_invalid_op 0
		.amdhsa_exception_fp_denorm_src 0
		.amdhsa_exception_fp_ieee_div_zero 0
		.amdhsa_exception_fp_ieee_overflow 0
		.amdhsa_exception_fp_ieee_underflow 0
		.amdhsa_exception_fp_ieee_inexact 0
		.amdhsa_exception_int_div_zero 0
	.end_amdhsa_kernel
	.section	.text._ZL26rocblas_syr2k_her2k_kernelIlLb0ELb1ELb0ELi32EPK19rocblas_complex_numIfEPKS3_PKPS1_EvbiT_T4_T5_S9_lSB_S9_lT6_S9_li,"axG",@progbits,_ZL26rocblas_syr2k_her2k_kernelIlLb0ELb1ELb0ELi32EPK19rocblas_complex_numIfEPKS3_PKPS1_EvbiT_T4_T5_S9_lSB_S9_lT6_S9_li,comdat
.Lfunc_end1769:
	.size	_ZL26rocblas_syr2k_her2k_kernelIlLb0ELb1ELb0ELi32EPK19rocblas_complex_numIfEPKS3_PKPS1_EvbiT_T4_T5_S9_lSB_S9_lT6_S9_li, .Lfunc_end1769-_ZL26rocblas_syr2k_her2k_kernelIlLb0ELb1ELb0ELi32EPK19rocblas_complex_numIfEPKS3_PKPS1_EvbiT_T4_T5_S9_lSB_S9_lT6_S9_li
                                        ; -- End function
	.section	.AMDGPU.csdata,"",@progbits
; Kernel info:
; codeLenInByte = 2444
; NumSgprs: 34
; NumVgprs: 110
; ScratchSize: 0
; MemoryBound: 0
; FloatMode: 240
; IeeeMode: 1
; LDSByteSize: 16384 bytes/workgroup (compile time only)
; SGPRBlocks: 4
; VGPRBlocks: 13
; NumSGPRsForWavesPerEU: 34
; NumVGPRsForWavesPerEU: 110
; Occupancy: 12
; WaveLimiterHint : 1
; COMPUTE_PGM_RSRC2:SCRATCH_EN: 0
; COMPUTE_PGM_RSRC2:USER_SGPR: 13
; COMPUTE_PGM_RSRC2:TRAP_HANDLER: 0
; COMPUTE_PGM_RSRC2:TGID_X_EN: 1
; COMPUTE_PGM_RSRC2:TGID_Y_EN: 1
; COMPUTE_PGM_RSRC2:TGID_Z_EN: 1
; COMPUTE_PGM_RSRC2:TIDIG_COMP_CNT: 1
	.section	.text._ZL26rocblas_syr2k_her2k_kernelIlLb0ELb1ELb1ELi32EPK19rocblas_complex_numIfEPKS3_PKPS1_EvbiT_T4_T5_S9_lSB_S9_lT6_S9_li,"axG",@progbits,_ZL26rocblas_syr2k_her2k_kernelIlLb0ELb1ELb1ELi32EPK19rocblas_complex_numIfEPKS3_PKPS1_EvbiT_T4_T5_S9_lSB_S9_lT6_S9_li,comdat
	.globl	_ZL26rocblas_syr2k_her2k_kernelIlLb0ELb1ELb1ELi32EPK19rocblas_complex_numIfEPKS3_PKPS1_EvbiT_T4_T5_S9_lSB_S9_lT6_S9_li ; -- Begin function _ZL26rocblas_syr2k_her2k_kernelIlLb0ELb1ELb1ELi32EPK19rocblas_complex_numIfEPKS3_PKPS1_EvbiT_T4_T5_S9_lSB_S9_lT6_S9_li
	.p2align	8
	.type	_ZL26rocblas_syr2k_her2k_kernelIlLb0ELb1ELb1ELi32EPK19rocblas_complex_numIfEPKS3_PKPS1_EvbiT_T4_T5_S9_lSB_S9_lT6_S9_li,@function
_ZL26rocblas_syr2k_her2k_kernelIlLb0ELb1ELb1ELi32EPK19rocblas_complex_numIfEPKS3_PKPS1_EvbiT_T4_T5_S9_lSB_S9_lT6_S9_li: ; @_ZL26rocblas_syr2k_her2k_kernelIlLb0ELb1ELb1ELi32EPK19rocblas_complex_numIfEPKS3_PKPS1_EvbiT_T4_T5_S9_lSB_S9_lT6_S9_li
; %bb.0:
	s_load_b512 s[16:31], s[0:1], 0x8
	s_waitcnt lgkmcnt(0)
	s_load_b64 s[8:9], s[18:19], 0x0
	s_waitcnt lgkmcnt(0)
	v_cmp_eq_f32_e64 s2, s8, 0
	v_cmp_eq_f32_e64 s3, s9, 0
	s_delay_alu instid0(VALU_DEP_1) | instskip(NEXT) | instid1(SALU_CYCLE_1)
	s_and_b32 s2, s2, s3
	s_and_b32 vcc_lo, exec_lo, s2
	s_cbranch_vccnz .LBB1770_13
; %bb.1:
	s_load_b64 s[10:11], s[0:1], 0x0
	s_lshl_b32 s3, s14, 5
	s_waitcnt lgkmcnt(0)
	s_and_b32 s2, 1, s10
	s_lshl_b32 s10, s13, 5
	s_cmp_eq_u32 s2, 1
	s_cselect_b32 s2, -1, 0
	s_delay_alu instid0(SALU_CYCLE_1) | instskip(SKIP_2) | instid1(SALU_CYCLE_1)
	s_and_b32 s4, s2, exec_lo
	s_cselect_b32 s4, s10, s3
	s_cselect_b32 s5, s3, s10
	s_cmp_gt_i32 s4, s5
	s_cbranch_scc1 .LBB1770_13
; %bb.2:
	s_load_b128 s[4:7], s[0:1], 0x48
	s_mov_b32 s12, s15
	s_mov_b32 s13, 0
	s_load_b64 s[0:1], s[0:1], 0x58
	s_lshl_b64 s[12:13], s[12:13], 3
	v_and_b32_e32 v14, 0x3ff, v0
	v_bfe_u32 v15, v0, 10, 10
	v_cmp_lt_i64_e64 s15, s[16:17], 1
	s_delay_alu instid0(VALU_DEP_3) | instskip(NEXT) | instid1(VALU_DEP_3)
	v_add_nc_u32_e32 v0, s10, v14
	v_add_nc_u32_e32 v2, s3, v15
	s_delay_alu instid0(VALU_DEP_2)
	v_ashrrev_i32_e32 v13, 31, v0
	s_waitcnt lgkmcnt(0)
	s_add_u32 s4, s4, s12
	s_addc_u32 s5, s5, s13
	s_lshl_b64 s[0:1], s[0:1], 3
	s_load_b64 s[4:5], s[4:5], 0x0
	s_waitcnt lgkmcnt(0)
	s_add_u32 s10, s4, s0
	s_addc_u32 s14, s5, s1
	s_and_b32 vcc_lo, exec_lo, s15
	s_cbranch_vccnz .LBB1770_11
; %bb.3:
	s_add_u32 s0, s20, s12
	v_dual_mov_b32 v1, 0 :: v_dual_lshlrev_b32 v22, 3, v15
	s_addc_u32 s1, s21, s13
	s_add_u32 s12, s26, s12
	s_addc_u32 s13, s27, s13
	s_ashr_i32 s19, s11, 31
	s_mov_b32 s18, s11
	s_load_b64 s[4:5], s[0:1], 0x0
	s_load_b64 s[12:13], s[12:13], 0x0
	v_dual_mov_b32 v3, v1 :: v_dual_lshlrev_b32 v16, 8, v14
	v_cmp_gt_i64_e64 s0, s[18:19], v[0:1]
	v_ashrrev_i32_e32 v1, 31, v2
	v_mad_u64_u32 v[4:5], null, s28, v2, 0
	v_mul_lo_u32 v10, v2, s7
	v_mad_u64_u32 v[6:7], null, v2, s6, 0
	s_delay_alu instid0(VALU_DEP_4)
	v_mul_lo_u32 v11, v1, s6
	v_mad_u64_u32 v[8:9], null, s22, v0, 0
	v_mov_b32_e32 v1, v5
	v_cndmask_b32_e64 v12, v0, v2, s2
	v_cndmask_b32_e64 v20, v2, v0, s2
	v_or_b32_e32 v18, 0x2000, v22
	v_cmp_gt_i64_e64 s1, s[18:19], v[2:3]
	v_add3_u32 v7, v7, v10, v11
	v_mov_b32_e32 v3, v9
	v_mad_u64_u32 v[10:11], null, s29, v2, v[1:2]
	v_max_i32_e32 v21, v0, v2
	v_mov_b32_e32 v1, v13
	v_cmp_le_i32_e64 s2, v20, v12
	v_lshlrev_b64 v[6:7], 3, v[6:7]
	v_mad_u64_u32 v[11:12], null, s23, v0, v[3:4]
	v_mov_b32_e32 v5, v10
	v_cmp_gt_i32_e32 vcc_lo, s11, v21
	v_lshlrev_b64 v[20:21], 3, v[0:1]
	v_add_co_u32 v1, s3, s10, v6
	s_delay_alu instid0(VALU_DEP_1) | instskip(SKIP_2) | instid1(VALU_DEP_4)
	v_add_co_ci_u32_e64 v7, s3, s14, v7, s3
	v_mov_b32_e32 v9, v11
	v_lshlrev_b64 v[5:6], 3, v[4:5]
	v_add_co_u32 v3, s3, v1, v20
	v_add_nc_u32_e32 v20, 0x1000, v18
	v_add_co_ci_u32_e64 v4, s3, v7, v21, s3
	s_lshl_b64 s[18:19], s[30:31], 3
	v_lshlrev_b64 v[7:8], 3, v[8:9]
	v_add_co_u32 v1, s3, v5, s18
	s_delay_alu instid0(VALU_DEP_1) | instskip(SKIP_4) | instid1(VALU_DEP_1)
	v_add_co_ci_u32_e64 v5, s3, s19, v6, s3
	v_lshlrev_b32_e32 v6, 3, v14
	s_lshl_b64 s[18:19], s[24:25], 3
	v_add_nc_u32_e32 v17, v16, v22
	v_add_co_u32 v7, s3, v7, s18
	v_add_co_ci_u32_e64 v8, s3, s19, v8, s3
	v_add_co_u32 v1, s3, v1, v6
	s_delay_alu instid0(VALU_DEP_1) | instskip(NEXT) | instid1(VALU_DEP_4)
	v_add_co_ci_u32_e64 v5, s3, 0, v5, s3
	v_add_co_u32 v6, s3, v7, v22
	s_delay_alu instid0(VALU_DEP_1) | instskip(SKIP_2) | instid1(VALU_DEP_1)
	v_add_co_ci_u32_e64 v7, s3, 0, v8, s3
	s_waitcnt lgkmcnt(0)
	v_add_co_u32 v1, s3, v1, s12
	v_add_co_ci_u32_e64 v8, s3, s13, v5, s3
	v_add_co_u32 v9, s3, v6, s4
	s_delay_alu instid0(VALU_DEP_1) | instskip(NEXT) | instid1(VALU_DEP_4)
	v_add_co_ci_u32_e64 v10, s3, s5, v7, s3
	v_add_co_u32 v5, s3, v1, 4
	s_delay_alu instid0(VALU_DEP_1) | instskip(NEXT) | instid1(VALU_DEP_4)
	v_add_co_ci_u32_e64 v6, s3, 0, v8, s3
	v_add_co_u32 v7, s3, v9, 4
	v_add_nc_u32_e32 v19, v18, v16
	v_add_co_ci_u32_e64 v8, s3, 0, v10, s3
	v_add_nc_u32_e32 v1, 0x800, v18
	v_add_nc_u32_e32 v21, 0x1800, v18
	s_and_b32 s4, s2, vcc_lo
	s_mov_b64 s[2:3], 0
	s_branch .LBB1770_5
.LBB1770_4:                             ;   in Loop: Header=BB1770_5 Depth=1
	s_or_b32 exec_lo, exec_lo, s5
	s_add_u32 s2, s2, 32
	s_addc_u32 s3, s3, 0
	v_add_co_u32 v5, vcc_lo, 0x100, v5
	v_cmp_ge_i64_e64 s5, s[2:3], s[16:17]
	v_add_co_ci_u32_e32 v6, vcc_lo, 0, v6, vcc_lo
	v_add_co_u32 v7, vcc_lo, 0x100, v7
	v_add_co_ci_u32_e32 v8, vcc_lo, 0, v8, vcc_lo
	s_delay_alu instid0(VALU_DEP_4)
	s_and_b32 vcc_lo, exec_lo, s5
	s_waitcnt_vscnt null, 0x0
	s_barrier
	buffer_gl0_inv
	s_cbranch_vccnz .LBB1770_11
.LBB1770_5:                             ; =>This Inner Loop Header: Depth=1
	v_add_co_u32 v9, s5, v15, s2
	s_delay_alu instid0(VALU_DEP_1) | instskip(NEXT) | instid1(VALU_DEP_1)
	v_add_co_ci_u32_e64 v10, null, 0, s3, s5
	v_cmp_gt_i64_e32 vcc_lo, s[16:17], v[9:10]
	v_dual_mov_b32 v9, 0 :: v_dual_mov_b32 v10, 0
	s_and_b32 s12, s0, vcc_lo
	s_delay_alu instid0(SALU_CYCLE_1)
	s_and_saveexec_b32 s5, s12
	s_cbranch_execz .LBB1770_7
; %bb.6:                                ;   in Loop: Header=BB1770_5 Depth=1
	global_load_b64 v[9:10], v[7:8], off offset:-4
	s_waitcnt vmcnt(0)
	v_xor_b32_e32 v10, 0x80000000, v10
.LBB1770_7:                             ;   in Loop: Header=BB1770_5 Depth=1
	s_or_b32 exec_lo, exec_lo, s5
	v_add_co_u32 v11, s5, v14, s2
	s_delay_alu instid0(VALU_DEP_1) | instskip(SKIP_4) | instid1(SALU_CYCLE_1)
	v_add_co_ci_u32_e64 v12, null, 0, s3, s5
	ds_store_b64 v17, v[9:10]
	v_cmp_gt_i64_e32 vcc_lo, s[16:17], v[11:12]
	v_dual_mov_b32 v11, 0 :: v_dual_mov_b32 v12, 0
	s_and_b32 s12, s1, vcc_lo
	s_and_saveexec_b32 s5, s12
	s_cbranch_execz .LBB1770_9
; %bb.8:                                ;   in Loop: Header=BB1770_5 Depth=1
	global_load_b64 v[11:12], v[5:6], off offset:-4
.LBB1770_9:                             ;   in Loop: Header=BB1770_5 Depth=1
	s_or_b32 exec_lo, exec_lo, s5
	s_waitcnt vmcnt(0)
	ds_store_b64 v19, v[11:12]
	s_waitcnt lgkmcnt(0)
	s_barrier
	buffer_gl0_inv
	s_and_saveexec_b32 s5, s4
	s_cbranch_execz .LBB1770_4
; %bb.10:                               ;   in Loop: Header=BB1770_5 Depth=1
	global_load_b64 v[9:10], v[3:4], off
	ds_load_2addr_b64 v[22:25], v18 offset1:32
	ds_load_b128 v[26:29], v16
	ds_load_b128 v[30:33], v16 offset:16
	ds_load_b128 v[34:37], v16 offset:32
	;; [unrolled: 1-line block ×3, first 2 shown]
	ds_load_2addr_b64 v[42:45], v18 offset0:64 offset1:96
	ds_load_2addr_b64 v[46:49], v18 offset0:128 offset1:160
	ds_load_2addr_b64 v[50:53], v18 offset0:192 offset1:224
	ds_load_2addr_b64 v[54:57], v1 offset1:32
	ds_load_b128 v[58:61], v16 offset:64
	ds_load_b128 v[62:65], v16 offset:80
	ds_load_2addr_b64 v[66:69], v1 offset0:64 offset1:96
	ds_load_2addr_b64 v[70:73], v1 offset0:128 offset1:160
	ds_load_b128 v[74:77], v16 offset:96
	ds_load_b128 v[78:81], v16 offset:112
	ds_load_2addr_b64 v[82:85], v1 offset0:192 offset1:224
	ds_load_2addr_b64 v[86:89], v20 offset1:32
	ds_load_b128 v[90:93], v16 offset:128
	ds_load_b128 v[94:97], v16 offset:144
	s_waitcnt lgkmcnt(17)
	v_mul_f32_e32 v12, v22, v27
	v_dual_mul_f32 v11, v23, v27 :: v_dual_mul_f32 v98, v24, v29
	v_mul_f32_e32 v27, v25, v29
	s_waitcnt lgkmcnt(13)
	s_delay_alu instid0(VALU_DEP_3) | instskip(NEXT) | instid1(VALU_DEP_3)
	v_dual_mul_f32 v101, v44, v33 :: v_dual_fmac_f32 v12, v23, v26
	v_fma_f32 v11, v22, v26, -v11
	v_fmac_f32_e32 v98, v25, v28
	v_fma_f32 v99, v24, v28, -v27
	v_mul_f32_e32 v26, v43, v31
	v_dual_mul_f32 v100, v42, v31 :: v_dual_fmac_f32 v101, v45, v32
	v_mul_f32_e32 v27, v45, v33
	s_waitcnt lgkmcnt(12)
	v_dual_mul_f32 v31, v47, v35 :: v_dual_add_f32 v12, 0, v12
	v_dual_mul_f32 v102, v46, v35 :: v_dual_mul_f32 v105, v48, v37
	s_waitcnt lgkmcnt(11)
	v_dual_fmac_f32 v100, v43, v30 :: v_dual_mul_f32 v107, v50, v39
	s_delay_alu instid0(VALU_DEP_3) | instskip(NEXT) | instid1(VALU_DEP_3)
	v_dual_add_f32 v12, v12, v98 :: v_dual_add_f32 v11, 0, v11
	v_fmac_f32_e32 v102, v47, v34
	s_delay_alu instid0(VALU_DEP_3) | instskip(SKIP_3) | instid1(VALU_DEP_4)
	v_dual_mul_f32 v98, v52, v41 :: v_dual_fmac_f32 v107, v51, v38
	v_mul_f32_e32 v33, v49, v37
	v_fma_f32 v103, v42, v30, -v26
	v_fmac_f32_e32 v105, v49, v36
	v_dual_fmac_f32 v98, v53, v40 :: v_dual_add_f32 v11, v11, v99
	s_waitcnt lgkmcnt(9)
	v_dual_add_f32 v12, v12, v100 :: v_dual_mul_f32 v47, v55, v59
	v_fma_f32 v104, v44, v32, -v27
	v_fma_f32 v46, v46, v34, -v31
	s_delay_alu instid0(VALU_DEP_3) | instskip(SKIP_3) | instid1(VALU_DEP_3)
	v_dual_add_f32 v11, v11, v103 :: v_dual_add_f32 v12, v12, v101
	v_dual_mul_f32 v99, v54, v59 :: v_dual_mul_f32 v100, v56, v61
	s_waitcnt lgkmcnt(7)
	v_mul_f32_e32 v59, v67, v63
	v_dual_add_f32 v11, v11, v104 :: v_dual_add_f32 v12, v12, v102
	s_delay_alu instid0(VALU_DEP_3) | instskip(SKIP_1) | instid1(VALU_DEP_3)
	v_dual_mul_f32 v101, v66, v63 :: v_dual_fmac_f32 v100, v57, v60
	v_fma_f32 v106, v48, v36, -v33
	v_dual_add_f32 v11, v11, v46 :: v_dual_add_f32 v12, v12, v105
	v_dual_mul_f32 v42, v51, v39 :: v_dual_mul_f32 v39, v53, v41
	v_mul_f32_e32 v103, v68, v65
	s_delay_alu instid0(VALU_DEP_3) | instskip(NEXT) | instid1(VALU_DEP_3)
	v_dual_fmac_f32 v101, v67, v62 :: v_dual_add_f32 v12, v12, v107
	v_fma_f32 v108, v50, v38, -v42
	v_mul_f32_e32 v48, v57, v61
	v_fma_f32 v63, v54, v58, -v47
	v_dual_fmac_f32 v99, v55, v58 :: v_dual_mul_f32 v54, v69, v65
	v_fma_f32 v104, v66, v62, -v59
	v_add_f32_e32 v11, v11, v106
	s_waitcnt lgkmcnt(5)
	v_dual_mul_f32 v62, v71, v75 :: v_dual_fmac_f32 v103, v69, v64
	v_add_f32_e32 v12, v12, v98
	v_fma_f32 v109, v52, v40, -v39
	v_fma_f32 v105, v68, v64, -v54
	v_dual_mul_f32 v64, v73, v77 :: v_dual_add_f32 v11, v11, v108
	s_delay_alu instid0(VALU_DEP_4)
	v_add_f32_e32 v12, v12, v99
	ds_load_2addr_b64 v[22:25], v20 offset0:64 offset1:96
	s_waitcnt lgkmcnt(4)
	v_dual_mul_f32 v77, v72, v77 :: v_dual_mul_f32 v98, v83, v79
	v_dual_add_f32 v11, v11, v109 :: v_dual_add_f32 v12, v12, v100
	v_fma_f32 v102, v56, v60, -v48
	v_mul_f32_e32 v75, v70, v75
	v_mul_f32_e32 v79, v82, v79
	v_fma_f32 v99, v70, v74, -v62
	v_dual_fmac_f32 v77, v73, v76 :: v_dual_add_f32 v12, v12, v101
	v_dual_mul_f32 v70, v85, v81 :: v_dual_add_f32 v11, v11, v63
	v_fmac_f32_e32 v75, v71, v74
	v_fma_f32 v74, v72, v76, -v64
	v_mul_f32_e32 v76, v84, v81
	v_fma_f32 v81, v82, v78, -v98
	s_waitcnt lgkmcnt(2)
	v_dual_fmac_f32 v79, v83, v78 :: v_dual_mul_f32 v82, v86, v91
	v_fma_f32 v78, v84, v80, -v70
	v_add_f32_e32 v12, v12, v103
	v_dual_mul_f32 v84, v89, v93 :: v_dual_add_f32 v11, v11, v102
	ds_load_2addr_b64 v[26:29], v20 offset0:128 offset1:160
	v_fmac_f32_e32 v76, v85, v80
	v_add_f32_e32 v12, v12, v75
	ds_load_b128 v[30:33], v16 offset:160
	ds_load_b128 v[34:37], v16 offset:176
	v_add_f32_e32 v11, v11, v104
	s_waitcnt lgkmcnt(3)
	v_mul_f32_e32 v85, v23, v95
	v_dual_mul_f32 v80, v87, v91 :: v_dual_mul_f32 v83, v88, v93
	v_add_f32_e32 v12, v12, v77
	v_add_f32_e32 v11, v11, v105
	v_dual_mul_f32 v91, v22, v95 :: v_dual_fmac_f32 v82, v87, v90
	ds_load_2addr_b64 v[38:41], v20 offset0:192 offset1:224
	v_add_f32_e32 v12, v12, v79
	v_add_f32_e32 v11, v11, v99
	ds_load_2addr_b64 v[42:45], v21 offset1:32
	ds_load_b128 v[46:49], v16 offset:192
	ds_load_b128 v[50:53], v16 offset:208
	ds_load_2addr_b64 v[54:57], v21 offset0:64 offset1:96
	v_add_f32_e32 v12, v12, v76
	v_fmac_f32_e32 v83, v89, v92
	v_fmac_f32_e32 v91, v23, v94
	v_fma_f32 v79, v86, v90, -v80
	s_waitcnt lgkmcnt(6)
	v_mul_f32_e32 v95, v27, v31
	v_dual_mul_f32 v31, v26, v31 :: v_dual_add_f32 v12, v12, v82
	v_mul_f32_e32 v77, v29, v33
	v_fma_f32 v80, v88, v92, -v84
	v_mul_f32_e32 v75, v25, v97
	s_delay_alu instid0(VALU_DEP_4)
	v_dual_fmac_f32 v31, v27, v30 :: v_dual_add_f32 v12, v12, v83
	v_add_f32_e32 v11, v11, v74
	v_mul_f32_e32 v93, v24, v97
	v_fma_f32 v22, v22, v94, -v85
	ds_load_2addr_b64 v[58:61], v21 offset0:128 offset1:160
	v_dual_add_f32 v12, v12, v91 :: v_dual_add_f32 v11, v11, v81
	ds_load_b128 v[62:65], v16 offset:224
	ds_load_b128 v[66:69], v16 offset:240
	ds_load_2addr_b64 v[70:73], v21 offset0:192 offset1:224
	s_waitcnt lgkmcnt(8)
	v_mul_f32_e32 v74, v39, v35
	v_fma_f32 v24, v24, v96, -v75
	v_add_f32_e32 v11, v11, v78
	s_waitcnt lgkmcnt(6)
	v_dual_mul_f32 v78, v43, v47 :: v_dual_fmac_f32 v93, v25, v96
	v_mul_f32_e32 v33, v28, v33
	v_mul_f32_e32 v35, v38, v35
	v_dual_add_f32 v11, v11, v79 :: v_dual_mul_f32 v76, v41, v37
	s_delay_alu instid0(VALU_DEP_4) | instskip(SKIP_2) | instid1(VALU_DEP_4)
	v_add_f32_e32 v12, v12, v93
	v_fma_f32 v26, v26, v30, -v95
	v_fma_f32 v27, v28, v32, -v77
	v_add_f32_e32 v11, v11, v80
	v_mul_f32_e32 v37, v40, v37
	v_dual_add_f32 v12, v12, v31 :: v_dual_fmac_f32 v35, v39, v34
	v_fma_f32 v28, v38, v34, -v74
	s_waitcnt lgkmcnt(4)
	v_dual_add_f32 v11, v11, v22 :: v_dual_mul_f32 v22, v54, v51
	v_fmac_f32_e32 v33, v29, v32
	v_mul_f32_e32 v47, v42, v47
	v_mul_f32_e32 v23, v44, v49
	s_delay_alu instid0(VALU_DEP_4)
	v_add_f32_e32 v11, v11, v24
	v_fma_f32 v29, v40, v36, -v76
	v_add_f32_e32 v12, v12, v33
	v_mul_f32_e32 v81, v45, v49
	v_fmac_f32_e32 v47, v43, v46
	v_add_f32_e32 v11, v11, v26
	v_fmac_f32_e32 v22, v55, v50
	v_dual_add_f32 v12, v12, v35 :: v_dual_fmac_f32 v23, v45, v48
	s_delay_alu instid0(VALU_DEP_3) | instskip(SKIP_3) | instid1(VALU_DEP_4)
	v_dual_mul_f32 v26, v56, v53 :: v_dual_add_f32 v11, v11, v27
	v_fma_f32 v30, v42, v46, -v78
	v_fma_f32 v31, v44, v48, -v81
	v_mul_f32_e32 v24, v57, v53
	v_fmac_f32_e32 v26, v57, v52
	s_waitcnt lgkmcnt(2)
	v_dual_add_f32 v11, v11, v28 :: v_dual_mul_f32 v28, v58, v63
	v_fmac_f32_e32 v37, v41, v36
	v_fma_f32 v24, v56, v52, -v24
	s_delay_alu instid0(VALU_DEP_3) | instskip(NEXT) | instid1(VALU_DEP_4)
	v_add_f32_e32 v11, v11, v29
	v_fmac_f32_e32 v28, v59, v62
	s_delay_alu instid0(VALU_DEP_4) | instskip(SKIP_1) | instid1(VALU_DEP_2)
	v_add_f32_e32 v12, v12, v37
	v_mul_f32_e32 v29, v61, v65
	v_dual_add_f32 v11, v11, v30 :: v_dual_add_f32 v12, v12, v47
	s_delay_alu instid0(VALU_DEP_1) | instskip(NEXT) | instid1(VALU_DEP_2)
	v_add_f32_e32 v11, v11, v31
	v_add_f32_e32 v12, v12, v23
	v_mul_f32_e32 v25, v55, v51
	v_mul_f32_e32 v23, v60, v65
	s_delay_alu instid0(VALU_DEP_3) | instskip(NEXT) | instid1(VALU_DEP_3)
	v_add_f32_e32 v12, v12, v22
	v_fma_f32 v25, v54, v50, -v25
	s_waitcnt lgkmcnt(0)
	s_delay_alu instid0(VALU_DEP_3) | instskip(NEXT) | instid1(VALU_DEP_2)
	v_dual_fmac_f32 v23, v61, v64 :: v_dual_mul_f32 v22, v71, v67
	v_dual_add_f32 v12, v12, v26 :: v_dual_add_f32 v11, v11, v25
	v_mul_f32_e32 v25, v70, v67
	s_delay_alu instid0(VALU_DEP_3) | instskip(NEXT) | instid1(VALU_DEP_3)
	v_fma_f32 v22, v70, v66, -v22
	v_add_f32_e32 v12, v12, v28
	s_delay_alu instid0(VALU_DEP_4) | instskip(NEXT) | instid1(VALU_DEP_2)
	v_dual_add_f32 v11, v11, v24 :: v_dual_mul_f32 v24, v72, v69
	v_dual_fmac_f32 v25, v71, v66 :: v_dual_add_f32 v12, v12, v23
	v_mul_f32_e32 v23, v73, v69
	s_delay_alu instid0(VALU_DEP_3) | instskip(NEXT) | instid1(VALU_DEP_3)
	v_fmac_f32_e32 v24, v73, v68
	v_dual_add_f32 v12, v12, v25 :: v_dual_mul_f32 v27, v59, v63
	s_delay_alu instid0(VALU_DEP_3) | instskip(NEXT) | instid1(VALU_DEP_2)
	v_fma_f32 v23, v72, v68, -v23
	v_add_f32_e32 v12, v12, v24
	s_delay_alu instid0(VALU_DEP_3) | instskip(SKIP_1) | instid1(VALU_DEP_2)
	v_fma_f32 v26, v58, v62, -v27
	v_fma_f32 v27, v60, v64, -v29
	v_add_f32_e32 v11, v11, v26
	s_delay_alu instid0(VALU_DEP_1) | instskip(NEXT) | instid1(VALU_DEP_1)
	v_add_f32_e32 v11, v11, v27
	v_dual_add_f32 v11, v11, v22 :: v_dual_mul_f32 v22, s9, v12
	s_delay_alu instid0(VALU_DEP_1) | instskip(NEXT) | instid1(VALU_DEP_1)
	v_dual_mul_f32 v12, s8, v12 :: v_dual_add_f32 v11, v11, v23
	v_fma_f32 v22, s8, v11, -v22
	s_waitcnt vmcnt(0)
	s_delay_alu instid0(VALU_DEP_1) | instskip(NEXT) | instid1(VALU_DEP_1)
	v_dual_fmac_f32 v12, s9, v11 :: v_dual_add_f32 v9, v9, v22
	v_add_f32_e32 v10, v10, v12
	global_store_b64 v[3:4], v[9:10], off
	s_branch .LBB1770_4
.LBB1770_11:
	v_cmp_eq_u32_e32 vcc_lo, v0, v2
	v_cmp_gt_i32_e64 s0, s11, v0
	s_delay_alu instid0(VALU_DEP_1) | instskip(NEXT) | instid1(SALU_CYCLE_1)
	s_and_b32 s0, vcc_lo, s0
	s_and_saveexec_b32 s1, s0
	s_cbranch_execz .LBB1770_13
; %bb.12:
	v_mul_lo_u32 v1, v0, s7
	v_mul_lo_u32 v4, v13, s6
	v_mad_u64_u32 v[2:3], null, v0, s6, 0
	s_delay_alu instid0(VALU_DEP_1) | instskip(SKIP_1) | instid1(VALU_DEP_2)
	v_add3_u32 v3, v3, v1, v4
	v_mov_b32_e32 v1, v13
	v_lshlrev_b64 v[2:3], 3, v[2:3]
	s_delay_alu instid0(VALU_DEP_2) | instskip(NEXT) | instid1(VALU_DEP_2)
	v_lshlrev_b64 v[0:1], 3, v[0:1]
	v_add_co_u32 v2, vcc_lo, s10, v2
	s_delay_alu instid0(VALU_DEP_3) | instskip(NEXT) | instid1(VALU_DEP_2)
	v_add_co_ci_u32_e32 v3, vcc_lo, s14, v3, vcc_lo
	v_add_co_u32 v0, vcc_lo, v2, v0
	v_mov_b32_e32 v2, 0
	s_delay_alu instid0(VALU_DEP_3)
	v_add_co_ci_u32_e32 v1, vcc_lo, v3, v1, vcc_lo
	global_store_b32 v[0:1], v2, off offset:4
.LBB1770_13:
	s_nop 0
	s_sendmsg sendmsg(MSG_DEALLOC_VGPRS)
	s_endpgm
	.section	.rodata,"a",@progbits
	.p2align	6, 0x0
	.amdhsa_kernel _ZL26rocblas_syr2k_her2k_kernelIlLb0ELb1ELb1ELi32EPK19rocblas_complex_numIfEPKS3_PKPS1_EvbiT_T4_T5_S9_lSB_S9_lT6_S9_li
		.amdhsa_group_segment_fixed_size 16384
		.amdhsa_private_segment_fixed_size 0
		.amdhsa_kernarg_size 100
		.amdhsa_user_sgpr_count 13
		.amdhsa_user_sgpr_dispatch_ptr 0
		.amdhsa_user_sgpr_queue_ptr 0
		.amdhsa_user_sgpr_kernarg_segment_ptr 1
		.amdhsa_user_sgpr_dispatch_id 0
		.amdhsa_user_sgpr_private_segment_size 0
		.amdhsa_wavefront_size32 1
		.amdhsa_uses_dynamic_stack 0
		.amdhsa_enable_private_segment 0
		.amdhsa_system_sgpr_workgroup_id_x 1
		.amdhsa_system_sgpr_workgroup_id_y 1
		.amdhsa_system_sgpr_workgroup_id_z 1
		.amdhsa_system_sgpr_workgroup_info 0
		.amdhsa_system_vgpr_workitem_id 1
		.amdhsa_next_free_vgpr 110
		.amdhsa_next_free_sgpr 32
		.amdhsa_reserve_vcc 1
		.amdhsa_float_round_mode_32 0
		.amdhsa_float_round_mode_16_64 0
		.amdhsa_float_denorm_mode_32 3
		.amdhsa_float_denorm_mode_16_64 3
		.amdhsa_dx10_clamp 1
		.amdhsa_ieee_mode 1
		.amdhsa_fp16_overflow 0
		.amdhsa_workgroup_processor_mode 1
		.amdhsa_memory_ordered 1
		.amdhsa_forward_progress 0
		.amdhsa_shared_vgpr_count 0
		.amdhsa_exception_fp_ieee_invalid_op 0
		.amdhsa_exception_fp_denorm_src 0
		.amdhsa_exception_fp_ieee_div_zero 0
		.amdhsa_exception_fp_ieee_overflow 0
		.amdhsa_exception_fp_ieee_underflow 0
		.amdhsa_exception_fp_ieee_inexact 0
		.amdhsa_exception_int_div_zero 0
	.end_amdhsa_kernel
	.section	.text._ZL26rocblas_syr2k_her2k_kernelIlLb0ELb1ELb1ELi32EPK19rocblas_complex_numIfEPKS3_PKPS1_EvbiT_T4_T5_S9_lSB_S9_lT6_S9_li,"axG",@progbits,_ZL26rocblas_syr2k_her2k_kernelIlLb0ELb1ELb1ELi32EPK19rocblas_complex_numIfEPKS3_PKPS1_EvbiT_T4_T5_S9_lSB_S9_lT6_S9_li,comdat
.Lfunc_end1770:
	.size	_ZL26rocblas_syr2k_her2k_kernelIlLb0ELb1ELb1ELi32EPK19rocblas_complex_numIfEPKS3_PKPS1_EvbiT_T4_T5_S9_lSB_S9_lT6_S9_li, .Lfunc_end1770-_ZL26rocblas_syr2k_her2k_kernelIlLb0ELb1ELb1ELi32EPK19rocblas_complex_numIfEPKS3_PKPS1_EvbiT_T4_T5_S9_lSB_S9_lT6_S9_li
                                        ; -- End function
	.section	.AMDGPU.csdata,"",@progbits
; Kernel info:
; codeLenInByte = 2468
; NumSgprs: 34
; NumVgprs: 110
; ScratchSize: 0
; MemoryBound: 0
; FloatMode: 240
; IeeeMode: 1
; LDSByteSize: 16384 bytes/workgroup (compile time only)
; SGPRBlocks: 4
; VGPRBlocks: 13
; NumSGPRsForWavesPerEU: 34
; NumVGPRsForWavesPerEU: 110
; Occupancy: 12
; WaveLimiterHint : 1
; COMPUTE_PGM_RSRC2:SCRATCH_EN: 0
; COMPUTE_PGM_RSRC2:USER_SGPR: 13
; COMPUTE_PGM_RSRC2:TRAP_HANDLER: 0
; COMPUTE_PGM_RSRC2:TGID_X_EN: 1
; COMPUTE_PGM_RSRC2:TGID_Y_EN: 1
; COMPUTE_PGM_RSRC2:TGID_Z_EN: 1
; COMPUTE_PGM_RSRC2:TIDIG_COMP_CNT: 1
	.section	.text._ZL26rocblas_syr2k_her2k_kernelIlLb0ELb1ELb0ELi32E19rocblas_complex_numIdEPKPKS1_PKPS1_EvbiT_T4_T5_S9_lSB_S9_lT6_S9_li,"axG",@progbits,_ZL26rocblas_syr2k_her2k_kernelIlLb0ELb1ELb0ELi32E19rocblas_complex_numIdEPKPKS1_PKPS1_EvbiT_T4_T5_S9_lSB_S9_lT6_S9_li,comdat
	.globl	_ZL26rocblas_syr2k_her2k_kernelIlLb0ELb1ELb0ELi32E19rocblas_complex_numIdEPKPKS1_PKPS1_EvbiT_T4_T5_S9_lSB_S9_lT6_S9_li ; -- Begin function _ZL26rocblas_syr2k_her2k_kernelIlLb0ELb1ELb0ELi32E19rocblas_complex_numIdEPKPKS1_PKPS1_EvbiT_T4_T5_S9_lSB_S9_lT6_S9_li
	.p2align	8
	.type	_ZL26rocblas_syr2k_her2k_kernelIlLb0ELb1ELb0ELi32E19rocblas_complex_numIdEPKPKS1_PKPS1_EvbiT_T4_T5_S9_lSB_S9_lT6_S9_li,@function
_ZL26rocblas_syr2k_her2k_kernelIlLb0ELb1ELb0ELi32E19rocblas_complex_numIdEPKPKS1_PKPS1_EvbiT_T4_T5_S9_lSB_S9_lT6_S9_li: ; @_ZL26rocblas_syr2k_her2k_kernelIlLb0ELb1ELb0ELi32E19rocblas_complex_numIdEPKPKS1_PKPS1_EvbiT_T4_T5_S9_lSB_S9_lT6_S9_li
; %bb.0:
	s_load_b512 s[16:31], s[0:1], 0x8
	s_waitcnt lgkmcnt(0)
	v_cmp_eq_f64_e64 s2, s[18:19], 0
	v_cmp_eq_f64_e64 s3, s[20:21], 0
	s_delay_alu instid0(VALU_DEP_1) | instskip(NEXT) | instid1(SALU_CYCLE_1)
	s_and_b32 s2, s2, s3
	s_and_b32 vcc_lo, exec_lo, s2
	s_cbranch_vccnz .LBB1771_13
; %bb.1:
	s_load_b64 s[2:3], s[0:1], 0x0
	s_mov_b32 s12, s15
	s_lshl_b32 s14, s14, 5
	s_lshl_b32 s15, s13, 5
	s_waitcnt lgkmcnt(0)
	s_and_b32 s2, 1, s2
	s_delay_alu instid0(SALU_CYCLE_1) | instskip(SKIP_1) | instid1(SALU_CYCLE_1)
	s_cmp_eq_u32 s2, 1
	s_cselect_b32 s2, -1, 0
	s_and_b32 s4, s2, exec_lo
	s_cselect_b32 s4, s15, s14
	s_cselect_b32 s5, s14, s15
	s_delay_alu instid0(SALU_CYCLE_1)
	s_cmp_gt_i32 s4, s5
	s_cbranch_scc1 .LBB1771_13
; %bb.2:
	s_load_b256 s[4:11], s[0:1], 0x48
	s_mov_b32 s13, 0
	v_and_b32_e32 v18, 0x3ff, v0
	s_lshl_b64 s[0:1], s[12:13], 3
	v_bfe_u32 v19, v0, 10, 10
	v_cmp_lt_i64_e64 s33, s[16:17], 1
	s_delay_alu instid0(VALU_DEP_3) | instskip(NEXT) | instid1(VALU_DEP_3)
	v_add_nc_u32_e32 v8, s15, v18
	v_add_nc_u32_e32 v12, s14, v19
	s_delay_alu instid0(VALU_DEP_2)
	v_ashrrev_i32_e32 v11, 31, v8
	s_waitcnt lgkmcnt(0)
	s_add_u32 s6, s6, s0
	s_addc_u32 s7, s7, s1
	s_lshl_b64 s[10:11], s[10:11], 4
	s_load_b64 s[6:7], s[6:7], 0x0
	s_waitcnt lgkmcnt(0)
	s_add_u32 s12, s6, s10
	s_addc_u32 s13, s7, s11
	s_and_b32 vcc_lo, exec_lo, s33
	s_cbranch_vccnz .LBB1771_11
; %bb.3:
	v_ashrrev_i32_e32 v2, 31, v12
	v_dual_mov_b32 v9, 0 :: v_dual_lshlrev_b32 v0, 4, v19
	v_lshlrev_b32_e32 v20, 9, v18
	v_mul_lo_u32 v10, v12, s9
	s_delay_alu instid0(VALU_DEP_4) | instskip(NEXT) | instid1(VALU_DEP_4)
	v_mul_lo_u32 v14, v2, s8
	v_mov_b32_e32 v13, v9
	v_mad_u64_u32 v[2:3], null, v12, s8, 0
	v_add_nc_u32_e32 v21, v20, v0
	v_or_b32_e32 v22, 0x4000, v0
	v_mad_u64_u32 v[0:1], null, s30, v18, 0
	v_mad_u64_u32 v[4:5], null, s24, v19, 0
	v_cndmask_b32_e64 v6, v8, v12, s2
	v_cndmask_b32_e64 v7, v12, v8, s2
	v_add3_u32 v3, v3, v10, v14
	v_max_i32_e32 v15, v8, v12
	v_dual_mov_b32 v10, v8 :: v_dual_add_nc_u32 v23, v22, v20
	s_delay_alu instid0(VALU_DEP_4)
	v_cmp_le_i32_e64 s2, v7, v6
	v_mad_u64_u32 v[6:7], null, s31, v18, v[1:2]
	v_lshlrev_b64 v[2:3], 4, v[2:3]
	v_mov_b32_e32 v1, v5
	v_cmp_gt_i32_e32 vcc_lo, s3, v15
	s_add_u32 s6, s22, s0
	s_addc_u32 s7, s23, s1
	s_add_u32 s0, s28, s0
	v_mad_u64_u32 v[14:15], null, s25, v19, v[1:2]
	v_mov_b32_e32 v1, v6
	v_lshlrev_b64 v[15:16], 4, v[10:11]
	s_addc_u32 s1, s29, s1
	s_and_b32 s2, s2, vcc_lo
	v_add_co_u32 v2, vcc_lo, s12, v2
	v_add_co_ci_u32_e32 v3, vcc_lo, s13, v3, vcc_lo
	v_mov_b32_e32 v5, v14
	v_lshlrev_b64 v[0:1], 4, v[0:1]
	s_load_b64 s[6:7], s[6:7], 0x0
	s_load_b64 s[10:11], s[0:1], 0x0
	v_add_co_u32 v14, vcc_lo, v2, v15
	v_add_co_ci_u32_e32 v15, vcc_lo, v3, v16, vcc_lo
	s_lshl_b64 s[4:5], s[4:5], 4
	v_lshlrev_b64 v[2:3], 4, v[4:5]
	v_add_co_u32 v4, vcc_lo, v0, s4
	v_add_co_ci_u32_e32 v5, vcc_lo, s5, v1, vcc_lo
	s_lshl_b64 s[4:5], s[26:27], 4
	v_lshlrev_b64 v[0:1], 4, v[12:13]
	s_delay_alu instid0(VALU_DEP_4) | instskip(SKIP_2) | instid1(VALU_DEP_4)
	v_add_co_u32 v6, vcc_lo, v2, s4
	v_add_co_ci_u32_e32 v7, vcc_lo, s5, v3, vcc_lo
	v_lshlrev_b64 v[2:3], 4, v[8:9]
	v_add_co_u32 v0, vcc_lo, v4, v0
	v_add_co_ci_u32_e32 v1, vcc_lo, v5, v1, vcc_lo
	s_ashr_i32 s15, s3, 31
	s_delay_alu instid0(VALU_DEP_3) | instskip(NEXT) | instid1(VALU_DEP_4)
	v_add_co_u32 v2, vcc_lo, v6, v2
	v_add_co_ci_u32_e32 v3, vcc_lo, v7, v3, vcc_lo
	s_waitcnt lgkmcnt(0)
	v_add_co_u32 v0, vcc_lo, v0, s10
	v_add_co_ci_u32_e32 v1, vcc_lo, s11, v1, vcc_lo
	v_add_co_u32 v2, vcc_lo, v2, s6
	s_mov_b32 s14, s3
	v_add_co_ci_u32_e32 v3, vcc_lo, s7, v3, vcc_lo
	v_cmp_gt_i64_e64 s0, s[14:15], v[8:9]
	v_add_co_u32 v9, vcc_lo, v0, 8
	v_add_co_ci_u32_e32 v10, vcc_lo, 0, v1, vcc_lo
	v_add_co_u32 v16, vcc_lo, v2, 8
	v_cmp_gt_i64_e64 s1, s[14:15], v[12:13]
	v_add_co_ci_u32_e32 v17, vcc_lo, 0, v3, vcc_lo
	s_lshl_b64 s[4:5], s[30:31], 9
	s_lshl_b64 s[6:7], s[24:25], 9
	s_mov_b64 s[10:11], 0
	s_branch .LBB1771_5
.LBB1771_4:                             ;   in Loop: Header=BB1771_5 Depth=1
	s_or_b32 exec_lo, exec_lo, s14
	s_add_u32 s10, s10, 32
	s_addc_u32 s11, s11, 0
	v_add_co_u32 v9, vcc_lo, v9, s4
	v_cmp_ge_i64_e64 s14, s[10:11], s[16:17]
	v_add_co_ci_u32_e32 v10, vcc_lo, s5, v10, vcc_lo
	v_add_co_u32 v16, vcc_lo, v16, s6
	v_add_co_ci_u32_e32 v17, vcc_lo, s7, v17, vcc_lo
	s_delay_alu instid0(VALU_DEP_4)
	s_and_b32 vcc_lo, exec_lo, s14
	s_waitcnt_vscnt null, 0x0
	s_barrier
	buffer_gl0_inv
	s_cbranch_vccnz .LBB1771_11
.LBB1771_5:                             ; =>This Inner Loop Header: Depth=1
	v_add_co_u32 v2, s14, v19, s10
	s_delay_alu instid0(VALU_DEP_1) | instskip(SKIP_2) | instid1(VALU_DEP_3)
	v_add_co_ci_u32_e64 v3, null, 0, s11, s14
	v_mov_b32_e32 v0, 0
	v_mov_b32_e32 v1, 0
	v_cmp_gt_i64_e32 vcc_lo, s[16:17], v[2:3]
	s_delay_alu instid0(VALU_DEP_2) | instskip(SKIP_2) | instid1(SALU_CYCLE_1)
	v_dual_mov_b32 v5, v1 :: v_dual_mov_b32 v4, v0
	v_dual_mov_b32 v7, v1 :: v_dual_mov_b32 v6, v0
	s_and_b32 s15, s0, vcc_lo
	s_and_saveexec_b32 s14, s15
	s_cbranch_execz .LBB1771_7
; %bb.6:                                ;   in Loop: Header=BB1771_5 Depth=1
	global_load_b128 v[4:7], v[16:17], off offset:-8
.LBB1771_7:                             ;   in Loop: Header=BB1771_5 Depth=1
	s_or_b32 exec_lo, exec_lo, s14
	v_add_co_u32 v2, s14, v18, s10
	s_delay_alu instid0(VALU_DEP_1)
	v_add_co_ci_u32_e64 v3, null, 0, s11, s14
	s_waitcnt vmcnt(0)
	ds_store_b128 v21, v[4:7]
	v_cmp_gt_i64_e32 vcc_lo, s[16:17], v[2:3]
	v_dual_mov_b32 v3, v1 :: v_dual_mov_b32 v2, v0
	s_and_b32 s15, s1, vcc_lo
	s_delay_alu instid0(SALU_CYCLE_1)
	s_and_saveexec_b32 s14, s15
	s_cbranch_execz .LBB1771_9
; %bb.8:                                ;   in Loop: Header=BB1771_5 Depth=1
	global_load_b128 v[0:3], v[9:10], off offset:-8
	s_waitcnt vmcnt(0)
	v_xor_b32_e32 v3, 0x80000000, v3
.LBB1771_9:                             ;   in Loop: Header=BB1771_5 Depth=1
	s_or_b32 exec_lo, exec_lo, s14
	ds_store_b128 v23, v[0:3]
	s_waitcnt lgkmcnt(0)
	s_barrier
	buffer_gl0_inv
	s_and_saveexec_b32 s14, s2
	s_cbranch_execz .LBB1771_4
; %bb.10:                               ;   in Loop: Header=BB1771_5 Depth=1
	ds_load_b128 v[0:3], v22
	ds_load_b128 v[4:7], v20
	ds_load_b128 v[24:27], v20 offset:16
	ds_load_b128 v[28:31], v22 offset:512
	s_waitcnt lgkmcnt(2)
	v_mul_f64 v[32:33], v[0:1], v[6:7]
	v_mul_f64 v[6:7], v[2:3], v[6:7]
	s_waitcnt lgkmcnt(0)
	v_mul_f64 v[48:49], v[28:29], v[26:27]
	v_mul_f64 v[26:27], v[30:31], v[26:27]
	s_delay_alu instid0(VALU_DEP_4)
	v_fma_f64 v[2:3], v[2:3], v[4:5], v[32:33]
	ds_load_b128 v[32:35], v22 offset:1024
	ds_load_b128 v[36:39], v20 offset:32
	;; [unrolled: 1-line block ×4, first 2 shown]
	v_fma_f64 v[0:1], v[0:1], v[4:5], -v[6:7]
	v_fma_f64 v[4:5], v[30:31], v[24:25], v[48:49]
	v_fma_f64 v[52:53], v[28:29], v[24:25], -v[26:27]
	s_waitcnt lgkmcnt(2)
	v_mul_f64 v[50:51], v[32:33], v[38:39]
	v_mul_f64 v[38:39], v[34:35], v[38:39]
	s_waitcnt lgkmcnt(0)
	v_mul_f64 v[48:49], v[44:45], v[42:43]
	v_mul_f64 v[42:43], v[46:47], v[42:43]
	v_add_f64 v[2:3], v[2:3], 0
	v_fma_f64 v[34:35], v[34:35], v[36:37], v[50:51]
	v_add_f64 v[50:51], v[0:1], 0
	v_fma_f64 v[32:33], v[32:33], v[36:37], -v[38:39]
	v_fma_f64 v[36:37], v[46:47], v[40:41], v[48:49]
	v_add_f64 v[54:55], v[2:3], v[4:5]
	ds_load_b128 v[0:3], v20 offset:64
	ds_load_b128 v[4:7], v22 offset:2048
	ds_load_b128 v[24:27], v22 offset:2560
	ds_load_b128 v[28:31], v20 offset:80
	s_waitcnt lgkmcnt(2)
	v_mul_f64 v[56:57], v[4:5], v[2:3]
	v_add_f64 v[38:39], v[50:51], v[52:53]
	v_mul_f64 v[2:3], v[6:7], v[2:3]
	s_waitcnt lgkmcnt(0)
	v_mul_f64 v[48:49], v[24:25], v[30:31]
	v_fma_f64 v[50:51], v[44:45], v[40:41], -v[42:43]
	v_mul_f64 v[30:31], v[26:27], v[30:31]
	v_add_f64 v[34:35], v[54:55], v[34:35]
	v_fma_f64 v[6:7], v[6:7], v[0:1], v[56:57]
	v_add_f64 v[52:53], v[38:39], v[32:33]
	v_fma_f64 v[0:1], v[4:5], v[0:1], -v[2:3]
	v_fma_f64 v[2:3], v[26:27], v[28:29], v[48:49]
	v_add_f64 v[54:55], v[34:35], v[36:37]
	ds_load_b128 v[32:35], v20 offset:96
	ds_load_b128 v[36:39], v22 offset:3072
	ds_load_b128 v[40:43], v22 offset:3584
	ds_load_b128 v[44:47], v20 offset:112
	s_waitcnt lgkmcnt(2)
	v_mul_f64 v[56:57], v[36:37], v[34:35]
	v_add_f64 v[4:5], v[52:53], v[50:51]
	v_mul_f64 v[34:35], v[38:39], v[34:35]
	s_waitcnt lgkmcnt(0)
	v_mul_f64 v[48:49], v[40:41], v[46:47]
	v_fma_f64 v[50:51], v[24:25], v[28:29], -v[30:31]
	;; [unrolled: 18-line block ×11, first 2 shown]
	v_mul_f64 v[30:31], v[26:27], v[30:31]
	v_add_f64 v[38:39], v[54:55], v[38:39]
	v_fma_f64 v[6:7], v[6:7], v[0:1], v[56:57]
	v_add_f64 v[52:53], v[36:37], v[32:33]
	v_fma_f64 v[0:1], v[4:5], v[0:1], -v[2:3]
	v_fma_f64 v[2:3], v[26:27], v[28:29], v[48:49]
	v_add_f64 v[54:55], v[38:39], v[34:35]
	ds_load_b128 v[32:35], v20 offset:416
	ds_load_b128 v[36:39], v22 offset:13312
	;; [unrolled: 1-line block ×4, first 2 shown]
	s_waitcnt lgkmcnt(2)
	v_mul_f64 v[56:57], v[36:37], v[34:35]
	v_add_f64 v[4:5], v[52:53], v[50:51]
	v_mul_f64 v[34:35], v[38:39], v[34:35]
	s_waitcnt lgkmcnt(0)
	v_mul_f64 v[52:53], v[40:41], v[46:47]
	v_mul_f64 v[46:47], v[42:43], v[46:47]
	v_add_f64 v[6:7], v[54:55], v[6:7]
	v_fma_f64 v[54:55], v[24:25], v[28:29], -v[30:31]
	v_fma_f64 v[38:39], v[38:39], v[32:33], v[56:57]
	v_add_f64 v[56:57], v[4:5], v[0:1]
	v_fma_f64 v[32:33], v[36:37], v[32:33], -v[34:35]
	v_fma_f64 v[34:35], v[42:43], v[44:45], v[52:53]
	v_add_f64 v[58:59], v[6:7], v[2:3]
	ds_load_b128 v[0:3], v20 offset:448
	ds_load_b128 v[4:7], v22 offset:14336
	global_load_b128 v[24:27], v[14:15], off
	ds_load_b128 v[28:31], v22 offset:14848
	ds_load_b128 v[48:51], v20 offset:464
	v_add_f64 v[36:37], v[56:57], v[54:55]
	s_waitcnt lgkmcnt(2)
	v_mul_f64 v[60:61], v[4:5], v[2:3]
	v_mul_f64 v[2:3], v[6:7], v[2:3]
	s_waitcnt lgkmcnt(0)
	v_mul_f64 v[52:53], v[28:29], v[50:51]
	v_fma_f64 v[54:55], v[40:41], v[44:45], -v[46:47]
	v_mul_f64 v[50:51], v[30:31], v[50:51]
	v_add_f64 v[38:39], v[58:59], v[38:39]
	v_add_f64 v[56:57], v[36:37], v[32:33]
	v_fma_f64 v[6:7], v[6:7], v[0:1], v[60:61]
	v_fma_f64 v[0:1], v[4:5], v[0:1], -v[2:3]
	v_fma_f64 v[2:3], v[30:31], v[48:49], v[52:53]
	v_fma_f64 v[28:29], v[28:29], v[48:49], -v[50:51]
	v_add_f64 v[58:59], v[38:39], v[34:35]
	ds_load_b128 v[32:35], v20 offset:480
	ds_load_b128 v[36:39], v22 offset:15360
	;; [unrolled: 1-line block ×4, first 2 shown]
	s_waitcnt lgkmcnt(2)
	v_mul_f64 v[60:61], v[36:37], v[34:35]
	v_add_f64 v[4:5], v[56:57], v[54:55]
	v_mul_f64 v[30:31], v[38:39], v[34:35]
	s_waitcnt lgkmcnt(0)
	v_mul_f64 v[34:35], v[40:41], v[46:47]
	v_add_f64 v[6:7], v[58:59], v[6:7]
	v_fma_f64 v[38:39], v[38:39], v[32:33], v[60:61]
	v_add_f64 v[0:1], v[4:5], v[0:1]
	v_mul_f64 v[4:5], v[42:43], v[46:47]
	s_delay_alu instid0(VALU_DEP_4)
	v_add_f64 v[2:3], v[6:7], v[2:3]
	v_fma_f64 v[6:7], v[36:37], v[32:33], -v[30:31]
	v_fma_f64 v[30:31], v[42:43], v[44:45], v[34:35]
	v_add_f64 v[0:1], v[0:1], v[28:29]
	v_fma_f64 v[4:5], v[40:41], v[44:45], -v[4:5]
	v_add_f64 v[2:3], v[2:3], v[38:39]
	s_delay_alu instid0(VALU_DEP_3) | instskip(NEXT) | instid1(VALU_DEP_2)
	v_add_f64 v[0:1], v[0:1], v[6:7]
	v_add_f64 v[2:3], v[2:3], v[30:31]
	s_delay_alu instid0(VALU_DEP_2) | instskip(NEXT) | instid1(VALU_DEP_2)
	v_add_f64 v[0:1], v[0:1], v[4:5]
	v_mul_f64 v[4:5], s[20:21], v[2:3]
	v_mul_f64 v[2:3], s[18:19], v[2:3]
	s_delay_alu instid0(VALU_DEP_2) | instskip(NEXT) | instid1(VALU_DEP_2)
	v_fma_f64 v[4:5], s[18:19], v[0:1], -v[4:5]
	v_fma_f64 v[2:3], s[20:21], v[0:1], v[2:3]
	s_waitcnt vmcnt(0)
	s_delay_alu instid0(VALU_DEP_2) | instskip(NEXT) | instid1(VALU_DEP_2)
	v_add_f64 v[0:1], v[24:25], v[4:5]
	v_add_f64 v[2:3], v[26:27], v[2:3]
	global_store_b128 v[14:15], v[0:3], off
	s_branch .LBB1771_4
.LBB1771_11:
	v_cmp_eq_u32_e32 vcc_lo, v8, v12
	v_cmp_gt_i32_e64 s0, s3, v8
	s_delay_alu instid0(VALU_DEP_1) | instskip(NEXT) | instid1(SALU_CYCLE_1)
	s_and_b32 s0, vcc_lo, s0
	s_and_saveexec_b32 s1, s0
	s_cbranch_execz .LBB1771_13
; %bb.12:
	v_mul_lo_u32 v2, v8, s9
	v_mul_lo_u32 v3, v11, s8
	v_mad_u64_u32 v[0:1], null, v8, s8, 0
	v_mov_b32_e32 v9, v11
	s_delay_alu instid0(VALU_DEP_2) | instskip(NEXT) | instid1(VALU_DEP_1)
	v_add3_u32 v1, v1, v2, v3
	v_lshlrev_b64 v[0:1], 4, v[0:1]
	s_delay_alu instid0(VALU_DEP_1) | instskip(SKIP_2) | instid1(VALU_DEP_4)
	v_add_co_u32 v4, vcc_lo, s12, v0
	v_mov_b32_e32 v0, 0
	v_lshlrev_b64 v[2:3], 4, v[8:9]
	v_add_co_ci_u32_e32 v1, vcc_lo, s13, v1, vcc_lo
	s_delay_alu instid0(VALU_DEP_2) | instskip(NEXT) | instid1(VALU_DEP_2)
	v_add_co_u32 v2, vcc_lo, v4, v2
	v_add_co_ci_u32_e32 v3, vcc_lo, v1, v3, vcc_lo
	v_mov_b32_e32 v1, v0
	global_store_b64 v[2:3], v[0:1], off offset:8
.LBB1771_13:
	s_nop 0
	s_sendmsg sendmsg(MSG_DEALLOC_VGPRS)
	s_endpgm
	.section	.rodata,"a",@progbits
	.p2align	6, 0x0
	.amdhsa_kernel _ZL26rocblas_syr2k_her2k_kernelIlLb0ELb1ELb0ELi32E19rocblas_complex_numIdEPKPKS1_PKPS1_EvbiT_T4_T5_S9_lSB_S9_lT6_S9_li
		.amdhsa_group_segment_fixed_size 32768
		.amdhsa_private_segment_fixed_size 0
		.amdhsa_kernarg_size 108
		.amdhsa_user_sgpr_count 13
		.amdhsa_user_sgpr_dispatch_ptr 0
		.amdhsa_user_sgpr_queue_ptr 0
		.amdhsa_user_sgpr_kernarg_segment_ptr 1
		.amdhsa_user_sgpr_dispatch_id 0
		.amdhsa_user_sgpr_private_segment_size 0
		.amdhsa_wavefront_size32 1
		.amdhsa_uses_dynamic_stack 0
		.amdhsa_enable_private_segment 0
		.amdhsa_system_sgpr_workgroup_id_x 1
		.amdhsa_system_sgpr_workgroup_id_y 1
		.amdhsa_system_sgpr_workgroup_id_z 1
		.amdhsa_system_sgpr_workgroup_info 0
		.amdhsa_system_vgpr_workitem_id 1
		.amdhsa_next_free_vgpr 62
		.amdhsa_next_free_sgpr 34
		.amdhsa_reserve_vcc 1
		.amdhsa_float_round_mode_32 0
		.amdhsa_float_round_mode_16_64 0
		.amdhsa_float_denorm_mode_32 3
		.amdhsa_float_denorm_mode_16_64 3
		.amdhsa_dx10_clamp 1
		.amdhsa_ieee_mode 1
		.amdhsa_fp16_overflow 0
		.amdhsa_workgroup_processor_mode 1
		.amdhsa_memory_ordered 1
		.amdhsa_forward_progress 0
		.amdhsa_shared_vgpr_count 0
		.amdhsa_exception_fp_ieee_invalid_op 0
		.amdhsa_exception_fp_denorm_src 0
		.amdhsa_exception_fp_ieee_div_zero 0
		.amdhsa_exception_fp_ieee_overflow 0
		.amdhsa_exception_fp_ieee_underflow 0
		.amdhsa_exception_fp_ieee_inexact 0
		.amdhsa_exception_int_div_zero 0
	.end_amdhsa_kernel
	.section	.text._ZL26rocblas_syr2k_her2k_kernelIlLb0ELb1ELb0ELi32E19rocblas_complex_numIdEPKPKS1_PKPS1_EvbiT_T4_T5_S9_lSB_S9_lT6_S9_li,"axG",@progbits,_ZL26rocblas_syr2k_her2k_kernelIlLb0ELb1ELb0ELi32E19rocblas_complex_numIdEPKPKS1_PKPS1_EvbiT_T4_T5_S9_lSB_S9_lT6_S9_li,comdat
.Lfunc_end1771:
	.size	_ZL26rocblas_syr2k_her2k_kernelIlLb0ELb1ELb0ELi32E19rocblas_complex_numIdEPKPKS1_PKPS1_EvbiT_T4_T5_S9_lSB_S9_lT6_S9_li, .Lfunc_end1771-_ZL26rocblas_syr2k_her2k_kernelIlLb0ELb1ELb0ELi32E19rocblas_complex_numIdEPKPKS1_PKPS1_EvbiT_T4_T5_S9_lSB_S9_lT6_S9_li
                                        ; -- End function
	.section	.AMDGPU.csdata,"",@progbits
; Kernel info:
; codeLenInByte = 3312
; NumSgprs: 36
; NumVgprs: 62
; ScratchSize: 0
; MemoryBound: 1
; FloatMode: 240
; IeeeMode: 1
; LDSByteSize: 32768 bytes/workgroup (compile time only)
; SGPRBlocks: 4
; VGPRBlocks: 7
; NumSGPRsForWavesPerEU: 36
; NumVGPRsForWavesPerEU: 62
; Occupancy: 16
; WaveLimiterHint : 1
; COMPUTE_PGM_RSRC2:SCRATCH_EN: 0
; COMPUTE_PGM_RSRC2:USER_SGPR: 13
; COMPUTE_PGM_RSRC2:TRAP_HANDLER: 0
; COMPUTE_PGM_RSRC2:TGID_X_EN: 1
; COMPUTE_PGM_RSRC2:TGID_Y_EN: 1
; COMPUTE_PGM_RSRC2:TGID_Z_EN: 1
; COMPUTE_PGM_RSRC2:TIDIG_COMP_CNT: 1
	.section	.text._ZL26rocblas_syr2k_her2k_kernelIlLb0ELb1ELb1ELi32E19rocblas_complex_numIdEPKPKS1_PKPS1_EvbiT_T4_T5_S9_lSB_S9_lT6_S9_li,"axG",@progbits,_ZL26rocblas_syr2k_her2k_kernelIlLb0ELb1ELb1ELi32E19rocblas_complex_numIdEPKPKS1_PKPS1_EvbiT_T4_T5_S9_lSB_S9_lT6_S9_li,comdat
	.globl	_ZL26rocblas_syr2k_her2k_kernelIlLb0ELb1ELb1ELi32E19rocblas_complex_numIdEPKPKS1_PKPS1_EvbiT_T4_T5_S9_lSB_S9_lT6_S9_li ; -- Begin function _ZL26rocblas_syr2k_her2k_kernelIlLb0ELb1ELb1ELi32E19rocblas_complex_numIdEPKPKS1_PKPS1_EvbiT_T4_T5_S9_lSB_S9_lT6_S9_li
	.p2align	8
	.type	_ZL26rocblas_syr2k_her2k_kernelIlLb0ELb1ELb1ELi32E19rocblas_complex_numIdEPKPKS1_PKPS1_EvbiT_T4_T5_S9_lSB_S9_lT6_S9_li,@function
_ZL26rocblas_syr2k_her2k_kernelIlLb0ELb1ELb1ELi32E19rocblas_complex_numIdEPKPKS1_PKPS1_EvbiT_T4_T5_S9_lSB_S9_lT6_S9_li: ; @_ZL26rocblas_syr2k_her2k_kernelIlLb0ELb1ELb1ELi32E19rocblas_complex_numIdEPKPKS1_PKPS1_EvbiT_T4_T5_S9_lSB_S9_lT6_S9_li
; %bb.0:
	s_load_b512 s[16:31], s[0:1], 0x8
	s_waitcnt lgkmcnt(0)
	v_cmp_eq_f64_e64 s2, s[18:19], 0
	v_cmp_eq_f64_e64 s3, s[20:21], 0
	s_delay_alu instid0(VALU_DEP_1) | instskip(NEXT) | instid1(SALU_CYCLE_1)
	s_and_b32 s2, s2, s3
	s_and_b32 vcc_lo, exec_lo, s2
	s_cbranch_vccnz .LBB1772_13
; %bb.1:
	s_load_b64 s[34:35], s[0:1], 0x0
	s_lshl_b32 s3, s14, 5
	s_lshl_b32 s14, s13, 5
	s_waitcnt lgkmcnt(0)
	s_and_b32 s2, 1, s34
	s_delay_alu instid0(SALU_CYCLE_1) | instskip(SKIP_1) | instid1(SALU_CYCLE_1)
	s_cmp_eq_u32 s2, 1
	s_cselect_b32 s2, -1, 0
	s_and_b32 s4, s2, exec_lo
	s_cselect_b32 s4, s14, s3
	s_cselect_b32 s5, s3, s14
	s_delay_alu instid0(SALU_CYCLE_1)
	s_cmp_gt_i32 s4, s5
	s_cbranch_scc1 .LBB1772_13
; %bb.2:
	s_load_b256 s[4:11], s[0:1], 0x48
	s_mov_b32 s12, s15
	s_mov_b32 s13, 0
	v_and_b32_e32 v18, 0x3ff, v0
	s_lshl_b64 s[0:1], s[12:13], 3
	v_bfe_u32 v19, v0, 10, 10
	v_cmp_lt_i64_e64 s15, s[16:17], 1
	s_delay_alu instid0(VALU_DEP_3) | instskip(NEXT) | instid1(VALU_DEP_3)
	v_add_nc_u32_e32 v8, s14, v18
	v_add_nc_u32_e32 v10, s3, v19
	s_delay_alu instid0(VALU_DEP_2)
	v_ashrrev_i32_e32 v17, 31, v8
	s_waitcnt lgkmcnt(0)
	s_add_u32 s6, s6, s0
	s_addc_u32 s7, s7, s1
	s_lshl_b64 s[10:11], s[10:11], 4
	s_load_b64 s[6:7], s[6:7], 0x0
	s_waitcnt lgkmcnt(0)
	s_add_u32 s12, s6, s10
	s_addc_u32 s13, s7, s11
	s_and_b32 vcc_lo, exec_lo, s15
	s_cbranch_vccnz .LBB1772_11
; %bb.3:
	v_ashrrev_i32_e32 v2, 31, v10
	v_mul_lo_u32 v6, v10, s9
	v_mad_u64_u32 v[0:1], null, s30, v10, 0
	v_mad_u64_u32 v[4:5], null, s24, v8, 0
	s_delay_alu instid0(VALU_DEP_4)
	v_mul_lo_u32 v7, v2, s8
	v_mad_u64_u32 v[2:3], null, v10, s8, 0
	s_add_u32 s6, s22, s0
	v_dual_mov_b32 v9, 0 :: v_dual_lshlrev_b32 v14, 4, v19
	s_addc_u32 s7, s23, s1
	s_add_u32 s0, s28, s0
	s_addc_u32 s1, s29, s1
	s_delay_alu instid0(VALU_DEP_2) | instskip(SKIP_3) | instid1(VALU_DEP_2)
	v_add3_u32 v3, v3, v6, v7
	s_ashr_i32 s15, s35, 31
	s_mov_b32 s14, s35
	v_mad_u64_u32 v[6:7], null, s31, v10, v[1:2]
	v_lshlrev_b64 v[2:3], 4, v[2:3]
	s_load_b64 s[6:7], s[6:7], 0x0
	s_load_b64 s[10:11], s[0:1], 0x0
	v_cndmask_b32_e64 v12, v8, v10, s2
	v_dual_mov_b32 v11, v9 :: v_dual_lshlrev_b32 v20, 9, v18
	v_cndmask_b32_e64 v13, v10, v8, s2
	v_cmp_gt_i64_e64 s0, s[14:15], v[8:9]
	v_max_i32_e32 v9, v8, v10
	v_mov_b32_e32 v1, v5
	v_cmp_gt_i64_e64 s1, s[14:15], v[10:11]
	v_cmp_le_i32_e64 s2, v13, v12
	s_lshl_b64 s[4:5], s[4:5], 4
	v_cmp_gt_i32_e32 vcc_lo, s35, v9
	v_mov_b32_e32 v9, v17
	v_mad_u64_u32 v[11:12], null, s25, v8, v[1:2]
	v_mov_b32_e32 v1, v6
	v_add_co_u32 v2, s3, s12, v2
	s_delay_alu instid0(VALU_DEP_4)
	v_lshlrev_b64 v[12:13], 4, v[8:9]
	v_add_co_ci_u32_e64 v3, s3, s13, v3, s3
	v_mov_b32_e32 v5, v11
	v_lshlrev_b64 v[0:1], 4, v[0:1]
	v_or_b32_e32 v22, 0x4000, v14
	v_add_co_u32 v11, s3, v2, v12
	s_delay_alu instid0(VALU_DEP_1) | instskip(SKIP_3) | instid1(VALU_DEP_1)
	v_add_co_ci_u32_e64 v12, s3, v3, v13, s3
	v_lshlrev_b64 v[2:3], 4, v[4:5]
	v_lshlrev_b32_e32 v4, 4, v18
	v_add_co_u32 v0, s3, v0, s4
	v_add_co_ci_u32_e64 v1, s3, s5, v1, s3
	s_lshl_b64 s[4:5], s[26:27], 4
	v_add_nc_u32_e32 v21, v20, v14
	v_add_co_u32 v2, s3, v2, s4
	s_delay_alu instid0(VALU_DEP_1) | instskip(SKIP_1) | instid1(VALU_DEP_1)
	v_add_co_ci_u32_e64 v3, s3, s5, v3, s3
	v_add_co_u32 v0, s3, v0, v4
	v_add_co_ci_u32_e64 v1, s3, 0, v1, s3
	s_delay_alu instid0(VALU_DEP_4) | instskip(NEXT) | instid1(VALU_DEP_1)
	v_add_co_u32 v2, s3, v2, v14
	v_add_co_ci_u32_e64 v3, s3, 0, v3, s3
	s_waitcnt lgkmcnt(0)
	v_add_co_u32 v0, s3, v0, s10
	s_delay_alu instid0(VALU_DEP_1) | instskip(SKIP_1) | instid1(VALU_DEP_1)
	v_add_co_ci_u32_e64 v1, s3, s11, v1, s3
	v_add_co_u32 v2, s3, v2, s6
	v_add_co_ci_u32_e64 v3, s3, s7, v3, s3
	s_delay_alu instid0(VALU_DEP_4) | instskip(NEXT) | instid1(VALU_DEP_1)
	v_add_co_u32 v13, s3, v0, 8
	v_add_co_ci_u32_e64 v14, s3, 0, v1, s3
	s_delay_alu instid0(VALU_DEP_4)
	v_add_co_u32 v15, s3, v2, 8
	v_add_nc_u32_e32 v23, v22, v20
	v_add_co_ci_u32_e64 v16, s3, 0, v3, s3
	s_and_b32 s4, s2, vcc_lo
	s_mov_b64 s[2:3], 0
	s_branch .LBB1772_5
.LBB1772_4:                             ;   in Loop: Header=BB1772_5 Depth=1
	s_or_b32 exec_lo, exec_lo, s5
	s_add_u32 s2, s2, 32
	s_addc_u32 s3, s3, 0
	v_add_co_u32 v13, vcc_lo, 0x200, v13
	v_cmp_ge_i64_e64 s5, s[2:3], s[16:17]
	v_add_co_ci_u32_e32 v14, vcc_lo, 0, v14, vcc_lo
	v_add_co_u32 v15, vcc_lo, 0x200, v15
	v_add_co_ci_u32_e32 v16, vcc_lo, 0, v16, vcc_lo
	s_delay_alu instid0(VALU_DEP_4)
	s_and_b32 vcc_lo, exec_lo, s5
	s_waitcnt_vscnt null, 0x0
	s_barrier
	buffer_gl0_inv
	s_cbranch_vccnz .LBB1772_11
.LBB1772_5:                             ; =>This Inner Loop Header: Depth=1
	v_add_co_u32 v2, s5, v19, s2
	s_delay_alu instid0(VALU_DEP_1) | instskip(SKIP_2) | instid1(VALU_DEP_3)
	v_add_co_ci_u32_e64 v3, null, 0, s3, s5
	v_mov_b32_e32 v0, 0
	v_mov_b32_e32 v1, 0
	v_cmp_gt_i64_e32 vcc_lo, s[16:17], v[2:3]
	s_delay_alu instid0(VALU_DEP_2) | instskip(SKIP_2) | instid1(SALU_CYCLE_1)
	v_dual_mov_b32 v5, v1 :: v_dual_mov_b32 v4, v0
	v_dual_mov_b32 v7, v1 :: v_dual_mov_b32 v6, v0
	s_and_b32 s6, s0, vcc_lo
	s_and_saveexec_b32 s5, s6
	s_cbranch_execz .LBB1772_7
; %bb.6:                                ;   in Loop: Header=BB1772_5 Depth=1
	global_load_b128 v[4:7], v[15:16], off offset:-8
	s_waitcnt vmcnt(0)
	v_xor_b32_e32 v7, 0x80000000, v7
.LBB1772_7:                             ;   in Loop: Header=BB1772_5 Depth=1
	s_or_b32 exec_lo, exec_lo, s5
	v_add_co_u32 v2, s5, v18, s2
	s_delay_alu instid0(VALU_DEP_1) | instskip(SKIP_4) | instid1(SALU_CYCLE_1)
	v_add_co_ci_u32_e64 v3, null, 0, s3, s5
	ds_store_b128 v21, v[4:7]
	v_cmp_gt_i64_e32 vcc_lo, s[16:17], v[2:3]
	v_dual_mov_b32 v3, v1 :: v_dual_mov_b32 v2, v0
	s_and_b32 s6, s1, vcc_lo
	s_and_saveexec_b32 s5, s6
	s_cbranch_execz .LBB1772_9
; %bb.8:                                ;   in Loop: Header=BB1772_5 Depth=1
	global_load_b128 v[0:3], v[13:14], off offset:-8
.LBB1772_9:                             ;   in Loop: Header=BB1772_5 Depth=1
	s_or_b32 exec_lo, exec_lo, s5
	s_waitcnt vmcnt(0)
	ds_store_b128 v23, v[0:3]
	s_waitcnt lgkmcnt(0)
	s_barrier
	buffer_gl0_inv
	s_and_saveexec_b32 s5, s4
	s_cbranch_execz .LBB1772_4
; %bb.10:                               ;   in Loop: Header=BB1772_5 Depth=1
	ds_load_b128 v[0:3], v22
	ds_load_b128 v[4:7], v20
	ds_load_b128 v[24:27], v20 offset:16
	ds_load_b128 v[28:31], v22 offset:512
	s_waitcnt lgkmcnt(2)
	v_mul_f64 v[32:33], v[0:1], v[6:7]
	v_mul_f64 v[6:7], v[2:3], v[6:7]
	s_waitcnt lgkmcnt(0)
	v_mul_f64 v[48:49], v[28:29], v[26:27]
	v_mul_f64 v[26:27], v[30:31], v[26:27]
	s_delay_alu instid0(VALU_DEP_4)
	v_fma_f64 v[2:3], v[2:3], v[4:5], v[32:33]
	ds_load_b128 v[32:35], v22 offset:1024
	ds_load_b128 v[36:39], v20 offset:32
	;; [unrolled: 1-line block ×4, first 2 shown]
	v_fma_f64 v[0:1], v[0:1], v[4:5], -v[6:7]
	v_fma_f64 v[4:5], v[30:31], v[24:25], v[48:49]
	v_fma_f64 v[52:53], v[28:29], v[24:25], -v[26:27]
	s_waitcnt lgkmcnt(2)
	v_mul_f64 v[50:51], v[32:33], v[38:39]
	v_mul_f64 v[38:39], v[34:35], v[38:39]
	s_waitcnt lgkmcnt(0)
	v_mul_f64 v[48:49], v[44:45], v[42:43]
	v_mul_f64 v[42:43], v[46:47], v[42:43]
	v_add_f64 v[2:3], v[2:3], 0
	v_fma_f64 v[34:35], v[34:35], v[36:37], v[50:51]
	v_add_f64 v[50:51], v[0:1], 0
	v_fma_f64 v[32:33], v[32:33], v[36:37], -v[38:39]
	v_fma_f64 v[36:37], v[46:47], v[40:41], v[48:49]
	v_add_f64 v[54:55], v[2:3], v[4:5]
	ds_load_b128 v[0:3], v20 offset:64
	ds_load_b128 v[4:7], v22 offset:2048
	ds_load_b128 v[24:27], v22 offset:2560
	ds_load_b128 v[28:31], v20 offset:80
	s_waitcnt lgkmcnt(2)
	v_mul_f64 v[56:57], v[4:5], v[2:3]
	v_add_f64 v[38:39], v[50:51], v[52:53]
	v_mul_f64 v[2:3], v[6:7], v[2:3]
	s_waitcnt lgkmcnt(0)
	v_mul_f64 v[48:49], v[24:25], v[30:31]
	v_fma_f64 v[50:51], v[44:45], v[40:41], -v[42:43]
	v_mul_f64 v[30:31], v[26:27], v[30:31]
	v_add_f64 v[34:35], v[54:55], v[34:35]
	v_fma_f64 v[6:7], v[6:7], v[0:1], v[56:57]
	v_add_f64 v[52:53], v[38:39], v[32:33]
	v_fma_f64 v[0:1], v[4:5], v[0:1], -v[2:3]
	v_fma_f64 v[2:3], v[26:27], v[28:29], v[48:49]
	v_add_f64 v[54:55], v[34:35], v[36:37]
	ds_load_b128 v[32:35], v20 offset:96
	ds_load_b128 v[36:39], v22 offset:3072
	ds_load_b128 v[40:43], v22 offset:3584
	ds_load_b128 v[44:47], v20 offset:112
	s_waitcnt lgkmcnt(2)
	v_mul_f64 v[56:57], v[36:37], v[34:35]
	v_add_f64 v[4:5], v[52:53], v[50:51]
	v_mul_f64 v[34:35], v[38:39], v[34:35]
	s_waitcnt lgkmcnt(0)
	v_mul_f64 v[48:49], v[40:41], v[46:47]
	v_fma_f64 v[50:51], v[24:25], v[28:29], -v[30:31]
	;; [unrolled: 18-line block ×11, first 2 shown]
	v_mul_f64 v[30:31], v[26:27], v[30:31]
	v_add_f64 v[38:39], v[54:55], v[38:39]
	v_fma_f64 v[6:7], v[6:7], v[0:1], v[56:57]
	v_add_f64 v[52:53], v[36:37], v[32:33]
	v_fma_f64 v[0:1], v[4:5], v[0:1], -v[2:3]
	v_fma_f64 v[2:3], v[26:27], v[28:29], v[48:49]
	v_add_f64 v[54:55], v[38:39], v[34:35]
	ds_load_b128 v[32:35], v20 offset:416
	ds_load_b128 v[36:39], v22 offset:13312
	;; [unrolled: 1-line block ×4, first 2 shown]
	s_waitcnt lgkmcnt(2)
	v_mul_f64 v[56:57], v[36:37], v[34:35]
	v_add_f64 v[4:5], v[52:53], v[50:51]
	v_mul_f64 v[34:35], v[38:39], v[34:35]
	s_waitcnt lgkmcnt(0)
	v_mul_f64 v[52:53], v[40:41], v[46:47]
	v_mul_f64 v[46:47], v[42:43], v[46:47]
	v_add_f64 v[6:7], v[54:55], v[6:7]
	v_fma_f64 v[54:55], v[24:25], v[28:29], -v[30:31]
	v_fma_f64 v[38:39], v[38:39], v[32:33], v[56:57]
	v_add_f64 v[56:57], v[4:5], v[0:1]
	v_fma_f64 v[32:33], v[36:37], v[32:33], -v[34:35]
	v_fma_f64 v[34:35], v[42:43], v[44:45], v[52:53]
	v_add_f64 v[58:59], v[6:7], v[2:3]
	ds_load_b128 v[0:3], v20 offset:448
	ds_load_b128 v[4:7], v22 offset:14336
	global_load_b128 v[24:27], v[11:12], off
	ds_load_b128 v[28:31], v22 offset:14848
	ds_load_b128 v[48:51], v20 offset:464
	v_add_f64 v[36:37], v[56:57], v[54:55]
	s_waitcnt lgkmcnt(2)
	v_mul_f64 v[60:61], v[4:5], v[2:3]
	v_mul_f64 v[2:3], v[6:7], v[2:3]
	s_waitcnt lgkmcnt(0)
	v_mul_f64 v[52:53], v[28:29], v[50:51]
	v_fma_f64 v[54:55], v[40:41], v[44:45], -v[46:47]
	v_mul_f64 v[50:51], v[30:31], v[50:51]
	v_add_f64 v[38:39], v[58:59], v[38:39]
	v_add_f64 v[56:57], v[36:37], v[32:33]
	v_fma_f64 v[6:7], v[6:7], v[0:1], v[60:61]
	v_fma_f64 v[0:1], v[4:5], v[0:1], -v[2:3]
	v_fma_f64 v[2:3], v[30:31], v[48:49], v[52:53]
	v_fma_f64 v[28:29], v[28:29], v[48:49], -v[50:51]
	v_add_f64 v[58:59], v[38:39], v[34:35]
	ds_load_b128 v[32:35], v20 offset:480
	ds_load_b128 v[36:39], v22 offset:15360
	;; [unrolled: 1-line block ×4, first 2 shown]
	s_waitcnt lgkmcnt(2)
	v_mul_f64 v[60:61], v[36:37], v[34:35]
	v_add_f64 v[4:5], v[56:57], v[54:55]
	v_mul_f64 v[30:31], v[38:39], v[34:35]
	s_waitcnt lgkmcnt(0)
	v_mul_f64 v[34:35], v[40:41], v[46:47]
	v_add_f64 v[6:7], v[58:59], v[6:7]
	v_fma_f64 v[38:39], v[38:39], v[32:33], v[60:61]
	v_add_f64 v[0:1], v[4:5], v[0:1]
	v_mul_f64 v[4:5], v[42:43], v[46:47]
	s_delay_alu instid0(VALU_DEP_4)
	v_add_f64 v[2:3], v[6:7], v[2:3]
	v_fma_f64 v[6:7], v[36:37], v[32:33], -v[30:31]
	v_fma_f64 v[30:31], v[42:43], v[44:45], v[34:35]
	v_add_f64 v[0:1], v[0:1], v[28:29]
	v_fma_f64 v[4:5], v[40:41], v[44:45], -v[4:5]
	v_add_f64 v[2:3], v[2:3], v[38:39]
	s_delay_alu instid0(VALU_DEP_3) | instskip(NEXT) | instid1(VALU_DEP_2)
	v_add_f64 v[0:1], v[0:1], v[6:7]
	v_add_f64 v[2:3], v[2:3], v[30:31]
	s_delay_alu instid0(VALU_DEP_2) | instskip(NEXT) | instid1(VALU_DEP_2)
	v_add_f64 v[0:1], v[0:1], v[4:5]
	v_mul_f64 v[4:5], s[20:21], v[2:3]
	v_mul_f64 v[2:3], s[18:19], v[2:3]
	s_delay_alu instid0(VALU_DEP_2) | instskip(NEXT) | instid1(VALU_DEP_2)
	v_fma_f64 v[4:5], s[18:19], v[0:1], -v[4:5]
	v_fma_f64 v[2:3], s[20:21], v[0:1], v[2:3]
	s_waitcnt vmcnt(0)
	s_delay_alu instid0(VALU_DEP_2) | instskip(NEXT) | instid1(VALU_DEP_2)
	v_add_f64 v[0:1], v[24:25], v[4:5]
	v_add_f64 v[2:3], v[26:27], v[2:3]
	global_store_b128 v[11:12], v[0:3], off
	s_branch .LBB1772_4
.LBB1772_11:
	v_cmp_eq_u32_e32 vcc_lo, v8, v10
	v_cmp_gt_i32_e64 s0, s35, v8
	s_delay_alu instid0(VALU_DEP_1) | instskip(NEXT) | instid1(SALU_CYCLE_1)
	s_and_b32 s0, vcc_lo, s0
	s_and_saveexec_b32 s1, s0
	s_cbranch_execz .LBB1772_13
; %bb.12:
	v_mul_lo_u32 v2, v8, s9
	v_mul_lo_u32 v3, v17, s8
	v_mad_u64_u32 v[0:1], null, v8, s8, 0
	v_mov_b32_e32 v9, v17
	s_delay_alu instid0(VALU_DEP_2) | instskip(NEXT) | instid1(VALU_DEP_1)
	v_add3_u32 v1, v1, v2, v3
	v_lshlrev_b64 v[0:1], 4, v[0:1]
	s_delay_alu instid0(VALU_DEP_1) | instskip(SKIP_2) | instid1(VALU_DEP_4)
	v_add_co_u32 v4, vcc_lo, s12, v0
	v_mov_b32_e32 v0, 0
	v_lshlrev_b64 v[2:3], 4, v[8:9]
	v_add_co_ci_u32_e32 v1, vcc_lo, s13, v1, vcc_lo
	s_delay_alu instid0(VALU_DEP_2) | instskip(NEXT) | instid1(VALU_DEP_2)
	v_add_co_u32 v2, vcc_lo, v4, v2
	v_add_co_ci_u32_e32 v3, vcc_lo, v1, v3, vcc_lo
	v_mov_b32_e32 v1, v0
	global_store_b64 v[2:3], v[0:1], off offset:8
.LBB1772_13:
	s_nop 0
	s_sendmsg sendmsg(MSG_DEALLOC_VGPRS)
	s_endpgm
	.section	.rodata,"a",@progbits
	.p2align	6, 0x0
	.amdhsa_kernel _ZL26rocblas_syr2k_her2k_kernelIlLb0ELb1ELb1ELi32E19rocblas_complex_numIdEPKPKS1_PKPS1_EvbiT_T4_T5_S9_lSB_S9_lT6_S9_li
		.amdhsa_group_segment_fixed_size 32768
		.amdhsa_private_segment_fixed_size 0
		.amdhsa_kernarg_size 108
		.amdhsa_user_sgpr_count 13
		.amdhsa_user_sgpr_dispatch_ptr 0
		.amdhsa_user_sgpr_queue_ptr 0
		.amdhsa_user_sgpr_kernarg_segment_ptr 1
		.amdhsa_user_sgpr_dispatch_id 0
		.amdhsa_user_sgpr_private_segment_size 0
		.amdhsa_wavefront_size32 1
		.amdhsa_uses_dynamic_stack 0
		.amdhsa_enable_private_segment 0
		.amdhsa_system_sgpr_workgroup_id_x 1
		.amdhsa_system_sgpr_workgroup_id_y 1
		.amdhsa_system_sgpr_workgroup_id_z 1
		.amdhsa_system_sgpr_workgroup_info 0
		.amdhsa_system_vgpr_workitem_id 1
		.amdhsa_next_free_vgpr 62
		.amdhsa_next_free_sgpr 36
		.amdhsa_reserve_vcc 1
		.amdhsa_float_round_mode_32 0
		.amdhsa_float_round_mode_16_64 0
		.amdhsa_float_denorm_mode_32 3
		.amdhsa_float_denorm_mode_16_64 3
		.amdhsa_dx10_clamp 1
		.amdhsa_ieee_mode 1
		.amdhsa_fp16_overflow 0
		.amdhsa_workgroup_processor_mode 1
		.amdhsa_memory_ordered 1
		.amdhsa_forward_progress 0
		.amdhsa_shared_vgpr_count 0
		.amdhsa_exception_fp_ieee_invalid_op 0
		.amdhsa_exception_fp_denorm_src 0
		.amdhsa_exception_fp_ieee_div_zero 0
		.amdhsa_exception_fp_ieee_overflow 0
		.amdhsa_exception_fp_ieee_underflow 0
		.amdhsa_exception_fp_ieee_inexact 0
		.amdhsa_exception_int_div_zero 0
	.end_amdhsa_kernel
	.section	.text._ZL26rocblas_syr2k_her2k_kernelIlLb0ELb1ELb1ELi32E19rocblas_complex_numIdEPKPKS1_PKPS1_EvbiT_T4_T5_S9_lSB_S9_lT6_S9_li,"axG",@progbits,_ZL26rocblas_syr2k_her2k_kernelIlLb0ELb1ELb1ELi32E19rocblas_complex_numIdEPKPKS1_PKPS1_EvbiT_T4_T5_S9_lSB_S9_lT6_S9_li,comdat
.Lfunc_end1772:
	.size	_ZL26rocblas_syr2k_her2k_kernelIlLb0ELb1ELb1ELi32E19rocblas_complex_numIdEPKPKS1_PKPS1_EvbiT_T4_T5_S9_lSB_S9_lT6_S9_li, .Lfunc_end1772-_ZL26rocblas_syr2k_her2k_kernelIlLb0ELb1ELb1ELi32E19rocblas_complex_numIdEPKPKS1_PKPS1_EvbiT_T4_T5_S9_lSB_S9_lT6_S9_li
                                        ; -- End function
	.section	.AMDGPU.csdata,"",@progbits
; Kernel info:
; codeLenInByte = 3356
; NumSgprs: 38
; NumVgprs: 62
; ScratchSize: 0
; MemoryBound: 1
; FloatMode: 240
; IeeeMode: 1
; LDSByteSize: 32768 bytes/workgroup (compile time only)
; SGPRBlocks: 4
; VGPRBlocks: 7
; NumSGPRsForWavesPerEU: 38
; NumVGPRsForWavesPerEU: 62
; Occupancy: 16
; WaveLimiterHint : 1
; COMPUTE_PGM_RSRC2:SCRATCH_EN: 0
; COMPUTE_PGM_RSRC2:USER_SGPR: 13
; COMPUTE_PGM_RSRC2:TRAP_HANDLER: 0
; COMPUTE_PGM_RSRC2:TGID_X_EN: 1
; COMPUTE_PGM_RSRC2:TGID_Y_EN: 1
; COMPUTE_PGM_RSRC2:TGID_Z_EN: 1
; COMPUTE_PGM_RSRC2:TIDIG_COMP_CNT: 1
	.section	.text._ZL37rocblas_syrkx_herkx_restricted_kernelIl19rocblas_complex_numIdELi16ELi32ELi8ELi1ELi1ELb1ELc84ELc76EKPKS1_KPS1_EviT_PT9_S7_lS9_S7_lPT10_S7_li,"axG",@progbits,_ZL37rocblas_syrkx_herkx_restricted_kernelIl19rocblas_complex_numIdELi16ELi32ELi8ELi1ELi1ELb1ELc84ELc76EKPKS1_KPS1_EviT_PT9_S7_lS9_S7_lPT10_S7_li,comdat
	.globl	_ZL37rocblas_syrkx_herkx_restricted_kernelIl19rocblas_complex_numIdELi16ELi32ELi8ELi1ELi1ELb1ELc84ELc76EKPKS1_KPS1_EviT_PT9_S7_lS9_S7_lPT10_S7_li ; -- Begin function _ZL37rocblas_syrkx_herkx_restricted_kernelIl19rocblas_complex_numIdELi16ELi32ELi8ELi1ELi1ELb1ELc84ELc76EKPKS1_KPS1_EviT_PT9_S7_lS9_S7_lPT10_S7_li
	.p2align	8
	.type	_ZL37rocblas_syrkx_herkx_restricted_kernelIl19rocblas_complex_numIdELi16ELi32ELi8ELi1ELi1ELb1ELc84ELc76EKPKS1_KPS1_EviT_PT9_S7_lS9_S7_lPT10_S7_li,@function
_ZL37rocblas_syrkx_herkx_restricted_kernelIl19rocblas_complex_numIdELi16ELi32ELi8ELi1ELi1ELb1ELc84ELc76EKPKS1_KPS1_EviT_PT9_S7_lS9_S7_lPT10_S7_li: ; @_ZL37rocblas_syrkx_herkx_restricted_kernelIl19rocblas_complex_numIdELi16ELi32ELi8ELi1ELi1ELb1ELc84ELc76EKPKS1_KPS1_EviT_PT9_S7_lS9_S7_lPT10_S7_li
; %bb.0:
	s_clause 0x1
	s_load_b128 s[4:7], s[0:1], 0x40
	s_load_b128 s[8:11], s[0:1], 0x8
	s_mov_b32 s2, s15
	s_mov_b32 s3, 0
	v_mov_b32_e32 v16, 0
	s_lshl_b64 s[16:17], s[2:3], 3
	v_dual_mov_b32 v17, 0 :: v_dual_and_b32 v20, 0x3ff, v0
	v_bfe_u32 v21, v0, 10, 10
	s_delay_alu instid0(VALU_DEP_3) | instskip(NEXT) | instid1(VALU_DEP_3)
	v_mov_b32_e32 v12, v16
	v_dual_mov_b32 v14, v16 :: v_dual_mov_b32 v15, v17
	v_dual_mov_b32 v19, v17 :: v_dual_mov_b32 v18, v16
	;; [unrolled: 1-line block ×5, first 2 shown]
	v_mov_b32_e32 v7, v17
	s_waitcnt lgkmcnt(0)
	s_add_u32 s2, s4, s16
	s_addc_u32 s3, s5, s17
	v_cmp_lt_i64_e64 s4, s[8:9], 1
	s_load_b64 s[2:3], s[2:3], 0x0
	v_dual_mov_b32 v4, v16 :: v_dual_mov_b32 v5, v17
	s_lshl_b32 s18, s13, 5
	s_lshl_b32 s19, s14, 5
	s_delay_alu instid0(VALU_DEP_2)
	s_and_b32 vcc_lo, exec_lo, s4
	s_cbranch_vccnz .LBB1773_3
; %bb.1:
	s_clause 0x1
	s_load_b128 s[12:15], s[0:1], 0x28
	s_load_b64 s[4:5], s[0:1], 0x18
	v_lshl_add_u32 v2, v21, 4, v20
	v_dual_mov_b32 v1, 0 :: v_dual_and_b32 v0, 7, v20
	s_add_u32 s10, s10, s16
	s_addc_u32 s11, s11, s17
	s_delay_alu instid0(VALU_DEP_2)
	v_lshrrev_b32_e32 v8, 3, v2
	v_and_b32_e32 v9, 31, v2
	v_lshrrev_b32_e32 v2, 5, v2
	v_mov_b32_e32 v3, v1
	s_load_b64 s[10:11], s[10:11], 0x0
	v_add_nc_u32_e32 v10, s19, v8
	v_add_nc_u32_e32 v6, s18, v9
	v_lshl_add_u32 v23, v21, 7, 0x1000
	s_delay_alu instid0(VALU_DEP_3) | instskip(NEXT) | instid1(VALU_DEP_3)
	v_ashrrev_i32_e32 v4, 31, v10
	v_ashrrev_i32_e32 v5, 31, v6
	s_waitcnt lgkmcnt(0)
	s_add_u32 s12, s12, s16
	s_addc_u32 s13, s13, s17
	v_mul_lo_u32 v11, v4, s14
	v_mul_lo_u32 v12, s4, v5
	v_mad_u64_u32 v[4:5], null, s4, v6, v[2:3]
	v_mul_lo_u32 v3, s5, v6
	s_load_b64 s[4:5], s[12:13], 0x0
	v_mul_lo_u32 v13, v10, s15
	v_mad_u64_u32 v[6:7], null, v10, s14, v[0:1]
	v_lshlrev_b32_e32 v0, 4, v0
	s_delay_alu instid0(VALU_DEP_4) | instskip(NEXT) | instid1(VALU_DEP_2)
	v_add3_u32 v5, v3, v5, v12
	v_lshl_or_b32 v8, v8, 7, v0
	s_delay_alu instid0(VALU_DEP_4) | instskip(NEXT) | instid1(VALU_DEP_3)
	v_add3_u32 v7, v11, v7, v13
	v_lshlrev_b64 v[0:1], 4, v[4:5]
	v_mov_b32_e32 v4, 0
	v_mov_b32_e32 v5, 0
	v_lshlrev_b32_e32 v3, 4, v9
	v_lshlrev_b32_e32 v22, 4, v20
	v_add_nc_u32_e32 v25, 0x1000, v8
	v_add_co_u32 v0, vcc_lo, v0, s10
	s_delay_alu instid0(VALU_DEP_4)
	v_lshl_or_b32 v24, v2, 9, v3
	v_lshlrev_b64 v[2:3], 4, v[6:7]
	v_add_co_ci_u32_e32 v1, vcc_lo, s11, v1, vcc_lo
	v_mov_b32_e32 v7, v5
	v_dual_mov_b32 v11, v5 :: v_dual_mov_b32 v10, v4
	s_waitcnt lgkmcnt(0)
	s_delay_alu instid0(VALU_DEP_4) | instskip(SKIP_3) | instid1(VALU_DEP_4)
	v_add_co_u32 v2, vcc_lo, v2, s4
	v_add_co_ci_u32_e32 v3, vcc_lo, s5, v3, vcc_lo
	v_add_co_u32 v0, vcc_lo, v0, 8
	v_add_co_ci_u32_e32 v1, vcc_lo, 0, v1, vcc_lo
	v_add_co_u32 v2, vcc_lo, v2, 8
	s_delay_alu instid0(VALU_DEP_4)
	v_add_co_ci_u32_e32 v3, vcc_lo, 0, v3, vcc_lo
	v_dual_mov_b32 v6, v4 :: v_dual_mov_b32 v9, v5
	v_dual_mov_b32 v8, v4 :: v_dual_mov_b32 v15, v5
	;; [unrolled: 1-line block ×5, first 2 shown]
	v_mov_b32_e32 v16, v4
	s_mov_b64 s[4:5], 0
.LBB1773_2:                             ; =>This Inner Loop Header: Depth=1
	global_load_b128 v[26:29], v[0:1], off offset:-8
	global_load_b128 v[30:33], v[2:3], off offset:-8
	s_add_u32 s4, s4, 8
	v_add_co_u32 v0, vcc_lo, 0x80, v0
	s_addc_u32 s5, s5, 0
	v_add_co_ci_u32_e32 v1, vcc_lo, 0, v1, vcc_lo
	v_cmp_ge_u64_e64 s10, s[4:5], s[8:9]
	v_add_co_u32 v2, vcc_lo, 0x80, v2
	v_add_co_ci_u32_e32 v3, vcc_lo, 0, v3, vcc_lo
	s_waitcnt vmcnt(1)
	ds_store_b128 v24, v[26:29]
	s_waitcnt vmcnt(0)
	ds_store_b128 v25, v[30:33]
	s_waitcnt lgkmcnt(0)
	s_barrier
	buffer_gl0_inv
	ds_load_b128 v[26:29], v23
	ds_load_b128 v[30:33], v22
	ds_load_b128 v[34:37], v22 offset:256
	ds_load_b128 v[38:41], v23 offset:2048
	ds_load_b128 v[42:45], v23 offset:16
	ds_load_b128 v[46:49], v23 offset:2064
	ds_load_b128 v[50:53], v22 offset:512
	ds_load_b128 v[54:57], v22 offset:768
	ds_load_b128 v[58:61], v23 offset:32
	ds_load_b128 v[62:65], v23 offset:48
	ds_load_b128 v[66:69], v22 offset:1024
	ds_load_b128 v[70:73], v22 offset:1280
	ds_load_b128 v[74:77], v23 offset:2080
	ds_load_b128 v[78:81], v23 offset:2096
	ds_load_b128 v[82:85], v22 offset:1536
	s_and_b32 vcc_lo, exec_lo, s10
	s_waitcnt lgkmcnt(13)
	v_mul_f64 v[86:87], v[28:29], v[32:33]
	v_mul_f64 v[88:89], v[26:27], v[32:33]
	s_waitcnt lgkmcnt(12)
	v_mul_f64 v[90:91], v[28:29], v[36:37]
	v_mul_f64 v[92:93], v[26:27], v[36:37]
	s_waitcnt lgkmcnt(11)
	v_mul_f64 v[94:95], v[40:41], v[32:33]
	v_mul_f64 v[32:33], v[38:39], v[32:33]
	v_mul_f64 v[96:97], v[40:41], v[36:37]
	v_mul_f64 v[36:37], v[38:39], v[36:37]
	s_waitcnt lgkmcnt(8)
	v_mul_f64 v[98:99], v[44:45], v[52:53]
	v_mul_f64 v[100:101], v[42:43], v[52:53]
	s_waitcnt lgkmcnt(7)
	v_mul_f64 v[102:103], v[44:45], v[56:57]
	v_mul_f64 v[104:105], v[42:43], v[56:57]
	v_mul_f64 v[106:107], v[48:49], v[52:53]
	v_mul_f64 v[52:53], v[46:47], v[52:53]
	v_mul_f64 v[108:109], v[48:49], v[56:57]
	v_mul_f64 v[56:57], v[46:47], v[56:57]
	s_waitcnt lgkmcnt(3)
	v_mul_f64 v[112:113], v[58:59], v[72:73]
	s_waitcnt lgkmcnt(2)
	v_mul_f64 v[114:115], v[76:77], v[68:69]
	v_mul_f64 v[116:117], v[76:77], v[72:73]
	v_fma_f64 v[86:87], v[26:27], v[30:31], -v[86:87]
	v_fma_f64 v[88:89], v[28:29], v[30:31], v[88:89]
	v_fma_f64 v[90:91], v[26:27], v[34:35], -v[90:91]
	v_fma_f64 v[92:93], v[28:29], v[34:35], v[92:93]
	;; [unrolled: 2-line block ×4, first 2 shown]
	v_mul_f64 v[36:37], v[60:61], v[68:69]
	v_mul_f64 v[40:41], v[58:59], v[68:69]
	;; [unrolled: 1-line block ×5, first 2 shown]
	v_fma_f64 v[98:99], v[42:43], v[50:51], -v[98:99]
	v_fma_f64 v[100:101], v[44:45], v[50:51], v[100:101]
	v_fma_f64 v[42:43], v[42:43], v[54:55], -v[102:103]
	v_fma_f64 v[44:45], v[44:45], v[54:55], v[104:105]
	;; [unrolled: 2-line block ×4, first 2 shown]
	ds_load_b128 v[26:29], v22 offset:1792
	ds_load_b128 v[30:33], v22 offset:2048
	s_waitcnt lgkmcnt(2)
	v_mul_f64 v[56:57], v[64:65], v[84:85]
	v_add_f64 v[16:17], v[16:17], v[86:87]
	v_add_f64 v[18:19], v[18:19], v[88:89]
	;; [unrolled: 1-line block ×8, first 2 shown]
	v_mul_f64 v[86:87], v[62:63], v[84:85]
	s_waitcnt lgkmcnt(1)
	v_mul_f64 v[88:89], v[64:65], v[28:29]
	v_mul_f64 v[90:91], v[62:63], v[28:29]
	;; [unrolled: 1-line block ×6, first 2 shown]
	v_fma_f64 v[104:105], v[58:59], v[66:67], -v[36:37]
	v_fma_f64 v[106:107], v[60:61], v[66:67], v[40:41]
	v_fma_f64 v[58:59], v[58:59], v[70:71], -v[96:97]
	v_fma_f64 v[60:61], v[60:61], v[70:71], v[112:113]
	v_fma_f64 v[96:97], v[74:75], v[66:67], -v[114:115]
	v_fma_f64 v[66:67], v[76:77], v[66:67], v[68:69]
	v_fma_f64 v[68:69], v[74:75], v[70:71], -v[116:117]
	v_fma_f64 v[70:71], v[76:77], v[70:71], v[72:73]
	ds_load_b128 v[4:7], v22 offset:2304
	ds_load_b128 v[8:11], v23 offset:64
	v_fma_f64 v[56:57], v[62:63], v[82:83], -v[56:57]
	v_add_f64 v[72:73], v[16:17], v[98:99]
	v_add_f64 v[74:75], v[18:19], v[100:101]
	;; [unrolled: 1-line block ×8, first 2 shown]
	ds_load_b128 v[12:15], v23 offset:2112
	ds_load_b128 v[16:19], v23 offset:80
	ds_load_b128 v[34:37], v23 offset:2128
	ds_load_b128 v[38:41], v22 offset:2560
	s_waitcnt lgkmcnt(4)
	v_mul_f64 v[54:55], v[10:11], v[32:33]
	v_mul_f64 v[76:77], v[8:9], v[32:33]
	;; [unrolled: 1-line block ×4, first 2 shown]
	v_fma_f64 v[86:87], v[64:65], v[82:83], v[86:87]
	v_fma_f64 v[62:63], v[62:63], v[26:27], -v[88:89]
	v_fma_f64 v[64:65], v[64:65], v[26:27], v[90:91]
	v_fma_f64 v[88:89], v[78:79], v[82:83], -v[92:93]
	;; [unrolled: 2-line block ×3, first 2 shown]
	v_fma_f64 v[80:81], v[80:81], v[26:27], v[28:29]
	s_waitcnt lgkmcnt(3)
	v_mul_f64 v[102:103], v[14:15], v[32:33]
	v_mul_f64 v[32:33], v[12:13], v[32:33]
	;; [unrolled: 1-line block ×4, first 2 shown]
	s_waitcnt lgkmcnt(0)
	v_mul_f64 v[90:91], v[18:19], v[40:41]
	v_mul_f64 v[92:93], v[16:17], v[40:41]
	v_add_f64 v[72:73], v[72:73], v[104:105]
	v_add_f64 v[74:75], v[74:75], v[106:107]
	;; [unrolled: 1-line block ×8, first 2 shown]
	ds_load_b128 v[26:29], v22 offset:2816
	ds_load_b128 v[42:45], v22 offset:3072
	;; [unrolled: 1-line block ×4, first 2 shown]
	v_mul_f64 v[104:105], v[36:37], v[40:41]
	v_mul_f64 v[40:41], v[34:35], v[40:41]
	v_fma_f64 v[54:55], v[8:9], v[30:31], -v[54:55]
	v_fma_f64 v[76:77], v[10:11], v[30:31], v[76:77]
	v_fma_f64 v[98:99], v[8:9], v[4:5], -v[98:99]
	v_fma_f64 v[100:101], v[10:11], v[4:5], v[100:101]
	s_waitcnt lgkmcnt(3)
	v_mul_f64 v[94:95], v[18:19], v[28:29]
	v_mul_f64 v[96:97], v[16:17], v[28:29]
	;; [unrolled: 1-line block ×4, first 2 shown]
	v_fma_f64 v[102:103], v[12:13], v[30:31], -v[102:103]
	v_fma_f64 v[32:33], v[14:15], v[30:31], v[32:33]
	v_fma_f64 v[108:109], v[12:13], v[4:5], -v[108:109]
	v_fma_f64 v[112:113], v[14:15], v[4:5], v[6:7]
	ds_load_b128 v[4:7], v23 offset:2144
	ds_load_b128 v[8:11], v23 offset:112
	;; [unrolled: 1-line block ×4, first 2 shown]
	v_add_f64 v[56:57], v[72:73], v[56:57]
	v_add_f64 v[72:73], v[74:75], v[86:87]
	;; [unrolled: 1-line block ×8, first 2 shown]
	s_waitcnt lgkmcnt(4)
	v_mul_f64 v[70:71], v[52:53], v[44:45]
	v_mul_f64 v[74:75], v[50:51], v[44:45]
	;; [unrolled: 1-line block ×4, first 2 shown]
	s_waitcnt lgkmcnt(3)
	v_mul_f64 v[82:83], v[6:7], v[44:45]
	v_mul_f64 v[44:45], v[4:5], v[44:45]
	;; [unrolled: 1-line block ×4, first 2 shown]
	v_fma_f64 v[86:87], v[16:17], v[38:39], -v[90:91]
	v_fma_f64 v[88:89], v[18:19], v[38:39], v[92:93]
	v_fma_f64 v[90:91], v[16:17], v[26:27], -v[94:95]
	v_fma_f64 v[92:93], v[18:19], v[26:27], v[96:97]
	;; [unrolled: 2-line block ×4, first 2 shown]
	ds_load_b128 v[16:19], v22 offset:3840
	s_waitcnt lgkmcnt(0)
	s_barrier
	buffer_gl0_inv
	v_add_f64 v[36:37], v[56:57], v[54:55]
	v_add_f64 v[40:41], v[72:73], v[76:77]
	;; [unrolled: 1-line block ×8, first 2 shown]
	v_mul_f64 v[64:65], v[10:11], v[30:31]
	v_mul_f64 v[66:67], v[8:9], v[30:31]
	;; [unrolled: 1-line block ×4, first 2 shown]
	v_fma_f64 v[70:71], v[50:51], v[42:43], -v[70:71]
	v_mul_f64 v[68:69], v[10:11], v[18:19]
	v_mul_f64 v[72:73], v[8:9], v[18:19]
	;; [unrolled: 1-line block ×4, first 2 shown]
	v_fma_f64 v[74:75], v[52:53], v[42:43], v[74:75]
	v_fma_f64 v[50:51], v[50:51], v[46:47], -v[78:79]
	v_fma_f64 v[52:53], v[52:53], v[46:47], v[80:81]
	v_fma_f64 v[78:79], v[4:5], v[42:43], -v[82:83]
	v_fma_f64 v[42:43], v[6:7], v[42:43], v[44:45]
	v_fma_f64 v[4:5], v[4:5], v[46:47], -v[84:85]
	v_fma_f64 v[6:7], v[6:7], v[46:47], v[48:49]
	v_add_f64 v[36:37], v[36:37], v[86:87]
	v_add_f64 v[40:41], v[40:41], v[88:89]
	;; [unrolled: 1-line block ×8, first 2 shown]
	v_fma_f64 v[38:39], v[8:9], v[28:29], -v[64:65]
	v_fma_f64 v[54:55], v[10:11], v[28:29], v[66:67]
	v_fma_f64 v[56:57], v[12:13], v[28:29], -v[76:77]
	v_fma_f64 v[28:29], v[14:15], v[28:29], v[30:31]
	;; [unrolled: 2-line block ×4, first 2 shown]
	v_add_f64 v[12:13], v[36:37], v[70:71]
	v_add_f64 v[14:15], v[40:41], v[74:75]
	;; [unrolled: 1-line block ×16, first 2 shown]
	s_cbranch_vccz .LBB1773_2
.LBB1773_3:
	v_add_nc_u32_e32 v21, s19, v21
	s_load_b32 s4, s[0:1], 0x0
	s_delay_alu instid0(VALU_DEP_1) | instskip(SKIP_2) | instid1(VALU_DEP_3)
	v_ashrrev_i32_e32 v0, 31, v21
	v_mul_lo_u32 v3, v21, s7
	v_mad_u64_u32 v[1:2], null, v21, s6, 0
	v_mul_lo_u32 v0, v0, s6
	s_delay_alu instid0(VALU_DEP_1) | instskip(SKIP_1) | instid1(VALU_DEP_2)
	v_add3_u32 v2, v2, v3, v0
	v_add_nc_u32_e32 v0, s18, v20
	v_lshlrev_b64 v[1:2], 4, v[1:2]
	s_delay_alu instid0(VALU_DEP_2) | instskip(SKIP_2) | instid1(VALU_DEP_3)
	v_cmp_le_i32_e64 s0, v21, v0
	s_waitcnt lgkmcnt(0)
	v_cmp_gt_i32_e32 vcc_lo, s4, v0
	v_add_co_u32 v20, s1, s2, v1
	s_delay_alu instid0(VALU_DEP_1) | instskip(SKIP_1) | instid1(SALU_CYCLE_1)
	v_add_co_ci_u32_e64 v22, s1, s3, v2, s1
	s_and_b32 s0, s0, vcc_lo
	s_and_saveexec_b32 s1, s0
	s_cbranch_execz .LBB1773_5
; %bb.4:
	v_ashrrev_i32_e32 v1, 31, v0
	s_delay_alu instid0(VALU_DEP_1) | instskip(NEXT) | instid1(VALU_DEP_1)
	v_lshlrev_b64 v[1:2], 4, v[0:1]
	v_add_co_u32 v1, s0, v20, v1
	s_delay_alu instid0(VALU_DEP_1)
	v_add_co_ci_u32_e64 v2, s0, v22, v2, s0
	v_cmp_ne_u32_e64 s0, v21, v0
	global_load_b128 v[23:26], v[1:2], off
	s_waitcnt vmcnt(0)
	v_add_f64 v[18:19], v[18:19], v[25:26]
	v_add_f64 v[16:17], v[16:17], v[23:24]
	s_delay_alu instid0(VALU_DEP_2) | instskip(NEXT) | instid1(VALU_DEP_3)
	v_cndmask_b32_e64 v19, 0, v19, s0
	v_cndmask_b32_e64 v18, 0, v18, s0
	global_store_b128 v[1:2], v[16:19], off
.LBB1773_5:
	s_or_b32 exec_lo, exec_lo, s1
	v_add_nc_u32_e32 v2, 16, v0
	s_delay_alu instid0(VALU_DEP_1) | instskip(SKIP_1) | instid1(VALU_DEP_1)
	v_cmp_le_i32_e64 s1, v21, v2
	v_cmp_gt_i32_e64 s0, s4, v2
	s_and_b32 s1, s1, s0
	s_delay_alu instid0(SALU_CYCLE_1)
	s_and_saveexec_b32 s4, s1
	s_cbranch_execz .LBB1773_7
; %bb.6:
	v_ashrrev_i32_e32 v3, 31, v2
	s_delay_alu instid0(VALU_DEP_1) | instskip(NEXT) | instid1(VALU_DEP_1)
	v_lshlrev_b64 v[16:17], 4, v[2:3]
	v_add_co_u32 v23, s1, v20, v16
	s_delay_alu instid0(VALU_DEP_1)
	v_add_co_ci_u32_e64 v24, s1, v22, v17, s1
	v_cmp_ne_u32_e64 s1, v21, v2
	global_load_b128 v[16:19], v[23:24], off
	s_waitcnt vmcnt(0)
	v_add_f64 v[14:15], v[14:15], v[18:19]
	v_add_f64 v[12:13], v[12:13], v[16:17]
	s_delay_alu instid0(VALU_DEP_2) | instskip(NEXT) | instid1(VALU_DEP_3)
	v_cndmask_b32_e64 v15, 0, v15, s1
	v_cndmask_b32_e64 v14, 0, v14, s1
	global_store_b128 v[23:24], v[12:15], off
.LBB1773_7:
	s_or_b32 exec_lo, exec_lo, s4
	v_add_nc_u32_e32 v3, 16, v21
	s_delay_alu instid0(VALU_DEP_1) | instskip(SKIP_3) | instid1(VALU_DEP_4)
	v_ashrrev_i32_e32 v1, 31, v3
	v_mul_lo_u32 v14, v3, s7
	v_mad_u64_u32 v[12:13], null, v3, s6, 0
	v_cmp_le_i32_e64 s1, v3, v0
	v_mul_lo_u32 v1, v1, s6
	s_delay_alu instid0(VALU_DEP_1) | instskip(NEXT) | instid1(VALU_DEP_1)
	v_add3_u32 v13, v13, v14, v1
	v_lshlrev_b64 v[12:13], 4, v[12:13]
	s_delay_alu instid0(VALU_DEP_1) | instskip(NEXT) | instid1(VALU_DEP_1)
	v_add_co_u32 v12, s2, s2, v12
	v_add_co_ci_u32_e64 v13, s2, s3, v13, s2
	s_and_b32 s2, s1, vcc_lo
	s_delay_alu instid0(SALU_CYCLE_1)
	s_and_saveexec_b32 s1, s2
	s_cbranch_execz .LBB1773_9
; %bb.8:
	v_ashrrev_i32_e32 v1, 31, v0
	s_delay_alu instid0(VALU_DEP_1) | instskip(NEXT) | instid1(VALU_DEP_1)
	v_lshlrev_b64 v[14:15], 4, v[0:1]
	v_add_co_u32 v18, vcc_lo, v12, v14
	s_delay_alu instid0(VALU_DEP_2)
	v_add_co_ci_u32_e32 v19, vcc_lo, v13, v15, vcc_lo
	v_cmp_ne_u32_e32 vcc_lo, v3, v0
	global_load_b128 v[14:17], v[18:19], off
	s_waitcnt vmcnt(0)
	v_add_f64 v[10:11], v[10:11], v[16:17]
	v_add_f64 v[8:9], v[8:9], v[14:15]
	s_delay_alu instid0(VALU_DEP_2)
	v_dual_cndmask_b32 v11, 0, v11 :: v_dual_cndmask_b32 v10, 0, v10
	global_store_b128 v[18:19], v[8:11], off
.LBB1773_9:
	s_or_b32 exec_lo, exec_lo, s1
	v_cmp_le_i32_e32 vcc_lo, v3, v2
	s_and_b32 s0, vcc_lo, s0
	s_delay_alu instid0(SALU_CYCLE_1)
	s_and_saveexec_b32 s1, s0
	s_cbranch_execz .LBB1773_11
; %bb.10:
	v_ashrrev_i32_e32 v3, 31, v2
	s_delay_alu instid0(VALU_DEP_1) | instskip(NEXT) | instid1(VALU_DEP_1)
	v_lshlrev_b64 v[1:2], 4, v[2:3]
	v_add_co_u32 v12, vcc_lo, v12, v1
	s_delay_alu instid0(VALU_DEP_2)
	v_add_co_ci_u32_e32 v13, vcc_lo, v13, v2, vcc_lo
	v_cmp_ne_u32_e32 vcc_lo, v21, v0
	global_load_b128 v[8:11], v[12:13], off
	s_waitcnt vmcnt(0)
	v_add_f64 v[3:4], v[4:5], v[10:11]
	v_add_f64 v[1:2], v[6:7], v[8:9]
	s_delay_alu instid0(VALU_DEP_2)
	v_dual_cndmask_b32 v4, 0, v4 :: v_dual_cndmask_b32 v3, 0, v3
	global_store_b128 v[12:13], v[1:4], off
.LBB1773_11:
	s_nop 0
	s_sendmsg sendmsg(MSG_DEALLOC_VGPRS)
	s_endpgm
	.section	.rodata,"a",@progbits
	.p2align	6, 0x0
	.amdhsa_kernel _ZL37rocblas_syrkx_herkx_restricted_kernelIl19rocblas_complex_numIdELi16ELi32ELi8ELi1ELi1ELb1ELc84ELc76EKPKS1_KPS1_EviT_PT9_S7_lS9_S7_lPT10_S7_li
		.amdhsa_group_segment_fixed_size 8192
		.amdhsa_private_segment_fixed_size 0
		.amdhsa_kernarg_size 92
		.amdhsa_user_sgpr_count 13
		.amdhsa_user_sgpr_dispatch_ptr 0
		.amdhsa_user_sgpr_queue_ptr 0
		.amdhsa_user_sgpr_kernarg_segment_ptr 1
		.amdhsa_user_sgpr_dispatch_id 0
		.amdhsa_user_sgpr_private_segment_size 0
		.amdhsa_wavefront_size32 1
		.amdhsa_uses_dynamic_stack 0
		.amdhsa_enable_private_segment 0
		.amdhsa_system_sgpr_workgroup_id_x 1
		.amdhsa_system_sgpr_workgroup_id_y 1
		.amdhsa_system_sgpr_workgroup_id_z 1
		.amdhsa_system_sgpr_workgroup_info 0
		.amdhsa_system_vgpr_workitem_id 1
		.amdhsa_next_free_vgpr 118
		.amdhsa_next_free_sgpr 20
		.amdhsa_reserve_vcc 1
		.amdhsa_float_round_mode_32 0
		.amdhsa_float_round_mode_16_64 0
		.amdhsa_float_denorm_mode_32 3
		.amdhsa_float_denorm_mode_16_64 3
		.amdhsa_dx10_clamp 1
		.amdhsa_ieee_mode 1
		.amdhsa_fp16_overflow 0
		.amdhsa_workgroup_processor_mode 1
		.amdhsa_memory_ordered 1
		.amdhsa_forward_progress 0
		.amdhsa_shared_vgpr_count 0
		.amdhsa_exception_fp_ieee_invalid_op 0
		.amdhsa_exception_fp_denorm_src 0
		.amdhsa_exception_fp_ieee_div_zero 0
		.amdhsa_exception_fp_ieee_overflow 0
		.amdhsa_exception_fp_ieee_underflow 0
		.amdhsa_exception_fp_ieee_inexact 0
		.amdhsa_exception_int_div_zero 0
	.end_amdhsa_kernel
	.section	.text._ZL37rocblas_syrkx_herkx_restricted_kernelIl19rocblas_complex_numIdELi16ELi32ELi8ELi1ELi1ELb1ELc84ELc76EKPKS1_KPS1_EviT_PT9_S7_lS9_S7_lPT10_S7_li,"axG",@progbits,_ZL37rocblas_syrkx_herkx_restricted_kernelIl19rocblas_complex_numIdELi16ELi32ELi8ELi1ELi1ELb1ELc84ELc76EKPKS1_KPS1_EviT_PT9_S7_lS9_S7_lPT10_S7_li,comdat
.Lfunc_end1773:
	.size	_ZL37rocblas_syrkx_herkx_restricted_kernelIl19rocblas_complex_numIdELi16ELi32ELi8ELi1ELi1ELb1ELc84ELc76EKPKS1_KPS1_EviT_PT9_S7_lS9_S7_lPT10_S7_li, .Lfunc_end1773-_ZL37rocblas_syrkx_herkx_restricted_kernelIl19rocblas_complex_numIdELi16ELi32ELi8ELi1ELi1ELb1ELc84ELc76EKPKS1_KPS1_EviT_PT9_S7_lS9_S7_lPT10_S7_li
                                        ; -- End function
	.section	.AMDGPU.csdata,"",@progbits
; Kernel info:
; codeLenInByte = 3196
; NumSgprs: 22
; NumVgprs: 118
; ScratchSize: 0
; MemoryBound: 0
; FloatMode: 240
; IeeeMode: 1
; LDSByteSize: 8192 bytes/workgroup (compile time only)
; SGPRBlocks: 2
; VGPRBlocks: 14
; NumSGPRsForWavesPerEU: 22
; NumVGPRsForWavesPerEU: 118
; Occupancy: 12
; WaveLimiterHint : 1
; COMPUTE_PGM_RSRC2:SCRATCH_EN: 0
; COMPUTE_PGM_RSRC2:USER_SGPR: 13
; COMPUTE_PGM_RSRC2:TRAP_HANDLER: 0
; COMPUTE_PGM_RSRC2:TGID_X_EN: 1
; COMPUTE_PGM_RSRC2:TGID_Y_EN: 1
; COMPUTE_PGM_RSRC2:TGID_Z_EN: 1
; COMPUTE_PGM_RSRC2:TIDIG_COMP_CNT: 1
	.section	.text._ZL37rocblas_syrkx_herkx_restricted_kernelIl19rocblas_complex_numIdELi16ELi32ELi8ELi1ELi1ELb1ELc67ELc76EKPKS1_KPS1_EviT_PT9_S7_lS9_S7_lPT10_S7_li,"axG",@progbits,_ZL37rocblas_syrkx_herkx_restricted_kernelIl19rocblas_complex_numIdELi16ELi32ELi8ELi1ELi1ELb1ELc67ELc76EKPKS1_KPS1_EviT_PT9_S7_lS9_S7_lPT10_S7_li,comdat
	.globl	_ZL37rocblas_syrkx_herkx_restricted_kernelIl19rocblas_complex_numIdELi16ELi32ELi8ELi1ELi1ELb1ELc67ELc76EKPKS1_KPS1_EviT_PT9_S7_lS9_S7_lPT10_S7_li ; -- Begin function _ZL37rocblas_syrkx_herkx_restricted_kernelIl19rocblas_complex_numIdELi16ELi32ELi8ELi1ELi1ELb1ELc67ELc76EKPKS1_KPS1_EviT_PT9_S7_lS9_S7_lPT10_S7_li
	.p2align	8
	.type	_ZL37rocblas_syrkx_herkx_restricted_kernelIl19rocblas_complex_numIdELi16ELi32ELi8ELi1ELi1ELb1ELc67ELc76EKPKS1_KPS1_EviT_PT9_S7_lS9_S7_lPT10_S7_li,@function
_ZL37rocblas_syrkx_herkx_restricted_kernelIl19rocblas_complex_numIdELi16ELi32ELi8ELi1ELi1ELb1ELc67ELc76EKPKS1_KPS1_EviT_PT9_S7_lS9_S7_lPT10_S7_li: ; @_ZL37rocblas_syrkx_herkx_restricted_kernelIl19rocblas_complex_numIdELi16ELi32ELi8ELi1ELi1ELb1ELc67ELc76EKPKS1_KPS1_EviT_PT9_S7_lS9_S7_lPT10_S7_li
; %bb.0:
	s_clause 0x1
	s_load_b128 s[4:7], s[0:1], 0x40
	s_load_b128 s[8:11], s[0:1], 0x8
	s_mov_b32 s2, s15
	s_mov_b32 s3, 0
	v_mov_b32_e32 v16, 0
	s_lshl_b64 s[16:17], s[2:3], 3
	v_dual_mov_b32 v17, 0 :: v_dual_and_b32 v20, 0x3ff, v0
	v_bfe_u32 v21, v0, 10, 10
	s_delay_alu instid0(VALU_DEP_3) | instskip(NEXT) | instid1(VALU_DEP_3)
	v_mov_b32_e32 v12, v16
	v_dual_mov_b32 v14, v16 :: v_dual_mov_b32 v15, v17
	v_dual_mov_b32 v19, v17 :: v_dual_mov_b32 v18, v16
	;; [unrolled: 1-line block ×5, first 2 shown]
	v_mov_b32_e32 v7, v17
	s_waitcnt lgkmcnt(0)
	s_add_u32 s2, s4, s16
	s_addc_u32 s3, s5, s17
	v_cmp_lt_i64_e64 s4, s[8:9], 1
	s_load_b64 s[2:3], s[2:3], 0x0
	v_dual_mov_b32 v4, v16 :: v_dual_mov_b32 v5, v17
	s_lshl_b32 s18, s13, 5
	s_lshl_b32 s19, s14, 5
	s_delay_alu instid0(VALU_DEP_2)
	s_and_b32 vcc_lo, exec_lo, s4
	s_cbranch_vccnz .LBB1774_3
; %bb.1:
	s_clause 0x1
	s_load_b128 s[12:15], s[0:1], 0x28
	s_load_b64 s[4:5], s[0:1], 0x18
	v_lshl_add_u32 v2, v21, 4, v20
	v_dual_mov_b32 v1, 0 :: v_dual_and_b32 v0, 7, v20
	s_add_u32 s10, s10, s16
	s_addc_u32 s11, s11, s17
	s_delay_alu instid0(VALU_DEP_2)
	v_lshrrev_b32_e32 v8, 3, v2
	v_and_b32_e32 v9, 31, v2
	v_lshrrev_b32_e32 v2, 5, v2
	v_mov_b32_e32 v3, v1
	s_load_b64 s[10:11], s[10:11], 0x0
	v_add_nc_u32_e32 v10, s19, v8
	v_add_nc_u32_e32 v6, s18, v9
	v_lshl_add_u32 v23, v21, 7, 0x1000
	s_delay_alu instid0(VALU_DEP_3) | instskip(NEXT) | instid1(VALU_DEP_3)
	v_ashrrev_i32_e32 v4, 31, v10
	v_ashrrev_i32_e32 v5, 31, v6
	s_waitcnt lgkmcnt(0)
	s_add_u32 s12, s12, s16
	s_addc_u32 s13, s13, s17
	v_mul_lo_u32 v11, v4, s14
	v_mul_lo_u32 v12, s4, v5
	v_mad_u64_u32 v[4:5], null, s4, v6, v[2:3]
	v_mul_lo_u32 v3, s5, v6
	s_load_b64 s[4:5], s[12:13], 0x0
	v_mul_lo_u32 v13, v10, s15
	v_mad_u64_u32 v[6:7], null, v10, s14, v[0:1]
	v_lshlrev_b32_e32 v0, 4, v0
	s_delay_alu instid0(VALU_DEP_4) | instskip(NEXT) | instid1(VALU_DEP_2)
	v_add3_u32 v5, v3, v5, v12
	v_lshl_or_b32 v8, v8, 7, v0
	s_delay_alu instid0(VALU_DEP_4) | instskip(NEXT) | instid1(VALU_DEP_3)
	v_add3_u32 v7, v11, v7, v13
	v_lshlrev_b64 v[0:1], 4, v[4:5]
	v_mov_b32_e32 v4, 0
	v_mov_b32_e32 v5, 0
	v_lshlrev_b32_e32 v3, 4, v9
	v_lshlrev_b32_e32 v22, 4, v20
	v_add_nc_u32_e32 v25, 0x1000, v8
	v_add_co_u32 v0, vcc_lo, v0, s10
	s_delay_alu instid0(VALU_DEP_4)
	v_lshl_or_b32 v24, v2, 9, v3
	v_lshlrev_b64 v[2:3], 4, v[6:7]
	v_add_co_ci_u32_e32 v1, vcc_lo, s11, v1, vcc_lo
	v_mov_b32_e32 v7, v5
	v_dual_mov_b32 v11, v5 :: v_dual_mov_b32 v10, v4
	s_waitcnt lgkmcnt(0)
	s_delay_alu instid0(VALU_DEP_4) | instskip(SKIP_3) | instid1(VALU_DEP_4)
	v_add_co_u32 v2, vcc_lo, v2, s4
	v_add_co_ci_u32_e32 v3, vcc_lo, s5, v3, vcc_lo
	v_add_co_u32 v0, vcc_lo, v0, 8
	v_add_co_ci_u32_e32 v1, vcc_lo, 0, v1, vcc_lo
	v_add_co_u32 v2, vcc_lo, v2, 8
	s_delay_alu instid0(VALU_DEP_4)
	v_add_co_ci_u32_e32 v3, vcc_lo, 0, v3, vcc_lo
	v_dual_mov_b32 v6, v4 :: v_dual_mov_b32 v9, v5
	v_dual_mov_b32 v8, v4 :: v_dual_mov_b32 v15, v5
	;; [unrolled: 1-line block ×5, first 2 shown]
	v_mov_b32_e32 v16, v4
	s_mov_b64 s[4:5], 0
.LBB1774_2:                             ; =>This Inner Loop Header: Depth=1
	global_load_b128 v[26:29], v[0:1], off offset:-8
	global_load_b128 v[30:33], v[2:3], off offset:-8
	s_add_u32 s4, s4, 8
	v_add_co_u32 v0, vcc_lo, 0x80, v0
	s_addc_u32 s5, s5, 0
	v_add_co_ci_u32_e32 v1, vcc_lo, 0, v1, vcc_lo
	v_cmp_ge_u64_e64 s10, s[4:5], s[8:9]
	v_add_co_u32 v2, vcc_lo, 0x80, v2
	v_add_co_ci_u32_e32 v3, vcc_lo, 0, v3, vcc_lo
	s_delay_alu instid0(VALU_DEP_3)
	s_and_b32 vcc_lo, exec_lo, s10
	s_waitcnt vmcnt(1)
	v_xor_b32_e32 v29, 0x80000000, v29
	ds_store_b128 v24, v[26:29]
	s_waitcnt vmcnt(0)
	ds_store_b128 v25, v[30:33]
	s_waitcnt lgkmcnt(0)
	s_barrier
	buffer_gl0_inv
	ds_load_b128 v[26:29], v23
	ds_load_b128 v[30:33], v22
	ds_load_b128 v[34:37], v22 offset:256
	ds_load_b128 v[38:41], v23 offset:2048
	;; [unrolled: 1-line block ×13, first 2 shown]
	s_waitcnt lgkmcnt(13)
	v_mul_f64 v[86:87], v[28:29], v[32:33]
	v_mul_f64 v[88:89], v[26:27], v[32:33]
	s_waitcnt lgkmcnt(12)
	v_mul_f64 v[90:91], v[28:29], v[36:37]
	v_mul_f64 v[92:93], v[26:27], v[36:37]
	;; [unrolled: 3-line block ×3, first 2 shown]
	v_mul_f64 v[96:97], v[40:41], v[36:37]
	v_mul_f64 v[36:37], v[38:39], v[36:37]
	s_waitcnt lgkmcnt(8)
	v_mul_f64 v[98:99], v[44:45], v[52:53]
	v_mul_f64 v[100:101], v[42:43], v[52:53]
	s_waitcnt lgkmcnt(7)
	v_mul_f64 v[102:103], v[44:45], v[56:57]
	v_mul_f64 v[104:105], v[42:43], v[56:57]
	;; [unrolled: 1-line block ×6, first 2 shown]
	s_waitcnt lgkmcnt(3)
	v_mul_f64 v[112:113], v[58:59], v[72:73]
	s_waitcnt lgkmcnt(2)
	v_mul_f64 v[114:115], v[76:77], v[68:69]
	v_mul_f64 v[116:117], v[76:77], v[72:73]
	v_fma_f64 v[86:87], v[26:27], v[30:31], -v[86:87]
	v_fma_f64 v[88:89], v[28:29], v[30:31], v[88:89]
	v_fma_f64 v[90:91], v[26:27], v[34:35], -v[90:91]
	v_fma_f64 v[92:93], v[28:29], v[34:35], v[92:93]
	;; [unrolled: 2-line block ×4, first 2 shown]
	v_mul_f64 v[36:37], v[60:61], v[68:69]
	v_mul_f64 v[40:41], v[58:59], v[68:69]
	;; [unrolled: 1-line block ×5, first 2 shown]
	v_fma_f64 v[98:99], v[42:43], v[50:51], -v[98:99]
	v_fma_f64 v[100:101], v[44:45], v[50:51], v[100:101]
	v_fma_f64 v[42:43], v[42:43], v[54:55], -v[102:103]
	v_fma_f64 v[44:45], v[44:45], v[54:55], v[104:105]
	;; [unrolled: 2-line block ×4, first 2 shown]
	ds_load_b128 v[26:29], v22 offset:1792
	ds_load_b128 v[30:33], v22 offset:2048
	s_waitcnt lgkmcnt(2)
	v_mul_f64 v[56:57], v[64:65], v[84:85]
	v_add_f64 v[16:17], v[16:17], v[86:87]
	v_add_f64 v[18:19], v[18:19], v[88:89]
	;; [unrolled: 1-line block ×8, first 2 shown]
	v_mul_f64 v[86:87], v[62:63], v[84:85]
	s_waitcnt lgkmcnt(1)
	v_mul_f64 v[88:89], v[64:65], v[28:29]
	v_mul_f64 v[90:91], v[62:63], v[28:29]
	;; [unrolled: 1-line block ×6, first 2 shown]
	v_fma_f64 v[104:105], v[58:59], v[66:67], -v[36:37]
	v_fma_f64 v[106:107], v[60:61], v[66:67], v[40:41]
	v_fma_f64 v[58:59], v[58:59], v[70:71], -v[96:97]
	v_fma_f64 v[60:61], v[60:61], v[70:71], v[112:113]
	;; [unrolled: 2-line block ×4, first 2 shown]
	ds_load_b128 v[4:7], v22 offset:2304
	ds_load_b128 v[8:11], v23 offset:64
	v_fma_f64 v[56:57], v[62:63], v[82:83], -v[56:57]
	v_add_f64 v[72:73], v[16:17], v[98:99]
	v_add_f64 v[74:75], v[18:19], v[100:101]
	;; [unrolled: 1-line block ×8, first 2 shown]
	ds_load_b128 v[12:15], v23 offset:2112
	ds_load_b128 v[16:19], v23 offset:80
	ds_load_b128 v[34:37], v23 offset:2128
	ds_load_b128 v[38:41], v22 offset:2560
	s_waitcnt lgkmcnt(4)
	v_mul_f64 v[54:55], v[10:11], v[32:33]
	v_mul_f64 v[76:77], v[8:9], v[32:33]
	;; [unrolled: 1-line block ×4, first 2 shown]
	v_fma_f64 v[86:87], v[64:65], v[82:83], v[86:87]
	v_fma_f64 v[62:63], v[62:63], v[26:27], -v[88:89]
	v_fma_f64 v[64:65], v[64:65], v[26:27], v[90:91]
	v_fma_f64 v[88:89], v[78:79], v[82:83], -v[92:93]
	;; [unrolled: 2-line block ×3, first 2 shown]
	v_fma_f64 v[80:81], v[80:81], v[26:27], v[28:29]
	s_waitcnt lgkmcnt(3)
	v_mul_f64 v[102:103], v[14:15], v[32:33]
	v_mul_f64 v[32:33], v[12:13], v[32:33]
	;; [unrolled: 1-line block ×4, first 2 shown]
	s_waitcnt lgkmcnt(0)
	v_mul_f64 v[90:91], v[18:19], v[40:41]
	v_mul_f64 v[92:93], v[16:17], v[40:41]
	v_add_f64 v[72:73], v[72:73], v[104:105]
	v_add_f64 v[74:75], v[74:75], v[106:107]
	;; [unrolled: 1-line block ×8, first 2 shown]
	ds_load_b128 v[26:29], v22 offset:2816
	ds_load_b128 v[42:45], v22 offset:3072
	;; [unrolled: 1-line block ×4, first 2 shown]
	v_mul_f64 v[104:105], v[36:37], v[40:41]
	v_mul_f64 v[40:41], v[34:35], v[40:41]
	v_fma_f64 v[54:55], v[8:9], v[30:31], -v[54:55]
	v_fma_f64 v[76:77], v[10:11], v[30:31], v[76:77]
	v_fma_f64 v[98:99], v[8:9], v[4:5], -v[98:99]
	v_fma_f64 v[100:101], v[10:11], v[4:5], v[100:101]
	s_waitcnt lgkmcnt(3)
	v_mul_f64 v[94:95], v[18:19], v[28:29]
	v_mul_f64 v[96:97], v[16:17], v[28:29]
	;; [unrolled: 1-line block ×4, first 2 shown]
	v_fma_f64 v[102:103], v[12:13], v[30:31], -v[102:103]
	v_fma_f64 v[32:33], v[14:15], v[30:31], v[32:33]
	v_fma_f64 v[108:109], v[12:13], v[4:5], -v[108:109]
	v_fma_f64 v[112:113], v[14:15], v[4:5], v[6:7]
	ds_load_b128 v[4:7], v23 offset:2144
	ds_load_b128 v[8:11], v23 offset:112
	;; [unrolled: 1-line block ×4, first 2 shown]
	v_add_f64 v[56:57], v[72:73], v[56:57]
	v_add_f64 v[72:73], v[74:75], v[86:87]
	;; [unrolled: 1-line block ×8, first 2 shown]
	s_waitcnt lgkmcnt(4)
	v_mul_f64 v[70:71], v[52:53], v[44:45]
	v_mul_f64 v[74:75], v[50:51], v[44:45]
	;; [unrolled: 1-line block ×4, first 2 shown]
	s_waitcnt lgkmcnt(3)
	v_mul_f64 v[82:83], v[6:7], v[44:45]
	v_mul_f64 v[44:45], v[4:5], v[44:45]
	;; [unrolled: 1-line block ×4, first 2 shown]
	v_fma_f64 v[86:87], v[16:17], v[38:39], -v[90:91]
	v_fma_f64 v[88:89], v[18:19], v[38:39], v[92:93]
	v_fma_f64 v[90:91], v[16:17], v[26:27], -v[94:95]
	v_fma_f64 v[92:93], v[18:19], v[26:27], v[96:97]
	;; [unrolled: 2-line block ×4, first 2 shown]
	ds_load_b128 v[16:19], v22 offset:3840
	s_waitcnt lgkmcnt(0)
	s_barrier
	buffer_gl0_inv
	v_add_f64 v[36:37], v[56:57], v[54:55]
	v_add_f64 v[40:41], v[72:73], v[76:77]
	;; [unrolled: 1-line block ×8, first 2 shown]
	v_mul_f64 v[64:65], v[10:11], v[30:31]
	v_mul_f64 v[66:67], v[8:9], v[30:31]
	;; [unrolled: 1-line block ×4, first 2 shown]
	v_fma_f64 v[70:71], v[50:51], v[42:43], -v[70:71]
	v_mul_f64 v[68:69], v[10:11], v[18:19]
	v_mul_f64 v[72:73], v[8:9], v[18:19]
	v_mul_f64 v[96:97], v[14:15], v[18:19]
	v_mul_f64 v[18:19], v[12:13], v[18:19]
	v_fma_f64 v[74:75], v[52:53], v[42:43], v[74:75]
	v_fma_f64 v[50:51], v[50:51], v[46:47], -v[78:79]
	v_fma_f64 v[52:53], v[52:53], v[46:47], v[80:81]
	v_fma_f64 v[78:79], v[4:5], v[42:43], -v[82:83]
	;; [unrolled: 2-line block ×3, first 2 shown]
	v_fma_f64 v[6:7], v[6:7], v[46:47], v[48:49]
	v_add_f64 v[36:37], v[36:37], v[86:87]
	v_add_f64 v[40:41], v[40:41], v[88:89]
	;; [unrolled: 1-line block ×8, first 2 shown]
	v_fma_f64 v[38:39], v[8:9], v[28:29], -v[64:65]
	v_fma_f64 v[54:55], v[10:11], v[28:29], v[66:67]
	v_fma_f64 v[56:57], v[12:13], v[28:29], -v[76:77]
	v_fma_f64 v[28:29], v[14:15], v[28:29], v[30:31]
	;; [unrolled: 2-line block ×4, first 2 shown]
	v_add_f64 v[12:13], v[36:37], v[70:71]
	v_add_f64 v[14:15], v[40:41], v[74:75]
	;; [unrolled: 1-line block ×16, first 2 shown]
	s_cbranch_vccz .LBB1774_2
.LBB1774_3:
	v_add_nc_u32_e32 v21, s19, v21
	s_load_b32 s4, s[0:1], 0x0
	s_delay_alu instid0(VALU_DEP_1) | instskip(SKIP_2) | instid1(VALU_DEP_3)
	v_ashrrev_i32_e32 v0, 31, v21
	v_mul_lo_u32 v3, v21, s7
	v_mad_u64_u32 v[1:2], null, v21, s6, 0
	v_mul_lo_u32 v0, v0, s6
	s_delay_alu instid0(VALU_DEP_1) | instskip(SKIP_1) | instid1(VALU_DEP_2)
	v_add3_u32 v2, v2, v3, v0
	v_add_nc_u32_e32 v0, s18, v20
	v_lshlrev_b64 v[1:2], 4, v[1:2]
	s_delay_alu instid0(VALU_DEP_2) | instskip(SKIP_2) | instid1(VALU_DEP_3)
	v_cmp_le_i32_e64 s0, v21, v0
	s_waitcnt lgkmcnt(0)
	v_cmp_gt_i32_e32 vcc_lo, s4, v0
	v_add_co_u32 v20, s1, s2, v1
	s_delay_alu instid0(VALU_DEP_1) | instskip(SKIP_1) | instid1(SALU_CYCLE_1)
	v_add_co_ci_u32_e64 v22, s1, s3, v2, s1
	s_and_b32 s0, s0, vcc_lo
	s_and_saveexec_b32 s1, s0
	s_cbranch_execz .LBB1774_5
; %bb.4:
	v_ashrrev_i32_e32 v1, 31, v0
	s_delay_alu instid0(VALU_DEP_1) | instskip(NEXT) | instid1(VALU_DEP_1)
	v_lshlrev_b64 v[1:2], 4, v[0:1]
	v_add_co_u32 v1, s0, v20, v1
	s_delay_alu instid0(VALU_DEP_1)
	v_add_co_ci_u32_e64 v2, s0, v22, v2, s0
	v_cmp_ne_u32_e64 s0, v21, v0
	global_load_b128 v[23:26], v[1:2], off
	s_waitcnt vmcnt(0)
	v_add_f64 v[18:19], v[18:19], v[25:26]
	v_add_f64 v[16:17], v[16:17], v[23:24]
	s_delay_alu instid0(VALU_DEP_2) | instskip(NEXT) | instid1(VALU_DEP_3)
	v_cndmask_b32_e64 v19, 0, v19, s0
	v_cndmask_b32_e64 v18, 0, v18, s0
	global_store_b128 v[1:2], v[16:19], off
.LBB1774_5:
	s_or_b32 exec_lo, exec_lo, s1
	v_add_nc_u32_e32 v2, 16, v0
	s_delay_alu instid0(VALU_DEP_1) | instskip(SKIP_1) | instid1(VALU_DEP_1)
	v_cmp_le_i32_e64 s1, v21, v2
	v_cmp_gt_i32_e64 s0, s4, v2
	s_and_b32 s1, s1, s0
	s_delay_alu instid0(SALU_CYCLE_1)
	s_and_saveexec_b32 s4, s1
	s_cbranch_execz .LBB1774_7
; %bb.6:
	v_ashrrev_i32_e32 v3, 31, v2
	s_delay_alu instid0(VALU_DEP_1) | instskip(NEXT) | instid1(VALU_DEP_1)
	v_lshlrev_b64 v[16:17], 4, v[2:3]
	v_add_co_u32 v23, s1, v20, v16
	s_delay_alu instid0(VALU_DEP_1)
	v_add_co_ci_u32_e64 v24, s1, v22, v17, s1
	v_cmp_ne_u32_e64 s1, v21, v2
	global_load_b128 v[16:19], v[23:24], off
	s_waitcnt vmcnt(0)
	v_add_f64 v[14:15], v[14:15], v[18:19]
	v_add_f64 v[12:13], v[12:13], v[16:17]
	s_delay_alu instid0(VALU_DEP_2) | instskip(NEXT) | instid1(VALU_DEP_3)
	v_cndmask_b32_e64 v15, 0, v15, s1
	v_cndmask_b32_e64 v14, 0, v14, s1
	global_store_b128 v[23:24], v[12:15], off
.LBB1774_7:
	s_or_b32 exec_lo, exec_lo, s4
	v_add_nc_u32_e32 v3, 16, v21
	s_delay_alu instid0(VALU_DEP_1) | instskip(SKIP_3) | instid1(VALU_DEP_4)
	v_ashrrev_i32_e32 v1, 31, v3
	v_mul_lo_u32 v14, v3, s7
	v_mad_u64_u32 v[12:13], null, v3, s6, 0
	v_cmp_le_i32_e64 s1, v3, v0
	v_mul_lo_u32 v1, v1, s6
	s_delay_alu instid0(VALU_DEP_1) | instskip(NEXT) | instid1(VALU_DEP_1)
	v_add3_u32 v13, v13, v14, v1
	v_lshlrev_b64 v[12:13], 4, v[12:13]
	s_delay_alu instid0(VALU_DEP_1) | instskip(NEXT) | instid1(VALU_DEP_1)
	v_add_co_u32 v12, s2, s2, v12
	v_add_co_ci_u32_e64 v13, s2, s3, v13, s2
	s_and_b32 s2, s1, vcc_lo
	s_delay_alu instid0(SALU_CYCLE_1)
	s_and_saveexec_b32 s1, s2
	s_cbranch_execz .LBB1774_9
; %bb.8:
	v_ashrrev_i32_e32 v1, 31, v0
	s_delay_alu instid0(VALU_DEP_1) | instskip(NEXT) | instid1(VALU_DEP_1)
	v_lshlrev_b64 v[14:15], 4, v[0:1]
	v_add_co_u32 v18, vcc_lo, v12, v14
	s_delay_alu instid0(VALU_DEP_2)
	v_add_co_ci_u32_e32 v19, vcc_lo, v13, v15, vcc_lo
	v_cmp_ne_u32_e32 vcc_lo, v3, v0
	global_load_b128 v[14:17], v[18:19], off
	s_waitcnt vmcnt(0)
	v_add_f64 v[10:11], v[10:11], v[16:17]
	v_add_f64 v[8:9], v[8:9], v[14:15]
	s_delay_alu instid0(VALU_DEP_2)
	v_dual_cndmask_b32 v11, 0, v11 :: v_dual_cndmask_b32 v10, 0, v10
	global_store_b128 v[18:19], v[8:11], off
.LBB1774_9:
	s_or_b32 exec_lo, exec_lo, s1
	v_cmp_le_i32_e32 vcc_lo, v3, v2
	s_and_b32 s0, vcc_lo, s0
	s_delay_alu instid0(SALU_CYCLE_1)
	s_and_saveexec_b32 s1, s0
	s_cbranch_execz .LBB1774_11
; %bb.10:
	v_ashrrev_i32_e32 v3, 31, v2
	s_delay_alu instid0(VALU_DEP_1) | instskip(NEXT) | instid1(VALU_DEP_1)
	v_lshlrev_b64 v[1:2], 4, v[2:3]
	v_add_co_u32 v12, vcc_lo, v12, v1
	s_delay_alu instid0(VALU_DEP_2)
	v_add_co_ci_u32_e32 v13, vcc_lo, v13, v2, vcc_lo
	v_cmp_ne_u32_e32 vcc_lo, v21, v0
	global_load_b128 v[8:11], v[12:13], off
	s_waitcnt vmcnt(0)
	v_add_f64 v[3:4], v[4:5], v[10:11]
	v_add_f64 v[1:2], v[6:7], v[8:9]
	s_delay_alu instid0(VALU_DEP_2)
	v_dual_cndmask_b32 v4, 0, v4 :: v_dual_cndmask_b32 v3, 0, v3
	global_store_b128 v[12:13], v[1:4], off
.LBB1774_11:
	s_nop 0
	s_sendmsg sendmsg(MSG_DEALLOC_VGPRS)
	s_endpgm
	.section	.rodata,"a",@progbits
	.p2align	6, 0x0
	.amdhsa_kernel _ZL37rocblas_syrkx_herkx_restricted_kernelIl19rocblas_complex_numIdELi16ELi32ELi8ELi1ELi1ELb1ELc67ELc76EKPKS1_KPS1_EviT_PT9_S7_lS9_S7_lPT10_S7_li
		.amdhsa_group_segment_fixed_size 8192
		.amdhsa_private_segment_fixed_size 0
		.amdhsa_kernarg_size 92
		.amdhsa_user_sgpr_count 13
		.amdhsa_user_sgpr_dispatch_ptr 0
		.amdhsa_user_sgpr_queue_ptr 0
		.amdhsa_user_sgpr_kernarg_segment_ptr 1
		.amdhsa_user_sgpr_dispatch_id 0
		.amdhsa_user_sgpr_private_segment_size 0
		.amdhsa_wavefront_size32 1
		.amdhsa_uses_dynamic_stack 0
		.amdhsa_enable_private_segment 0
		.amdhsa_system_sgpr_workgroup_id_x 1
		.amdhsa_system_sgpr_workgroup_id_y 1
		.amdhsa_system_sgpr_workgroup_id_z 1
		.amdhsa_system_sgpr_workgroup_info 0
		.amdhsa_system_vgpr_workitem_id 1
		.amdhsa_next_free_vgpr 118
		.amdhsa_next_free_sgpr 20
		.amdhsa_reserve_vcc 1
		.amdhsa_float_round_mode_32 0
		.amdhsa_float_round_mode_16_64 0
		.amdhsa_float_denorm_mode_32 3
		.amdhsa_float_denorm_mode_16_64 3
		.amdhsa_dx10_clamp 1
		.amdhsa_ieee_mode 1
		.amdhsa_fp16_overflow 0
		.amdhsa_workgroup_processor_mode 1
		.amdhsa_memory_ordered 1
		.amdhsa_forward_progress 0
		.amdhsa_shared_vgpr_count 0
		.amdhsa_exception_fp_ieee_invalid_op 0
		.amdhsa_exception_fp_denorm_src 0
		.amdhsa_exception_fp_ieee_div_zero 0
		.amdhsa_exception_fp_ieee_overflow 0
		.amdhsa_exception_fp_ieee_underflow 0
		.amdhsa_exception_fp_ieee_inexact 0
		.amdhsa_exception_int_div_zero 0
	.end_amdhsa_kernel
	.section	.text._ZL37rocblas_syrkx_herkx_restricted_kernelIl19rocblas_complex_numIdELi16ELi32ELi8ELi1ELi1ELb1ELc67ELc76EKPKS1_KPS1_EviT_PT9_S7_lS9_S7_lPT10_S7_li,"axG",@progbits,_ZL37rocblas_syrkx_herkx_restricted_kernelIl19rocblas_complex_numIdELi16ELi32ELi8ELi1ELi1ELb1ELc67ELc76EKPKS1_KPS1_EviT_PT9_S7_lS9_S7_lPT10_S7_li,comdat
.Lfunc_end1774:
	.size	_ZL37rocblas_syrkx_herkx_restricted_kernelIl19rocblas_complex_numIdELi16ELi32ELi8ELi1ELi1ELb1ELc67ELc76EKPKS1_KPS1_EviT_PT9_S7_lS9_S7_lPT10_S7_li, .Lfunc_end1774-_ZL37rocblas_syrkx_herkx_restricted_kernelIl19rocblas_complex_numIdELi16ELi32ELi8ELi1ELi1ELb1ELc67ELc76EKPKS1_KPS1_EviT_PT9_S7_lS9_S7_lPT10_S7_li
                                        ; -- End function
	.section	.AMDGPU.csdata,"",@progbits
; Kernel info:
; codeLenInByte = 3208
; NumSgprs: 22
; NumVgprs: 118
; ScratchSize: 0
; MemoryBound: 0
; FloatMode: 240
; IeeeMode: 1
; LDSByteSize: 8192 bytes/workgroup (compile time only)
; SGPRBlocks: 2
; VGPRBlocks: 14
; NumSGPRsForWavesPerEU: 22
; NumVGPRsForWavesPerEU: 118
; Occupancy: 12
; WaveLimiterHint : 1
; COMPUTE_PGM_RSRC2:SCRATCH_EN: 0
; COMPUTE_PGM_RSRC2:USER_SGPR: 13
; COMPUTE_PGM_RSRC2:TRAP_HANDLER: 0
; COMPUTE_PGM_RSRC2:TGID_X_EN: 1
; COMPUTE_PGM_RSRC2:TGID_Y_EN: 1
; COMPUTE_PGM_RSRC2:TGID_Z_EN: 1
; COMPUTE_PGM_RSRC2:TIDIG_COMP_CNT: 1
	.section	.text._ZL37rocblas_syrkx_herkx_restricted_kernelIl19rocblas_complex_numIdELi16ELi32ELi8ELi1ELi1ELb1ELc78ELc76EKPKS1_KPS1_EviT_PT9_S7_lS9_S7_lPT10_S7_li,"axG",@progbits,_ZL37rocblas_syrkx_herkx_restricted_kernelIl19rocblas_complex_numIdELi16ELi32ELi8ELi1ELi1ELb1ELc78ELc76EKPKS1_KPS1_EviT_PT9_S7_lS9_S7_lPT10_S7_li,comdat
	.globl	_ZL37rocblas_syrkx_herkx_restricted_kernelIl19rocblas_complex_numIdELi16ELi32ELi8ELi1ELi1ELb1ELc78ELc76EKPKS1_KPS1_EviT_PT9_S7_lS9_S7_lPT10_S7_li ; -- Begin function _ZL37rocblas_syrkx_herkx_restricted_kernelIl19rocblas_complex_numIdELi16ELi32ELi8ELi1ELi1ELb1ELc78ELc76EKPKS1_KPS1_EviT_PT9_S7_lS9_S7_lPT10_S7_li
	.p2align	8
	.type	_ZL37rocblas_syrkx_herkx_restricted_kernelIl19rocblas_complex_numIdELi16ELi32ELi8ELi1ELi1ELb1ELc78ELc76EKPKS1_KPS1_EviT_PT9_S7_lS9_S7_lPT10_S7_li,@function
_ZL37rocblas_syrkx_herkx_restricted_kernelIl19rocblas_complex_numIdELi16ELi32ELi8ELi1ELi1ELb1ELc78ELc76EKPKS1_KPS1_EviT_PT9_S7_lS9_S7_lPT10_S7_li: ; @_ZL37rocblas_syrkx_herkx_restricted_kernelIl19rocblas_complex_numIdELi16ELi32ELi8ELi1ELi1ELb1ELc78ELc76EKPKS1_KPS1_EviT_PT9_S7_lS9_S7_lPT10_S7_li
; %bb.0:
	s_clause 0x1
	s_load_b128 s[4:7], s[0:1], 0x40
	s_load_b128 s[8:11], s[0:1], 0x8
	s_mov_b32 s2, s15
	s_mov_b32 s3, 0
	v_mov_b32_e32 v16, 0
	s_lshl_b64 s[16:17], s[2:3], 3
	v_dual_mov_b32 v17, 0 :: v_dual_and_b32 v20, 0x3ff, v0
	v_bfe_u32 v21, v0, 10, 10
	s_delay_alu instid0(VALU_DEP_3) | instskip(NEXT) | instid1(VALU_DEP_3)
	v_mov_b32_e32 v12, v16
	v_dual_mov_b32 v14, v16 :: v_dual_mov_b32 v15, v17
	v_dual_mov_b32 v19, v17 :: v_dual_mov_b32 v18, v16
	;; [unrolled: 1-line block ×5, first 2 shown]
	v_mov_b32_e32 v7, v17
	s_waitcnt lgkmcnt(0)
	s_add_u32 s2, s4, s16
	s_addc_u32 s3, s5, s17
	v_cmp_lt_i64_e64 s4, s[8:9], 1
	s_load_b64 s[2:3], s[2:3], 0x0
	v_dual_mov_b32 v4, v16 :: v_dual_mov_b32 v5, v17
	s_lshl_b32 s18, s13, 5
	s_lshl_b32 s19, s14, 5
	s_delay_alu instid0(VALU_DEP_2)
	s_and_b32 vcc_lo, exec_lo, s4
	s_cbranch_vccnz .LBB1775_3
; %bb.1:
	v_lshl_add_u32 v1, v21, 4, v20
	s_clause 0x1
	s_load_b64 s[4:5], s[0:1], 0x18
	s_load_b128 s[12:15], s[0:1], 0x28
	v_and_b32_e32 v6, 7, v20
	s_add_u32 s10, s10, s16
	s_addc_u32 s11, s11, s17
	v_and_b32_e32 v14, 31, v1
	v_lshrrev_b32_e32 v15, 3, v1
	v_lshrrev_b32_e32 v16, 5, v1
	s_load_b64 s[10:11], s[10:11], 0x0
	v_lshl_add_u32 v23, v21, 7, 0x1000
	v_add_nc_u32_e32 v0, s18, v14
	v_add_nc_u32_e32 v2, s19, v15
	s_delay_alu instid0(VALU_DEP_2) | instskip(NEXT) | instid1(VALU_DEP_2)
	v_ashrrev_i32_e32 v1, 31, v0
	v_ashrrev_i32_e32 v3, 31, v2
	s_waitcnt lgkmcnt(0)
	s_delay_alu instid0(VALU_DEP_2) | instskip(NEXT) | instid1(VALU_DEP_2)
	v_mad_u64_u32 v[10:11], null, v16, s4, v[0:1]
	v_mad_u64_u32 v[0:1], null, v6, s14, v[2:3]
	s_add_u32 s12, s12, s16
	s_addc_u32 s13, s13, s17
	s_load_b64 s[12:13], s[12:13], 0x0
	s_delay_alu instid0(VALU_DEP_2) | instskip(NEXT) | instid1(VALU_DEP_1)
	v_mov_b32_e32 v2, v11
	v_mad_u64_u32 v[3:4], null, v16, s5, v[2:3]
	v_mov_b32_e32 v4, 0
	v_mov_b32_e32 v5, 0
	s_lshl_b64 s[4:5], s[4:5], 7
	s_delay_alu instid0(VALU_DEP_1)
	v_mov_b32_e32 v9, v5
	v_mad_u64_u32 v[12:13], null, v6, s15, v[1:2]
	v_lshlrev_b32_e32 v13, 4, v14
	v_lshlrev_b32_e32 v1, 4, v6
	v_dual_mov_b32 v11, v3 :: v_dual_lshlrev_b32 v22, 4, v20
	v_mov_b32_e32 v7, v5
	s_delay_alu instid0(VALU_DEP_4) | instskip(NEXT) | instid1(VALU_DEP_4)
	v_lshl_or_b32 v24, v16, 9, v13
	v_lshl_or_b32 v14, v15, 7, v1
	v_mov_b32_e32 v1, v12
	v_lshlrev_b64 v[2:3], 4, v[10:11]
	v_dual_mov_b32 v6, v4 :: v_dual_mov_b32 v11, v5
	s_delay_alu instid0(VALU_DEP_4) | instskip(NEXT) | instid1(VALU_DEP_4)
	v_dual_mov_b32 v8, v4 :: v_dual_add_nc_u32 v25, 0x1000, v14
	v_lshlrev_b64 v[0:1], 4, v[0:1]
	s_delay_alu instid0(VALU_DEP_4) | instskip(SKIP_3) | instid1(VALU_DEP_4)
	v_add_co_u32 v2, vcc_lo, v2, s10
	v_add_co_ci_u32_e32 v3, vcc_lo, s11, v3, vcc_lo
	v_dual_mov_b32 v10, v4 :: v_dual_mov_b32 v15, v5
	s_waitcnt lgkmcnt(0)
	v_add_co_u32 v12, vcc_lo, v0, s12
	v_add_co_ci_u32_e32 v13, vcc_lo, s13, v1, vcc_lo
	v_add_co_u32 v0, vcc_lo, v2, 8
	v_add_co_ci_u32_e32 v1, vcc_lo, 0, v3, vcc_lo
	s_delay_alu instid0(VALU_DEP_4) | instskip(NEXT) | instid1(VALU_DEP_4)
	v_add_co_u32 v2, vcc_lo, v12, 8
	v_add_co_ci_u32_e32 v3, vcc_lo, 0, v13, vcc_lo
	v_dual_mov_b32 v14, v4 :: v_dual_mov_b32 v13, v5
	v_dual_mov_b32 v12, v4 :: v_dual_mov_b32 v19, v5
	;; [unrolled: 1-line block ×3, first 2 shown]
	v_mov_b32_e32 v16, v4
	s_lshl_b64 s[10:11], s[14:15], 7
	s_mov_b64 s[12:13], 0
.LBB1775_2:                             ; =>This Inner Loop Header: Depth=1
	global_load_b128 v[26:29], v[2:3], off offset:-8
	global_load_b128 v[30:33], v[0:1], off offset:-8
	s_add_u32 s12, s12, 8
	v_add_co_u32 v0, vcc_lo, v0, s4
	s_addc_u32 s13, s13, 0
	v_add_co_ci_u32_e32 v1, vcc_lo, s5, v1, vcc_lo
	v_cmp_ge_u64_e64 s14, s[12:13], s[8:9]
	v_add_co_u32 v2, vcc_lo, v2, s10
	v_add_co_ci_u32_e32 v3, vcc_lo, s11, v3, vcc_lo
	s_delay_alu instid0(VALU_DEP_3)
	s_and_b32 vcc_lo, exec_lo, s14
	s_waitcnt vmcnt(1)
	v_xor_b32_e32 v29, 0x80000000, v29
	s_waitcnt vmcnt(0)
	ds_store_b128 v24, v[30:33]
	ds_store_b128 v25, v[26:29]
	s_waitcnt lgkmcnt(0)
	s_barrier
	buffer_gl0_inv
	ds_load_b128 v[26:29], v23
	ds_load_b128 v[30:33], v22
	ds_load_b128 v[34:37], v22 offset:256
	ds_load_b128 v[38:41], v23 offset:2048
	;; [unrolled: 1-line block ×13, first 2 shown]
	s_waitcnt lgkmcnt(13)
	v_mul_f64 v[86:87], v[28:29], v[32:33]
	v_mul_f64 v[88:89], v[26:27], v[32:33]
	s_waitcnt lgkmcnt(12)
	v_mul_f64 v[90:91], v[28:29], v[36:37]
	v_mul_f64 v[92:93], v[26:27], v[36:37]
	;; [unrolled: 3-line block ×3, first 2 shown]
	v_mul_f64 v[96:97], v[40:41], v[36:37]
	v_mul_f64 v[36:37], v[38:39], v[36:37]
	s_waitcnt lgkmcnt(8)
	v_mul_f64 v[98:99], v[44:45], v[52:53]
	v_mul_f64 v[100:101], v[42:43], v[52:53]
	s_waitcnt lgkmcnt(7)
	v_mul_f64 v[102:103], v[44:45], v[56:57]
	v_mul_f64 v[104:105], v[42:43], v[56:57]
	;; [unrolled: 1-line block ×6, first 2 shown]
	s_waitcnt lgkmcnt(3)
	v_mul_f64 v[112:113], v[58:59], v[72:73]
	s_waitcnt lgkmcnt(2)
	v_mul_f64 v[114:115], v[76:77], v[68:69]
	v_mul_f64 v[116:117], v[76:77], v[72:73]
	v_fma_f64 v[86:87], v[26:27], v[30:31], -v[86:87]
	v_fma_f64 v[88:89], v[28:29], v[30:31], v[88:89]
	v_fma_f64 v[90:91], v[26:27], v[34:35], -v[90:91]
	v_fma_f64 v[92:93], v[28:29], v[34:35], v[92:93]
	;; [unrolled: 2-line block ×4, first 2 shown]
	v_mul_f64 v[36:37], v[60:61], v[68:69]
	v_mul_f64 v[40:41], v[58:59], v[68:69]
	;; [unrolled: 1-line block ×5, first 2 shown]
	v_fma_f64 v[98:99], v[42:43], v[50:51], -v[98:99]
	v_fma_f64 v[100:101], v[44:45], v[50:51], v[100:101]
	v_fma_f64 v[42:43], v[42:43], v[54:55], -v[102:103]
	v_fma_f64 v[44:45], v[44:45], v[54:55], v[104:105]
	;; [unrolled: 2-line block ×4, first 2 shown]
	ds_load_b128 v[26:29], v22 offset:1792
	ds_load_b128 v[30:33], v22 offset:2048
	s_waitcnt lgkmcnt(2)
	v_mul_f64 v[56:57], v[64:65], v[84:85]
	v_add_f64 v[16:17], v[16:17], v[86:87]
	v_add_f64 v[18:19], v[18:19], v[88:89]
	;; [unrolled: 1-line block ×8, first 2 shown]
	v_mul_f64 v[86:87], v[62:63], v[84:85]
	s_waitcnt lgkmcnt(1)
	v_mul_f64 v[88:89], v[64:65], v[28:29]
	v_mul_f64 v[90:91], v[62:63], v[28:29]
	;; [unrolled: 1-line block ×6, first 2 shown]
	v_fma_f64 v[104:105], v[58:59], v[66:67], -v[36:37]
	v_fma_f64 v[106:107], v[60:61], v[66:67], v[40:41]
	v_fma_f64 v[58:59], v[58:59], v[70:71], -v[96:97]
	v_fma_f64 v[60:61], v[60:61], v[70:71], v[112:113]
	v_fma_f64 v[96:97], v[74:75], v[66:67], -v[114:115]
	v_fma_f64 v[66:67], v[76:77], v[66:67], v[68:69]
	v_fma_f64 v[68:69], v[74:75], v[70:71], -v[116:117]
	v_fma_f64 v[70:71], v[76:77], v[70:71], v[72:73]
	ds_load_b128 v[4:7], v22 offset:2304
	ds_load_b128 v[8:11], v23 offset:64
	v_fma_f64 v[56:57], v[62:63], v[82:83], -v[56:57]
	v_add_f64 v[72:73], v[16:17], v[98:99]
	v_add_f64 v[74:75], v[18:19], v[100:101]
	;; [unrolled: 1-line block ×8, first 2 shown]
	ds_load_b128 v[12:15], v23 offset:2112
	ds_load_b128 v[16:19], v23 offset:80
	;; [unrolled: 1-line block ×4, first 2 shown]
	s_waitcnt lgkmcnt(4)
	v_mul_f64 v[54:55], v[10:11], v[32:33]
	v_mul_f64 v[76:77], v[8:9], v[32:33]
	;; [unrolled: 1-line block ×4, first 2 shown]
	v_fma_f64 v[86:87], v[64:65], v[82:83], v[86:87]
	v_fma_f64 v[62:63], v[62:63], v[26:27], -v[88:89]
	v_fma_f64 v[64:65], v[64:65], v[26:27], v[90:91]
	v_fma_f64 v[88:89], v[78:79], v[82:83], -v[92:93]
	v_fma_f64 v[82:83], v[80:81], v[82:83], v[84:85]
	v_fma_f64 v[78:79], v[78:79], v[26:27], -v[94:95]
	v_fma_f64 v[80:81], v[80:81], v[26:27], v[28:29]
	s_waitcnt lgkmcnt(3)
	v_mul_f64 v[102:103], v[14:15], v[32:33]
	v_mul_f64 v[32:33], v[12:13], v[32:33]
	;; [unrolled: 1-line block ×4, first 2 shown]
	s_waitcnt lgkmcnt(0)
	v_mul_f64 v[90:91], v[18:19], v[40:41]
	v_mul_f64 v[92:93], v[16:17], v[40:41]
	v_add_f64 v[72:73], v[72:73], v[104:105]
	v_add_f64 v[74:75], v[74:75], v[106:107]
	;; [unrolled: 1-line block ×8, first 2 shown]
	ds_load_b128 v[26:29], v22 offset:2816
	ds_load_b128 v[42:45], v22 offset:3072
	;; [unrolled: 1-line block ×4, first 2 shown]
	v_mul_f64 v[104:105], v[36:37], v[40:41]
	v_mul_f64 v[40:41], v[34:35], v[40:41]
	v_fma_f64 v[54:55], v[8:9], v[30:31], -v[54:55]
	v_fma_f64 v[76:77], v[10:11], v[30:31], v[76:77]
	v_fma_f64 v[98:99], v[8:9], v[4:5], -v[98:99]
	v_fma_f64 v[100:101], v[10:11], v[4:5], v[100:101]
	s_waitcnt lgkmcnt(3)
	v_mul_f64 v[94:95], v[18:19], v[28:29]
	v_mul_f64 v[96:97], v[16:17], v[28:29]
	;; [unrolled: 1-line block ×4, first 2 shown]
	v_fma_f64 v[102:103], v[12:13], v[30:31], -v[102:103]
	v_fma_f64 v[32:33], v[14:15], v[30:31], v[32:33]
	v_fma_f64 v[108:109], v[12:13], v[4:5], -v[108:109]
	v_fma_f64 v[112:113], v[14:15], v[4:5], v[6:7]
	ds_load_b128 v[4:7], v23 offset:2144
	ds_load_b128 v[8:11], v23 offset:112
	;; [unrolled: 1-line block ×4, first 2 shown]
	v_add_f64 v[56:57], v[72:73], v[56:57]
	v_add_f64 v[72:73], v[74:75], v[86:87]
	;; [unrolled: 1-line block ×8, first 2 shown]
	s_waitcnt lgkmcnt(4)
	v_mul_f64 v[70:71], v[52:53], v[44:45]
	v_mul_f64 v[74:75], v[50:51], v[44:45]
	;; [unrolled: 1-line block ×4, first 2 shown]
	s_waitcnt lgkmcnt(3)
	v_mul_f64 v[82:83], v[6:7], v[44:45]
	v_mul_f64 v[44:45], v[4:5], v[44:45]
	;; [unrolled: 1-line block ×4, first 2 shown]
	v_fma_f64 v[86:87], v[16:17], v[38:39], -v[90:91]
	v_fma_f64 v[88:89], v[18:19], v[38:39], v[92:93]
	v_fma_f64 v[90:91], v[16:17], v[26:27], -v[94:95]
	v_fma_f64 v[92:93], v[18:19], v[26:27], v[96:97]
	;; [unrolled: 2-line block ×4, first 2 shown]
	ds_load_b128 v[16:19], v22 offset:3840
	s_waitcnt lgkmcnt(0)
	s_barrier
	buffer_gl0_inv
	v_add_f64 v[36:37], v[56:57], v[54:55]
	v_add_f64 v[40:41], v[72:73], v[76:77]
	;; [unrolled: 1-line block ×8, first 2 shown]
	v_mul_f64 v[64:65], v[10:11], v[30:31]
	v_mul_f64 v[66:67], v[8:9], v[30:31]
	;; [unrolled: 1-line block ×4, first 2 shown]
	v_fma_f64 v[70:71], v[50:51], v[42:43], -v[70:71]
	v_mul_f64 v[68:69], v[10:11], v[18:19]
	v_mul_f64 v[72:73], v[8:9], v[18:19]
	;; [unrolled: 1-line block ×4, first 2 shown]
	v_fma_f64 v[74:75], v[52:53], v[42:43], v[74:75]
	v_fma_f64 v[50:51], v[50:51], v[46:47], -v[78:79]
	v_fma_f64 v[52:53], v[52:53], v[46:47], v[80:81]
	v_fma_f64 v[78:79], v[4:5], v[42:43], -v[82:83]
	;; [unrolled: 2-line block ×3, first 2 shown]
	v_fma_f64 v[6:7], v[6:7], v[46:47], v[48:49]
	v_add_f64 v[36:37], v[36:37], v[86:87]
	v_add_f64 v[40:41], v[40:41], v[88:89]
	;; [unrolled: 1-line block ×8, first 2 shown]
	v_fma_f64 v[38:39], v[8:9], v[28:29], -v[64:65]
	v_fma_f64 v[54:55], v[10:11], v[28:29], v[66:67]
	v_fma_f64 v[56:57], v[12:13], v[28:29], -v[76:77]
	v_fma_f64 v[28:29], v[14:15], v[28:29], v[30:31]
	v_fma_f64 v[8:9], v[8:9], v[16:17], -v[68:69]
	v_fma_f64 v[10:11], v[10:11], v[16:17], v[72:73]
	v_fma_f64 v[30:31], v[12:13], v[16:17], -v[96:97]
	v_fma_f64 v[58:59], v[14:15], v[16:17], v[18:19]
	v_add_f64 v[12:13], v[36:37], v[70:71]
	v_add_f64 v[14:15], v[40:41], v[74:75]
	;; [unrolled: 1-line block ×16, first 2 shown]
	s_cbranch_vccz .LBB1775_2
.LBB1775_3:
	v_add_nc_u32_e32 v21, s19, v21
	s_load_b32 s4, s[0:1], 0x0
	s_delay_alu instid0(VALU_DEP_1) | instskip(SKIP_2) | instid1(VALU_DEP_3)
	v_ashrrev_i32_e32 v0, 31, v21
	v_mul_lo_u32 v3, v21, s7
	v_mad_u64_u32 v[1:2], null, v21, s6, 0
	v_mul_lo_u32 v0, v0, s6
	s_delay_alu instid0(VALU_DEP_1) | instskip(SKIP_1) | instid1(VALU_DEP_2)
	v_add3_u32 v2, v2, v3, v0
	v_add_nc_u32_e32 v0, s18, v20
	v_lshlrev_b64 v[1:2], 4, v[1:2]
	s_delay_alu instid0(VALU_DEP_2) | instskip(SKIP_2) | instid1(VALU_DEP_3)
	v_cmp_le_i32_e64 s0, v21, v0
	s_waitcnt lgkmcnt(0)
	v_cmp_gt_i32_e32 vcc_lo, s4, v0
	v_add_co_u32 v20, s1, s2, v1
	s_delay_alu instid0(VALU_DEP_1) | instskip(SKIP_1) | instid1(SALU_CYCLE_1)
	v_add_co_ci_u32_e64 v22, s1, s3, v2, s1
	s_and_b32 s0, s0, vcc_lo
	s_and_saveexec_b32 s1, s0
	s_cbranch_execz .LBB1775_5
; %bb.4:
	v_ashrrev_i32_e32 v1, 31, v0
	s_delay_alu instid0(VALU_DEP_1) | instskip(NEXT) | instid1(VALU_DEP_1)
	v_lshlrev_b64 v[1:2], 4, v[0:1]
	v_add_co_u32 v1, s0, v20, v1
	s_delay_alu instid0(VALU_DEP_1)
	v_add_co_ci_u32_e64 v2, s0, v22, v2, s0
	v_cmp_ne_u32_e64 s0, v21, v0
	global_load_b128 v[23:26], v[1:2], off
	s_waitcnt vmcnt(0)
	v_add_f64 v[18:19], v[18:19], v[25:26]
	v_add_f64 v[16:17], v[16:17], v[23:24]
	s_delay_alu instid0(VALU_DEP_2) | instskip(NEXT) | instid1(VALU_DEP_3)
	v_cndmask_b32_e64 v19, 0, v19, s0
	v_cndmask_b32_e64 v18, 0, v18, s0
	global_store_b128 v[1:2], v[16:19], off
.LBB1775_5:
	s_or_b32 exec_lo, exec_lo, s1
	v_add_nc_u32_e32 v2, 16, v0
	s_delay_alu instid0(VALU_DEP_1) | instskip(SKIP_1) | instid1(VALU_DEP_1)
	v_cmp_le_i32_e64 s1, v21, v2
	v_cmp_gt_i32_e64 s0, s4, v2
	s_and_b32 s1, s1, s0
	s_delay_alu instid0(SALU_CYCLE_1)
	s_and_saveexec_b32 s4, s1
	s_cbranch_execz .LBB1775_7
; %bb.6:
	v_ashrrev_i32_e32 v3, 31, v2
	s_delay_alu instid0(VALU_DEP_1) | instskip(NEXT) | instid1(VALU_DEP_1)
	v_lshlrev_b64 v[16:17], 4, v[2:3]
	v_add_co_u32 v23, s1, v20, v16
	s_delay_alu instid0(VALU_DEP_1)
	v_add_co_ci_u32_e64 v24, s1, v22, v17, s1
	v_cmp_ne_u32_e64 s1, v21, v2
	global_load_b128 v[16:19], v[23:24], off
	s_waitcnt vmcnt(0)
	v_add_f64 v[14:15], v[14:15], v[18:19]
	v_add_f64 v[12:13], v[12:13], v[16:17]
	s_delay_alu instid0(VALU_DEP_2) | instskip(NEXT) | instid1(VALU_DEP_3)
	v_cndmask_b32_e64 v15, 0, v15, s1
	v_cndmask_b32_e64 v14, 0, v14, s1
	global_store_b128 v[23:24], v[12:15], off
.LBB1775_7:
	s_or_b32 exec_lo, exec_lo, s4
	v_add_nc_u32_e32 v3, 16, v21
	s_delay_alu instid0(VALU_DEP_1) | instskip(SKIP_3) | instid1(VALU_DEP_4)
	v_ashrrev_i32_e32 v1, 31, v3
	v_mul_lo_u32 v14, v3, s7
	v_mad_u64_u32 v[12:13], null, v3, s6, 0
	v_cmp_le_i32_e64 s1, v3, v0
	v_mul_lo_u32 v1, v1, s6
	s_delay_alu instid0(VALU_DEP_1) | instskip(NEXT) | instid1(VALU_DEP_1)
	v_add3_u32 v13, v13, v14, v1
	v_lshlrev_b64 v[12:13], 4, v[12:13]
	s_delay_alu instid0(VALU_DEP_1) | instskip(NEXT) | instid1(VALU_DEP_1)
	v_add_co_u32 v12, s2, s2, v12
	v_add_co_ci_u32_e64 v13, s2, s3, v13, s2
	s_and_b32 s2, s1, vcc_lo
	s_delay_alu instid0(SALU_CYCLE_1)
	s_and_saveexec_b32 s1, s2
	s_cbranch_execz .LBB1775_9
; %bb.8:
	v_ashrrev_i32_e32 v1, 31, v0
	s_delay_alu instid0(VALU_DEP_1) | instskip(NEXT) | instid1(VALU_DEP_1)
	v_lshlrev_b64 v[14:15], 4, v[0:1]
	v_add_co_u32 v18, vcc_lo, v12, v14
	s_delay_alu instid0(VALU_DEP_2)
	v_add_co_ci_u32_e32 v19, vcc_lo, v13, v15, vcc_lo
	v_cmp_ne_u32_e32 vcc_lo, v3, v0
	global_load_b128 v[14:17], v[18:19], off
	s_waitcnt vmcnt(0)
	v_add_f64 v[16:17], v[8:9], v[16:17]
	v_add_f64 v[8:9], v[10:11], v[14:15]
	s_delay_alu instid0(VALU_DEP_2)
	v_dual_cndmask_b32 v11, 0, v17 :: v_dual_cndmask_b32 v10, 0, v16
	global_store_b128 v[18:19], v[8:11], off
.LBB1775_9:
	s_or_b32 exec_lo, exec_lo, s1
	v_cmp_le_i32_e32 vcc_lo, v3, v2
	s_and_b32 s0, vcc_lo, s0
	s_delay_alu instid0(SALU_CYCLE_1)
	s_and_saveexec_b32 s1, s0
	s_cbranch_execz .LBB1775_11
; %bb.10:
	v_ashrrev_i32_e32 v3, 31, v2
	s_delay_alu instid0(VALU_DEP_1) | instskip(NEXT) | instid1(VALU_DEP_1)
	v_lshlrev_b64 v[1:2], 4, v[2:3]
	v_add_co_u32 v12, vcc_lo, v12, v1
	s_delay_alu instid0(VALU_DEP_2)
	v_add_co_ci_u32_e32 v13, vcc_lo, v13, v2, vcc_lo
	v_cmp_ne_u32_e32 vcc_lo, v21, v0
	global_load_b128 v[8:11], v[12:13], off
	s_waitcnt vmcnt(0)
	v_add_f64 v[3:4], v[4:5], v[10:11]
	v_add_f64 v[1:2], v[6:7], v[8:9]
	s_delay_alu instid0(VALU_DEP_2)
	v_dual_cndmask_b32 v4, 0, v4 :: v_dual_cndmask_b32 v3, 0, v3
	global_store_b128 v[12:13], v[1:4], off
.LBB1775_11:
	s_nop 0
	s_sendmsg sendmsg(MSG_DEALLOC_VGPRS)
	s_endpgm
	.section	.rodata,"a",@progbits
	.p2align	6, 0x0
	.amdhsa_kernel _ZL37rocblas_syrkx_herkx_restricted_kernelIl19rocblas_complex_numIdELi16ELi32ELi8ELi1ELi1ELb1ELc78ELc76EKPKS1_KPS1_EviT_PT9_S7_lS9_S7_lPT10_S7_li
		.amdhsa_group_segment_fixed_size 8192
		.amdhsa_private_segment_fixed_size 0
		.amdhsa_kernarg_size 92
		.amdhsa_user_sgpr_count 13
		.amdhsa_user_sgpr_dispatch_ptr 0
		.amdhsa_user_sgpr_queue_ptr 0
		.amdhsa_user_sgpr_kernarg_segment_ptr 1
		.amdhsa_user_sgpr_dispatch_id 0
		.amdhsa_user_sgpr_private_segment_size 0
		.amdhsa_wavefront_size32 1
		.amdhsa_uses_dynamic_stack 0
		.amdhsa_enable_private_segment 0
		.amdhsa_system_sgpr_workgroup_id_x 1
		.amdhsa_system_sgpr_workgroup_id_y 1
		.amdhsa_system_sgpr_workgroup_id_z 1
		.amdhsa_system_sgpr_workgroup_info 0
		.amdhsa_system_vgpr_workitem_id 1
		.amdhsa_next_free_vgpr 118
		.amdhsa_next_free_sgpr 20
		.amdhsa_reserve_vcc 1
		.amdhsa_float_round_mode_32 0
		.amdhsa_float_round_mode_16_64 0
		.amdhsa_float_denorm_mode_32 3
		.amdhsa_float_denorm_mode_16_64 3
		.amdhsa_dx10_clamp 1
		.amdhsa_ieee_mode 1
		.amdhsa_fp16_overflow 0
		.amdhsa_workgroup_processor_mode 1
		.amdhsa_memory_ordered 1
		.amdhsa_forward_progress 0
		.amdhsa_shared_vgpr_count 0
		.amdhsa_exception_fp_ieee_invalid_op 0
		.amdhsa_exception_fp_denorm_src 0
		.amdhsa_exception_fp_ieee_div_zero 0
		.amdhsa_exception_fp_ieee_overflow 0
		.amdhsa_exception_fp_ieee_underflow 0
		.amdhsa_exception_fp_ieee_inexact 0
		.amdhsa_exception_int_div_zero 0
	.end_amdhsa_kernel
	.section	.text._ZL37rocblas_syrkx_herkx_restricted_kernelIl19rocblas_complex_numIdELi16ELi32ELi8ELi1ELi1ELb1ELc78ELc76EKPKS1_KPS1_EviT_PT9_S7_lS9_S7_lPT10_S7_li,"axG",@progbits,_ZL37rocblas_syrkx_herkx_restricted_kernelIl19rocblas_complex_numIdELi16ELi32ELi8ELi1ELi1ELb1ELc78ELc76EKPKS1_KPS1_EviT_PT9_S7_lS9_S7_lPT10_S7_li,comdat
.Lfunc_end1775:
	.size	_ZL37rocblas_syrkx_herkx_restricted_kernelIl19rocblas_complex_numIdELi16ELi32ELi8ELi1ELi1ELb1ELc78ELc76EKPKS1_KPS1_EviT_PT9_S7_lS9_S7_lPT10_S7_li, .Lfunc_end1775-_ZL37rocblas_syrkx_herkx_restricted_kernelIl19rocblas_complex_numIdELi16ELi32ELi8ELi1ELi1ELb1ELc78ELc76EKPKS1_KPS1_EviT_PT9_S7_lS9_S7_lPT10_S7_li
                                        ; -- End function
	.section	.AMDGPU.csdata,"",@progbits
; Kernel info:
; codeLenInByte = 3184
; NumSgprs: 22
; NumVgprs: 118
; ScratchSize: 0
; MemoryBound: 0
; FloatMode: 240
; IeeeMode: 1
; LDSByteSize: 8192 bytes/workgroup (compile time only)
; SGPRBlocks: 2
; VGPRBlocks: 14
; NumSGPRsForWavesPerEU: 22
; NumVGPRsForWavesPerEU: 118
; Occupancy: 12
; WaveLimiterHint : 1
; COMPUTE_PGM_RSRC2:SCRATCH_EN: 0
; COMPUTE_PGM_RSRC2:USER_SGPR: 13
; COMPUTE_PGM_RSRC2:TRAP_HANDLER: 0
; COMPUTE_PGM_RSRC2:TGID_X_EN: 1
; COMPUTE_PGM_RSRC2:TGID_Y_EN: 1
; COMPUTE_PGM_RSRC2:TGID_Z_EN: 1
; COMPUTE_PGM_RSRC2:TIDIG_COMP_CNT: 1
	.section	.text._ZL37rocblas_syrkx_herkx_restricted_kernelIl19rocblas_complex_numIdELi16ELi32ELi8ELi1ELi1ELb1ELc84ELc85EKPKS1_KPS1_EviT_PT9_S7_lS9_S7_lPT10_S7_li,"axG",@progbits,_ZL37rocblas_syrkx_herkx_restricted_kernelIl19rocblas_complex_numIdELi16ELi32ELi8ELi1ELi1ELb1ELc84ELc85EKPKS1_KPS1_EviT_PT9_S7_lS9_S7_lPT10_S7_li,comdat
	.globl	_ZL37rocblas_syrkx_herkx_restricted_kernelIl19rocblas_complex_numIdELi16ELi32ELi8ELi1ELi1ELb1ELc84ELc85EKPKS1_KPS1_EviT_PT9_S7_lS9_S7_lPT10_S7_li ; -- Begin function _ZL37rocblas_syrkx_herkx_restricted_kernelIl19rocblas_complex_numIdELi16ELi32ELi8ELi1ELi1ELb1ELc84ELc85EKPKS1_KPS1_EviT_PT9_S7_lS9_S7_lPT10_S7_li
	.p2align	8
	.type	_ZL37rocblas_syrkx_herkx_restricted_kernelIl19rocblas_complex_numIdELi16ELi32ELi8ELi1ELi1ELb1ELc84ELc85EKPKS1_KPS1_EviT_PT9_S7_lS9_S7_lPT10_S7_li,@function
_ZL37rocblas_syrkx_herkx_restricted_kernelIl19rocblas_complex_numIdELi16ELi32ELi8ELi1ELi1ELb1ELc84ELc85EKPKS1_KPS1_EviT_PT9_S7_lS9_S7_lPT10_S7_li: ; @_ZL37rocblas_syrkx_herkx_restricted_kernelIl19rocblas_complex_numIdELi16ELi32ELi8ELi1ELi1ELb1ELc84ELc85EKPKS1_KPS1_EviT_PT9_S7_lS9_S7_lPT10_S7_li
; %bb.0:
	s_clause 0x1
	s_load_b128 s[4:7], s[0:1], 0x40
	s_load_b128 s[8:11], s[0:1], 0x8
	s_mov_b32 s2, s15
	s_mov_b32 s3, 0
	v_mov_b32_e32 v16, 0
	s_lshl_b64 s[16:17], s[2:3], 3
	v_dual_mov_b32 v17, 0 :: v_dual_and_b32 v20, 0x3ff, v0
	v_bfe_u32 v21, v0, 10, 10
	s_delay_alu instid0(VALU_DEP_3) | instskip(NEXT) | instid1(VALU_DEP_3)
	v_mov_b32_e32 v12, v16
	v_dual_mov_b32 v14, v16 :: v_dual_mov_b32 v15, v17
	v_dual_mov_b32 v19, v17 :: v_dual_mov_b32 v18, v16
	;; [unrolled: 1-line block ×5, first 2 shown]
	v_mov_b32_e32 v7, v17
	s_waitcnt lgkmcnt(0)
	s_add_u32 s2, s4, s16
	s_addc_u32 s3, s5, s17
	v_cmp_lt_i64_e64 s4, s[8:9], 1
	s_load_b64 s[2:3], s[2:3], 0x0
	v_dual_mov_b32 v4, v16 :: v_dual_mov_b32 v5, v17
	s_lshl_b32 s18, s13, 5
	s_lshl_b32 s19, s14, 5
	s_delay_alu instid0(VALU_DEP_2)
	s_and_b32 vcc_lo, exec_lo, s4
	s_cbranch_vccnz .LBB1776_3
; %bb.1:
	s_clause 0x1
	s_load_b128 s[12:15], s[0:1], 0x28
	s_load_b64 s[4:5], s[0:1], 0x18
	v_lshl_add_u32 v2, v21, 4, v20
	v_dual_mov_b32 v1, 0 :: v_dual_and_b32 v0, 7, v20
	s_add_u32 s10, s10, s16
	s_addc_u32 s11, s11, s17
	s_delay_alu instid0(VALU_DEP_2)
	v_lshrrev_b32_e32 v8, 3, v2
	v_and_b32_e32 v9, 31, v2
	v_lshrrev_b32_e32 v2, 5, v2
	v_mov_b32_e32 v3, v1
	s_load_b64 s[10:11], s[10:11], 0x0
	v_add_nc_u32_e32 v10, s19, v8
	v_add_nc_u32_e32 v6, s18, v9
	v_lshl_add_u32 v23, v21, 7, 0x1000
	s_delay_alu instid0(VALU_DEP_3) | instskip(NEXT) | instid1(VALU_DEP_3)
	v_ashrrev_i32_e32 v4, 31, v10
	v_ashrrev_i32_e32 v5, 31, v6
	s_waitcnt lgkmcnt(0)
	s_add_u32 s12, s12, s16
	s_addc_u32 s13, s13, s17
	v_mul_lo_u32 v11, v4, s14
	v_mul_lo_u32 v12, s4, v5
	v_mad_u64_u32 v[4:5], null, s4, v6, v[2:3]
	v_mul_lo_u32 v3, s5, v6
	s_load_b64 s[4:5], s[12:13], 0x0
	v_mul_lo_u32 v13, v10, s15
	v_mad_u64_u32 v[6:7], null, v10, s14, v[0:1]
	v_lshlrev_b32_e32 v0, 4, v0
	s_delay_alu instid0(VALU_DEP_4) | instskip(NEXT) | instid1(VALU_DEP_2)
	v_add3_u32 v5, v3, v5, v12
	v_lshl_or_b32 v8, v8, 7, v0
	s_delay_alu instid0(VALU_DEP_4) | instskip(NEXT) | instid1(VALU_DEP_3)
	v_add3_u32 v7, v11, v7, v13
	v_lshlrev_b64 v[0:1], 4, v[4:5]
	v_mov_b32_e32 v4, 0
	v_mov_b32_e32 v5, 0
	v_lshlrev_b32_e32 v3, 4, v9
	v_lshlrev_b32_e32 v22, 4, v20
	v_add_nc_u32_e32 v25, 0x1000, v8
	v_add_co_u32 v0, vcc_lo, v0, s10
	s_delay_alu instid0(VALU_DEP_4)
	v_lshl_or_b32 v24, v2, 9, v3
	v_lshlrev_b64 v[2:3], 4, v[6:7]
	v_add_co_ci_u32_e32 v1, vcc_lo, s11, v1, vcc_lo
	v_mov_b32_e32 v7, v5
	v_dual_mov_b32 v11, v5 :: v_dual_mov_b32 v10, v4
	s_waitcnt lgkmcnt(0)
	s_delay_alu instid0(VALU_DEP_4) | instskip(SKIP_3) | instid1(VALU_DEP_4)
	v_add_co_u32 v2, vcc_lo, v2, s4
	v_add_co_ci_u32_e32 v3, vcc_lo, s5, v3, vcc_lo
	v_add_co_u32 v0, vcc_lo, v0, 8
	v_add_co_ci_u32_e32 v1, vcc_lo, 0, v1, vcc_lo
	v_add_co_u32 v2, vcc_lo, v2, 8
	s_delay_alu instid0(VALU_DEP_4)
	v_add_co_ci_u32_e32 v3, vcc_lo, 0, v3, vcc_lo
	v_dual_mov_b32 v6, v4 :: v_dual_mov_b32 v9, v5
	v_dual_mov_b32 v8, v4 :: v_dual_mov_b32 v15, v5
	;; [unrolled: 1-line block ×5, first 2 shown]
	v_mov_b32_e32 v16, v4
	s_mov_b64 s[4:5], 0
.LBB1776_2:                             ; =>This Inner Loop Header: Depth=1
	global_load_b128 v[26:29], v[0:1], off offset:-8
	global_load_b128 v[30:33], v[2:3], off offset:-8
	s_add_u32 s4, s4, 8
	v_add_co_u32 v0, vcc_lo, 0x80, v0
	s_addc_u32 s5, s5, 0
	v_add_co_ci_u32_e32 v1, vcc_lo, 0, v1, vcc_lo
	v_cmp_ge_u64_e64 s10, s[4:5], s[8:9]
	v_add_co_u32 v2, vcc_lo, 0x80, v2
	v_add_co_ci_u32_e32 v3, vcc_lo, 0, v3, vcc_lo
	s_waitcnt vmcnt(1)
	ds_store_b128 v24, v[26:29]
	s_waitcnt vmcnt(0)
	ds_store_b128 v25, v[30:33]
	s_waitcnt lgkmcnt(0)
	s_barrier
	buffer_gl0_inv
	ds_load_b128 v[26:29], v23
	ds_load_b128 v[30:33], v22
	ds_load_b128 v[34:37], v22 offset:256
	ds_load_b128 v[38:41], v23 offset:2048
	;; [unrolled: 1-line block ×13, first 2 shown]
	s_and_b32 vcc_lo, exec_lo, s10
	s_waitcnt lgkmcnt(13)
	v_mul_f64 v[86:87], v[28:29], v[32:33]
	v_mul_f64 v[88:89], v[26:27], v[32:33]
	s_waitcnt lgkmcnt(12)
	v_mul_f64 v[90:91], v[28:29], v[36:37]
	v_mul_f64 v[92:93], v[26:27], v[36:37]
	;; [unrolled: 3-line block ×3, first 2 shown]
	v_mul_f64 v[96:97], v[40:41], v[36:37]
	v_mul_f64 v[36:37], v[38:39], v[36:37]
	s_waitcnt lgkmcnt(8)
	v_mul_f64 v[98:99], v[44:45], v[52:53]
	v_mul_f64 v[100:101], v[42:43], v[52:53]
	s_waitcnt lgkmcnt(7)
	v_mul_f64 v[102:103], v[44:45], v[56:57]
	v_mul_f64 v[104:105], v[42:43], v[56:57]
	;; [unrolled: 1-line block ×6, first 2 shown]
	s_waitcnt lgkmcnt(3)
	v_mul_f64 v[112:113], v[58:59], v[72:73]
	s_waitcnt lgkmcnt(2)
	v_mul_f64 v[114:115], v[76:77], v[68:69]
	v_mul_f64 v[116:117], v[76:77], v[72:73]
	v_fma_f64 v[86:87], v[26:27], v[30:31], -v[86:87]
	v_fma_f64 v[88:89], v[28:29], v[30:31], v[88:89]
	v_fma_f64 v[90:91], v[26:27], v[34:35], -v[90:91]
	v_fma_f64 v[92:93], v[28:29], v[34:35], v[92:93]
	;; [unrolled: 2-line block ×4, first 2 shown]
	v_mul_f64 v[36:37], v[60:61], v[68:69]
	v_mul_f64 v[40:41], v[58:59], v[68:69]
	;; [unrolled: 1-line block ×5, first 2 shown]
	v_fma_f64 v[98:99], v[42:43], v[50:51], -v[98:99]
	v_fma_f64 v[100:101], v[44:45], v[50:51], v[100:101]
	v_fma_f64 v[42:43], v[42:43], v[54:55], -v[102:103]
	v_fma_f64 v[44:45], v[44:45], v[54:55], v[104:105]
	;; [unrolled: 2-line block ×4, first 2 shown]
	ds_load_b128 v[26:29], v22 offset:1792
	ds_load_b128 v[30:33], v22 offset:2048
	s_waitcnt lgkmcnt(2)
	v_mul_f64 v[56:57], v[64:65], v[84:85]
	v_add_f64 v[16:17], v[16:17], v[86:87]
	v_add_f64 v[18:19], v[18:19], v[88:89]
	;; [unrolled: 1-line block ×8, first 2 shown]
	v_mul_f64 v[86:87], v[62:63], v[84:85]
	s_waitcnt lgkmcnt(1)
	v_mul_f64 v[88:89], v[64:65], v[28:29]
	v_mul_f64 v[90:91], v[62:63], v[28:29]
	;; [unrolled: 1-line block ×6, first 2 shown]
	v_fma_f64 v[104:105], v[58:59], v[66:67], -v[36:37]
	v_fma_f64 v[106:107], v[60:61], v[66:67], v[40:41]
	v_fma_f64 v[58:59], v[58:59], v[70:71], -v[96:97]
	v_fma_f64 v[60:61], v[60:61], v[70:71], v[112:113]
	;; [unrolled: 2-line block ×4, first 2 shown]
	ds_load_b128 v[4:7], v22 offset:2304
	ds_load_b128 v[8:11], v23 offset:64
	v_fma_f64 v[56:57], v[62:63], v[82:83], -v[56:57]
	v_add_f64 v[72:73], v[16:17], v[98:99]
	v_add_f64 v[74:75], v[18:19], v[100:101]
	;; [unrolled: 1-line block ×8, first 2 shown]
	ds_load_b128 v[12:15], v23 offset:2112
	ds_load_b128 v[16:19], v23 offset:80
	;; [unrolled: 1-line block ×4, first 2 shown]
	s_waitcnt lgkmcnt(4)
	v_mul_f64 v[54:55], v[10:11], v[32:33]
	v_mul_f64 v[76:77], v[8:9], v[32:33]
	;; [unrolled: 1-line block ×4, first 2 shown]
	v_fma_f64 v[86:87], v[64:65], v[82:83], v[86:87]
	v_fma_f64 v[62:63], v[62:63], v[26:27], -v[88:89]
	v_fma_f64 v[64:65], v[64:65], v[26:27], v[90:91]
	v_fma_f64 v[88:89], v[78:79], v[82:83], -v[92:93]
	v_fma_f64 v[82:83], v[80:81], v[82:83], v[84:85]
	v_fma_f64 v[78:79], v[78:79], v[26:27], -v[94:95]
	v_fma_f64 v[80:81], v[80:81], v[26:27], v[28:29]
	s_waitcnt lgkmcnt(3)
	v_mul_f64 v[102:103], v[14:15], v[32:33]
	v_mul_f64 v[32:33], v[12:13], v[32:33]
	;; [unrolled: 1-line block ×4, first 2 shown]
	s_waitcnt lgkmcnt(0)
	v_mul_f64 v[90:91], v[18:19], v[40:41]
	v_mul_f64 v[92:93], v[16:17], v[40:41]
	v_add_f64 v[72:73], v[72:73], v[104:105]
	v_add_f64 v[74:75], v[74:75], v[106:107]
	;; [unrolled: 1-line block ×8, first 2 shown]
	ds_load_b128 v[26:29], v22 offset:2816
	ds_load_b128 v[42:45], v22 offset:3072
	;; [unrolled: 1-line block ×4, first 2 shown]
	v_mul_f64 v[104:105], v[36:37], v[40:41]
	v_mul_f64 v[40:41], v[34:35], v[40:41]
	v_fma_f64 v[54:55], v[8:9], v[30:31], -v[54:55]
	v_fma_f64 v[76:77], v[10:11], v[30:31], v[76:77]
	v_fma_f64 v[98:99], v[8:9], v[4:5], -v[98:99]
	v_fma_f64 v[100:101], v[10:11], v[4:5], v[100:101]
	s_waitcnt lgkmcnt(3)
	v_mul_f64 v[94:95], v[18:19], v[28:29]
	v_mul_f64 v[96:97], v[16:17], v[28:29]
	;; [unrolled: 1-line block ×4, first 2 shown]
	v_fma_f64 v[102:103], v[12:13], v[30:31], -v[102:103]
	v_fma_f64 v[32:33], v[14:15], v[30:31], v[32:33]
	v_fma_f64 v[108:109], v[12:13], v[4:5], -v[108:109]
	v_fma_f64 v[112:113], v[14:15], v[4:5], v[6:7]
	ds_load_b128 v[4:7], v23 offset:2144
	ds_load_b128 v[8:11], v23 offset:112
	;; [unrolled: 1-line block ×4, first 2 shown]
	v_add_f64 v[56:57], v[72:73], v[56:57]
	v_add_f64 v[72:73], v[74:75], v[86:87]
	;; [unrolled: 1-line block ×8, first 2 shown]
	s_waitcnt lgkmcnt(4)
	v_mul_f64 v[70:71], v[52:53], v[44:45]
	v_mul_f64 v[74:75], v[50:51], v[44:45]
	;; [unrolled: 1-line block ×4, first 2 shown]
	s_waitcnt lgkmcnt(3)
	v_mul_f64 v[82:83], v[6:7], v[44:45]
	v_mul_f64 v[44:45], v[4:5], v[44:45]
	;; [unrolled: 1-line block ×4, first 2 shown]
	v_fma_f64 v[86:87], v[16:17], v[38:39], -v[90:91]
	v_fma_f64 v[88:89], v[18:19], v[38:39], v[92:93]
	v_fma_f64 v[90:91], v[16:17], v[26:27], -v[94:95]
	v_fma_f64 v[92:93], v[18:19], v[26:27], v[96:97]
	;; [unrolled: 2-line block ×4, first 2 shown]
	ds_load_b128 v[16:19], v22 offset:3840
	s_waitcnt lgkmcnt(0)
	s_barrier
	buffer_gl0_inv
	v_add_f64 v[36:37], v[56:57], v[54:55]
	v_add_f64 v[40:41], v[72:73], v[76:77]
	;; [unrolled: 1-line block ×8, first 2 shown]
	v_mul_f64 v[64:65], v[10:11], v[30:31]
	v_mul_f64 v[66:67], v[8:9], v[30:31]
	;; [unrolled: 1-line block ×4, first 2 shown]
	v_fma_f64 v[70:71], v[50:51], v[42:43], -v[70:71]
	v_mul_f64 v[68:69], v[10:11], v[18:19]
	v_mul_f64 v[72:73], v[8:9], v[18:19]
	;; [unrolled: 1-line block ×4, first 2 shown]
	v_fma_f64 v[74:75], v[52:53], v[42:43], v[74:75]
	v_fma_f64 v[50:51], v[50:51], v[46:47], -v[78:79]
	v_fma_f64 v[52:53], v[52:53], v[46:47], v[80:81]
	v_fma_f64 v[78:79], v[4:5], v[42:43], -v[82:83]
	;; [unrolled: 2-line block ×3, first 2 shown]
	v_fma_f64 v[6:7], v[6:7], v[46:47], v[48:49]
	v_add_f64 v[36:37], v[36:37], v[86:87]
	v_add_f64 v[40:41], v[40:41], v[88:89]
	;; [unrolled: 1-line block ×8, first 2 shown]
	v_fma_f64 v[38:39], v[8:9], v[28:29], -v[64:65]
	v_fma_f64 v[54:55], v[10:11], v[28:29], v[66:67]
	v_fma_f64 v[56:57], v[12:13], v[28:29], -v[76:77]
	v_fma_f64 v[28:29], v[14:15], v[28:29], v[30:31]
	;; [unrolled: 2-line block ×4, first 2 shown]
	v_add_f64 v[12:13], v[36:37], v[70:71]
	v_add_f64 v[14:15], v[40:41], v[74:75]
	;; [unrolled: 1-line block ×16, first 2 shown]
	s_cbranch_vccz .LBB1776_2
.LBB1776_3:
	v_add_nc_u32_e32 v21, s19, v21
	s_load_b32 s4, s[0:1], 0x0
	s_delay_alu instid0(VALU_DEP_1) | instskip(SKIP_2) | instid1(VALU_DEP_3)
	v_ashrrev_i32_e32 v0, 31, v21
	v_mul_lo_u32 v3, v21, s7
	v_mad_u64_u32 v[1:2], null, v21, s6, 0
	v_mul_lo_u32 v0, v0, s6
	s_delay_alu instid0(VALU_DEP_1) | instskip(SKIP_3) | instid1(VALU_DEP_3)
	v_add3_u32 v2, v2, v3, v0
	v_add_nc_u32_e32 v0, s18, v20
	s_waitcnt lgkmcnt(0)
	v_cmp_gt_i32_e32 vcc_lo, s4, v21
	v_lshlrev_b64 v[1:2], 4, v[1:2]
	s_delay_alu instid0(VALU_DEP_3) | instskip(NEXT) | instid1(VALU_DEP_1)
	v_cmp_le_i32_e64 s0, v0, v21
	s_and_b32 s0, vcc_lo, s0
	s_delay_alu instid0(VALU_DEP_2) | instskip(NEXT) | instid1(VALU_DEP_1)
	v_add_co_u32 v20, s1, s2, v1
	v_add_co_ci_u32_e64 v22, s1, s3, v2, s1
	s_and_saveexec_b32 s1, s0
	s_cbranch_execz .LBB1776_5
; %bb.4:
	v_ashrrev_i32_e32 v1, 31, v0
	s_delay_alu instid0(VALU_DEP_1) | instskip(NEXT) | instid1(VALU_DEP_1)
	v_lshlrev_b64 v[1:2], 4, v[0:1]
	v_add_co_u32 v1, s0, v20, v1
	s_delay_alu instid0(VALU_DEP_1)
	v_add_co_ci_u32_e64 v2, s0, v22, v2, s0
	v_cmp_ne_u32_e64 s0, v21, v0
	global_load_b128 v[23:26], v[1:2], off
	s_waitcnt vmcnt(0)
	v_add_f64 v[18:19], v[18:19], v[25:26]
	v_add_f64 v[16:17], v[16:17], v[23:24]
	s_delay_alu instid0(VALU_DEP_2) | instskip(NEXT) | instid1(VALU_DEP_3)
	v_cndmask_b32_e64 v19, 0, v19, s0
	v_cndmask_b32_e64 v18, 0, v18, s0
	global_store_b128 v[1:2], v[16:19], off
.LBB1776_5:
	s_or_b32 exec_lo, exec_lo, s1
	v_add_nc_u32_e32 v2, 16, v0
	s_delay_alu instid0(VALU_DEP_1) | instskip(NEXT) | instid1(VALU_DEP_1)
	v_cmp_le_i32_e64 s0, v2, v21
	s_and_b32 s1, vcc_lo, s0
	s_delay_alu instid0(SALU_CYCLE_1)
	s_and_saveexec_b32 s0, s1
	s_cbranch_execz .LBB1776_7
; %bb.6:
	v_ashrrev_i32_e32 v3, 31, v2
	s_delay_alu instid0(VALU_DEP_1) | instskip(NEXT) | instid1(VALU_DEP_1)
	v_lshlrev_b64 v[16:17], 4, v[2:3]
	v_add_co_u32 v23, vcc_lo, v20, v16
	s_delay_alu instid0(VALU_DEP_2)
	v_add_co_ci_u32_e32 v24, vcc_lo, v22, v17, vcc_lo
	v_cmp_ne_u32_e32 vcc_lo, v21, v2
	global_load_b128 v[16:19], v[23:24], off
	s_waitcnt vmcnt(0)
	v_add_f64 v[14:15], v[14:15], v[18:19]
	v_add_f64 v[12:13], v[12:13], v[16:17]
	s_delay_alu instid0(VALU_DEP_2)
	v_dual_cndmask_b32 v15, 0, v15 :: v_dual_cndmask_b32 v14, 0, v14
	global_store_b128 v[23:24], v[12:15], off
.LBB1776_7:
	s_or_b32 exec_lo, exec_lo, s0
	v_add_nc_u32_e32 v3, 16, v21
	s_delay_alu instid0(VALU_DEP_1) | instskip(SKIP_3) | instid1(VALU_DEP_4)
	v_ashrrev_i32_e32 v1, 31, v3
	v_mul_lo_u32 v14, v3, s7
	v_mad_u64_u32 v[12:13], null, v3, s6, 0
	v_cmp_gt_i32_e32 vcc_lo, s4, v3
	v_mul_lo_u32 v1, v1, s6
	v_cmp_le_i32_e64 s0, v0, v3
	s_delay_alu instid0(VALU_DEP_1) | instskip(NEXT) | instid1(VALU_DEP_2)
	s_and_b32 s0, vcc_lo, s0
	v_add3_u32 v13, v13, v14, v1
	s_delay_alu instid0(VALU_DEP_1) | instskip(NEXT) | instid1(VALU_DEP_1)
	v_lshlrev_b64 v[12:13], 4, v[12:13]
	v_add_co_u32 v12, s1, s2, v12
	s_delay_alu instid0(VALU_DEP_1)
	v_add_co_ci_u32_e64 v13, s1, s3, v13, s1
	s_and_saveexec_b32 s1, s0
	s_cbranch_execz .LBB1776_9
; %bb.8:
	v_ashrrev_i32_e32 v1, 31, v0
	s_delay_alu instid0(VALU_DEP_1) | instskip(NEXT) | instid1(VALU_DEP_1)
	v_lshlrev_b64 v[14:15], 4, v[0:1]
	v_add_co_u32 v18, s0, v12, v14
	s_delay_alu instid0(VALU_DEP_1)
	v_add_co_ci_u32_e64 v19, s0, v13, v15, s0
	v_cmp_ne_u32_e64 s0, v3, v0
	global_load_b128 v[14:17], v[18:19], off
	s_waitcnt vmcnt(0)
	v_add_f64 v[10:11], v[10:11], v[16:17]
	v_add_f64 v[8:9], v[8:9], v[14:15]
	s_delay_alu instid0(VALU_DEP_2) | instskip(NEXT) | instid1(VALU_DEP_3)
	v_cndmask_b32_e64 v11, 0, v11, s0
	v_cndmask_b32_e64 v10, 0, v10, s0
	global_store_b128 v[18:19], v[8:11], off
.LBB1776_9:
	s_or_b32 exec_lo, exec_lo, s1
	v_cmp_le_i32_e64 s0, v2, v3
	s_delay_alu instid0(VALU_DEP_1) | instskip(NEXT) | instid1(SALU_CYCLE_1)
	s_and_b32 s0, vcc_lo, s0
	s_and_saveexec_b32 s1, s0
	s_cbranch_execz .LBB1776_11
; %bb.10:
	v_ashrrev_i32_e32 v3, 31, v2
	s_delay_alu instid0(VALU_DEP_1) | instskip(NEXT) | instid1(VALU_DEP_1)
	v_lshlrev_b64 v[1:2], 4, v[2:3]
	v_add_co_u32 v12, vcc_lo, v12, v1
	s_delay_alu instid0(VALU_DEP_2)
	v_add_co_ci_u32_e32 v13, vcc_lo, v13, v2, vcc_lo
	v_cmp_ne_u32_e32 vcc_lo, v21, v0
	global_load_b128 v[8:11], v[12:13], off
	s_waitcnt vmcnt(0)
	v_add_f64 v[3:4], v[4:5], v[10:11]
	v_add_f64 v[1:2], v[6:7], v[8:9]
	s_delay_alu instid0(VALU_DEP_2)
	v_dual_cndmask_b32 v4, 0, v4 :: v_dual_cndmask_b32 v3, 0, v3
	global_store_b128 v[12:13], v[1:4], off
.LBB1776_11:
	s_nop 0
	s_sendmsg sendmsg(MSG_DEALLOC_VGPRS)
	s_endpgm
	.section	.rodata,"a",@progbits
	.p2align	6, 0x0
	.amdhsa_kernel _ZL37rocblas_syrkx_herkx_restricted_kernelIl19rocblas_complex_numIdELi16ELi32ELi8ELi1ELi1ELb1ELc84ELc85EKPKS1_KPS1_EviT_PT9_S7_lS9_S7_lPT10_S7_li
		.amdhsa_group_segment_fixed_size 8192
		.amdhsa_private_segment_fixed_size 0
		.amdhsa_kernarg_size 92
		.amdhsa_user_sgpr_count 13
		.amdhsa_user_sgpr_dispatch_ptr 0
		.amdhsa_user_sgpr_queue_ptr 0
		.amdhsa_user_sgpr_kernarg_segment_ptr 1
		.amdhsa_user_sgpr_dispatch_id 0
		.amdhsa_user_sgpr_private_segment_size 0
		.amdhsa_wavefront_size32 1
		.amdhsa_uses_dynamic_stack 0
		.amdhsa_enable_private_segment 0
		.amdhsa_system_sgpr_workgroup_id_x 1
		.amdhsa_system_sgpr_workgroup_id_y 1
		.amdhsa_system_sgpr_workgroup_id_z 1
		.amdhsa_system_sgpr_workgroup_info 0
		.amdhsa_system_vgpr_workitem_id 1
		.amdhsa_next_free_vgpr 118
		.amdhsa_next_free_sgpr 20
		.amdhsa_reserve_vcc 1
		.amdhsa_float_round_mode_32 0
		.amdhsa_float_round_mode_16_64 0
		.amdhsa_float_denorm_mode_32 3
		.amdhsa_float_denorm_mode_16_64 3
		.amdhsa_dx10_clamp 1
		.amdhsa_ieee_mode 1
		.amdhsa_fp16_overflow 0
		.amdhsa_workgroup_processor_mode 1
		.amdhsa_memory_ordered 1
		.amdhsa_forward_progress 0
		.amdhsa_shared_vgpr_count 0
		.amdhsa_exception_fp_ieee_invalid_op 0
		.amdhsa_exception_fp_denorm_src 0
		.amdhsa_exception_fp_ieee_div_zero 0
		.amdhsa_exception_fp_ieee_overflow 0
		.amdhsa_exception_fp_ieee_underflow 0
		.amdhsa_exception_fp_ieee_inexact 0
		.amdhsa_exception_int_div_zero 0
	.end_amdhsa_kernel
	.section	.text._ZL37rocblas_syrkx_herkx_restricted_kernelIl19rocblas_complex_numIdELi16ELi32ELi8ELi1ELi1ELb1ELc84ELc85EKPKS1_KPS1_EviT_PT9_S7_lS9_S7_lPT10_S7_li,"axG",@progbits,_ZL37rocblas_syrkx_herkx_restricted_kernelIl19rocblas_complex_numIdELi16ELi32ELi8ELi1ELi1ELb1ELc84ELc85EKPKS1_KPS1_EviT_PT9_S7_lS9_S7_lPT10_S7_li,comdat
.Lfunc_end1776:
	.size	_ZL37rocblas_syrkx_herkx_restricted_kernelIl19rocblas_complex_numIdELi16ELi32ELi8ELi1ELi1ELb1ELc84ELc85EKPKS1_KPS1_EviT_PT9_S7_lS9_S7_lPT10_S7_li, .Lfunc_end1776-_ZL37rocblas_syrkx_herkx_restricted_kernelIl19rocblas_complex_numIdELi16ELi32ELi8ELi1ELi1ELb1ELc84ELc85EKPKS1_KPS1_EviT_PT9_S7_lS9_S7_lPT10_S7_li
                                        ; -- End function
	.section	.AMDGPU.csdata,"",@progbits
; Kernel info:
; codeLenInByte = 3196
; NumSgprs: 22
; NumVgprs: 118
; ScratchSize: 0
; MemoryBound: 0
; FloatMode: 240
; IeeeMode: 1
; LDSByteSize: 8192 bytes/workgroup (compile time only)
; SGPRBlocks: 2
; VGPRBlocks: 14
; NumSGPRsForWavesPerEU: 22
; NumVGPRsForWavesPerEU: 118
; Occupancy: 12
; WaveLimiterHint : 1
; COMPUTE_PGM_RSRC2:SCRATCH_EN: 0
; COMPUTE_PGM_RSRC2:USER_SGPR: 13
; COMPUTE_PGM_RSRC2:TRAP_HANDLER: 0
; COMPUTE_PGM_RSRC2:TGID_X_EN: 1
; COMPUTE_PGM_RSRC2:TGID_Y_EN: 1
; COMPUTE_PGM_RSRC2:TGID_Z_EN: 1
; COMPUTE_PGM_RSRC2:TIDIG_COMP_CNT: 1
	.section	.text._ZL37rocblas_syrkx_herkx_restricted_kernelIl19rocblas_complex_numIdELi16ELi32ELi8ELi1ELi1ELb1ELc67ELc85EKPKS1_KPS1_EviT_PT9_S7_lS9_S7_lPT10_S7_li,"axG",@progbits,_ZL37rocblas_syrkx_herkx_restricted_kernelIl19rocblas_complex_numIdELi16ELi32ELi8ELi1ELi1ELb1ELc67ELc85EKPKS1_KPS1_EviT_PT9_S7_lS9_S7_lPT10_S7_li,comdat
	.globl	_ZL37rocblas_syrkx_herkx_restricted_kernelIl19rocblas_complex_numIdELi16ELi32ELi8ELi1ELi1ELb1ELc67ELc85EKPKS1_KPS1_EviT_PT9_S7_lS9_S7_lPT10_S7_li ; -- Begin function _ZL37rocblas_syrkx_herkx_restricted_kernelIl19rocblas_complex_numIdELi16ELi32ELi8ELi1ELi1ELb1ELc67ELc85EKPKS1_KPS1_EviT_PT9_S7_lS9_S7_lPT10_S7_li
	.p2align	8
	.type	_ZL37rocblas_syrkx_herkx_restricted_kernelIl19rocblas_complex_numIdELi16ELi32ELi8ELi1ELi1ELb1ELc67ELc85EKPKS1_KPS1_EviT_PT9_S7_lS9_S7_lPT10_S7_li,@function
_ZL37rocblas_syrkx_herkx_restricted_kernelIl19rocblas_complex_numIdELi16ELi32ELi8ELi1ELi1ELb1ELc67ELc85EKPKS1_KPS1_EviT_PT9_S7_lS9_S7_lPT10_S7_li: ; @_ZL37rocblas_syrkx_herkx_restricted_kernelIl19rocblas_complex_numIdELi16ELi32ELi8ELi1ELi1ELb1ELc67ELc85EKPKS1_KPS1_EviT_PT9_S7_lS9_S7_lPT10_S7_li
; %bb.0:
	s_clause 0x1
	s_load_b128 s[4:7], s[0:1], 0x40
	s_load_b128 s[8:11], s[0:1], 0x8
	s_mov_b32 s2, s15
	s_mov_b32 s3, 0
	v_mov_b32_e32 v16, 0
	s_lshl_b64 s[16:17], s[2:3], 3
	v_dual_mov_b32 v17, 0 :: v_dual_and_b32 v20, 0x3ff, v0
	v_bfe_u32 v21, v0, 10, 10
	s_delay_alu instid0(VALU_DEP_3) | instskip(NEXT) | instid1(VALU_DEP_3)
	v_mov_b32_e32 v12, v16
	v_dual_mov_b32 v14, v16 :: v_dual_mov_b32 v15, v17
	v_dual_mov_b32 v19, v17 :: v_dual_mov_b32 v18, v16
	;; [unrolled: 1-line block ×5, first 2 shown]
	v_mov_b32_e32 v7, v17
	s_waitcnt lgkmcnt(0)
	s_add_u32 s2, s4, s16
	s_addc_u32 s3, s5, s17
	v_cmp_lt_i64_e64 s4, s[8:9], 1
	s_load_b64 s[2:3], s[2:3], 0x0
	v_dual_mov_b32 v4, v16 :: v_dual_mov_b32 v5, v17
	s_lshl_b32 s18, s13, 5
	s_lshl_b32 s19, s14, 5
	s_delay_alu instid0(VALU_DEP_2)
	s_and_b32 vcc_lo, exec_lo, s4
	s_cbranch_vccnz .LBB1777_3
; %bb.1:
	s_clause 0x1
	s_load_b128 s[12:15], s[0:1], 0x28
	s_load_b64 s[4:5], s[0:1], 0x18
	v_lshl_add_u32 v2, v21, 4, v20
	v_dual_mov_b32 v1, 0 :: v_dual_and_b32 v0, 7, v20
	s_add_u32 s10, s10, s16
	s_addc_u32 s11, s11, s17
	s_delay_alu instid0(VALU_DEP_2)
	v_lshrrev_b32_e32 v8, 3, v2
	v_and_b32_e32 v9, 31, v2
	v_lshrrev_b32_e32 v2, 5, v2
	v_mov_b32_e32 v3, v1
	s_load_b64 s[10:11], s[10:11], 0x0
	v_add_nc_u32_e32 v10, s19, v8
	v_add_nc_u32_e32 v6, s18, v9
	v_lshl_add_u32 v23, v21, 7, 0x1000
	s_delay_alu instid0(VALU_DEP_3) | instskip(NEXT) | instid1(VALU_DEP_3)
	v_ashrrev_i32_e32 v4, 31, v10
	v_ashrrev_i32_e32 v5, 31, v6
	s_waitcnt lgkmcnt(0)
	s_add_u32 s12, s12, s16
	s_addc_u32 s13, s13, s17
	v_mul_lo_u32 v11, v4, s14
	v_mul_lo_u32 v12, s4, v5
	v_mad_u64_u32 v[4:5], null, s4, v6, v[2:3]
	v_mul_lo_u32 v3, s5, v6
	s_load_b64 s[4:5], s[12:13], 0x0
	v_mul_lo_u32 v13, v10, s15
	v_mad_u64_u32 v[6:7], null, v10, s14, v[0:1]
	v_lshlrev_b32_e32 v0, 4, v0
	s_delay_alu instid0(VALU_DEP_4) | instskip(NEXT) | instid1(VALU_DEP_2)
	v_add3_u32 v5, v3, v5, v12
	v_lshl_or_b32 v8, v8, 7, v0
	s_delay_alu instid0(VALU_DEP_4) | instskip(NEXT) | instid1(VALU_DEP_3)
	v_add3_u32 v7, v11, v7, v13
	v_lshlrev_b64 v[0:1], 4, v[4:5]
	v_mov_b32_e32 v4, 0
	v_mov_b32_e32 v5, 0
	v_lshlrev_b32_e32 v3, 4, v9
	v_lshlrev_b32_e32 v22, 4, v20
	v_add_nc_u32_e32 v25, 0x1000, v8
	v_add_co_u32 v0, vcc_lo, v0, s10
	s_delay_alu instid0(VALU_DEP_4)
	v_lshl_or_b32 v24, v2, 9, v3
	v_lshlrev_b64 v[2:3], 4, v[6:7]
	v_add_co_ci_u32_e32 v1, vcc_lo, s11, v1, vcc_lo
	v_mov_b32_e32 v7, v5
	v_dual_mov_b32 v11, v5 :: v_dual_mov_b32 v10, v4
	s_waitcnt lgkmcnt(0)
	s_delay_alu instid0(VALU_DEP_4) | instskip(SKIP_3) | instid1(VALU_DEP_4)
	v_add_co_u32 v2, vcc_lo, v2, s4
	v_add_co_ci_u32_e32 v3, vcc_lo, s5, v3, vcc_lo
	v_add_co_u32 v0, vcc_lo, v0, 8
	v_add_co_ci_u32_e32 v1, vcc_lo, 0, v1, vcc_lo
	v_add_co_u32 v2, vcc_lo, v2, 8
	s_delay_alu instid0(VALU_DEP_4)
	v_add_co_ci_u32_e32 v3, vcc_lo, 0, v3, vcc_lo
	v_dual_mov_b32 v6, v4 :: v_dual_mov_b32 v9, v5
	v_dual_mov_b32 v8, v4 :: v_dual_mov_b32 v15, v5
	;; [unrolled: 1-line block ×5, first 2 shown]
	v_mov_b32_e32 v16, v4
	s_mov_b64 s[4:5], 0
.LBB1777_2:                             ; =>This Inner Loop Header: Depth=1
	global_load_b128 v[26:29], v[0:1], off offset:-8
	global_load_b128 v[30:33], v[2:3], off offset:-8
	s_add_u32 s4, s4, 8
	v_add_co_u32 v0, vcc_lo, 0x80, v0
	s_addc_u32 s5, s5, 0
	v_add_co_ci_u32_e32 v1, vcc_lo, 0, v1, vcc_lo
	v_cmp_ge_u64_e64 s10, s[4:5], s[8:9]
	v_add_co_u32 v2, vcc_lo, 0x80, v2
	v_add_co_ci_u32_e32 v3, vcc_lo, 0, v3, vcc_lo
	s_delay_alu instid0(VALU_DEP_3)
	s_and_b32 vcc_lo, exec_lo, s10
	s_waitcnt vmcnt(1)
	v_xor_b32_e32 v29, 0x80000000, v29
	ds_store_b128 v24, v[26:29]
	s_waitcnt vmcnt(0)
	ds_store_b128 v25, v[30:33]
	s_waitcnt lgkmcnt(0)
	s_barrier
	buffer_gl0_inv
	ds_load_b128 v[26:29], v23
	ds_load_b128 v[30:33], v22
	ds_load_b128 v[34:37], v22 offset:256
	ds_load_b128 v[38:41], v23 offset:2048
	;; [unrolled: 1-line block ×13, first 2 shown]
	s_waitcnt lgkmcnt(13)
	v_mul_f64 v[86:87], v[28:29], v[32:33]
	v_mul_f64 v[88:89], v[26:27], v[32:33]
	s_waitcnt lgkmcnt(12)
	v_mul_f64 v[90:91], v[28:29], v[36:37]
	v_mul_f64 v[92:93], v[26:27], v[36:37]
	;; [unrolled: 3-line block ×3, first 2 shown]
	v_mul_f64 v[96:97], v[40:41], v[36:37]
	v_mul_f64 v[36:37], v[38:39], v[36:37]
	s_waitcnt lgkmcnt(8)
	v_mul_f64 v[98:99], v[44:45], v[52:53]
	v_mul_f64 v[100:101], v[42:43], v[52:53]
	s_waitcnt lgkmcnt(7)
	v_mul_f64 v[102:103], v[44:45], v[56:57]
	v_mul_f64 v[104:105], v[42:43], v[56:57]
	;; [unrolled: 1-line block ×6, first 2 shown]
	s_waitcnt lgkmcnt(3)
	v_mul_f64 v[112:113], v[58:59], v[72:73]
	s_waitcnt lgkmcnt(2)
	v_mul_f64 v[114:115], v[76:77], v[68:69]
	v_mul_f64 v[116:117], v[76:77], v[72:73]
	v_fma_f64 v[86:87], v[26:27], v[30:31], -v[86:87]
	v_fma_f64 v[88:89], v[28:29], v[30:31], v[88:89]
	v_fma_f64 v[90:91], v[26:27], v[34:35], -v[90:91]
	v_fma_f64 v[92:93], v[28:29], v[34:35], v[92:93]
	;; [unrolled: 2-line block ×4, first 2 shown]
	v_mul_f64 v[36:37], v[60:61], v[68:69]
	v_mul_f64 v[40:41], v[58:59], v[68:69]
	;; [unrolled: 1-line block ×5, first 2 shown]
	v_fma_f64 v[98:99], v[42:43], v[50:51], -v[98:99]
	v_fma_f64 v[100:101], v[44:45], v[50:51], v[100:101]
	v_fma_f64 v[42:43], v[42:43], v[54:55], -v[102:103]
	v_fma_f64 v[44:45], v[44:45], v[54:55], v[104:105]
	;; [unrolled: 2-line block ×4, first 2 shown]
	ds_load_b128 v[26:29], v22 offset:1792
	ds_load_b128 v[30:33], v22 offset:2048
	s_waitcnt lgkmcnt(2)
	v_mul_f64 v[56:57], v[64:65], v[84:85]
	v_add_f64 v[16:17], v[16:17], v[86:87]
	v_add_f64 v[18:19], v[18:19], v[88:89]
	;; [unrolled: 1-line block ×8, first 2 shown]
	v_mul_f64 v[86:87], v[62:63], v[84:85]
	s_waitcnt lgkmcnt(1)
	v_mul_f64 v[88:89], v[64:65], v[28:29]
	v_mul_f64 v[90:91], v[62:63], v[28:29]
	;; [unrolled: 1-line block ×6, first 2 shown]
	v_fma_f64 v[104:105], v[58:59], v[66:67], -v[36:37]
	v_fma_f64 v[106:107], v[60:61], v[66:67], v[40:41]
	v_fma_f64 v[58:59], v[58:59], v[70:71], -v[96:97]
	v_fma_f64 v[60:61], v[60:61], v[70:71], v[112:113]
	;; [unrolled: 2-line block ×4, first 2 shown]
	ds_load_b128 v[4:7], v22 offset:2304
	ds_load_b128 v[8:11], v23 offset:64
	v_fma_f64 v[56:57], v[62:63], v[82:83], -v[56:57]
	v_add_f64 v[72:73], v[16:17], v[98:99]
	v_add_f64 v[74:75], v[18:19], v[100:101]
	;; [unrolled: 1-line block ×8, first 2 shown]
	ds_load_b128 v[12:15], v23 offset:2112
	ds_load_b128 v[16:19], v23 offset:80
	;; [unrolled: 1-line block ×4, first 2 shown]
	s_waitcnt lgkmcnt(4)
	v_mul_f64 v[54:55], v[10:11], v[32:33]
	v_mul_f64 v[76:77], v[8:9], v[32:33]
	;; [unrolled: 1-line block ×4, first 2 shown]
	v_fma_f64 v[86:87], v[64:65], v[82:83], v[86:87]
	v_fma_f64 v[62:63], v[62:63], v[26:27], -v[88:89]
	v_fma_f64 v[64:65], v[64:65], v[26:27], v[90:91]
	v_fma_f64 v[88:89], v[78:79], v[82:83], -v[92:93]
	v_fma_f64 v[82:83], v[80:81], v[82:83], v[84:85]
	v_fma_f64 v[78:79], v[78:79], v[26:27], -v[94:95]
	v_fma_f64 v[80:81], v[80:81], v[26:27], v[28:29]
	s_waitcnt lgkmcnt(3)
	v_mul_f64 v[102:103], v[14:15], v[32:33]
	v_mul_f64 v[32:33], v[12:13], v[32:33]
	;; [unrolled: 1-line block ×4, first 2 shown]
	s_waitcnt lgkmcnt(0)
	v_mul_f64 v[90:91], v[18:19], v[40:41]
	v_mul_f64 v[92:93], v[16:17], v[40:41]
	v_add_f64 v[72:73], v[72:73], v[104:105]
	v_add_f64 v[74:75], v[74:75], v[106:107]
	;; [unrolled: 1-line block ×8, first 2 shown]
	ds_load_b128 v[26:29], v22 offset:2816
	ds_load_b128 v[42:45], v22 offset:3072
	ds_load_b128 v[46:49], v22 offset:3328
	ds_load_b128 v[50:53], v23 offset:96
	v_mul_f64 v[104:105], v[36:37], v[40:41]
	v_mul_f64 v[40:41], v[34:35], v[40:41]
	v_fma_f64 v[54:55], v[8:9], v[30:31], -v[54:55]
	v_fma_f64 v[76:77], v[10:11], v[30:31], v[76:77]
	v_fma_f64 v[98:99], v[8:9], v[4:5], -v[98:99]
	v_fma_f64 v[100:101], v[10:11], v[4:5], v[100:101]
	s_waitcnt lgkmcnt(3)
	v_mul_f64 v[94:95], v[18:19], v[28:29]
	v_mul_f64 v[96:97], v[16:17], v[28:29]
	;; [unrolled: 1-line block ×4, first 2 shown]
	v_fma_f64 v[102:103], v[12:13], v[30:31], -v[102:103]
	v_fma_f64 v[32:33], v[14:15], v[30:31], v[32:33]
	v_fma_f64 v[108:109], v[12:13], v[4:5], -v[108:109]
	v_fma_f64 v[112:113], v[14:15], v[4:5], v[6:7]
	ds_load_b128 v[4:7], v23 offset:2144
	ds_load_b128 v[8:11], v23 offset:112
	;; [unrolled: 1-line block ×4, first 2 shown]
	v_add_f64 v[56:57], v[72:73], v[56:57]
	v_add_f64 v[72:73], v[74:75], v[86:87]
	;; [unrolled: 1-line block ×8, first 2 shown]
	s_waitcnt lgkmcnt(4)
	v_mul_f64 v[70:71], v[52:53], v[44:45]
	v_mul_f64 v[74:75], v[50:51], v[44:45]
	;; [unrolled: 1-line block ×4, first 2 shown]
	s_waitcnt lgkmcnt(3)
	v_mul_f64 v[82:83], v[6:7], v[44:45]
	v_mul_f64 v[44:45], v[4:5], v[44:45]
	;; [unrolled: 1-line block ×4, first 2 shown]
	v_fma_f64 v[86:87], v[16:17], v[38:39], -v[90:91]
	v_fma_f64 v[88:89], v[18:19], v[38:39], v[92:93]
	v_fma_f64 v[90:91], v[16:17], v[26:27], -v[94:95]
	v_fma_f64 v[92:93], v[18:19], v[26:27], v[96:97]
	;; [unrolled: 2-line block ×4, first 2 shown]
	ds_load_b128 v[16:19], v22 offset:3840
	s_waitcnt lgkmcnt(0)
	s_barrier
	buffer_gl0_inv
	v_add_f64 v[36:37], v[56:57], v[54:55]
	v_add_f64 v[40:41], v[72:73], v[76:77]
	;; [unrolled: 1-line block ×8, first 2 shown]
	v_mul_f64 v[64:65], v[10:11], v[30:31]
	v_mul_f64 v[66:67], v[8:9], v[30:31]
	v_mul_f64 v[76:77], v[14:15], v[30:31]
	v_mul_f64 v[30:31], v[12:13], v[30:31]
	v_fma_f64 v[70:71], v[50:51], v[42:43], -v[70:71]
	v_mul_f64 v[68:69], v[10:11], v[18:19]
	v_mul_f64 v[72:73], v[8:9], v[18:19]
	;; [unrolled: 1-line block ×4, first 2 shown]
	v_fma_f64 v[74:75], v[52:53], v[42:43], v[74:75]
	v_fma_f64 v[50:51], v[50:51], v[46:47], -v[78:79]
	v_fma_f64 v[52:53], v[52:53], v[46:47], v[80:81]
	v_fma_f64 v[78:79], v[4:5], v[42:43], -v[82:83]
	;; [unrolled: 2-line block ×3, first 2 shown]
	v_fma_f64 v[6:7], v[6:7], v[46:47], v[48:49]
	v_add_f64 v[36:37], v[36:37], v[86:87]
	v_add_f64 v[40:41], v[40:41], v[88:89]
	;; [unrolled: 1-line block ×8, first 2 shown]
	v_fma_f64 v[38:39], v[8:9], v[28:29], -v[64:65]
	v_fma_f64 v[54:55], v[10:11], v[28:29], v[66:67]
	v_fma_f64 v[56:57], v[12:13], v[28:29], -v[76:77]
	v_fma_f64 v[28:29], v[14:15], v[28:29], v[30:31]
	;; [unrolled: 2-line block ×4, first 2 shown]
	v_add_f64 v[12:13], v[36:37], v[70:71]
	v_add_f64 v[14:15], v[40:41], v[74:75]
	;; [unrolled: 1-line block ×16, first 2 shown]
	s_cbranch_vccz .LBB1777_2
.LBB1777_3:
	v_add_nc_u32_e32 v21, s19, v21
	s_load_b32 s4, s[0:1], 0x0
	s_delay_alu instid0(VALU_DEP_1) | instskip(SKIP_2) | instid1(VALU_DEP_3)
	v_ashrrev_i32_e32 v0, 31, v21
	v_mul_lo_u32 v3, v21, s7
	v_mad_u64_u32 v[1:2], null, v21, s6, 0
	v_mul_lo_u32 v0, v0, s6
	s_delay_alu instid0(VALU_DEP_1) | instskip(SKIP_3) | instid1(VALU_DEP_3)
	v_add3_u32 v2, v2, v3, v0
	v_add_nc_u32_e32 v0, s18, v20
	s_waitcnt lgkmcnt(0)
	v_cmp_gt_i32_e32 vcc_lo, s4, v21
	v_lshlrev_b64 v[1:2], 4, v[1:2]
	s_delay_alu instid0(VALU_DEP_3) | instskip(NEXT) | instid1(VALU_DEP_1)
	v_cmp_le_i32_e64 s0, v0, v21
	s_and_b32 s0, vcc_lo, s0
	s_delay_alu instid0(VALU_DEP_2) | instskip(NEXT) | instid1(VALU_DEP_1)
	v_add_co_u32 v20, s1, s2, v1
	v_add_co_ci_u32_e64 v22, s1, s3, v2, s1
	s_and_saveexec_b32 s1, s0
	s_cbranch_execz .LBB1777_5
; %bb.4:
	v_ashrrev_i32_e32 v1, 31, v0
	s_delay_alu instid0(VALU_DEP_1) | instskip(NEXT) | instid1(VALU_DEP_1)
	v_lshlrev_b64 v[1:2], 4, v[0:1]
	v_add_co_u32 v1, s0, v20, v1
	s_delay_alu instid0(VALU_DEP_1)
	v_add_co_ci_u32_e64 v2, s0, v22, v2, s0
	v_cmp_ne_u32_e64 s0, v21, v0
	global_load_b128 v[23:26], v[1:2], off
	s_waitcnt vmcnt(0)
	v_add_f64 v[18:19], v[18:19], v[25:26]
	v_add_f64 v[16:17], v[16:17], v[23:24]
	s_delay_alu instid0(VALU_DEP_2) | instskip(NEXT) | instid1(VALU_DEP_3)
	v_cndmask_b32_e64 v19, 0, v19, s0
	v_cndmask_b32_e64 v18, 0, v18, s0
	global_store_b128 v[1:2], v[16:19], off
.LBB1777_5:
	s_or_b32 exec_lo, exec_lo, s1
	v_add_nc_u32_e32 v2, 16, v0
	s_delay_alu instid0(VALU_DEP_1) | instskip(NEXT) | instid1(VALU_DEP_1)
	v_cmp_le_i32_e64 s0, v2, v21
	s_and_b32 s1, vcc_lo, s0
	s_delay_alu instid0(SALU_CYCLE_1)
	s_and_saveexec_b32 s0, s1
	s_cbranch_execz .LBB1777_7
; %bb.6:
	v_ashrrev_i32_e32 v3, 31, v2
	s_delay_alu instid0(VALU_DEP_1) | instskip(NEXT) | instid1(VALU_DEP_1)
	v_lshlrev_b64 v[16:17], 4, v[2:3]
	v_add_co_u32 v23, vcc_lo, v20, v16
	s_delay_alu instid0(VALU_DEP_2)
	v_add_co_ci_u32_e32 v24, vcc_lo, v22, v17, vcc_lo
	v_cmp_ne_u32_e32 vcc_lo, v21, v2
	global_load_b128 v[16:19], v[23:24], off
	s_waitcnt vmcnt(0)
	v_add_f64 v[14:15], v[14:15], v[18:19]
	v_add_f64 v[12:13], v[12:13], v[16:17]
	s_delay_alu instid0(VALU_DEP_2)
	v_dual_cndmask_b32 v15, 0, v15 :: v_dual_cndmask_b32 v14, 0, v14
	global_store_b128 v[23:24], v[12:15], off
.LBB1777_7:
	s_or_b32 exec_lo, exec_lo, s0
	v_add_nc_u32_e32 v3, 16, v21
	s_delay_alu instid0(VALU_DEP_1) | instskip(SKIP_3) | instid1(VALU_DEP_4)
	v_ashrrev_i32_e32 v1, 31, v3
	v_mul_lo_u32 v14, v3, s7
	v_mad_u64_u32 v[12:13], null, v3, s6, 0
	v_cmp_gt_i32_e32 vcc_lo, s4, v3
	v_mul_lo_u32 v1, v1, s6
	v_cmp_le_i32_e64 s0, v0, v3
	s_delay_alu instid0(VALU_DEP_1) | instskip(NEXT) | instid1(VALU_DEP_2)
	s_and_b32 s0, vcc_lo, s0
	v_add3_u32 v13, v13, v14, v1
	s_delay_alu instid0(VALU_DEP_1) | instskip(NEXT) | instid1(VALU_DEP_1)
	v_lshlrev_b64 v[12:13], 4, v[12:13]
	v_add_co_u32 v12, s1, s2, v12
	s_delay_alu instid0(VALU_DEP_1)
	v_add_co_ci_u32_e64 v13, s1, s3, v13, s1
	s_and_saveexec_b32 s1, s0
	s_cbranch_execz .LBB1777_9
; %bb.8:
	v_ashrrev_i32_e32 v1, 31, v0
	s_delay_alu instid0(VALU_DEP_1) | instskip(NEXT) | instid1(VALU_DEP_1)
	v_lshlrev_b64 v[14:15], 4, v[0:1]
	v_add_co_u32 v18, s0, v12, v14
	s_delay_alu instid0(VALU_DEP_1)
	v_add_co_ci_u32_e64 v19, s0, v13, v15, s0
	v_cmp_ne_u32_e64 s0, v3, v0
	global_load_b128 v[14:17], v[18:19], off
	s_waitcnt vmcnt(0)
	v_add_f64 v[10:11], v[10:11], v[16:17]
	v_add_f64 v[8:9], v[8:9], v[14:15]
	s_delay_alu instid0(VALU_DEP_2) | instskip(NEXT) | instid1(VALU_DEP_3)
	v_cndmask_b32_e64 v11, 0, v11, s0
	v_cndmask_b32_e64 v10, 0, v10, s0
	global_store_b128 v[18:19], v[8:11], off
.LBB1777_9:
	s_or_b32 exec_lo, exec_lo, s1
	v_cmp_le_i32_e64 s0, v2, v3
	s_delay_alu instid0(VALU_DEP_1) | instskip(NEXT) | instid1(SALU_CYCLE_1)
	s_and_b32 s0, vcc_lo, s0
	s_and_saveexec_b32 s1, s0
	s_cbranch_execz .LBB1777_11
; %bb.10:
	v_ashrrev_i32_e32 v3, 31, v2
	s_delay_alu instid0(VALU_DEP_1) | instskip(NEXT) | instid1(VALU_DEP_1)
	v_lshlrev_b64 v[1:2], 4, v[2:3]
	v_add_co_u32 v12, vcc_lo, v12, v1
	s_delay_alu instid0(VALU_DEP_2)
	v_add_co_ci_u32_e32 v13, vcc_lo, v13, v2, vcc_lo
	v_cmp_ne_u32_e32 vcc_lo, v21, v0
	global_load_b128 v[8:11], v[12:13], off
	s_waitcnt vmcnt(0)
	v_add_f64 v[3:4], v[4:5], v[10:11]
	v_add_f64 v[1:2], v[6:7], v[8:9]
	s_delay_alu instid0(VALU_DEP_2)
	v_dual_cndmask_b32 v4, 0, v4 :: v_dual_cndmask_b32 v3, 0, v3
	global_store_b128 v[12:13], v[1:4], off
.LBB1777_11:
	s_nop 0
	s_sendmsg sendmsg(MSG_DEALLOC_VGPRS)
	s_endpgm
	.section	.rodata,"a",@progbits
	.p2align	6, 0x0
	.amdhsa_kernel _ZL37rocblas_syrkx_herkx_restricted_kernelIl19rocblas_complex_numIdELi16ELi32ELi8ELi1ELi1ELb1ELc67ELc85EKPKS1_KPS1_EviT_PT9_S7_lS9_S7_lPT10_S7_li
		.amdhsa_group_segment_fixed_size 8192
		.amdhsa_private_segment_fixed_size 0
		.amdhsa_kernarg_size 92
		.amdhsa_user_sgpr_count 13
		.amdhsa_user_sgpr_dispatch_ptr 0
		.amdhsa_user_sgpr_queue_ptr 0
		.amdhsa_user_sgpr_kernarg_segment_ptr 1
		.amdhsa_user_sgpr_dispatch_id 0
		.amdhsa_user_sgpr_private_segment_size 0
		.amdhsa_wavefront_size32 1
		.amdhsa_uses_dynamic_stack 0
		.amdhsa_enable_private_segment 0
		.amdhsa_system_sgpr_workgroup_id_x 1
		.amdhsa_system_sgpr_workgroup_id_y 1
		.amdhsa_system_sgpr_workgroup_id_z 1
		.amdhsa_system_sgpr_workgroup_info 0
		.amdhsa_system_vgpr_workitem_id 1
		.amdhsa_next_free_vgpr 118
		.amdhsa_next_free_sgpr 20
		.amdhsa_reserve_vcc 1
		.amdhsa_float_round_mode_32 0
		.amdhsa_float_round_mode_16_64 0
		.amdhsa_float_denorm_mode_32 3
		.amdhsa_float_denorm_mode_16_64 3
		.amdhsa_dx10_clamp 1
		.amdhsa_ieee_mode 1
		.amdhsa_fp16_overflow 0
		.amdhsa_workgroup_processor_mode 1
		.amdhsa_memory_ordered 1
		.amdhsa_forward_progress 0
		.amdhsa_shared_vgpr_count 0
		.amdhsa_exception_fp_ieee_invalid_op 0
		.amdhsa_exception_fp_denorm_src 0
		.amdhsa_exception_fp_ieee_div_zero 0
		.amdhsa_exception_fp_ieee_overflow 0
		.amdhsa_exception_fp_ieee_underflow 0
		.amdhsa_exception_fp_ieee_inexact 0
		.amdhsa_exception_int_div_zero 0
	.end_amdhsa_kernel
	.section	.text._ZL37rocblas_syrkx_herkx_restricted_kernelIl19rocblas_complex_numIdELi16ELi32ELi8ELi1ELi1ELb1ELc67ELc85EKPKS1_KPS1_EviT_PT9_S7_lS9_S7_lPT10_S7_li,"axG",@progbits,_ZL37rocblas_syrkx_herkx_restricted_kernelIl19rocblas_complex_numIdELi16ELi32ELi8ELi1ELi1ELb1ELc67ELc85EKPKS1_KPS1_EviT_PT9_S7_lS9_S7_lPT10_S7_li,comdat
.Lfunc_end1777:
	.size	_ZL37rocblas_syrkx_herkx_restricted_kernelIl19rocblas_complex_numIdELi16ELi32ELi8ELi1ELi1ELb1ELc67ELc85EKPKS1_KPS1_EviT_PT9_S7_lS9_S7_lPT10_S7_li, .Lfunc_end1777-_ZL37rocblas_syrkx_herkx_restricted_kernelIl19rocblas_complex_numIdELi16ELi32ELi8ELi1ELi1ELb1ELc67ELc85EKPKS1_KPS1_EviT_PT9_S7_lS9_S7_lPT10_S7_li
                                        ; -- End function
	.section	.AMDGPU.csdata,"",@progbits
; Kernel info:
; codeLenInByte = 3208
; NumSgprs: 22
; NumVgprs: 118
; ScratchSize: 0
; MemoryBound: 0
; FloatMode: 240
; IeeeMode: 1
; LDSByteSize: 8192 bytes/workgroup (compile time only)
; SGPRBlocks: 2
; VGPRBlocks: 14
; NumSGPRsForWavesPerEU: 22
; NumVGPRsForWavesPerEU: 118
; Occupancy: 12
; WaveLimiterHint : 1
; COMPUTE_PGM_RSRC2:SCRATCH_EN: 0
; COMPUTE_PGM_RSRC2:USER_SGPR: 13
; COMPUTE_PGM_RSRC2:TRAP_HANDLER: 0
; COMPUTE_PGM_RSRC2:TGID_X_EN: 1
; COMPUTE_PGM_RSRC2:TGID_Y_EN: 1
; COMPUTE_PGM_RSRC2:TGID_Z_EN: 1
; COMPUTE_PGM_RSRC2:TIDIG_COMP_CNT: 1
	.section	.text._ZL37rocblas_syrkx_herkx_restricted_kernelIl19rocblas_complex_numIdELi16ELi32ELi8ELi1ELi1ELb1ELc78ELc85EKPKS1_KPS1_EviT_PT9_S7_lS9_S7_lPT10_S7_li,"axG",@progbits,_ZL37rocblas_syrkx_herkx_restricted_kernelIl19rocblas_complex_numIdELi16ELi32ELi8ELi1ELi1ELb1ELc78ELc85EKPKS1_KPS1_EviT_PT9_S7_lS9_S7_lPT10_S7_li,comdat
	.globl	_ZL37rocblas_syrkx_herkx_restricted_kernelIl19rocblas_complex_numIdELi16ELi32ELi8ELi1ELi1ELb1ELc78ELc85EKPKS1_KPS1_EviT_PT9_S7_lS9_S7_lPT10_S7_li ; -- Begin function _ZL37rocblas_syrkx_herkx_restricted_kernelIl19rocblas_complex_numIdELi16ELi32ELi8ELi1ELi1ELb1ELc78ELc85EKPKS1_KPS1_EviT_PT9_S7_lS9_S7_lPT10_S7_li
	.p2align	8
	.type	_ZL37rocblas_syrkx_herkx_restricted_kernelIl19rocblas_complex_numIdELi16ELi32ELi8ELi1ELi1ELb1ELc78ELc85EKPKS1_KPS1_EviT_PT9_S7_lS9_S7_lPT10_S7_li,@function
_ZL37rocblas_syrkx_herkx_restricted_kernelIl19rocblas_complex_numIdELi16ELi32ELi8ELi1ELi1ELb1ELc78ELc85EKPKS1_KPS1_EviT_PT9_S7_lS9_S7_lPT10_S7_li: ; @_ZL37rocblas_syrkx_herkx_restricted_kernelIl19rocblas_complex_numIdELi16ELi32ELi8ELi1ELi1ELb1ELc78ELc85EKPKS1_KPS1_EviT_PT9_S7_lS9_S7_lPT10_S7_li
; %bb.0:
	s_clause 0x1
	s_load_b128 s[4:7], s[0:1], 0x40
	s_load_b128 s[8:11], s[0:1], 0x8
	s_mov_b32 s2, s15
	s_mov_b32 s3, 0
	v_mov_b32_e32 v16, 0
	s_lshl_b64 s[16:17], s[2:3], 3
	v_dual_mov_b32 v17, 0 :: v_dual_and_b32 v20, 0x3ff, v0
	v_bfe_u32 v21, v0, 10, 10
	s_delay_alu instid0(VALU_DEP_3) | instskip(NEXT) | instid1(VALU_DEP_3)
	v_mov_b32_e32 v12, v16
	v_dual_mov_b32 v14, v16 :: v_dual_mov_b32 v15, v17
	v_dual_mov_b32 v19, v17 :: v_dual_mov_b32 v18, v16
	;; [unrolled: 1-line block ×5, first 2 shown]
	v_mov_b32_e32 v7, v17
	s_waitcnt lgkmcnt(0)
	s_add_u32 s2, s4, s16
	s_addc_u32 s3, s5, s17
	v_cmp_lt_i64_e64 s4, s[8:9], 1
	s_load_b64 s[2:3], s[2:3], 0x0
	v_dual_mov_b32 v4, v16 :: v_dual_mov_b32 v5, v17
	s_lshl_b32 s18, s13, 5
	s_lshl_b32 s19, s14, 5
	s_delay_alu instid0(VALU_DEP_2)
	s_and_b32 vcc_lo, exec_lo, s4
	s_cbranch_vccnz .LBB1778_3
; %bb.1:
	v_lshl_add_u32 v1, v21, 4, v20
	s_clause 0x1
	s_load_b64 s[4:5], s[0:1], 0x18
	s_load_b128 s[12:15], s[0:1], 0x28
	v_and_b32_e32 v6, 7, v20
	s_add_u32 s10, s10, s16
	s_addc_u32 s11, s11, s17
	v_and_b32_e32 v14, 31, v1
	v_lshrrev_b32_e32 v15, 3, v1
	v_lshrrev_b32_e32 v16, 5, v1
	s_load_b64 s[10:11], s[10:11], 0x0
	v_lshl_add_u32 v23, v21, 7, 0x1000
	v_add_nc_u32_e32 v0, s18, v14
	v_add_nc_u32_e32 v2, s19, v15
	s_delay_alu instid0(VALU_DEP_2) | instskip(NEXT) | instid1(VALU_DEP_2)
	v_ashrrev_i32_e32 v1, 31, v0
	v_ashrrev_i32_e32 v3, 31, v2
	s_waitcnt lgkmcnt(0)
	s_delay_alu instid0(VALU_DEP_2) | instskip(NEXT) | instid1(VALU_DEP_2)
	v_mad_u64_u32 v[10:11], null, v16, s4, v[0:1]
	v_mad_u64_u32 v[0:1], null, v6, s14, v[2:3]
	s_add_u32 s12, s12, s16
	s_addc_u32 s13, s13, s17
	s_load_b64 s[12:13], s[12:13], 0x0
	s_delay_alu instid0(VALU_DEP_2) | instskip(NEXT) | instid1(VALU_DEP_1)
	v_mov_b32_e32 v2, v11
	v_mad_u64_u32 v[3:4], null, v16, s5, v[2:3]
	v_mov_b32_e32 v4, 0
	v_mov_b32_e32 v5, 0
	s_lshl_b64 s[4:5], s[4:5], 7
	s_delay_alu instid0(VALU_DEP_1)
	v_mov_b32_e32 v9, v5
	v_mad_u64_u32 v[12:13], null, v6, s15, v[1:2]
	v_lshlrev_b32_e32 v13, 4, v14
	v_lshlrev_b32_e32 v1, 4, v6
	v_dual_mov_b32 v11, v3 :: v_dual_lshlrev_b32 v22, 4, v20
	v_mov_b32_e32 v7, v5
	s_delay_alu instid0(VALU_DEP_4) | instskip(NEXT) | instid1(VALU_DEP_4)
	v_lshl_or_b32 v24, v16, 9, v13
	v_lshl_or_b32 v14, v15, 7, v1
	v_mov_b32_e32 v1, v12
	v_lshlrev_b64 v[2:3], 4, v[10:11]
	v_dual_mov_b32 v6, v4 :: v_dual_mov_b32 v11, v5
	s_delay_alu instid0(VALU_DEP_4) | instskip(NEXT) | instid1(VALU_DEP_4)
	v_dual_mov_b32 v8, v4 :: v_dual_add_nc_u32 v25, 0x1000, v14
	v_lshlrev_b64 v[0:1], 4, v[0:1]
	s_delay_alu instid0(VALU_DEP_4) | instskip(SKIP_3) | instid1(VALU_DEP_4)
	v_add_co_u32 v2, vcc_lo, v2, s10
	v_add_co_ci_u32_e32 v3, vcc_lo, s11, v3, vcc_lo
	v_dual_mov_b32 v10, v4 :: v_dual_mov_b32 v15, v5
	s_waitcnt lgkmcnt(0)
	v_add_co_u32 v12, vcc_lo, v0, s12
	v_add_co_ci_u32_e32 v13, vcc_lo, s13, v1, vcc_lo
	v_add_co_u32 v0, vcc_lo, v2, 8
	v_add_co_ci_u32_e32 v1, vcc_lo, 0, v3, vcc_lo
	s_delay_alu instid0(VALU_DEP_4) | instskip(NEXT) | instid1(VALU_DEP_4)
	v_add_co_u32 v2, vcc_lo, v12, 8
	v_add_co_ci_u32_e32 v3, vcc_lo, 0, v13, vcc_lo
	v_dual_mov_b32 v14, v4 :: v_dual_mov_b32 v13, v5
	v_dual_mov_b32 v12, v4 :: v_dual_mov_b32 v19, v5
	;; [unrolled: 1-line block ×3, first 2 shown]
	v_mov_b32_e32 v16, v4
	s_lshl_b64 s[10:11], s[14:15], 7
	s_mov_b64 s[12:13], 0
.LBB1778_2:                             ; =>This Inner Loop Header: Depth=1
	global_load_b128 v[26:29], v[2:3], off offset:-8
	global_load_b128 v[30:33], v[0:1], off offset:-8
	s_add_u32 s12, s12, 8
	v_add_co_u32 v0, vcc_lo, v0, s4
	s_addc_u32 s13, s13, 0
	v_add_co_ci_u32_e32 v1, vcc_lo, s5, v1, vcc_lo
	v_cmp_ge_u64_e64 s14, s[12:13], s[8:9]
	v_add_co_u32 v2, vcc_lo, v2, s10
	v_add_co_ci_u32_e32 v3, vcc_lo, s11, v3, vcc_lo
	s_delay_alu instid0(VALU_DEP_3)
	s_and_b32 vcc_lo, exec_lo, s14
	s_waitcnt vmcnt(1)
	v_xor_b32_e32 v29, 0x80000000, v29
	s_waitcnt vmcnt(0)
	ds_store_b128 v24, v[30:33]
	ds_store_b128 v25, v[26:29]
	s_waitcnt lgkmcnt(0)
	s_barrier
	buffer_gl0_inv
	ds_load_b128 v[26:29], v23
	ds_load_b128 v[30:33], v22
	ds_load_b128 v[34:37], v22 offset:256
	ds_load_b128 v[38:41], v23 offset:2048
	;; [unrolled: 1-line block ×13, first 2 shown]
	s_waitcnt lgkmcnt(13)
	v_mul_f64 v[86:87], v[28:29], v[32:33]
	v_mul_f64 v[88:89], v[26:27], v[32:33]
	s_waitcnt lgkmcnt(12)
	v_mul_f64 v[90:91], v[28:29], v[36:37]
	v_mul_f64 v[92:93], v[26:27], v[36:37]
	;; [unrolled: 3-line block ×3, first 2 shown]
	v_mul_f64 v[96:97], v[40:41], v[36:37]
	v_mul_f64 v[36:37], v[38:39], v[36:37]
	s_waitcnt lgkmcnt(8)
	v_mul_f64 v[98:99], v[44:45], v[52:53]
	v_mul_f64 v[100:101], v[42:43], v[52:53]
	s_waitcnt lgkmcnt(7)
	v_mul_f64 v[102:103], v[44:45], v[56:57]
	v_mul_f64 v[104:105], v[42:43], v[56:57]
	;; [unrolled: 1-line block ×6, first 2 shown]
	s_waitcnt lgkmcnt(3)
	v_mul_f64 v[112:113], v[58:59], v[72:73]
	s_waitcnt lgkmcnt(2)
	v_mul_f64 v[114:115], v[76:77], v[68:69]
	v_mul_f64 v[116:117], v[76:77], v[72:73]
	v_fma_f64 v[86:87], v[26:27], v[30:31], -v[86:87]
	v_fma_f64 v[88:89], v[28:29], v[30:31], v[88:89]
	v_fma_f64 v[90:91], v[26:27], v[34:35], -v[90:91]
	v_fma_f64 v[92:93], v[28:29], v[34:35], v[92:93]
	;; [unrolled: 2-line block ×4, first 2 shown]
	v_mul_f64 v[36:37], v[60:61], v[68:69]
	v_mul_f64 v[40:41], v[58:59], v[68:69]
	;; [unrolled: 1-line block ×5, first 2 shown]
	v_fma_f64 v[98:99], v[42:43], v[50:51], -v[98:99]
	v_fma_f64 v[100:101], v[44:45], v[50:51], v[100:101]
	v_fma_f64 v[42:43], v[42:43], v[54:55], -v[102:103]
	v_fma_f64 v[44:45], v[44:45], v[54:55], v[104:105]
	;; [unrolled: 2-line block ×4, first 2 shown]
	ds_load_b128 v[26:29], v22 offset:1792
	ds_load_b128 v[30:33], v22 offset:2048
	s_waitcnt lgkmcnt(2)
	v_mul_f64 v[56:57], v[64:65], v[84:85]
	v_add_f64 v[16:17], v[16:17], v[86:87]
	v_add_f64 v[18:19], v[18:19], v[88:89]
	;; [unrolled: 1-line block ×8, first 2 shown]
	v_mul_f64 v[86:87], v[62:63], v[84:85]
	s_waitcnt lgkmcnt(1)
	v_mul_f64 v[88:89], v[64:65], v[28:29]
	v_mul_f64 v[90:91], v[62:63], v[28:29]
	;; [unrolled: 1-line block ×6, first 2 shown]
	v_fma_f64 v[104:105], v[58:59], v[66:67], -v[36:37]
	v_fma_f64 v[106:107], v[60:61], v[66:67], v[40:41]
	v_fma_f64 v[58:59], v[58:59], v[70:71], -v[96:97]
	v_fma_f64 v[60:61], v[60:61], v[70:71], v[112:113]
	;; [unrolled: 2-line block ×4, first 2 shown]
	ds_load_b128 v[4:7], v22 offset:2304
	ds_load_b128 v[8:11], v23 offset:64
	v_fma_f64 v[56:57], v[62:63], v[82:83], -v[56:57]
	v_add_f64 v[72:73], v[16:17], v[98:99]
	v_add_f64 v[74:75], v[18:19], v[100:101]
	;; [unrolled: 1-line block ×8, first 2 shown]
	ds_load_b128 v[12:15], v23 offset:2112
	ds_load_b128 v[16:19], v23 offset:80
	;; [unrolled: 1-line block ×4, first 2 shown]
	s_waitcnt lgkmcnt(4)
	v_mul_f64 v[54:55], v[10:11], v[32:33]
	v_mul_f64 v[76:77], v[8:9], v[32:33]
	;; [unrolled: 1-line block ×4, first 2 shown]
	v_fma_f64 v[86:87], v[64:65], v[82:83], v[86:87]
	v_fma_f64 v[62:63], v[62:63], v[26:27], -v[88:89]
	v_fma_f64 v[64:65], v[64:65], v[26:27], v[90:91]
	v_fma_f64 v[88:89], v[78:79], v[82:83], -v[92:93]
	;; [unrolled: 2-line block ×3, first 2 shown]
	v_fma_f64 v[80:81], v[80:81], v[26:27], v[28:29]
	s_waitcnt lgkmcnt(3)
	v_mul_f64 v[102:103], v[14:15], v[32:33]
	v_mul_f64 v[32:33], v[12:13], v[32:33]
	;; [unrolled: 1-line block ×4, first 2 shown]
	s_waitcnt lgkmcnt(0)
	v_mul_f64 v[90:91], v[18:19], v[40:41]
	v_mul_f64 v[92:93], v[16:17], v[40:41]
	v_add_f64 v[72:73], v[72:73], v[104:105]
	v_add_f64 v[74:75], v[74:75], v[106:107]
	v_add_f64 v[58:59], v[42:43], v[58:59]
	v_add_f64 v[60:61], v[44:45], v[60:61]
	v_add_f64 v[84:85], v[52:53], v[96:97]
	v_add_f64 v[66:67], v[50:51], v[66:67]
	v_add_f64 v[68:69], v[46:47], v[68:69]
	v_add_f64 v[70:71], v[48:49], v[70:71]
	ds_load_b128 v[26:29], v22 offset:2816
	ds_load_b128 v[42:45], v22 offset:3072
	;; [unrolled: 1-line block ×4, first 2 shown]
	v_mul_f64 v[104:105], v[36:37], v[40:41]
	v_mul_f64 v[40:41], v[34:35], v[40:41]
	v_fma_f64 v[54:55], v[8:9], v[30:31], -v[54:55]
	v_fma_f64 v[76:77], v[10:11], v[30:31], v[76:77]
	v_fma_f64 v[98:99], v[8:9], v[4:5], -v[98:99]
	v_fma_f64 v[100:101], v[10:11], v[4:5], v[100:101]
	s_waitcnt lgkmcnt(3)
	v_mul_f64 v[94:95], v[18:19], v[28:29]
	v_mul_f64 v[96:97], v[16:17], v[28:29]
	;; [unrolled: 1-line block ×4, first 2 shown]
	v_fma_f64 v[102:103], v[12:13], v[30:31], -v[102:103]
	v_fma_f64 v[32:33], v[14:15], v[30:31], v[32:33]
	v_fma_f64 v[108:109], v[12:13], v[4:5], -v[108:109]
	v_fma_f64 v[112:113], v[14:15], v[4:5], v[6:7]
	ds_load_b128 v[4:7], v23 offset:2144
	ds_load_b128 v[8:11], v23 offset:112
	;; [unrolled: 1-line block ×4, first 2 shown]
	v_add_f64 v[56:57], v[72:73], v[56:57]
	v_add_f64 v[72:73], v[74:75], v[86:87]
	;; [unrolled: 1-line block ×8, first 2 shown]
	s_waitcnt lgkmcnt(4)
	v_mul_f64 v[70:71], v[52:53], v[44:45]
	v_mul_f64 v[74:75], v[50:51], v[44:45]
	;; [unrolled: 1-line block ×4, first 2 shown]
	s_waitcnt lgkmcnt(3)
	v_mul_f64 v[82:83], v[6:7], v[44:45]
	v_mul_f64 v[44:45], v[4:5], v[44:45]
	;; [unrolled: 1-line block ×4, first 2 shown]
	v_fma_f64 v[86:87], v[16:17], v[38:39], -v[90:91]
	v_fma_f64 v[88:89], v[18:19], v[38:39], v[92:93]
	v_fma_f64 v[90:91], v[16:17], v[26:27], -v[94:95]
	v_fma_f64 v[92:93], v[18:19], v[26:27], v[96:97]
	;; [unrolled: 2-line block ×4, first 2 shown]
	ds_load_b128 v[16:19], v22 offset:3840
	s_waitcnt lgkmcnt(0)
	s_barrier
	buffer_gl0_inv
	v_add_f64 v[36:37], v[56:57], v[54:55]
	v_add_f64 v[40:41], v[72:73], v[76:77]
	;; [unrolled: 1-line block ×8, first 2 shown]
	v_mul_f64 v[64:65], v[10:11], v[30:31]
	v_mul_f64 v[66:67], v[8:9], v[30:31]
	;; [unrolled: 1-line block ×4, first 2 shown]
	v_fma_f64 v[70:71], v[50:51], v[42:43], -v[70:71]
	v_mul_f64 v[68:69], v[10:11], v[18:19]
	v_mul_f64 v[72:73], v[8:9], v[18:19]
	;; [unrolled: 1-line block ×4, first 2 shown]
	v_fma_f64 v[74:75], v[52:53], v[42:43], v[74:75]
	v_fma_f64 v[50:51], v[50:51], v[46:47], -v[78:79]
	v_fma_f64 v[52:53], v[52:53], v[46:47], v[80:81]
	v_fma_f64 v[78:79], v[4:5], v[42:43], -v[82:83]
	;; [unrolled: 2-line block ×3, first 2 shown]
	v_fma_f64 v[6:7], v[6:7], v[46:47], v[48:49]
	v_add_f64 v[36:37], v[36:37], v[86:87]
	v_add_f64 v[40:41], v[40:41], v[88:89]
	;; [unrolled: 1-line block ×8, first 2 shown]
	v_fma_f64 v[38:39], v[8:9], v[28:29], -v[64:65]
	v_fma_f64 v[54:55], v[10:11], v[28:29], v[66:67]
	v_fma_f64 v[56:57], v[12:13], v[28:29], -v[76:77]
	v_fma_f64 v[28:29], v[14:15], v[28:29], v[30:31]
	;; [unrolled: 2-line block ×4, first 2 shown]
	v_add_f64 v[12:13], v[36:37], v[70:71]
	v_add_f64 v[14:15], v[40:41], v[74:75]
	v_add_f64 v[36:37], v[44:45], v[50:51]
	v_add_f64 v[40:41], v[46:47], v[52:53]
	v_add_f64 v[44:45], v[48:49], v[78:79]
	v_add_f64 v[32:33], v[32:33], v[42:43]
	v_add_f64 v[4:5], v[34:35], v[4:5]
	v_add_f64 v[26:27], v[26:27], v[6:7]
	v_add_f64 v[16:17], v[12:13], v[38:39]
	v_add_f64 v[18:19], v[14:15], v[54:55]
	v_add_f64 v[12:13], v[36:37], v[8:9]
	v_add_f64 v[14:15], v[40:41], v[10:11]
	v_add_f64 v[10:11], v[44:45], v[56:57]
	v_add_f64 v[8:9], v[32:33], v[28:29]
	v_add_f64 v[6:7], v[4:5], v[30:31]
	v_add_f64 v[4:5], v[26:27], v[58:59]
	s_cbranch_vccz .LBB1778_2
.LBB1778_3:
	v_add_nc_u32_e32 v21, s19, v21
	s_load_b32 s4, s[0:1], 0x0
	s_delay_alu instid0(VALU_DEP_1) | instskip(SKIP_2) | instid1(VALU_DEP_3)
	v_ashrrev_i32_e32 v0, 31, v21
	v_mul_lo_u32 v3, v21, s7
	v_mad_u64_u32 v[1:2], null, v21, s6, 0
	v_mul_lo_u32 v0, v0, s6
	s_delay_alu instid0(VALU_DEP_1) | instskip(SKIP_3) | instid1(VALU_DEP_3)
	v_add3_u32 v2, v2, v3, v0
	v_add_nc_u32_e32 v0, s18, v20
	s_waitcnt lgkmcnt(0)
	v_cmp_gt_i32_e32 vcc_lo, s4, v21
	v_lshlrev_b64 v[1:2], 4, v[1:2]
	s_delay_alu instid0(VALU_DEP_3) | instskip(NEXT) | instid1(VALU_DEP_1)
	v_cmp_le_i32_e64 s0, v0, v21
	s_and_b32 s0, vcc_lo, s0
	s_delay_alu instid0(VALU_DEP_2) | instskip(NEXT) | instid1(VALU_DEP_1)
	v_add_co_u32 v20, s1, s2, v1
	v_add_co_ci_u32_e64 v22, s1, s3, v2, s1
	s_and_saveexec_b32 s1, s0
	s_cbranch_execz .LBB1778_5
; %bb.4:
	v_ashrrev_i32_e32 v1, 31, v0
	s_delay_alu instid0(VALU_DEP_1) | instskip(NEXT) | instid1(VALU_DEP_1)
	v_lshlrev_b64 v[1:2], 4, v[0:1]
	v_add_co_u32 v1, s0, v20, v1
	s_delay_alu instid0(VALU_DEP_1)
	v_add_co_ci_u32_e64 v2, s0, v22, v2, s0
	v_cmp_ne_u32_e64 s0, v21, v0
	global_load_b128 v[23:26], v[1:2], off
	s_waitcnt vmcnt(0)
	v_add_f64 v[18:19], v[18:19], v[25:26]
	v_add_f64 v[16:17], v[16:17], v[23:24]
	s_delay_alu instid0(VALU_DEP_2) | instskip(NEXT) | instid1(VALU_DEP_3)
	v_cndmask_b32_e64 v19, 0, v19, s0
	v_cndmask_b32_e64 v18, 0, v18, s0
	global_store_b128 v[1:2], v[16:19], off
.LBB1778_5:
	s_or_b32 exec_lo, exec_lo, s1
	v_add_nc_u32_e32 v2, 16, v0
	s_delay_alu instid0(VALU_DEP_1) | instskip(NEXT) | instid1(VALU_DEP_1)
	v_cmp_le_i32_e64 s0, v2, v21
	s_and_b32 s1, vcc_lo, s0
	s_delay_alu instid0(SALU_CYCLE_1)
	s_and_saveexec_b32 s0, s1
	s_cbranch_execz .LBB1778_7
; %bb.6:
	v_ashrrev_i32_e32 v3, 31, v2
	s_delay_alu instid0(VALU_DEP_1) | instskip(NEXT) | instid1(VALU_DEP_1)
	v_lshlrev_b64 v[16:17], 4, v[2:3]
	v_add_co_u32 v23, vcc_lo, v20, v16
	s_delay_alu instid0(VALU_DEP_2)
	v_add_co_ci_u32_e32 v24, vcc_lo, v22, v17, vcc_lo
	v_cmp_ne_u32_e32 vcc_lo, v21, v2
	global_load_b128 v[16:19], v[23:24], off
	s_waitcnt vmcnt(0)
	v_add_f64 v[14:15], v[14:15], v[18:19]
	v_add_f64 v[12:13], v[12:13], v[16:17]
	s_delay_alu instid0(VALU_DEP_2)
	v_dual_cndmask_b32 v15, 0, v15 :: v_dual_cndmask_b32 v14, 0, v14
	global_store_b128 v[23:24], v[12:15], off
.LBB1778_7:
	s_or_b32 exec_lo, exec_lo, s0
	v_add_nc_u32_e32 v3, 16, v21
	s_delay_alu instid0(VALU_DEP_1) | instskip(SKIP_3) | instid1(VALU_DEP_4)
	v_ashrrev_i32_e32 v1, 31, v3
	v_mul_lo_u32 v14, v3, s7
	v_mad_u64_u32 v[12:13], null, v3, s6, 0
	v_cmp_gt_i32_e32 vcc_lo, s4, v3
	v_mul_lo_u32 v1, v1, s6
	v_cmp_le_i32_e64 s0, v0, v3
	s_delay_alu instid0(VALU_DEP_1) | instskip(NEXT) | instid1(VALU_DEP_2)
	s_and_b32 s0, vcc_lo, s0
	v_add3_u32 v13, v13, v14, v1
	s_delay_alu instid0(VALU_DEP_1) | instskip(NEXT) | instid1(VALU_DEP_1)
	v_lshlrev_b64 v[12:13], 4, v[12:13]
	v_add_co_u32 v12, s1, s2, v12
	s_delay_alu instid0(VALU_DEP_1)
	v_add_co_ci_u32_e64 v13, s1, s3, v13, s1
	s_and_saveexec_b32 s1, s0
	s_cbranch_execz .LBB1778_9
; %bb.8:
	v_ashrrev_i32_e32 v1, 31, v0
	s_delay_alu instid0(VALU_DEP_1) | instskip(NEXT) | instid1(VALU_DEP_1)
	v_lshlrev_b64 v[14:15], 4, v[0:1]
	v_add_co_u32 v18, s0, v12, v14
	s_delay_alu instid0(VALU_DEP_1)
	v_add_co_ci_u32_e64 v19, s0, v13, v15, s0
	v_cmp_ne_u32_e64 s0, v3, v0
	global_load_b128 v[14:17], v[18:19], off
	s_waitcnt vmcnt(0)
	v_add_f64 v[16:17], v[8:9], v[16:17]
	v_add_f64 v[8:9], v[10:11], v[14:15]
	s_delay_alu instid0(VALU_DEP_2) | instskip(NEXT) | instid1(VALU_DEP_3)
	v_cndmask_b32_e64 v11, 0, v17, s0
	v_cndmask_b32_e64 v10, 0, v16, s0
	global_store_b128 v[18:19], v[8:11], off
.LBB1778_9:
	s_or_b32 exec_lo, exec_lo, s1
	v_cmp_le_i32_e64 s0, v2, v3
	s_delay_alu instid0(VALU_DEP_1) | instskip(NEXT) | instid1(SALU_CYCLE_1)
	s_and_b32 s0, vcc_lo, s0
	s_and_saveexec_b32 s1, s0
	s_cbranch_execz .LBB1778_11
; %bb.10:
	v_ashrrev_i32_e32 v3, 31, v2
	s_delay_alu instid0(VALU_DEP_1) | instskip(NEXT) | instid1(VALU_DEP_1)
	v_lshlrev_b64 v[1:2], 4, v[2:3]
	v_add_co_u32 v12, vcc_lo, v12, v1
	s_delay_alu instid0(VALU_DEP_2)
	v_add_co_ci_u32_e32 v13, vcc_lo, v13, v2, vcc_lo
	v_cmp_ne_u32_e32 vcc_lo, v21, v0
	global_load_b128 v[8:11], v[12:13], off
	s_waitcnt vmcnt(0)
	v_add_f64 v[3:4], v[4:5], v[10:11]
	v_add_f64 v[1:2], v[6:7], v[8:9]
	s_delay_alu instid0(VALU_DEP_2)
	v_dual_cndmask_b32 v4, 0, v4 :: v_dual_cndmask_b32 v3, 0, v3
	global_store_b128 v[12:13], v[1:4], off
.LBB1778_11:
	s_nop 0
	s_sendmsg sendmsg(MSG_DEALLOC_VGPRS)
	s_endpgm
	.section	.rodata,"a",@progbits
	.p2align	6, 0x0
	.amdhsa_kernel _ZL37rocblas_syrkx_herkx_restricted_kernelIl19rocblas_complex_numIdELi16ELi32ELi8ELi1ELi1ELb1ELc78ELc85EKPKS1_KPS1_EviT_PT9_S7_lS9_S7_lPT10_S7_li
		.amdhsa_group_segment_fixed_size 8192
		.amdhsa_private_segment_fixed_size 0
		.amdhsa_kernarg_size 92
		.amdhsa_user_sgpr_count 13
		.amdhsa_user_sgpr_dispatch_ptr 0
		.amdhsa_user_sgpr_queue_ptr 0
		.amdhsa_user_sgpr_kernarg_segment_ptr 1
		.amdhsa_user_sgpr_dispatch_id 0
		.amdhsa_user_sgpr_private_segment_size 0
		.amdhsa_wavefront_size32 1
		.amdhsa_uses_dynamic_stack 0
		.amdhsa_enable_private_segment 0
		.amdhsa_system_sgpr_workgroup_id_x 1
		.amdhsa_system_sgpr_workgroup_id_y 1
		.amdhsa_system_sgpr_workgroup_id_z 1
		.amdhsa_system_sgpr_workgroup_info 0
		.amdhsa_system_vgpr_workitem_id 1
		.amdhsa_next_free_vgpr 118
		.amdhsa_next_free_sgpr 20
		.amdhsa_reserve_vcc 1
		.amdhsa_float_round_mode_32 0
		.amdhsa_float_round_mode_16_64 0
		.amdhsa_float_denorm_mode_32 3
		.amdhsa_float_denorm_mode_16_64 3
		.amdhsa_dx10_clamp 1
		.amdhsa_ieee_mode 1
		.amdhsa_fp16_overflow 0
		.amdhsa_workgroup_processor_mode 1
		.amdhsa_memory_ordered 1
		.amdhsa_forward_progress 0
		.amdhsa_shared_vgpr_count 0
		.amdhsa_exception_fp_ieee_invalid_op 0
		.amdhsa_exception_fp_denorm_src 0
		.amdhsa_exception_fp_ieee_div_zero 0
		.amdhsa_exception_fp_ieee_overflow 0
		.amdhsa_exception_fp_ieee_underflow 0
		.amdhsa_exception_fp_ieee_inexact 0
		.amdhsa_exception_int_div_zero 0
	.end_amdhsa_kernel
	.section	.text._ZL37rocblas_syrkx_herkx_restricted_kernelIl19rocblas_complex_numIdELi16ELi32ELi8ELi1ELi1ELb1ELc78ELc85EKPKS1_KPS1_EviT_PT9_S7_lS9_S7_lPT10_S7_li,"axG",@progbits,_ZL37rocblas_syrkx_herkx_restricted_kernelIl19rocblas_complex_numIdELi16ELi32ELi8ELi1ELi1ELb1ELc78ELc85EKPKS1_KPS1_EviT_PT9_S7_lS9_S7_lPT10_S7_li,comdat
.Lfunc_end1778:
	.size	_ZL37rocblas_syrkx_herkx_restricted_kernelIl19rocblas_complex_numIdELi16ELi32ELi8ELi1ELi1ELb1ELc78ELc85EKPKS1_KPS1_EviT_PT9_S7_lS9_S7_lPT10_S7_li, .Lfunc_end1778-_ZL37rocblas_syrkx_herkx_restricted_kernelIl19rocblas_complex_numIdELi16ELi32ELi8ELi1ELi1ELb1ELc78ELc85EKPKS1_KPS1_EviT_PT9_S7_lS9_S7_lPT10_S7_li
                                        ; -- End function
	.section	.AMDGPU.csdata,"",@progbits
; Kernel info:
; codeLenInByte = 3184
; NumSgprs: 22
; NumVgprs: 118
; ScratchSize: 0
; MemoryBound: 0
; FloatMode: 240
; IeeeMode: 1
; LDSByteSize: 8192 bytes/workgroup (compile time only)
; SGPRBlocks: 2
; VGPRBlocks: 14
; NumSGPRsForWavesPerEU: 22
; NumVGPRsForWavesPerEU: 118
; Occupancy: 12
; WaveLimiterHint : 1
; COMPUTE_PGM_RSRC2:SCRATCH_EN: 0
; COMPUTE_PGM_RSRC2:USER_SGPR: 13
; COMPUTE_PGM_RSRC2:TRAP_HANDLER: 0
; COMPUTE_PGM_RSRC2:TGID_X_EN: 1
; COMPUTE_PGM_RSRC2:TGID_Y_EN: 1
; COMPUTE_PGM_RSRC2:TGID_Z_EN: 1
; COMPUTE_PGM_RSRC2:TIDIG_COMP_CNT: 1
	.section	.text._ZL37rocblas_syrkx_herkx_restricted_kernelIl19rocblas_complex_numIdELi16ELi32ELi8ELi1ELin1ELb1ELc84ELc76EKPKS1_KPS1_EviT_PT9_S7_lS9_S7_lPT10_S7_li,"axG",@progbits,_ZL37rocblas_syrkx_herkx_restricted_kernelIl19rocblas_complex_numIdELi16ELi32ELi8ELi1ELin1ELb1ELc84ELc76EKPKS1_KPS1_EviT_PT9_S7_lS9_S7_lPT10_S7_li,comdat
	.globl	_ZL37rocblas_syrkx_herkx_restricted_kernelIl19rocblas_complex_numIdELi16ELi32ELi8ELi1ELin1ELb1ELc84ELc76EKPKS1_KPS1_EviT_PT9_S7_lS9_S7_lPT10_S7_li ; -- Begin function _ZL37rocblas_syrkx_herkx_restricted_kernelIl19rocblas_complex_numIdELi16ELi32ELi8ELi1ELin1ELb1ELc84ELc76EKPKS1_KPS1_EviT_PT9_S7_lS9_S7_lPT10_S7_li
	.p2align	8
	.type	_ZL37rocblas_syrkx_herkx_restricted_kernelIl19rocblas_complex_numIdELi16ELi32ELi8ELi1ELin1ELb1ELc84ELc76EKPKS1_KPS1_EviT_PT9_S7_lS9_S7_lPT10_S7_li,@function
_ZL37rocblas_syrkx_herkx_restricted_kernelIl19rocblas_complex_numIdELi16ELi32ELi8ELi1ELin1ELb1ELc84ELc76EKPKS1_KPS1_EviT_PT9_S7_lS9_S7_lPT10_S7_li: ; @_ZL37rocblas_syrkx_herkx_restricted_kernelIl19rocblas_complex_numIdELi16ELi32ELi8ELi1ELin1ELb1ELc84ELc76EKPKS1_KPS1_EviT_PT9_S7_lS9_S7_lPT10_S7_li
; %bb.0:
	s_clause 0x1
	s_load_b128 s[4:7], s[0:1], 0x40
	s_load_b128 s[8:11], s[0:1], 0x8
	s_mov_b32 s2, s15
	s_mov_b32 s3, 0
	v_mov_b32_e32 v16, 0
	s_lshl_b64 s[16:17], s[2:3], 3
	v_dual_mov_b32 v17, 0 :: v_dual_and_b32 v20, 0x3ff, v0
	v_bfe_u32 v21, v0, 10, 10
	s_delay_alu instid0(VALU_DEP_3) | instskip(NEXT) | instid1(VALU_DEP_3)
	v_mov_b32_e32 v12, v16
	v_dual_mov_b32 v14, v16 :: v_dual_mov_b32 v15, v17
	v_dual_mov_b32 v19, v17 :: v_dual_mov_b32 v18, v16
	;; [unrolled: 1-line block ×5, first 2 shown]
	v_mov_b32_e32 v7, v17
	s_waitcnt lgkmcnt(0)
	s_add_u32 s2, s4, s16
	s_addc_u32 s3, s5, s17
	v_cmp_lt_i64_e64 s4, s[8:9], 1
	s_load_b64 s[2:3], s[2:3], 0x0
	v_dual_mov_b32 v4, v16 :: v_dual_mov_b32 v5, v17
	s_lshl_b32 s18, s13, 5
	s_lshl_b32 s19, s14, 5
	s_delay_alu instid0(VALU_DEP_2)
	s_and_b32 vcc_lo, exec_lo, s4
	s_cbranch_vccnz .LBB1779_3
; %bb.1:
	s_clause 0x1
	s_load_b128 s[12:15], s[0:1], 0x28
	s_load_b64 s[4:5], s[0:1], 0x18
	v_lshl_add_u32 v2, v21, 4, v20
	v_dual_mov_b32 v1, 0 :: v_dual_and_b32 v0, 7, v20
	s_add_u32 s10, s10, s16
	s_addc_u32 s11, s11, s17
	s_delay_alu instid0(VALU_DEP_2)
	v_lshrrev_b32_e32 v8, 3, v2
	v_and_b32_e32 v9, 31, v2
	v_lshrrev_b32_e32 v2, 5, v2
	v_mov_b32_e32 v3, v1
	s_load_b64 s[10:11], s[10:11], 0x0
	v_add_nc_u32_e32 v10, s19, v8
	v_add_nc_u32_e32 v6, s18, v9
	v_lshl_add_u32 v23, v21, 7, 0x1000
	s_delay_alu instid0(VALU_DEP_3) | instskip(NEXT) | instid1(VALU_DEP_3)
	v_ashrrev_i32_e32 v4, 31, v10
	v_ashrrev_i32_e32 v5, 31, v6
	s_waitcnt lgkmcnt(0)
	s_add_u32 s12, s12, s16
	s_addc_u32 s13, s13, s17
	v_mul_lo_u32 v11, v4, s14
	v_mul_lo_u32 v12, s4, v5
	v_mad_u64_u32 v[4:5], null, s4, v6, v[2:3]
	v_mul_lo_u32 v3, s5, v6
	s_load_b64 s[4:5], s[12:13], 0x0
	v_mul_lo_u32 v13, v10, s15
	v_mad_u64_u32 v[6:7], null, v10, s14, v[0:1]
	v_lshlrev_b32_e32 v0, 4, v0
	s_delay_alu instid0(VALU_DEP_4) | instskip(NEXT) | instid1(VALU_DEP_2)
	v_add3_u32 v5, v3, v5, v12
	v_lshl_or_b32 v8, v8, 7, v0
	s_delay_alu instid0(VALU_DEP_4) | instskip(NEXT) | instid1(VALU_DEP_3)
	v_add3_u32 v7, v11, v7, v13
	v_lshlrev_b64 v[0:1], 4, v[4:5]
	v_mov_b32_e32 v4, 0
	v_mov_b32_e32 v5, 0
	v_lshlrev_b32_e32 v3, 4, v9
	v_lshlrev_b32_e32 v22, 4, v20
	v_add_nc_u32_e32 v25, 0x1000, v8
	v_add_co_u32 v0, vcc_lo, v0, s10
	s_delay_alu instid0(VALU_DEP_4)
	v_lshl_or_b32 v24, v2, 9, v3
	v_lshlrev_b64 v[2:3], 4, v[6:7]
	v_add_co_ci_u32_e32 v1, vcc_lo, s11, v1, vcc_lo
	v_mov_b32_e32 v7, v5
	v_dual_mov_b32 v11, v5 :: v_dual_mov_b32 v10, v4
	s_waitcnt lgkmcnt(0)
	s_delay_alu instid0(VALU_DEP_4) | instskip(SKIP_3) | instid1(VALU_DEP_4)
	v_add_co_u32 v2, vcc_lo, v2, s4
	v_add_co_ci_u32_e32 v3, vcc_lo, s5, v3, vcc_lo
	v_add_co_u32 v0, vcc_lo, v0, 8
	v_add_co_ci_u32_e32 v1, vcc_lo, 0, v1, vcc_lo
	v_add_co_u32 v2, vcc_lo, v2, 8
	s_delay_alu instid0(VALU_DEP_4)
	v_add_co_ci_u32_e32 v3, vcc_lo, 0, v3, vcc_lo
	v_dual_mov_b32 v6, v4 :: v_dual_mov_b32 v9, v5
	v_dual_mov_b32 v8, v4 :: v_dual_mov_b32 v15, v5
	;; [unrolled: 1-line block ×5, first 2 shown]
	v_mov_b32_e32 v16, v4
	s_mov_b64 s[4:5], 0
.LBB1779_2:                             ; =>This Inner Loop Header: Depth=1
	global_load_b128 v[26:29], v[0:1], off offset:-8
	global_load_b128 v[30:33], v[2:3], off offset:-8
	s_add_u32 s4, s4, 8
	v_add_co_u32 v0, vcc_lo, 0x80, v0
	s_addc_u32 s5, s5, 0
	v_add_co_ci_u32_e32 v1, vcc_lo, 0, v1, vcc_lo
	v_cmp_ge_u64_e64 s10, s[4:5], s[8:9]
	v_add_co_u32 v2, vcc_lo, 0x80, v2
	v_add_co_ci_u32_e32 v3, vcc_lo, 0, v3, vcc_lo
	s_waitcnt vmcnt(1)
	ds_store_b128 v24, v[26:29]
	s_waitcnt vmcnt(0)
	ds_store_b128 v25, v[30:33]
	s_waitcnt lgkmcnt(0)
	s_barrier
	buffer_gl0_inv
	ds_load_b128 v[26:29], v23
	ds_load_b128 v[30:33], v22
	ds_load_b128 v[34:37], v22 offset:256
	ds_load_b128 v[38:41], v23 offset:2048
	;; [unrolled: 1-line block ×13, first 2 shown]
	s_and_b32 vcc_lo, exec_lo, s10
	s_waitcnt lgkmcnt(13)
	v_mul_f64 v[86:87], v[28:29], v[32:33]
	v_mul_f64 v[88:89], v[26:27], v[32:33]
	s_waitcnt lgkmcnt(12)
	v_mul_f64 v[90:91], v[28:29], v[36:37]
	v_mul_f64 v[92:93], v[26:27], v[36:37]
	;; [unrolled: 3-line block ×3, first 2 shown]
	v_mul_f64 v[96:97], v[40:41], v[36:37]
	v_mul_f64 v[36:37], v[38:39], v[36:37]
	s_waitcnt lgkmcnt(8)
	v_mul_f64 v[98:99], v[44:45], v[52:53]
	v_mul_f64 v[100:101], v[42:43], v[52:53]
	s_waitcnt lgkmcnt(7)
	v_mul_f64 v[102:103], v[44:45], v[56:57]
	v_mul_f64 v[104:105], v[42:43], v[56:57]
	;; [unrolled: 1-line block ×6, first 2 shown]
	s_waitcnt lgkmcnt(3)
	v_mul_f64 v[112:113], v[58:59], v[72:73]
	s_waitcnt lgkmcnt(2)
	v_mul_f64 v[114:115], v[76:77], v[68:69]
	v_mul_f64 v[116:117], v[76:77], v[72:73]
	v_fma_f64 v[86:87], v[26:27], v[30:31], -v[86:87]
	v_fma_f64 v[88:89], v[28:29], v[30:31], v[88:89]
	v_fma_f64 v[90:91], v[26:27], v[34:35], -v[90:91]
	v_fma_f64 v[92:93], v[28:29], v[34:35], v[92:93]
	;; [unrolled: 2-line block ×4, first 2 shown]
	v_mul_f64 v[36:37], v[60:61], v[68:69]
	v_mul_f64 v[40:41], v[58:59], v[68:69]
	;; [unrolled: 1-line block ×5, first 2 shown]
	v_fma_f64 v[98:99], v[42:43], v[50:51], -v[98:99]
	v_fma_f64 v[100:101], v[44:45], v[50:51], v[100:101]
	v_fma_f64 v[42:43], v[42:43], v[54:55], -v[102:103]
	v_fma_f64 v[44:45], v[44:45], v[54:55], v[104:105]
	v_fma_f64 v[102:103], v[46:47], v[50:51], -v[106:107]
	v_fma_f64 v[50:51], v[48:49], v[50:51], v[52:53]
	v_fma_f64 v[46:47], v[46:47], v[54:55], -v[108:109]
	v_fma_f64 v[48:49], v[48:49], v[54:55], v[56:57]
	ds_load_b128 v[26:29], v22 offset:1792
	ds_load_b128 v[30:33], v22 offset:2048
	s_waitcnt lgkmcnt(2)
	v_mul_f64 v[56:57], v[64:65], v[84:85]
	v_add_f64 v[16:17], v[16:17], v[86:87]
	v_add_f64 v[18:19], v[18:19], v[88:89]
	;; [unrolled: 1-line block ×8, first 2 shown]
	v_mul_f64 v[86:87], v[62:63], v[84:85]
	s_waitcnt lgkmcnt(1)
	v_mul_f64 v[88:89], v[64:65], v[28:29]
	v_mul_f64 v[90:91], v[62:63], v[28:29]
	;; [unrolled: 1-line block ×6, first 2 shown]
	v_fma_f64 v[104:105], v[58:59], v[66:67], -v[36:37]
	v_fma_f64 v[106:107], v[60:61], v[66:67], v[40:41]
	v_fma_f64 v[58:59], v[58:59], v[70:71], -v[96:97]
	v_fma_f64 v[60:61], v[60:61], v[70:71], v[112:113]
	;; [unrolled: 2-line block ×4, first 2 shown]
	ds_load_b128 v[4:7], v22 offset:2304
	ds_load_b128 v[8:11], v23 offset:64
	v_fma_f64 v[56:57], v[62:63], v[82:83], -v[56:57]
	v_add_f64 v[72:73], v[16:17], v[98:99]
	v_add_f64 v[74:75], v[18:19], v[100:101]
	;; [unrolled: 1-line block ×8, first 2 shown]
	ds_load_b128 v[12:15], v23 offset:2112
	ds_load_b128 v[16:19], v23 offset:80
	;; [unrolled: 1-line block ×4, first 2 shown]
	s_waitcnt lgkmcnt(4)
	v_mul_f64 v[54:55], v[10:11], v[32:33]
	v_mul_f64 v[76:77], v[8:9], v[32:33]
	;; [unrolled: 1-line block ×4, first 2 shown]
	v_fma_f64 v[86:87], v[64:65], v[82:83], v[86:87]
	v_fma_f64 v[62:63], v[62:63], v[26:27], -v[88:89]
	v_fma_f64 v[64:65], v[64:65], v[26:27], v[90:91]
	v_fma_f64 v[88:89], v[78:79], v[82:83], -v[92:93]
	v_fma_f64 v[82:83], v[80:81], v[82:83], v[84:85]
	v_fma_f64 v[78:79], v[78:79], v[26:27], -v[94:95]
	v_fma_f64 v[80:81], v[80:81], v[26:27], v[28:29]
	s_waitcnt lgkmcnt(3)
	v_mul_f64 v[102:103], v[14:15], v[32:33]
	v_mul_f64 v[32:33], v[12:13], v[32:33]
	;; [unrolled: 1-line block ×4, first 2 shown]
	s_waitcnt lgkmcnt(0)
	v_mul_f64 v[90:91], v[18:19], v[40:41]
	v_mul_f64 v[92:93], v[16:17], v[40:41]
	v_add_f64 v[72:73], v[72:73], v[104:105]
	v_add_f64 v[74:75], v[74:75], v[106:107]
	;; [unrolled: 1-line block ×8, first 2 shown]
	ds_load_b128 v[26:29], v22 offset:2816
	ds_load_b128 v[42:45], v22 offset:3072
	;; [unrolled: 1-line block ×4, first 2 shown]
	v_mul_f64 v[104:105], v[36:37], v[40:41]
	v_mul_f64 v[40:41], v[34:35], v[40:41]
	v_fma_f64 v[54:55], v[8:9], v[30:31], -v[54:55]
	v_fma_f64 v[76:77], v[10:11], v[30:31], v[76:77]
	v_fma_f64 v[98:99], v[8:9], v[4:5], -v[98:99]
	v_fma_f64 v[100:101], v[10:11], v[4:5], v[100:101]
	s_waitcnt lgkmcnt(3)
	v_mul_f64 v[94:95], v[18:19], v[28:29]
	v_mul_f64 v[96:97], v[16:17], v[28:29]
	;; [unrolled: 1-line block ×4, first 2 shown]
	v_fma_f64 v[102:103], v[12:13], v[30:31], -v[102:103]
	v_fma_f64 v[32:33], v[14:15], v[30:31], v[32:33]
	v_fma_f64 v[108:109], v[12:13], v[4:5], -v[108:109]
	v_fma_f64 v[112:113], v[14:15], v[4:5], v[6:7]
	ds_load_b128 v[4:7], v23 offset:2144
	ds_load_b128 v[8:11], v23 offset:112
	;; [unrolled: 1-line block ×4, first 2 shown]
	v_add_f64 v[56:57], v[72:73], v[56:57]
	v_add_f64 v[72:73], v[74:75], v[86:87]
	;; [unrolled: 1-line block ×8, first 2 shown]
	s_waitcnt lgkmcnt(4)
	v_mul_f64 v[70:71], v[52:53], v[44:45]
	v_mul_f64 v[74:75], v[50:51], v[44:45]
	;; [unrolled: 1-line block ×4, first 2 shown]
	s_waitcnt lgkmcnt(3)
	v_mul_f64 v[82:83], v[6:7], v[44:45]
	v_mul_f64 v[44:45], v[4:5], v[44:45]
	;; [unrolled: 1-line block ×4, first 2 shown]
	v_fma_f64 v[86:87], v[16:17], v[38:39], -v[90:91]
	v_fma_f64 v[88:89], v[18:19], v[38:39], v[92:93]
	v_fma_f64 v[90:91], v[16:17], v[26:27], -v[94:95]
	v_fma_f64 v[92:93], v[18:19], v[26:27], v[96:97]
	;; [unrolled: 2-line block ×4, first 2 shown]
	ds_load_b128 v[16:19], v22 offset:3840
	s_waitcnt lgkmcnt(0)
	s_barrier
	buffer_gl0_inv
	v_add_f64 v[36:37], v[56:57], v[54:55]
	v_add_f64 v[40:41], v[72:73], v[76:77]
	v_add_f64 v[54:55], v[58:59], v[98:99]
	v_add_f64 v[56:57], v[60:61], v[100:101]
	v_add_f64 v[58:59], v[62:63], v[102:103]
	v_add_f64 v[32:33], v[64:65], v[32:33]
	v_add_f64 v[60:61], v[66:67], v[108:109]
	v_add_f64 v[62:63], v[68:69], v[112:113]
	v_mul_f64 v[64:65], v[10:11], v[30:31]
	v_mul_f64 v[66:67], v[8:9], v[30:31]
	v_mul_f64 v[76:77], v[14:15], v[30:31]
	v_mul_f64 v[30:31], v[12:13], v[30:31]
	v_fma_f64 v[70:71], v[50:51], v[42:43], -v[70:71]
	v_mul_f64 v[68:69], v[10:11], v[18:19]
	v_mul_f64 v[72:73], v[8:9], v[18:19]
	;; [unrolled: 1-line block ×4, first 2 shown]
	v_fma_f64 v[74:75], v[52:53], v[42:43], v[74:75]
	v_fma_f64 v[50:51], v[50:51], v[46:47], -v[78:79]
	v_fma_f64 v[52:53], v[52:53], v[46:47], v[80:81]
	v_fma_f64 v[78:79], v[4:5], v[42:43], -v[82:83]
	;; [unrolled: 2-line block ×3, first 2 shown]
	v_fma_f64 v[6:7], v[6:7], v[46:47], v[48:49]
	v_add_f64 v[36:37], v[36:37], v[86:87]
	v_add_f64 v[40:41], v[40:41], v[88:89]
	;; [unrolled: 1-line block ×8, first 2 shown]
	v_fma_f64 v[38:39], v[8:9], v[28:29], -v[64:65]
	v_fma_f64 v[54:55], v[10:11], v[28:29], v[66:67]
	v_fma_f64 v[56:57], v[12:13], v[28:29], -v[76:77]
	v_fma_f64 v[28:29], v[14:15], v[28:29], v[30:31]
	;; [unrolled: 2-line block ×4, first 2 shown]
	v_add_f64 v[12:13], v[36:37], v[70:71]
	v_add_f64 v[14:15], v[40:41], v[74:75]
	;; [unrolled: 1-line block ×16, first 2 shown]
	s_cbranch_vccz .LBB1779_2
.LBB1779_3:
	v_add_nc_u32_e32 v21, s19, v21
	s_load_b32 s4, s[0:1], 0x0
	s_delay_alu instid0(VALU_DEP_1) | instskip(SKIP_2) | instid1(VALU_DEP_3)
	v_ashrrev_i32_e32 v0, 31, v21
	v_mul_lo_u32 v3, v21, s7
	v_mad_u64_u32 v[1:2], null, v21, s6, 0
	v_mul_lo_u32 v0, v0, s6
	s_delay_alu instid0(VALU_DEP_1) | instskip(SKIP_1) | instid1(VALU_DEP_2)
	v_add3_u32 v2, v2, v3, v0
	v_add_nc_u32_e32 v0, s18, v20
	v_lshlrev_b64 v[1:2], 4, v[1:2]
	s_delay_alu instid0(VALU_DEP_2) | instskip(SKIP_2) | instid1(VALU_DEP_3)
	v_cmp_le_i32_e64 s0, v21, v0
	s_waitcnt lgkmcnt(0)
	v_cmp_gt_i32_e32 vcc_lo, s4, v0
	v_add_co_u32 v20, s1, s2, v1
	s_delay_alu instid0(VALU_DEP_1) | instskip(SKIP_1) | instid1(SALU_CYCLE_1)
	v_add_co_ci_u32_e64 v22, s1, s3, v2, s1
	s_and_b32 s0, s0, vcc_lo
	s_and_saveexec_b32 s1, s0
	s_cbranch_execz .LBB1779_5
; %bb.4:
	v_ashrrev_i32_e32 v1, 31, v0
	s_delay_alu instid0(VALU_DEP_1) | instskip(NEXT) | instid1(VALU_DEP_1)
	v_lshlrev_b64 v[1:2], 4, v[0:1]
	v_add_co_u32 v1, s0, v20, v1
	s_delay_alu instid0(VALU_DEP_1)
	v_add_co_ci_u32_e64 v2, s0, v22, v2, s0
	v_cmp_ne_u32_e64 s0, v21, v0
	global_load_b128 v[23:26], v[1:2], off
	s_waitcnt vmcnt(0)
	v_add_f64 v[18:19], v[18:19], -v[25:26]
	v_add_f64 v[16:17], v[16:17], -v[23:24]
	s_delay_alu instid0(VALU_DEP_2) | instskip(NEXT) | instid1(VALU_DEP_3)
	v_cndmask_b32_e64 v19, 0, v19, s0
	v_cndmask_b32_e64 v18, 0, v18, s0
	global_store_b128 v[1:2], v[16:19], off
.LBB1779_5:
	s_or_b32 exec_lo, exec_lo, s1
	v_add_nc_u32_e32 v2, 16, v0
	s_delay_alu instid0(VALU_DEP_1) | instskip(SKIP_1) | instid1(VALU_DEP_1)
	v_cmp_le_i32_e64 s1, v21, v2
	v_cmp_gt_i32_e64 s0, s4, v2
	s_and_b32 s1, s1, s0
	s_delay_alu instid0(SALU_CYCLE_1)
	s_and_saveexec_b32 s4, s1
	s_cbranch_execz .LBB1779_7
; %bb.6:
	v_ashrrev_i32_e32 v3, 31, v2
	s_delay_alu instid0(VALU_DEP_1) | instskip(NEXT) | instid1(VALU_DEP_1)
	v_lshlrev_b64 v[16:17], 4, v[2:3]
	v_add_co_u32 v23, s1, v20, v16
	s_delay_alu instid0(VALU_DEP_1)
	v_add_co_ci_u32_e64 v24, s1, v22, v17, s1
	v_cmp_ne_u32_e64 s1, v21, v2
	global_load_b128 v[16:19], v[23:24], off
	s_waitcnt vmcnt(0)
	v_add_f64 v[14:15], v[14:15], -v[18:19]
	v_add_f64 v[12:13], v[12:13], -v[16:17]
	s_delay_alu instid0(VALU_DEP_2) | instskip(NEXT) | instid1(VALU_DEP_3)
	v_cndmask_b32_e64 v15, 0, v15, s1
	v_cndmask_b32_e64 v14, 0, v14, s1
	global_store_b128 v[23:24], v[12:15], off
.LBB1779_7:
	s_or_b32 exec_lo, exec_lo, s4
	v_add_nc_u32_e32 v3, 16, v21
	s_delay_alu instid0(VALU_DEP_1) | instskip(SKIP_3) | instid1(VALU_DEP_4)
	v_ashrrev_i32_e32 v1, 31, v3
	v_mul_lo_u32 v14, v3, s7
	v_mad_u64_u32 v[12:13], null, v3, s6, 0
	v_cmp_le_i32_e64 s1, v3, v0
	v_mul_lo_u32 v1, v1, s6
	s_delay_alu instid0(VALU_DEP_1) | instskip(NEXT) | instid1(VALU_DEP_1)
	v_add3_u32 v13, v13, v14, v1
	v_lshlrev_b64 v[12:13], 4, v[12:13]
	s_delay_alu instid0(VALU_DEP_1) | instskip(NEXT) | instid1(VALU_DEP_1)
	v_add_co_u32 v12, s2, s2, v12
	v_add_co_ci_u32_e64 v13, s2, s3, v13, s2
	s_and_b32 s2, s1, vcc_lo
	s_delay_alu instid0(SALU_CYCLE_1)
	s_and_saveexec_b32 s1, s2
	s_cbranch_execz .LBB1779_9
; %bb.8:
	v_ashrrev_i32_e32 v1, 31, v0
	s_delay_alu instid0(VALU_DEP_1) | instskip(NEXT) | instid1(VALU_DEP_1)
	v_lshlrev_b64 v[14:15], 4, v[0:1]
	v_add_co_u32 v18, vcc_lo, v12, v14
	s_delay_alu instid0(VALU_DEP_2)
	v_add_co_ci_u32_e32 v19, vcc_lo, v13, v15, vcc_lo
	v_cmp_ne_u32_e32 vcc_lo, v3, v0
	global_load_b128 v[14:17], v[18:19], off
	s_waitcnt vmcnt(0)
	v_add_f64 v[10:11], v[10:11], -v[16:17]
	v_add_f64 v[8:9], v[8:9], -v[14:15]
	s_delay_alu instid0(VALU_DEP_2)
	v_dual_cndmask_b32 v11, 0, v11 :: v_dual_cndmask_b32 v10, 0, v10
	global_store_b128 v[18:19], v[8:11], off
.LBB1779_9:
	s_or_b32 exec_lo, exec_lo, s1
	v_cmp_le_i32_e32 vcc_lo, v3, v2
	s_and_b32 s0, vcc_lo, s0
	s_delay_alu instid0(SALU_CYCLE_1)
	s_and_saveexec_b32 s1, s0
	s_cbranch_execz .LBB1779_11
; %bb.10:
	v_ashrrev_i32_e32 v3, 31, v2
	s_delay_alu instid0(VALU_DEP_1) | instskip(NEXT) | instid1(VALU_DEP_1)
	v_lshlrev_b64 v[1:2], 4, v[2:3]
	v_add_co_u32 v12, vcc_lo, v12, v1
	s_delay_alu instid0(VALU_DEP_2)
	v_add_co_ci_u32_e32 v13, vcc_lo, v13, v2, vcc_lo
	v_cmp_ne_u32_e32 vcc_lo, v21, v0
	global_load_b128 v[8:11], v[12:13], off
	s_waitcnt vmcnt(0)
	v_add_f64 v[3:4], v[4:5], -v[10:11]
	v_add_f64 v[1:2], v[6:7], -v[8:9]
	s_delay_alu instid0(VALU_DEP_2)
	v_dual_cndmask_b32 v4, 0, v4 :: v_dual_cndmask_b32 v3, 0, v3
	global_store_b128 v[12:13], v[1:4], off
.LBB1779_11:
	s_nop 0
	s_sendmsg sendmsg(MSG_DEALLOC_VGPRS)
	s_endpgm
	.section	.rodata,"a",@progbits
	.p2align	6, 0x0
	.amdhsa_kernel _ZL37rocblas_syrkx_herkx_restricted_kernelIl19rocblas_complex_numIdELi16ELi32ELi8ELi1ELin1ELb1ELc84ELc76EKPKS1_KPS1_EviT_PT9_S7_lS9_S7_lPT10_S7_li
		.amdhsa_group_segment_fixed_size 8192
		.amdhsa_private_segment_fixed_size 0
		.amdhsa_kernarg_size 92
		.amdhsa_user_sgpr_count 13
		.amdhsa_user_sgpr_dispatch_ptr 0
		.amdhsa_user_sgpr_queue_ptr 0
		.amdhsa_user_sgpr_kernarg_segment_ptr 1
		.amdhsa_user_sgpr_dispatch_id 0
		.amdhsa_user_sgpr_private_segment_size 0
		.amdhsa_wavefront_size32 1
		.amdhsa_uses_dynamic_stack 0
		.amdhsa_enable_private_segment 0
		.amdhsa_system_sgpr_workgroup_id_x 1
		.amdhsa_system_sgpr_workgroup_id_y 1
		.amdhsa_system_sgpr_workgroup_id_z 1
		.amdhsa_system_sgpr_workgroup_info 0
		.amdhsa_system_vgpr_workitem_id 1
		.amdhsa_next_free_vgpr 118
		.amdhsa_next_free_sgpr 20
		.amdhsa_reserve_vcc 1
		.amdhsa_float_round_mode_32 0
		.amdhsa_float_round_mode_16_64 0
		.amdhsa_float_denorm_mode_32 3
		.amdhsa_float_denorm_mode_16_64 3
		.amdhsa_dx10_clamp 1
		.amdhsa_ieee_mode 1
		.amdhsa_fp16_overflow 0
		.amdhsa_workgroup_processor_mode 1
		.amdhsa_memory_ordered 1
		.amdhsa_forward_progress 0
		.amdhsa_shared_vgpr_count 0
		.amdhsa_exception_fp_ieee_invalid_op 0
		.amdhsa_exception_fp_denorm_src 0
		.amdhsa_exception_fp_ieee_div_zero 0
		.amdhsa_exception_fp_ieee_overflow 0
		.amdhsa_exception_fp_ieee_underflow 0
		.amdhsa_exception_fp_ieee_inexact 0
		.amdhsa_exception_int_div_zero 0
	.end_amdhsa_kernel
	.section	.text._ZL37rocblas_syrkx_herkx_restricted_kernelIl19rocblas_complex_numIdELi16ELi32ELi8ELi1ELin1ELb1ELc84ELc76EKPKS1_KPS1_EviT_PT9_S7_lS9_S7_lPT10_S7_li,"axG",@progbits,_ZL37rocblas_syrkx_herkx_restricted_kernelIl19rocblas_complex_numIdELi16ELi32ELi8ELi1ELin1ELb1ELc84ELc76EKPKS1_KPS1_EviT_PT9_S7_lS9_S7_lPT10_S7_li,comdat
.Lfunc_end1779:
	.size	_ZL37rocblas_syrkx_herkx_restricted_kernelIl19rocblas_complex_numIdELi16ELi32ELi8ELi1ELin1ELb1ELc84ELc76EKPKS1_KPS1_EviT_PT9_S7_lS9_S7_lPT10_S7_li, .Lfunc_end1779-_ZL37rocblas_syrkx_herkx_restricted_kernelIl19rocblas_complex_numIdELi16ELi32ELi8ELi1ELin1ELb1ELc84ELc76EKPKS1_KPS1_EviT_PT9_S7_lS9_S7_lPT10_S7_li
                                        ; -- End function
	.section	.AMDGPU.csdata,"",@progbits
; Kernel info:
; codeLenInByte = 3196
; NumSgprs: 22
; NumVgprs: 118
; ScratchSize: 0
; MemoryBound: 0
; FloatMode: 240
; IeeeMode: 1
; LDSByteSize: 8192 bytes/workgroup (compile time only)
; SGPRBlocks: 2
; VGPRBlocks: 14
; NumSGPRsForWavesPerEU: 22
; NumVGPRsForWavesPerEU: 118
; Occupancy: 12
; WaveLimiterHint : 1
; COMPUTE_PGM_RSRC2:SCRATCH_EN: 0
; COMPUTE_PGM_RSRC2:USER_SGPR: 13
; COMPUTE_PGM_RSRC2:TRAP_HANDLER: 0
; COMPUTE_PGM_RSRC2:TGID_X_EN: 1
; COMPUTE_PGM_RSRC2:TGID_Y_EN: 1
; COMPUTE_PGM_RSRC2:TGID_Z_EN: 1
; COMPUTE_PGM_RSRC2:TIDIG_COMP_CNT: 1
	.section	.text._ZL37rocblas_syrkx_herkx_restricted_kernelIl19rocblas_complex_numIdELi16ELi32ELi8ELi1ELin1ELb1ELc67ELc76EKPKS1_KPS1_EviT_PT9_S7_lS9_S7_lPT10_S7_li,"axG",@progbits,_ZL37rocblas_syrkx_herkx_restricted_kernelIl19rocblas_complex_numIdELi16ELi32ELi8ELi1ELin1ELb1ELc67ELc76EKPKS1_KPS1_EviT_PT9_S7_lS9_S7_lPT10_S7_li,comdat
	.globl	_ZL37rocblas_syrkx_herkx_restricted_kernelIl19rocblas_complex_numIdELi16ELi32ELi8ELi1ELin1ELb1ELc67ELc76EKPKS1_KPS1_EviT_PT9_S7_lS9_S7_lPT10_S7_li ; -- Begin function _ZL37rocblas_syrkx_herkx_restricted_kernelIl19rocblas_complex_numIdELi16ELi32ELi8ELi1ELin1ELb1ELc67ELc76EKPKS1_KPS1_EviT_PT9_S7_lS9_S7_lPT10_S7_li
	.p2align	8
	.type	_ZL37rocblas_syrkx_herkx_restricted_kernelIl19rocblas_complex_numIdELi16ELi32ELi8ELi1ELin1ELb1ELc67ELc76EKPKS1_KPS1_EviT_PT9_S7_lS9_S7_lPT10_S7_li,@function
_ZL37rocblas_syrkx_herkx_restricted_kernelIl19rocblas_complex_numIdELi16ELi32ELi8ELi1ELin1ELb1ELc67ELc76EKPKS1_KPS1_EviT_PT9_S7_lS9_S7_lPT10_S7_li: ; @_ZL37rocblas_syrkx_herkx_restricted_kernelIl19rocblas_complex_numIdELi16ELi32ELi8ELi1ELin1ELb1ELc67ELc76EKPKS1_KPS1_EviT_PT9_S7_lS9_S7_lPT10_S7_li
; %bb.0:
	s_clause 0x1
	s_load_b128 s[4:7], s[0:1], 0x40
	s_load_b128 s[8:11], s[0:1], 0x8
	s_mov_b32 s2, s15
	s_mov_b32 s3, 0
	v_mov_b32_e32 v16, 0
	s_lshl_b64 s[16:17], s[2:3], 3
	v_dual_mov_b32 v17, 0 :: v_dual_and_b32 v20, 0x3ff, v0
	v_bfe_u32 v21, v0, 10, 10
	s_delay_alu instid0(VALU_DEP_3) | instskip(NEXT) | instid1(VALU_DEP_3)
	v_mov_b32_e32 v12, v16
	v_dual_mov_b32 v14, v16 :: v_dual_mov_b32 v15, v17
	v_dual_mov_b32 v19, v17 :: v_dual_mov_b32 v18, v16
	;; [unrolled: 1-line block ×5, first 2 shown]
	v_mov_b32_e32 v7, v17
	s_waitcnt lgkmcnt(0)
	s_add_u32 s2, s4, s16
	s_addc_u32 s3, s5, s17
	v_cmp_lt_i64_e64 s4, s[8:9], 1
	s_load_b64 s[2:3], s[2:3], 0x0
	v_dual_mov_b32 v4, v16 :: v_dual_mov_b32 v5, v17
	s_lshl_b32 s18, s13, 5
	s_lshl_b32 s19, s14, 5
	s_delay_alu instid0(VALU_DEP_2)
	s_and_b32 vcc_lo, exec_lo, s4
	s_cbranch_vccnz .LBB1780_3
; %bb.1:
	s_clause 0x1
	s_load_b128 s[12:15], s[0:1], 0x28
	s_load_b64 s[4:5], s[0:1], 0x18
	v_lshl_add_u32 v2, v21, 4, v20
	v_dual_mov_b32 v1, 0 :: v_dual_and_b32 v0, 7, v20
	s_add_u32 s10, s10, s16
	s_addc_u32 s11, s11, s17
	s_delay_alu instid0(VALU_DEP_2)
	v_lshrrev_b32_e32 v8, 3, v2
	v_and_b32_e32 v9, 31, v2
	v_lshrrev_b32_e32 v2, 5, v2
	v_mov_b32_e32 v3, v1
	s_load_b64 s[10:11], s[10:11], 0x0
	v_add_nc_u32_e32 v10, s19, v8
	v_add_nc_u32_e32 v6, s18, v9
	v_lshl_add_u32 v23, v21, 7, 0x1000
	s_delay_alu instid0(VALU_DEP_3) | instskip(NEXT) | instid1(VALU_DEP_3)
	v_ashrrev_i32_e32 v4, 31, v10
	v_ashrrev_i32_e32 v5, 31, v6
	s_waitcnt lgkmcnt(0)
	s_add_u32 s12, s12, s16
	s_addc_u32 s13, s13, s17
	v_mul_lo_u32 v11, v4, s14
	v_mul_lo_u32 v12, s4, v5
	v_mad_u64_u32 v[4:5], null, s4, v6, v[2:3]
	v_mul_lo_u32 v3, s5, v6
	s_load_b64 s[4:5], s[12:13], 0x0
	v_mul_lo_u32 v13, v10, s15
	v_mad_u64_u32 v[6:7], null, v10, s14, v[0:1]
	v_lshlrev_b32_e32 v0, 4, v0
	s_delay_alu instid0(VALU_DEP_4) | instskip(NEXT) | instid1(VALU_DEP_2)
	v_add3_u32 v5, v3, v5, v12
	v_lshl_or_b32 v8, v8, 7, v0
	s_delay_alu instid0(VALU_DEP_4) | instskip(NEXT) | instid1(VALU_DEP_3)
	v_add3_u32 v7, v11, v7, v13
	v_lshlrev_b64 v[0:1], 4, v[4:5]
	v_mov_b32_e32 v4, 0
	v_mov_b32_e32 v5, 0
	v_lshlrev_b32_e32 v3, 4, v9
	v_lshlrev_b32_e32 v22, 4, v20
	v_add_nc_u32_e32 v25, 0x1000, v8
	v_add_co_u32 v0, vcc_lo, v0, s10
	s_delay_alu instid0(VALU_DEP_4)
	v_lshl_or_b32 v24, v2, 9, v3
	v_lshlrev_b64 v[2:3], 4, v[6:7]
	v_add_co_ci_u32_e32 v1, vcc_lo, s11, v1, vcc_lo
	v_mov_b32_e32 v7, v5
	v_dual_mov_b32 v11, v5 :: v_dual_mov_b32 v10, v4
	s_waitcnt lgkmcnt(0)
	s_delay_alu instid0(VALU_DEP_4) | instskip(SKIP_3) | instid1(VALU_DEP_4)
	v_add_co_u32 v2, vcc_lo, v2, s4
	v_add_co_ci_u32_e32 v3, vcc_lo, s5, v3, vcc_lo
	v_add_co_u32 v0, vcc_lo, v0, 8
	v_add_co_ci_u32_e32 v1, vcc_lo, 0, v1, vcc_lo
	v_add_co_u32 v2, vcc_lo, v2, 8
	s_delay_alu instid0(VALU_DEP_4)
	v_add_co_ci_u32_e32 v3, vcc_lo, 0, v3, vcc_lo
	v_dual_mov_b32 v6, v4 :: v_dual_mov_b32 v9, v5
	v_dual_mov_b32 v8, v4 :: v_dual_mov_b32 v15, v5
	;; [unrolled: 1-line block ×5, first 2 shown]
	v_mov_b32_e32 v16, v4
	s_mov_b64 s[4:5], 0
.LBB1780_2:                             ; =>This Inner Loop Header: Depth=1
	global_load_b128 v[26:29], v[0:1], off offset:-8
	global_load_b128 v[30:33], v[2:3], off offset:-8
	s_add_u32 s4, s4, 8
	v_add_co_u32 v0, vcc_lo, 0x80, v0
	s_addc_u32 s5, s5, 0
	v_add_co_ci_u32_e32 v1, vcc_lo, 0, v1, vcc_lo
	v_cmp_ge_u64_e64 s10, s[4:5], s[8:9]
	v_add_co_u32 v2, vcc_lo, 0x80, v2
	v_add_co_ci_u32_e32 v3, vcc_lo, 0, v3, vcc_lo
	s_delay_alu instid0(VALU_DEP_3)
	s_and_b32 vcc_lo, exec_lo, s10
	s_waitcnt vmcnt(1)
	v_xor_b32_e32 v29, 0x80000000, v29
	ds_store_b128 v24, v[26:29]
	s_waitcnt vmcnt(0)
	ds_store_b128 v25, v[30:33]
	s_waitcnt lgkmcnt(0)
	s_barrier
	buffer_gl0_inv
	ds_load_b128 v[26:29], v23
	ds_load_b128 v[30:33], v22
	ds_load_b128 v[34:37], v22 offset:256
	ds_load_b128 v[38:41], v23 offset:2048
	;; [unrolled: 1-line block ×13, first 2 shown]
	s_waitcnt lgkmcnt(13)
	v_mul_f64 v[86:87], v[28:29], v[32:33]
	v_mul_f64 v[88:89], v[26:27], v[32:33]
	s_waitcnt lgkmcnt(12)
	v_mul_f64 v[90:91], v[28:29], v[36:37]
	v_mul_f64 v[92:93], v[26:27], v[36:37]
	;; [unrolled: 3-line block ×3, first 2 shown]
	v_mul_f64 v[96:97], v[40:41], v[36:37]
	v_mul_f64 v[36:37], v[38:39], v[36:37]
	s_waitcnt lgkmcnt(8)
	v_mul_f64 v[98:99], v[44:45], v[52:53]
	v_mul_f64 v[100:101], v[42:43], v[52:53]
	s_waitcnt lgkmcnt(7)
	v_mul_f64 v[102:103], v[44:45], v[56:57]
	v_mul_f64 v[104:105], v[42:43], v[56:57]
	;; [unrolled: 1-line block ×6, first 2 shown]
	s_waitcnt lgkmcnt(3)
	v_mul_f64 v[112:113], v[58:59], v[72:73]
	s_waitcnt lgkmcnt(2)
	v_mul_f64 v[114:115], v[76:77], v[68:69]
	v_mul_f64 v[116:117], v[76:77], v[72:73]
	v_fma_f64 v[86:87], v[26:27], v[30:31], -v[86:87]
	v_fma_f64 v[88:89], v[28:29], v[30:31], v[88:89]
	v_fma_f64 v[90:91], v[26:27], v[34:35], -v[90:91]
	v_fma_f64 v[92:93], v[28:29], v[34:35], v[92:93]
	;; [unrolled: 2-line block ×4, first 2 shown]
	v_mul_f64 v[36:37], v[60:61], v[68:69]
	v_mul_f64 v[40:41], v[58:59], v[68:69]
	;; [unrolled: 1-line block ×5, first 2 shown]
	v_fma_f64 v[98:99], v[42:43], v[50:51], -v[98:99]
	v_fma_f64 v[100:101], v[44:45], v[50:51], v[100:101]
	v_fma_f64 v[42:43], v[42:43], v[54:55], -v[102:103]
	v_fma_f64 v[44:45], v[44:45], v[54:55], v[104:105]
	;; [unrolled: 2-line block ×4, first 2 shown]
	ds_load_b128 v[26:29], v22 offset:1792
	ds_load_b128 v[30:33], v22 offset:2048
	s_waitcnt lgkmcnt(2)
	v_mul_f64 v[56:57], v[64:65], v[84:85]
	v_add_f64 v[16:17], v[16:17], v[86:87]
	v_add_f64 v[18:19], v[18:19], v[88:89]
	v_add_f64 v[12:13], v[12:13], v[90:91]
	v_add_f64 v[14:15], v[14:15], v[92:93]
	v_add_f64 v[52:53], v[8:9], v[94:95]
	v_add_f64 v[54:55], v[10:11], v[110:111]
	v_add_f64 v[38:39], v[6:7], v[38:39]
	v_add_f64 v[34:35], v[4:5], v[34:35]
	v_mul_f64 v[86:87], v[62:63], v[84:85]
	s_waitcnt lgkmcnt(1)
	v_mul_f64 v[88:89], v[64:65], v[28:29]
	v_mul_f64 v[90:91], v[62:63], v[28:29]
	;; [unrolled: 1-line block ×6, first 2 shown]
	v_fma_f64 v[104:105], v[58:59], v[66:67], -v[36:37]
	v_fma_f64 v[106:107], v[60:61], v[66:67], v[40:41]
	v_fma_f64 v[58:59], v[58:59], v[70:71], -v[96:97]
	v_fma_f64 v[60:61], v[60:61], v[70:71], v[112:113]
	;; [unrolled: 2-line block ×4, first 2 shown]
	ds_load_b128 v[4:7], v22 offset:2304
	ds_load_b128 v[8:11], v23 offset:64
	v_fma_f64 v[56:57], v[62:63], v[82:83], -v[56:57]
	v_add_f64 v[72:73], v[16:17], v[98:99]
	v_add_f64 v[74:75], v[18:19], v[100:101]
	;; [unrolled: 1-line block ×8, first 2 shown]
	ds_load_b128 v[12:15], v23 offset:2112
	ds_load_b128 v[16:19], v23 offset:80
	;; [unrolled: 1-line block ×4, first 2 shown]
	s_waitcnt lgkmcnt(4)
	v_mul_f64 v[54:55], v[10:11], v[32:33]
	v_mul_f64 v[76:77], v[8:9], v[32:33]
	;; [unrolled: 1-line block ×4, first 2 shown]
	v_fma_f64 v[86:87], v[64:65], v[82:83], v[86:87]
	v_fma_f64 v[62:63], v[62:63], v[26:27], -v[88:89]
	v_fma_f64 v[64:65], v[64:65], v[26:27], v[90:91]
	v_fma_f64 v[88:89], v[78:79], v[82:83], -v[92:93]
	;; [unrolled: 2-line block ×3, first 2 shown]
	v_fma_f64 v[80:81], v[80:81], v[26:27], v[28:29]
	s_waitcnt lgkmcnt(3)
	v_mul_f64 v[102:103], v[14:15], v[32:33]
	v_mul_f64 v[32:33], v[12:13], v[32:33]
	;; [unrolled: 1-line block ×4, first 2 shown]
	s_waitcnt lgkmcnt(0)
	v_mul_f64 v[90:91], v[18:19], v[40:41]
	v_mul_f64 v[92:93], v[16:17], v[40:41]
	v_add_f64 v[72:73], v[72:73], v[104:105]
	v_add_f64 v[74:75], v[74:75], v[106:107]
	;; [unrolled: 1-line block ×8, first 2 shown]
	ds_load_b128 v[26:29], v22 offset:2816
	ds_load_b128 v[42:45], v22 offset:3072
	ds_load_b128 v[46:49], v22 offset:3328
	ds_load_b128 v[50:53], v23 offset:96
	v_mul_f64 v[104:105], v[36:37], v[40:41]
	v_mul_f64 v[40:41], v[34:35], v[40:41]
	v_fma_f64 v[54:55], v[8:9], v[30:31], -v[54:55]
	v_fma_f64 v[76:77], v[10:11], v[30:31], v[76:77]
	v_fma_f64 v[98:99], v[8:9], v[4:5], -v[98:99]
	v_fma_f64 v[100:101], v[10:11], v[4:5], v[100:101]
	s_waitcnt lgkmcnt(3)
	v_mul_f64 v[94:95], v[18:19], v[28:29]
	v_mul_f64 v[96:97], v[16:17], v[28:29]
	v_mul_f64 v[106:107], v[36:37], v[28:29]
	v_mul_f64 v[110:111], v[34:35], v[28:29]
	v_fma_f64 v[102:103], v[12:13], v[30:31], -v[102:103]
	v_fma_f64 v[32:33], v[14:15], v[30:31], v[32:33]
	v_fma_f64 v[108:109], v[12:13], v[4:5], -v[108:109]
	v_fma_f64 v[112:113], v[14:15], v[4:5], v[6:7]
	ds_load_b128 v[4:7], v23 offset:2144
	ds_load_b128 v[8:11], v23 offset:112
	ds_load_b128 v[12:15], v23 offset:2160
	ds_load_b128 v[28:31], v22 offset:3584
	v_add_f64 v[56:57], v[72:73], v[56:57]
	v_add_f64 v[72:73], v[74:75], v[86:87]
	;; [unrolled: 1-line block ×8, first 2 shown]
	s_waitcnt lgkmcnt(4)
	v_mul_f64 v[70:71], v[52:53], v[44:45]
	v_mul_f64 v[74:75], v[50:51], v[44:45]
	;; [unrolled: 1-line block ×4, first 2 shown]
	s_waitcnt lgkmcnt(3)
	v_mul_f64 v[82:83], v[6:7], v[44:45]
	v_mul_f64 v[44:45], v[4:5], v[44:45]
	;; [unrolled: 1-line block ×4, first 2 shown]
	v_fma_f64 v[86:87], v[16:17], v[38:39], -v[90:91]
	v_fma_f64 v[88:89], v[18:19], v[38:39], v[92:93]
	v_fma_f64 v[90:91], v[16:17], v[26:27], -v[94:95]
	v_fma_f64 v[92:93], v[18:19], v[26:27], v[96:97]
	;; [unrolled: 2-line block ×4, first 2 shown]
	ds_load_b128 v[16:19], v22 offset:3840
	s_waitcnt lgkmcnt(0)
	s_barrier
	buffer_gl0_inv
	v_add_f64 v[36:37], v[56:57], v[54:55]
	v_add_f64 v[40:41], v[72:73], v[76:77]
	;; [unrolled: 1-line block ×8, first 2 shown]
	v_mul_f64 v[64:65], v[10:11], v[30:31]
	v_mul_f64 v[66:67], v[8:9], v[30:31]
	v_mul_f64 v[76:77], v[14:15], v[30:31]
	v_mul_f64 v[30:31], v[12:13], v[30:31]
	v_fma_f64 v[70:71], v[50:51], v[42:43], -v[70:71]
	v_mul_f64 v[68:69], v[10:11], v[18:19]
	v_mul_f64 v[72:73], v[8:9], v[18:19]
	;; [unrolled: 1-line block ×4, first 2 shown]
	v_fma_f64 v[74:75], v[52:53], v[42:43], v[74:75]
	v_fma_f64 v[50:51], v[50:51], v[46:47], -v[78:79]
	v_fma_f64 v[52:53], v[52:53], v[46:47], v[80:81]
	v_fma_f64 v[78:79], v[4:5], v[42:43], -v[82:83]
	;; [unrolled: 2-line block ×3, first 2 shown]
	v_fma_f64 v[6:7], v[6:7], v[46:47], v[48:49]
	v_add_f64 v[36:37], v[36:37], v[86:87]
	v_add_f64 v[40:41], v[40:41], v[88:89]
	;; [unrolled: 1-line block ×8, first 2 shown]
	v_fma_f64 v[38:39], v[8:9], v[28:29], -v[64:65]
	v_fma_f64 v[54:55], v[10:11], v[28:29], v[66:67]
	v_fma_f64 v[56:57], v[12:13], v[28:29], -v[76:77]
	v_fma_f64 v[28:29], v[14:15], v[28:29], v[30:31]
	;; [unrolled: 2-line block ×4, first 2 shown]
	v_add_f64 v[12:13], v[36:37], v[70:71]
	v_add_f64 v[14:15], v[40:41], v[74:75]
	v_add_f64 v[36:37], v[44:45], v[50:51]
	v_add_f64 v[40:41], v[46:47], v[52:53]
	v_add_f64 v[44:45], v[48:49], v[78:79]
	v_add_f64 v[32:33], v[32:33], v[42:43]
	v_add_f64 v[4:5], v[34:35], v[4:5]
	v_add_f64 v[26:27], v[26:27], v[6:7]
	v_add_f64 v[16:17], v[12:13], v[38:39]
	v_add_f64 v[18:19], v[14:15], v[54:55]
	v_add_f64 v[12:13], v[36:37], v[8:9]
	v_add_f64 v[14:15], v[40:41], v[10:11]
	v_add_f64 v[8:9], v[44:45], v[56:57]
	v_add_f64 v[10:11], v[32:33], v[28:29]
	v_add_f64 v[6:7], v[4:5], v[30:31]
	v_add_f64 v[4:5], v[26:27], v[58:59]
	s_cbranch_vccz .LBB1780_2
.LBB1780_3:
	v_add_nc_u32_e32 v21, s19, v21
	s_load_b32 s4, s[0:1], 0x0
	s_delay_alu instid0(VALU_DEP_1) | instskip(SKIP_2) | instid1(VALU_DEP_3)
	v_ashrrev_i32_e32 v0, 31, v21
	v_mul_lo_u32 v3, v21, s7
	v_mad_u64_u32 v[1:2], null, v21, s6, 0
	v_mul_lo_u32 v0, v0, s6
	s_delay_alu instid0(VALU_DEP_1) | instskip(SKIP_1) | instid1(VALU_DEP_2)
	v_add3_u32 v2, v2, v3, v0
	v_add_nc_u32_e32 v0, s18, v20
	v_lshlrev_b64 v[1:2], 4, v[1:2]
	s_delay_alu instid0(VALU_DEP_2) | instskip(SKIP_2) | instid1(VALU_DEP_3)
	v_cmp_le_i32_e64 s0, v21, v0
	s_waitcnt lgkmcnt(0)
	v_cmp_gt_i32_e32 vcc_lo, s4, v0
	v_add_co_u32 v20, s1, s2, v1
	s_delay_alu instid0(VALU_DEP_1) | instskip(SKIP_1) | instid1(SALU_CYCLE_1)
	v_add_co_ci_u32_e64 v22, s1, s3, v2, s1
	s_and_b32 s0, s0, vcc_lo
	s_and_saveexec_b32 s1, s0
	s_cbranch_execz .LBB1780_5
; %bb.4:
	v_ashrrev_i32_e32 v1, 31, v0
	s_delay_alu instid0(VALU_DEP_1) | instskip(NEXT) | instid1(VALU_DEP_1)
	v_lshlrev_b64 v[1:2], 4, v[0:1]
	v_add_co_u32 v1, s0, v20, v1
	s_delay_alu instid0(VALU_DEP_1)
	v_add_co_ci_u32_e64 v2, s0, v22, v2, s0
	v_cmp_ne_u32_e64 s0, v21, v0
	global_load_b128 v[23:26], v[1:2], off
	s_waitcnt vmcnt(0)
	v_add_f64 v[18:19], v[18:19], -v[25:26]
	v_add_f64 v[16:17], v[16:17], -v[23:24]
	s_delay_alu instid0(VALU_DEP_2) | instskip(NEXT) | instid1(VALU_DEP_3)
	v_cndmask_b32_e64 v19, 0, v19, s0
	v_cndmask_b32_e64 v18, 0, v18, s0
	global_store_b128 v[1:2], v[16:19], off
.LBB1780_5:
	s_or_b32 exec_lo, exec_lo, s1
	v_add_nc_u32_e32 v2, 16, v0
	s_delay_alu instid0(VALU_DEP_1) | instskip(SKIP_1) | instid1(VALU_DEP_1)
	v_cmp_le_i32_e64 s1, v21, v2
	v_cmp_gt_i32_e64 s0, s4, v2
	s_and_b32 s1, s1, s0
	s_delay_alu instid0(SALU_CYCLE_1)
	s_and_saveexec_b32 s4, s1
	s_cbranch_execz .LBB1780_7
; %bb.6:
	v_ashrrev_i32_e32 v3, 31, v2
	s_delay_alu instid0(VALU_DEP_1) | instskip(NEXT) | instid1(VALU_DEP_1)
	v_lshlrev_b64 v[16:17], 4, v[2:3]
	v_add_co_u32 v23, s1, v20, v16
	s_delay_alu instid0(VALU_DEP_1)
	v_add_co_ci_u32_e64 v24, s1, v22, v17, s1
	v_cmp_ne_u32_e64 s1, v21, v2
	global_load_b128 v[16:19], v[23:24], off
	s_waitcnt vmcnt(0)
	v_add_f64 v[14:15], v[14:15], -v[18:19]
	v_add_f64 v[12:13], v[12:13], -v[16:17]
	s_delay_alu instid0(VALU_DEP_2) | instskip(NEXT) | instid1(VALU_DEP_3)
	v_cndmask_b32_e64 v15, 0, v15, s1
	v_cndmask_b32_e64 v14, 0, v14, s1
	global_store_b128 v[23:24], v[12:15], off
.LBB1780_7:
	s_or_b32 exec_lo, exec_lo, s4
	v_add_nc_u32_e32 v3, 16, v21
	s_delay_alu instid0(VALU_DEP_1) | instskip(SKIP_3) | instid1(VALU_DEP_4)
	v_ashrrev_i32_e32 v1, 31, v3
	v_mul_lo_u32 v14, v3, s7
	v_mad_u64_u32 v[12:13], null, v3, s6, 0
	v_cmp_le_i32_e64 s1, v3, v0
	v_mul_lo_u32 v1, v1, s6
	s_delay_alu instid0(VALU_DEP_1) | instskip(NEXT) | instid1(VALU_DEP_1)
	v_add3_u32 v13, v13, v14, v1
	v_lshlrev_b64 v[12:13], 4, v[12:13]
	s_delay_alu instid0(VALU_DEP_1) | instskip(NEXT) | instid1(VALU_DEP_1)
	v_add_co_u32 v12, s2, s2, v12
	v_add_co_ci_u32_e64 v13, s2, s3, v13, s2
	s_and_b32 s2, s1, vcc_lo
	s_delay_alu instid0(SALU_CYCLE_1)
	s_and_saveexec_b32 s1, s2
	s_cbranch_execz .LBB1780_9
; %bb.8:
	v_ashrrev_i32_e32 v1, 31, v0
	s_delay_alu instid0(VALU_DEP_1) | instskip(NEXT) | instid1(VALU_DEP_1)
	v_lshlrev_b64 v[14:15], 4, v[0:1]
	v_add_co_u32 v18, vcc_lo, v12, v14
	s_delay_alu instid0(VALU_DEP_2)
	v_add_co_ci_u32_e32 v19, vcc_lo, v13, v15, vcc_lo
	v_cmp_ne_u32_e32 vcc_lo, v3, v0
	global_load_b128 v[14:17], v[18:19], off
	s_waitcnt vmcnt(0)
	v_add_f64 v[10:11], v[10:11], -v[16:17]
	v_add_f64 v[8:9], v[8:9], -v[14:15]
	s_delay_alu instid0(VALU_DEP_2)
	v_dual_cndmask_b32 v11, 0, v11 :: v_dual_cndmask_b32 v10, 0, v10
	global_store_b128 v[18:19], v[8:11], off
.LBB1780_9:
	s_or_b32 exec_lo, exec_lo, s1
	v_cmp_le_i32_e32 vcc_lo, v3, v2
	s_and_b32 s0, vcc_lo, s0
	s_delay_alu instid0(SALU_CYCLE_1)
	s_and_saveexec_b32 s1, s0
	s_cbranch_execz .LBB1780_11
; %bb.10:
	v_ashrrev_i32_e32 v3, 31, v2
	s_delay_alu instid0(VALU_DEP_1) | instskip(NEXT) | instid1(VALU_DEP_1)
	v_lshlrev_b64 v[1:2], 4, v[2:3]
	v_add_co_u32 v12, vcc_lo, v12, v1
	s_delay_alu instid0(VALU_DEP_2)
	v_add_co_ci_u32_e32 v13, vcc_lo, v13, v2, vcc_lo
	v_cmp_ne_u32_e32 vcc_lo, v21, v0
	global_load_b128 v[8:11], v[12:13], off
	s_waitcnt vmcnt(0)
	v_add_f64 v[3:4], v[4:5], -v[10:11]
	v_add_f64 v[1:2], v[6:7], -v[8:9]
	s_delay_alu instid0(VALU_DEP_2)
	v_dual_cndmask_b32 v4, 0, v4 :: v_dual_cndmask_b32 v3, 0, v3
	global_store_b128 v[12:13], v[1:4], off
.LBB1780_11:
	s_nop 0
	s_sendmsg sendmsg(MSG_DEALLOC_VGPRS)
	s_endpgm
	.section	.rodata,"a",@progbits
	.p2align	6, 0x0
	.amdhsa_kernel _ZL37rocblas_syrkx_herkx_restricted_kernelIl19rocblas_complex_numIdELi16ELi32ELi8ELi1ELin1ELb1ELc67ELc76EKPKS1_KPS1_EviT_PT9_S7_lS9_S7_lPT10_S7_li
		.amdhsa_group_segment_fixed_size 8192
		.amdhsa_private_segment_fixed_size 0
		.amdhsa_kernarg_size 92
		.amdhsa_user_sgpr_count 13
		.amdhsa_user_sgpr_dispatch_ptr 0
		.amdhsa_user_sgpr_queue_ptr 0
		.amdhsa_user_sgpr_kernarg_segment_ptr 1
		.amdhsa_user_sgpr_dispatch_id 0
		.amdhsa_user_sgpr_private_segment_size 0
		.amdhsa_wavefront_size32 1
		.amdhsa_uses_dynamic_stack 0
		.amdhsa_enable_private_segment 0
		.amdhsa_system_sgpr_workgroup_id_x 1
		.amdhsa_system_sgpr_workgroup_id_y 1
		.amdhsa_system_sgpr_workgroup_id_z 1
		.amdhsa_system_sgpr_workgroup_info 0
		.amdhsa_system_vgpr_workitem_id 1
		.amdhsa_next_free_vgpr 118
		.amdhsa_next_free_sgpr 20
		.amdhsa_reserve_vcc 1
		.amdhsa_float_round_mode_32 0
		.amdhsa_float_round_mode_16_64 0
		.amdhsa_float_denorm_mode_32 3
		.amdhsa_float_denorm_mode_16_64 3
		.amdhsa_dx10_clamp 1
		.amdhsa_ieee_mode 1
		.amdhsa_fp16_overflow 0
		.amdhsa_workgroup_processor_mode 1
		.amdhsa_memory_ordered 1
		.amdhsa_forward_progress 0
		.amdhsa_shared_vgpr_count 0
		.amdhsa_exception_fp_ieee_invalid_op 0
		.amdhsa_exception_fp_denorm_src 0
		.amdhsa_exception_fp_ieee_div_zero 0
		.amdhsa_exception_fp_ieee_overflow 0
		.amdhsa_exception_fp_ieee_underflow 0
		.amdhsa_exception_fp_ieee_inexact 0
		.amdhsa_exception_int_div_zero 0
	.end_amdhsa_kernel
	.section	.text._ZL37rocblas_syrkx_herkx_restricted_kernelIl19rocblas_complex_numIdELi16ELi32ELi8ELi1ELin1ELb1ELc67ELc76EKPKS1_KPS1_EviT_PT9_S7_lS9_S7_lPT10_S7_li,"axG",@progbits,_ZL37rocblas_syrkx_herkx_restricted_kernelIl19rocblas_complex_numIdELi16ELi32ELi8ELi1ELin1ELb1ELc67ELc76EKPKS1_KPS1_EviT_PT9_S7_lS9_S7_lPT10_S7_li,comdat
.Lfunc_end1780:
	.size	_ZL37rocblas_syrkx_herkx_restricted_kernelIl19rocblas_complex_numIdELi16ELi32ELi8ELi1ELin1ELb1ELc67ELc76EKPKS1_KPS1_EviT_PT9_S7_lS9_S7_lPT10_S7_li, .Lfunc_end1780-_ZL37rocblas_syrkx_herkx_restricted_kernelIl19rocblas_complex_numIdELi16ELi32ELi8ELi1ELin1ELb1ELc67ELc76EKPKS1_KPS1_EviT_PT9_S7_lS9_S7_lPT10_S7_li
                                        ; -- End function
	.section	.AMDGPU.csdata,"",@progbits
; Kernel info:
; codeLenInByte = 3208
; NumSgprs: 22
; NumVgprs: 118
; ScratchSize: 0
; MemoryBound: 0
; FloatMode: 240
; IeeeMode: 1
; LDSByteSize: 8192 bytes/workgroup (compile time only)
; SGPRBlocks: 2
; VGPRBlocks: 14
; NumSGPRsForWavesPerEU: 22
; NumVGPRsForWavesPerEU: 118
; Occupancy: 12
; WaveLimiterHint : 1
; COMPUTE_PGM_RSRC2:SCRATCH_EN: 0
; COMPUTE_PGM_RSRC2:USER_SGPR: 13
; COMPUTE_PGM_RSRC2:TRAP_HANDLER: 0
; COMPUTE_PGM_RSRC2:TGID_X_EN: 1
; COMPUTE_PGM_RSRC2:TGID_Y_EN: 1
; COMPUTE_PGM_RSRC2:TGID_Z_EN: 1
; COMPUTE_PGM_RSRC2:TIDIG_COMP_CNT: 1
	.section	.text._ZL37rocblas_syrkx_herkx_restricted_kernelIl19rocblas_complex_numIdELi16ELi32ELi8ELi1ELin1ELb1ELc78ELc76EKPKS1_KPS1_EviT_PT9_S7_lS9_S7_lPT10_S7_li,"axG",@progbits,_ZL37rocblas_syrkx_herkx_restricted_kernelIl19rocblas_complex_numIdELi16ELi32ELi8ELi1ELin1ELb1ELc78ELc76EKPKS1_KPS1_EviT_PT9_S7_lS9_S7_lPT10_S7_li,comdat
	.globl	_ZL37rocblas_syrkx_herkx_restricted_kernelIl19rocblas_complex_numIdELi16ELi32ELi8ELi1ELin1ELb1ELc78ELc76EKPKS1_KPS1_EviT_PT9_S7_lS9_S7_lPT10_S7_li ; -- Begin function _ZL37rocblas_syrkx_herkx_restricted_kernelIl19rocblas_complex_numIdELi16ELi32ELi8ELi1ELin1ELb1ELc78ELc76EKPKS1_KPS1_EviT_PT9_S7_lS9_S7_lPT10_S7_li
	.p2align	8
	.type	_ZL37rocblas_syrkx_herkx_restricted_kernelIl19rocblas_complex_numIdELi16ELi32ELi8ELi1ELin1ELb1ELc78ELc76EKPKS1_KPS1_EviT_PT9_S7_lS9_S7_lPT10_S7_li,@function
_ZL37rocblas_syrkx_herkx_restricted_kernelIl19rocblas_complex_numIdELi16ELi32ELi8ELi1ELin1ELb1ELc78ELc76EKPKS1_KPS1_EviT_PT9_S7_lS9_S7_lPT10_S7_li: ; @_ZL37rocblas_syrkx_herkx_restricted_kernelIl19rocblas_complex_numIdELi16ELi32ELi8ELi1ELin1ELb1ELc78ELc76EKPKS1_KPS1_EviT_PT9_S7_lS9_S7_lPT10_S7_li
; %bb.0:
	s_clause 0x1
	s_load_b128 s[4:7], s[0:1], 0x40
	s_load_b128 s[8:11], s[0:1], 0x8
	s_mov_b32 s2, s15
	s_mov_b32 s3, 0
	v_mov_b32_e32 v16, 0
	s_lshl_b64 s[16:17], s[2:3], 3
	v_dual_mov_b32 v17, 0 :: v_dual_and_b32 v20, 0x3ff, v0
	v_bfe_u32 v21, v0, 10, 10
	s_delay_alu instid0(VALU_DEP_3) | instskip(NEXT) | instid1(VALU_DEP_3)
	v_mov_b32_e32 v12, v16
	v_dual_mov_b32 v14, v16 :: v_dual_mov_b32 v15, v17
	v_dual_mov_b32 v19, v17 :: v_dual_mov_b32 v18, v16
	v_dual_mov_b32 v13, v17 :: v_dual_mov_b32 v10, v16
	v_dual_mov_b32 v11, v17 :: v_dual_mov_b32 v8, v16
	v_dual_mov_b32 v9, v17 :: v_dual_mov_b32 v6, v16
	v_mov_b32_e32 v7, v17
	s_waitcnt lgkmcnt(0)
	s_add_u32 s2, s4, s16
	s_addc_u32 s3, s5, s17
	v_cmp_lt_i64_e64 s4, s[8:9], 1
	s_load_b64 s[2:3], s[2:3], 0x0
	v_dual_mov_b32 v4, v16 :: v_dual_mov_b32 v5, v17
	s_lshl_b32 s18, s13, 5
	s_lshl_b32 s19, s14, 5
	s_delay_alu instid0(VALU_DEP_2)
	s_and_b32 vcc_lo, exec_lo, s4
	s_cbranch_vccnz .LBB1781_3
; %bb.1:
	v_lshl_add_u32 v1, v21, 4, v20
	s_clause 0x1
	s_load_b64 s[4:5], s[0:1], 0x18
	s_load_b128 s[12:15], s[0:1], 0x28
	v_and_b32_e32 v6, 7, v20
	s_add_u32 s10, s10, s16
	s_addc_u32 s11, s11, s17
	v_and_b32_e32 v14, 31, v1
	v_lshrrev_b32_e32 v15, 3, v1
	v_lshrrev_b32_e32 v16, 5, v1
	s_load_b64 s[10:11], s[10:11], 0x0
	v_lshl_add_u32 v23, v21, 7, 0x1000
	v_add_nc_u32_e32 v0, s18, v14
	v_add_nc_u32_e32 v2, s19, v15
	s_delay_alu instid0(VALU_DEP_2) | instskip(NEXT) | instid1(VALU_DEP_2)
	v_ashrrev_i32_e32 v1, 31, v0
	v_ashrrev_i32_e32 v3, 31, v2
	s_waitcnt lgkmcnt(0)
	s_delay_alu instid0(VALU_DEP_2) | instskip(NEXT) | instid1(VALU_DEP_2)
	v_mad_u64_u32 v[10:11], null, v16, s4, v[0:1]
	v_mad_u64_u32 v[0:1], null, v6, s14, v[2:3]
	s_add_u32 s12, s12, s16
	s_addc_u32 s13, s13, s17
	s_load_b64 s[12:13], s[12:13], 0x0
	s_delay_alu instid0(VALU_DEP_2) | instskip(NEXT) | instid1(VALU_DEP_1)
	v_mov_b32_e32 v2, v11
	v_mad_u64_u32 v[3:4], null, v16, s5, v[2:3]
	v_mov_b32_e32 v4, 0
	v_mov_b32_e32 v5, 0
	s_lshl_b64 s[4:5], s[4:5], 7
	s_delay_alu instid0(VALU_DEP_1)
	v_mov_b32_e32 v9, v5
	v_mad_u64_u32 v[12:13], null, v6, s15, v[1:2]
	v_lshlrev_b32_e32 v13, 4, v14
	v_lshlrev_b32_e32 v1, 4, v6
	v_dual_mov_b32 v11, v3 :: v_dual_lshlrev_b32 v22, 4, v20
	v_mov_b32_e32 v7, v5
	s_delay_alu instid0(VALU_DEP_4) | instskip(NEXT) | instid1(VALU_DEP_4)
	v_lshl_or_b32 v24, v16, 9, v13
	v_lshl_or_b32 v14, v15, 7, v1
	v_mov_b32_e32 v1, v12
	v_lshlrev_b64 v[2:3], 4, v[10:11]
	v_dual_mov_b32 v6, v4 :: v_dual_mov_b32 v11, v5
	s_delay_alu instid0(VALU_DEP_4) | instskip(NEXT) | instid1(VALU_DEP_4)
	v_dual_mov_b32 v8, v4 :: v_dual_add_nc_u32 v25, 0x1000, v14
	v_lshlrev_b64 v[0:1], 4, v[0:1]
	s_delay_alu instid0(VALU_DEP_4) | instskip(SKIP_3) | instid1(VALU_DEP_4)
	v_add_co_u32 v2, vcc_lo, v2, s10
	v_add_co_ci_u32_e32 v3, vcc_lo, s11, v3, vcc_lo
	v_dual_mov_b32 v10, v4 :: v_dual_mov_b32 v15, v5
	s_waitcnt lgkmcnt(0)
	v_add_co_u32 v12, vcc_lo, v0, s12
	v_add_co_ci_u32_e32 v13, vcc_lo, s13, v1, vcc_lo
	v_add_co_u32 v0, vcc_lo, v2, 8
	v_add_co_ci_u32_e32 v1, vcc_lo, 0, v3, vcc_lo
	s_delay_alu instid0(VALU_DEP_4) | instskip(NEXT) | instid1(VALU_DEP_4)
	v_add_co_u32 v2, vcc_lo, v12, 8
	v_add_co_ci_u32_e32 v3, vcc_lo, 0, v13, vcc_lo
	v_dual_mov_b32 v14, v4 :: v_dual_mov_b32 v13, v5
	v_dual_mov_b32 v12, v4 :: v_dual_mov_b32 v19, v5
	;; [unrolled: 1-line block ×3, first 2 shown]
	v_mov_b32_e32 v16, v4
	s_lshl_b64 s[10:11], s[14:15], 7
	s_mov_b64 s[12:13], 0
.LBB1781_2:                             ; =>This Inner Loop Header: Depth=1
	global_load_b128 v[26:29], v[2:3], off offset:-8
	global_load_b128 v[30:33], v[0:1], off offset:-8
	s_add_u32 s12, s12, 8
	v_add_co_u32 v0, vcc_lo, v0, s4
	s_addc_u32 s13, s13, 0
	v_add_co_ci_u32_e32 v1, vcc_lo, s5, v1, vcc_lo
	v_cmp_ge_u64_e64 s14, s[12:13], s[8:9]
	v_add_co_u32 v2, vcc_lo, v2, s10
	v_add_co_ci_u32_e32 v3, vcc_lo, s11, v3, vcc_lo
	s_delay_alu instid0(VALU_DEP_3)
	s_and_b32 vcc_lo, exec_lo, s14
	s_waitcnt vmcnt(1)
	v_xor_b32_e32 v29, 0x80000000, v29
	s_waitcnt vmcnt(0)
	ds_store_b128 v24, v[30:33]
	ds_store_b128 v25, v[26:29]
	s_waitcnt lgkmcnt(0)
	s_barrier
	buffer_gl0_inv
	ds_load_b128 v[26:29], v23
	ds_load_b128 v[30:33], v22
	ds_load_b128 v[34:37], v22 offset:256
	ds_load_b128 v[38:41], v23 offset:2048
	;; [unrolled: 1-line block ×13, first 2 shown]
	s_waitcnt lgkmcnt(13)
	v_mul_f64 v[86:87], v[28:29], v[32:33]
	v_mul_f64 v[88:89], v[26:27], v[32:33]
	s_waitcnt lgkmcnt(12)
	v_mul_f64 v[90:91], v[28:29], v[36:37]
	v_mul_f64 v[92:93], v[26:27], v[36:37]
	;; [unrolled: 3-line block ×3, first 2 shown]
	v_mul_f64 v[96:97], v[40:41], v[36:37]
	v_mul_f64 v[36:37], v[38:39], v[36:37]
	s_waitcnt lgkmcnt(8)
	v_mul_f64 v[98:99], v[44:45], v[52:53]
	v_mul_f64 v[100:101], v[42:43], v[52:53]
	s_waitcnt lgkmcnt(7)
	v_mul_f64 v[102:103], v[44:45], v[56:57]
	v_mul_f64 v[104:105], v[42:43], v[56:57]
	;; [unrolled: 1-line block ×6, first 2 shown]
	s_waitcnt lgkmcnt(3)
	v_mul_f64 v[112:113], v[58:59], v[72:73]
	s_waitcnt lgkmcnt(2)
	v_mul_f64 v[114:115], v[76:77], v[68:69]
	v_mul_f64 v[116:117], v[76:77], v[72:73]
	v_fma_f64 v[86:87], v[26:27], v[30:31], -v[86:87]
	v_fma_f64 v[88:89], v[28:29], v[30:31], v[88:89]
	v_fma_f64 v[90:91], v[26:27], v[34:35], -v[90:91]
	v_fma_f64 v[92:93], v[28:29], v[34:35], v[92:93]
	;; [unrolled: 2-line block ×4, first 2 shown]
	v_mul_f64 v[36:37], v[60:61], v[68:69]
	v_mul_f64 v[40:41], v[58:59], v[68:69]
	;; [unrolled: 1-line block ×5, first 2 shown]
	v_fma_f64 v[98:99], v[42:43], v[50:51], -v[98:99]
	v_fma_f64 v[100:101], v[44:45], v[50:51], v[100:101]
	v_fma_f64 v[42:43], v[42:43], v[54:55], -v[102:103]
	v_fma_f64 v[44:45], v[44:45], v[54:55], v[104:105]
	;; [unrolled: 2-line block ×4, first 2 shown]
	ds_load_b128 v[26:29], v22 offset:1792
	ds_load_b128 v[30:33], v22 offset:2048
	s_waitcnt lgkmcnt(2)
	v_mul_f64 v[56:57], v[64:65], v[84:85]
	v_add_f64 v[16:17], v[16:17], v[86:87]
	v_add_f64 v[18:19], v[18:19], v[88:89]
	;; [unrolled: 1-line block ×8, first 2 shown]
	v_mul_f64 v[86:87], v[62:63], v[84:85]
	s_waitcnt lgkmcnt(1)
	v_mul_f64 v[88:89], v[64:65], v[28:29]
	v_mul_f64 v[90:91], v[62:63], v[28:29]
	;; [unrolled: 1-line block ×6, first 2 shown]
	v_fma_f64 v[104:105], v[58:59], v[66:67], -v[36:37]
	v_fma_f64 v[106:107], v[60:61], v[66:67], v[40:41]
	v_fma_f64 v[58:59], v[58:59], v[70:71], -v[96:97]
	v_fma_f64 v[60:61], v[60:61], v[70:71], v[112:113]
	;; [unrolled: 2-line block ×4, first 2 shown]
	ds_load_b128 v[4:7], v22 offset:2304
	ds_load_b128 v[8:11], v23 offset:64
	v_fma_f64 v[56:57], v[62:63], v[82:83], -v[56:57]
	v_add_f64 v[72:73], v[16:17], v[98:99]
	v_add_f64 v[74:75], v[18:19], v[100:101]
	;; [unrolled: 1-line block ×8, first 2 shown]
	ds_load_b128 v[12:15], v23 offset:2112
	ds_load_b128 v[16:19], v23 offset:80
	;; [unrolled: 1-line block ×4, first 2 shown]
	s_waitcnt lgkmcnt(4)
	v_mul_f64 v[54:55], v[10:11], v[32:33]
	v_mul_f64 v[76:77], v[8:9], v[32:33]
	;; [unrolled: 1-line block ×4, first 2 shown]
	v_fma_f64 v[86:87], v[64:65], v[82:83], v[86:87]
	v_fma_f64 v[62:63], v[62:63], v[26:27], -v[88:89]
	v_fma_f64 v[64:65], v[64:65], v[26:27], v[90:91]
	v_fma_f64 v[88:89], v[78:79], v[82:83], -v[92:93]
	;; [unrolled: 2-line block ×3, first 2 shown]
	v_fma_f64 v[80:81], v[80:81], v[26:27], v[28:29]
	s_waitcnt lgkmcnt(3)
	v_mul_f64 v[102:103], v[14:15], v[32:33]
	v_mul_f64 v[32:33], v[12:13], v[32:33]
	;; [unrolled: 1-line block ×4, first 2 shown]
	s_waitcnt lgkmcnt(0)
	v_mul_f64 v[90:91], v[18:19], v[40:41]
	v_mul_f64 v[92:93], v[16:17], v[40:41]
	v_add_f64 v[72:73], v[72:73], v[104:105]
	v_add_f64 v[74:75], v[74:75], v[106:107]
	;; [unrolled: 1-line block ×8, first 2 shown]
	ds_load_b128 v[26:29], v22 offset:2816
	ds_load_b128 v[42:45], v22 offset:3072
	;; [unrolled: 1-line block ×4, first 2 shown]
	v_mul_f64 v[104:105], v[36:37], v[40:41]
	v_mul_f64 v[40:41], v[34:35], v[40:41]
	v_fma_f64 v[54:55], v[8:9], v[30:31], -v[54:55]
	v_fma_f64 v[76:77], v[10:11], v[30:31], v[76:77]
	v_fma_f64 v[98:99], v[8:9], v[4:5], -v[98:99]
	v_fma_f64 v[100:101], v[10:11], v[4:5], v[100:101]
	s_waitcnt lgkmcnt(3)
	v_mul_f64 v[94:95], v[18:19], v[28:29]
	v_mul_f64 v[96:97], v[16:17], v[28:29]
	;; [unrolled: 1-line block ×4, first 2 shown]
	v_fma_f64 v[102:103], v[12:13], v[30:31], -v[102:103]
	v_fma_f64 v[32:33], v[14:15], v[30:31], v[32:33]
	v_fma_f64 v[108:109], v[12:13], v[4:5], -v[108:109]
	v_fma_f64 v[112:113], v[14:15], v[4:5], v[6:7]
	ds_load_b128 v[4:7], v23 offset:2144
	ds_load_b128 v[8:11], v23 offset:112
	;; [unrolled: 1-line block ×4, first 2 shown]
	v_add_f64 v[56:57], v[72:73], v[56:57]
	v_add_f64 v[72:73], v[74:75], v[86:87]
	;; [unrolled: 1-line block ×8, first 2 shown]
	s_waitcnt lgkmcnt(4)
	v_mul_f64 v[70:71], v[52:53], v[44:45]
	v_mul_f64 v[74:75], v[50:51], v[44:45]
	;; [unrolled: 1-line block ×4, first 2 shown]
	s_waitcnt lgkmcnt(3)
	v_mul_f64 v[82:83], v[6:7], v[44:45]
	v_mul_f64 v[44:45], v[4:5], v[44:45]
	;; [unrolled: 1-line block ×4, first 2 shown]
	v_fma_f64 v[86:87], v[16:17], v[38:39], -v[90:91]
	v_fma_f64 v[88:89], v[18:19], v[38:39], v[92:93]
	v_fma_f64 v[90:91], v[16:17], v[26:27], -v[94:95]
	v_fma_f64 v[92:93], v[18:19], v[26:27], v[96:97]
	;; [unrolled: 2-line block ×4, first 2 shown]
	ds_load_b128 v[16:19], v22 offset:3840
	s_waitcnt lgkmcnt(0)
	s_barrier
	buffer_gl0_inv
	v_add_f64 v[36:37], v[56:57], v[54:55]
	v_add_f64 v[40:41], v[72:73], v[76:77]
	;; [unrolled: 1-line block ×8, first 2 shown]
	v_mul_f64 v[64:65], v[10:11], v[30:31]
	v_mul_f64 v[66:67], v[8:9], v[30:31]
	;; [unrolled: 1-line block ×4, first 2 shown]
	v_fma_f64 v[70:71], v[50:51], v[42:43], -v[70:71]
	v_mul_f64 v[68:69], v[10:11], v[18:19]
	v_mul_f64 v[72:73], v[8:9], v[18:19]
	v_mul_f64 v[96:97], v[14:15], v[18:19]
	v_mul_f64 v[18:19], v[12:13], v[18:19]
	v_fma_f64 v[74:75], v[52:53], v[42:43], v[74:75]
	v_fma_f64 v[50:51], v[50:51], v[46:47], -v[78:79]
	v_fma_f64 v[52:53], v[52:53], v[46:47], v[80:81]
	v_fma_f64 v[78:79], v[4:5], v[42:43], -v[82:83]
	;; [unrolled: 2-line block ×3, first 2 shown]
	v_fma_f64 v[6:7], v[6:7], v[46:47], v[48:49]
	v_add_f64 v[36:37], v[36:37], v[86:87]
	v_add_f64 v[40:41], v[40:41], v[88:89]
	;; [unrolled: 1-line block ×8, first 2 shown]
	v_fma_f64 v[38:39], v[8:9], v[28:29], -v[64:65]
	v_fma_f64 v[54:55], v[10:11], v[28:29], v[66:67]
	v_fma_f64 v[56:57], v[12:13], v[28:29], -v[76:77]
	v_fma_f64 v[28:29], v[14:15], v[28:29], v[30:31]
	;; [unrolled: 2-line block ×4, first 2 shown]
	v_add_f64 v[12:13], v[36:37], v[70:71]
	v_add_f64 v[14:15], v[40:41], v[74:75]
	;; [unrolled: 1-line block ×16, first 2 shown]
	s_cbranch_vccz .LBB1781_2
.LBB1781_3:
	v_add_nc_u32_e32 v21, s19, v21
	s_load_b32 s4, s[0:1], 0x0
	s_delay_alu instid0(VALU_DEP_1) | instskip(SKIP_2) | instid1(VALU_DEP_3)
	v_ashrrev_i32_e32 v0, 31, v21
	v_mul_lo_u32 v3, v21, s7
	v_mad_u64_u32 v[1:2], null, v21, s6, 0
	v_mul_lo_u32 v0, v0, s6
	s_delay_alu instid0(VALU_DEP_1) | instskip(SKIP_1) | instid1(VALU_DEP_2)
	v_add3_u32 v2, v2, v3, v0
	v_add_nc_u32_e32 v0, s18, v20
	v_lshlrev_b64 v[1:2], 4, v[1:2]
	s_delay_alu instid0(VALU_DEP_2) | instskip(SKIP_2) | instid1(VALU_DEP_3)
	v_cmp_le_i32_e64 s0, v21, v0
	s_waitcnt lgkmcnt(0)
	v_cmp_gt_i32_e32 vcc_lo, s4, v0
	v_add_co_u32 v20, s1, s2, v1
	s_delay_alu instid0(VALU_DEP_1) | instskip(SKIP_1) | instid1(SALU_CYCLE_1)
	v_add_co_ci_u32_e64 v22, s1, s3, v2, s1
	s_and_b32 s0, s0, vcc_lo
	s_and_saveexec_b32 s1, s0
	s_cbranch_execz .LBB1781_5
; %bb.4:
	v_ashrrev_i32_e32 v1, 31, v0
	s_delay_alu instid0(VALU_DEP_1) | instskip(NEXT) | instid1(VALU_DEP_1)
	v_lshlrev_b64 v[1:2], 4, v[0:1]
	v_add_co_u32 v1, s0, v20, v1
	s_delay_alu instid0(VALU_DEP_1)
	v_add_co_ci_u32_e64 v2, s0, v22, v2, s0
	v_cmp_ne_u32_e64 s0, v21, v0
	global_load_b128 v[23:26], v[1:2], off
	s_waitcnt vmcnt(0)
	v_add_f64 v[18:19], v[18:19], -v[25:26]
	v_add_f64 v[16:17], v[16:17], -v[23:24]
	s_delay_alu instid0(VALU_DEP_2) | instskip(NEXT) | instid1(VALU_DEP_3)
	v_cndmask_b32_e64 v19, 0, v19, s0
	v_cndmask_b32_e64 v18, 0, v18, s0
	global_store_b128 v[1:2], v[16:19], off
.LBB1781_5:
	s_or_b32 exec_lo, exec_lo, s1
	v_add_nc_u32_e32 v2, 16, v0
	s_delay_alu instid0(VALU_DEP_1) | instskip(SKIP_1) | instid1(VALU_DEP_1)
	v_cmp_le_i32_e64 s1, v21, v2
	v_cmp_gt_i32_e64 s0, s4, v2
	s_and_b32 s1, s1, s0
	s_delay_alu instid0(SALU_CYCLE_1)
	s_and_saveexec_b32 s4, s1
	s_cbranch_execz .LBB1781_7
; %bb.6:
	v_ashrrev_i32_e32 v3, 31, v2
	s_delay_alu instid0(VALU_DEP_1) | instskip(NEXT) | instid1(VALU_DEP_1)
	v_lshlrev_b64 v[16:17], 4, v[2:3]
	v_add_co_u32 v23, s1, v20, v16
	s_delay_alu instid0(VALU_DEP_1)
	v_add_co_ci_u32_e64 v24, s1, v22, v17, s1
	v_cmp_ne_u32_e64 s1, v21, v2
	global_load_b128 v[16:19], v[23:24], off
	s_waitcnt vmcnt(0)
	v_add_f64 v[14:15], v[14:15], -v[18:19]
	v_add_f64 v[12:13], v[12:13], -v[16:17]
	s_delay_alu instid0(VALU_DEP_2) | instskip(NEXT) | instid1(VALU_DEP_3)
	v_cndmask_b32_e64 v15, 0, v15, s1
	v_cndmask_b32_e64 v14, 0, v14, s1
	global_store_b128 v[23:24], v[12:15], off
.LBB1781_7:
	s_or_b32 exec_lo, exec_lo, s4
	v_add_nc_u32_e32 v3, 16, v21
	s_delay_alu instid0(VALU_DEP_1) | instskip(SKIP_3) | instid1(VALU_DEP_4)
	v_ashrrev_i32_e32 v1, 31, v3
	v_mul_lo_u32 v14, v3, s7
	v_mad_u64_u32 v[12:13], null, v3, s6, 0
	v_cmp_le_i32_e64 s1, v3, v0
	v_mul_lo_u32 v1, v1, s6
	s_delay_alu instid0(VALU_DEP_1) | instskip(NEXT) | instid1(VALU_DEP_1)
	v_add3_u32 v13, v13, v14, v1
	v_lshlrev_b64 v[12:13], 4, v[12:13]
	s_delay_alu instid0(VALU_DEP_1) | instskip(NEXT) | instid1(VALU_DEP_1)
	v_add_co_u32 v12, s2, s2, v12
	v_add_co_ci_u32_e64 v13, s2, s3, v13, s2
	s_and_b32 s2, s1, vcc_lo
	s_delay_alu instid0(SALU_CYCLE_1)
	s_and_saveexec_b32 s1, s2
	s_cbranch_execz .LBB1781_9
; %bb.8:
	v_ashrrev_i32_e32 v1, 31, v0
	s_delay_alu instid0(VALU_DEP_1) | instskip(NEXT) | instid1(VALU_DEP_1)
	v_lshlrev_b64 v[14:15], 4, v[0:1]
	v_add_co_u32 v18, vcc_lo, v12, v14
	s_delay_alu instid0(VALU_DEP_2)
	v_add_co_ci_u32_e32 v19, vcc_lo, v13, v15, vcc_lo
	v_cmp_ne_u32_e32 vcc_lo, v3, v0
	global_load_b128 v[14:17], v[18:19], off
	s_waitcnt vmcnt(0)
	v_add_f64 v[16:17], v[8:9], -v[16:17]
	v_add_f64 v[8:9], v[10:11], -v[14:15]
	s_delay_alu instid0(VALU_DEP_2)
	v_dual_cndmask_b32 v11, 0, v17 :: v_dual_cndmask_b32 v10, 0, v16
	global_store_b128 v[18:19], v[8:11], off
.LBB1781_9:
	s_or_b32 exec_lo, exec_lo, s1
	v_cmp_le_i32_e32 vcc_lo, v3, v2
	s_and_b32 s0, vcc_lo, s0
	s_delay_alu instid0(SALU_CYCLE_1)
	s_and_saveexec_b32 s1, s0
	s_cbranch_execz .LBB1781_11
; %bb.10:
	v_ashrrev_i32_e32 v3, 31, v2
	s_delay_alu instid0(VALU_DEP_1) | instskip(NEXT) | instid1(VALU_DEP_1)
	v_lshlrev_b64 v[1:2], 4, v[2:3]
	v_add_co_u32 v12, vcc_lo, v12, v1
	s_delay_alu instid0(VALU_DEP_2)
	v_add_co_ci_u32_e32 v13, vcc_lo, v13, v2, vcc_lo
	v_cmp_ne_u32_e32 vcc_lo, v21, v0
	global_load_b128 v[8:11], v[12:13], off
	s_waitcnt vmcnt(0)
	v_add_f64 v[3:4], v[4:5], -v[10:11]
	v_add_f64 v[1:2], v[6:7], -v[8:9]
	s_delay_alu instid0(VALU_DEP_2)
	v_dual_cndmask_b32 v4, 0, v4 :: v_dual_cndmask_b32 v3, 0, v3
	global_store_b128 v[12:13], v[1:4], off
.LBB1781_11:
	s_nop 0
	s_sendmsg sendmsg(MSG_DEALLOC_VGPRS)
	s_endpgm
	.section	.rodata,"a",@progbits
	.p2align	6, 0x0
	.amdhsa_kernel _ZL37rocblas_syrkx_herkx_restricted_kernelIl19rocblas_complex_numIdELi16ELi32ELi8ELi1ELin1ELb1ELc78ELc76EKPKS1_KPS1_EviT_PT9_S7_lS9_S7_lPT10_S7_li
		.amdhsa_group_segment_fixed_size 8192
		.amdhsa_private_segment_fixed_size 0
		.amdhsa_kernarg_size 92
		.amdhsa_user_sgpr_count 13
		.amdhsa_user_sgpr_dispatch_ptr 0
		.amdhsa_user_sgpr_queue_ptr 0
		.amdhsa_user_sgpr_kernarg_segment_ptr 1
		.amdhsa_user_sgpr_dispatch_id 0
		.amdhsa_user_sgpr_private_segment_size 0
		.amdhsa_wavefront_size32 1
		.amdhsa_uses_dynamic_stack 0
		.amdhsa_enable_private_segment 0
		.amdhsa_system_sgpr_workgroup_id_x 1
		.amdhsa_system_sgpr_workgroup_id_y 1
		.amdhsa_system_sgpr_workgroup_id_z 1
		.amdhsa_system_sgpr_workgroup_info 0
		.amdhsa_system_vgpr_workitem_id 1
		.amdhsa_next_free_vgpr 118
		.amdhsa_next_free_sgpr 20
		.amdhsa_reserve_vcc 1
		.amdhsa_float_round_mode_32 0
		.amdhsa_float_round_mode_16_64 0
		.amdhsa_float_denorm_mode_32 3
		.amdhsa_float_denorm_mode_16_64 3
		.amdhsa_dx10_clamp 1
		.amdhsa_ieee_mode 1
		.amdhsa_fp16_overflow 0
		.amdhsa_workgroup_processor_mode 1
		.amdhsa_memory_ordered 1
		.amdhsa_forward_progress 0
		.amdhsa_shared_vgpr_count 0
		.amdhsa_exception_fp_ieee_invalid_op 0
		.amdhsa_exception_fp_denorm_src 0
		.amdhsa_exception_fp_ieee_div_zero 0
		.amdhsa_exception_fp_ieee_overflow 0
		.amdhsa_exception_fp_ieee_underflow 0
		.amdhsa_exception_fp_ieee_inexact 0
		.amdhsa_exception_int_div_zero 0
	.end_amdhsa_kernel
	.section	.text._ZL37rocblas_syrkx_herkx_restricted_kernelIl19rocblas_complex_numIdELi16ELi32ELi8ELi1ELin1ELb1ELc78ELc76EKPKS1_KPS1_EviT_PT9_S7_lS9_S7_lPT10_S7_li,"axG",@progbits,_ZL37rocblas_syrkx_herkx_restricted_kernelIl19rocblas_complex_numIdELi16ELi32ELi8ELi1ELin1ELb1ELc78ELc76EKPKS1_KPS1_EviT_PT9_S7_lS9_S7_lPT10_S7_li,comdat
.Lfunc_end1781:
	.size	_ZL37rocblas_syrkx_herkx_restricted_kernelIl19rocblas_complex_numIdELi16ELi32ELi8ELi1ELin1ELb1ELc78ELc76EKPKS1_KPS1_EviT_PT9_S7_lS9_S7_lPT10_S7_li, .Lfunc_end1781-_ZL37rocblas_syrkx_herkx_restricted_kernelIl19rocblas_complex_numIdELi16ELi32ELi8ELi1ELin1ELb1ELc78ELc76EKPKS1_KPS1_EviT_PT9_S7_lS9_S7_lPT10_S7_li
                                        ; -- End function
	.section	.AMDGPU.csdata,"",@progbits
; Kernel info:
; codeLenInByte = 3184
; NumSgprs: 22
; NumVgprs: 118
; ScratchSize: 0
; MemoryBound: 0
; FloatMode: 240
; IeeeMode: 1
; LDSByteSize: 8192 bytes/workgroup (compile time only)
; SGPRBlocks: 2
; VGPRBlocks: 14
; NumSGPRsForWavesPerEU: 22
; NumVGPRsForWavesPerEU: 118
; Occupancy: 12
; WaveLimiterHint : 1
; COMPUTE_PGM_RSRC2:SCRATCH_EN: 0
; COMPUTE_PGM_RSRC2:USER_SGPR: 13
; COMPUTE_PGM_RSRC2:TRAP_HANDLER: 0
; COMPUTE_PGM_RSRC2:TGID_X_EN: 1
; COMPUTE_PGM_RSRC2:TGID_Y_EN: 1
; COMPUTE_PGM_RSRC2:TGID_Z_EN: 1
; COMPUTE_PGM_RSRC2:TIDIG_COMP_CNT: 1
	.section	.text._ZL37rocblas_syrkx_herkx_restricted_kernelIl19rocblas_complex_numIdELi16ELi32ELi8ELi1ELin1ELb1ELc84ELc85EKPKS1_KPS1_EviT_PT9_S7_lS9_S7_lPT10_S7_li,"axG",@progbits,_ZL37rocblas_syrkx_herkx_restricted_kernelIl19rocblas_complex_numIdELi16ELi32ELi8ELi1ELin1ELb1ELc84ELc85EKPKS1_KPS1_EviT_PT9_S7_lS9_S7_lPT10_S7_li,comdat
	.globl	_ZL37rocblas_syrkx_herkx_restricted_kernelIl19rocblas_complex_numIdELi16ELi32ELi8ELi1ELin1ELb1ELc84ELc85EKPKS1_KPS1_EviT_PT9_S7_lS9_S7_lPT10_S7_li ; -- Begin function _ZL37rocblas_syrkx_herkx_restricted_kernelIl19rocblas_complex_numIdELi16ELi32ELi8ELi1ELin1ELb1ELc84ELc85EKPKS1_KPS1_EviT_PT9_S7_lS9_S7_lPT10_S7_li
	.p2align	8
	.type	_ZL37rocblas_syrkx_herkx_restricted_kernelIl19rocblas_complex_numIdELi16ELi32ELi8ELi1ELin1ELb1ELc84ELc85EKPKS1_KPS1_EviT_PT9_S7_lS9_S7_lPT10_S7_li,@function
_ZL37rocblas_syrkx_herkx_restricted_kernelIl19rocblas_complex_numIdELi16ELi32ELi8ELi1ELin1ELb1ELc84ELc85EKPKS1_KPS1_EviT_PT9_S7_lS9_S7_lPT10_S7_li: ; @_ZL37rocblas_syrkx_herkx_restricted_kernelIl19rocblas_complex_numIdELi16ELi32ELi8ELi1ELin1ELb1ELc84ELc85EKPKS1_KPS1_EviT_PT9_S7_lS9_S7_lPT10_S7_li
; %bb.0:
	s_clause 0x1
	s_load_b128 s[4:7], s[0:1], 0x40
	s_load_b128 s[8:11], s[0:1], 0x8
	s_mov_b32 s2, s15
	s_mov_b32 s3, 0
	v_mov_b32_e32 v16, 0
	s_lshl_b64 s[16:17], s[2:3], 3
	v_dual_mov_b32 v17, 0 :: v_dual_and_b32 v20, 0x3ff, v0
	v_bfe_u32 v21, v0, 10, 10
	s_delay_alu instid0(VALU_DEP_3) | instskip(NEXT) | instid1(VALU_DEP_3)
	v_mov_b32_e32 v12, v16
	v_dual_mov_b32 v14, v16 :: v_dual_mov_b32 v15, v17
	v_dual_mov_b32 v19, v17 :: v_dual_mov_b32 v18, v16
	;; [unrolled: 1-line block ×5, first 2 shown]
	v_mov_b32_e32 v7, v17
	s_waitcnt lgkmcnt(0)
	s_add_u32 s2, s4, s16
	s_addc_u32 s3, s5, s17
	v_cmp_lt_i64_e64 s4, s[8:9], 1
	s_load_b64 s[2:3], s[2:3], 0x0
	v_dual_mov_b32 v4, v16 :: v_dual_mov_b32 v5, v17
	s_lshl_b32 s18, s13, 5
	s_lshl_b32 s19, s14, 5
	s_delay_alu instid0(VALU_DEP_2)
	s_and_b32 vcc_lo, exec_lo, s4
	s_cbranch_vccnz .LBB1782_3
; %bb.1:
	s_clause 0x1
	s_load_b128 s[12:15], s[0:1], 0x28
	s_load_b64 s[4:5], s[0:1], 0x18
	v_lshl_add_u32 v2, v21, 4, v20
	v_dual_mov_b32 v1, 0 :: v_dual_and_b32 v0, 7, v20
	s_add_u32 s10, s10, s16
	s_addc_u32 s11, s11, s17
	s_delay_alu instid0(VALU_DEP_2)
	v_lshrrev_b32_e32 v8, 3, v2
	v_and_b32_e32 v9, 31, v2
	v_lshrrev_b32_e32 v2, 5, v2
	v_mov_b32_e32 v3, v1
	s_load_b64 s[10:11], s[10:11], 0x0
	v_add_nc_u32_e32 v10, s19, v8
	v_add_nc_u32_e32 v6, s18, v9
	v_lshl_add_u32 v23, v21, 7, 0x1000
	s_delay_alu instid0(VALU_DEP_3) | instskip(NEXT) | instid1(VALU_DEP_3)
	v_ashrrev_i32_e32 v4, 31, v10
	v_ashrrev_i32_e32 v5, 31, v6
	s_waitcnt lgkmcnt(0)
	s_add_u32 s12, s12, s16
	s_addc_u32 s13, s13, s17
	v_mul_lo_u32 v11, v4, s14
	v_mul_lo_u32 v12, s4, v5
	v_mad_u64_u32 v[4:5], null, s4, v6, v[2:3]
	v_mul_lo_u32 v3, s5, v6
	s_load_b64 s[4:5], s[12:13], 0x0
	v_mul_lo_u32 v13, v10, s15
	v_mad_u64_u32 v[6:7], null, v10, s14, v[0:1]
	v_lshlrev_b32_e32 v0, 4, v0
	s_delay_alu instid0(VALU_DEP_4) | instskip(NEXT) | instid1(VALU_DEP_2)
	v_add3_u32 v5, v3, v5, v12
	v_lshl_or_b32 v8, v8, 7, v0
	s_delay_alu instid0(VALU_DEP_4) | instskip(NEXT) | instid1(VALU_DEP_3)
	v_add3_u32 v7, v11, v7, v13
	v_lshlrev_b64 v[0:1], 4, v[4:5]
	v_mov_b32_e32 v4, 0
	v_mov_b32_e32 v5, 0
	v_lshlrev_b32_e32 v3, 4, v9
	v_lshlrev_b32_e32 v22, 4, v20
	v_add_nc_u32_e32 v25, 0x1000, v8
	v_add_co_u32 v0, vcc_lo, v0, s10
	s_delay_alu instid0(VALU_DEP_4)
	v_lshl_or_b32 v24, v2, 9, v3
	v_lshlrev_b64 v[2:3], 4, v[6:7]
	v_add_co_ci_u32_e32 v1, vcc_lo, s11, v1, vcc_lo
	v_mov_b32_e32 v7, v5
	v_dual_mov_b32 v11, v5 :: v_dual_mov_b32 v10, v4
	s_waitcnt lgkmcnt(0)
	s_delay_alu instid0(VALU_DEP_4) | instskip(SKIP_3) | instid1(VALU_DEP_4)
	v_add_co_u32 v2, vcc_lo, v2, s4
	v_add_co_ci_u32_e32 v3, vcc_lo, s5, v3, vcc_lo
	v_add_co_u32 v0, vcc_lo, v0, 8
	v_add_co_ci_u32_e32 v1, vcc_lo, 0, v1, vcc_lo
	v_add_co_u32 v2, vcc_lo, v2, 8
	s_delay_alu instid0(VALU_DEP_4)
	v_add_co_ci_u32_e32 v3, vcc_lo, 0, v3, vcc_lo
	v_dual_mov_b32 v6, v4 :: v_dual_mov_b32 v9, v5
	v_dual_mov_b32 v8, v4 :: v_dual_mov_b32 v15, v5
	;; [unrolled: 1-line block ×5, first 2 shown]
	v_mov_b32_e32 v16, v4
	s_mov_b64 s[4:5], 0
.LBB1782_2:                             ; =>This Inner Loop Header: Depth=1
	global_load_b128 v[26:29], v[0:1], off offset:-8
	global_load_b128 v[30:33], v[2:3], off offset:-8
	s_add_u32 s4, s4, 8
	v_add_co_u32 v0, vcc_lo, 0x80, v0
	s_addc_u32 s5, s5, 0
	v_add_co_ci_u32_e32 v1, vcc_lo, 0, v1, vcc_lo
	v_cmp_ge_u64_e64 s10, s[4:5], s[8:9]
	v_add_co_u32 v2, vcc_lo, 0x80, v2
	v_add_co_ci_u32_e32 v3, vcc_lo, 0, v3, vcc_lo
	s_waitcnt vmcnt(1)
	ds_store_b128 v24, v[26:29]
	s_waitcnt vmcnt(0)
	ds_store_b128 v25, v[30:33]
	s_waitcnt lgkmcnt(0)
	s_barrier
	buffer_gl0_inv
	ds_load_b128 v[26:29], v23
	ds_load_b128 v[30:33], v22
	ds_load_b128 v[34:37], v22 offset:256
	ds_load_b128 v[38:41], v23 offset:2048
	ds_load_b128 v[42:45], v23 offset:16
	ds_load_b128 v[46:49], v23 offset:2064
	ds_load_b128 v[50:53], v22 offset:512
	ds_load_b128 v[54:57], v22 offset:768
	ds_load_b128 v[58:61], v23 offset:32
	ds_load_b128 v[62:65], v23 offset:48
	ds_load_b128 v[66:69], v22 offset:1024
	ds_load_b128 v[70:73], v22 offset:1280
	ds_load_b128 v[74:77], v23 offset:2080
	ds_load_b128 v[78:81], v23 offset:2096
	ds_load_b128 v[82:85], v22 offset:1536
	s_and_b32 vcc_lo, exec_lo, s10
	s_waitcnt lgkmcnt(13)
	v_mul_f64 v[86:87], v[28:29], v[32:33]
	v_mul_f64 v[88:89], v[26:27], v[32:33]
	s_waitcnt lgkmcnt(12)
	v_mul_f64 v[90:91], v[28:29], v[36:37]
	v_mul_f64 v[92:93], v[26:27], v[36:37]
	;; [unrolled: 3-line block ×3, first 2 shown]
	v_mul_f64 v[96:97], v[40:41], v[36:37]
	v_mul_f64 v[36:37], v[38:39], v[36:37]
	s_waitcnt lgkmcnt(8)
	v_mul_f64 v[98:99], v[44:45], v[52:53]
	v_mul_f64 v[100:101], v[42:43], v[52:53]
	s_waitcnt lgkmcnt(7)
	v_mul_f64 v[102:103], v[44:45], v[56:57]
	v_mul_f64 v[104:105], v[42:43], v[56:57]
	;; [unrolled: 1-line block ×6, first 2 shown]
	s_waitcnt lgkmcnt(3)
	v_mul_f64 v[112:113], v[58:59], v[72:73]
	s_waitcnt lgkmcnt(2)
	v_mul_f64 v[114:115], v[76:77], v[68:69]
	v_mul_f64 v[116:117], v[76:77], v[72:73]
	v_fma_f64 v[86:87], v[26:27], v[30:31], -v[86:87]
	v_fma_f64 v[88:89], v[28:29], v[30:31], v[88:89]
	v_fma_f64 v[90:91], v[26:27], v[34:35], -v[90:91]
	v_fma_f64 v[92:93], v[28:29], v[34:35], v[92:93]
	;; [unrolled: 2-line block ×4, first 2 shown]
	v_mul_f64 v[36:37], v[60:61], v[68:69]
	v_mul_f64 v[40:41], v[58:59], v[68:69]
	;; [unrolled: 1-line block ×5, first 2 shown]
	v_fma_f64 v[98:99], v[42:43], v[50:51], -v[98:99]
	v_fma_f64 v[100:101], v[44:45], v[50:51], v[100:101]
	v_fma_f64 v[42:43], v[42:43], v[54:55], -v[102:103]
	v_fma_f64 v[44:45], v[44:45], v[54:55], v[104:105]
	;; [unrolled: 2-line block ×4, first 2 shown]
	ds_load_b128 v[26:29], v22 offset:1792
	ds_load_b128 v[30:33], v22 offset:2048
	s_waitcnt lgkmcnt(2)
	v_mul_f64 v[56:57], v[64:65], v[84:85]
	v_add_f64 v[16:17], v[16:17], v[86:87]
	v_add_f64 v[18:19], v[18:19], v[88:89]
	;; [unrolled: 1-line block ×8, first 2 shown]
	v_mul_f64 v[86:87], v[62:63], v[84:85]
	s_waitcnt lgkmcnt(1)
	v_mul_f64 v[88:89], v[64:65], v[28:29]
	v_mul_f64 v[90:91], v[62:63], v[28:29]
	;; [unrolled: 1-line block ×6, first 2 shown]
	v_fma_f64 v[104:105], v[58:59], v[66:67], -v[36:37]
	v_fma_f64 v[106:107], v[60:61], v[66:67], v[40:41]
	v_fma_f64 v[58:59], v[58:59], v[70:71], -v[96:97]
	v_fma_f64 v[60:61], v[60:61], v[70:71], v[112:113]
	;; [unrolled: 2-line block ×4, first 2 shown]
	ds_load_b128 v[4:7], v22 offset:2304
	ds_load_b128 v[8:11], v23 offset:64
	v_fma_f64 v[56:57], v[62:63], v[82:83], -v[56:57]
	v_add_f64 v[72:73], v[16:17], v[98:99]
	v_add_f64 v[74:75], v[18:19], v[100:101]
	;; [unrolled: 1-line block ×8, first 2 shown]
	ds_load_b128 v[12:15], v23 offset:2112
	ds_load_b128 v[16:19], v23 offset:80
	;; [unrolled: 1-line block ×4, first 2 shown]
	s_waitcnt lgkmcnt(4)
	v_mul_f64 v[54:55], v[10:11], v[32:33]
	v_mul_f64 v[76:77], v[8:9], v[32:33]
	;; [unrolled: 1-line block ×4, first 2 shown]
	v_fma_f64 v[86:87], v[64:65], v[82:83], v[86:87]
	v_fma_f64 v[62:63], v[62:63], v[26:27], -v[88:89]
	v_fma_f64 v[64:65], v[64:65], v[26:27], v[90:91]
	v_fma_f64 v[88:89], v[78:79], v[82:83], -v[92:93]
	;; [unrolled: 2-line block ×3, first 2 shown]
	v_fma_f64 v[80:81], v[80:81], v[26:27], v[28:29]
	s_waitcnt lgkmcnt(3)
	v_mul_f64 v[102:103], v[14:15], v[32:33]
	v_mul_f64 v[32:33], v[12:13], v[32:33]
	v_mul_f64 v[108:109], v[14:15], v[6:7]
	v_mul_f64 v[6:7], v[12:13], v[6:7]
	s_waitcnt lgkmcnt(0)
	v_mul_f64 v[90:91], v[18:19], v[40:41]
	v_mul_f64 v[92:93], v[16:17], v[40:41]
	v_add_f64 v[72:73], v[72:73], v[104:105]
	v_add_f64 v[74:75], v[74:75], v[106:107]
	;; [unrolled: 1-line block ×8, first 2 shown]
	ds_load_b128 v[26:29], v22 offset:2816
	ds_load_b128 v[42:45], v22 offset:3072
	;; [unrolled: 1-line block ×4, first 2 shown]
	v_mul_f64 v[104:105], v[36:37], v[40:41]
	v_mul_f64 v[40:41], v[34:35], v[40:41]
	v_fma_f64 v[54:55], v[8:9], v[30:31], -v[54:55]
	v_fma_f64 v[76:77], v[10:11], v[30:31], v[76:77]
	v_fma_f64 v[98:99], v[8:9], v[4:5], -v[98:99]
	v_fma_f64 v[100:101], v[10:11], v[4:5], v[100:101]
	s_waitcnt lgkmcnt(3)
	v_mul_f64 v[94:95], v[18:19], v[28:29]
	v_mul_f64 v[96:97], v[16:17], v[28:29]
	;; [unrolled: 1-line block ×4, first 2 shown]
	v_fma_f64 v[102:103], v[12:13], v[30:31], -v[102:103]
	v_fma_f64 v[32:33], v[14:15], v[30:31], v[32:33]
	v_fma_f64 v[108:109], v[12:13], v[4:5], -v[108:109]
	v_fma_f64 v[112:113], v[14:15], v[4:5], v[6:7]
	ds_load_b128 v[4:7], v23 offset:2144
	ds_load_b128 v[8:11], v23 offset:112
	;; [unrolled: 1-line block ×4, first 2 shown]
	v_add_f64 v[56:57], v[72:73], v[56:57]
	v_add_f64 v[72:73], v[74:75], v[86:87]
	;; [unrolled: 1-line block ×8, first 2 shown]
	s_waitcnt lgkmcnt(4)
	v_mul_f64 v[70:71], v[52:53], v[44:45]
	v_mul_f64 v[74:75], v[50:51], v[44:45]
	;; [unrolled: 1-line block ×4, first 2 shown]
	s_waitcnt lgkmcnt(3)
	v_mul_f64 v[82:83], v[6:7], v[44:45]
	v_mul_f64 v[44:45], v[4:5], v[44:45]
	;; [unrolled: 1-line block ×4, first 2 shown]
	v_fma_f64 v[86:87], v[16:17], v[38:39], -v[90:91]
	v_fma_f64 v[88:89], v[18:19], v[38:39], v[92:93]
	v_fma_f64 v[90:91], v[16:17], v[26:27], -v[94:95]
	v_fma_f64 v[92:93], v[18:19], v[26:27], v[96:97]
	;; [unrolled: 2-line block ×4, first 2 shown]
	ds_load_b128 v[16:19], v22 offset:3840
	s_waitcnt lgkmcnt(0)
	s_barrier
	buffer_gl0_inv
	v_add_f64 v[36:37], v[56:57], v[54:55]
	v_add_f64 v[40:41], v[72:73], v[76:77]
	;; [unrolled: 1-line block ×8, first 2 shown]
	v_mul_f64 v[64:65], v[10:11], v[30:31]
	v_mul_f64 v[66:67], v[8:9], v[30:31]
	;; [unrolled: 1-line block ×4, first 2 shown]
	v_fma_f64 v[70:71], v[50:51], v[42:43], -v[70:71]
	v_mul_f64 v[68:69], v[10:11], v[18:19]
	v_mul_f64 v[72:73], v[8:9], v[18:19]
	;; [unrolled: 1-line block ×4, first 2 shown]
	v_fma_f64 v[74:75], v[52:53], v[42:43], v[74:75]
	v_fma_f64 v[50:51], v[50:51], v[46:47], -v[78:79]
	v_fma_f64 v[52:53], v[52:53], v[46:47], v[80:81]
	v_fma_f64 v[78:79], v[4:5], v[42:43], -v[82:83]
	;; [unrolled: 2-line block ×3, first 2 shown]
	v_fma_f64 v[6:7], v[6:7], v[46:47], v[48:49]
	v_add_f64 v[36:37], v[36:37], v[86:87]
	v_add_f64 v[40:41], v[40:41], v[88:89]
	;; [unrolled: 1-line block ×8, first 2 shown]
	v_fma_f64 v[38:39], v[8:9], v[28:29], -v[64:65]
	v_fma_f64 v[54:55], v[10:11], v[28:29], v[66:67]
	v_fma_f64 v[56:57], v[12:13], v[28:29], -v[76:77]
	v_fma_f64 v[28:29], v[14:15], v[28:29], v[30:31]
	;; [unrolled: 2-line block ×4, first 2 shown]
	v_add_f64 v[12:13], v[36:37], v[70:71]
	v_add_f64 v[14:15], v[40:41], v[74:75]
	;; [unrolled: 1-line block ×16, first 2 shown]
	s_cbranch_vccz .LBB1782_2
.LBB1782_3:
	v_add_nc_u32_e32 v21, s19, v21
	s_load_b32 s4, s[0:1], 0x0
	s_delay_alu instid0(VALU_DEP_1) | instskip(SKIP_2) | instid1(VALU_DEP_3)
	v_ashrrev_i32_e32 v0, 31, v21
	v_mul_lo_u32 v3, v21, s7
	v_mad_u64_u32 v[1:2], null, v21, s6, 0
	v_mul_lo_u32 v0, v0, s6
	s_delay_alu instid0(VALU_DEP_1) | instskip(SKIP_3) | instid1(VALU_DEP_3)
	v_add3_u32 v2, v2, v3, v0
	v_add_nc_u32_e32 v0, s18, v20
	s_waitcnt lgkmcnt(0)
	v_cmp_gt_i32_e32 vcc_lo, s4, v21
	v_lshlrev_b64 v[1:2], 4, v[1:2]
	s_delay_alu instid0(VALU_DEP_3) | instskip(NEXT) | instid1(VALU_DEP_1)
	v_cmp_le_i32_e64 s0, v0, v21
	s_and_b32 s0, vcc_lo, s0
	s_delay_alu instid0(VALU_DEP_2) | instskip(NEXT) | instid1(VALU_DEP_1)
	v_add_co_u32 v20, s1, s2, v1
	v_add_co_ci_u32_e64 v22, s1, s3, v2, s1
	s_and_saveexec_b32 s1, s0
	s_cbranch_execz .LBB1782_5
; %bb.4:
	v_ashrrev_i32_e32 v1, 31, v0
	s_delay_alu instid0(VALU_DEP_1) | instskip(NEXT) | instid1(VALU_DEP_1)
	v_lshlrev_b64 v[1:2], 4, v[0:1]
	v_add_co_u32 v1, s0, v20, v1
	s_delay_alu instid0(VALU_DEP_1)
	v_add_co_ci_u32_e64 v2, s0, v22, v2, s0
	v_cmp_ne_u32_e64 s0, v21, v0
	global_load_b128 v[23:26], v[1:2], off
	s_waitcnt vmcnt(0)
	v_add_f64 v[18:19], v[18:19], -v[25:26]
	v_add_f64 v[16:17], v[16:17], -v[23:24]
	s_delay_alu instid0(VALU_DEP_2) | instskip(NEXT) | instid1(VALU_DEP_3)
	v_cndmask_b32_e64 v19, 0, v19, s0
	v_cndmask_b32_e64 v18, 0, v18, s0
	global_store_b128 v[1:2], v[16:19], off
.LBB1782_5:
	s_or_b32 exec_lo, exec_lo, s1
	v_add_nc_u32_e32 v2, 16, v0
	s_delay_alu instid0(VALU_DEP_1) | instskip(NEXT) | instid1(VALU_DEP_1)
	v_cmp_le_i32_e64 s0, v2, v21
	s_and_b32 s1, vcc_lo, s0
	s_delay_alu instid0(SALU_CYCLE_1)
	s_and_saveexec_b32 s0, s1
	s_cbranch_execz .LBB1782_7
; %bb.6:
	v_ashrrev_i32_e32 v3, 31, v2
	s_delay_alu instid0(VALU_DEP_1) | instskip(NEXT) | instid1(VALU_DEP_1)
	v_lshlrev_b64 v[16:17], 4, v[2:3]
	v_add_co_u32 v23, vcc_lo, v20, v16
	s_delay_alu instid0(VALU_DEP_2)
	v_add_co_ci_u32_e32 v24, vcc_lo, v22, v17, vcc_lo
	v_cmp_ne_u32_e32 vcc_lo, v21, v2
	global_load_b128 v[16:19], v[23:24], off
	s_waitcnt vmcnt(0)
	v_add_f64 v[14:15], v[14:15], -v[18:19]
	v_add_f64 v[12:13], v[12:13], -v[16:17]
	s_delay_alu instid0(VALU_DEP_2)
	v_dual_cndmask_b32 v15, 0, v15 :: v_dual_cndmask_b32 v14, 0, v14
	global_store_b128 v[23:24], v[12:15], off
.LBB1782_7:
	s_or_b32 exec_lo, exec_lo, s0
	v_add_nc_u32_e32 v3, 16, v21
	s_delay_alu instid0(VALU_DEP_1) | instskip(SKIP_3) | instid1(VALU_DEP_4)
	v_ashrrev_i32_e32 v1, 31, v3
	v_mul_lo_u32 v14, v3, s7
	v_mad_u64_u32 v[12:13], null, v3, s6, 0
	v_cmp_gt_i32_e32 vcc_lo, s4, v3
	v_mul_lo_u32 v1, v1, s6
	v_cmp_le_i32_e64 s0, v0, v3
	s_delay_alu instid0(VALU_DEP_1) | instskip(NEXT) | instid1(VALU_DEP_2)
	s_and_b32 s0, vcc_lo, s0
	v_add3_u32 v13, v13, v14, v1
	s_delay_alu instid0(VALU_DEP_1) | instskip(NEXT) | instid1(VALU_DEP_1)
	v_lshlrev_b64 v[12:13], 4, v[12:13]
	v_add_co_u32 v12, s1, s2, v12
	s_delay_alu instid0(VALU_DEP_1)
	v_add_co_ci_u32_e64 v13, s1, s3, v13, s1
	s_and_saveexec_b32 s1, s0
	s_cbranch_execz .LBB1782_9
; %bb.8:
	v_ashrrev_i32_e32 v1, 31, v0
	s_delay_alu instid0(VALU_DEP_1) | instskip(NEXT) | instid1(VALU_DEP_1)
	v_lshlrev_b64 v[14:15], 4, v[0:1]
	v_add_co_u32 v18, s0, v12, v14
	s_delay_alu instid0(VALU_DEP_1)
	v_add_co_ci_u32_e64 v19, s0, v13, v15, s0
	v_cmp_ne_u32_e64 s0, v3, v0
	global_load_b128 v[14:17], v[18:19], off
	s_waitcnt vmcnt(0)
	v_add_f64 v[10:11], v[10:11], -v[16:17]
	v_add_f64 v[8:9], v[8:9], -v[14:15]
	s_delay_alu instid0(VALU_DEP_2) | instskip(NEXT) | instid1(VALU_DEP_3)
	v_cndmask_b32_e64 v11, 0, v11, s0
	v_cndmask_b32_e64 v10, 0, v10, s0
	global_store_b128 v[18:19], v[8:11], off
.LBB1782_9:
	s_or_b32 exec_lo, exec_lo, s1
	v_cmp_le_i32_e64 s0, v2, v3
	s_delay_alu instid0(VALU_DEP_1) | instskip(NEXT) | instid1(SALU_CYCLE_1)
	s_and_b32 s0, vcc_lo, s0
	s_and_saveexec_b32 s1, s0
	s_cbranch_execz .LBB1782_11
; %bb.10:
	v_ashrrev_i32_e32 v3, 31, v2
	s_delay_alu instid0(VALU_DEP_1) | instskip(NEXT) | instid1(VALU_DEP_1)
	v_lshlrev_b64 v[1:2], 4, v[2:3]
	v_add_co_u32 v12, vcc_lo, v12, v1
	s_delay_alu instid0(VALU_DEP_2)
	v_add_co_ci_u32_e32 v13, vcc_lo, v13, v2, vcc_lo
	v_cmp_ne_u32_e32 vcc_lo, v21, v0
	global_load_b128 v[8:11], v[12:13], off
	s_waitcnt vmcnt(0)
	v_add_f64 v[3:4], v[4:5], -v[10:11]
	v_add_f64 v[1:2], v[6:7], -v[8:9]
	s_delay_alu instid0(VALU_DEP_2)
	v_dual_cndmask_b32 v4, 0, v4 :: v_dual_cndmask_b32 v3, 0, v3
	global_store_b128 v[12:13], v[1:4], off
.LBB1782_11:
	s_nop 0
	s_sendmsg sendmsg(MSG_DEALLOC_VGPRS)
	s_endpgm
	.section	.rodata,"a",@progbits
	.p2align	6, 0x0
	.amdhsa_kernel _ZL37rocblas_syrkx_herkx_restricted_kernelIl19rocblas_complex_numIdELi16ELi32ELi8ELi1ELin1ELb1ELc84ELc85EKPKS1_KPS1_EviT_PT9_S7_lS9_S7_lPT10_S7_li
		.amdhsa_group_segment_fixed_size 8192
		.amdhsa_private_segment_fixed_size 0
		.amdhsa_kernarg_size 92
		.amdhsa_user_sgpr_count 13
		.amdhsa_user_sgpr_dispatch_ptr 0
		.amdhsa_user_sgpr_queue_ptr 0
		.amdhsa_user_sgpr_kernarg_segment_ptr 1
		.amdhsa_user_sgpr_dispatch_id 0
		.amdhsa_user_sgpr_private_segment_size 0
		.amdhsa_wavefront_size32 1
		.amdhsa_uses_dynamic_stack 0
		.amdhsa_enable_private_segment 0
		.amdhsa_system_sgpr_workgroup_id_x 1
		.amdhsa_system_sgpr_workgroup_id_y 1
		.amdhsa_system_sgpr_workgroup_id_z 1
		.amdhsa_system_sgpr_workgroup_info 0
		.amdhsa_system_vgpr_workitem_id 1
		.amdhsa_next_free_vgpr 118
		.amdhsa_next_free_sgpr 20
		.amdhsa_reserve_vcc 1
		.amdhsa_float_round_mode_32 0
		.amdhsa_float_round_mode_16_64 0
		.amdhsa_float_denorm_mode_32 3
		.amdhsa_float_denorm_mode_16_64 3
		.amdhsa_dx10_clamp 1
		.amdhsa_ieee_mode 1
		.amdhsa_fp16_overflow 0
		.amdhsa_workgroup_processor_mode 1
		.amdhsa_memory_ordered 1
		.amdhsa_forward_progress 0
		.amdhsa_shared_vgpr_count 0
		.amdhsa_exception_fp_ieee_invalid_op 0
		.amdhsa_exception_fp_denorm_src 0
		.amdhsa_exception_fp_ieee_div_zero 0
		.amdhsa_exception_fp_ieee_overflow 0
		.amdhsa_exception_fp_ieee_underflow 0
		.amdhsa_exception_fp_ieee_inexact 0
		.amdhsa_exception_int_div_zero 0
	.end_amdhsa_kernel
	.section	.text._ZL37rocblas_syrkx_herkx_restricted_kernelIl19rocblas_complex_numIdELi16ELi32ELi8ELi1ELin1ELb1ELc84ELc85EKPKS1_KPS1_EviT_PT9_S7_lS9_S7_lPT10_S7_li,"axG",@progbits,_ZL37rocblas_syrkx_herkx_restricted_kernelIl19rocblas_complex_numIdELi16ELi32ELi8ELi1ELin1ELb1ELc84ELc85EKPKS1_KPS1_EviT_PT9_S7_lS9_S7_lPT10_S7_li,comdat
.Lfunc_end1782:
	.size	_ZL37rocblas_syrkx_herkx_restricted_kernelIl19rocblas_complex_numIdELi16ELi32ELi8ELi1ELin1ELb1ELc84ELc85EKPKS1_KPS1_EviT_PT9_S7_lS9_S7_lPT10_S7_li, .Lfunc_end1782-_ZL37rocblas_syrkx_herkx_restricted_kernelIl19rocblas_complex_numIdELi16ELi32ELi8ELi1ELin1ELb1ELc84ELc85EKPKS1_KPS1_EviT_PT9_S7_lS9_S7_lPT10_S7_li
                                        ; -- End function
	.section	.AMDGPU.csdata,"",@progbits
; Kernel info:
; codeLenInByte = 3196
; NumSgprs: 22
; NumVgprs: 118
; ScratchSize: 0
; MemoryBound: 0
; FloatMode: 240
; IeeeMode: 1
; LDSByteSize: 8192 bytes/workgroup (compile time only)
; SGPRBlocks: 2
; VGPRBlocks: 14
; NumSGPRsForWavesPerEU: 22
; NumVGPRsForWavesPerEU: 118
; Occupancy: 12
; WaveLimiterHint : 1
; COMPUTE_PGM_RSRC2:SCRATCH_EN: 0
; COMPUTE_PGM_RSRC2:USER_SGPR: 13
; COMPUTE_PGM_RSRC2:TRAP_HANDLER: 0
; COMPUTE_PGM_RSRC2:TGID_X_EN: 1
; COMPUTE_PGM_RSRC2:TGID_Y_EN: 1
; COMPUTE_PGM_RSRC2:TGID_Z_EN: 1
; COMPUTE_PGM_RSRC2:TIDIG_COMP_CNT: 1
	.section	.text._ZL37rocblas_syrkx_herkx_restricted_kernelIl19rocblas_complex_numIdELi16ELi32ELi8ELi1ELin1ELb1ELc67ELc85EKPKS1_KPS1_EviT_PT9_S7_lS9_S7_lPT10_S7_li,"axG",@progbits,_ZL37rocblas_syrkx_herkx_restricted_kernelIl19rocblas_complex_numIdELi16ELi32ELi8ELi1ELin1ELb1ELc67ELc85EKPKS1_KPS1_EviT_PT9_S7_lS9_S7_lPT10_S7_li,comdat
	.globl	_ZL37rocblas_syrkx_herkx_restricted_kernelIl19rocblas_complex_numIdELi16ELi32ELi8ELi1ELin1ELb1ELc67ELc85EKPKS1_KPS1_EviT_PT9_S7_lS9_S7_lPT10_S7_li ; -- Begin function _ZL37rocblas_syrkx_herkx_restricted_kernelIl19rocblas_complex_numIdELi16ELi32ELi8ELi1ELin1ELb1ELc67ELc85EKPKS1_KPS1_EviT_PT9_S7_lS9_S7_lPT10_S7_li
	.p2align	8
	.type	_ZL37rocblas_syrkx_herkx_restricted_kernelIl19rocblas_complex_numIdELi16ELi32ELi8ELi1ELin1ELb1ELc67ELc85EKPKS1_KPS1_EviT_PT9_S7_lS9_S7_lPT10_S7_li,@function
_ZL37rocblas_syrkx_herkx_restricted_kernelIl19rocblas_complex_numIdELi16ELi32ELi8ELi1ELin1ELb1ELc67ELc85EKPKS1_KPS1_EviT_PT9_S7_lS9_S7_lPT10_S7_li: ; @_ZL37rocblas_syrkx_herkx_restricted_kernelIl19rocblas_complex_numIdELi16ELi32ELi8ELi1ELin1ELb1ELc67ELc85EKPKS1_KPS1_EviT_PT9_S7_lS9_S7_lPT10_S7_li
; %bb.0:
	s_clause 0x1
	s_load_b128 s[4:7], s[0:1], 0x40
	s_load_b128 s[8:11], s[0:1], 0x8
	s_mov_b32 s2, s15
	s_mov_b32 s3, 0
	v_mov_b32_e32 v16, 0
	s_lshl_b64 s[16:17], s[2:3], 3
	v_dual_mov_b32 v17, 0 :: v_dual_and_b32 v20, 0x3ff, v0
	v_bfe_u32 v21, v0, 10, 10
	s_delay_alu instid0(VALU_DEP_3) | instskip(NEXT) | instid1(VALU_DEP_3)
	v_mov_b32_e32 v12, v16
	v_dual_mov_b32 v14, v16 :: v_dual_mov_b32 v15, v17
	v_dual_mov_b32 v19, v17 :: v_dual_mov_b32 v18, v16
	;; [unrolled: 1-line block ×5, first 2 shown]
	v_mov_b32_e32 v7, v17
	s_waitcnt lgkmcnt(0)
	s_add_u32 s2, s4, s16
	s_addc_u32 s3, s5, s17
	v_cmp_lt_i64_e64 s4, s[8:9], 1
	s_load_b64 s[2:3], s[2:3], 0x0
	v_dual_mov_b32 v4, v16 :: v_dual_mov_b32 v5, v17
	s_lshl_b32 s18, s13, 5
	s_lshl_b32 s19, s14, 5
	s_delay_alu instid0(VALU_DEP_2)
	s_and_b32 vcc_lo, exec_lo, s4
	s_cbranch_vccnz .LBB1783_3
; %bb.1:
	s_clause 0x1
	s_load_b128 s[12:15], s[0:1], 0x28
	s_load_b64 s[4:5], s[0:1], 0x18
	v_lshl_add_u32 v2, v21, 4, v20
	v_dual_mov_b32 v1, 0 :: v_dual_and_b32 v0, 7, v20
	s_add_u32 s10, s10, s16
	s_addc_u32 s11, s11, s17
	s_delay_alu instid0(VALU_DEP_2)
	v_lshrrev_b32_e32 v8, 3, v2
	v_and_b32_e32 v9, 31, v2
	v_lshrrev_b32_e32 v2, 5, v2
	v_mov_b32_e32 v3, v1
	s_load_b64 s[10:11], s[10:11], 0x0
	v_add_nc_u32_e32 v10, s19, v8
	v_add_nc_u32_e32 v6, s18, v9
	v_lshl_add_u32 v23, v21, 7, 0x1000
	s_delay_alu instid0(VALU_DEP_3) | instskip(NEXT) | instid1(VALU_DEP_3)
	v_ashrrev_i32_e32 v4, 31, v10
	v_ashrrev_i32_e32 v5, 31, v6
	s_waitcnt lgkmcnt(0)
	s_add_u32 s12, s12, s16
	s_addc_u32 s13, s13, s17
	v_mul_lo_u32 v11, v4, s14
	v_mul_lo_u32 v12, s4, v5
	v_mad_u64_u32 v[4:5], null, s4, v6, v[2:3]
	v_mul_lo_u32 v3, s5, v6
	s_load_b64 s[4:5], s[12:13], 0x0
	v_mul_lo_u32 v13, v10, s15
	v_mad_u64_u32 v[6:7], null, v10, s14, v[0:1]
	v_lshlrev_b32_e32 v0, 4, v0
	s_delay_alu instid0(VALU_DEP_4) | instskip(NEXT) | instid1(VALU_DEP_2)
	v_add3_u32 v5, v3, v5, v12
	v_lshl_or_b32 v8, v8, 7, v0
	s_delay_alu instid0(VALU_DEP_4) | instskip(NEXT) | instid1(VALU_DEP_3)
	v_add3_u32 v7, v11, v7, v13
	v_lshlrev_b64 v[0:1], 4, v[4:5]
	v_mov_b32_e32 v4, 0
	v_mov_b32_e32 v5, 0
	v_lshlrev_b32_e32 v3, 4, v9
	v_lshlrev_b32_e32 v22, 4, v20
	v_add_nc_u32_e32 v25, 0x1000, v8
	v_add_co_u32 v0, vcc_lo, v0, s10
	s_delay_alu instid0(VALU_DEP_4)
	v_lshl_or_b32 v24, v2, 9, v3
	v_lshlrev_b64 v[2:3], 4, v[6:7]
	v_add_co_ci_u32_e32 v1, vcc_lo, s11, v1, vcc_lo
	v_mov_b32_e32 v7, v5
	v_dual_mov_b32 v11, v5 :: v_dual_mov_b32 v10, v4
	s_waitcnt lgkmcnt(0)
	s_delay_alu instid0(VALU_DEP_4) | instskip(SKIP_3) | instid1(VALU_DEP_4)
	v_add_co_u32 v2, vcc_lo, v2, s4
	v_add_co_ci_u32_e32 v3, vcc_lo, s5, v3, vcc_lo
	v_add_co_u32 v0, vcc_lo, v0, 8
	v_add_co_ci_u32_e32 v1, vcc_lo, 0, v1, vcc_lo
	v_add_co_u32 v2, vcc_lo, v2, 8
	s_delay_alu instid0(VALU_DEP_4)
	v_add_co_ci_u32_e32 v3, vcc_lo, 0, v3, vcc_lo
	v_dual_mov_b32 v6, v4 :: v_dual_mov_b32 v9, v5
	v_dual_mov_b32 v8, v4 :: v_dual_mov_b32 v15, v5
	;; [unrolled: 1-line block ×5, first 2 shown]
	v_mov_b32_e32 v16, v4
	s_mov_b64 s[4:5], 0
.LBB1783_2:                             ; =>This Inner Loop Header: Depth=1
	global_load_b128 v[26:29], v[0:1], off offset:-8
	global_load_b128 v[30:33], v[2:3], off offset:-8
	s_add_u32 s4, s4, 8
	v_add_co_u32 v0, vcc_lo, 0x80, v0
	s_addc_u32 s5, s5, 0
	v_add_co_ci_u32_e32 v1, vcc_lo, 0, v1, vcc_lo
	v_cmp_ge_u64_e64 s10, s[4:5], s[8:9]
	v_add_co_u32 v2, vcc_lo, 0x80, v2
	v_add_co_ci_u32_e32 v3, vcc_lo, 0, v3, vcc_lo
	s_delay_alu instid0(VALU_DEP_3)
	s_and_b32 vcc_lo, exec_lo, s10
	s_waitcnt vmcnt(1)
	v_xor_b32_e32 v29, 0x80000000, v29
	ds_store_b128 v24, v[26:29]
	s_waitcnt vmcnt(0)
	ds_store_b128 v25, v[30:33]
	s_waitcnt lgkmcnt(0)
	s_barrier
	buffer_gl0_inv
	ds_load_b128 v[26:29], v23
	ds_load_b128 v[30:33], v22
	ds_load_b128 v[34:37], v22 offset:256
	ds_load_b128 v[38:41], v23 offset:2048
	;; [unrolled: 1-line block ×13, first 2 shown]
	s_waitcnt lgkmcnt(13)
	v_mul_f64 v[86:87], v[28:29], v[32:33]
	v_mul_f64 v[88:89], v[26:27], v[32:33]
	s_waitcnt lgkmcnt(12)
	v_mul_f64 v[90:91], v[28:29], v[36:37]
	v_mul_f64 v[92:93], v[26:27], v[36:37]
	;; [unrolled: 3-line block ×3, first 2 shown]
	v_mul_f64 v[96:97], v[40:41], v[36:37]
	v_mul_f64 v[36:37], v[38:39], v[36:37]
	s_waitcnt lgkmcnt(8)
	v_mul_f64 v[98:99], v[44:45], v[52:53]
	v_mul_f64 v[100:101], v[42:43], v[52:53]
	s_waitcnt lgkmcnt(7)
	v_mul_f64 v[102:103], v[44:45], v[56:57]
	v_mul_f64 v[104:105], v[42:43], v[56:57]
	;; [unrolled: 1-line block ×6, first 2 shown]
	s_waitcnt lgkmcnt(3)
	v_mul_f64 v[112:113], v[58:59], v[72:73]
	s_waitcnt lgkmcnt(2)
	v_mul_f64 v[114:115], v[76:77], v[68:69]
	v_mul_f64 v[116:117], v[76:77], v[72:73]
	v_fma_f64 v[86:87], v[26:27], v[30:31], -v[86:87]
	v_fma_f64 v[88:89], v[28:29], v[30:31], v[88:89]
	v_fma_f64 v[90:91], v[26:27], v[34:35], -v[90:91]
	v_fma_f64 v[92:93], v[28:29], v[34:35], v[92:93]
	;; [unrolled: 2-line block ×4, first 2 shown]
	v_mul_f64 v[36:37], v[60:61], v[68:69]
	v_mul_f64 v[40:41], v[58:59], v[68:69]
	;; [unrolled: 1-line block ×5, first 2 shown]
	v_fma_f64 v[98:99], v[42:43], v[50:51], -v[98:99]
	v_fma_f64 v[100:101], v[44:45], v[50:51], v[100:101]
	v_fma_f64 v[42:43], v[42:43], v[54:55], -v[102:103]
	v_fma_f64 v[44:45], v[44:45], v[54:55], v[104:105]
	;; [unrolled: 2-line block ×4, first 2 shown]
	ds_load_b128 v[26:29], v22 offset:1792
	ds_load_b128 v[30:33], v22 offset:2048
	s_waitcnt lgkmcnt(2)
	v_mul_f64 v[56:57], v[64:65], v[84:85]
	v_add_f64 v[16:17], v[16:17], v[86:87]
	v_add_f64 v[18:19], v[18:19], v[88:89]
	;; [unrolled: 1-line block ×8, first 2 shown]
	v_mul_f64 v[86:87], v[62:63], v[84:85]
	s_waitcnt lgkmcnt(1)
	v_mul_f64 v[88:89], v[64:65], v[28:29]
	v_mul_f64 v[90:91], v[62:63], v[28:29]
	;; [unrolled: 1-line block ×6, first 2 shown]
	v_fma_f64 v[104:105], v[58:59], v[66:67], -v[36:37]
	v_fma_f64 v[106:107], v[60:61], v[66:67], v[40:41]
	v_fma_f64 v[58:59], v[58:59], v[70:71], -v[96:97]
	v_fma_f64 v[60:61], v[60:61], v[70:71], v[112:113]
	;; [unrolled: 2-line block ×4, first 2 shown]
	ds_load_b128 v[4:7], v22 offset:2304
	ds_load_b128 v[8:11], v23 offset:64
	v_fma_f64 v[56:57], v[62:63], v[82:83], -v[56:57]
	v_add_f64 v[72:73], v[16:17], v[98:99]
	v_add_f64 v[74:75], v[18:19], v[100:101]
	;; [unrolled: 1-line block ×8, first 2 shown]
	ds_load_b128 v[12:15], v23 offset:2112
	ds_load_b128 v[16:19], v23 offset:80
	;; [unrolled: 1-line block ×4, first 2 shown]
	s_waitcnt lgkmcnt(4)
	v_mul_f64 v[54:55], v[10:11], v[32:33]
	v_mul_f64 v[76:77], v[8:9], v[32:33]
	v_mul_f64 v[98:99], v[10:11], v[6:7]
	v_mul_f64 v[100:101], v[8:9], v[6:7]
	v_fma_f64 v[86:87], v[64:65], v[82:83], v[86:87]
	v_fma_f64 v[62:63], v[62:63], v[26:27], -v[88:89]
	v_fma_f64 v[64:65], v[64:65], v[26:27], v[90:91]
	v_fma_f64 v[88:89], v[78:79], v[82:83], -v[92:93]
	;; [unrolled: 2-line block ×3, first 2 shown]
	v_fma_f64 v[80:81], v[80:81], v[26:27], v[28:29]
	s_waitcnt lgkmcnt(3)
	v_mul_f64 v[102:103], v[14:15], v[32:33]
	v_mul_f64 v[32:33], v[12:13], v[32:33]
	;; [unrolled: 1-line block ×4, first 2 shown]
	s_waitcnt lgkmcnt(0)
	v_mul_f64 v[90:91], v[18:19], v[40:41]
	v_mul_f64 v[92:93], v[16:17], v[40:41]
	v_add_f64 v[72:73], v[72:73], v[104:105]
	v_add_f64 v[74:75], v[74:75], v[106:107]
	;; [unrolled: 1-line block ×8, first 2 shown]
	ds_load_b128 v[26:29], v22 offset:2816
	ds_load_b128 v[42:45], v22 offset:3072
	;; [unrolled: 1-line block ×4, first 2 shown]
	v_mul_f64 v[104:105], v[36:37], v[40:41]
	v_mul_f64 v[40:41], v[34:35], v[40:41]
	v_fma_f64 v[54:55], v[8:9], v[30:31], -v[54:55]
	v_fma_f64 v[76:77], v[10:11], v[30:31], v[76:77]
	v_fma_f64 v[98:99], v[8:9], v[4:5], -v[98:99]
	v_fma_f64 v[100:101], v[10:11], v[4:5], v[100:101]
	s_waitcnt lgkmcnt(3)
	v_mul_f64 v[94:95], v[18:19], v[28:29]
	v_mul_f64 v[96:97], v[16:17], v[28:29]
	;; [unrolled: 1-line block ×4, first 2 shown]
	v_fma_f64 v[102:103], v[12:13], v[30:31], -v[102:103]
	v_fma_f64 v[32:33], v[14:15], v[30:31], v[32:33]
	v_fma_f64 v[108:109], v[12:13], v[4:5], -v[108:109]
	v_fma_f64 v[112:113], v[14:15], v[4:5], v[6:7]
	ds_load_b128 v[4:7], v23 offset:2144
	ds_load_b128 v[8:11], v23 offset:112
	;; [unrolled: 1-line block ×4, first 2 shown]
	v_add_f64 v[56:57], v[72:73], v[56:57]
	v_add_f64 v[72:73], v[74:75], v[86:87]
	;; [unrolled: 1-line block ×8, first 2 shown]
	s_waitcnt lgkmcnt(4)
	v_mul_f64 v[70:71], v[52:53], v[44:45]
	v_mul_f64 v[74:75], v[50:51], v[44:45]
	;; [unrolled: 1-line block ×4, first 2 shown]
	s_waitcnt lgkmcnt(3)
	v_mul_f64 v[82:83], v[6:7], v[44:45]
	v_mul_f64 v[44:45], v[4:5], v[44:45]
	;; [unrolled: 1-line block ×4, first 2 shown]
	v_fma_f64 v[86:87], v[16:17], v[38:39], -v[90:91]
	v_fma_f64 v[88:89], v[18:19], v[38:39], v[92:93]
	v_fma_f64 v[90:91], v[16:17], v[26:27], -v[94:95]
	v_fma_f64 v[92:93], v[18:19], v[26:27], v[96:97]
	;; [unrolled: 2-line block ×4, first 2 shown]
	ds_load_b128 v[16:19], v22 offset:3840
	s_waitcnt lgkmcnt(0)
	s_barrier
	buffer_gl0_inv
	v_add_f64 v[36:37], v[56:57], v[54:55]
	v_add_f64 v[40:41], v[72:73], v[76:77]
	v_add_f64 v[54:55], v[58:59], v[98:99]
	v_add_f64 v[56:57], v[60:61], v[100:101]
	v_add_f64 v[58:59], v[62:63], v[102:103]
	v_add_f64 v[32:33], v[64:65], v[32:33]
	v_add_f64 v[60:61], v[66:67], v[108:109]
	v_add_f64 v[62:63], v[68:69], v[112:113]
	v_mul_f64 v[64:65], v[10:11], v[30:31]
	v_mul_f64 v[66:67], v[8:9], v[30:31]
	;; [unrolled: 1-line block ×4, first 2 shown]
	v_fma_f64 v[70:71], v[50:51], v[42:43], -v[70:71]
	v_mul_f64 v[68:69], v[10:11], v[18:19]
	v_mul_f64 v[72:73], v[8:9], v[18:19]
	;; [unrolled: 1-line block ×4, first 2 shown]
	v_fma_f64 v[74:75], v[52:53], v[42:43], v[74:75]
	v_fma_f64 v[50:51], v[50:51], v[46:47], -v[78:79]
	v_fma_f64 v[52:53], v[52:53], v[46:47], v[80:81]
	v_fma_f64 v[78:79], v[4:5], v[42:43], -v[82:83]
	;; [unrolled: 2-line block ×3, first 2 shown]
	v_fma_f64 v[6:7], v[6:7], v[46:47], v[48:49]
	v_add_f64 v[36:37], v[36:37], v[86:87]
	v_add_f64 v[40:41], v[40:41], v[88:89]
	v_add_f64 v[44:45], v[54:55], v[90:91]
	v_add_f64 v[46:47], v[56:57], v[92:93]
	v_add_f64 v[48:49], v[58:59], v[94:95]
	v_add_f64 v[32:33], v[32:33], v[38:39]
	v_add_f64 v[34:35], v[60:61], v[34:35]
	v_add_f64 v[26:27], v[62:63], v[26:27]
	v_fma_f64 v[38:39], v[8:9], v[28:29], -v[64:65]
	v_fma_f64 v[54:55], v[10:11], v[28:29], v[66:67]
	v_fma_f64 v[56:57], v[12:13], v[28:29], -v[76:77]
	v_fma_f64 v[28:29], v[14:15], v[28:29], v[30:31]
	;; [unrolled: 2-line block ×4, first 2 shown]
	v_add_f64 v[12:13], v[36:37], v[70:71]
	v_add_f64 v[14:15], v[40:41], v[74:75]
	;; [unrolled: 1-line block ×16, first 2 shown]
	s_cbranch_vccz .LBB1783_2
.LBB1783_3:
	v_add_nc_u32_e32 v21, s19, v21
	s_load_b32 s4, s[0:1], 0x0
	s_delay_alu instid0(VALU_DEP_1) | instskip(SKIP_2) | instid1(VALU_DEP_3)
	v_ashrrev_i32_e32 v0, 31, v21
	v_mul_lo_u32 v3, v21, s7
	v_mad_u64_u32 v[1:2], null, v21, s6, 0
	v_mul_lo_u32 v0, v0, s6
	s_delay_alu instid0(VALU_DEP_1) | instskip(SKIP_3) | instid1(VALU_DEP_3)
	v_add3_u32 v2, v2, v3, v0
	v_add_nc_u32_e32 v0, s18, v20
	s_waitcnt lgkmcnt(0)
	v_cmp_gt_i32_e32 vcc_lo, s4, v21
	v_lshlrev_b64 v[1:2], 4, v[1:2]
	s_delay_alu instid0(VALU_DEP_3) | instskip(NEXT) | instid1(VALU_DEP_1)
	v_cmp_le_i32_e64 s0, v0, v21
	s_and_b32 s0, vcc_lo, s0
	s_delay_alu instid0(VALU_DEP_2) | instskip(NEXT) | instid1(VALU_DEP_1)
	v_add_co_u32 v20, s1, s2, v1
	v_add_co_ci_u32_e64 v22, s1, s3, v2, s1
	s_and_saveexec_b32 s1, s0
	s_cbranch_execz .LBB1783_5
; %bb.4:
	v_ashrrev_i32_e32 v1, 31, v0
	s_delay_alu instid0(VALU_DEP_1) | instskip(NEXT) | instid1(VALU_DEP_1)
	v_lshlrev_b64 v[1:2], 4, v[0:1]
	v_add_co_u32 v1, s0, v20, v1
	s_delay_alu instid0(VALU_DEP_1)
	v_add_co_ci_u32_e64 v2, s0, v22, v2, s0
	v_cmp_ne_u32_e64 s0, v21, v0
	global_load_b128 v[23:26], v[1:2], off
	s_waitcnt vmcnt(0)
	v_add_f64 v[18:19], v[18:19], -v[25:26]
	v_add_f64 v[16:17], v[16:17], -v[23:24]
	s_delay_alu instid0(VALU_DEP_2) | instskip(NEXT) | instid1(VALU_DEP_3)
	v_cndmask_b32_e64 v19, 0, v19, s0
	v_cndmask_b32_e64 v18, 0, v18, s0
	global_store_b128 v[1:2], v[16:19], off
.LBB1783_5:
	s_or_b32 exec_lo, exec_lo, s1
	v_add_nc_u32_e32 v2, 16, v0
	s_delay_alu instid0(VALU_DEP_1) | instskip(NEXT) | instid1(VALU_DEP_1)
	v_cmp_le_i32_e64 s0, v2, v21
	s_and_b32 s1, vcc_lo, s0
	s_delay_alu instid0(SALU_CYCLE_1)
	s_and_saveexec_b32 s0, s1
	s_cbranch_execz .LBB1783_7
; %bb.6:
	v_ashrrev_i32_e32 v3, 31, v2
	s_delay_alu instid0(VALU_DEP_1) | instskip(NEXT) | instid1(VALU_DEP_1)
	v_lshlrev_b64 v[16:17], 4, v[2:3]
	v_add_co_u32 v23, vcc_lo, v20, v16
	s_delay_alu instid0(VALU_DEP_2)
	v_add_co_ci_u32_e32 v24, vcc_lo, v22, v17, vcc_lo
	v_cmp_ne_u32_e32 vcc_lo, v21, v2
	global_load_b128 v[16:19], v[23:24], off
	s_waitcnt vmcnt(0)
	v_add_f64 v[14:15], v[14:15], -v[18:19]
	v_add_f64 v[12:13], v[12:13], -v[16:17]
	s_delay_alu instid0(VALU_DEP_2)
	v_dual_cndmask_b32 v15, 0, v15 :: v_dual_cndmask_b32 v14, 0, v14
	global_store_b128 v[23:24], v[12:15], off
.LBB1783_7:
	s_or_b32 exec_lo, exec_lo, s0
	v_add_nc_u32_e32 v3, 16, v21
	s_delay_alu instid0(VALU_DEP_1) | instskip(SKIP_3) | instid1(VALU_DEP_4)
	v_ashrrev_i32_e32 v1, 31, v3
	v_mul_lo_u32 v14, v3, s7
	v_mad_u64_u32 v[12:13], null, v3, s6, 0
	v_cmp_gt_i32_e32 vcc_lo, s4, v3
	v_mul_lo_u32 v1, v1, s6
	v_cmp_le_i32_e64 s0, v0, v3
	s_delay_alu instid0(VALU_DEP_1) | instskip(NEXT) | instid1(VALU_DEP_2)
	s_and_b32 s0, vcc_lo, s0
	v_add3_u32 v13, v13, v14, v1
	s_delay_alu instid0(VALU_DEP_1) | instskip(NEXT) | instid1(VALU_DEP_1)
	v_lshlrev_b64 v[12:13], 4, v[12:13]
	v_add_co_u32 v12, s1, s2, v12
	s_delay_alu instid0(VALU_DEP_1)
	v_add_co_ci_u32_e64 v13, s1, s3, v13, s1
	s_and_saveexec_b32 s1, s0
	s_cbranch_execz .LBB1783_9
; %bb.8:
	v_ashrrev_i32_e32 v1, 31, v0
	s_delay_alu instid0(VALU_DEP_1) | instskip(NEXT) | instid1(VALU_DEP_1)
	v_lshlrev_b64 v[14:15], 4, v[0:1]
	v_add_co_u32 v18, s0, v12, v14
	s_delay_alu instid0(VALU_DEP_1)
	v_add_co_ci_u32_e64 v19, s0, v13, v15, s0
	v_cmp_ne_u32_e64 s0, v3, v0
	global_load_b128 v[14:17], v[18:19], off
	s_waitcnt vmcnt(0)
	v_add_f64 v[10:11], v[10:11], -v[16:17]
	v_add_f64 v[8:9], v[8:9], -v[14:15]
	s_delay_alu instid0(VALU_DEP_2) | instskip(NEXT) | instid1(VALU_DEP_3)
	v_cndmask_b32_e64 v11, 0, v11, s0
	v_cndmask_b32_e64 v10, 0, v10, s0
	global_store_b128 v[18:19], v[8:11], off
.LBB1783_9:
	s_or_b32 exec_lo, exec_lo, s1
	v_cmp_le_i32_e64 s0, v2, v3
	s_delay_alu instid0(VALU_DEP_1) | instskip(NEXT) | instid1(SALU_CYCLE_1)
	s_and_b32 s0, vcc_lo, s0
	s_and_saveexec_b32 s1, s0
	s_cbranch_execz .LBB1783_11
; %bb.10:
	v_ashrrev_i32_e32 v3, 31, v2
	s_delay_alu instid0(VALU_DEP_1) | instskip(NEXT) | instid1(VALU_DEP_1)
	v_lshlrev_b64 v[1:2], 4, v[2:3]
	v_add_co_u32 v12, vcc_lo, v12, v1
	s_delay_alu instid0(VALU_DEP_2)
	v_add_co_ci_u32_e32 v13, vcc_lo, v13, v2, vcc_lo
	v_cmp_ne_u32_e32 vcc_lo, v21, v0
	global_load_b128 v[8:11], v[12:13], off
	s_waitcnt vmcnt(0)
	v_add_f64 v[3:4], v[4:5], -v[10:11]
	v_add_f64 v[1:2], v[6:7], -v[8:9]
	s_delay_alu instid0(VALU_DEP_2)
	v_dual_cndmask_b32 v4, 0, v4 :: v_dual_cndmask_b32 v3, 0, v3
	global_store_b128 v[12:13], v[1:4], off
.LBB1783_11:
	s_nop 0
	s_sendmsg sendmsg(MSG_DEALLOC_VGPRS)
	s_endpgm
	.section	.rodata,"a",@progbits
	.p2align	6, 0x0
	.amdhsa_kernel _ZL37rocblas_syrkx_herkx_restricted_kernelIl19rocblas_complex_numIdELi16ELi32ELi8ELi1ELin1ELb1ELc67ELc85EKPKS1_KPS1_EviT_PT9_S7_lS9_S7_lPT10_S7_li
		.amdhsa_group_segment_fixed_size 8192
		.amdhsa_private_segment_fixed_size 0
		.amdhsa_kernarg_size 92
		.amdhsa_user_sgpr_count 13
		.amdhsa_user_sgpr_dispatch_ptr 0
		.amdhsa_user_sgpr_queue_ptr 0
		.amdhsa_user_sgpr_kernarg_segment_ptr 1
		.amdhsa_user_sgpr_dispatch_id 0
		.amdhsa_user_sgpr_private_segment_size 0
		.amdhsa_wavefront_size32 1
		.amdhsa_uses_dynamic_stack 0
		.amdhsa_enable_private_segment 0
		.amdhsa_system_sgpr_workgroup_id_x 1
		.amdhsa_system_sgpr_workgroup_id_y 1
		.amdhsa_system_sgpr_workgroup_id_z 1
		.amdhsa_system_sgpr_workgroup_info 0
		.amdhsa_system_vgpr_workitem_id 1
		.amdhsa_next_free_vgpr 118
		.amdhsa_next_free_sgpr 20
		.amdhsa_reserve_vcc 1
		.amdhsa_float_round_mode_32 0
		.amdhsa_float_round_mode_16_64 0
		.amdhsa_float_denorm_mode_32 3
		.amdhsa_float_denorm_mode_16_64 3
		.amdhsa_dx10_clamp 1
		.amdhsa_ieee_mode 1
		.amdhsa_fp16_overflow 0
		.amdhsa_workgroup_processor_mode 1
		.amdhsa_memory_ordered 1
		.amdhsa_forward_progress 0
		.amdhsa_shared_vgpr_count 0
		.amdhsa_exception_fp_ieee_invalid_op 0
		.amdhsa_exception_fp_denorm_src 0
		.amdhsa_exception_fp_ieee_div_zero 0
		.amdhsa_exception_fp_ieee_overflow 0
		.amdhsa_exception_fp_ieee_underflow 0
		.amdhsa_exception_fp_ieee_inexact 0
		.amdhsa_exception_int_div_zero 0
	.end_amdhsa_kernel
	.section	.text._ZL37rocblas_syrkx_herkx_restricted_kernelIl19rocblas_complex_numIdELi16ELi32ELi8ELi1ELin1ELb1ELc67ELc85EKPKS1_KPS1_EviT_PT9_S7_lS9_S7_lPT10_S7_li,"axG",@progbits,_ZL37rocblas_syrkx_herkx_restricted_kernelIl19rocblas_complex_numIdELi16ELi32ELi8ELi1ELin1ELb1ELc67ELc85EKPKS1_KPS1_EviT_PT9_S7_lS9_S7_lPT10_S7_li,comdat
.Lfunc_end1783:
	.size	_ZL37rocblas_syrkx_herkx_restricted_kernelIl19rocblas_complex_numIdELi16ELi32ELi8ELi1ELin1ELb1ELc67ELc85EKPKS1_KPS1_EviT_PT9_S7_lS9_S7_lPT10_S7_li, .Lfunc_end1783-_ZL37rocblas_syrkx_herkx_restricted_kernelIl19rocblas_complex_numIdELi16ELi32ELi8ELi1ELin1ELb1ELc67ELc85EKPKS1_KPS1_EviT_PT9_S7_lS9_S7_lPT10_S7_li
                                        ; -- End function
	.section	.AMDGPU.csdata,"",@progbits
; Kernel info:
; codeLenInByte = 3208
; NumSgprs: 22
; NumVgprs: 118
; ScratchSize: 0
; MemoryBound: 0
; FloatMode: 240
; IeeeMode: 1
; LDSByteSize: 8192 bytes/workgroup (compile time only)
; SGPRBlocks: 2
; VGPRBlocks: 14
; NumSGPRsForWavesPerEU: 22
; NumVGPRsForWavesPerEU: 118
; Occupancy: 12
; WaveLimiterHint : 1
; COMPUTE_PGM_RSRC2:SCRATCH_EN: 0
; COMPUTE_PGM_RSRC2:USER_SGPR: 13
; COMPUTE_PGM_RSRC2:TRAP_HANDLER: 0
; COMPUTE_PGM_RSRC2:TGID_X_EN: 1
; COMPUTE_PGM_RSRC2:TGID_Y_EN: 1
; COMPUTE_PGM_RSRC2:TGID_Z_EN: 1
; COMPUTE_PGM_RSRC2:TIDIG_COMP_CNT: 1
	.section	.text._ZL37rocblas_syrkx_herkx_restricted_kernelIl19rocblas_complex_numIdELi16ELi32ELi8ELi1ELin1ELb1ELc78ELc85EKPKS1_KPS1_EviT_PT9_S7_lS9_S7_lPT10_S7_li,"axG",@progbits,_ZL37rocblas_syrkx_herkx_restricted_kernelIl19rocblas_complex_numIdELi16ELi32ELi8ELi1ELin1ELb1ELc78ELc85EKPKS1_KPS1_EviT_PT9_S7_lS9_S7_lPT10_S7_li,comdat
	.globl	_ZL37rocblas_syrkx_herkx_restricted_kernelIl19rocblas_complex_numIdELi16ELi32ELi8ELi1ELin1ELb1ELc78ELc85EKPKS1_KPS1_EviT_PT9_S7_lS9_S7_lPT10_S7_li ; -- Begin function _ZL37rocblas_syrkx_herkx_restricted_kernelIl19rocblas_complex_numIdELi16ELi32ELi8ELi1ELin1ELb1ELc78ELc85EKPKS1_KPS1_EviT_PT9_S7_lS9_S7_lPT10_S7_li
	.p2align	8
	.type	_ZL37rocblas_syrkx_herkx_restricted_kernelIl19rocblas_complex_numIdELi16ELi32ELi8ELi1ELin1ELb1ELc78ELc85EKPKS1_KPS1_EviT_PT9_S7_lS9_S7_lPT10_S7_li,@function
_ZL37rocblas_syrkx_herkx_restricted_kernelIl19rocblas_complex_numIdELi16ELi32ELi8ELi1ELin1ELb1ELc78ELc85EKPKS1_KPS1_EviT_PT9_S7_lS9_S7_lPT10_S7_li: ; @_ZL37rocblas_syrkx_herkx_restricted_kernelIl19rocblas_complex_numIdELi16ELi32ELi8ELi1ELin1ELb1ELc78ELc85EKPKS1_KPS1_EviT_PT9_S7_lS9_S7_lPT10_S7_li
; %bb.0:
	s_clause 0x1
	s_load_b128 s[4:7], s[0:1], 0x40
	s_load_b128 s[8:11], s[0:1], 0x8
	s_mov_b32 s2, s15
	s_mov_b32 s3, 0
	v_mov_b32_e32 v16, 0
	s_lshl_b64 s[16:17], s[2:3], 3
	v_dual_mov_b32 v17, 0 :: v_dual_and_b32 v20, 0x3ff, v0
	v_bfe_u32 v21, v0, 10, 10
	s_delay_alu instid0(VALU_DEP_3) | instskip(NEXT) | instid1(VALU_DEP_3)
	v_mov_b32_e32 v12, v16
	v_dual_mov_b32 v14, v16 :: v_dual_mov_b32 v15, v17
	v_dual_mov_b32 v19, v17 :: v_dual_mov_b32 v18, v16
	;; [unrolled: 1-line block ×5, first 2 shown]
	v_mov_b32_e32 v7, v17
	s_waitcnt lgkmcnt(0)
	s_add_u32 s2, s4, s16
	s_addc_u32 s3, s5, s17
	v_cmp_lt_i64_e64 s4, s[8:9], 1
	s_load_b64 s[2:3], s[2:3], 0x0
	v_dual_mov_b32 v4, v16 :: v_dual_mov_b32 v5, v17
	s_lshl_b32 s18, s13, 5
	s_lshl_b32 s19, s14, 5
	s_delay_alu instid0(VALU_DEP_2)
	s_and_b32 vcc_lo, exec_lo, s4
	s_cbranch_vccnz .LBB1784_3
; %bb.1:
	v_lshl_add_u32 v1, v21, 4, v20
	s_clause 0x1
	s_load_b64 s[4:5], s[0:1], 0x18
	s_load_b128 s[12:15], s[0:1], 0x28
	v_and_b32_e32 v6, 7, v20
	s_add_u32 s10, s10, s16
	s_addc_u32 s11, s11, s17
	v_and_b32_e32 v14, 31, v1
	v_lshrrev_b32_e32 v15, 3, v1
	v_lshrrev_b32_e32 v16, 5, v1
	s_load_b64 s[10:11], s[10:11], 0x0
	v_lshl_add_u32 v23, v21, 7, 0x1000
	v_add_nc_u32_e32 v0, s18, v14
	v_add_nc_u32_e32 v2, s19, v15
	s_delay_alu instid0(VALU_DEP_2) | instskip(NEXT) | instid1(VALU_DEP_2)
	v_ashrrev_i32_e32 v1, 31, v0
	v_ashrrev_i32_e32 v3, 31, v2
	s_waitcnt lgkmcnt(0)
	s_delay_alu instid0(VALU_DEP_2) | instskip(NEXT) | instid1(VALU_DEP_2)
	v_mad_u64_u32 v[10:11], null, v16, s4, v[0:1]
	v_mad_u64_u32 v[0:1], null, v6, s14, v[2:3]
	s_add_u32 s12, s12, s16
	s_addc_u32 s13, s13, s17
	s_load_b64 s[12:13], s[12:13], 0x0
	s_delay_alu instid0(VALU_DEP_2) | instskip(NEXT) | instid1(VALU_DEP_1)
	v_mov_b32_e32 v2, v11
	v_mad_u64_u32 v[3:4], null, v16, s5, v[2:3]
	v_mov_b32_e32 v4, 0
	v_mov_b32_e32 v5, 0
	s_lshl_b64 s[4:5], s[4:5], 7
	s_delay_alu instid0(VALU_DEP_1)
	v_mov_b32_e32 v9, v5
	v_mad_u64_u32 v[12:13], null, v6, s15, v[1:2]
	v_lshlrev_b32_e32 v13, 4, v14
	v_lshlrev_b32_e32 v1, 4, v6
	v_dual_mov_b32 v11, v3 :: v_dual_lshlrev_b32 v22, 4, v20
	v_mov_b32_e32 v7, v5
	s_delay_alu instid0(VALU_DEP_4) | instskip(NEXT) | instid1(VALU_DEP_4)
	v_lshl_or_b32 v24, v16, 9, v13
	v_lshl_or_b32 v14, v15, 7, v1
	v_mov_b32_e32 v1, v12
	v_lshlrev_b64 v[2:3], 4, v[10:11]
	v_dual_mov_b32 v6, v4 :: v_dual_mov_b32 v11, v5
	s_delay_alu instid0(VALU_DEP_4) | instskip(NEXT) | instid1(VALU_DEP_4)
	v_dual_mov_b32 v8, v4 :: v_dual_add_nc_u32 v25, 0x1000, v14
	v_lshlrev_b64 v[0:1], 4, v[0:1]
	s_delay_alu instid0(VALU_DEP_4) | instskip(SKIP_3) | instid1(VALU_DEP_4)
	v_add_co_u32 v2, vcc_lo, v2, s10
	v_add_co_ci_u32_e32 v3, vcc_lo, s11, v3, vcc_lo
	v_dual_mov_b32 v10, v4 :: v_dual_mov_b32 v15, v5
	s_waitcnt lgkmcnt(0)
	v_add_co_u32 v12, vcc_lo, v0, s12
	v_add_co_ci_u32_e32 v13, vcc_lo, s13, v1, vcc_lo
	v_add_co_u32 v0, vcc_lo, v2, 8
	v_add_co_ci_u32_e32 v1, vcc_lo, 0, v3, vcc_lo
	s_delay_alu instid0(VALU_DEP_4) | instskip(NEXT) | instid1(VALU_DEP_4)
	v_add_co_u32 v2, vcc_lo, v12, 8
	v_add_co_ci_u32_e32 v3, vcc_lo, 0, v13, vcc_lo
	v_dual_mov_b32 v14, v4 :: v_dual_mov_b32 v13, v5
	v_dual_mov_b32 v12, v4 :: v_dual_mov_b32 v19, v5
	;; [unrolled: 1-line block ×3, first 2 shown]
	v_mov_b32_e32 v16, v4
	s_lshl_b64 s[10:11], s[14:15], 7
	s_mov_b64 s[12:13], 0
.LBB1784_2:                             ; =>This Inner Loop Header: Depth=1
	global_load_b128 v[26:29], v[2:3], off offset:-8
	global_load_b128 v[30:33], v[0:1], off offset:-8
	s_add_u32 s12, s12, 8
	v_add_co_u32 v0, vcc_lo, v0, s4
	s_addc_u32 s13, s13, 0
	v_add_co_ci_u32_e32 v1, vcc_lo, s5, v1, vcc_lo
	v_cmp_ge_u64_e64 s14, s[12:13], s[8:9]
	v_add_co_u32 v2, vcc_lo, v2, s10
	v_add_co_ci_u32_e32 v3, vcc_lo, s11, v3, vcc_lo
	s_delay_alu instid0(VALU_DEP_3)
	s_and_b32 vcc_lo, exec_lo, s14
	s_waitcnt vmcnt(1)
	v_xor_b32_e32 v29, 0x80000000, v29
	s_waitcnt vmcnt(0)
	ds_store_b128 v24, v[30:33]
	ds_store_b128 v25, v[26:29]
	s_waitcnt lgkmcnt(0)
	s_barrier
	buffer_gl0_inv
	ds_load_b128 v[26:29], v23
	ds_load_b128 v[30:33], v22
	ds_load_b128 v[34:37], v22 offset:256
	ds_load_b128 v[38:41], v23 offset:2048
	;; [unrolled: 1-line block ×13, first 2 shown]
	s_waitcnt lgkmcnt(13)
	v_mul_f64 v[86:87], v[28:29], v[32:33]
	v_mul_f64 v[88:89], v[26:27], v[32:33]
	s_waitcnt lgkmcnt(12)
	v_mul_f64 v[90:91], v[28:29], v[36:37]
	v_mul_f64 v[92:93], v[26:27], v[36:37]
	;; [unrolled: 3-line block ×3, first 2 shown]
	v_mul_f64 v[96:97], v[40:41], v[36:37]
	v_mul_f64 v[36:37], v[38:39], v[36:37]
	s_waitcnt lgkmcnt(8)
	v_mul_f64 v[98:99], v[44:45], v[52:53]
	v_mul_f64 v[100:101], v[42:43], v[52:53]
	s_waitcnt lgkmcnt(7)
	v_mul_f64 v[102:103], v[44:45], v[56:57]
	v_mul_f64 v[104:105], v[42:43], v[56:57]
	;; [unrolled: 1-line block ×6, first 2 shown]
	s_waitcnt lgkmcnt(3)
	v_mul_f64 v[112:113], v[58:59], v[72:73]
	s_waitcnt lgkmcnt(2)
	v_mul_f64 v[114:115], v[76:77], v[68:69]
	v_mul_f64 v[116:117], v[76:77], v[72:73]
	v_fma_f64 v[86:87], v[26:27], v[30:31], -v[86:87]
	v_fma_f64 v[88:89], v[28:29], v[30:31], v[88:89]
	v_fma_f64 v[90:91], v[26:27], v[34:35], -v[90:91]
	v_fma_f64 v[92:93], v[28:29], v[34:35], v[92:93]
	;; [unrolled: 2-line block ×4, first 2 shown]
	v_mul_f64 v[36:37], v[60:61], v[68:69]
	v_mul_f64 v[40:41], v[58:59], v[68:69]
	v_mul_f64 v[96:97], v[60:61], v[72:73]
	v_mul_f64 v[68:69], v[74:75], v[68:69]
	v_mul_f64 v[72:73], v[74:75], v[72:73]
	v_fma_f64 v[98:99], v[42:43], v[50:51], -v[98:99]
	v_fma_f64 v[100:101], v[44:45], v[50:51], v[100:101]
	v_fma_f64 v[42:43], v[42:43], v[54:55], -v[102:103]
	v_fma_f64 v[44:45], v[44:45], v[54:55], v[104:105]
	;; [unrolled: 2-line block ×4, first 2 shown]
	ds_load_b128 v[26:29], v22 offset:1792
	ds_load_b128 v[30:33], v22 offset:2048
	s_waitcnt lgkmcnt(2)
	v_mul_f64 v[56:57], v[64:65], v[84:85]
	v_add_f64 v[16:17], v[16:17], v[86:87]
	v_add_f64 v[18:19], v[18:19], v[88:89]
	;; [unrolled: 1-line block ×8, first 2 shown]
	v_mul_f64 v[86:87], v[62:63], v[84:85]
	s_waitcnt lgkmcnt(1)
	v_mul_f64 v[88:89], v[64:65], v[28:29]
	v_mul_f64 v[90:91], v[62:63], v[28:29]
	;; [unrolled: 1-line block ×6, first 2 shown]
	v_fma_f64 v[104:105], v[58:59], v[66:67], -v[36:37]
	v_fma_f64 v[106:107], v[60:61], v[66:67], v[40:41]
	v_fma_f64 v[58:59], v[58:59], v[70:71], -v[96:97]
	v_fma_f64 v[60:61], v[60:61], v[70:71], v[112:113]
	;; [unrolled: 2-line block ×4, first 2 shown]
	ds_load_b128 v[4:7], v22 offset:2304
	ds_load_b128 v[8:11], v23 offset:64
	v_fma_f64 v[56:57], v[62:63], v[82:83], -v[56:57]
	v_add_f64 v[72:73], v[16:17], v[98:99]
	v_add_f64 v[74:75], v[18:19], v[100:101]
	v_add_f64 v[42:43], v[12:13], v[42:43]
	v_add_f64 v[44:45], v[14:15], v[44:45]
	v_add_f64 v[52:53], v[52:53], v[102:103]
	v_add_f64 v[50:51], v[54:55], v[50:51]
	v_add_f64 v[46:47], v[38:39], v[46:47]
	v_add_f64 v[48:49], v[34:35], v[48:49]
	ds_load_b128 v[12:15], v23 offset:2112
	ds_load_b128 v[16:19], v23 offset:80
	ds_load_b128 v[34:37], v23 offset:2128
	ds_load_b128 v[38:41], v22 offset:2560
	s_waitcnt lgkmcnt(4)
	v_mul_f64 v[54:55], v[10:11], v[32:33]
	v_mul_f64 v[76:77], v[8:9], v[32:33]
	;; [unrolled: 1-line block ×4, first 2 shown]
	v_fma_f64 v[86:87], v[64:65], v[82:83], v[86:87]
	v_fma_f64 v[62:63], v[62:63], v[26:27], -v[88:89]
	v_fma_f64 v[64:65], v[64:65], v[26:27], v[90:91]
	v_fma_f64 v[88:89], v[78:79], v[82:83], -v[92:93]
	;; [unrolled: 2-line block ×3, first 2 shown]
	v_fma_f64 v[80:81], v[80:81], v[26:27], v[28:29]
	s_waitcnt lgkmcnt(3)
	v_mul_f64 v[102:103], v[14:15], v[32:33]
	v_mul_f64 v[32:33], v[12:13], v[32:33]
	v_mul_f64 v[108:109], v[14:15], v[6:7]
	v_mul_f64 v[6:7], v[12:13], v[6:7]
	s_waitcnt lgkmcnt(0)
	v_mul_f64 v[90:91], v[18:19], v[40:41]
	v_mul_f64 v[92:93], v[16:17], v[40:41]
	v_add_f64 v[72:73], v[72:73], v[104:105]
	v_add_f64 v[74:75], v[74:75], v[106:107]
	;; [unrolled: 1-line block ×8, first 2 shown]
	ds_load_b128 v[26:29], v22 offset:2816
	ds_load_b128 v[42:45], v22 offset:3072
	;; [unrolled: 1-line block ×4, first 2 shown]
	v_mul_f64 v[104:105], v[36:37], v[40:41]
	v_mul_f64 v[40:41], v[34:35], v[40:41]
	v_fma_f64 v[54:55], v[8:9], v[30:31], -v[54:55]
	v_fma_f64 v[76:77], v[10:11], v[30:31], v[76:77]
	v_fma_f64 v[98:99], v[8:9], v[4:5], -v[98:99]
	v_fma_f64 v[100:101], v[10:11], v[4:5], v[100:101]
	s_waitcnt lgkmcnt(3)
	v_mul_f64 v[94:95], v[18:19], v[28:29]
	v_mul_f64 v[96:97], v[16:17], v[28:29]
	;; [unrolled: 1-line block ×4, first 2 shown]
	v_fma_f64 v[102:103], v[12:13], v[30:31], -v[102:103]
	v_fma_f64 v[32:33], v[14:15], v[30:31], v[32:33]
	v_fma_f64 v[108:109], v[12:13], v[4:5], -v[108:109]
	v_fma_f64 v[112:113], v[14:15], v[4:5], v[6:7]
	ds_load_b128 v[4:7], v23 offset:2144
	ds_load_b128 v[8:11], v23 offset:112
	;; [unrolled: 1-line block ×4, first 2 shown]
	v_add_f64 v[56:57], v[72:73], v[56:57]
	v_add_f64 v[72:73], v[74:75], v[86:87]
	;; [unrolled: 1-line block ×8, first 2 shown]
	s_waitcnt lgkmcnt(4)
	v_mul_f64 v[70:71], v[52:53], v[44:45]
	v_mul_f64 v[74:75], v[50:51], v[44:45]
	v_mul_f64 v[78:79], v[52:53], v[48:49]
	v_mul_f64 v[80:81], v[50:51], v[48:49]
	s_waitcnt lgkmcnt(3)
	v_mul_f64 v[82:83], v[6:7], v[44:45]
	v_mul_f64 v[44:45], v[4:5], v[44:45]
	;; [unrolled: 1-line block ×4, first 2 shown]
	v_fma_f64 v[86:87], v[16:17], v[38:39], -v[90:91]
	v_fma_f64 v[88:89], v[18:19], v[38:39], v[92:93]
	v_fma_f64 v[90:91], v[16:17], v[26:27], -v[94:95]
	v_fma_f64 v[92:93], v[18:19], v[26:27], v[96:97]
	;; [unrolled: 2-line block ×4, first 2 shown]
	ds_load_b128 v[16:19], v22 offset:3840
	s_waitcnt lgkmcnt(0)
	s_barrier
	buffer_gl0_inv
	v_add_f64 v[36:37], v[56:57], v[54:55]
	v_add_f64 v[40:41], v[72:73], v[76:77]
	;; [unrolled: 1-line block ×8, first 2 shown]
	v_mul_f64 v[64:65], v[10:11], v[30:31]
	v_mul_f64 v[66:67], v[8:9], v[30:31]
	;; [unrolled: 1-line block ×4, first 2 shown]
	v_fma_f64 v[70:71], v[50:51], v[42:43], -v[70:71]
	v_mul_f64 v[68:69], v[10:11], v[18:19]
	v_mul_f64 v[72:73], v[8:9], v[18:19]
	;; [unrolled: 1-line block ×4, first 2 shown]
	v_fma_f64 v[74:75], v[52:53], v[42:43], v[74:75]
	v_fma_f64 v[50:51], v[50:51], v[46:47], -v[78:79]
	v_fma_f64 v[52:53], v[52:53], v[46:47], v[80:81]
	v_fma_f64 v[78:79], v[4:5], v[42:43], -v[82:83]
	;; [unrolled: 2-line block ×3, first 2 shown]
	v_fma_f64 v[6:7], v[6:7], v[46:47], v[48:49]
	v_add_f64 v[36:37], v[36:37], v[86:87]
	v_add_f64 v[40:41], v[40:41], v[88:89]
	;; [unrolled: 1-line block ×8, first 2 shown]
	v_fma_f64 v[38:39], v[8:9], v[28:29], -v[64:65]
	v_fma_f64 v[54:55], v[10:11], v[28:29], v[66:67]
	v_fma_f64 v[56:57], v[12:13], v[28:29], -v[76:77]
	v_fma_f64 v[28:29], v[14:15], v[28:29], v[30:31]
	;; [unrolled: 2-line block ×4, first 2 shown]
	v_add_f64 v[12:13], v[36:37], v[70:71]
	v_add_f64 v[14:15], v[40:41], v[74:75]
	;; [unrolled: 1-line block ×16, first 2 shown]
	s_cbranch_vccz .LBB1784_2
.LBB1784_3:
	v_add_nc_u32_e32 v21, s19, v21
	s_load_b32 s4, s[0:1], 0x0
	s_delay_alu instid0(VALU_DEP_1) | instskip(SKIP_2) | instid1(VALU_DEP_3)
	v_ashrrev_i32_e32 v0, 31, v21
	v_mul_lo_u32 v3, v21, s7
	v_mad_u64_u32 v[1:2], null, v21, s6, 0
	v_mul_lo_u32 v0, v0, s6
	s_delay_alu instid0(VALU_DEP_1) | instskip(SKIP_3) | instid1(VALU_DEP_3)
	v_add3_u32 v2, v2, v3, v0
	v_add_nc_u32_e32 v0, s18, v20
	s_waitcnt lgkmcnt(0)
	v_cmp_gt_i32_e32 vcc_lo, s4, v21
	v_lshlrev_b64 v[1:2], 4, v[1:2]
	s_delay_alu instid0(VALU_DEP_3) | instskip(NEXT) | instid1(VALU_DEP_1)
	v_cmp_le_i32_e64 s0, v0, v21
	s_and_b32 s0, vcc_lo, s0
	s_delay_alu instid0(VALU_DEP_2) | instskip(NEXT) | instid1(VALU_DEP_1)
	v_add_co_u32 v20, s1, s2, v1
	v_add_co_ci_u32_e64 v22, s1, s3, v2, s1
	s_and_saveexec_b32 s1, s0
	s_cbranch_execz .LBB1784_5
; %bb.4:
	v_ashrrev_i32_e32 v1, 31, v0
	s_delay_alu instid0(VALU_DEP_1) | instskip(NEXT) | instid1(VALU_DEP_1)
	v_lshlrev_b64 v[1:2], 4, v[0:1]
	v_add_co_u32 v1, s0, v20, v1
	s_delay_alu instid0(VALU_DEP_1)
	v_add_co_ci_u32_e64 v2, s0, v22, v2, s0
	v_cmp_ne_u32_e64 s0, v21, v0
	global_load_b128 v[23:26], v[1:2], off
	s_waitcnt vmcnt(0)
	v_add_f64 v[18:19], v[18:19], -v[25:26]
	v_add_f64 v[16:17], v[16:17], -v[23:24]
	s_delay_alu instid0(VALU_DEP_2) | instskip(NEXT) | instid1(VALU_DEP_3)
	v_cndmask_b32_e64 v19, 0, v19, s0
	v_cndmask_b32_e64 v18, 0, v18, s0
	global_store_b128 v[1:2], v[16:19], off
.LBB1784_5:
	s_or_b32 exec_lo, exec_lo, s1
	v_add_nc_u32_e32 v2, 16, v0
	s_delay_alu instid0(VALU_DEP_1) | instskip(NEXT) | instid1(VALU_DEP_1)
	v_cmp_le_i32_e64 s0, v2, v21
	s_and_b32 s1, vcc_lo, s0
	s_delay_alu instid0(SALU_CYCLE_1)
	s_and_saveexec_b32 s0, s1
	s_cbranch_execz .LBB1784_7
; %bb.6:
	v_ashrrev_i32_e32 v3, 31, v2
	s_delay_alu instid0(VALU_DEP_1) | instskip(NEXT) | instid1(VALU_DEP_1)
	v_lshlrev_b64 v[16:17], 4, v[2:3]
	v_add_co_u32 v23, vcc_lo, v20, v16
	s_delay_alu instid0(VALU_DEP_2)
	v_add_co_ci_u32_e32 v24, vcc_lo, v22, v17, vcc_lo
	v_cmp_ne_u32_e32 vcc_lo, v21, v2
	global_load_b128 v[16:19], v[23:24], off
	s_waitcnt vmcnt(0)
	v_add_f64 v[14:15], v[14:15], -v[18:19]
	v_add_f64 v[12:13], v[12:13], -v[16:17]
	s_delay_alu instid0(VALU_DEP_2)
	v_dual_cndmask_b32 v15, 0, v15 :: v_dual_cndmask_b32 v14, 0, v14
	global_store_b128 v[23:24], v[12:15], off
.LBB1784_7:
	s_or_b32 exec_lo, exec_lo, s0
	v_add_nc_u32_e32 v3, 16, v21
	s_delay_alu instid0(VALU_DEP_1) | instskip(SKIP_3) | instid1(VALU_DEP_4)
	v_ashrrev_i32_e32 v1, 31, v3
	v_mul_lo_u32 v14, v3, s7
	v_mad_u64_u32 v[12:13], null, v3, s6, 0
	v_cmp_gt_i32_e32 vcc_lo, s4, v3
	v_mul_lo_u32 v1, v1, s6
	v_cmp_le_i32_e64 s0, v0, v3
	s_delay_alu instid0(VALU_DEP_1) | instskip(NEXT) | instid1(VALU_DEP_2)
	s_and_b32 s0, vcc_lo, s0
	v_add3_u32 v13, v13, v14, v1
	s_delay_alu instid0(VALU_DEP_1) | instskip(NEXT) | instid1(VALU_DEP_1)
	v_lshlrev_b64 v[12:13], 4, v[12:13]
	v_add_co_u32 v12, s1, s2, v12
	s_delay_alu instid0(VALU_DEP_1)
	v_add_co_ci_u32_e64 v13, s1, s3, v13, s1
	s_and_saveexec_b32 s1, s0
	s_cbranch_execz .LBB1784_9
; %bb.8:
	v_ashrrev_i32_e32 v1, 31, v0
	s_delay_alu instid0(VALU_DEP_1) | instskip(NEXT) | instid1(VALU_DEP_1)
	v_lshlrev_b64 v[14:15], 4, v[0:1]
	v_add_co_u32 v18, s0, v12, v14
	s_delay_alu instid0(VALU_DEP_1)
	v_add_co_ci_u32_e64 v19, s0, v13, v15, s0
	v_cmp_ne_u32_e64 s0, v3, v0
	global_load_b128 v[14:17], v[18:19], off
	s_waitcnt vmcnt(0)
	v_add_f64 v[16:17], v[8:9], -v[16:17]
	v_add_f64 v[8:9], v[10:11], -v[14:15]
	s_delay_alu instid0(VALU_DEP_2) | instskip(NEXT) | instid1(VALU_DEP_3)
	v_cndmask_b32_e64 v11, 0, v17, s0
	v_cndmask_b32_e64 v10, 0, v16, s0
	global_store_b128 v[18:19], v[8:11], off
.LBB1784_9:
	s_or_b32 exec_lo, exec_lo, s1
	v_cmp_le_i32_e64 s0, v2, v3
	s_delay_alu instid0(VALU_DEP_1) | instskip(NEXT) | instid1(SALU_CYCLE_1)
	s_and_b32 s0, vcc_lo, s0
	s_and_saveexec_b32 s1, s0
	s_cbranch_execz .LBB1784_11
; %bb.10:
	v_ashrrev_i32_e32 v3, 31, v2
	s_delay_alu instid0(VALU_DEP_1) | instskip(NEXT) | instid1(VALU_DEP_1)
	v_lshlrev_b64 v[1:2], 4, v[2:3]
	v_add_co_u32 v12, vcc_lo, v12, v1
	s_delay_alu instid0(VALU_DEP_2)
	v_add_co_ci_u32_e32 v13, vcc_lo, v13, v2, vcc_lo
	v_cmp_ne_u32_e32 vcc_lo, v21, v0
	global_load_b128 v[8:11], v[12:13], off
	s_waitcnt vmcnt(0)
	v_add_f64 v[3:4], v[4:5], -v[10:11]
	v_add_f64 v[1:2], v[6:7], -v[8:9]
	s_delay_alu instid0(VALU_DEP_2)
	v_dual_cndmask_b32 v4, 0, v4 :: v_dual_cndmask_b32 v3, 0, v3
	global_store_b128 v[12:13], v[1:4], off
.LBB1784_11:
	s_nop 0
	s_sendmsg sendmsg(MSG_DEALLOC_VGPRS)
	s_endpgm
	.section	.rodata,"a",@progbits
	.p2align	6, 0x0
	.amdhsa_kernel _ZL37rocblas_syrkx_herkx_restricted_kernelIl19rocblas_complex_numIdELi16ELi32ELi8ELi1ELin1ELb1ELc78ELc85EKPKS1_KPS1_EviT_PT9_S7_lS9_S7_lPT10_S7_li
		.amdhsa_group_segment_fixed_size 8192
		.amdhsa_private_segment_fixed_size 0
		.amdhsa_kernarg_size 92
		.amdhsa_user_sgpr_count 13
		.amdhsa_user_sgpr_dispatch_ptr 0
		.amdhsa_user_sgpr_queue_ptr 0
		.amdhsa_user_sgpr_kernarg_segment_ptr 1
		.amdhsa_user_sgpr_dispatch_id 0
		.amdhsa_user_sgpr_private_segment_size 0
		.amdhsa_wavefront_size32 1
		.amdhsa_uses_dynamic_stack 0
		.amdhsa_enable_private_segment 0
		.amdhsa_system_sgpr_workgroup_id_x 1
		.amdhsa_system_sgpr_workgroup_id_y 1
		.amdhsa_system_sgpr_workgroup_id_z 1
		.amdhsa_system_sgpr_workgroup_info 0
		.amdhsa_system_vgpr_workitem_id 1
		.amdhsa_next_free_vgpr 118
		.amdhsa_next_free_sgpr 20
		.amdhsa_reserve_vcc 1
		.amdhsa_float_round_mode_32 0
		.amdhsa_float_round_mode_16_64 0
		.amdhsa_float_denorm_mode_32 3
		.amdhsa_float_denorm_mode_16_64 3
		.amdhsa_dx10_clamp 1
		.amdhsa_ieee_mode 1
		.amdhsa_fp16_overflow 0
		.amdhsa_workgroup_processor_mode 1
		.amdhsa_memory_ordered 1
		.amdhsa_forward_progress 0
		.amdhsa_shared_vgpr_count 0
		.amdhsa_exception_fp_ieee_invalid_op 0
		.amdhsa_exception_fp_denorm_src 0
		.amdhsa_exception_fp_ieee_div_zero 0
		.amdhsa_exception_fp_ieee_overflow 0
		.amdhsa_exception_fp_ieee_underflow 0
		.amdhsa_exception_fp_ieee_inexact 0
		.amdhsa_exception_int_div_zero 0
	.end_amdhsa_kernel
	.section	.text._ZL37rocblas_syrkx_herkx_restricted_kernelIl19rocblas_complex_numIdELi16ELi32ELi8ELi1ELin1ELb1ELc78ELc85EKPKS1_KPS1_EviT_PT9_S7_lS9_S7_lPT10_S7_li,"axG",@progbits,_ZL37rocblas_syrkx_herkx_restricted_kernelIl19rocblas_complex_numIdELi16ELi32ELi8ELi1ELin1ELb1ELc78ELc85EKPKS1_KPS1_EviT_PT9_S7_lS9_S7_lPT10_S7_li,comdat
.Lfunc_end1784:
	.size	_ZL37rocblas_syrkx_herkx_restricted_kernelIl19rocblas_complex_numIdELi16ELi32ELi8ELi1ELin1ELb1ELc78ELc85EKPKS1_KPS1_EviT_PT9_S7_lS9_S7_lPT10_S7_li, .Lfunc_end1784-_ZL37rocblas_syrkx_herkx_restricted_kernelIl19rocblas_complex_numIdELi16ELi32ELi8ELi1ELin1ELb1ELc78ELc85EKPKS1_KPS1_EviT_PT9_S7_lS9_S7_lPT10_S7_li
                                        ; -- End function
	.section	.AMDGPU.csdata,"",@progbits
; Kernel info:
; codeLenInByte = 3184
; NumSgprs: 22
; NumVgprs: 118
; ScratchSize: 0
; MemoryBound: 0
; FloatMode: 240
; IeeeMode: 1
; LDSByteSize: 8192 bytes/workgroup (compile time only)
; SGPRBlocks: 2
; VGPRBlocks: 14
; NumSGPRsForWavesPerEU: 22
; NumVGPRsForWavesPerEU: 118
; Occupancy: 12
; WaveLimiterHint : 1
; COMPUTE_PGM_RSRC2:SCRATCH_EN: 0
; COMPUTE_PGM_RSRC2:USER_SGPR: 13
; COMPUTE_PGM_RSRC2:TRAP_HANDLER: 0
; COMPUTE_PGM_RSRC2:TGID_X_EN: 1
; COMPUTE_PGM_RSRC2:TGID_Y_EN: 1
; COMPUTE_PGM_RSRC2:TGID_Z_EN: 1
; COMPUTE_PGM_RSRC2:TIDIG_COMP_CNT: 1
	.section	.text._ZL37rocblas_syrkx_herkx_restricted_kernelIl19rocblas_complex_numIdELi16ELi32ELi8ELi1ELi0ELb1ELc84ELc76EKPKS1_KPS1_EviT_PT9_S7_lS9_S7_lPT10_S7_li,"axG",@progbits,_ZL37rocblas_syrkx_herkx_restricted_kernelIl19rocblas_complex_numIdELi16ELi32ELi8ELi1ELi0ELb1ELc84ELc76EKPKS1_KPS1_EviT_PT9_S7_lS9_S7_lPT10_S7_li,comdat
	.globl	_ZL37rocblas_syrkx_herkx_restricted_kernelIl19rocblas_complex_numIdELi16ELi32ELi8ELi1ELi0ELb1ELc84ELc76EKPKS1_KPS1_EviT_PT9_S7_lS9_S7_lPT10_S7_li ; -- Begin function _ZL37rocblas_syrkx_herkx_restricted_kernelIl19rocblas_complex_numIdELi16ELi32ELi8ELi1ELi0ELb1ELc84ELc76EKPKS1_KPS1_EviT_PT9_S7_lS9_S7_lPT10_S7_li
	.p2align	8
	.type	_ZL37rocblas_syrkx_herkx_restricted_kernelIl19rocblas_complex_numIdELi16ELi32ELi8ELi1ELi0ELb1ELc84ELc76EKPKS1_KPS1_EviT_PT9_S7_lS9_S7_lPT10_S7_li,@function
_ZL37rocblas_syrkx_herkx_restricted_kernelIl19rocblas_complex_numIdELi16ELi32ELi8ELi1ELi0ELb1ELc84ELc76EKPKS1_KPS1_EviT_PT9_S7_lS9_S7_lPT10_S7_li: ; @_ZL37rocblas_syrkx_herkx_restricted_kernelIl19rocblas_complex_numIdELi16ELi32ELi8ELi1ELi0ELb1ELc84ELc76EKPKS1_KPS1_EviT_PT9_S7_lS9_S7_lPT10_S7_li
; %bb.0:
	s_clause 0x1
	s_load_b128 s[4:7], s[0:1], 0x40
	s_load_b128 s[8:11], s[0:1], 0x8
	s_mov_b32 s2, s15
	s_mov_b32 s3, 0
	v_mov_b32_e32 v6, 0
	s_lshl_b64 s[2:3], s[2:3], 3
	v_dual_mov_b32 v7, 0 :: v_dual_and_b32 v20, 0x3ff, v0
	v_bfe_u32 v21, v0, 10, 10
	s_delay_alu instid0(VALU_DEP_3) | instskip(NEXT) | instid1(VALU_DEP_3)
	v_mov_b32_e32 v4, v6
	v_dual_mov_b32 v2, v6 :: v_dual_mov_b32 v3, v7
	v_dual_mov_b32 v19, v7 :: v_dual_mov_b32 v18, v6
	v_mov_b32_e32 v5, v7
	v_dual_mov_b32 v17, v7 :: v_dual_mov_b32 v16, v6
	v_dual_mov_b32 v15, v7 :: v_dual_mov_b32 v14, v6
	;; [unrolled: 1-line block ×3, first 2 shown]
	s_waitcnt lgkmcnt(0)
	s_add_u32 s4, s4, s2
	s_addc_u32 s5, s5, s3
	v_cmp_lt_i64_e64 s12, s[8:9], 1
	s_load_b64 s[4:5], s[4:5], 0x0
	v_dual_mov_b32 v13, v7 :: v_dual_mov_b32 v12, v6
	s_lshl_b32 s16, s13, 5
	s_lshl_b32 s17, s14, 5
	s_delay_alu instid0(VALU_DEP_2)
	s_and_b32 vcc_lo, exec_lo, s12
	s_cbranch_vccnz .LBB1785_3
; %bb.1:
	s_clause 0x1
	s_load_b128 s[12:15], s[0:1], 0x28
	s_load_b64 s[18:19], s[0:1], 0x18
	v_lshl_add_u32 v2, v21, 4, v20
	v_dual_mov_b32 v1, 0 :: v_dual_and_b32 v0, 7, v20
	s_add_u32 s10, s10, s2
	s_addc_u32 s11, s11, s3
	s_delay_alu instid0(VALU_DEP_2)
	v_lshrrev_b32_e32 v8, 3, v2
	v_and_b32_e32 v9, 31, v2
	v_lshrrev_b32_e32 v2, 5, v2
	v_mov_b32_e32 v3, v1
	s_load_b64 s[10:11], s[10:11], 0x0
	v_add_nc_u32_e32 v10, s17, v8
	v_add_nc_u32_e32 v6, s16, v9
	v_lshl_add_u32 v23, v21, 7, 0x1000
	s_delay_alu instid0(VALU_DEP_3) | instskip(NEXT) | instid1(VALU_DEP_3)
	v_ashrrev_i32_e32 v4, 31, v10
	v_ashrrev_i32_e32 v5, 31, v6
	s_waitcnt lgkmcnt(0)
	s_add_u32 s2, s12, s2
	v_mul_lo_u32 v13, v10, s15
	v_mul_lo_u32 v11, v4, s14
	v_mul_lo_u32 v12, s18, v5
	v_mad_u64_u32 v[4:5], null, s18, v6, v[2:3]
	v_mul_lo_u32 v3, s19, v6
	v_mad_u64_u32 v[6:7], null, v10, s14, v[0:1]
	s_addc_u32 s3, s13, s3
	s_load_b64 s[2:3], s[2:3], 0x0
	s_delay_alu instid0(VALU_DEP_2) | instskip(NEXT) | instid1(VALU_DEP_2)
	v_add3_u32 v5, v3, v5, v12
	v_add3_u32 v7, v11, v7, v13
	v_mov_b32_e32 v12, 0
	v_dual_mov_b32 v13, 0 :: v_dual_lshlrev_b32 v0, 4, v0
	v_lshlrev_b32_e32 v3, 4, v9
	s_delay_alu instid0(VALU_DEP_2) | instskip(NEXT) | instid1(VALU_DEP_3)
	v_dual_mov_b32 v15, v13 :: v_dual_lshlrev_b32 v22, 4, v20
	v_lshl_or_b32 v8, v8, 7, v0
	v_lshlrev_b64 v[0:1], 4, v[4:5]
	s_delay_alu instid0(VALU_DEP_4) | instskip(SKIP_1) | instid1(VALU_DEP_4)
	v_lshl_or_b32 v24, v2, 9, v3
	v_lshlrev_b64 v[2:3], 4, v[6:7]
	v_dual_mov_b32 v14, v12 :: v_dual_add_nc_u32 v25, 0x1000, v8
	v_dual_mov_b32 v17, v13 :: v_dual_mov_b32 v16, v12
	v_add_co_u32 v0, vcc_lo, v0, s10
	v_add_co_ci_u32_e32 v1, vcc_lo, s11, v1, vcc_lo
	s_waitcnt lgkmcnt(0)
	v_add_co_u32 v2, vcc_lo, v2, s2
	v_add_co_ci_u32_e32 v3, vcc_lo, s3, v3, vcc_lo
	v_add_co_u32 v8, vcc_lo, v0, 8
	v_add_co_ci_u32_e32 v9, vcc_lo, 0, v1, vcc_lo
	s_delay_alu instid0(VALU_DEP_4)
	v_add_co_u32 v10, vcc_lo, v2, 8
	v_mov_b32_e32 v0, v12
	v_add_co_ci_u32_e32 v11, vcc_lo, 0, v3, vcc_lo
	v_dual_mov_b32 v1, v13 :: v_dual_mov_b32 v2, v12
	v_dual_mov_b32 v3, v13 :: v_dual_mov_b32 v4, v12
	v_mov_b32_e32 v5, v13
	v_dual_mov_b32 v19, v13 :: v_dual_mov_b32 v18, v12
	v_dual_mov_b32 v6, v12 :: v_dual_mov_b32 v7, v13
	s_mov_b64 s[2:3], 0
.LBB1785_2:                             ; =>This Inner Loop Header: Depth=1
	global_load_b128 v[26:29], v[8:9], off offset:-8
	global_load_b128 v[30:33], v[10:11], off offset:-8
	s_add_u32 s2, s2, 8
	v_add_co_u32 v8, vcc_lo, 0x80, v8
	s_addc_u32 s3, s3, 0
	v_add_co_ci_u32_e32 v9, vcc_lo, 0, v9, vcc_lo
	v_cmp_ge_u64_e64 s10, s[2:3], s[8:9]
	v_add_co_u32 v10, vcc_lo, 0x80, v10
	v_add_co_ci_u32_e32 v11, vcc_lo, 0, v11, vcc_lo
	s_waitcnt vmcnt(1)
	ds_store_b128 v24, v[26:29]
	s_waitcnt vmcnt(0)
	ds_store_b128 v25, v[30:33]
	s_waitcnt lgkmcnt(0)
	s_barrier
	buffer_gl0_inv
	ds_load_b128 v[26:29], v23
	ds_load_b128 v[30:33], v22
	ds_load_b128 v[34:37], v22 offset:256
	ds_load_b128 v[38:41], v23 offset:2048
	ds_load_b128 v[42:45], v23 offset:16
	ds_load_b128 v[46:49], v23 offset:2064
	ds_load_b128 v[50:53], v22 offset:512
	ds_load_b128 v[54:57], v22 offset:768
	ds_load_b128 v[58:61], v23 offset:32
	ds_load_b128 v[62:65], v23 offset:48
	ds_load_b128 v[66:69], v22 offset:1024
	ds_load_b128 v[70:73], v22 offset:1280
	ds_load_b128 v[74:77], v23 offset:2080
	ds_load_b128 v[78:81], v23 offset:2096
	ds_load_b128 v[82:85], v22 offset:1536
	s_and_b32 vcc_lo, exec_lo, s10
	s_waitcnt lgkmcnt(13)
	v_mul_f64 v[86:87], v[28:29], v[32:33]
	v_mul_f64 v[88:89], v[26:27], v[32:33]
	s_waitcnt lgkmcnt(12)
	v_mul_f64 v[90:91], v[28:29], v[36:37]
	v_mul_f64 v[92:93], v[26:27], v[36:37]
	;; [unrolled: 3-line block ×3, first 2 shown]
	v_mul_f64 v[96:97], v[40:41], v[36:37]
	v_mul_f64 v[36:37], v[38:39], v[36:37]
	s_waitcnt lgkmcnt(8)
	v_mul_f64 v[98:99], v[44:45], v[52:53]
	v_mul_f64 v[100:101], v[42:43], v[52:53]
	s_waitcnt lgkmcnt(7)
	v_mul_f64 v[102:103], v[44:45], v[56:57]
	v_mul_f64 v[104:105], v[42:43], v[56:57]
	;; [unrolled: 1-line block ×6, first 2 shown]
	s_waitcnt lgkmcnt(3)
	v_mul_f64 v[112:113], v[58:59], v[72:73]
	s_waitcnt lgkmcnt(2)
	v_mul_f64 v[114:115], v[76:77], v[68:69]
	v_mul_f64 v[116:117], v[76:77], v[72:73]
	v_fma_f64 v[86:87], v[26:27], v[30:31], -v[86:87]
	v_fma_f64 v[88:89], v[28:29], v[30:31], v[88:89]
	v_fma_f64 v[90:91], v[26:27], v[34:35], -v[90:91]
	v_fma_f64 v[92:93], v[28:29], v[34:35], v[92:93]
	;; [unrolled: 2-line block ×4, first 2 shown]
	v_mul_f64 v[36:37], v[60:61], v[68:69]
	v_mul_f64 v[40:41], v[58:59], v[68:69]
	;; [unrolled: 1-line block ×5, first 2 shown]
	v_fma_f64 v[98:99], v[42:43], v[50:51], -v[98:99]
	v_fma_f64 v[100:101], v[44:45], v[50:51], v[100:101]
	v_fma_f64 v[42:43], v[42:43], v[54:55], -v[102:103]
	v_fma_f64 v[44:45], v[44:45], v[54:55], v[104:105]
	;; [unrolled: 2-line block ×4, first 2 shown]
	ds_load_b128 v[26:29], v22 offset:1792
	ds_load_b128 v[30:33], v22 offset:2048
	v_add_f64 v[52:53], v[6:7], v[86:87]
	v_add_f64 v[18:19], v[18:19], v[88:89]
	;; [unrolled: 1-line block ×8, first 2 shown]
	s_waitcnt lgkmcnt(2)
	v_mul_f64 v[86:87], v[64:65], v[84:85]
	v_mul_f64 v[88:89], v[62:63], v[84:85]
	s_waitcnt lgkmcnt(1)
	v_mul_f64 v[90:91], v[64:65], v[28:29]
	v_mul_f64 v[92:93], v[62:63], v[28:29]
	;; [unrolled: 1-line block ×6, first 2 shown]
	v_fma_f64 v[106:107], v[58:59], v[66:67], -v[36:37]
	v_fma_f64 v[108:109], v[60:61], v[66:67], v[40:41]
	v_fma_f64 v[58:59], v[58:59], v[70:71], -v[96:97]
	v_fma_f64 v[60:61], v[60:61], v[70:71], v[112:113]
	;; [unrolled: 2-line block ×4, first 2 shown]
	ds_load_b128 v[0:3], v22 offset:2304
	ds_load_b128 v[4:7], v23 offset:64
	v_add_f64 v[52:53], v[52:53], v[98:99]
	v_add_f64 v[72:73], v[18:19], v[100:101]
	;; [unrolled: 1-line block ×8, first 2 shown]
	ds_load_b128 v[12:15], v23 offset:2112
	ds_load_b128 v[16:19], v23 offset:80
	;; [unrolled: 1-line block ×4, first 2 shown]
	s_waitcnt lgkmcnt(4)
	v_mul_f64 v[56:57], v[6:7], v[32:33]
	v_mul_f64 v[74:75], v[4:5], v[32:33]
	;; [unrolled: 1-line block ×4, first 2 shown]
	v_fma_f64 v[86:87], v[62:63], v[82:83], -v[86:87]
	v_fma_f64 v[88:89], v[64:65], v[82:83], v[88:89]
	v_fma_f64 v[62:63], v[62:63], v[26:27], -v[90:91]
	v_fma_f64 v[64:65], v[64:65], v[26:27], v[92:93]
	;; [unrolled: 2-line block ×4, first 2 shown]
	s_waitcnt lgkmcnt(3)
	v_mul_f64 v[100:101], v[14:15], v[32:33]
	v_mul_f64 v[32:33], v[12:13], v[32:33]
	;; [unrolled: 1-line block ×4, first 2 shown]
	s_waitcnt lgkmcnt(0)
	v_mul_f64 v[92:93], v[18:19], v[40:41]
	v_mul_f64 v[94:95], v[16:17], v[40:41]
	v_add_f64 v[84:85], v[52:53], v[106:107]
	v_add_f64 v[72:73], v[72:73], v[108:109]
	;; [unrolled: 1-line block ×8, first 2 shown]
	ds_load_b128 v[26:29], v22 offset:2816
	ds_load_b128 v[42:45], v22 offset:3072
	;; [unrolled: 1-line block ×4, first 2 shown]
	v_mul_f64 v[106:107], v[36:37], v[40:41]
	v_mul_f64 v[40:41], v[34:35], v[40:41]
	v_fma_f64 v[56:57], v[4:5], v[30:31], -v[56:57]
	v_fma_f64 v[74:75], v[6:7], v[30:31], v[74:75]
	v_fma_f64 v[76:77], v[4:5], v[0:1], -v[76:77]
	v_fma_f64 v[98:99], v[6:7], v[0:1], v[98:99]
	s_waitcnt lgkmcnt(3)
	v_mul_f64 v[96:97], v[18:19], v[28:29]
	v_mul_f64 v[104:105], v[16:17], v[28:29]
	v_mul_f64 v[108:109], v[36:37], v[28:29]
	v_mul_f64 v[110:111], v[34:35], v[28:29]
	v_fma_f64 v[100:101], v[12:13], v[30:31], -v[100:101]
	v_fma_f64 v[32:33], v[14:15], v[30:31], v[32:33]
	v_fma_f64 v[102:103], v[12:13], v[0:1], -v[102:103]
	v_fma_f64 v[112:113], v[14:15], v[0:1], v[2:3]
	ds_load_b128 v[0:3], v23 offset:2144
	ds_load_b128 v[4:7], v23 offset:112
	;; [unrolled: 1-line block ×4, first 2 shown]
	v_add_f64 v[84:85], v[84:85], v[86:87]
	v_add_f64 v[72:73], v[72:73], v[88:89]
	;; [unrolled: 1-line block ×8, first 2 shown]
	s_waitcnt lgkmcnt(4)
	v_mul_f64 v[68:69], v[52:53], v[44:45]
	v_mul_f64 v[70:71], v[50:51], v[44:45]
	;; [unrolled: 1-line block ×4, first 2 shown]
	s_waitcnt lgkmcnt(3)
	v_mul_f64 v[82:83], v[2:3], v[44:45]
	v_mul_f64 v[44:45], v[0:1], v[44:45]
	;; [unrolled: 1-line block ×4, first 2 shown]
	v_fma_f64 v[88:89], v[16:17], v[38:39], -v[92:93]
	v_fma_f64 v[90:91], v[18:19], v[38:39], v[94:95]
	v_fma_f64 v[92:93], v[16:17], v[26:27], -v[96:97]
	v_fma_f64 v[94:95], v[18:19], v[26:27], v[104:105]
	;; [unrolled: 2-line block ×4, first 2 shown]
	ds_load_b128 v[16:19], v22 offset:3840
	s_waitcnt lgkmcnt(0)
	s_barrier
	buffer_gl0_inv
	v_add_f64 v[36:37], v[84:85], v[56:57]
	v_add_f64 v[40:41], v[72:73], v[74:75]
	;; [unrolled: 1-line block ×8, first 2 shown]
	v_mul_f64 v[64:65], v[6:7], v[30:31]
	v_mul_f64 v[66:67], v[4:5], v[30:31]
	;; [unrolled: 1-line block ×4, first 2 shown]
	v_fma_f64 v[68:69], v[50:51], v[42:43], -v[68:69]
	v_mul_f64 v[72:73], v[6:7], v[18:19]
	v_mul_f64 v[74:75], v[4:5], v[18:19]
	v_mul_f64 v[84:85], v[14:15], v[18:19]
	v_mul_f64 v[18:19], v[12:13], v[18:19]
	v_fma_f64 v[70:71], v[52:53], v[42:43], v[70:71]
	v_fma_f64 v[50:51], v[50:51], v[46:47], -v[78:79]
	v_fma_f64 v[52:53], v[52:53], v[46:47], v[80:81]
	v_fma_f64 v[78:79], v[0:1], v[42:43], -v[82:83]
	;; [unrolled: 2-line block ×3, first 2 shown]
	v_fma_f64 v[2:3], v[2:3], v[46:47], v[48:49]
	v_add_f64 v[36:37], v[36:37], v[88:89]
	v_add_f64 v[40:41], v[40:41], v[90:91]
	v_add_f64 v[44:45], v[56:57], v[92:93]
	v_add_f64 v[46:47], v[58:59], v[94:95]
	v_add_f64 v[48:49], v[54:55], v[96:97]
	v_add_f64 v[32:33], v[32:33], v[38:39]
	v_add_f64 v[34:35], v[60:61], v[34:35]
	v_add_f64 v[26:27], v[62:63], v[26:27]
	v_fma_f64 v[38:39], v[4:5], v[28:29], -v[64:65]
	v_fma_f64 v[54:55], v[6:7], v[28:29], v[66:67]
	v_fma_f64 v[58:59], v[12:13], v[28:29], -v[76:77]
	v_fma_f64 v[28:29], v[14:15], v[28:29], v[30:31]
	;; [unrolled: 2-line block ×4, first 2 shown]
	v_add_f64 v[6:7], v[36:37], v[68:69]
	v_add_f64 v[14:15], v[40:41], v[70:71]
	;; [unrolled: 1-line block ×16, first 2 shown]
	s_cbranch_vccz .LBB1785_2
.LBB1785_3:
	v_add_nc_u32_e32 v21, s17, v21
	s_load_b32 s2, s[0:1], 0x0
	s_delay_alu instid0(VALU_DEP_1) | instskip(SKIP_2) | instid1(VALU_DEP_3)
	v_ashrrev_i32_e32 v10, 31, v21
	v_mul_lo_u32 v11, v21, s7
	v_mad_u64_u32 v[8:9], null, v21, s6, 0
	v_mul_lo_u32 v10, v10, s6
	s_delay_alu instid0(VALU_DEP_1) | instskip(SKIP_1) | instid1(VALU_DEP_2)
	v_add3_u32 v9, v9, v11, v10
	v_add_nc_u32_e32 v10, s16, v20
	v_lshlrev_b64 v[8:9], 4, v[8:9]
	s_delay_alu instid0(VALU_DEP_2) | instskip(SKIP_2) | instid1(VALU_DEP_3)
	v_cmp_le_i32_e64 s0, v21, v10
	s_waitcnt lgkmcnt(0)
	v_cmp_gt_i32_e32 vcc_lo, s2, v10
	v_add_co_u32 v20, s1, s4, v8
	s_delay_alu instid0(VALU_DEP_1) | instskip(SKIP_1) | instid1(SALU_CYCLE_1)
	v_add_co_ci_u32_e64 v22, s1, s5, v9, s1
	s_and_b32 s0, s0, vcc_lo
	s_and_saveexec_b32 s3, s0
	s_cbranch_execz .LBB1785_5
; %bb.4:
	v_ashrrev_i32_e32 v11, 31, v10
	v_cmp_ne_u32_e64 s0, v21, v10
	s_delay_alu instid0(VALU_DEP_2) | instskip(NEXT) | instid1(VALU_DEP_2)
	v_lshlrev_b64 v[23:24], 4, v[10:11]
	v_cndmask_b32_e64 v9, 0, v19, s0
	v_cndmask_b32_e64 v8, 0, v18, s0
	s_delay_alu instid0(VALU_DEP_3) | instskip(NEXT) | instid1(VALU_DEP_1)
	v_add_co_u32 v23, s1, v20, v23
	v_add_co_ci_u32_e64 v24, s1, v22, v24, s1
	global_store_b128 v[23:24], v[6:9], off
.LBB1785_5:
	s_or_b32 exec_lo, exec_lo, s3
	v_add_nc_u32_e32 v8, 16, v10
	s_delay_alu instid0(VALU_DEP_1) | instskip(SKIP_1) | instid1(VALU_DEP_1)
	v_cmp_le_i32_e64 s1, v21, v8
	v_cmp_gt_i32_e64 s0, s2, v8
	s_and_b32 s1, s1, s0
	s_delay_alu instid0(SALU_CYCLE_1)
	s_and_saveexec_b32 s3, s1
	s_cbranch_execz .LBB1785_7
; %bb.6:
	v_ashrrev_i32_e32 v9, 31, v8
	v_cmp_ne_u32_e64 s1, v21, v8
	s_delay_alu instid0(VALU_DEP_2) | instskip(NEXT) | instid1(VALU_DEP_2)
	v_lshlrev_b64 v[18:19], 4, v[8:9]
	v_cndmask_b32_e64 v7, 0, v17, s1
	v_cndmask_b32_e64 v6, 0, v16, s1
	s_delay_alu instid0(VALU_DEP_3) | instskip(NEXT) | instid1(VALU_DEP_1)
	v_add_co_u32 v17, s2, v20, v18
	v_add_co_ci_u32_e64 v18, s2, v22, v19, s2
	global_store_b128 v[17:18], v[4:7], off
.LBB1785_7:
	s_or_b32 exec_lo, exec_lo, s3
	v_add_nc_u32_e32 v9, 16, v21
	s_delay_alu instid0(VALU_DEP_1) | instskip(SKIP_3) | instid1(VALU_DEP_4)
	v_ashrrev_i32_e32 v6, 31, v9
	v_mul_lo_u32 v7, v9, s7
	v_mad_u64_u32 v[4:5], null, v9, s6, 0
	v_cmp_le_i32_e64 s1, v9, v10
	v_mul_lo_u32 v6, v6, s6
	s_delay_alu instid0(VALU_DEP_2) | instskip(NEXT) | instid1(VALU_DEP_1)
	s_and_b32 s1, s1, vcc_lo
	v_add3_u32 v5, v5, v7, v6
	s_delay_alu instid0(VALU_DEP_1) | instskip(NEXT) | instid1(VALU_DEP_1)
	v_lshlrev_b64 v[4:5], 4, v[4:5]
	v_add_co_u32 v6, s2, s4, v4
	s_delay_alu instid0(VALU_DEP_1)
	v_add_co_ci_u32_e64 v7, s2, s5, v5, s2
	s_and_saveexec_b32 s2, s1
	s_cbranch_execz .LBB1785_9
; %bb.8:
	v_ashrrev_i32_e32 v11, 31, v10
	v_cmp_ne_u32_e32 vcc_lo, v9, v10
	s_delay_alu instid0(VALU_DEP_2) | instskip(SKIP_1) | instid1(VALU_DEP_2)
	v_lshlrev_b64 v[16:17], 4, v[10:11]
	v_dual_cndmask_b32 v5, 0, v15 :: v_dual_cndmask_b32 v4, 0, v14
	v_add_co_u32 v15, s1, v6, v16
	s_delay_alu instid0(VALU_DEP_1)
	v_add_co_ci_u32_e64 v16, s1, v7, v17, s1
	global_store_b128 v[15:16], v[2:5], off
.LBB1785_9:
	s_or_b32 exec_lo, exec_lo, s2
	v_cmp_le_i32_e32 vcc_lo, v9, v8
	s_and_b32 s0, vcc_lo, s0
	s_delay_alu instid0(SALU_CYCLE_1)
	s_and_saveexec_b32 s1, s0
	s_cbranch_execz .LBB1785_11
; %bb.10:
	v_ashrrev_i32_e32 v9, 31, v8
	v_cmp_ne_u32_e32 vcc_lo, v21, v10
	s_delay_alu instid0(VALU_DEP_2) | instskip(SKIP_1) | instid1(VALU_DEP_2)
	v_lshlrev_b64 v[4:5], 4, v[8:9]
	v_dual_cndmask_b32 v3, 0, v13 :: v_dual_cndmask_b32 v2, 0, v12
	v_add_co_u32 v4, s0, v6, v4
	s_delay_alu instid0(VALU_DEP_1)
	v_add_co_ci_u32_e64 v5, s0, v7, v5, s0
	global_store_b128 v[4:5], v[0:3], off
.LBB1785_11:
	s_nop 0
	s_sendmsg sendmsg(MSG_DEALLOC_VGPRS)
	s_endpgm
	.section	.rodata,"a",@progbits
	.p2align	6, 0x0
	.amdhsa_kernel _ZL37rocblas_syrkx_herkx_restricted_kernelIl19rocblas_complex_numIdELi16ELi32ELi8ELi1ELi0ELb1ELc84ELc76EKPKS1_KPS1_EviT_PT9_S7_lS9_S7_lPT10_S7_li
		.amdhsa_group_segment_fixed_size 8192
		.amdhsa_private_segment_fixed_size 0
		.amdhsa_kernarg_size 92
		.amdhsa_user_sgpr_count 13
		.amdhsa_user_sgpr_dispatch_ptr 0
		.amdhsa_user_sgpr_queue_ptr 0
		.amdhsa_user_sgpr_kernarg_segment_ptr 1
		.amdhsa_user_sgpr_dispatch_id 0
		.amdhsa_user_sgpr_private_segment_size 0
		.amdhsa_wavefront_size32 1
		.amdhsa_uses_dynamic_stack 0
		.amdhsa_enable_private_segment 0
		.amdhsa_system_sgpr_workgroup_id_x 1
		.amdhsa_system_sgpr_workgroup_id_y 1
		.amdhsa_system_sgpr_workgroup_id_z 1
		.amdhsa_system_sgpr_workgroup_info 0
		.amdhsa_system_vgpr_workitem_id 1
		.amdhsa_next_free_vgpr 118
		.amdhsa_next_free_sgpr 20
		.amdhsa_reserve_vcc 1
		.amdhsa_float_round_mode_32 0
		.amdhsa_float_round_mode_16_64 0
		.amdhsa_float_denorm_mode_32 3
		.amdhsa_float_denorm_mode_16_64 3
		.amdhsa_dx10_clamp 1
		.amdhsa_ieee_mode 1
		.amdhsa_fp16_overflow 0
		.amdhsa_workgroup_processor_mode 1
		.amdhsa_memory_ordered 1
		.amdhsa_forward_progress 0
		.amdhsa_shared_vgpr_count 0
		.amdhsa_exception_fp_ieee_invalid_op 0
		.amdhsa_exception_fp_denorm_src 0
		.amdhsa_exception_fp_ieee_div_zero 0
		.amdhsa_exception_fp_ieee_overflow 0
		.amdhsa_exception_fp_ieee_underflow 0
		.amdhsa_exception_fp_ieee_inexact 0
		.amdhsa_exception_int_div_zero 0
	.end_amdhsa_kernel
	.section	.text._ZL37rocblas_syrkx_herkx_restricted_kernelIl19rocblas_complex_numIdELi16ELi32ELi8ELi1ELi0ELb1ELc84ELc76EKPKS1_KPS1_EviT_PT9_S7_lS9_S7_lPT10_S7_li,"axG",@progbits,_ZL37rocblas_syrkx_herkx_restricted_kernelIl19rocblas_complex_numIdELi16ELi32ELi8ELi1ELi0ELb1ELc84ELc76EKPKS1_KPS1_EviT_PT9_S7_lS9_S7_lPT10_S7_li,comdat
.Lfunc_end1785:
	.size	_ZL37rocblas_syrkx_herkx_restricted_kernelIl19rocblas_complex_numIdELi16ELi32ELi8ELi1ELi0ELb1ELc84ELc76EKPKS1_KPS1_EviT_PT9_S7_lS9_S7_lPT10_S7_li, .Lfunc_end1785-_ZL37rocblas_syrkx_herkx_restricted_kernelIl19rocblas_complex_numIdELi16ELi32ELi8ELi1ELi0ELb1ELc84ELc76EKPKS1_KPS1_EviT_PT9_S7_lS9_S7_lPT10_S7_li
                                        ; -- End function
	.section	.AMDGPU.csdata,"",@progbits
; Kernel info:
; codeLenInByte = 3072
; NumSgprs: 22
; NumVgprs: 118
; ScratchSize: 0
; MemoryBound: 0
; FloatMode: 240
; IeeeMode: 1
; LDSByteSize: 8192 bytes/workgroup (compile time only)
; SGPRBlocks: 2
; VGPRBlocks: 14
; NumSGPRsForWavesPerEU: 22
; NumVGPRsForWavesPerEU: 118
; Occupancy: 12
; WaveLimiterHint : 1
; COMPUTE_PGM_RSRC2:SCRATCH_EN: 0
; COMPUTE_PGM_RSRC2:USER_SGPR: 13
; COMPUTE_PGM_RSRC2:TRAP_HANDLER: 0
; COMPUTE_PGM_RSRC2:TGID_X_EN: 1
; COMPUTE_PGM_RSRC2:TGID_Y_EN: 1
; COMPUTE_PGM_RSRC2:TGID_Z_EN: 1
; COMPUTE_PGM_RSRC2:TIDIG_COMP_CNT: 1
	.section	.text._ZL37rocblas_syrkx_herkx_restricted_kernelIl19rocblas_complex_numIdELi16ELi32ELi8ELi1ELi0ELb1ELc67ELc76EKPKS1_KPS1_EviT_PT9_S7_lS9_S7_lPT10_S7_li,"axG",@progbits,_ZL37rocblas_syrkx_herkx_restricted_kernelIl19rocblas_complex_numIdELi16ELi32ELi8ELi1ELi0ELb1ELc67ELc76EKPKS1_KPS1_EviT_PT9_S7_lS9_S7_lPT10_S7_li,comdat
	.globl	_ZL37rocblas_syrkx_herkx_restricted_kernelIl19rocblas_complex_numIdELi16ELi32ELi8ELi1ELi0ELb1ELc67ELc76EKPKS1_KPS1_EviT_PT9_S7_lS9_S7_lPT10_S7_li ; -- Begin function _ZL37rocblas_syrkx_herkx_restricted_kernelIl19rocblas_complex_numIdELi16ELi32ELi8ELi1ELi0ELb1ELc67ELc76EKPKS1_KPS1_EviT_PT9_S7_lS9_S7_lPT10_S7_li
	.p2align	8
	.type	_ZL37rocblas_syrkx_herkx_restricted_kernelIl19rocblas_complex_numIdELi16ELi32ELi8ELi1ELi0ELb1ELc67ELc76EKPKS1_KPS1_EviT_PT9_S7_lS9_S7_lPT10_S7_li,@function
_ZL37rocblas_syrkx_herkx_restricted_kernelIl19rocblas_complex_numIdELi16ELi32ELi8ELi1ELi0ELb1ELc67ELc76EKPKS1_KPS1_EviT_PT9_S7_lS9_S7_lPT10_S7_li: ; @_ZL37rocblas_syrkx_herkx_restricted_kernelIl19rocblas_complex_numIdELi16ELi32ELi8ELi1ELi0ELb1ELc67ELc76EKPKS1_KPS1_EviT_PT9_S7_lS9_S7_lPT10_S7_li
; %bb.0:
	s_clause 0x1
	s_load_b128 s[4:7], s[0:1], 0x40
	s_load_b128 s[8:11], s[0:1], 0x8
	s_mov_b32 s2, s15
	s_mov_b32 s3, 0
	v_mov_b32_e32 v6, 0
	s_lshl_b64 s[2:3], s[2:3], 3
	v_dual_mov_b32 v7, 0 :: v_dual_and_b32 v20, 0x3ff, v0
	v_bfe_u32 v21, v0, 10, 10
	s_delay_alu instid0(VALU_DEP_3) | instskip(NEXT) | instid1(VALU_DEP_3)
	v_mov_b32_e32 v4, v6
	v_dual_mov_b32 v2, v6 :: v_dual_mov_b32 v3, v7
	v_dual_mov_b32 v19, v7 :: v_dual_mov_b32 v18, v6
	v_mov_b32_e32 v5, v7
	v_dual_mov_b32 v17, v7 :: v_dual_mov_b32 v16, v6
	v_dual_mov_b32 v15, v7 :: v_dual_mov_b32 v14, v6
	;; [unrolled: 1-line block ×3, first 2 shown]
	s_waitcnt lgkmcnt(0)
	s_add_u32 s4, s4, s2
	s_addc_u32 s5, s5, s3
	v_cmp_lt_i64_e64 s12, s[8:9], 1
	s_load_b64 s[4:5], s[4:5], 0x0
	v_dual_mov_b32 v13, v7 :: v_dual_mov_b32 v12, v6
	s_lshl_b32 s16, s13, 5
	s_lshl_b32 s17, s14, 5
	s_delay_alu instid0(VALU_DEP_2)
	s_and_b32 vcc_lo, exec_lo, s12
	s_cbranch_vccnz .LBB1786_3
; %bb.1:
	s_clause 0x1
	s_load_b128 s[12:15], s[0:1], 0x28
	s_load_b64 s[18:19], s[0:1], 0x18
	v_lshl_add_u32 v2, v21, 4, v20
	v_dual_mov_b32 v1, 0 :: v_dual_and_b32 v0, 7, v20
	s_add_u32 s10, s10, s2
	s_addc_u32 s11, s11, s3
	s_delay_alu instid0(VALU_DEP_2)
	v_lshrrev_b32_e32 v8, 3, v2
	v_and_b32_e32 v9, 31, v2
	v_lshrrev_b32_e32 v2, 5, v2
	v_mov_b32_e32 v3, v1
	s_load_b64 s[10:11], s[10:11], 0x0
	v_add_nc_u32_e32 v10, s17, v8
	v_add_nc_u32_e32 v6, s16, v9
	v_lshl_add_u32 v23, v21, 7, 0x1000
	s_delay_alu instid0(VALU_DEP_3) | instskip(NEXT) | instid1(VALU_DEP_3)
	v_ashrrev_i32_e32 v4, 31, v10
	v_ashrrev_i32_e32 v5, 31, v6
	s_waitcnt lgkmcnt(0)
	s_add_u32 s2, s12, s2
	v_mul_lo_u32 v13, v10, s15
	v_mul_lo_u32 v11, v4, s14
	;; [unrolled: 1-line block ×3, first 2 shown]
	v_mad_u64_u32 v[4:5], null, s18, v6, v[2:3]
	v_mul_lo_u32 v3, s19, v6
	v_mad_u64_u32 v[6:7], null, v10, s14, v[0:1]
	s_addc_u32 s3, s13, s3
	s_load_b64 s[2:3], s[2:3], 0x0
	s_delay_alu instid0(VALU_DEP_2) | instskip(NEXT) | instid1(VALU_DEP_2)
	v_add3_u32 v5, v3, v5, v12
	v_add3_u32 v7, v11, v7, v13
	v_mov_b32_e32 v12, 0
	v_dual_mov_b32 v13, 0 :: v_dual_lshlrev_b32 v0, 4, v0
	v_lshlrev_b32_e32 v3, 4, v9
	s_delay_alu instid0(VALU_DEP_2) | instskip(NEXT) | instid1(VALU_DEP_3)
	v_dual_mov_b32 v15, v13 :: v_dual_lshlrev_b32 v22, 4, v20
	v_lshl_or_b32 v8, v8, 7, v0
	v_lshlrev_b64 v[0:1], 4, v[4:5]
	s_delay_alu instid0(VALU_DEP_4) | instskip(SKIP_1) | instid1(VALU_DEP_4)
	v_lshl_or_b32 v24, v2, 9, v3
	v_lshlrev_b64 v[2:3], 4, v[6:7]
	v_dual_mov_b32 v14, v12 :: v_dual_add_nc_u32 v25, 0x1000, v8
	v_dual_mov_b32 v17, v13 :: v_dual_mov_b32 v16, v12
	v_add_co_u32 v0, vcc_lo, v0, s10
	v_add_co_ci_u32_e32 v1, vcc_lo, s11, v1, vcc_lo
	s_waitcnt lgkmcnt(0)
	v_add_co_u32 v2, vcc_lo, v2, s2
	v_add_co_ci_u32_e32 v3, vcc_lo, s3, v3, vcc_lo
	v_add_co_u32 v8, vcc_lo, v0, 8
	v_add_co_ci_u32_e32 v9, vcc_lo, 0, v1, vcc_lo
	s_delay_alu instid0(VALU_DEP_4)
	v_add_co_u32 v10, vcc_lo, v2, 8
	v_mov_b32_e32 v0, v12
	v_add_co_ci_u32_e32 v11, vcc_lo, 0, v3, vcc_lo
	v_dual_mov_b32 v1, v13 :: v_dual_mov_b32 v2, v12
	v_dual_mov_b32 v3, v13 :: v_dual_mov_b32 v4, v12
	v_mov_b32_e32 v5, v13
	v_dual_mov_b32 v19, v13 :: v_dual_mov_b32 v18, v12
	v_dual_mov_b32 v6, v12 :: v_dual_mov_b32 v7, v13
	s_mov_b64 s[2:3], 0
.LBB1786_2:                             ; =>This Inner Loop Header: Depth=1
	global_load_b128 v[26:29], v[8:9], off offset:-8
	global_load_b128 v[30:33], v[10:11], off offset:-8
	s_add_u32 s2, s2, 8
	v_add_co_u32 v8, vcc_lo, 0x80, v8
	s_addc_u32 s3, s3, 0
	v_add_co_ci_u32_e32 v9, vcc_lo, 0, v9, vcc_lo
	v_cmp_ge_u64_e64 s10, s[2:3], s[8:9]
	v_add_co_u32 v10, vcc_lo, 0x80, v10
	v_add_co_ci_u32_e32 v11, vcc_lo, 0, v11, vcc_lo
	s_delay_alu instid0(VALU_DEP_3)
	s_and_b32 vcc_lo, exec_lo, s10
	s_waitcnt vmcnt(1)
	v_xor_b32_e32 v29, 0x80000000, v29
	ds_store_b128 v24, v[26:29]
	s_waitcnt vmcnt(0)
	ds_store_b128 v25, v[30:33]
	s_waitcnt lgkmcnt(0)
	s_barrier
	buffer_gl0_inv
	ds_load_b128 v[26:29], v23
	ds_load_b128 v[30:33], v22
	ds_load_b128 v[34:37], v22 offset:256
	ds_load_b128 v[38:41], v23 offset:2048
	ds_load_b128 v[42:45], v23 offset:16
	ds_load_b128 v[46:49], v23 offset:2064
	ds_load_b128 v[50:53], v22 offset:512
	ds_load_b128 v[54:57], v22 offset:768
	ds_load_b128 v[58:61], v23 offset:32
	ds_load_b128 v[62:65], v23 offset:48
	ds_load_b128 v[66:69], v22 offset:1024
	ds_load_b128 v[70:73], v22 offset:1280
	ds_load_b128 v[74:77], v23 offset:2080
	ds_load_b128 v[78:81], v23 offset:2096
	ds_load_b128 v[82:85], v22 offset:1536
	s_waitcnt lgkmcnt(13)
	v_mul_f64 v[86:87], v[28:29], v[32:33]
	v_mul_f64 v[88:89], v[26:27], v[32:33]
	s_waitcnt lgkmcnt(12)
	v_mul_f64 v[90:91], v[28:29], v[36:37]
	v_mul_f64 v[92:93], v[26:27], v[36:37]
	;; [unrolled: 3-line block ×3, first 2 shown]
	v_mul_f64 v[96:97], v[40:41], v[36:37]
	v_mul_f64 v[36:37], v[38:39], v[36:37]
	s_waitcnt lgkmcnt(8)
	v_mul_f64 v[98:99], v[44:45], v[52:53]
	v_mul_f64 v[100:101], v[42:43], v[52:53]
	s_waitcnt lgkmcnt(7)
	v_mul_f64 v[102:103], v[44:45], v[56:57]
	v_mul_f64 v[104:105], v[42:43], v[56:57]
	;; [unrolled: 1-line block ×6, first 2 shown]
	s_waitcnt lgkmcnt(3)
	v_mul_f64 v[112:113], v[58:59], v[72:73]
	s_waitcnt lgkmcnt(2)
	v_mul_f64 v[114:115], v[76:77], v[68:69]
	v_mul_f64 v[116:117], v[76:77], v[72:73]
	v_fma_f64 v[86:87], v[26:27], v[30:31], -v[86:87]
	v_fma_f64 v[88:89], v[28:29], v[30:31], v[88:89]
	v_fma_f64 v[90:91], v[26:27], v[34:35], -v[90:91]
	v_fma_f64 v[92:93], v[28:29], v[34:35], v[92:93]
	;; [unrolled: 2-line block ×4, first 2 shown]
	v_mul_f64 v[36:37], v[60:61], v[68:69]
	v_mul_f64 v[40:41], v[58:59], v[68:69]
	;; [unrolled: 1-line block ×5, first 2 shown]
	v_fma_f64 v[98:99], v[42:43], v[50:51], -v[98:99]
	v_fma_f64 v[100:101], v[44:45], v[50:51], v[100:101]
	v_fma_f64 v[42:43], v[42:43], v[54:55], -v[102:103]
	v_fma_f64 v[44:45], v[44:45], v[54:55], v[104:105]
	;; [unrolled: 2-line block ×4, first 2 shown]
	ds_load_b128 v[26:29], v22 offset:1792
	ds_load_b128 v[30:33], v22 offset:2048
	v_add_f64 v[52:53], v[6:7], v[86:87]
	v_add_f64 v[18:19], v[18:19], v[88:89]
	;; [unrolled: 1-line block ×8, first 2 shown]
	s_waitcnt lgkmcnt(2)
	v_mul_f64 v[86:87], v[64:65], v[84:85]
	v_mul_f64 v[88:89], v[62:63], v[84:85]
	s_waitcnt lgkmcnt(1)
	v_mul_f64 v[90:91], v[64:65], v[28:29]
	v_mul_f64 v[92:93], v[62:63], v[28:29]
	;; [unrolled: 1-line block ×6, first 2 shown]
	v_fma_f64 v[106:107], v[58:59], v[66:67], -v[36:37]
	v_fma_f64 v[108:109], v[60:61], v[66:67], v[40:41]
	v_fma_f64 v[58:59], v[58:59], v[70:71], -v[96:97]
	v_fma_f64 v[60:61], v[60:61], v[70:71], v[112:113]
	;; [unrolled: 2-line block ×4, first 2 shown]
	ds_load_b128 v[0:3], v22 offset:2304
	ds_load_b128 v[4:7], v23 offset:64
	v_add_f64 v[52:53], v[52:53], v[98:99]
	v_add_f64 v[72:73], v[18:19], v[100:101]
	;; [unrolled: 1-line block ×8, first 2 shown]
	ds_load_b128 v[12:15], v23 offset:2112
	ds_load_b128 v[16:19], v23 offset:80
	;; [unrolled: 1-line block ×4, first 2 shown]
	s_waitcnt lgkmcnt(4)
	v_mul_f64 v[56:57], v[6:7], v[32:33]
	v_mul_f64 v[74:75], v[4:5], v[32:33]
	;; [unrolled: 1-line block ×4, first 2 shown]
	v_fma_f64 v[86:87], v[62:63], v[82:83], -v[86:87]
	v_fma_f64 v[88:89], v[64:65], v[82:83], v[88:89]
	v_fma_f64 v[62:63], v[62:63], v[26:27], -v[90:91]
	v_fma_f64 v[64:65], v[64:65], v[26:27], v[92:93]
	;; [unrolled: 2-line block ×4, first 2 shown]
	s_waitcnt lgkmcnt(3)
	v_mul_f64 v[100:101], v[14:15], v[32:33]
	v_mul_f64 v[32:33], v[12:13], v[32:33]
	;; [unrolled: 1-line block ×4, first 2 shown]
	s_waitcnt lgkmcnt(0)
	v_mul_f64 v[92:93], v[18:19], v[40:41]
	v_mul_f64 v[94:95], v[16:17], v[40:41]
	v_add_f64 v[84:85], v[52:53], v[106:107]
	v_add_f64 v[72:73], v[72:73], v[108:109]
	;; [unrolled: 1-line block ×8, first 2 shown]
	ds_load_b128 v[26:29], v22 offset:2816
	ds_load_b128 v[42:45], v22 offset:3072
	;; [unrolled: 1-line block ×4, first 2 shown]
	v_mul_f64 v[106:107], v[36:37], v[40:41]
	v_mul_f64 v[40:41], v[34:35], v[40:41]
	v_fma_f64 v[56:57], v[4:5], v[30:31], -v[56:57]
	v_fma_f64 v[74:75], v[6:7], v[30:31], v[74:75]
	v_fma_f64 v[76:77], v[4:5], v[0:1], -v[76:77]
	v_fma_f64 v[98:99], v[6:7], v[0:1], v[98:99]
	s_waitcnt lgkmcnt(3)
	v_mul_f64 v[96:97], v[18:19], v[28:29]
	v_mul_f64 v[104:105], v[16:17], v[28:29]
	;; [unrolled: 1-line block ×4, first 2 shown]
	v_fma_f64 v[100:101], v[12:13], v[30:31], -v[100:101]
	v_fma_f64 v[32:33], v[14:15], v[30:31], v[32:33]
	v_fma_f64 v[102:103], v[12:13], v[0:1], -v[102:103]
	v_fma_f64 v[112:113], v[14:15], v[0:1], v[2:3]
	ds_load_b128 v[0:3], v23 offset:2144
	ds_load_b128 v[4:7], v23 offset:112
	;; [unrolled: 1-line block ×4, first 2 shown]
	v_add_f64 v[84:85], v[84:85], v[86:87]
	v_add_f64 v[72:73], v[72:73], v[88:89]
	;; [unrolled: 1-line block ×8, first 2 shown]
	s_waitcnt lgkmcnt(4)
	v_mul_f64 v[68:69], v[52:53], v[44:45]
	v_mul_f64 v[70:71], v[50:51], v[44:45]
	;; [unrolled: 1-line block ×4, first 2 shown]
	s_waitcnt lgkmcnt(3)
	v_mul_f64 v[82:83], v[2:3], v[44:45]
	v_mul_f64 v[44:45], v[0:1], v[44:45]
	;; [unrolled: 1-line block ×4, first 2 shown]
	v_fma_f64 v[88:89], v[16:17], v[38:39], -v[92:93]
	v_fma_f64 v[90:91], v[18:19], v[38:39], v[94:95]
	v_fma_f64 v[92:93], v[16:17], v[26:27], -v[96:97]
	v_fma_f64 v[94:95], v[18:19], v[26:27], v[104:105]
	;; [unrolled: 2-line block ×4, first 2 shown]
	ds_load_b128 v[16:19], v22 offset:3840
	s_waitcnt lgkmcnt(0)
	s_barrier
	buffer_gl0_inv
	v_add_f64 v[36:37], v[84:85], v[56:57]
	v_add_f64 v[40:41], v[72:73], v[74:75]
	;; [unrolled: 1-line block ×8, first 2 shown]
	v_mul_f64 v[64:65], v[6:7], v[30:31]
	v_mul_f64 v[66:67], v[4:5], v[30:31]
	;; [unrolled: 1-line block ×4, first 2 shown]
	v_fma_f64 v[68:69], v[50:51], v[42:43], -v[68:69]
	v_mul_f64 v[72:73], v[6:7], v[18:19]
	v_mul_f64 v[74:75], v[4:5], v[18:19]
	;; [unrolled: 1-line block ×4, first 2 shown]
	v_fma_f64 v[70:71], v[52:53], v[42:43], v[70:71]
	v_fma_f64 v[50:51], v[50:51], v[46:47], -v[78:79]
	v_fma_f64 v[52:53], v[52:53], v[46:47], v[80:81]
	v_fma_f64 v[78:79], v[0:1], v[42:43], -v[82:83]
	;; [unrolled: 2-line block ×3, first 2 shown]
	v_fma_f64 v[2:3], v[2:3], v[46:47], v[48:49]
	v_add_f64 v[36:37], v[36:37], v[88:89]
	v_add_f64 v[40:41], v[40:41], v[90:91]
	v_add_f64 v[44:45], v[56:57], v[92:93]
	v_add_f64 v[46:47], v[58:59], v[94:95]
	v_add_f64 v[48:49], v[54:55], v[96:97]
	v_add_f64 v[32:33], v[32:33], v[38:39]
	v_add_f64 v[34:35], v[60:61], v[34:35]
	v_add_f64 v[26:27], v[62:63], v[26:27]
	v_fma_f64 v[38:39], v[4:5], v[28:29], -v[64:65]
	v_fma_f64 v[54:55], v[6:7], v[28:29], v[66:67]
	v_fma_f64 v[58:59], v[12:13], v[28:29], -v[76:77]
	v_fma_f64 v[28:29], v[14:15], v[28:29], v[30:31]
	;; [unrolled: 2-line block ×4, first 2 shown]
	v_add_f64 v[6:7], v[36:37], v[68:69]
	v_add_f64 v[14:15], v[40:41], v[70:71]
	;; [unrolled: 1-line block ×16, first 2 shown]
	s_cbranch_vccz .LBB1786_2
.LBB1786_3:
	v_add_nc_u32_e32 v21, s17, v21
	s_load_b32 s2, s[0:1], 0x0
	s_delay_alu instid0(VALU_DEP_1) | instskip(SKIP_2) | instid1(VALU_DEP_3)
	v_ashrrev_i32_e32 v10, 31, v21
	v_mul_lo_u32 v11, v21, s7
	v_mad_u64_u32 v[8:9], null, v21, s6, 0
	v_mul_lo_u32 v10, v10, s6
	s_delay_alu instid0(VALU_DEP_1) | instskip(SKIP_1) | instid1(VALU_DEP_2)
	v_add3_u32 v9, v9, v11, v10
	v_add_nc_u32_e32 v10, s16, v20
	v_lshlrev_b64 v[8:9], 4, v[8:9]
	s_delay_alu instid0(VALU_DEP_2) | instskip(SKIP_2) | instid1(VALU_DEP_3)
	v_cmp_le_i32_e64 s0, v21, v10
	s_waitcnt lgkmcnt(0)
	v_cmp_gt_i32_e32 vcc_lo, s2, v10
	v_add_co_u32 v20, s1, s4, v8
	s_delay_alu instid0(VALU_DEP_1) | instskip(SKIP_1) | instid1(SALU_CYCLE_1)
	v_add_co_ci_u32_e64 v22, s1, s5, v9, s1
	s_and_b32 s0, s0, vcc_lo
	s_and_saveexec_b32 s3, s0
	s_cbranch_execz .LBB1786_5
; %bb.4:
	v_ashrrev_i32_e32 v11, 31, v10
	v_cmp_ne_u32_e64 s0, v21, v10
	s_delay_alu instid0(VALU_DEP_2) | instskip(NEXT) | instid1(VALU_DEP_2)
	v_lshlrev_b64 v[23:24], 4, v[10:11]
	v_cndmask_b32_e64 v9, 0, v19, s0
	v_cndmask_b32_e64 v8, 0, v18, s0
	s_delay_alu instid0(VALU_DEP_3) | instskip(NEXT) | instid1(VALU_DEP_1)
	v_add_co_u32 v23, s1, v20, v23
	v_add_co_ci_u32_e64 v24, s1, v22, v24, s1
	global_store_b128 v[23:24], v[6:9], off
.LBB1786_5:
	s_or_b32 exec_lo, exec_lo, s3
	v_add_nc_u32_e32 v8, 16, v10
	s_delay_alu instid0(VALU_DEP_1) | instskip(SKIP_1) | instid1(VALU_DEP_1)
	v_cmp_le_i32_e64 s1, v21, v8
	v_cmp_gt_i32_e64 s0, s2, v8
	s_and_b32 s1, s1, s0
	s_delay_alu instid0(SALU_CYCLE_1)
	s_and_saveexec_b32 s3, s1
	s_cbranch_execz .LBB1786_7
; %bb.6:
	v_ashrrev_i32_e32 v9, 31, v8
	v_cmp_ne_u32_e64 s1, v21, v8
	s_delay_alu instid0(VALU_DEP_2) | instskip(NEXT) | instid1(VALU_DEP_2)
	v_lshlrev_b64 v[18:19], 4, v[8:9]
	v_cndmask_b32_e64 v7, 0, v17, s1
	v_cndmask_b32_e64 v6, 0, v16, s1
	s_delay_alu instid0(VALU_DEP_3) | instskip(NEXT) | instid1(VALU_DEP_1)
	v_add_co_u32 v17, s2, v20, v18
	v_add_co_ci_u32_e64 v18, s2, v22, v19, s2
	global_store_b128 v[17:18], v[4:7], off
.LBB1786_7:
	s_or_b32 exec_lo, exec_lo, s3
	v_add_nc_u32_e32 v9, 16, v21
	s_delay_alu instid0(VALU_DEP_1) | instskip(SKIP_3) | instid1(VALU_DEP_4)
	v_ashrrev_i32_e32 v6, 31, v9
	v_mul_lo_u32 v7, v9, s7
	v_mad_u64_u32 v[4:5], null, v9, s6, 0
	v_cmp_le_i32_e64 s1, v9, v10
	v_mul_lo_u32 v6, v6, s6
	s_delay_alu instid0(VALU_DEP_2) | instskip(NEXT) | instid1(VALU_DEP_1)
	s_and_b32 s1, s1, vcc_lo
	v_add3_u32 v5, v5, v7, v6
	s_delay_alu instid0(VALU_DEP_1) | instskip(NEXT) | instid1(VALU_DEP_1)
	v_lshlrev_b64 v[4:5], 4, v[4:5]
	v_add_co_u32 v6, s2, s4, v4
	s_delay_alu instid0(VALU_DEP_1)
	v_add_co_ci_u32_e64 v7, s2, s5, v5, s2
	s_and_saveexec_b32 s2, s1
	s_cbranch_execz .LBB1786_9
; %bb.8:
	v_ashrrev_i32_e32 v11, 31, v10
	v_cmp_ne_u32_e32 vcc_lo, v9, v10
	s_delay_alu instid0(VALU_DEP_2) | instskip(SKIP_1) | instid1(VALU_DEP_2)
	v_lshlrev_b64 v[16:17], 4, v[10:11]
	v_dual_cndmask_b32 v5, 0, v15 :: v_dual_cndmask_b32 v4, 0, v14
	v_add_co_u32 v15, s1, v6, v16
	s_delay_alu instid0(VALU_DEP_1)
	v_add_co_ci_u32_e64 v16, s1, v7, v17, s1
	global_store_b128 v[15:16], v[2:5], off
.LBB1786_9:
	s_or_b32 exec_lo, exec_lo, s2
	v_cmp_le_i32_e32 vcc_lo, v9, v8
	s_and_b32 s0, vcc_lo, s0
	s_delay_alu instid0(SALU_CYCLE_1)
	s_and_saveexec_b32 s1, s0
	s_cbranch_execz .LBB1786_11
; %bb.10:
	v_ashrrev_i32_e32 v9, 31, v8
	v_cmp_ne_u32_e32 vcc_lo, v21, v10
	s_delay_alu instid0(VALU_DEP_2) | instskip(SKIP_1) | instid1(VALU_DEP_2)
	v_lshlrev_b64 v[4:5], 4, v[8:9]
	v_dual_cndmask_b32 v3, 0, v13 :: v_dual_cndmask_b32 v2, 0, v12
	v_add_co_u32 v4, s0, v6, v4
	s_delay_alu instid0(VALU_DEP_1)
	v_add_co_ci_u32_e64 v5, s0, v7, v5, s0
	global_store_b128 v[4:5], v[0:3], off
.LBB1786_11:
	s_nop 0
	s_sendmsg sendmsg(MSG_DEALLOC_VGPRS)
	s_endpgm
	.section	.rodata,"a",@progbits
	.p2align	6, 0x0
	.amdhsa_kernel _ZL37rocblas_syrkx_herkx_restricted_kernelIl19rocblas_complex_numIdELi16ELi32ELi8ELi1ELi0ELb1ELc67ELc76EKPKS1_KPS1_EviT_PT9_S7_lS9_S7_lPT10_S7_li
		.amdhsa_group_segment_fixed_size 8192
		.amdhsa_private_segment_fixed_size 0
		.amdhsa_kernarg_size 92
		.amdhsa_user_sgpr_count 13
		.amdhsa_user_sgpr_dispatch_ptr 0
		.amdhsa_user_sgpr_queue_ptr 0
		.amdhsa_user_sgpr_kernarg_segment_ptr 1
		.amdhsa_user_sgpr_dispatch_id 0
		.amdhsa_user_sgpr_private_segment_size 0
		.amdhsa_wavefront_size32 1
		.amdhsa_uses_dynamic_stack 0
		.amdhsa_enable_private_segment 0
		.amdhsa_system_sgpr_workgroup_id_x 1
		.amdhsa_system_sgpr_workgroup_id_y 1
		.amdhsa_system_sgpr_workgroup_id_z 1
		.amdhsa_system_sgpr_workgroup_info 0
		.amdhsa_system_vgpr_workitem_id 1
		.amdhsa_next_free_vgpr 118
		.amdhsa_next_free_sgpr 20
		.amdhsa_reserve_vcc 1
		.amdhsa_float_round_mode_32 0
		.amdhsa_float_round_mode_16_64 0
		.amdhsa_float_denorm_mode_32 3
		.amdhsa_float_denorm_mode_16_64 3
		.amdhsa_dx10_clamp 1
		.amdhsa_ieee_mode 1
		.amdhsa_fp16_overflow 0
		.amdhsa_workgroup_processor_mode 1
		.amdhsa_memory_ordered 1
		.amdhsa_forward_progress 0
		.amdhsa_shared_vgpr_count 0
		.amdhsa_exception_fp_ieee_invalid_op 0
		.amdhsa_exception_fp_denorm_src 0
		.amdhsa_exception_fp_ieee_div_zero 0
		.amdhsa_exception_fp_ieee_overflow 0
		.amdhsa_exception_fp_ieee_underflow 0
		.amdhsa_exception_fp_ieee_inexact 0
		.amdhsa_exception_int_div_zero 0
	.end_amdhsa_kernel
	.section	.text._ZL37rocblas_syrkx_herkx_restricted_kernelIl19rocblas_complex_numIdELi16ELi32ELi8ELi1ELi0ELb1ELc67ELc76EKPKS1_KPS1_EviT_PT9_S7_lS9_S7_lPT10_S7_li,"axG",@progbits,_ZL37rocblas_syrkx_herkx_restricted_kernelIl19rocblas_complex_numIdELi16ELi32ELi8ELi1ELi0ELb1ELc67ELc76EKPKS1_KPS1_EviT_PT9_S7_lS9_S7_lPT10_S7_li,comdat
.Lfunc_end1786:
	.size	_ZL37rocblas_syrkx_herkx_restricted_kernelIl19rocblas_complex_numIdELi16ELi32ELi8ELi1ELi0ELb1ELc67ELc76EKPKS1_KPS1_EviT_PT9_S7_lS9_S7_lPT10_S7_li, .Lfunc_end1786-_ZL37rocblas_syrkx_herkx_restricted_kernelIl19rocblas_complex_numIdELi16ELi32ELi8ELi1ELi0ELb1ELc67ELc76EKPKS1_KPS1_EviT_PT9_S7_lS9_S7_lPT10_S7_li
                                        ; -- End function
	.section	.AMDGPU.csdata,"",@progbits
; Kernel info:
; codeLenInByte = 3084
; NumSgprs: 22
; NumVgprs: 118
; ScratchSize: 0
; MemoryBound: 0
; FloatMode: 240
; IeeeMode: 1
; LDSByteSize: 8192 bytes/workgroup (compile time only)
; SGPRBlocks: 2
; VGPRBlocks: 14
; NumSGPRsForWavesPerEU: 22
; NumVGPRsForWavesPerEU: 118
; Occupancy: 12
; WaveLimiterHint : 1
; COMPUTE_PGM_RSRC2:SCRATCH_EN: 0
; COMPUTE_PGM_RSRC2:USER_SGPR: 13
; COMPUTE_PGM_RSRC2:TRAP_HANDLER: 0
; COMPUTE_PGM_RSRC2:TGID_X_EN: 1
; COMPUTE_PGM_RSRC2:TGID_Y_EN: 1
; COMPUTE_PGM_RSRC2:TGID_Z_EN: 1
; COMPUTE_PGM_RSRC2:TIDIG_COMP_CNT: 1
	.section	.text._ZL37rocblas_syrkx_herkx_restricted_kernelIl19rocblas_complex_numIdELi16ELi32ELi8ELi1ELi0ELb1ELc78ELc76EKPKS1_KPS1_EviT_PT9_S7_lS9_S7_lPT10_S7_li,"axG",@progbits,_ZL37rocblas_syrkx_herkx_restricted_kernelIl19rocblas_complex_numIdELi16ELi32ELi8ELi1ELi0ELb1ELc78ELc76EKPKS1_KPS1_EviT_PT9_S7_lS9_S7_lPT10_S7_li,comdat
	.globl	_ZL37rocblas_syrkx_herkx_restricted_kernelIl19rocblas_complex_numIdELi16ELi32ELi8ELi1ELi0ELb1ELc78ELc76EKPKS1_KPS1_EviT_PT9_S7_lS9_S7_lPT10_S7_li ; -- Begin function _ZL37rocblas_syrkx_herkx_restricted_kernelIl19rocblas_complex_numIdELi16ELi32ELi8ELi1ELi0ELb1ELc78ELc76EKPKS1_KPS1_EviT_PT9_S7_lS9_S7_lPT10_S7_li
	.p2align	8
	.type	_ZL37rocblas_syrkx_herkx_restricted_kernelIl19rocblas_complex_numIdELi16ELi32ELi8ELi1ELi0ELb1ELc78ELc76EKPKS1_KPS1_EviT_PT9_S7_lS9_S7_lPT10_S7_li,@function
_ZL37rocblas_syrkx_herkx_restricted_kernelIl19rocblas_complex_numIdELi16ELi32ELi8ELi1ELi0ELb1ELc78ELc76EKPKS1_KPS1_EviT_PT9_S7_lS9_S7_lPT10_S7_li: ; @_ZL37rocblas_syrkx_herkx_restricted_kernelIl19rocblas_complex_numIdELi16ELi32ELi8ELi1ELi0ELb1ELc78ELc76EKPKS1_KPS1_EviT_PT9_S7_lS9_S7_lPT10_S7_li
; %bb.0:
	s_clause 0x1
	s_load_b128 s[4:7], s[0:1], 0x40
	s_load_b128 s[8:11], s[0:1], 0x8
	s_mov_b32 s2, s15
	s_mov_b32 s3, 0
	v_mov_b32_e32 v6, 0
	s_lshl_b64 s[2:3], s[2:3], 3
	v_dual_mov_b32 v7, 0 :: v_dual_and_b32 v20, 0x3ff, v0
	v_bfe_u32 v21, v0, 10, 10
	s_delay_alu instid0(VALU_DEP_3) | instskip(NEXT) | instid1(VALU_DEP_3)
	v_mov_b32_e32 v4, v6
	v_dual_mov_b32 v2, v6 :: v_dual_mov_b32 v3, v7
	v_dual_mov_b32 v19, v7 :: v_dual_mov_b32 v18, v6
	v_mov_b32_e32 v5, v7
	v_dual_mov_b32 v17, v7 :: v_dual_mov_b32 v16, v6
	v_dual_mov_b32 v15, v7 :: v_dual_mov_b32 v14, v6
	;; [unrolled: 1-line block ×3, first 2 shown]
	s_waitcnt lgkmcnt(0)
	s_add_u32 s4, s4, s2
	s_addc_u32 s5, s5, s3
	v_cmp_lt_i64_e64 s12, s[8:9], 1
	s_load_b64 s[4:5], s[4:5], 0x0
	v_dual_mov_b32 v13, v7 :: v_dual_mov_b32 v12, v6
	s_lshl_b32 s16, s13, 5
	s_lshl_b32 s17, s14, 5
	s_delay_alu instid0(VALU_DEP_2)
	s_and_b32 vcc_lo, exec_lo, s12
	s_cbranch_vccnz .LBB1787_3
; %bb.1:
	v_lshl_add_u32 v1, v21, 4, v20
	s_clause 0x1
	s_load_b64 s[18:19], s[0:1], 0x18
	s_load_b128 s[12:15], s[0:1], 0x28
	v_mov_b32_e32 v12, 0
	s_add_u32 s10, s10, s2
	s_addc_u32 s11, s11, s3
	v_lshrrev_b32_e32 v10, 3, v1
	v_and_b32_e32 v9, 31, v1
	v_lshrrev_b32_e32 v11, 5, v1
	s_load_b64 s[10:11], s[10:11], 0x0
	v_lshl_add_u32 v23, v21, 7, 0x1000
	v_dual_mov_b32 v13, 0 :: v_dual_add_nc_u32 v2, s17, v10
	v_and_b32_e32 v14, 7, v20
	s_delay_alu instid0(VALU_DEP_2) | instskip(NEXT) | instid1(VALU_DEP_3)
	v_ashrrev_i32_e32 v3, 31, v2
	v_dual_mov_b32 v17, v13 :: v_dual_mov_b32 v16, v12
	v_dual_mov_b32 v19, v13 :: v_dual_mov_b32 v18, v12
	s_waitcnt lgkmcnt(0)
	s_delay_alu instid0(VALU_DEP_3)
	v_mad_u64_u32 v[6:7], null, v14, s14, v[2:3]
	v_add_nc_u32_e32 v0, s16, v9
	s_add_u32 s2, s12, s2
	s_addc_u32 s3, s13, s3
	s_mov_b64 s[12:13], 0
	s_load_b64 s[2:3], s[2:3], 0x0
	v_ashrrev_i32_e32 v1, 31, v0
	s_delay_alu instid0(VALU_DEP_1) | instskip(NEXT) | instid1(VALU_DEP_1)
	v_mad_u64_u32 v[4:5], null, v11, s18, v[0:1]
	v_dual_mov_b32 v1, v7 :: v_dual_mov_b32 v0, v5
	s_delay_alu instid0(VALU_DEP_1) | instskip(NEXT) | instid1(VALU_DEP_1)
	v_mad_u64_u32 v[2:3], null, v11, s19, v[0:1]
	v_dual_mov_b32 v5, v2 :: v_dual_lshlrev_b32 v22, 4, v20
	v_mad_u64_u32 v[7:8], null, v14, s15, v[1:2]
	v_dual_mov_b32 v0, v12 :: v_dual_mov_b32 v1, v13
	s_delay_alu instid0(VALU_DEP_3)
	v_lshlrev_b64 v[4:5], 4, v[4:5]
	v_lshlrev_b32_e32 v3, 4, v14
	v_dual_mov_b32 v15, v13 :: v_dual_lshlrev_b32 v8, 4, v9
	v_lshlrev_b64 v[6:7], 4, v[6:7]
	v_mov_b32_e32 v14, v12
	v_add_co_u32 v4, vcc_lo, v4, s10
	v_add_co_ci_u32_e32 v5, vcc_lo, s11, v5, vcc_lo
	v_lshl_or_b32 v9, v10, 7, v3
	s_waitcnt lgkmcnt(0)
	v_add_co_u32 v6, vcc_lo, v6, s2
	v_add_co_ci_u32_e32 v7, vcc_lo, s3, v7, vcc_lo
	v_lshl_or_b32 v24, v11, 9, v8
	v_add_co_u32 v8, vcc_lo, v4, 8
	v_dual_mov_b32 v2, v12 :: v_dual_add_nc_u32 v25, 0x1000, v9
	v_add_co_ci_u32_e32 v9, vcc_lo, 0, v5, vcc_lo
	v_add_co_u32 v10, vcc_lo, v6, 8
	v_add_co_ci_u32_e32 v11, vcc_lo, 0, v7, vcc_lo
	v_mov_b32_e32 v4, v12
	v_dual_mov_b32 v6, v12 :: v_dual_mov_b32 v3, v13
	v_mov_b32_e32 v5, v13
	v_mov_b32_e32 v7, v13
	s_lshl_b64 s[2:3], s[18:19], 7
	s_lshl_b64 s[10:11], s[14:15], 7
.LBB1787_2:                             ; =>This Inner Loop Header: Depth=1
	global_load_b128 v[26:29], v[10:11], off offset:-8
	global_load_b128 v[30:33], v[8:9], off offset:-8
	s_add_u32 s12, s12, 8
	v_add_co_u32 v8, vcc_lo, v8, s2
	s_addc_u32 s13, s13, 0
	v_add_co_ci_u32_e32 v9, vcc_lo, s3, v9, vcc_lo
	v_cmp_ge_u64_e64 s14, s[12:13], s[8:9]
	v_add_co_u32 v10, vcc_lo, v10, s10
	v_add_co_ci_u32_e32 v11, vcc_lo, s11, v11, vcc_lo
	s_delay_alu instid0(VALU_DEP_3)
	s_and_b32 vcc_lo, exec_lo, s14
	s_waitcnt vmcnt(1)
	v_xor_b32_e32 v29, 0x80000000, v29
	s_waitcnt vmcnt(0)
	ds_store_b128 v24, v[30:33]
	ds_store_b128 v25, v[26:29]
	s_waitcnt lgkmcnt(0)
	s_barrier
	buffer_gl0_inv
	ds_load_b128 v[26:29], v23
	ds_load_b128 v[30:33], v22
	ds_load_b128 v[34:37], v22 offset:256
	ds_load_b128 v[38:41], v23 offset:2048
	;; [unrolled: 1-line block ×13, first 2 shown]
	s_waitcnt lgkmcnt(13)
	v_mul_f64 v[86:87], v[28:29], v[32:33]
	v_mul_f64 v[88:89], v[26:27], v[32:33]
	s_waitcnt lgkmcnt(12)
	v_mul_f64 v[90:91], v[28:29], v[36:37]
	v_mul_f64 v[92:93], v[26:27], v[36:37]
	;; [unrolled: 3-line block ×3, first 2 shown]
	v_mul_f64 v[96:97], v[40:41], v[36:37]
	v_mul_f64 v[36:37], v[38:39], v[36:37]
	s_waitcnt lgkmcnt(8)
	v_mul_f64 v[98:99], v[44:45], v[52:53]
	v_mul_f64 v[100:101], v[42:43], v[52:53]
	s_waitcnt lgkmcnt(7)
	v_mul_f64 v[102:103], v[44:45], v[56:57]
	v_mul_f64 v[104:105], v[42:43], v[56:57]
	;; [unrolled: 1-line block ×6, first 2 shown]
	s_waitcnt lgkmcnt(3)
	v_mul_f64 v[112:113], v[58:59], v[72:73]
	s_waitcnt lgkmcnt(2)
	v_mul_f64 v[114:115], v[76:77], v[68:69]
	v_mul_f64 v[116:117], v[76:77], v[72:73]
	v_fma_f64 v[86:87], v[26:27], v[30:31], -v[86:87]
	v_fma_f64 v[88:89], v[28:29], v[30:31], v[88:89]
	v_fma_f64 v[90:91], v[26:27], v[34:35], -v[90:91]
	v_fma_f64 v[92:93], v[28:29], v[34:35], v[92:93]
	;; [unrolled: 2-line block ×4, first 2 shown]
	v_mul_f64 v[36:37], v[60:61], v[68:69]
	v_mul_f64 v[40:41], v[58:59], v[68:69]
	;; [unrolled: 1-line block ×5, first 2 shown]
	v_fma_f64 v[98:99], v[42:43], v[50:51], -v[98:99]
	v_fma_f64 v[100:101], v[44:45], v[50:51], v[100:101]
	v_fma_f64 v[42:43], v[42:43], v[54:55], -v[102:103]
	v_fma_f64 v[44:45], v[44:45], v[54:55], v[104:105]
	;; [unrolled: 2-line block ×4, first 2 shown]
	ds_load_b128 v[26:29], v22 offset:1792
	ds_load_b128 v[30:33], v22 offset:2048
	v_add_f64 v[52:53], v[6:7], v[86:87]
	v_add_f64 v[18:19], v[18:19], v[88:89]
	;; [unrolled: 1-line block ×8, first 2 shown]
	s_waitcnt lgkmcnt(2)
	v_mul_f64 v[86:87], v[64:65], v[84:85]
	v_mul_f64 v[88:89], v[62:63], v[84:85]
	s_waitcnt lgkmcnt(1)
	v_mul_f64 v[90:91], v[64:65], v[28:29]
	v_mul_f64 v[92:93], v[62:63], v[28:29]
	v_mul_f64 v[94:95], v[80:81], v[84:85]
	v_mul_f64 v[84:85], v[78:79], v[84:85]
	v_mul_f64 v[104:105], v[80:81], v[28:29]
	v_mul_f64 v[28:29], v[78:79], v[28:29]
	v_fma_f64 v[106:107], v[58:59], v[66:67], -v[36:37]
	v_fma_f64 v[108:109], v[60:61], v[66:67], v[40:41]
	v_fma_f64 v[58:59], v[58:59], v[70:71], -v[96:97]
	v_fma_f64 v[60:61], v[60:61], v[70:71], v[112:113]
	;; [unrolled: 2-line block ×4, first 2 shown]
	ds_load_b128 v[0:3], v22 offset:2304
	ds_load_b128 v[4:7], v23 offset:64
	v_add_f64 v[52:53], v[52:53], v[98:99]
	v_add_f64 v[72:73], v[18:19], v[100:101]
	;; [unrolled: 1-line block ×8, first 2 shown]
	ds_load_b128 v[12:15], v23 offset:2112
	ds_load_b128 v[16:19], v23 offset:80
	ds_load_b128 v[34:37], v23 offset:2128
	ds_load_b128 v[38:41], v22 offset:2560
	s_waitcnt lgkmcnt(4)
	v_mul_f64 v[56:57], v[6:7], v[32:33]
	v_mul_f64 v[74:75], v[4:5], v[32:33]
	;; [unrolled: 1-line block ×4, first 2 shown]
	v_fma_f64 v[86:87], v[62:63], v[82:83], -v[86:87]
	v_fma_f64 v[88:89], v[64:65], v[82:83], v[88:89]
	v_fma_f64 v[62:63], v[62:63], v[26:27], -v[90:91]
	v_fma_f64 v[64:65], v[64:65], v[26:27], v[92:93]
	;; [unrolled: 2-line block ×4, first 2 shown]
	s_waitcnt lgkmcnt(3)
	v_mul_f64 v[100:101], v[14:15], v[32:33]
	v_mul_f64 v[32:33], v[12:13], v[32:33]
	;; [unrolled: 1-line block ×4, first 2 shown]
	s_waitcnt lgkmcnt(0)
	v_mul_f64 v[92:93], v[18:19], v[40:41]
	v_mul_f64 v[94:95], v[16:17], v[40:41]
	v_add_f64 v[84:85], v[52:53], v[106:107]
	v_add_f64 v[72:73], v[72:73], v[108:109]
	;; [unrolled: 1-line block ×8, first 2 shown]
	ds_load_b128 v[26:29], v22 offset:2816
	ds_load_b128 v[42:45], v22 offset:3072
	ds_load_b128 v[46:49], v22 offset:3328
	ds_load_b128 v[50:53], v23 offset:96
	v_mul_f64 v[106:107], v[36:37], v[40:41]
	v_mul_f64 v[40:41], v[34:35], v[40:41]
	v_fma_f64 v[56:57], v[4:5], v[30:31], -v[56:57]
	v_fma_f64 v[74:75], v[6:7], v[30:31], v[74:75]
	v_fma_f64 v[76:77], v[4:5], v[0:1], -v[76:77]
	v_fma_f64 v[98:99], v[6:7], v[0:1], v[98:99]
	s_waitcnt lgkmcnt(3)
	v_mul_f64 v[96:97], v[18:19], v[28:29]
	v_mul_f64 v[104:105], v[16:17], v[28:29]
	;; [unrolled: 1-line block ×4, first 2 shown]
	v_fma_f64 v[100:101], v[12:13], v[30:31], -v[100:101]
	v_fma_f64 v[32:33], v[14:15], v[30:31], v[32:33]
	v_fma_f64 v[102:103], v[12:13], v[0:1], -v[102:103]
	v_fma_f64 v[112:113], v[14:15], v[0:1], v[2:3]
	ds_load_b128 v[0:3], v23 offset:2144
	ds_load_b128 v[4:7], v23 offset:112
	;; [unrolled: 1-line block ×4, first 2 shown]
	v_add_f64 v[84:85], v[84:85], v[86:87]
	v_add_f64 v[72:73], v[72:73], v[88:89]
	;; [unrolled: 1-line block ×8, first 2 shown]
	s_waitcnt lgkmcnt(4)
	v_mul_f64 v[68:69], v[52:53], v[44:45]
	v_mul_f64 v[70:71], v[50:51], v[44:45]
	;; [unrolled: 1-line block ×4, first 2 shown]
	s_waitcnt lgkmcnt(3)
	v_mul_f64 v[82:83], v[2:3], v[44:45]
	v_mul_f64 v[44:45], v[0:1], v[44:45]
	;; [unrolled: 1-line block ×4, first 2 shown]
	v_fma_f64 v[88:89], v[16:17], v[38:39], -v[92:93]
	v_fma_f64 v[90:91], v[18:19], v[38:39], v[94:95]
	v_fma_f64 v[92:93], v[16:17], v[26:27], -v[96:97]
	v_fma_f64 v[94:95], v[18:19], v[26:27], v[104:105]
	v_fma_f64 v[96:97], v[34:35], v[38:39], -v[106:107]
	v_fma_f64 v[38:39], v[36:37], v[38:39], v[40:41]
	v_fma_f64 v[34:35], v[34:35], v[26:27], -v[108:109]
	v_fma_f64 v[26:27], v[36:37], v[26:27], v[110:111]
	ds_load_b128 v[16:19], v22 offset:3840
	s_waitcnt lgkmcnt(0)
	s_barrier
	buffer_gl0_inv
	v_add_f64 v[36:37], v[84:85], v[56:57]
	v_add_f64 v[40:41], v[72:73], v[74:75]
	;; [unrolled: 1-line block ×8, first 2 shown]
	v_mul_f64 v[64:65], v[6:7], v[30:31]
	v_mul_f64 v[66:67], v[4:5], v[30:31]
	;; [unrolled: 1-line block ×4, first 2 shown]
	v_fma_f64 v[68:69], v[50:51], v[42:43], -v[68:69]
	v_mul_f64 v[72:73], v[6:7], v[18:19]
	v_mul_f64 v[74:75], v[4:5], v[18:19]
	;; [unrolled: 1-line block ×4, first 2 shown]
	v_fma_f64 v[70:71], v[52:53], v[42:43], v[70:71]
	v_fma_f64 v[50:51], v[50:51], v[46:47], -v[78:79]
	v_fma_f64 v[52:53], v[52:53], v[46:47], v[80:81]
	v_fma_f64 v[78:79], v[0:1], v[42:43], -v[82:83]
	;; [unrolled: 2-line block ×3, first 2 shown]
	v_fma_f64 v[2:3], v[2:3], v[46:47], v[48:49]
	v_add_f64 v[36:37], v[36:37], v[88:89]
	v_add_f64 v[40:41], v[40:41], v[90:91]
	;; [unrolled: 1-line block ×8, first 2 shown]
	v_fma_f64 v[38:39], v[4:5], v[28:29], -v[64:65]
	v_fma_f64 v[54:55], v[6:7], v[28:29], v[66:67]
	v_fma_f64 v[58:59], v[12:13], v[28:29], -v[76:77]
	v_fma_f64 v[28:29], v[14:15], v[28:29], v[30:31]
	;; [unrolled: 2-line block ×4, first 2 shown]
	v_add_f64 v[6:7], v[36:37], v[68:69]
	v_add_f64 v[14:15], v[40:41], v[70:71]
	;; [unrolled: 1-line block ×16, first 2 shown]
	s_cbranch_vccz .LBB1787_2
.LBB1787_3:
	v_add_nc_u32_e32 v21, s17, v21
	s_load_b32 s2, s[0:1], 0x0
	s_delay_alu instid0(VALU_DEP_1) | instskip(SKIP_2) | instid1(VALU_DEP_3)
	v_ashrrev_i32_e32 v10, 31, v21
	v_mul_lo_u32 v11, v21, s7
	v_mad_u64_u32 v[8:9], null, v21, s6, 0
	v_mul_lo_u32 v10, v10, s6
	s_delay_alu instid0(VALU_DEP_1) | instskip(SKIP_1) | instid1(VALU_DEP_2)
	v_add3_u32 v9, v9, v11, v10
	v_add_nc_u32_e32 v10, s16, v20
	v_lshlrev_b64 v[8:9], 4, v[8:9]
	s_delay_alu instid0(VALU_DEP_2) | instskip(SKIP_2) | instid1(VALU_DEP_3)
	v_cmp_le_i32_e64 s0, v21, v10
	s_waitcnt lgkmcnt(0)
	v_cmp_gt_i32_e32 vcc_lo, s2, v10
	v_add_co_u32 v20, s1, s4, v8
	s_delay_alu instid0(VALU_DEP_1) | instskip(SKIP_1) | instid1(SALU_CYCLE_1)
	v_add_co_ci_u32_e64 v22, s1, s5, v9, s1
	s_and_b32 s0, s0, vcc_lo
	s_and_saveexec_b32 s3, s0
	s_cbranch_execz .LBB1787_5
; %bb.4:
	v_ashrrev_i32_e32 v11, 31, v10
	v_cmp_ne_u32_e64 s0, v21, v10
	s_delay_alu instid0(VALU_DEP_2) | instskip(NEXT) | instid1(VALU_DEP_2)
	v_lshlrev_b64 v[23:24], 4, v[10:11]
	v_cndmask_b32_e64 v9, 0, v19, s0
	v_cndmask_b32_e64 v8, 0, v18, s0
	s_delay_alu instid0(VALU_DEP_3) | instskip(NEXT) | instid1(VALU_DEP_1)
	v_add_co_u32 v23, s1, v20, v23
	v_add_co_ci_u32_e64 v24, s1, v22, v24, s1
	global_store_b128 v[23:24], v[6:9], off
.LBB1787_5:
	s_or_b32 exec_lo, exec_lo, s3
	v_add_nc_u32_e32 v8, 16, v10
	s_delay_alu instid0(VALU_DEP_1) | instskip(SKIP_1) | instid1(VALU_DEP_1)
	v_cmp_le_i32_e64 s1, v21, v8
	v_cmp_gt_i32_e64 s0, s2, v8
	s_and_b32 s1, s1, s0
	s_delay_alu instid0(SALU_CYCLE_1)
	s_and_saveexec_b32 s3, s1
	s_cbranch_execz .LBB1787_7
; %bb.6:
	v_ashrrev_i32_e32 v9, 31, v8
	v_cmp_ne_u32_e64 s1, v21, v8
	s_delay_alu instid0(VALU_DEP_2) | instskip(NEXT) | instid1(VALU_DEP_2)
	v_lshlrev_b64 v[18:19], 4, v[8:9]
	v_cndmask_b32_e64 v7, 0, v17, s1
	v_cndmask_b32_e64 v6, 0, v16, s1
	s_delay_alu instid0(VALU_DEP_3) | instskip(NEXT) | instid1(VALU_DEP_1)
	v_add_co_u32 v17, s2, v20, v18
	v_add_co_ci_u32_e64 v18, s2, v22, v19, s2
	global_store_b128 v[17:18], v[4:7], off
.LBB1787_7:
	s_or_b32 exec_lo, exec_lo, s3
	v_add_nc_u32_e32 v9, 16, v21
	s_delay_alu instid0(VALU_DEP_1) | instskip(SKIP_3) | instid1(VALU_DEP_4)
	v_ashrrev_i32_e32 v6, 31, v9
	v_mul_lo_u32 v7, v9, s7
	v_mad_u64_u32 v[4:5], null, v9, s6, 0
	v_cmp_le_i32_e64 s1, v9, v10
	v_mul_lo_u32 v6, v6, s6
	s_delay_alu instid0(VALU_DEP_2) | instskip(NEXT) | instid1(VALU_DEP_1)
	s_and_b32 s1, s1, vcc_lo
	v_add3_u32 v5, v5, v7, v6
	s_delay_alu instid0(VALU_DEP_1) | instskip(NEXT) | instid1(VALU_DEP_1)
	v_lshlrev_b64 v[4:5], 4, v[4:5]
	v_add_co_u32 v6, s2, s4, v4
	s_delay_alu instid0(VALU_DEP_1)
	v_add_co_ci_u32_e64 v7, s2, s5, v5, s2
	s_and_saveexec_b32 s2, s1
	s_cbranch_execz .LBB1787_9
; %bb.8:
	v_ashrrev_i32_e32 v11, 31, v10
	v_cmp_ne_u32_e32 vcc_lo, v9, v10
	s_delay_alu instid0(VALU_DEP_2) | instskip(SKIP_1) | instid1(VALU_DEP_2)
	v_lshlrev_b64 v[16:17], 4, v[10:11]
	v_dual_cndmask_b32 v5, 0, v15 :: v_dual_cndmask_b32 v4, 0, v14
	v_add_co_u32 v15, s1, v6, v16
	s_delay_alu instid0(VALU_DEP_1)
	v_add_co_ci_u32_e64 v16, s1, v7, v17, s1
	global_store_b128 v[15:16], v[2:5], off
.LBB1787_9:
	s_or_b32 exec_lo, exec_lo, s2
	v_cmp_le_i32_e32 vcc_lo, v9, v8
	s_and_b32 s0, vcc_lo, s0
	s_delay_alu instid0(SALU_CYCLE_1)
	s_and_saveexec_b32 s1, s0
	s_cbranch_execz .LBB1787_11
; %bb.10:
	v_ashrrev_i32_e32 v9, 31, v8
	v_cmp_ne_u32_e32 vcc_lo, v21, v10
	s_delay_alu instid0(VALU_DEP_2) | instskip(SKIP_1) | instid1(VALU_DEP_2)
	v_lshlrev_b64 v[4:5], 4, v[8:9]
	v_dual_cndmask_b32 v3, 0, v13 :: v_dual_cndmask_b32 v2, 0, v12
	v_add_co_u32 v4, s0, v6, v4
	s_delay_alu instid0(VALU_DEP_1)
	v_add_co_ci_u32_e64 v5, s0, v7, v5, s0
	global_store_b128 v[4:5], v[0:3], off
.LBB1787_11:
	s_nop 0
	s_sendmsg sendmsg(MSG_DEALLOC_VGPRS)
	s_endpgm
	.section	.rodata,"a",@progbits
	.p2align	6, 0x0
	.amdhsa_kernel _ZL37rocblas_syrkx_herkx_restricted_kernelIl19rocblas_complex_numIdELi16ELi32ELi8ELi1ELi0ELb1ELc78ELc76EKPKS1_KPS1_EviT_PT9_S7_lS9_S7_lPT10_S7_li
		.amdhsa_group_segment_fixed_size 8192
		.amdhsa_private_segment_fixed_size 0
		.amdhsa_kernarg_size 92
		.amdhsa_user_sgpr_count 13
		.amdhsa_user_sgpr_dispatch_ptr 0
		.amdhsa_user_sgpr_queue_ptr 0
		.amdhsa_user_sgpr_kernarg_segment_ptr 1
		.amdhsa_user_sgpr_dispatch_id 0
		.amdhsa_user_sgpr_private_segment_size 0
		.amdhsa_wavefront_size32 1
		.amdhsa_uses_dynamic_stack 0
		.amdhsa_enable_private_segment 0
		.amdhsa_system_sgpr_workgroup_id_x 1
		.amdhsa_system_sgpr_workgroup_id_y 1
		.amdhsa_system_sgpr_workgroup_id_z 1
		.amdhsa_system_sgpr_workgroup_info 0
		.amdhsa_system_vgpr_workitem_id 1
		.amdhsa_next_free_vgpr 118
		.amdhsa_next_free_sgpr 20
		.amdhsa_reserve_vcc 1
		.amdhsa_float_round_mode_32 0
		.amdhsa_float_round_mode_16_64 0
		.amdhsa_float_denorm_mode_32 3
		.amdhsa_float_denorm_mode_16_64 3
		.amdhsa_dx10_clamp 1
		.amdhsa_ieee_mode 1
		.amdhsa_fp16_overflow 0
		.amdhsa_workgroup_processor_mode 1
		.amdhsa_memory_ordered 1
		.amdhsa_forward_progress 0
		.amdhsa_shared_vgpr_count 0
		.amdhsa_exception_fp_ieee_invalid_op 0
		.amdhsa_exception_fp_denorm_src 0
		.amdhsa_exception_fp_ieee_div_zero 0
		.amdhsa_exception_fp_ieee_overflow 0
		.amdhsa_exception_fp_ieee_underflow 0
		.amdhsa_exception_fp_ieee_inexact 0
		.amdhsa_exception_int_div_zero 0
	.end_amdhsa_kernel
	.section	.text._ZL37rocblas_syrkx_herkx_restricted_kernelIl19rocblas_complex_numIdELi16ELi32ELi8ELi1ELi0ELb1ELc78ELc76EKPKS1_KPS1_EviT_PT9_S7_lS9_S7_lPT10_S7_li,"axG",@progbits,_ZL37rocblas_syrkx_herkx_restricted_kernelIl19rocblas_complex_numIdELi16ELi32ELi8ELi1ELi0ELb1ELc78ELc76EKPKS1_KPS1_EviT_PT9_S7_lS9_S7_lPT10_S7_li,comdat
.Lfunc_end1787:
	.size	_ZL37rocblas_syrkx_herkx_restricted_kernelIl19rocblas_complex_numIdELi16ELi32ELi8ELi1ELi0ELb1ELc78ELc76EKPKS1_KPS1_EviT_PT9_S7_lS9_S7_lPT10_S7_li, .Lfunc_end1787-_ZL37rocblas_syrkx_herkx_restricted_kernelIl19rocblas_complex_numIdELi16ELi32ELi8ELi1ELi0ELb1ELc78ELc76EKPKS1_KPS1_EviT_PT9_S7_lS9_S7_lPT10_S7_li
                                        ; -- End function
	.section	.AMDGPU.csdata,"",@progbits
; Kernel info:
; codeLenInByte = 3052
; NumSgprs: 22
; NumVgprs: 118
; ScratchSize: 0
; MemoryBound: 0
; FloatMode: 240
; IeeeMode: 1
; LDSByteSize: 8192 bytes/workgroup (compile time only)
; SGPRBlocks: 2
; VGPRBlocks: 14
; NumSGPRsForWavesPerEU: 22
; NumVGPRsForWavesPerEU: 118
; Occupancy: 12
; WaveLimiterHint : 1
; COMPUTE_PGM_RSRC2:SCRATCH_EN: 0
; COMPUTE_PGM_RSRC2:USER_SGPR: 13
; COMPUTE_PGM_RSRC2:TRAP_HANDLER: 0
; COMPUTE_PGM_RSRC2:TGID_X_EN: 1
; COMPUTE_PGM_RSRC2:TGID_Y_EN: 1
; COMPUTE_PGM_RSRC2:TGID_Z_EN: 1
; COMPUTE_PGM_RSRC2:TIDIG_COMP_CNT: 1
	.section	.text._ZL37rocblas_syrkx_herkx_restricted_kernelIl19rocblas_complex_numIdELi16ELi32ELi8ELi1ELi0ELb1ELc84ELc85EKPKS1_KPS1_EviT_PT9_S7_lS9_S7_lPT10_S7_li,"axG",@progbits,_ZL37rocblas_syrkx_herkx_restricted_kernelIl19rocblas_complex_numIdELi16ELi32ELi8ELi1ELi0ELb1ELc84ELc85EKPKS1_KPS1_EviT_PT9_S7_lS9_S7_lPT10_S7_li,comdat
	.globl	_ZL37rocblas_syrkx_herkx_restricted_kernelIl19rocblas_complex_numIdELi16ELi32ELi8ELi1ELi0ELb1ELc84ELc85EKPKS1_KPS1_EviT_PT9_S7_lS9_S7_lPT10_S7_li ; -- Begin function _ZL37rocblas_syrkx_herkx_restricted_kernelIl19rocblas_complex_numIdELi16ELi32ELi8ELi1ELi0ELb1ELc84ELc85EKPKS1_KPS1_EviT_PT9_S7_lS9_S7_lPT10_S7_li
	.p2align	8
	.type	_ZL37rocblas_syrkx_herkx_restricted_kernelIl19rocblas_complex_numIdELi16ELi32ELi8ELi1ELi0ELb1ELc84ELc85EKPKS1_KPS1_EviT_PT9_S7_lS9_S7_lPT10_S7_li,@function
_ZL37rocblas_syrkx_herkx_restricted_kernelIl19rocblas_complex_numIdELi16ELi32ELi8ELi1ELi0ELb1ELc84ELc85EKPKS1_KPS1_EviT_PT9_S7_lS9_S7_lPT10_S7_li: ; @_ZL37rocblas_syrkx_herkx_restricted_kernelIl19rocblas_complex_numIdELi16ELi32ELi8ELi1ELi0ELb1ELc84ELc85EKPKS1_KPS1_EviT_PT9_S7_lS9_S7_lPT10_S7_li
; %bb.0:
	s_clause 0x1
	s_load_b128 s[4:7], s[0:1], 0x40
	s_load_b128 s[8:11], s[0:1], 0x8
	s_mov_b32 s2, s15
	s_mov_b32 s3, 0
	v_mov_b32_e32 v6, 0
	s_lshl_b64 s[16:17], s[2:3], 3
	v_dual_mov_b32 v7, 0 :: v_dual_and_b32 v20, 0x3ff, v0
	v_bfe_u32 v21, v0, 10, 10
	s_delay_alu instid0(VALU_DEP_3) | instskip(NEXT) | instid1(VALU_DEP_3)
	v_mov_b32_e32 v4, v6
	v_dual_mov_b32 v2, v6 :: v_dual_mov_b32 v3, v7
	v_dual_mov_b32 v19, v7 :: v_dual_mov_b32 v18, v6
	v_mov_b32_e32 v5, v7
	v_dual_mov_b32 v17, v7 :: v_dual_mov_b32 v16, v6
	v_dual_mov_b32 v15, v7 :: v_dual_mov_b32 v14, v6
	;; [unrolled: 1-line block ×3, first 2 shown]
	s_waitcnt lgkmcnt(0)
	s_add_u32 s2, s4, s16
	s_addc_u32 s3, s5, s17
	v_cmp_lt_i64_e64 s4, s[8:9], 1
	s_load_b64 s[2:3], s[2:3], 0x0
	v_dual_mov_b32 v13, v7 :: v_dual_mov_b32 v12, v6
	s_lshl_b32 s18, s13, 5
	s_lshl_b32 s19, s14, 5
	s_delay_alu instid0(VALU_DEP_2)
	s_and_b32 vcc_lo, exec_lo, s4
	s_cbranch_vccnz .LBB1788_3
; %bb.1:
	s_clause 0x1
	s_load_b128 s[12:15], s[0:1], 0x28
	s_load_b64 s[4:5], s[0:1], 0x18
	v_lshl_add_u32 v2, v21, 4, v20
	v_dual_mov_b32 v1, 0 :: v_dual_and_b32 v0, 7, v20
	s_add_u32 s10, s10, s16
	s_addc_u32 s11, s11, s17
	s_delay_alu instid0(VALU_DEP_2)
	v_lshrrev_b32_e32 v8, 3, v2
	v_and_b32_e32 v9, 31, v2
	v_lshrrev_b32_e32 v2, 5, v2
	v_mov_b32_e32 v3, v1
	s_load_b64 s[10:11], s[10:11], 0x0
	v_add_nc_u32_e32 v10, s19, v8
	v_add_nc_u32_e32 v6, s18, v9
	v_lshl_add_u32 v23, v21, 7, 0x1000
	s_delay_alu instid0(VALU_DEP_3) | instskip(NEXT) | instid1(VALU_DEP_3)
	v_ashrrev_i32_e32 v4, 31, v10
	v_ashrrev_i32_e32 v5, 31, v6
	s_waitcnt lgkmcnt(0)
	s_add_u32 s12, s12, s16
	v_mul_lo_u32 v13, v10, s15
	v_mul_lo_u32 v11, v4, s14
	;; [unrolled: 1-line block ×3, first 2 shown]
	v_mad_u64_u32 v[4:5], null, s4, v6, v[2:3]
	v_mul_lo_u32 v3, s5, v6
	v_mad_u64_u32 v[6:7], null, v10, s14, v[0:1]
	s_addc_u32 s13, s13, s17
	s_load_b64 s[4:5], s[12:13], 0x0
	s_delay_alu instid0(VALU_DEP_2) | instskip(NEXT) | instid1(VALU_DEP_2)
	v_add3_u32 v5, v3, v5, v12
	v_add3_u32 v7, v11, v7, v13
	v_mov_b32_e32 v12, 0
	v_dual_mov_b32 v13, 0 :: v_dual_lshlrev_b32 v0, 4, v0
	v_lshlrev_b32_e32 v3, 4, v9
	s_delay_alu instid0(VALU_DEP_2) | instskip(NEXT) | instid1(VALU_DEP_3)
	v_dual_mov_b32 v15, v13 :: v_dual_lshlrev_b32 v22, 4, v20
	v_lshl_or_b32 v8, v8, 7, v0
	v_lshlrev_b64 v[0:1], 4, v[4:5]
	s_delay_alu instid0(VALU_DEP_4) | instskip(SKIP_1) | instid1(VALU_DEP_4)
	v_lshl_or_b32 v24, v2, 9, v3
	v_lshlrev_b64 v[2:3], 4, v[6:7]
	v_dual_mov_b32 v14, v12 :: v_dual_add_nc_u32 v25, 0x1000, v8
	v_dual_mov_b32 v17, v13 :: v_dual_mov_b32 v16, v12
	v_add_co_u32 v0, vcc_lo, v0, s10
	v_add_co_ci_u32_e32 v1, vcc_lo, s11, v1, vcc_lo
	s_waitcnt lgkmcnt(0)
	v_add_co_u32 v2, vcc_lo, v2, s4
	v_add_co_ci_u32_e32 v3, vcc_lo, s5, v3, vcc_lo
	v_add_co_u32 v8, vcc_lo, v0, 8
	v_add_co_ci_u32_e32 v9, vcc_lo, 0, v1, vcc_lo
	s_delay_alu instid0(VALU_DEP_4)
	v_add_co_u32 v10, vcc_lo, v2, 8
	v_mov_b32_e32 v0, v12
	v_add_co_ci_u32_e32 v11, vcc_lo, 0, v3, vcc_lo
	v_dual_mov_b32 v1, v13 :: v_dual_mov_b32 v2, v12
	v_dual_mov_b32 v3, v13 :: v_dual_mov_b32 v4, v12
	v_mov_b32_e32 v5, v13
	v_dual_mov_b32 v19, v13 :: v_dual_mov_b32 v18, v12
	v_dual_mov_b32 v6, v12 :: v_dual_mov_b32 v7, v13
	s_mov_b64 s[4:5], 0
.LBB1788_2:                             ; =>This Inner Loop Header: Depth=1
	global_load_b128 v[26:29], v[8:9], off offset:-8
	global_load_b128 v[30:33], v[10:11], off offset:-8
	s_add_u32 s4, s4, 8
	v_add_co_u32 v8, vcc_lo, 0x80, v8
	s_addc_u32 s5, s5, 0
	v_add_co_ci_u32_e32 v9, vcc_lo, 0, v9, vcc_lo
	v_cmp_ge_u64_e64 s10, s[4:5], s[8:9]
	v_add_co_u32 v10, vcc_lo, 0x80, v10
	v_add_co_ci_u32_e32 v11, vcc_lo, 0, v11, vcc_lo
	s_waitcnt vmcnt(1)
	ds_store_b128 v24, v[26:29]
	s_waitcnt vmcnt(0)
	ds_store_b128 v25, v[30:33]
	s_waitcnt lgkmcnt(0)
	s_barrier
	buffer_gl0_inv
	ds_load_b128 v[26:29], v23
	ds_load_b128 v[30:33], v22
	ds_load_b128 v[34:37], v22 offset:256
	ds_load_b128 v[38:41], v23 offset:2048
	;; [unrolled: 1-line block ×13, first 2 shown]
	s_and_b32 vcc_lo, exec_lo, s10
	s_waitcnt lgkmcnt(13)
	v_mul_f64 v[86:87], v[28:29], v[32:33]
	v_mul_f64 v[88:89], v[26:27], v[32:33]
	s_waitcnt lgkmcnt(12)
	v_mul_f64 v[90:91], v[28:29], v[36:37]
	v_mul_f64 v[92:93], v[26:27], v[36:37]
	;; [unrolled: 3-line block ×3, first 2 shown]
	v_mul_f64 v[96:97], v[40:41], v[36:37]
	v_mul_f64 v[36:37], v[38:39], v[36:37]
	s_waitcnt lgkmcnt(8)
	v_mul_f64 v[98:99], v[44:45], v[52:53]
	v_mul_f64 v[100:101], v[42:43], v[52:53]
	s_waitcnt lgkmcnt(7)
	v_mul_f64 v[102:103], v[44:45], v[56:57]
	v_mul_f64 v[104:105], v[42:43], v[56:57]
	v_mul_f64 v[106:107], v[48:49], v[52:53]
	v_mul_f64 v[52:53], v[46:47], v[52:53]
	v_mul_f64 v[108:109], v[48:49], v[56:57]
	v_mul_f64 v[56:57], v[46:47], v[56:57]
	s_waitcnt lgkmcnt(3)
	v_mul_f64 v[112:113], v[58:59], v[72:73]
	s_waitcnt lgkmcnt(2)
	v_mul_f64 v[114:115], v[76:77], v[68:69]
	v_mul_f64 v[116:117], v[76:77], v[72:73]
	v_fma_f64 v[86:87], v[26:27], v[30:31], -v[86:87]
	v_fma_f64 v[88:89], v[28:29], v[30:31], v[88:89]
	v_fma_f64 v[90:91], v[26:27], v[34:35], -v[90:91]
	v_fma_f64 v[92:93], v[28:29], v[34:35], v[92:93]
	;; [unrolled: 2-line block ×4, first 2 shown]
	v_mul_f64 v[36:37], v[60:61], v[68:69]
	v_mul_f64 v[40:41], v[58:59], v[68:69]
	;; [unrolled: 1-line block ×5, first 2 shown]
	v_fma_f64 v[98:99], v[42:43], v[50:51], -v[98:99]
	v_fma_f64 v[100:101], v[44:45], v[50:51], v[100:101]
	v_fma_f64 v[42:43], v[42:43], v[54:55], -v[102:103]
	v_fma_f64 v[44:45], v[44:45], v[54:55], v[104:105]
	;; [unrolled: 2-line block ×4, first 2 shown]
	ds_load_b128 v[26:29], v22 offset:1792
	ds_load_b128 v[30:33], v22 offset:2048
	v_add_f64 v[52:53], v[6:7], v[86:87]
	v_add_f64 v[18:19], v[18:19], v[88:89]
	;; [unrolled: 1-line block ×8, first 2 shown]
	s_waitcnt lgkmcnt(2)
	v_mul_f64 v[86:87], v[64:65], v[84:85]
	v_mul_f64 v[88:89], v[62:63], v[84:85]
	s_waitcnt lgkmcnt(1)
	v_mul_f64 v[90:91], v[64:65], v[28:29]
	v_mul_f64 v[92:93], v[62:63], v[28:29]
	;; [unrolled: 1-line block ×6, first 2 shown]
	v_fma_f64 v[106:107], v[58:59], v[66:67], -v[36:37]
	v_fma_f64 v[108:109], v[60:61], v[66:67], v[40:41]
	v_fma_f64 v[58:59], v[58:59], v[70:71], -v[96:97]
	v_fma_f64 v[60:61], v[60:61], v[70:71], v[112:113]
	v_fma_f64 v[96:97], v[74:75], v[66:67], -v[114:115]
	v_fma_f64 v[66:67], v[76:77], v[66:67], v[68:69]
	v_fma_f64 v[68:69], v[74:75], v[70:71], -v[116:117]
	v_fma_f64 v[70:71], v[76:77], v[70:71], v[72:73]
	ds_load_b128 v[0:3], v22 offset:2304
	ds_load_b128 v[4:7], v23 offset:64
	v_add_f64 v[52:53], v[52:53], v[98:99]
	v_add_f64 v[72:73], v[18:19], v[100:101]
	;; [unrolled: 1-line block ×8, first 2 shown]
	ds_load_b128 v[12:15], v23 offset:2112
	ds_load_b128 v[16:19], v23 offset:80
	;; [unrolled: 1-line block ×4, first 2 shown]
	s_waitcnt lgkmcnt(4)
	v_mul_f64 v[56:57], v[6:7], v[32:33]
	v_mul_f64 v[74:75], v[4:5], v[32:33]
	;; [unrolled: 1-line block ×4, first 2 shown]
	v_fma_f64 v[86:87], v[62:63], v[82:83], -v[86:87]
	v_fma_f64 v[88:89], v[64:65], v[82:83], v[88:89]
	v_fma_f64 v[62:63], v[62:63], v[26:27], -v[90:91]
	v_fma_f64 v[64:65], v[64:65], v[26:27], v[92:93]
	;; [unrolled: 2-line block ×4, first 2 shown]
	s_waitcnt lgkmcnt(3)
	v_mul_f64 v[100:101], v[14:15], v[32:33]
	v_mul_f64 v[32:33], v[12:13], v[32:33]
	;; [unrolled: 1-line block ×4, first 2 shown]
	s_waitcnt lgkmcnt(0)
	v_mul_f64 v[92:93], v[18:19], v[40:41]
	v_mul_f64 v[94:95], v[16:17], v[40:41]
	v_add_f64 v[84:85], v[52:53], v[106:107]
	v_add_f64 v[72:73], v[72:73], v[108:109]
	;; [unrolled: 1-line block ×8, first 2 shown]
	ds_load_b128 v[26:29], v22 offset:2816
	ds_load_b128 v[42:45], v22 offset:3072
	;; [unrolled: 1-line block ×4, first 2 shown]
	v_mul_f64 v[106:107], v[36:37], v[40:41]
	v_mul_f64 v[40:41], v[34:35], v[40:41]
	v_fma_f64 v[56:57], v[4:5], v[30:31], -v[56:57]
	v_fma_f64 v[74:75], v[6:7], v[30:31], v[74:75]
	v_fma_f64 v[76:77], v[4:5], v[0:1], -v[76:77]
	v_fma_f64 v[98:99], v[6:7], v[0:1], v[98:99]
	s_waitcnt lgkmcnt(3)
	v_mul_f64 v[96:97], v[18:19], v[28:29]
	v_mul_f64 v[104:105], v[16:17], v[28:29]
	;; [unrolled: 1-line block ×4, first 2 shown]
	v_fma_f64 v[100:101], v[12:13], v[30:31], -v[100:101]
	v_fma_f64 v[32:33], v[14:15], v[30:31], v[32:33]
	v_fma_f64 v[102:103], v[12:13], v[0:1], -v[102:103]
	v_fma_f64 v[112:113], v[14:15], v[0:1], v[2:3]
	ds_load_b128 v[0:3], v23 offset:2144
	ds_load_b128 v[4:7], v23 offset:112
	;; [unrolled: 1-line block ×4, first 2 shown]
	v_add_f64 v[84:85], v[84:85], v[86:87]
	v_add_f64 v[72:73], v[72:73], v[88:89]
	;; [unrolled: 1-line block ×8, first 2 shown]
	s_waitcnt lgkmcnt(4)
	v_mul_f64 v[68:69], v[52:53], v[44:45]
	v_mul_f64 v[70:71], v[50:51], v[44:45]
	;; [unrolled: 1-line block ×4, first 2 shown]
	s_waitcnt lgkmcnt(3)
	v_mul_f64 v[82:83], v[2:3], v[44:45]
	v_mul_f64 v[44:45], v[0:1], v[44:45]
	;; [unrolled: 1-line block ×4, first 2 shown]
	v_fma_f64 v[88:89], v[16:17], v[38:39], -v[92:93]
	v_fma_f64 v[90:91], v[18:19], v[38:39], v[94:95]
	v_fma_f64 v[92:93], v[16:17], v[26:27], -v[96:97]
	v_fma_f64 v[94:95], v[18:19], v[26:27], v[104:105]
	;; [unrolled: 2-line block ×4, first 2 shown]
	ds_load_b128 v[16:19], v22 offset:3840
	s_waitcnt lgkmcnt(0)
	s_barrier
	buffer_gl0_inv
	v_add_f64 v[36:37], v[84:85], v[56:57]
	v_add_f64 v[40:41], v[72:73], v[74:75]
	;; [unrolled: 1-line block ×8, first 2 shown]
	v_mul_f64 v[64:65], v[6:7], v[30:31]
	v_mul_f64 v[66:67], v[4:5], v[30:31]
	;; [unrolled: 1-line block ×4, first 2 shown]
	v_fma_f64 v[68:69], v[50:51], v[42:43], -v[68:69]
	v_mul_f64 v[72:73], v[6:7], v[18:19]
	v_mul_f64 v[74:75], v[4:5], v[18:19]
	;; [unrolled: 1-line block ×4, first 2 shown]
	v_fma_f64 v[70:71], v[52:53], v[42:43], v[70:71]
	v_fma_f64 v[50:51], v[50:51], v[46:47], -v[78:79]
	v_fma_f64 v[52:53], v[52:53], v[46:47], v[80:81]
	v_fma_f64 v[78:79], v[0:1], v[42:43], -v[82:83]
	;; [unrolled: 2-line block ×3, first 2 shown]
	v_fma_f64 v[2:3], v[2:3], v[46:47], v[48:49]
	v_add_f64 v[36:37], v[36:37], v[88:89]
	v_add_f64 v[40:41], v[40:41], v[90:91]
	;; [unrolled: 1-line block ×8, first 2 shown]
	v_fma_f64 v[38:39], v[4:5], v[28:29], -v[64:65]
	v_fma_f64 v[54:55], v[6:7], v[28:29], v[66:67]
	v_fma_f64 v[58:59], v[12:13], v[28:29], -v[76:77]
	v_fma_f64 v[28:29], v[14:15], v[28:29], v[30:31]
	;; [unrolled: 2-line block ×4, first 2 shown]
	v_add_f64 v[6:7], v[36:37], v[68:69]
	v_add_f64 v[14:15], v[40:41], v[70:71]
	;; [unrolled: 1-line block ×16, first 2 shown]
	s_cbranch_vccz .LBB1788_2
.LBB1788_3:
	v_add_nc_u32_e32 v21, s19, v21
	s_load_b32 s4, s[0:1], 0x0
	s_delay_alu instid0(VALU_DEP_1) | instskip(SKIP_2) | instid1(VALU_DEP_3)
	v_ashrrev_i32_e32 v10, 31, v21
	v_mul_lo_u32 v11, v21, s7
	v_mad_u64_u32 v[8:9], null, v21, s6, 0
	v_mul_lo_u32 v10, v10, s6
	s_delay_alu instid0(VALU_DEP_1) | instskip(SKIP_3) | instid1(VALU_DEP_3)
	v_add3_u32 v9, v9, v11, v10
	v_add_nc_u32_e32 v10, s18, v20
	s_waitcnt lgkmcnt(0)
	v_cmp_gt_i32_e32 vcc_lo, s4, v21
	v_lshlrev_b64 v[8:9], 4, v[8:9]
	s_delay_alu instid0(VALU_DEP_3) | instskip(NEXT) | instid1(VALU_DEP_1)
	v_cmp_le_i32_e64 s0, v10, v21
	s_and_b32 s0, vcc_lo, s0
	s_delay_alu instid0(VALU_DEP_2) | instskip(NEXT) | instid1(VALU_DEP_1)
	v_add_co_u32 v20, s1, s2, v8
	v_add_co_ci_u32_e64 v22, s1, s3, v9, s1
	s_and_saveexec_b32 s5, s0
	s_cbranch_execz .LBB1788_5
; %bb.4:
	v_ashrrev_i32_e32 v11, 31, v10
	v_cmp_ne_u32_e64 s0, v21, v10
	s_delay_alu instid0(VALU_DEP_2) | instskip(NEXT) | instid1(VALU_DEP_2)
	v_lshlrev_b64 v[23:24], 4, v[10:11]
	v_cndmask_b32_e64 v9, 0, v19, s0
	v_cndmask_b32_e64 v8, 0, v18, s0
	s_delay_alu instid0(VALU_DEP_3) | instskip(NEXT) | instid1(VALU_DEP_1)
	v_add_co_u32 v23, s1, v20, v23
	v_add_co_ci_u32_e64 v24, s1, v22, v24, s1
	global_store_b128 v[23:24], v[6:9], off
.LBB1788_5:
	s_or_b32 exec_lo, exec_lo, s5
	v_add_nc_u32_e32 v8, 16, v10
	s_delay_alu instid0(VALU_DEP_1) | instskip(NEXT) | instid1(VALU_DEP_1)
	v_cmp_le_i32_e64 s0, v8, v21
	s_and_b32 s0, vcc_lo, s0
	s_delay_alu instid0(SALU_CYCLE_1)
	s_and_saveexec_b32 s1, s0
	s_cbranch_execz .LBB1788_7
; %bb.6:
	v_ashrrev_i32_e32 v9, 31, v8
	v_cmp_ne_u32_e32 vcc_lo, v21, v8
	s_delay_alu instid0(VALU_DEP_2) | instskip(SKIP_1) | instid1(VALU_DEP_2)
	v_lshlrev_b64 v[18:19], 4, v[8:9]
	v_dual_cndmask_b32 v7, 0, v17 :: v_dual_cndmask_b32 v6, 0, v16
	v_add_co_u32 v17, s0, v20, v18
	s_delay_alu instid0(VALU_DEP_1)
	v_add_co_ci_u32_e64 v18, s0, v22, v19, s0
	global_store_b128 v[17:18], v[4:7], off
.LBB1788_7:
	s_or_b32 exec_lo, exec_lo, s1
	v_add_nc_u32_e32 v9, 16, v21
	s_delay_alu instid0(VALU_DEP_1) | instskip(SKIP_3) | instid1(VALU_DEP_4)
	v_ashrrev_i32_e32 v6, 31, v9
	v_mul_lo_u32 v7, v9, s7
	v_mad_u64_u32 v[4:5], null, v9, s6, 0
	v_cmp_gt_i32_e32 vcc_lo, s4, v9
	v_mul_lo_u32 v6, v6, s6
	v_cmp_le_i32_e64 s0, v10, v9
	s_delay_alu instid0(VALU_DEP_1) | instskip(NEXT) | instid1(VALU_DEP_2)
	s_and_b32 s0, vcc_lo, s0
	v_add3_u32 v5, v5, v7, v6
	s_delay_alu instid0(VALU_DEP_1) | instskip(NEXT) | instid1(VALU_DEP_1)
	v_lshlrev_b64 v[4:5], 4, v[4:5]
	v_add_co_u32 v6, s1, s2, v4
	s_delay_alu instid0(VALU_DEP_1)
	v_add_co_ci_u32_e64 v7, s1, s3, v5, s1
	s_and_saveexec_b32 s2, s0
	s_cbranch_execz .LBB1788_9
; %bb.8:
	v_ashrrev_i32_e32 v11, 31, v10
	v_cmp_ne_u32_e64 s0, v9, v10
	s_delay_alu instid0(VALU_DEP_2) | instskip(NEXT) | instid1(VALU_DEP_2)
	v_lshlrev_b64 v[16:17], 4, v[10:11]
	v_cndmask_b32_e64 v5, 0, v15, s0
	v_cndmask_b32_e64 v4, 0, v14, s0
	s_delay_alu instid0(VALU_DEP_3) | instskip(NEXT) | instid1(VALU_DEP_1)
	v_add_co_u32 v15, s1, v6, v16
	v_add_co_ci_u32_e64 v16, s1, v7, v17, s1
	global_store_b128 v[15:16], v[2:5], off
.LBB1788_9:
	s_or_b32 exec_lo, exec_lo, s2
	v_cmp_le_i32_e64 s0, v8, v9
	s_delay_alu instid0(VALU_DEP_1) | instskip(NEXT) | instid1(SALU_CYCLE_1)
	s_and_b32 s0, vcc_lo, s0
	s_and_saveexec_b32 s1, s0
	s_cbranch_execz .LBB1788_11
; %bb.10:
	v_ashrrev_i32_e32 v9, 31, v8
	v_cmp_ne_u32_e32 vcc_lo, v21, v10
	s_delay_alu instid0(VALU_DEP_2) | instskip(SKIP_1) | instid1(VALU_DEP_2)
	v_lshlrev_b64 v[4:5], 4, v[8:9]
	v_dual_cndmask_b32 v3, 0, v13 :: v_dual_cndmask_b32 v2, 0, v12
	v_add_co_u32 v4, s0, v6, v4
	s_delay_alu instid0(VALU_DEP_1)
	v_add_co_ci_u32_e64 v5, s0, v7, v5, s0
	global_store_b128 v[4:5], v[0:3], off
.LBB1788_11:
	s_nop 0
	s_sendmsg sendmsg(MSG_DEALLOC_VGPRS)
	s_endpgm
	.section	.rodata,"a",@progbits
	.p2align	6, 0x0
	.amdhsa_kernel _ZL37rocblas_syrkx_herkx_restricted_kernelIl19rocblas_complex_numIdELi16ELi32ELi8ELi1ELi0ELb1ELc84ELc85EKPKS1_KPS1_EviT_PT9_S7_lS9_S7_lPT10_S7_li
		.amdhsa_group_segment_fixed_size 8192
		.amdhsa_private_segment_fixed_size 0
		.amdhsa_kernarg_size 92
		.amdhsa_user_sgpr_count 13
		.amdhsa_user_sgpr_dispatch_ptr 0
		.amdhsa_user_sgpr_queue_ptr 0
		.amdhsa_user_sgpr_kernarg_segment_ptr 1
		.amdhsa_user_sgpr_dispatch_id 0
		.amdhsa_user_sgpr_private_segment_size 0
		.amdhsa_wavefront_size32 1
		.amdhsa_uses_dynamic_stack 0
		.amdhsa_enable_private_segment 0
		.amdhsa_system_sgpr_workgroup_id_x 1
		.amdhsa_system_sgpr_workgroup_id_y 1
		.amdhsa_system_sgpr_workgroup_id_z 1
		.amdhsa_system_sgpr_workgroup_info 0
		.amdhsa_system_vgpr_workitem_id 1
		.amdhsa_next_free_vgpr 118
		.amdhsa_next_free_sgpr 20
		.amdhsa_reserve_vcc 1
		.amdhsa_float_round_mode_32 0
		.amdhsa_float_round_mode_16_64 0
		.amdhsa_float_denorm_mode_32 3
		.amdhsa_float_denorm_mode_16_64 3
		.amdhsa_dx10_clamp 1
		.amdhsa_ieee_mode 1
		.amdhsa_fp16_overflow 0
		.amdhsa_workgroup_processor_mode 1
		.amdhsa_memory_ordered 1
		.amdhsa_forward_progress 0
		.amdhsa_shared_vgpr_count 0
		.amdhsa_exception_fp_ieee_invalid_op 0
		.amdhsa_exception_fp_denorm_src 0
		.amdhsa_exception_fp_ieee_div_zero 0
		.amdhsa_exception_fp_ieee_overflow 0
		.amdhsa_exception_fp_ieee_underflow 0
		.amdhsa_exception_fp_ieee_inexact 0
		.amdhsa_exception_int_div_zero 0
	.end_amdhsa_kernel
	.section	.text._ZL37rocblas_syrkx_herkx_restricted_kernelIl19rocblas_complex_numIdELi16ELi32ELi8ELi1ELi0ELb1ELc84ELc85EKPKS1_KPS1_EviT_PT9_S7_lS9_S7_lPT10_S7_li,"axG",@progbits,_ZL37rocblas_syrkx_herkx_restricted_kernelIl19rocblas_complex_numIdELi16ELi32ELi8ELi1ELi0ELb1ELc84ELc85EKPKS1_KPS1_EviT_PT9_S7_lS9_S7_lPT10_S7_li,comdat
.Lfunc_end1788:
	.size	_ZL37rocblas_syrkx_herkx_restricted_kernelIl19rocblas_complex_numIdELi16ELi32ELi8ELi1ELi0ELb1ELc84ELc85EKPKS1_KPS1_EviT_PT9_S7_lS9_S7_lPT10_S7_li, .Lfunc_end1788-_ZL37rocblas_syrkx_herkx_restricted_kernelIl19rocblas_complex_numIdELi16ELi32ELi8ELi1ELi0ELb1ELc84ELc85EKPKS1_KPS1_EviT_PT9_S7_lS9_S7_lPT10_S7_li
                                        ; -- End function
	.section	.AMDGPU.csdata,"",@progbits
; Kernel info:
; codeLenInByte = 3072
; NumSgprs: 22
; NumVgprs: 118
; ScratchSize: 0
; MemoryBound: 0
; FloatMode: 240
; IeeeMode: 1
; LDSByteSize: 8192 bytes/workgroup (compile time only)
; SGPRBlocks: 2
; VGPRBlocks: 14
; NumSGPRsForWavesPerEU: 22
; NumVGPRsForWavesPerEU: 118
; Occupancy: 12
; WaveLimiterHint : 1
; COMPUTE_PGM_RSRC2:SCRATCH_EN: 0
; COMPUTE_PGM_RSRC2:USER_SGPR: 13
; COMPUTE_PGM_RSRC2:TRAP_HANDLER: 0
; COMPUTE_PGM_RSRC2:TGID_X_EN: 1
; COMPUTE_PGM_RSRC2:TGID_Y_EN: 1
; COMPUTE_PGM_RSRC2:TGID_Z_EN: 1
; COMPUTE_PGM_RSRC2:TIDIG_COMP_CNT: 1
	.section	.text._ZL37rocblas_syrkx_herkx_restricted_kernelIl19rocblas_complex_numIdELi16ELi32ELi8ELi1ELi0ELb1ELc67ELc85EKPKS1_KPS1_EviT_PT9_S7_lS9_S7_lPT10_S7_li,"axG",@progbits,_ZL37rocblas_syrkx_herkx_restricted_kernelIl19rocblas_complex_numIdELi16ELi32ELi8ELi1ELi0ELb1ELc67ELc85EKPKS1_KPS1_EviT_PT9_S7_lS9_S7_lPT10_S7_li,comdat
	.globl	_ZL37rocblas_syrkx_herkx_restricted_kernelIl19rocblas_complex_numIdELi16ELi32ELi8ELi1ELi0ELb1ELc67ELc85EKPKS1_KPS1_EviT_PT9_S7_lS9_S7_lPT10_S7_li ; -- Begin function _ZL37rocblas_syrkx_herkx_restricted_kernelIl19rocblas_complex_numIdELi16ELi32ELi8ELi1ELi0ELb1ELc67ELc85EKPKS1_KPS1_EviT_PT9_S7_lS9_S7_lPT10_S7_li
	.p2align	8
	.type	_ZL37rocblas_syrkx_herkx_restricted_kernelIl19rocblas_complex_numIdELi16ELi32ELi8ELi1ELi0ELb1ELc67ELc85EKPKS1_KPS1_EviT_PT9_S7_lS9_S7_lPT10_S7_li,@function
_ZL37rocblas_syrkx_herkx_restricted_kernelIl19rocblas_complex_numIdELi16ELi32ELi8ELi1ELi0ELb1ELc67ELc85EKPKS1_KPS1_EviT_PT9_S7_lS9_S7_lPT10_S7_li: ; @_ZL37rocblas_syrkx_herkx_restricted_kernelIl19rocblas_complex_numIdELi16ELi32ELi8ELi1ELi0ELb1ELc67ELc85EKPKS1_KPS1_EviT_PT9_S7_lS9_S7_lPT10_S7_li
; %bb.0:
	s_clause 0x1
	s_load_b128 s[4:7], s[0:1], 0x40
	s_load_b128 s[8:11], s[0:1], 0x8
	s_mov_b32 s2, s15
	s_mov_b32 s3, 0
	v_mov_b32_e32 v6, 0
	s_lshl_b64 s[16:17], s[2:3], 3
	v_dual_mov_b32 v7, 0 :: v_dual_and_b32 v20, 0x3ff, v0
	v_bfe_u32 v21, v0, 10, 10
	s_delay_alu instid0(VALU_DEP_3) | instskip(NEXT) | instid1(VALU_DEP_3)
	v_mov_b32_e32 v4, v6
	v_dual_mov_b32 v2, v6 :: v_dual_mov_b32 v3, v7
	v_dual_mov_b32 v19, v7 :: v_dual_mov_b32 v18, v6
	v_mov_b32_e32 v5, v7
	v_dual_mov_b32 v17, v7 :: v_dual_mov_b32 v16, v6
	v_dual_mov_b32 v15, v7 :: v_dual_mov_b32 v14, v6
	;; [unrolled: 1-line block ×3, first 2 shown]
	s_waitcnt lgkmcnt(0)
	s_add_u32 s2, s4, s16
	s_addc_u32 s3, s5, s17
	v_cmp_lt_i64_e64 s4, s[8:9], 1
	s_load_b64 s[2:3], s[2:3], 0x0
	v_dual_mov_b32 v13, v7 :: v_dual_mov_b32 v12, v6
	s_lshl_b32 s18, s13, 5
	s_lshl_b32 s19, s14, 5
	s_delay_alu instid0(VALU_DEP_2)
	s_and_b32 vcc_lo, exec_lo, s4
	s_cbranch_vccnz .LBB1789_3
; %bb.1:
	s_clause 0x1
	s_load_b128 s[12:15], s[0:1], 0x28
	s_load_b64 s[4:5], s[0:1], 0x18
	v_lshl_add_u32 v2, v21, 4, v20
	v_dual_mov_b32 v1, 0 :: v_dual_and_b32 v0, 7, v20
	s_add_u32 s10, s10, s16
	s_addc_u32 s11, s11, s17
	s_delay_alu instid0(VALU_DEP_2)
	v_lshrrev_b32_e32 v8, 3, v2
	v_and_b32_e32 v9, 31, v2
	v_lshrrev_b32_e32 v2, 5, v2
	v_mov_b32_e32 v3, v1
	s_load_b64 s[10:11], s[10:11], 0x0
	v_add_nc_u32_e32 v10, s19, v8
	v_add_nc_u32_e32 v6, s18, v9
	v_lshl_add_u32 v23, v21, 7, 0x1000
	s_delay_alu instid0(VALU_DEP_3) | instskip(NEXT) | instid1(VALU_DEP_3)
	v_ashrrev_i32_e32 v4, 31, v10
	v_ashrrev_i32_e32 v5, 31, v6
	s_waitcnt lgkmcnt(0)
	s_add_u32 s12, s12, s16
	v_mul_lo_u32 v13, v10, s15
	v_mul_lo_u32 v11, v4, s14
	;; [unrolled: 1-line block ×3, first 2 shown]
	v_mad_u64_u32 v[4:5], null, s4, v6, v[2:3]
	v_mul_lo_u32 v3, s5, v6
	v_mad_u64_u32 v[6:7], null, v10, s14, v[0:1]
	s_addc_u32 s13, s13, s17
	s_load_b64 s[4:5], s[12:13], 0x0
	s_delay_alu instid0(VALU_DEP_2) | instskip(NEXT) | instid1(VALU_DEP_2)
	v_add3_u32 v5, v3, v5, v12
	v_add3_u32 v7, v11, v7, v13
	v_mov_b32_e32 v12, 0
	v_dual_mov_b32 v13, 0 :: v_dual_lshlrev_b32 v0, 4, v0
	v_lshlrev_b32_e32 v3, 4, v9
	s_delay_alu instid0(VALU_DEP_2) | instskip(NEXT) | instid1(VALU_DEP_3)
	v_dual_mov_b32 v15, v13 :: v_dual_lshlrev_b32 v22, 4, v20
	v_lshl_or_b32 v8, v8, 7, v0
	v_lshlrev_b64 v[0:1], 4, v[4:5]
	s_delay_alu instid0(VALU_DEP_4) | instskip(SKIP_1) | instid1(VALU_DEP_4)
	v_lshl_or_b32 v24, v2, 9, v3
	v_lshlrev_b64 v[2:3], 4, v[6:7]
	v_dual_mov_b32 v14, v12 :: v_dual_add_nc_u32 v25, 0x1000, v8
	v_dual_mov_b32 v17, v13 :: v_dual_mov_b32 v16, v12
	v_add_co_u32 v0, vcc_lo, v0, s10
	v_add_co_ci_u32_e32 v1, vcc_lo, s11, v1, vcc_lo
	s_waitcnt lgkmcnt(0)
	v_add_co_u32 v2, vcc_lo, v2, s4
	v_add_co_ci_u32_e32 v3, vcc_lo, s5, v3, vcc_lo
	v_add_co_u32 v8, vcc_lo, v0, 8
	v_add_co_ci_u32_e32 v9, vcc_lo, 0, v1, vcc_lo
	s_delay_alu instid0(VALU_DEP_4)
	v_add_co_u32 v10, vcc_lo, v2, 8
	v_mov_b32_e32 v0, v12
	v_add_co_ci_u32_e32 v11, vcc_lo, 0, v3, vcc_lo
	v_dual_mov_b32 v1, v13 :: v_dual_mov_b32 v2, v12
	v_dual_mov_b32 v3, v13 :: v_dual_mov_b32 v4, v12
	v_mov_b32_e32 v5, v13
	v_dual_mov_b32 v19, v13 :: v_dual_mov_b32 v18, v12
	v_dual_mov_b32 v6, v12 :: v_dual_mov_b32 v7, v13
	s_mov_b64 s[4:5], 0
.LBB1789_2:                             ; =>This Inner Loop Header: Depth=1
	global_load_b128 v[26:29], v[8:9], off offset:-8
	global_load_b128 v[30:33], v[10:11], off offset:-8
	s_add_u32 s4, s4, 8
	v_add_co_u32 v8, vcc_lo, 0x80, v8
	s_addc_u32 s5, s5, 0
	v_add_co_ci_u32_e32 v9, vcc_lo, 0, v9, vcc_lo
	v_cmp_ge_u64_e64 s10, s[4:5], s[8:9]
	v_add_co_u32 v10, vcc_lo, 0x80, v10
	v_add_co_ci_u32_e32 v11, vcc_lo, 0, v11, vcc_lo
	s_delay_alu instid0(VALU_DEP_3)
	s_and_b32 vcc_lo, exec_lo, s10
	s_waitcnt vmcnt(1)
	v_xor_b32_e32 v29, 0x80000000, v29
	ds_store_b128 v24, v[26:29]
	s_waitcnt vmcnt(0)
	ds_store_b128 v25, v[30:33]
	s_waitcnt lgkmcnt(0)
	s_barrier
	buffer_gl0_inv
	ds_load_b128 v[26:29], v23
	ds_load_b128 v[30:33], v22
	ds_load_b128 v[34:37], v22 offset:256
	ds_load_b128 v[38:41], v23 offset:2048
	ds_load_b128 v[42:45], v23 offset:16
	ds_load_b128 v[46:49], v23 offset:2064
	ds_load_b128 v[50:53], v22 offset:512
	ds_load_b128 v[54:57], v22 offset:768
	ds_load_b128 v[58:61], v23 offset:32
	ds_load_b128 v[62:65], v23 offset:48
	ds_load_b128 v[66:69], v22 offset:1024
	ds_load_b128 v[70:73], v22 offset:1280
	ds_load_b128 v[74:77], v23 offset:2080
	ds_load_b128 v[78:81], v23 offset:2096
	ds_load_b128 v[82:85], v22 offset:1536
	s_waitcnt lgkmcnt(13)
	v_mul_f64 v[86:87], v[28:29], v[32:33]
	v_mul_f64 v[88:89], v[26:27], v[32:33]
	s_waitcnt lgkmcnt(12)
	v_mul_f64 v[90:91], v[28:29], v[36:37]
	v_mul_f64 v[92:93], v[26:27], v[36:37]
	;; [unrolled: 3-line block ×3, first 2 shown]
	v_mul_f64 v[96:97], v[40:41], v[36:37]
	v_mul_f64 v[36:37], v[38:39], v[36:37]
	s_waitcnt lgkmcnt(8)
	v_mul_f64 v[98:99], v[44:45], v[52:53]
	v_mul_f64 v[100:101], v[42:43], v[52:53]
	s_waitcnt lgkmcnt(7)
	v_mul_f64 v[102:103], v[44:45], v[56:57]
	v_mul_f64 v[104:105], v[42:43], v[56:57]
	;; [unrolled: 1-line block ×6, first 2 shown]
	s_waitcnt lgkmcnt(3)
	v_mul_f64 v[112:113], v[58:59], v[72:73]
	s_waitcnt lgkmcnt(2)
	v_mul_f64 v[114:115], v[76:77], v[68:69]
	v_mul_f64 v[116:117], v[76:77], v[72:73]
	v_fma_f64 v[86:87], v[26:27], v[30:31], -v[86:87]
	v_fma_f64 v[88:89], v[28:29], v[30:31], v[88:89]
	v_fma_f64 v[90:91], v[26:27], v[34:35], -v[90:91]
	v_fma_f64 v[92:93], v[28:29], v[34:35], v[92:93]
	;; [unrolled: 2-line block ×4, first 2 shown]
	v_mul_f64 v[36:37], v[60:61], v[68:69]
	v_mul_f64 v[40:41], v[58:59], v[68:69]
	;; [unrolled: 1-line block ×5, first 2 shown]
	v_fma_f64 v[98:99], v[42:43], v[50:51], -v[98:99]
	v_fma_f64 v[100:101], v[44:45], v[50:51], v[100:101]
	v_fma_f64 v[42:43], v[42:43], v[54:55], -v[102:103]
	v_fma_f64 v[44:45], v[44:45], v[54:55], v[104:105]
	;; [unrolled: 2-line block ×4, first 2 shown]
	ds_load_b128 v[26:29], v22 offset:1792
	ds_load_b128 v[30:33], v22 offset:2048
	v_add_f64 v[52:53], v[6:7], v[86:87]
	v_add_f64 v[18:19], v[18:19], v[88:89]
	;; [unrolled: 1-line block ×8, first 2 shown]
	s_waitcnt lgkmcnt(2)
	v_mul_f64 v[86:87], v[64:65], v[84:85]
	v_mul_f64 v[88:89], v[62:63], v[84:85]
	s_waitcnt lgkmcnt(1)
	v_mul_f64 v[90:91], v[64:65], v[28:29]
	v_mul_f64 v[92:93], v[62:63], v[28:29]
	;; [unrolled: 1-line block ×6, first 2 shown]
	v_fma_f64 v[106:107], v[58:59], v[66:67], -v[36:37]
	v_fma_f64 v[108:109], v[60:61], v[66:67], v[40:41]
	v_fma_f64 v[58:59], v[58:59], v[70:71], -v[96:97]
	v_fma_f64 v[60:61], v[60:61], v[70:71], v[112:113]
	;; [unrolled: 2-line block ×4, first 2 shown]
	ds_load_b128 v[0:3], v22 offset:2304
	ds_load_b128 v[4:7], v23 offset:64
	v_add_f64 v[52:53], v[52:53], v[98:99]
	v_add_f64 v[72:73], v[18:19], v[100:101]
	;; [unrolled: 1-line block ×8, first 2 shown]
	ds_load_b128 v[12:15], v23 offset:2112
	ds_load_b128 v[16:19], v23 offset:80
	;; [unrolled: 1-line block ×4, first 2 shown]
	s_waitcnt lgkmcnt(4)
	v_mul_f64 v[56:57], v[6:7], v[32:33]
	v_mul_f64 v[74:75], v[4:5], v[32:33]
	;; [unrolled: 1-line block ×4, first 2 shown]
	v_fma_f64 v[86:87], v[62:63], v[82:83], -v[86:87]
	v_fma_f64 v[88:89], v[64:65], v[82:83], v[88:89]
	v_fma_f64 v[62:63], v[62:63], v[26:27], -v[90:91]
	v_fma_f64 v[64:65], v[64:65], v[26:27], v[92:93]
	;; [unrolled: 2-line block ×4, first 2 shown]
	s_waitcnt lgkmcnt(3)
	v_mul_f64 v[100:101], v[14:15], v[32:33]
	v_mul_f64 v[32:33], v[12:13], v[32:33]
	v_mul_f64 v[102:103], v[14:15], v[2:3]
	v_mul_f64 v[2:3], v[12:13], v[2:3]
	s_waitcnt lgkmcnt(0)
	v_mul_f64 v[92:93], v[18:19], v[40:41]
	v_mul_f64 v[94:95], v[16:17], v[40:41]
	v_add_f64 v[84:85], v[52:53], v[106:107]
	v_add_f64 v[72:73], v[72:73], v[108:109]
	;; [unrolled: 1-line block ×8, first 2 shown]
	ds_load_b128 v[26:29], v22 offset:2816
	ds_load_b128 v[42:45], v22 offset:3072
	;; [unrolled: 1-line block ×4, first 2 shown]
	v_mul_f64 v[106:107], v[36:37], v[40:41]
	v_mul_f64 v[40:41], v[34:35], v[40:41]
	v_fma_f64 v[56:57], v[4:5], v[30:31], -v[56:57]
	v_fma_f64 v[74:75], v[6:7], v[30:31], v[74:75]
	v_fma_f64 v[76:77], v[4:5], v[0:1], -v[76:77]
	v_fma_f64 v[98:99], v[6:7], v[0:1], v[98:99]
	s_waitcnt lgkmcnt(3)
	v_mul_f64 v[96:97], v[18:19], v[28:29]
	v_mul_f64 v[104:105], v[16:17], v[28:29]
	;; [unrolled: 1-line block ×4, first 2 shown]
	v_fma_f64 v[100:101], v[12:13], v[30:31], -v[100:101]
	v_fma_f64 v[32:33], v[14:15], v[30:31], v[32:33]
	v_fma_f64 v[102:103], v[12:13], v[0:1], -v[102:103]
	v_fma_f64 v[112:113], v[14:15], v[0:1], v[2:3]
	ds_load_b128 v[0:3], v23 offset:2144
	ds_load_b128 v[4:7], v23 offset:112
	;; [unrolled: 1-line block ×4, first 2 shown]
	v_add_f64 v[84:85], v[84:85], v[86:87]
	v_add_f64 v[72:73], v[72:73], v[88:89]
	;; [unrolled: 1-line block ×8, first 2 shown]
	s_waitcnt lgkmcnt(4)
	v_mul_f64 v[68:69], v[52:53], v[44:45]
	v_mul_f64 v[70:71], v[50:51], v[44:45]
	;; [unrolled: 1-line block ×4, first 2 shown]
	s_waitcnt lgkmcnt(3)
	v_mul_f64 v[82:83], v[2:3], v[44:45]
	v_mul_f64 v[44:45], v[0:1], v[44:45]
	;; [unrolled: 1-line block ×4, first 2 shown]
	v_fma_f64 v[88:89], v[16:17], v[38:39], -v[92:93]
	v_fma_f64 v[90:91], v[18:19], v[38:39], v[94:95]
	v_fma_f64 v[92:93], v[16:17], v[26:27], -v[96:97]
	v_fma_f64 v[94:95], v[18:19], v[26:27], v[104:105]
	v_fma_f64 v[96:97], v[34:35], v[38:39], -v[106:107]
	v_fma_f64 v[38:39], v[36:37], v[38:39], v[40:41]
	v_fma_f64 v[34:35], v[34:35], v[26:27], -v[108:109]
	v_fma_f64 v[26:27], v[36:37], v[26:27], v[110:111]
	ds_load_b128 v[16:19], v22 offset:3840
	s_waitcnt lgkmcnt(0)
	s_barrier
	buffer_gl0_inv
	v_add_f64 v[36:37], v[84:85], v[56:57]
	v_add_f64 v[40:41], v[72:73], v[74:75]
	;; [unrolled: 1-line block ×8, first 2 shown]
	v_mul_f64 v[64:65], v[6:7], v[30:31]
	v_mul_f64 v[66:67], v[4:5], v[30:31]
	;; [unrolled: 1-line block ×4, first 2 shown]
	v_fma_f64 v[68:69], v[50:51], v[42:43], -v[68:69]
	v_mul_f64 v[72:73], v[6:7], v[18:19]
	v_mul_f64 v[74:75], v[4:5], v[18:19]
	;; [unrolled: 1-line block ×4, first 2 shown]
	v_fma_f64 v[70:71], v[52:53], v[42:43], v[70:71]
	v_fma_f64 v[50:51], v[50:51], v[46:47], -v[78:79]
	v_fma_f64 v[52:53], v[52:53], v[46:47], v[80:81]
	v_fma_f64 v[78:79], v[0:1], v[42:43], -v[82:83]
	v_fma_f64 v[42:43], v[2:3], v[42:43], v[44:45]
	v_fma_f64 v[0:1], v[0:1], v[46:47], -v[86:87]
	v_fma_f64 v[2:3], v[2:3], v[46:47], v[48:49]
	v_add_f64 v[36:37], v[36:37], v[88:89]
	v_add_f64 v[40:41], v[40:41], v[90:91]
	;; [unrolled: 1-line block ×8, first 2 shown]
	v_fma_f64 v[38:39], v[4:5], v[28:29], -v[64:65]
	v_fma_f64 v[54:55], v[6:7], v[28:29], v[66:67]
	v_fma_f64 v[58:59], v[12:13], v[28:29], -v[76:77]
	v_fma_f64 v[28:29], v[14:15], v[28:29], v[30:31]
	;; [unrolled: 2-line block ×4, first 2 shown]
	v_add_f64 v[6:7], v[36:37], v[68:69]
	v_add_f64 v[14:15], v[40:41], v[70:71]
	;; [unrolled: 1-line block ×16, first 2 shown]
	s_cbranch_vccz .LBB1789_2
.LBB1789_3:
	v_add_nc_u32_e32 v21, s19, v21
	s_load_b32 s4, s[0:1], 0x0
	s_delay_alu instid0(VALU_DEP_1) | instskip(SKIP_2) | instid1(VALU_DEP_3)
	v_ashrrev_i32_e32 v10, 31, v21
	v_mul_lo_u32 v11, v21, s7
	v_mad_u64_u32 v[8:9], null, v21, s6, 0
	v_mul_lo_u32 v10, v10, s6
	s_delay_alu instid0(VALU_DEP_1) | instskip(SKIP_3) | instid1(VALU_DEP_3)
	v_add3_u32 v9, v9, v11, v10
	v_add_nc_u32_e32 v10, s18, v20
	s_waitcnt lgkmcnt(0)
	v_cmp_gt_i32_e32 vcc_lo, s4, v21
	v_lshlrev_b64 v[8:9], 4, v[8:9]
	s_delay_alu instid0(VALU_DEP_3) | instskip(NEXT) | instid1(VALU_DEP_1)
	v_cmp_le_i32_e64 s0, v10, v21
	s_and_b32 s0, vcc_lo, s0
	s_delay_alu instid0(VALU_DEP_2) | instskip(NEXT) | instid1(VALU_DEP_1)
	v_add_co_u32 v20, s1, s2, v8
	v_add_co_ci_u32_e64 v22, s1, s3, v9, s1
	s_and_saveexec_b32 s5, s0
	s_cbranch_execz .LBB1789_5
; %bb.4:
	v_ashrrev_i32_e32 v11, 31, v10
	v_cmp_ne_u32_e64 s0, v21, v10
	s_delay_alu instid0(VALU_DEP_2) | instskip(NEXT) | instid1(VALU_DEP_2)
	v_lshlrev_b64 v[23:24], 4, v[10:11]
	v_cndmask_b32_e64 v9, 0, v19, s0
	v_cndmask_b32_e64 v8, 0, v18, s0
	s_delay_alu instid0(VALU_DEP_3) | instskip(NEXT) | instid1(VALU_DEP_1)
	v_add_co_u32 v23, s1, v20, v23
	v_add_co_ci_u32_e64 v24, s1, v22, v24, s1
	global_store_b128 v[23:24], v[6:9], off
.LBB1789_5:
	s_or_b32 exec_lo, exec_lo, s5
	v_add_nc_u32_e32 v8, 16, v10
	s_delay_alu instid0(VALU_DEP_1) | instskip(NEXT) | instid1(VALU_DEP_1)
	v_cmp_le_i32_e64 s0, v8, v21
	s_and_b32 s0, vcc_lo, s0
	s_delay_alu instid0(SALU_CYCLE_1)
	s_and_saveexec_b32 s1, s0
	s_cbranch_execz .LBB1789_7
; %bb.6:
	v_ashrrev_i32_e32 v9, 31, v8
	v_cmp_ne_u32_e32 vcc_lo, v21, v8
	s_delay_alu instid0(VALU_DEP_2) | instskip(SKIP_1) | instid1(VALU_DEP_2)
	v_lshlrev_b64 v[18:19], 4, v[8:9]
	v_dual_cndmask_b32 v7, 0, v17 :: v_dual_cndmask_b32 v6, 0, v16
	v_add_co_u32 v17, s0, v20, v18
	s_delay_alu instid0(VALU_DEP_1)
	v_add_co_ci_u32_e64 v18, s0, v22, v19, s0
	global_store_b128 v[17:18], v[4:7], off
.LBB1789_7:
	s_or_b32 exec_lo, exec_lo, s1
	v_add_nc_u32_e32 v9, 16, v21
	s_delay_alu instid0(VALU_DEP_1) | instskip(SKIP_3) | instid1(VALU_DEP_4)
	v_ashrrev_i32_e32 v6, 31, v9
	v_mul_lo_u32 v7, v9, s7
	v_mad_u64_u32 v[4:5], null, v9, s6, 0
	v_cmp_gt_i32_e32 vcc_lo, s4, v9
	v_mul_lo_u32 v6, v6, s6
	v_cmp_le_i32_e64 s0, v10, v9
	s_delay_alu instid0(VALU_DEP_1) | instskip(NEXT) | instid1(VALU_DEP_2)
	s_and_b32 s0, vcc_lo, s0
	v_add3_u32 v5, v5, v7, v6
	s_delay_alu instid0(VALU_DEP_1) | instskip(NEXT) | instid1(VALU_DEP_1)
	v_lshlrev_b64 v[4:5], 4, v[4:5]
	v_add_co_u32 v6, s1, s2, v4
	s_delay_alu instid0(VALU_DEP_1)
	v_add_co_ci_u32_e64 v7, s1, s3, v5, s1
	s_and_saveexec_b32 s2, s0
	s_cbranch_execz .LBB1789_9
; %bb.8:
	v_ashrrev_i32_e32 v11, 31, v10
	v_cmp_ne_u32_e64 s0, v9, v10
	s_delay_alu instid0(VALU_DEP_2) | instskip(NEXT) | instid1(VALU_DEP_2)
	v_lshlrev_b64 v[16:17], 4, v[10:11]
	v_cndmask_b32_e64 v5, 0, v15, s0
	v_cndmask_b32_e64 v4, 0, v14, s0
	s_delay_alu instid0(VALU_DEP_3) | instskip(NEXT) | instid1(VALU_DEP_1)
	v_add_co_u32 v15, s1, v6, v16
	v_add_co_ci_u32_e64 v16, s1, v7, v17, s1
	global_store_b128 v[15:16], v[2:5], off
.LBB1789_9:
	s_or_b32 exec_lo, exec_lo, s2
	v_cmp_le_i32_e64 s0, v8, v9
	s_delay_alu instid0(VALU_DEP_1) | instskip(NEXT) | instid1(SALU_CYCLE_1)
	s_and_b32 s0, vcc_lo, s0
	s_and_saveexec_b32 s1, s0
	s_cbranch_execz .LBB1789_11
; %bb.10:
	v_ashrrev_i32_e32 v9, 31, v8
	v_cmp_ne_u32_e32 vcc_lo, v21, v10
	s_delay_alu instid0(VALU_DEP_2) | instskip(SKIP_1) | instid1(VALU_DEP_2)
	v_lshlrev_b64 v[4:5], 4, v[8:9]
	v_dual_cndmask_b32 v3, 0, v13 :: v_dual_cndmask_b32 v2, 0, v12
	v_add_co_u32 v4, s0, v6, v4
	s_delay_alu instid0(VALU_DEP_1)
	v_add_co_ci_u32_e64 v5, s0, v7, v5, s0
	global_store_b128 v[4:5], v[0:3], off
.LBB1789_11:
	s_nop 0
	s_sendmsg sendmsg(MSG_DEALLOC_VGPRS)
	s_endpgm
	.section	.rodata,"a",@progbits
	.p2align	6, 0x0
	.amdhsa_kernel _ZL37rocblas_syrkx_herkx_restricted_kernelIl19rocblas_complex_numIdELi16ELi32ELi8ELi1ELi0ELb1ELc67ELc85EKPKS1_KPS1_EviT_PT9_S7_lS9_S7_lPT10_S7_li
		.amdhsa_group_segment_fixed_size 8192
		.amdhsa_private_segment_fixed_size 0
		.amdhsa_kernarg_size 92
		.amdhsa_user_sgpr_count 13
		.amdhsa_user_sgpr_dispatch_ptr 0
		.amdhsa_user_sgpr_queue_ptr 0
		.amdhsa_user_sgpr_kernarg_segment_ptr 1
		.amdhsa_user_sgpr_dispatch_id 0
		.amdhsa_user_sgpr_private_segment_size 0
		.amdhsa_wavefront_size32 1
		.amdhsa_uses_dynamic_stack 0
		.amdhsa_enable_private_segment 0
		.amdhsa_system_sgpr_workgroup_id_x 1
		.amdhsa_system_sgpr_workgroup_id_y 1
		.amdhsa_system_sgpr_workgroup_id_z 1
		.amdhsa_system_sgpr_workgroup_info 0
		.amdhsa_system_vgpr_workitem_id 1
		.amdhsa_next_free_vgpr 118
		.amdhsa_next_free_sgpr 20
		.amdhsa_reserve_vcc 1
		.amdhsa_float_round_mode_32 0
		.amdhsa_float_round_mode_16_64 0
		.amdhsa_float_denorm_mode_32 3
		.amdhsa_float_denorm_mode_16_64 3
		.amdhsa_dx10_clamp 1
		.amdhsa_ieee_mode 1
		.amdhsa_fp16_overflow 0
		.amdhsa_workgroup_processor_mode 1
		.amdhsa_memory_ordered 1
		.amdhsa_forward_progress 0
		.amdhsa_shared_vgpr_count 0
		.amdhsa_exception_fp_ieee_invalid_op 0
		.amdhsa_exception_fp_denorm_src 0
		.amdhsa_exception_fp_ieee_div_zero 0
		.amdhsa_exception_fp_ieee_overflow 0
		.amdhsa_exception_fp_ieee_underflow 0
		.amdhsa_exception_fp_ieee_inexact 0
		.amdhsa_exception_int_div_zero 0
	.end_amdhsa_kernel
	.section	.text._ZL37rocblas_syrkx_herkx_restricted_kernelIl19rocblas_complex_numIdELi16ELi32ELi8ELi1ELi0ELb1ELc67ELc85EKPKS1_KPS1_EviT_PT9_S7_lS9_S7_lPT10_S7_li,"axG",@progbits,_ZL37rocblas_syrkx_herkx_restricted_kernelIl19rocblas_complex_numIdELi16ELi32ELi8ELi1ELi0ELb1ELc67ELc85EKPKS1_KPS1_EviT_PT9_S7_lS9_S7_lPT10_S7_li,comdat
.Lfunc_end1789:
	.size	_ZL37rocblas_syrkx_herkx_restricted_kernelIl19rocblas_complex_numIdELi16ELi32ELi8ELi1ELi0ELb1ELc67ELc85EKPKS1_KPS1_EviT_PT9_S7_lS9_S7_lPT10_S7_li, .Lfunc_end1789-_ZL37rocblas_syrkx_herkx_restricted_kernelIl19rocblas_complex_numIdELi16ELi32ELi8ELi1ELi0ELb1ELc67ELc85EKPKS1_KPS1_EviT_PT9_S7_lS9_S7_lPT10_S7_li
                                        ; -- End function
	.section	.AMDGPU.csdata,"",@progbits
; Kernel info:
; codeLenInByte = 3084
; NumSgprs: 22
; NumVgprs: 118
; ScratchSize: 0
; MemoryBound: 0
; FloatMode: 240
; IeeeMode: 1
; LDSByteSize: 8192 bytes/workgroup (compile time only)
; SGPRBlocks: 2
; VGPRBlocks: 14
; NumSGPRsForWavesPerEU: 22
; NumVGPRsForWavesPerEU: 118
; Occupancy: 12
; WaveLimiterHint : 1
; COMPUTE_PGM_RSRC2:SCRATCH_EN: 0
; COMPUTE_PGM_RSRC2:USER_SGPR: 13
; COMPUTE_PGM_RSRC2:TRAP_HANDLER: 0
; COMPUTE_PGM_RSRC2:TGID_X_EN: 1
; COMPUTE_PGM_RSRC2:TGID_Y_EN: 1
; COMPUTE_PGM_RSRC2:TGID_Z_EN: 1
; COMPUTE_PGM_RSRC2:TIDIG_COMP_CNT: 1
	.section	.text._ZL37rocblas_syrkx_herkx_restricted_kernelIl19rocblas_complex_numIdELi16ELi32ELi8ELi1ELi0ELb1ELc78ELc85EKPKS1_KPS1_EviT_PT9_S7_lS9_S7_lPT10_S7_li,"axG",@progbits,_ZL37rocblas_syrkx_herkx_restricted_kernelIl19rocblas_complex_numIdELi16ELi32ELi8ELi1ELi0ELb1ELc78ELc85EKPKS1_KPS1_EviT_PT9_S7_lS9_S7_lPT10_S7_li,comdat
	.globl	_ZL37rocblas_syrkx_herkx_restricted_kernelIl19rocblas_complex_numIdELi16ELi32ELi8ELi1ELi0ELb1ELc78ELc85EKPKS1_KPS1_EviT_PT9_S7_lS9_S7_lPT10_S7_li ; -- Begin function _ZL37rocblas_syrkx_herkx_restricted_kernelIl19rocblas_complex_numIdELi16ELi32ELi8ELi1ELi0ELb1ELc78ELc85EKPKS1_KPS1_EviT_PT9_S7_lS9_S7_lPT10_S7_li
	.p2align	8
	.type	_ZL37rocblas_syrkx_herkx_restricted_kernelIl19rocblas_complex_numIdELi16ELi32ELi8ELi1ELi0ELb1ELc78ELc85EKPKS1_KPS1_EviT_PT9_S7_lS9_S7_lPT10_S7_li,@function
_ZL37rocblas_syrkx_herkx_restricted_kernelIl19rocblas_complex_numIdELi16ELi32ELi8ELi1ELi0ELb1ELc78ELc85EKPKS1_KPS1_EviT_PT9_S7_lS9_S7_lPT10_S7_li: ; @_ZL37rocblas_syrkx_herkx_restricted_kernelIl19rocblas_complex_numIdELi16ELi32ELi8ELi1ELi0ELb1ELc78ELc85EKPKS1_KPS1_EviT_PT9_S7_lS9_S7_lPT10_S7_li
; %bb.0:
	s_clause 0x1
	s_load_b128 s[4:7], s[0:1], 0x40
	s_load_b128 s[8:11], s[0:1], 0x8
	s_mov_b32 s2, s15
	s_mov_b32 s3, 0
	v_mov_b32_e32 v6, 0
	s_lshl_b64 s[16:17], s[2:3], 3
	v_dual_mov_b32 v7, 0 :: v_dual_and_b32 v20, 0x3ff, v0
	v_bfe_u32 v21, v0, 10, 10
	s_delay_alu instid0(VALU_DEP_3) | instskip(NEXT) | instid1(VALU_DEP_3)
	v_mov_b32_e32 v4, v6
	v_dual_mov_b32 v2, v6 :: v_dual_mov_b32 v3, v7
	v_dual_mov_b32 v19, v7 :: v_dual_mov_b32 v18, v6
	v_mov_b32_e32 v5, v7
	v_dual_mov_b32 v17, v7 :: v_dual_mov_b32 v16, v6
	v_dual_mov_b32 v15, v7 :: v_dual_mov_b32 v14, v6
	v_dual_mov_b32 v0, v6 :: v_dual_mov_b32 v1, v7
	s_waitcnt lgkmcnt(0)
	s_add_u32 s2, s4, s16
	s_addc_u32 s3, s5, s17
	v_cmp_lt_i64_e64 s4, s[8:9], 1
	s_load_b64 s[2:3], s[2:3], 0x0
	v_dual_mov_b32 v13, v7 :: v_dual_mov_b32 v12, v6
	s_lshl_b32 s18, s13, 5
	s_lshl_b32 s19, s14, 5
	s_delay_alu instid0(VALU_DEP_2)
	s_and_b32 vcc_lo, exec_lo, s4
	s_cbranch_vccnz .LBB1790_3
; %bb.1:
	v_lshl_add_u32 v1, v21, 4, v20
	s_clause 0x1
	s_load_b64 s[4:5], s[0:1], 0x18
	s_load_b128 s[12:15], s[0:1], 0x28
	v_mov_b32_e32 v12, 0
	s_add_u32 s10, s10, s16
	s_addc_u32 s11, s11, s17
	v_lshrrev_b32_e32 v10, 3, v1
	v_and_b32_e32 v9, 31, v1
	v_lshrrev_b32_e32 v11, 5, v1
	s_load_b64 s[10:11], s[10:11], 0x0
	v_lshl_add_u32 v23, v21, 7, 0x1000
	v_dual_mov_b32 v13, 0 :: v_dual_add_nc_u32 v2, s19, v10
	v_and_b32_e32 v14, 7, v20
	s_delay_alu instid0(VALU_DEP_2) | instskip(NEXT) | instid1(VALU_DEP_3)
	v_ashrrev_i32_e32 v3, 31, v2
	v_dual_mov_b32 v17, v13 :: v_dual_mov_b32 v16, v12
	v_dual_mov_b32 v19, v13 :: v_dual_mov_b32 v18, v12
	s_waitcnt lgkmcnt(0)
	s_delay_alu instid0(VALU_DEP_3) | instskip(SKIP_4) | instid1(VALU_DEP_1)
	v_mad_u64_u32 v[6:7], null, v14, s14, v[2:3]
	v_add_nc_u32_e32 v0, s18, v9
	s_add_u32 s12, s12, s16
	s_addc_u32 s13, s13, s17
	s_load_b64 s[12:13], s[12:13], 0x0
	v_ashrrev_i32_e32 v1, 31, v0
	s_delay_alu instid0(VALU_DEP_1) | instskip(NEXT) | instid1(VALU_DEP_1)
	v_mad_u64_u32 v[4:5], null, v11, s4, v[0:1]
	v_dual_mov_b32 v1, v7 :: v_dual_mov_b32 v0, v5
	s_delay_alu instid0(VALU_DEP_1) | instskip(SKIP_2) | instid1(VALU_DEP_2)
	v_mad_u64_u32 v[2:3], null, v11, s5, v[0:1]
	v_lshlrev_b32_e32 v22, 4, v20
	s_lshl_b64 s[4:5], s[4:5], 7
	v_mov_b32_e32 v5, v2
	v_mad_u64_u32 v[7:8], null, v14, s15, v[1:2]
	v_dual_mov_b32 v0, v12 :: v_dual_mov_b32 v1, v13
	s_delay_alu instid0(VALU_DEP_3)
	v_lshlrev_b64 v[4:5], 4, v[4:5]
	v_lshlrev_b32_e32 v3, 4, v14
	v_dual_mov_b32 v15, v13 :: v_dual_lshlrev_b32 v8, 4, v9
	v_lshlrev_b64 v[6:7], 4, v[6:7]
	v_mov_b32_e32 v14, v12
	v_add_co_u32 v4, vcc_lo, v4, s10
	v_add_co_ci_u32_e32 v5, vcc_lo, s11, v5, vcc_lo
	v_lshl_or_b32 v9, v10, 7, v3
	s_waitcnt lgkmcnt(0)
	v_add_co_u32 v6, vcc_lo, v6, s12
	v_add_co_ci_u32_e32 v7, vcc_lo, s13, v7, vcc_lo
	v_lshl_or_b32 v24, v11, 9, v8
	v_add_co_u32 v8, vcc_lo, v4, 8
	v_dual_mov_b32 v2, v12 :: v_dual_add_nc_u32 v25, 0x1000, v9
	v_add_co_ci_u32_e32 v9, vcc_lo, 0, v5, vcc_lo
	v_add_co_u32 v10, vcc_lo, v6, 8
	v_add_co_ci_u32_e32 v11, vcc_lo, 0, v7, vcc_lo
	v_mov_b32_e32 v4, v12
	v_dual_mov_b32 v6, v12 :: v_dual_mov_b32 v3, v13
	v_mov_b32_e32 v5, v13
	v_mov_b32_e32 v7, v13
	s_lshl_b64 s[10:11], s[14:15], 7
	s_mov_b64 s[12:13], 0
.LBB1790_2:                             ; =>This Inner Loop Header: Depth=1
	global_load_b128 v[26:29], v[10:11], off offset:-8
	global_load_b128 v[30:33], v[8:9], off offset:-8
	s_add_u32 s12, s12, 8
	v_add_co_u32 v8, vcc_lo, v8, s4
	s_addc_u32 s13, s13, 0
	v_add_co_ci_u32_e32 v9, vcc_lo, s5, v9, vcc_lo
	v_cmp_ge_u64_e64 s14, s[12:13], s[8:9]
	v_add_co_u32 v10, vcc_lo, v10, s10
	v_add_co_ci_u32_e32 v11, vcc_lo, s11, v11, vcc_lo
	s_delay_alu instid0(VALU_DEP_3)
	s_and_b32 vcc_lo, exec_lo, s14
	s_waitcnt vmcnt(1)
	v_xor_b32_e32 v29, 0x80000000, v29
	s_waitcnt vmcnt(0)
	ds_store_b128 v24, v[30:33]
	ds_store_b128 v25, v[26:29]
	s_waitcnt lgkmcnt(0)
	s_barrier
	buffer_gl0_inv
	ds_load_b128 v[26:29], v23
	ds_load_b128 v[30:33], v22
	ds_load_b128 v[34:37], v22 offset:256
	ds_load_b128 v[38:41], v23 offset:2048
	;; [unrolled: 1-line block ×13, first 2 shown]
	s_waitcnt lgkmcnt(13)
	v_mul_f64 v[86:87], v[28:29], v[32:33]
	v_mul_f64 v[88:89], v[26:27], v[32:33]
	s_waitcnt lgkmcnt(12)
	v_mul_f64 v[90:91], v[28:29], v[36:37]
	v_mul_f64 v[92:93], v[26:27], v[36:37]
	;; [unrolled: 3-line block ×3, first 2 shown]
	v_mul_f64 v[96:97], v[40:41], v[36:37]
	v_mul_f64 v[36:37], v[38:39], v[36:37]
	s_waitcnt lgkmcnt(8)
	v_mul_f64 v[98:99], v[44:45], v[52:53]
	v_mul_f64 v[100:101], v[42:43], v[52:53]
	s_waitcnt lgkmcnt(7)
	v_mul_f64 v[102:103], v[44:45], v[56:57]
	v_mul_f64 v[104:105], v[42:43], v[56:57]
	v_mul_f64 v[106:107], v[48:49], v[52:53]
	v_mul_f64 v[52:53], v[46:47], v[52:53]
	v_mul_f64 v[108:109], v[48:49], v[56:57]
	v_mul_f64 v[56:57], v[46:47], v[56:57]
	s_waitcnt lgkmcnt(3)
	v_mul_f64 v[112:113], v[58:59], v[72:73]
	s_waitcnt lgkmcnt(2)
	v_mul_f64 v[114:115], v[76:77], v[68:69]
	v_mul_f64 v[116:117], v[76:77], v[72:73]
	v_fma_f64 v[86:87], v[26:27], v[30:31], -v[86:87]
	v_fma_f64 v[88:89], v[28:29], v[30:31], v[88:89]
	v_fma_f64 v[90:91], v[26:27], v[34:35], -v[90:91]
	v_fma_f64 v[92:93], v[28:29], v[34:35], v[92:93]
	;; [unrolled: 2-line block ×4, first 2 shown]
	v_mul_f64 v[36:37], v[60:61], v[68:69]
	v_mul_f64 v[40:41], v[58:59], v[68:69]
	;; [unrolled: 1-line block ×5, first 2 shown]
	v_fma_f64 v[98:99], v[42:43], v[50:51], -v[98:99]
	v_fma_f64 v[100:101], v[44:45], v[50:51], v[100:101]
	v_fma_f64 v[42:43], v[42:43], v[54:55], -v[102:103]
	v_fma_f64 v[44:45], v[44:45], v[54:55], v[104:105]
	;; [unrolled: 2-line block ×4, first 2 shown]
	ds_load_b128 v[26:29], v22 offset:1792
	ds_load_b128 v[30:33], v22 offset:2048
	v_add_f64 v[52:53], v[6:7], v[86:87]
	v_add_f64 v[18:19], v[18:19], v[88:89]
	;; [unrolled: 1-line block ×8, first 2 shown]
	s_waitcnt lgkmcnt(2)
	v_mul_f64 v[86:87], v[64:65], v[84:85]
	v_mul_f64 v[88:89], v[62:63], v[84:85]
	s_waitcnt lgkmcnt(1)
	v_mul_f64 v[90:91], v[64:65], v[28:29]
	v_mul_f64 v[92:93], v[62:63], v[28:29]
	;; [unrolled: 1-line block ×6, first 2 shown]
	v_fma_f64 v[106:107], v[58:59], v[66:67], -v[36:37]
	v_fma_f64 v[108:109], v[60:61], v[66:67], v[40:41]
	v_fma_f64 v[58:59], v[58:59], v[70:71], -v[96:97]
	v_fma_f64 v[60:61], v[60:61], v[70:71], v[112:113]
	;; [unrolled: 2-line block ×4, first 2 shown]
	ds_load_b128 v[0:3], v22 offset:2304
	ds_load_b128 v[4:7], v23 offset:64
	v_add_f64 v[52:53], v[52:53], v[98:99]
	v_add_f64 v[72:73], v[18:19], v[100:101]
	;; [unrolled: 1-line block ×8, first 2 shown]
	ds_load_b128 v[12:15], v23 offset:2112
	ds_load_b128 v[16:19], v23 offset:80
	;; [unrolled: 1-line block ×4, first 2 shown]
	s_waitcnt lgkmcnt(4)
	v_mul_f64 v[56:57], v[6:7], v[32:33]
	v_mul_f64 v[74:75], v[4:5], v[32:33]
	;; [unrolled: 1-line block ×4, first 2 shown]
	v_fma_f64 v[86:87], v[62:63], v[82:83], -v[86:87]
	v_fma_f64 v[88:89], v[64:65], v[82:83], v[88:89]
	v_fma_f64 v[62:63], v[62:63], v[26:27], -v[90:91]
	v_fma_f64 v[64:65], v[64:65], v[26:27], v[92:93]
	;; [unrolled: 2-line block ×4, first 2 shown]
	s_waitcnt lgkmcnt(3)
	v_mul_f64 v[100:101], v[14:15], v[32:33]
	v_mul_f64 v[32:33], v[12:13], v[32:33]
	;; [unrolled: 1-line block ×4, first 2 shown]
	s_waitcnt lgkmcnt(0)
	v_mul_f64 v[92:93], v[18:19], v[40:41]
	v_mul_f64 v[94:95], v[16:17], v[40:41]
	v_add_f64 v[84:85], v[52:53], v[106:107]
	v_add_f64 v[72:73], v[72:73], v[108:109]
	;; [unrolled: 1-line block ×8, first 2 shown]
	ds_load_b128 v[26:29], v22 offset:2816
	ds_load_b128 v[42:45], v22 offset:3072
	;; [unrolled: 1-line block ×4, first 2 shown]
	v_mul_f64 v[106:107], v[36:37], v[40:41]
	v_mul_f64 v[40:41], v[34:35], v[40:41]
	v_fma_f64 v[56:57], v[4:5], v[30:31], -v[56:57]
	v_fma_f64 v[74:75], v[6:7], v[30:31], v[74:75]
	v_fma_f64 v[76:77], v[4:5], v[0:1], -v[76:77]
	v_fma_f64 v[98:99], v[6:7], v[0:1], v[98:99]
	s_waitcnt lgkmcnt(3)
	v_mul_f64 v[96:97], v[18:19], v[28:29]
	v_mul_f64 v[104:105], v[16:17], v[28:29]
	;; [unrolled: 1-line block ×4, first 2 shown]
	v_fma_f64 v[100:101], v[12:13], v[30:31], -v[100:101]
	v_fma_f64 v[32:33], v[14:15], v[30:31], v[32:33]
	v_fma_f64 v[102:103], v[12:13], v[0:1], -v[102:103]
	v_fma_f64 v[112:113], v[14:15], v[0:1], v[2:3]
	ds_load_b128 v[0:3], v23 offset:2144
	ds_load_b128 v[4:7], v23 offset:112
	;; [unrolled: 1-line block ×4, first 2 shown]
	v_add_f64 v[84:85], v[84:85], v[86:87]
	v_add_f64 v[72:73], v[72:73], v[88:89]
	;; [unrolled: 1-line block ×8, first 2 shown]
	s_waitcnt lgkmcnt(4)
	v_mul_f64 v[68:69], v[52:53], v[44:45]
	v_mul_f64 v[70:71], v[50:51], v[44:45]
	;; [unrolled: 1-line block ×4, first 2 shown]
	s_waitcnt lgkmcnt(3)
	v_mul_f64 v[82:83], v[2:3], v[44:45]
	v_mul_f64 v[44:45], v[0:1], v[44:45]
	;; [unrolled: 1-line block ×4, first 2 shown]
	v_fma_f64 v[88:89], v[16:17], v[38:39], -v[92:93]
	v_fma_f64 v[90:91], v[18:19], v[38:39], v[94:95]
	v_fma_f64 v[92:93], v[16:17], v[26:27], -v[96:97]
	v_fma_f64 v[94:95], v[18:19], v[26:27], v[104:105]
	;; [unrolled: 2-line block ×4, first 2 shown]
	ds_load_b128 v[16:19], v22 offset:3840
	s_waitcnt lgkmcnt(0)
	s_barrier
	buffer_gl0_inv
	v_add_f64 v[36:37], v[84:85], v[56:57]
	v_add_f64 v[40:41], v[72:73], v[74:75]
	;; [unrolled: 1-line block ×8, first 2 shown]
	v_mul_f64 v[64:65], v[6:7], v[30:31]
	v_mul_f64 v[66:67], v[4:5], v[30:31]
	;; [unrolled: 1-line block ×4, first 2 shown]
	v_fma_f64 v[68:69], v[50:51], v[42:43], -v[68:69]
	v_mul_f64 v[72:73], v[6:7], v[18:19]
	v_mul_f64 v[74:75], v[4:5], v[18:19]
	;; [unrolled: 1-line block ×4, first 2 shown]
	v_fma_f64 v[70:71], v[52:53], v[42:43], v[70:71]
	v_fma_f64 v[50:51], v[50:51], v[46:47], -v[78:79]
	v_fma_f64 v[52:53], v[52:53], v[46:47], v[80:81]
	v_fma_f64 v[78:79], v[0:1], v[42:43], -v[82:83]
	;; [unrolled: 2-line block ×3, first 2 shown]
	v_fma_f64 v[2:3], v[2:3], v[46:47], v[48:49]
	v_add_f64 v[36:37], v[36:37], v[88:89]
	v_add_f64 v[40:41], v[40:41], v[90:91]
	;; [unrolled: 1-line block ×8, first 2 shown]
	v_fma_f64 v[38:39], v[4:5], v[28:29], -v[64:65]
	v_fma_f64 v[54:55], v[6:7], v[28:29], v[66:67]
	v_fma_f64 v[58:59], v[12:13], v[28:29], -v[76:77]
	v_fma_f64 v[28:29], v[14:15], v[28:29], v[30:31]
	;; [unrolled: 2-line block ×4, first 2 shown]
	v_add_f64 v[6:7], v[36:37], v[68:69]
	v_add_f64 v[14:15], v[40:41], v[70:71]
	;; [unrolled: 1-line block ×16, first 2 shown]
	s_cbranch_vccz .LBB1790_2
.LBB1790_3:
	v_add_nc_u32_e32 v21, s19, v21
	s_load_b32 s4, s[0:1], 0x0
	s_delay_alu instid0(VALU_DEP_1) | instskip(SKIP_2) | instid1(VALU_DEP_3)
	v_ashrrev_i32_e32 v10, 31, v21
	v_mul_lo_u32 v11, v21, s7
	v_mad_u64_u32 v[8:9], null, v21, s6, 0
	v_mul_lo_u32 v10, v10, s6
	s_delay_alu instid0(VALU_DEP_1) | instskip(SKIP_3) | instid1(VALU_DEP_3)
	v_add3_u32 v9, v9, v11, v10
	v_add_nc_u32_e32 v10, s18, v20
	s_waitcnt lgkmcnt(0)
	v_cmp_gt_i32_e32 vcc_lo, s4, v21
	v_lshlrev_b64 v[8:9], 4, v[8:9]
	s_delay_alu instid0(VALU_DEP_3) | instskip(NEXT) | instid1(VALU_DEP_1)
	v_cmp_le_i32_e64 s0, v10, v21
	s_and_b32 s0, vcc_lo, s0
	s_delay_alu instid0(VALU_DEP_2) | instskip(NEXT) | instid1(VALU_DEP_1)
	v_add_co_u32 v20, s1, s2, v8
	v_add_co_ci_u32_e64 v22, s1, s3, v9, s1
	s_and_saveexec_b32 s5, s0
	s_cbranch_execz .LBB1790_5
; %bb.4:
	v_ashrrev_i32_e32 v11, 31, v10
	v_cmp_ne_u32_e64 s0, v21, v10
	s_delay_alu instid0(VALU_DEP_2) | instskip(NEXT) | instid1(VALU_DEP_2)
	v_lshlrev_b64 v[23:24], 4, v[10:11]
	v_cndmask_b32_e64 v9, 0, v19, s0
	v_cndmask_b32_e64 v8, 0, v18, s0
	s_delay_alu instid0(VALU_DEP_3) | instskip(NEXT) | instid1(VALU_DEP_1)
	v_add_co_u32 v23, s1, v20, v23
	v_add_co_ci_u32_e64 v24, s1, v22, v24, s1
	global_store_b128 v[23:24], v[6:9], off
.LBB1790_5:
	s_or_b32 exec_lo, exec_lo, s5
	v_add_nc_u32_e32 v8, 16, v10
	s_delay_alu instid0(VALU_DEP_1) | instskip(NEXT) | instid1(VALU_DEP_1)
	v_cmp_le_i32_e64 s0, v8, v21
	s_and_b32 s0, vcc_lo, s0
	s_delay_alu instid0(SALU_CYCLE_1)
	s_and_saveexec_b32 s1, s0
	s_cbranch_execz .LBB1790_7
; %bb.6:
	v_ashrrev_i32_e32 v9, 31, v8
	v_cmp_ne_u32_e32 vcc_lo, v21, v8
	s_delay_alu instid0(VALU_DEP_2) | instskip(SKIP_1) | instid1(VALU_DEP_2)
	v_lshlrev_b64 v[18:19], 4, v[8:9]
	v_dual_cndmask_b32 v7, 0, v17 :: v_dual_cndmask_b32 v6, 0, v16
	v_add_co_u32 v17, s0, v20, v18
	s_delay_alu instid0(VALU_DEP_1)
	v_add_co_ci_u32_e64 v18, s0, v22, v19, s0
	global_store_b128 v[17:18], v[4:7], off
.LBB1790_7:
	s_or_b32 exec_lo, exec_lo, s1
	v_add_nc_u32_e32 v9, 16, v21
	s_delay_alu instid0(VALU_DEP_1) | instskip(SKIP_3) | instid1(VALU_DEP_4)
	v_ashrrev_i32_e32 v6, 31, v9
	v_mul_lo_u32 v7, v9, s7
	v_mad_u64_u32 v[4:5], null, v9, s6, 0
	v_cmp_gt_i32_e32 vcc_lo, s4, v9
	v_mul_lo_u32 v6, v6, s6
	v_cmp_le_i32_e64 s0, v10, v9
	s_delay_alu instid0(VALU_DEP_1) | instskip(NEXT) | instid1(VALU_DEP_2)
	s_and_b32 s0, vcc_lo, s0
	v_add3_u32 v5, v5, v7, v6
	s_delay_alu instid0(VALU_DEP_1) | instskip(NEXT) | instid1(VALU_DEP_1)
	v_lshlrev_b64 v[4:5], 4, v[4:5]
	v_add_co_u32 v6, s1, s2, v4
	s_delay_alu instid0(VALU_DEP_1)
	v_add_co_ci_u32_e64 v7, s1, s3, v5, s1
	s_and_saveexec_b32 s2, s0
	s_cbranch_execz .LBB1790_9
; %bb.8:
	v_ashrrev_i32_e32 v11, 31, v10
	v_cmp_ne_u32_e64 s0, v9, v10
	s_delay_alu instid0(VALU_DEP_2) | instskip(NEXT) | instid1(VALU_DEP_2)
	v_lshlrev_b64 v[16:17], 4, v[10:11]
	v_cndmask_b32_e64 v5, 0, v15, s0
	v_cndmask_b32_e64 v4, 0, v14, s0
	s_delay_alu instid0(VALU_DEP_3) | instskip(NEXT) | instid1(VALU_DEP_1)
	v_add_co_u32 v15, s1, v6, v16
	v_add_co_ci_u32_e64 v16, s1, v7, v17, s1
	global_store_b128 v[15:16], v[2:5], off
.LBB1790_9:
	s_or_b32 exec_lo, exec_lo, s2
	v_cmp_le_i32_e64 s0, v8, v9
	s_delay_alu instid0(VALU_DEP_1) | instskip(NEXT) | instid1(SALU_CYCLE_1)
	s_and_b32 s0, vcc_lo, s0
	s_and_saveexec_b32 s1, s0
	s_cbranch_execz .LBB1790_11
; %bb.10:
	v_ashrrev_i32_e32 v9, 31, v8
	v_cmp_ne_u32_e32 vcc_lo, v21, v10
	s_delay_alu instid0(VALU_DEP_2) | instskip(SKIP_1) | instid1(VALU_DEP_2)
	v_lshlrev_b64 v[4:5], 4, v[8:9]
	v_dual_cndmask_b32 v3, 0, v13 :: v_dual_cndmask_b32 v2, 0, v12
	v_add_co_u32 v4, s0, v6, v4
	s_delay_alu instid0(VALU_DEP_1)
	v_add_co_ci_u32_e64 v5, s0, v7, v5, s0
	global_store_b128 v[4:5], v[0:3], off
.LBB1790_11:
	s_nop 0
	s_sendmsg sendmsg(MSG_DEALLOC_VGPRS)
	s_endpgm
	.section	.rodata,"a",@progbits
	.p2align	6, 0x0
	.amdhsa_kernel _ZL37rocblas_syrkx_herkx_restricted_kernelIl19rocblas_complex_numIdELi16ELi32ELi8ELi1ELi0ELb1ELc78ELc85EKPKS1_KPS1_EviT_PT9_S7_lS9_S7_lPT10_S7_li
		.amdhsa_group_segment_fixed_size 8192
		.amdhsa_private_segment_fixed_size 0
		.amdhsa_kernarg_size 92
		.amdhsa_user_sgpr_count 13
		.amdhsa_user_sgpr_dispatch_ptr 0
		.amdhsa_user_sgpr_queue_ptr 0
		.amdhsa_user_sgpr_kernarg_segment_ptr 1
		.amdhsa_user_sgpr_dispatch_id 0
		.amdhsa_user_sgpr_private_segment_size 0
		.amdhsa_wavefront_size32 1
		.amdhsa_uses_dynamic_stack 0
		.amdhsa_enable_private_segment 0
		.amdhsa_system_sgpr_workgroup_id_x 1
		.amdhsa_system_sgpr_workgroup_id_y 1
		.amdhsa_system_sgpr_workgroup_id_z 1
		.amdhsa_system_sgpr_workgroup_info 0
		.amdhsa_system_vgpr_workitem_id 1
		.amdhsa_next_free_vgpr 118
		.amdhsa_next_free_sgpr 20
		.amdhsa_reserve_vcc 1
		.amdhsa_float_round_mode_32 0
		.amdhsa_float_round_mode_16_64 0
		.amdhsa_float_denorm_mode_32 3
		.amdhsa_float_denorm_mode_16_64 3
		.amdhsa_dx10_clamp 1
		.amdhsa_ieee_mode 1
		.amdhsa_fp16_overflow 0
		.amdhsa_workgroup_processor_mode 1
		.amdhsa_memory_ordered 1
		.amdhsa_forward_progress 0
		.amdhsa_shared_vgpr_count 0
		.amdhsa_exception_fp_ieee_invalid_op 0
		.amdhsa_exception_fp_denorm_src 0
		.amdhsa_exception_fp_ieee_div_zero 0
		.amdhsa_exception_fp_ieee_overflow 0
		.amdhsa_exception_fp_ieee_underflow 0
		.amdhsa_exception_fp_ieee_inexact 0
		.amdhsa_exception_int_div_zero 0
	.end_amdhsa_kernel
	.section	.text._ZL37rocblas_syrkx_herkx_restricted_kernelIl19rocblas_complex_numIdELi16ELi32ELi8ELi1ELi0ELb1ELc78ELc85EKPKS1_KPS1_EviT_PT9_S7_lS9_S7_lPT10_S7_li,"axG",@progbits,_ZL37rocblas_syrkx_herkx_restricted_kernelIl19rocblas_complex_numIdELi16ELi32ELi8ELi1ELi0ELb1ELc78ELc85EKPKS1_KPS1_EviT_PT9_S7_lS9_S7_lPT10_S7_li,comdat
.Lfunc_end1790:
	.size	_ZL37rocblas_syrkx_herkx_restricted_kernelIl19rocblas_complex_numIdELi16ELi32ELi8ELi1ELi0ELb1ELc78ELc85EKPKS1_KPS1_EviT_PT9_S7_lS9_S7_lPT10_S7_li, .Lfunc_end1790-_ZL37rocblas_syrkx_herkx_restricted_kernelIl19rocblas_complex_numIdELi16ELi32ELi8ELi1ELi0ELb1ELc78ELc85EKPKS1_KPS1_EviT_PT9_S7_lS9_S7_lPT10_S7_li
                                        ; -- End function
	.section	.AMDGPU.csdata,"",@progbits
; Kernel info:
; codeLenInByte = 3052
; NumSgprs: 22
; NumVgprs: 118
; ScratchSize: 0
; MemoryBound: 0
; FloatMode: 240
; IeeeMode: 1
; LDSByteSize: 8192 bytes/workgroup (compile time only)
; SGPRBlocks: 2
; VGPRBlocks: 14
; NumSGPRsForWavesPerEU: 22
; NumVGPRsForWavesPerEU: 118
; Occupancy: 12
; WaveLimiterHint : 1
; COMPUTE_PGM_RSRC2:SCRATCH_EN: 0
; COMPUTE_PGM_RSRC2:USER_SGPR: 13
; COMPUTE_PGM_RSRC2:TRAP_HANDLER: 0
; COMPUTE_PGM_RSRC2:TGID_X_EN: 1
; COMPUTE_PGM_RSRC2:TGID_Y_EN: 1
; COMPUTE_PGM_RSRC2:TGID_Z_EN: 1
; COMPUTE_PGM_RSRC2:TIDIG_COMP_CNT: 1
	.section	.text._ZL37rocblas_syrkx_herkx_restricted_kernelIl19rocblas_complex_numIdELi16ELi32ELi8ELin1ELi0ELb1ELc84ELc76EKPKS1_KPS1_EviT_PT9_S7_lS9_S7_lPT10_S7_li,"axG",@progbits,_ZL37rocblas_syrkx_herkx_restricted_kernelIl19rocblas_complex_numIdELi16ELi32ELi8ELin1ELi0ELb1ELc84ELc76EKPKS1_KPS1_EviT_PT9_S7_lS9_S7_lPT10_S7_li,comdat
	.globl	_ZL37rocblas_syrkx_herkx_restricted_kernelIl19rocblas_complex_numIdELi16ELi32ELi8ELin1ELi0ELb1ELc84ELc76EKPKS1_KPS1_EviT_PT9_S7_lS9_S7_lPT10_S7_li ; -- Begin function _ZL37rocblas_syrkx_herkx_restricted_kernelIl19rocblas_complex_numIdELi16ELi32ELi8ELin1ELi0ELb1ELc84ELc76EKPKS1_KPS1_EviT_PT9_S7_lS9_S7_lPT10_S7_li
	.p2align	8
	.type	_ZL37rocblas_syrkx_herkx_restricted_kernelIl19rocblas_complex_numIdELi16ELi32ELi8ELin1ELi0ELb1ELc84ELc76EKPKS1_KPS1_EviT_PT9_S7_lS9_S7_lPT10_S7_li,@function
_ZL37rocblas_syrkx_herkx_restricted_kernelIl19rocblas_complex_numIdELi16ELi32ELi8ELin1ELi0ELb1ELc84ELc76EKPKS1_KPS1_EviT_PT9_S7_lS9_S7_lPT10_S7_li: ; @_ZL37rocblas_syrkx_herkx_restricted_kernelIl19rocblas_complex_numIdELi16ELi32ELi8ELin1ELi0ELb1ELc84ELc76EKPKS1_KPS1_EviT_PT9_S7_lS9_S7_lPT10_S7_li
; %bb.0:
	s_clause 0x1
	s_load_b128 s[4:7], s[0:1], 0x40
	s_load_b128 s[8:11], s[0:1], 0x8
	s_mov_b32 s2, s15
	s_mov_b32 s3, 0
	v_mov_b32_e32 v6, 0
	s_lshl_b64 s[2:3], s[2:3], 3
	v_dual_mov_b32 v7, 0 :: v_dual_and_b32 v20, 0x3ff, v0
	v_bfe_u32 v21, v0, 10, 10
	s_delay_alu instid0(VALU_DEP_3) | instskip(NEXT) | instid1(VALU_DEP_3)
	v_mov_b32_e32 v4, v6
	v_dual_mov_b32 v2, v6 :: v_dual_mov_b32 v3, v7
	v_dual_mov_b32 v19, v7 :: v_dual_mov_b32 v18, v6
	v_mov_b32_e32 v5, v7
	v_dual_mov_b32 v17, v7 :: v_dual_mov_b32 v16, v6
	v_dual_mov_b32 v15, v7 :: v_dual_mov_b32 v14, v6
	;; [unrolled: 1-line block ×3, first 2 shown]
	s_waitcnt lgkmcnt(0)
	s_add_u32 s4, s4, s2
	s_addc_u32 s5, s5, s3
	v_cmp_lt_i64_e64 s12, s[8:9], 1
	s_load_b64 s[4:5], s[4:5], 0x0
	v_dual_mov_b32 v13, v7 :: v_dual_mov_b32 v12, v6
	s_lshl_b32 s16, s13, 5
	s_lshl_b32 s17, s14, 5
	s_delay_alu instid0(VALU_DEP_2)
	s_and_b32 vcc_lo, exec_lo, s12
	s_cbranch_vccnz .LBB1791_3
; %bb.1:
	s_clause 0x1
	s_load_b128 s[12:15], s[0:1], 0x28
	s_load_b64 s[18:19], s[0:1], 0x18
	v_lshl_add_u32 v2, v21, 4, v20
	v_dual_mov_b32 v1, 0 :: v_dual_and_b32 v0, 7, v20
	s_add_u32 s10, s10, s2
	s_addc_u32 s11, s11, s3
	s_delay_alu instid0(VALU_DEP_2)
	v_lshrrev_b32_e32 v8, 3, v2
	v_and_b32_e32 v9, 31, v2
	v_lshrrev_b32_e32 v2, 5, v2
	v_mov_b32_e32 v3, v1
	s_load_b64 s[10:11], s[10:11], 0x0
	v_add_nc_u32_e32 v10, s17, v8
	v_add_nc_u32_e32 v6, s16, v9
	v_lshl_add_u32 v23, v21, 7, 0x1000
	s_delay_alu instid0(VALU_DEP_3) | instskip(NEXT) | instid1(VALU_DEP_3)
	v_ashrrev_i32_e32 v4, 31, v10
	v_ashrrev_i32_e32 v5, 31, v6
	s_waitcnt lgkmcnt(0)
	s_add_u32 s2, s12, s2
	v_mul_lo_u32 v13, v10, s15
	v_mul_lo_u32 v11, v4, s14
	;; [unrolled: 1-line block ×3, first 2 shown]
	v_mad_u64_u32 v[4:5], null, s18, v6, v[2:3]
	v_mul_lo_u32 v3, s19, v6
	v_mad_u64_u32 v[6:7], null, v10, s14, v[0:1]
	s_addc_u32 s3, s13, s3
	s_load_b64 s[2:3], s[2:3], 0x0
	s_delay_alu instid0(VALU_DEP_2) | instskip(NEXT) | instid1(VALU_DEP_2)
	v_add3_u32 v5, v3, v5, v12
	v_add3_u32 v7, v11, v7, v13
	v_mov_b32_e32 v12, 0
	v_dual_mov_b32 v13, 0 :: v_dual_lshlrev_b32 v0, 4, v0
	v_lshlrev_b32_e32 v3, 4, v9
	s_delay_alu instid0(VALU_DEP_2) | instskip(NEXT) | instid1(VALU_DEP_3)
	v_dual_mov_b32 v15, v13 :: v_dual_lshlrev_b32 v22, 4, v20
	v_lshl_or_b32 v8, v8, 7, v0
	v_lshlrev_b64 v[0:1], 4, v[4:5]
	s_delay_alu instid0(VALU_DEP_4) | instskip(SKIP_1) | instid1(VALU_DEP_4)
	v_lshl_or_b32 v24, v2, 9, v3
	v_lshlrev_b64 v[2:3], 4, v[6:7]
	v_dual_mov_b32 v14, v12 :: v_dual_add_nc_u32 v25, 0x1000, v8
	v_dual_mov_b32 v17, v13 :: v_dual_mov_b32 v16, v12
	v_add_co_u32 v0, vcc_lo, v0, s10
	v_add_co_ci_u32_e32 v1, vcc_lo, s11, v1, vcc_lo
	s_waitcnt lgkmcnt(0)
	v_add_co_u32 v2, vcc_lo, v2, s2
	v_add_co_ci_u32_e32 v3, vcc_lo, s3, v3, vcc_lo
	v_add_co_u32 v8, vcc_lo, v0, 8
	v_add_co_ci_u32_e32 v9, vcc_lo, 0, v1, vcc_lo
	s_delay_alu instid0(VALU_DEP_4)
	v_add_co_u32 v10, vcc_lo, v2, 8
	v_mov_b32_e32 v0, v12
	v_add_co_ci_u32_e32 v11, vcc_lo, 0, v3, vcc_lo
	v_dual_mov_b32 v1, v13 :: v_dual_mov_b32 v2, v12
	v_dual_mov_b32 v3, v13 :: v_dual_mov_b32 v4, v12
	v_mov_b32_e32 v5, v13
	v_dual_mov_b32 v19, v13 :: v_dual_mov_b32 v18, v12
	v_dual_mov_b32 v6, v12 :: v_dual_mov_b32 v7, v13
	s_mov_b64 s[2:3], 0
.LBB1791_2:                             ; =>This Inner Loop Header: Depth=1
	global_load_b128 v[26:29], v[8:9], off offset:-8
	global_load_b128 v[30:33], v[10:11], off offset:-8
	s_add_u32 s2, s2, 8
	v_add_co_u32 v8, vcc_lo, 0x80, v8
	s_addc_u32 s3, s3, 0
	v_add_co_ci_u32_e32 v9, vcc_lo, 0, v9, vcc_lo
	v_cmp_ge_u64_e64 s10, s[2:3], s[8:9]
	v_add_co_u32 v10, vcc_lo, 0x80, v10
	v_add_co_ci_u32_e32 v11, vcc_lo, 0, v11, vcc_lo
	s_waitcnt vmcnt(1)
	ds_store_b128 v24, v[26:29]
	s_waitcnt vmcnt(0)
	ds_store_b128 v25, v[30:33]
	s_waitcnt lgkmcnt(0)
	s_barrier
	buffer_gl0_inv
	ds_load_b128 v[26:29], v23
	ds_load_b128 v[30:33], v22
	ds_load_b128 v[34:37], v22 offset:256
	ds_load_b128 v[38:41], v23 offset:2048
	;; [unrolled: 1-line block ×13, first 2 shown]
	s_and_b32 vcc_lo, exec_lo, s10
	s_waitcnt lgkmcnt(13)
	v_mul_f64 v[86:87], v[28:29], v[32:33]
	v_mul_f64 v[88:89], v[26:27], v[32:33]
	s_waitcnt lgkmcnt(12)
	v_mul_f64 v[90:91], v[28:29], v[36:37]
	v_mul_f64 v[92:93], v[26:27], v[36:37]
	;; [unrolled: 3-line block ×3, first 2 shown]
	v_mul_f64 v[96:97], v[40:41], v[36:37]
	v_mul_f64 v[36:37], v[38:39], v[36:37]
	s_waitcnt lgkmcnt(8)
	v_mul_f64 v[98:99], v[44:45], v[52:53]
	v_mul_f64 v[100:101], v[42:43], v[52:53]
	s_waitcnt lgkmcnt(7)
	v_mul_f64 v[102:103], v[44:45], v[56:57]
	v_mul_f64 v[104:105], v[42:43], v[56:57]
	;; [unrolled: 1-line block ×6, first 2 shown]
	s_waitcnt lgkmcnt(3)
	v_mul_f64 v[112:113], v[58:59], v[72:73]
	s_waitcnt lgkmcnt(2)
	v_mul_f64 v[114:115], v[76:77], v[68:69]
	v_mul_f64 v[116:117], v[76:77], v[72:73]
	v_fma_f64 v[86:87], v[26:27], v[30:31], -v[86:87]
	v_fma_f64 v[88:89], v[28:29], v[30:31], v[88:89]
	v_fma_f64 v[90:91], v[26:27], v[34:35], -v[90:91]
	v_fma_f64 v[92:93], v[28:29], v[34:35], v[92:93]
	;; [unrolled: 2-line block ×4, first 2 shown]
	v_mul_f64 v[36:37], v[60:61], v[68:69]
	v_mul_f64 v[40:41], v[58:59], v[68:69]
	;; [unrolled: 1-line block ×5, first 2 shown]
	v_fma_f64 v[98:99], v[42:43], v[50:51], -v[98:99]
	v_fma_f64 v[100:101], v[44:45], v[50:51], v[100:101]
	v_fma_f64 v[42:43], v[42:43], v[54:55], -v[102:103]
	v_fma_f64 v[44:45], v[44:45], v[54:55], v[104:105]
	;; [unrolled: 2-line block ×4, first 2 shown]
	ds_load_b128 v[26:29], v22 offset:1792
	ds_load_b128 v[30:33], v22 offset:2048
	v_add_f64 v[52:53], v[6:7], v[86:87]
	v_add_f64 v[18:19], v[18:19], v[88:89]
	;; [unrolled: 1-line block ×8, first 2 shown]
	s_waitcnt lgkmcnt(2)
	v_mul_f64 v[86:87], v[64:65], v[84:85]
	v_mul_f64 v[88:89], v[62:63], v[84:85]
	s_waitcnt lgkmcnt(1)
	v_mul_f64 v[90:91], v[64:65], v[28:29]
	v_mul_f64 v[92:93], v[62:63], v[28:29]
	;; [unrolled: 1-line block ×6, first 2 shown]
	v_fma_f64 v[106:107], v[58:59], v[66:67], -v[36:37]
	v_fma_f64 v[108:109], v[60:61], v[66:67], v[40:41]
	v_fma_f64 v[58:59], v[58:59], v[70:71], -v[96:97]
	v_fma_f64 v[60:61], v[60:61], v[70:71], v[112:113]
	;; [unrolled: 2-line block ×4, first 2 shown]
	ds_load_b128 v[0:3], v22 offset:2304
	ds_load_b128 v[4:7], v23 offset:64
	v_add_f64 v[52:53], v[52:53], v[98:99]
	v_add_f64 v[72:73], v[18:19], v[100:101]
	;; [unrolled: 1-line block ×8, first 2 shown]
	ds_load_b128 v[12:15], v23 offset:2112
	ds_load_b128 v[16:19], v23 offset:80
	;; [unrolled: 1-line block ×4, first 2 shown]
	s_waitcnt lgkmcnt(4)
	v_mul_f64 v[56:57], v[6:7], v[32:33]
	v_mul_f64 v[74:75], v[4:5], v[32:33]
	v_mul_f64 v[76:77], v[6:7], v[2:3]
	v_mul_f64 v[98:99], v[4:5], v[2:3]
	v_fma_f64 v[86:87], v[62:63], v[82:83], -v[86:87]
	v_fma_f64 v[88:89], v[64:65], v[82:83], v[88:89]
	v_fma_f64 v[62:63], v[62:63], v[26:27], -v[90:91]
	v_fma_f64 v[64:65], v[64:65], v[26:27], v[92:93]
	;; [unrolled: 2-line block ×4, first 2 shown]
	s_waitcnt lgkmcnt(3)
	v_mul_f64 v[100:101], v[14:15], v[32:33]
	v_mul_f64 v[32:33], v[12:13], v[32:33]
	;; [unrolled: 1-line block ×4, first 2 shown]
	s_waitcnt lgkmcnt(0)
	v_mul_f64 v[92:93], v[18:19], v[40:41]
	v_mul_f64 v[94:95], v[16:17], v[40:41]
	v_add_f64 v[84:85], v[52:53], v[106:107]
	v_add_f64 v[72:73], v[72:73], v[108:109]
	;; [unrolled: 1-line block ×8, first 2 shown]
	ds_load_b128 v[26:29], v22 offset:2816
	ds_load_b128 v[42:45], v22 offset:3072
	ds_load_b128 v[46:49], v22 offset:3328
	ds_load_b128 v[50:53], v23 offset:96
	v_mul_f64 v[106:107], v[36:37], v[40:41]
	v_mul_f64 v[40:41], v[34:35], v[40:41]
	v_fma_f64 v[56:57], v[4:5], v[30:31], -v[56:57]
	v_fma_f64 v[74:75], v[6:7], v[30:31], v[74:75]
	v_fma_f64 v[76:77], v[4:5], v[0:1], -v[76:77]
	v_fma_f64 v[98:99], v[6:7], v[0:1], v[98:99]
	s_waitcnt lgkmcnt(3)
	v_mul_f64 v[96:97], v[18:19], v[28:29]
	v_mul_f64 v[104:105], v[16:17], v[28:29]
	v_mul_f64 v[108:109], v[36:37], v[28:29]
	v_mul_f64 v[110:111], v[34:35], v[28:29]
	v_fma_f64 v[100:101], v[12:13], v[30:31], -v[100:101]
	v_fma_f64 v[32:33], v[14:15], v[30:31], v[32:33]
	v_fma_f64 v[102:103], v[12:13], v[0:1], -v[102:103]
	v_fma_f64 v[112:113], v[14:15], v[0:1], v[2:3]
	ds_load_b128 v[0:3], v23 offset:2144
	ds_load_b128 v[4:7], v23 offset:112
	;; [unrolled: 1-line block ×4, first 2 shown]
	v_add_f64 v[84:85], v[84:85], v[86:87]
	v_add_f64 v[72:73], v[72:73], v[88:89]
	;; [unrolled: 1-line block ×8, first 2 shown]
	s_waitcnt lgkmcnt(4)
	v_mul_f64 v[68:69], v[52:53], v[44:45]
	v_mul_f64 v[70:71], v[50:51], v[44:45]
	;; [unrolled: 1-line block ×4, first 2 shown]
	s_waitcnt lgkmcnt(3)
	v_mul_f64 v[82:83], v[2:3], v[44:45]
	v_mul_f64 v[44:45], v[0:1], v[44:45]
	v_mul_f64 v[86:87], v[2:3], v[48:49]
	v_mul_f64 v[48:49], v[0:1], v[48:49]
	v_fma_f64 v[88:89], v[16:17], v[38:39], -v[92:93]
	v_fma_f64 v[90:91], v[18:19], v[38:39], v[94:95]
	v_fma_f64 v[92:93], v[16:17], v[26:27], -v[96:97]
	v_fma_f64 v[94:95], v[18:19], v[26:27], v[104:105]
	;; [unrolled: 2-line block ×4, first 2 shown]
	ds_load_b128 v[16:19], v22 offset:3840
	s_waitcnt lgkmcnt(0)
	s_barrier
	buffer_gl0_inv
	v_add_f64 v[36:37], v[84:85], v[56:57]
	v_add_f64 v[40:41], v[72:73], v[74:75]
	;; [unrolled: 1-line block ×8, first 2 shown]
	v_mul_f64 v[64:65], v[6:7], v[30:31]
	v_mul_f64 v[66:67], v[4:5], v[30:31]
	;; [unrolled: 1-line block ×4, first 2 shown]
	v_fma_f64 v[68:69], v[50:51], v[42:43], -v[68:69]
	v_mul_f64 v[72:73], v[6:7], v[18:19]
	v_mul_f64 v[74:75], v[4:5], v[18:19]
	;; [unrolled: 1-line block ×4, first 2 shown]
	v_fma_f64 v[70:71], v[52:53], v[42:43], v[70:71]
	v_fma_f64 v[50:51], v[50:51], v[46:47], -v[78:79]
	v_fma_f64 v[52:53], v[52:53], v[46:47], v[80:81]
	v_fma_f64 v[78:79], v[0:1], v[42:43], -v[82:83]
	;; [unrolled: 2-line block ×3, first 2 shown]
	v_fma_f64 v[2:3], v[2:3], v[46:47], v[48:49]
	v_add_f64 v[36:37], v[36:37], v[88:89]
	v_add_f64 v[40:41], v[40:41], v[90:91]
	;; [unrolled: 1-line block ×8, first 2 shown]
	v_fma_f64 v[38:39], v[4:5], v[28:29], -v[64:65]
	v_fma_f64 v[54:55], v[6:7], v[28:29], v[66:67]
	v_fma_f64 v[58:59], v[12:13], v[28:29], -v[76:77]
	v_fma_f64 v[28:29], v[14:15], v[28:29], v[30:31]
	v_fma_f64 v[4:5], v[4:5], v[16:17], -v[72:73]
	v_fma_f64 v[56:57], v[6:7], v[16:17], v[74:75]
	v_fma_f64 v[12:13], v[12:13], v[16:17], -v[84:85]
	v_fma_f64 v[30:31], v[14:15], v[16:17], v[18:19]
	v_add_f64 v[6:7], v[36:37], v[68:69]
	v_add_f64 v[14:15], v[40:41], v[70:71]
	;; [unrolled: 1-line block ×16, first 2 shown]
	s_cbranch_vccz .LBB1791_2
.LBB1791_3:
	v_add_nc_u32_e32 v21, s17, v21
	s_load_b32 s2, s[0:1], 0x0
	s_delay_alu instid0(VALU_DEP_1) | instskip(SKIP_2) | instid1(VALU_DEP_3)
	v_ashrrev_i32_e32 v10, 31, v21
	v_mul_lo_u32 v11, v21, s7
	v_mad_u64_u32 v[8:9], null, v21, s6, 0
	v_mul_lo_u32 v10, v10, s6
	s_delay_alu instid0(VALU_DEP_1) | instskip(SKIP_1) | instid1(VALU_DEP_2)
	v_add3_u32 v9, v9, v11, v10
	v_add_nc_u32_e32 v10, s16, v20
	v_lshlrev_b64 v[8:9], 4, v[8:9]
	s_delay_alu instid0(VALU_DEP_2) | instskip(SKIP_2) | instid1(VALU_DEP_3)
	v_cmp_le_i32_e64 s0, v21, v10
	s_waitcnt lgkmcnt(0)
	v_cmp_gt_i32_e32 vcc_lo, s2, v10
	v_add_co_u32 v20, s1, s4, v8
	s_delay_alu instid0(VALU_DEP_1) | instskip(SKIP_1) | instid1(SALU_CYCLE_1)
	v_add_co_ci_u32_e64 v22, s1, s5, v9, s1
	s_and_b32 s0, s0, vcc_lo
	s_and_saveexec_b32 s3, s0
	s_cbranch_execz .LBB1791_5
; %bb.4:
	v_ashrrev_i32_e32 v11, 31, v10
	v_cmp_ne_u32_e64 s0, v21, v10
	v_xor_b32_e32 v7, 0x80000000, v7
	s_delay_alu instid0(VALU_DEP_3) | instskip(NEXT) | instid1(VALU_DEP_3)
	v_lshlrev_b64 v[23:24], 4, v[10:11]
	v_cndmask_b32_e64 v9, 0, -v19, s0
	v_cndmask_b32_e64 v8, 0, v18, s0
	s_delay_alu instid0(VALU_DEP_3) | instskip(NEXT) | instid1(VALU_DEP_1)
	v_add_co_u32 v23, s1, v20, v23
	v_add_co_ci_u32_e64 v24, s1, v22, v24, s1
	global_store_b128 v[23:24], v[6:9], off
.LBB1791_5:
	s_or_b32 exec_lo, exec_lo, s3
	v_add_nc_u32_e32 v8, 16, v10
	s_delay_alu instid0(VALU_DEP_1) | instskip(SKIP_1) | instid1(VALU_DEP_1)
	v_cmp_le_i32_e64 s1, v21, v8
	v_cmp_gt_i32_e64 s0, s2, v8
	s_and_b32 s1, s1, s0
	s_delay_alu instid0(SALU_CYCLE_1)
	s_and_saveexec_b32 s3, s1
	s_cbranch_execz .LBB1791_7
; %bb.6:
	v_ashrrev_i32_e32 v9, 31, v8
	v_cmp_ne_u32_e64 s1, v21, v8
	v_xor_b32_e32 v5, 0x80000000, v5
	s_delay_alu instid0(VALU_DEP_3) | instskip(NEXT) | instid1(VALU_DEP_3)
	v_lshlrev_b64 v[18:19], 4, v[8:9]
	v_cndmask_b32_e64 v7, 0, -v17, s1
	v_cndmask_b32_e64 v6, 0, v16, s1
	s_delay_alu instid0(VALU_DEP_3) | instskip(NEXT) | instid1(VALU_DEP_1)
	v_add_co_u32 v17, s2, v20, v18
	v_add_co_ci_u32_e64 v18, s2, v22, v19, s2
	global_store_b128 v[17:18], v[4:7], off
.LBB1791_7:
	s_or_b32 exec_lo, exec_lo, s3
	v_add_nc_u32_e32 v9, 16, v21
	s_delay_alu instid0(VALU_DEP_1) | instskip(SKIP_3) | instid1(VALU_DEP_4)
	v_ashrrev_i32_e32 v6, 31, v9
	v_mul_lo_u32 v7, v9, s7
	v_mad_u64_u32 v[4:5], null, v9, s6, 0
	v_cmp_le_i32_e64 s1, v9, v10
	v_mul_lo_u32 v6, v6, s6
	s_delay_alu instid0(VALU_DEP_2) | instskip(NEXT) | instid1(VALU_DEP_1)
	s_and_b32 s1, s1, vcc_lo
	v_add3_u32 v5, v5, v7, v6
	s_delay_alu instid0(VALU_DEP_1) | instskip(NEXT) | instid1(VALU_DEP_1)
	v_lshlrev_b64 v[4:5], 4, v[4:5]
	v_add_co_u32 v6, s2, s4, v4
	s_delay_alu instid0(VALU_DEP_1)
	v_add_co_ci_u32_e64 v7, s2, s5, v5, s2
	s_and_saveexec_b32 s2, s1
	s_cbranch_execz .LBB1791_9
; %bb.8:
	v_ashrrev_i32_e32 v11, 31, v10
	v_cmp_ne_u32_e32 vcc_lo, v9, v10
	v_xor_b32_e32 v3, 0x80000000, v3
	s_delay_alu instid0(VALU_DEP_3) | instskip(SKIP_2) | instid1(VALU_DEP_3)
	v_lshlrev_b64 v[16:17], 4, v[10:11]
	v_cndmask_b32_e64 v5, 0, -v15, vcc_lo
	v_cndmask_b32_e32 v4, 0, v14, vcc_lo
	v_add_co_u32 v15, s1, v6, v16
	s_delay_alu instid0(VALU_DEP_1)
	v_add_co_ci_u32_e64 v16, s1, v7, v17, s1
	global_store_b128 v[15:16], v[2:5], off
.LBB1791_9:
	s_or_b32 exec_lo, exec_lo, s2
	v_cmp_le_i32_e32 vcc_lo, v9, v8
	s_and_b32 s0, vcc_lo, s0
	s_delay_alu instid0(SALU_CYCLE_1)
	s_and_saveexec_b32 s1, s0
	s_cbranch_execz .LBB1791_11
; %bb.10:
	v_ashrrev_i32_e32 v9, 31, v8
	v_cmp_ne_u32_e32 vcc_lo, v21, v10
	v_xor_b32_e32 v1, 0x80000000, v1
	s_delay_alu instid0(VALU_DEP_3) | instskip(SKIP_2) | instid1(VALU_DEP_3)
	v_lshlrev_b64 v[4:5], 4, v[8:9]
	v_cndmask_b32_e64 v3, 0, -v13, vcc_lo
	v_cndmask_b32_e32 v2, 0, v12, vcc_lo
	v_add_co_u32 v4, s0, v6, v4
	s_delay_alu instid0(VALU_DEP_1)
	v_add_co_ci_u32_e64 v5, s0, v7, v5, s0
	global_store_b128 v[4:5], v[0:3], off
.LBB1791_11:
	s_nop 0
	s_sendmsg sendmsg(MSG_DEALLOC_VGPRS)
	s_endpgm
	.section	.rodata,"a",@progbits
	.p2align	6, 0x0
	.amdhsa_kernel _ZL37rocblas_syrkx_herkx_restricted_kernelIl19rocblas_complex_numIdELi16ELi32ELi8ELin1ELi0ELb1ELc84ELc76EKPKS1_KPS1_EviT_PT9_S7_lS9_S7_lPT10_S7_li
		.amdhsa_group_segment_fixed_size 8192
		.amdhsa_private_segment_fixed_size 0
		.amdhsa_kernarg_size 92
		.amdhsa_user_sgpr_count 13
		.amdhsa_user_sgpr_dispatch_ptr 0
		.amdhsa_user_sgpr_queue_ptr 0
		.amdhsa_user_sgpr_kernarg_segment_ptr 1
		.amdhsa_user_sgpr_dispatch_id 0
		.amdhsa_user_sgpr_private_segment_size 0
		.amdhsa_wavefront_size32 1
		.amdhsa_uses_dynamic_stack 0
		.amdhsa_enable_private_segment 0
		.amdhsa_system_sgpr_workgroup_id_x 1
		.amdhsa_system_sgpr_workgroup_id_y 1
		.amdhsa_system_sgpr_workgroup_id_z 1
		.amdhsa_system_sgpr_workgroup_info 0
		.amdhsa_system_vgpr_workitem_id 1
		.amdhsa_next_free_vgpr 118
		.amdhsa_next_free_sgpr 20
		.amdhsa_reserve_vcc 1
		.amdhsa_float_round_mode_32 0
		.amdhsa_float_round_mode_16_64 0
		.amdhsa_float_denorm_mode_32 3
		.amdhsa_float_denorm_mode_16_64 3
		.amdhsa_dx10_clamp 1
		.amdhsa_ieee_mode 1
		.amdhsa_fp16_overflow 0
		.amdhsa_workgroup_processor_mode 1
		.amdhsa_memory_ordered 1
		.amdhsa_forward_progress 0
		.amdhsa_shared_vgpr_count 0
		.amdhsa_exception_fp_ieee_invalid_op 0
		.amdhsa_exception_fp_denorm_src 0
		.amdhsa_exception_fp_ieee_div_zero 0
		.amdhsa_exception_fp_ieee_overflow 0
		.amdhsa_exception_fp_ieee_underflow 0
		.amdhsa_exception_fp_ieee_inexact 0
		.amdhsa_exception_int_div_zero 0
	.end_amdhsa_kernel
	.section	.text._ZL37rocblas_syrkx_herkx_restricted_kernelIl19rocblas_complex_numIdELi16ELi32ELi8ELin1ELi0ELb1ELc84ELc76EKPKS1_KPS1_EviT_PT9_S7_lS9_S7_lPT10_S7_li,"axG",@progbits,_ZL37rocblas_syrkx_herkx_restricted_kernelIl19rocblas_complex_numIdELi16ELi32ELi8ELin1ELi0ELb1ELc84ELc76EKPKS1_KPS1_EviT_PT9_S7_lS9_S7_lPT10_S7_li,comdat
.Lfunc_end1791:
	.size	_ZL37rocblas_syrkx_herkx_restricted_kernelIl19rocblas_complex_numIdELi16ELi32ELi8ELin1ELi0ELb1ELc84ELc76EKPKS1_KPS1_EviT_PT9_S7_lS9_S7_lPT10_S7_li, .Lfunc_end1791-_ZL37rocblas_syrkx_herkx_restricted_kernelIl19rocblas_complex_numIdELi16ELi32ELi8ELin1ELi0ELb1ELc84ELc76EKPKS1_KPS1_EviT_PT9_S7_lS9_S7_lPT10_S7_li
                                        ; -- End function
	.section	.AMDGPU.csdata,"",@progbits
; Kernel info:
; codeLenInByte = 3112
; NumSgprs: 22
; NumVgprs: 118
; ScratchSize: 0
; MemoryBound: 0
; FloatMode: 240
; IeeeMode: 1
; LDSByteSize: 8192 bytes/workgroup (compile time only)
; SGPRBlocks: 2
; VGPRBlocks: 14
; NumSGPRsForWavesPerEU: 22
; NumVGPRsForWavesPerEU: 118
; Occupancy: 12
; WaveLimiterHint : 1
; COMPUTE_PGM_RSRC2:SCRATCH_EN: 0
; COMPUTE_PGM_RSRC2:USER_SGPR: 13
; COMPUTE_PGM_RSRC2:TRAP_HANDLER: 0
; COMPUTE_PGM_RSRC2:TGID_X_EN: 1
; COMPUTE_PGM_RSRC2:TGID_Y_EN: 1
; COMPUTE_PGM_RSRC2:TGID_Z_EN: 1
; COMPUTE_PGM_RSRC2:TIDIG_COMP_CNT: 1
	.section	.text._ZL37rocblas_syrkx_herkx_restricted_kernelIl19rocblas_complex_numIdELi16ELi32ELi8ELin1ELi0ELb1ELc67ELc76EKPKS1_KPS1_EviT_PT9_S7_lS9_S7_lPT10_S7_li,"axG",@progbits,_ZL37rocblas_syrkx_herkx_restricted_kernelIl19rocblas_complex_numIdELi16ELi32ELi8ELin1ELi0ELb1ELc67ELc76EKPKS1_KPS1_EviT_PT9_S7_lS9_S7_lPT10_S7_li,comdat
	.globl	_ZL37rocblas_syrkx_herkx_restricted_kernelIl19rocblas_complex_numIdELi16ELi32ELi8ELin1ELi0ELb1ELc67ELc76EKPKS1_KPS1_EviT_PT9_S7_lS9_S7_lPT10_S7_li ; -- Begin function _ZL37rocblas_syrkx_herkx_restricted_kernelIl19rocblas_complex_numIdELi16ELi32ELi8ELin1ELi0ELb1ELc67ELc76EKPKS1_KPS1_EviT_PT9_S7_lS9_S7_lPT10_S7_li
	.p2align	8
	.type	_ZL37rocblas_syrkx_herkx_restricted_kernelIl19rocblas_complex_numIdELi16ELi32ELi8ELin1ELi0ELb1ELc67ELc76EKPKS1_KPS1_EviT_PT9_S7_lS9_S7_lPT10_S7_li,@function
_ZL37rocblas_syrkx_herkx_restricted_kernelIl19rocblas_complex_numIdELi16ELi32ELi8ELin1ELi0ELb1ELc67ELc76EKPKS1_KPS1_EviT_PT9_S7_lS9_S7_lPT10_S7_li: ; @_ZL37rocblas_syrkx_herkx_restricted_kernelIl19rocblas_complex_numIdELi16ELi32ELi8ELin1ELi0ELb1ELc67ELc76EKPKS1_KPS1_EviT_PT9_S7_lS9_S7_lPT10_S7_li
; %bb.0:
	s_clause 0x1
	s_load_b128 s[4:7], s[0:1], 0x40
	s_load_b128 s[8:11], s[0:1], 0x8
	s_mov_b32 s2, s15
	s_mov_b32 s3, 0
	v_mov_b32_e32 v6, 0
	s_lshl_b64 s[2:3], s[2:3], 3
	v_dual_mov_b32 v7, 0 :: v_dual_and_b32 v20, 0x3ff, v0
	v_bfe_u32 v21, v0, 10, 10
	s_delay_alu instid0(VALU_DEP_3) | instskip(NEXT) | instid1(VALU_DEP_3)
	v_mov_b32_e32 v4, v6
	v_dual_mov_b32 v2, v6 :: v_dual_mov_b32 v3, v7
	v_dual_mov_b32 v19, v7 :: v_dual_mov_b32 v18, v6
	v_mov_b32_e32 v5, v7
	v_dual_mov_b32 v17, v7 :: v_dual_mov_b32 v16, v6
	v_dual_mov_b32 v15, v7 :: v_dual_mov_b32 v14, v6
	;; [unrolled: 1-line block ×3, first 2 shown]
	s_waitcnt lgkmcnt(0)
	s_add_u32 s4, s4, s2
	s_addc_u32 s5, s5, s3
	v_cmp_lt_i64_e64 s12, s[8:9], 1
	s_load_b64 s[4:5], s[4:5], 0x0
	v_dual_mov_b32 v13, v7 :: v_dual_mov_b32 v12, v6
	s_lshl_b32 s16, s13, 5
	s_lshl_b32 s17, s14, 5
	s_delay_alu instid0(VALU_DEP_2)
	s_and_b32 vcc_lo, exec_lo, s12
	s_cbranch_vccnz .LBB1792_3
; %bb.1:
	s_clause 0x1
	s_load_b128 s[12:15], s[0:1], 0x28
	s_load_b64 s[18:19], s[0:1], 0x18
	v_lshl_add_u32 v2, v21, 4, v20
	v_dual_mov_b32 v1, 0 :: v_dual_and_b32 v0, 7, v20
	s_add_u32 s10, s10, s2
	s_addc_u32 s11, s11, s3
	s_delay_alu instid0(VALU_DEP_2)
	v_lshrrev_b32_e32 v8, 3, v2
	v_and_b32_e32 v9, 31, v2
	v_lshrrev_b32_e32 v2, 5, v2
	v_mov_b32_e32 v3, v1
	s_load_b64 s[10:11], s[10:11], 0x0
	v_add_nc_u32_e32 v10, s17, v8
	v_add_nc_u32_e32 v6, s16, v9
	v_lshl_add_u32 v23, v21, 7, 0x1000
	s_delay_alu instid0(VALU_DEP_3) | instskip(NEXT) | instid1(VALU_DEP_3)
	v_ashrrev_i32_e32 v4, 31, v10
	v_ashrrev_i32_e32 v5, 31, v6
	s_waitcnt lgkmcnt(0)
	s_add_u32 s2, s12, s2
	v_mul_lo_u32 v13, v10, s15
	v_mul_lo_u32 v11, v4, s14
	;; [unrolled: 1-line block ×3, first 2 shown]
	v_mad_u64_u32 v[4:5], null, s18, v6, v[2:3]
	v_mul_lo_u32 v3, s19, v6
	v_mad_u64_u32 v[6:7], null, v10, s14, v[0:1]
	s_addc_u32 s3, s13, s3
	s_load_b64 s[2:3], s[2:3], 0x0
	s_delay_alu instid0(VALU_DEP_2) | instskip(NEXT) | instid1(VALU_DEP_2)
	v_add3_u32 v5, v3, v5, v12
	v_add3_u32 v7, v11, v7, v13
	v_mov_b32_e32 v12, 0
	v_dual_mov_b32 v13, 0 :: v_dual_lshlrev_b32 v0, 4, v0
	v_lshlrev_b32_e32 v3, 4, v9
	s_delay_alu instid0(VALU_DEP_2) | instskip(NEXT) | instid1(VALU_DEP_3)
	v_dual_mov_b32 v15, v13 :: v_dual_lshlrev_b32 v22, 4, v20
	v_lshl_or_b32 v8, v8, 7, v0
	v_lshlrev_b64 v[0:1], 4, v[4:5]
	s_delay_alu instid0(VALU_DEP_4) | instskip(SKIP_1) | instid1(VALU_DEP_4)
	v_lshl_or_b32 v24, v2, 9, v3
	v_lshlrev_b64 v[2:3], 4, v[6:7]
	v_dual_mov_b32 v14, v12 :: v_dual_add_nc_u32 v25, 0x1000, v8
	v_dual_mov_b32 v17, v13 :: v_dual_mov_b32 v16, v12
	v_add_co_u32 v0, vcc_lo, v0, s10
	v_add_co_ci_u32_e32 v1, vcc_lo, s11, v1, vcc_lo
	s_waitcnt lgkmcnt(0)
	v_add_co_u32 v2, vcc_lo, v2, s2
	v_add_co_ci_u32_e32 v3, vcc_lo, s3, v3, vcc_lo
	v_add_co_u32 v8, vcc_lo, v0, 8
	v_add_co_ci_u32_e32 v9, vcc_lo, 0, v1, vcc_lo
	s_delay_alu instid0(VALU_DEP_4)
	v_add_co_u32 v10, vcc_lo, v2, 8
	v_mov_b32_e32 v0, v12
	v_add_co_ci_u32_e32 v11, vcc_lo, 0, v3, vcc_lo
	v_dual_mov_b32 v1, v13 :: v_dual_mov_b32 v2, v12
	v_dual_mov_b32 v3, v13 :: v_dual_mov_b32 v4, v12
	v_mov_b32_e32 v5, v13
	v_dual_mov_b32 v19, v13 :: v_dual_mov_b32 v18, v12
	v_dual_mov_b32 v6, v12 :: v_dual_mov_b32 v7, v13
	s_mov_b64 s[2:3], 0
.LBB1792_2:                             ; =>This Inner Loop Header: Depth=1
	global_load_b128 v[26:29], v[8:9], off offset:-8
	global_load_b128 v[30:33], v[10:11], off offset:-8
	s_add_u32 s2, s2, 8
	v_add_co_u32 v8, vcc_lo, 0x80, v8
	s_addc_u32 s3, s3, 0
	v_add_co_ci_u32_e32 v9, vcc_lo, 0, v9, vcc_lo
	v_cmp_ge_u64_e64 s10, s[2:3], s[8:9]
	v_add_co_u32 v10, vcc_lo, 0x80, v10
	v_add_co_ci_u32_e32 v11, vcc_lo, 0, v11, vcc_lo
	s_delay_alu instid0(VALU_DEP_3)
	s_and_b32 vcc_lo, exec_lo, s10
	s_waitcnt vmcnt(1)
	v_xor_b32_e32 v29, 0x80000000, v29
	ds_store_b128 v24, v[26:29]
	s_waitcnt vmcnt(0)
	ds_store_b128 v25, v[30:33]
	s_waitcnt lgkmcnt(0)
	s_barrier
	buffer_gl0_inv
	ds_load_b128 v[26:29], v23
	ds_load_b128 v[30:33], v22
	ds_load_b128 v[34:37], v22 offset:256
	ds_load_b128 v[38:41], v23 offset:2048
	;; [unrolled: 1-line block ×13, first 2 shown]
	s_waitcnt lgkmcnt(13)
	v_mul_f64 v[86:87], v[28:29], v[32:33]
	v_mul_f64 v[88:89], v[26:27], v[32:33]
	s_waitcnt lgkmcnt(12)
	v_mul_f64 v[90:91], v[28:29], v[36:37]
	v_mul_f64 v[92:93], v[26:27], v[36:37]
	;; [unrolled: 3-line block ×3, first 2 shown]
	v_mul_f64 v[96:97], v[40:41], v[36:37]
	v_mul_f64 v[36:37], v[38:39], v[36:37]
	s_waitcnt lgkmcnt(8)
	v_mul_f64 v[98:99], v[44:45], v[52:53]
	v_mul_f64 v[100:101], v[42:43], v[52:53]
	s_waitcnt lgkmcnt(7)
	v_mul_f64 v[102:103], v[44:45], v[56:57]
	v_mul_f64 v[104:105], v[42:43], v[56:57]
	;; [unrolled: 1-line block ×6, first 2 shown]
	s_waitcnt lgkmcnt(3)
	v_mul_f64 v[112:113], v[58:59], v[72:73]
	s_waitcnt lgkmcnt(2)
	v_mul_f64 v[114:115], v[76:77], v[68:69]
	v_mul_f64 v[116:117], v[76:77], v[72:73]
	v_fma_f64 v[86:87], v[26:27], v[30:31], -v[86:87]
	v_fma_f64 v[88:89], v[28:29], v[30:31], v[88:89]
	v_fma_f64 v[90:91], v[26:27], v[34:35], -v[90:91]
	v_fma_f64 v[92:93], v[28:29], v[34:35], v[92:93]
	;; [unrolled: 2-line block ×4, first 2 shown]
	v_mul_f64 v[36:37], v[60:61], v[68:69]
	v_mul_f64 v[40:41], v[58:59], v[68:69]
	;; [unrolled: 1-line block ×5, first 2 shown]
	v_fma_f64 v[98:99], v[42:43], v[50:51], -v[98:99]
	v_fma_f64 v[100:101], v[44:45], v[50:51], v[100:101]
	v_fma_f64 v[42:43], v[42:43], v[54:55], -v[102:103]
	v_fma_f64 v[44:45], v[44:45], v[54:55], v[104:105]
	;; [unrolled: 2-line block ×4, first 2 shown]
	ds_load_b128 v[26:29], v22 offset:1792
	ds_load_b128 v[30:33], v22 offset:2048
	v_add_f64 v[52:53], v[6:7], v[86:87]
	v_add_f64 v[18:19], v[18:19], v[88:89]
	;; [unrolled: 1-line block ×8, first 2 shown]
	s_waitcnt lgkmcnt(2)
	v_mul_f64 v[86:87], v[64:65], v[84:85]
	v_mul_f64 v[88:89], v[62:63], v[84:85]
	s_waitcnt lgkmcnt(1)
	v_mul_f64 v[90:91], v[64:65], v[28:29]
	v_mul_f64 v[92:93], v[62:63], v[28:29]
	;; [unrolled: 1-line block ×6, first 2 shown]
	v_fma_f64 v[106:107], v[58:59], v[66:67], -v[36:37]
	v_fma_f64 v[108:109], v[60:61], v[66:67], v[40:41]
	v_fma_f64 v[58:59], v[58:59], v[70:71], -v[96:97]
	v_fma_f64 v[60:61], v[60:61], v[70:71], v[112:113]
	;; [unrolled: 2-line block ×4, first 2 shown]
	ds_load_b128 v[0:3], v22 offset:2304
	ds_load_b128 v[4:7], v23 offset:64
	v_add_f64 v[52:53], v[52:53], v[98:99]
	v_add_f64 v[72:73], v[18:19], v[100:101]
	;; [unrolled: 1-line block ×8, first 2 shown]
	ds_load_b128 v[12:15], v23 offset:2112
	ds_load_b128 v[16:19], v23 offset:80
	;; [unrolled: 1-line block ×4, first 2 shown]
	s_waitcnt lgkmcnt(4)
	v_mul_f64 v[56:57], v[6:7], v[32:33]
	v_mul_f64 v[74:75], v[4:5], v[32:33]
	;; [unrolled: 1-line block ×4, first 2 shown]
	v_fma_f64 v[86:87], v[62:63], v[82:83], -v[86:87]
	v_fma_f64 v[88:89], v[64:65], v[82:83], v[88:89]
	v_fma_f64 v[62:63], v[62:63], v[26:27], -v[90:91]
	v_fma_f64 v[64:65], v[64:65], v[26:27], v[92:93]
	v_fma_f64 v[90:91], v[78:79], v[82:83], -v[94:95]
	v_fma_f64 v[82:83], v[80:81], v[82:83], v[84:85]
	v_fma_f64 v[78:79], v[78:79], v[26:27], -v[104:105]
	v_fma_f64 v[80:81], v[80:81], v[26:27], v[28:29]
	s_waitcnt lgkmcnt(3)
	v_mul_f64 v[100:101], v[14:15], v[32:33]
	v_mul_f64 v[32:33], v[12:13], v[32:33]
	;; [unrolled: 1-line block ×4, first 2 shown]
	s_waitcnt lgkmcnt(0)
	v_mul_f64 v[92:93], v[18:19], v[40:41]
	v_mul_f64 v[94:95], v[16:17], v[40:41]
	v_add_f64 v[84:85], v[52:53], v[106:107]
	v_add_f64 v[72:73], v[72:73], v[108:109]
	;; [unrolled: 1-line block ×8, first 2 shown]
	ds_load_b128 v[26:29], v22 offset:2816
	ds_load_b128 v[42:45], v22 offset:3072
	;; [unrolled: 1-line block ×4, first 2 shown]
	v_mul_f64 v[106:107], v[36:37], v[40:41]
	v_mul_f64 v[40:41], v[34:35], v[40:41]
	v_fma_f64 v[56:57], v[4:5], v[30:31], -v[56:57]
	v_fma_f64 v[74:75], v[6:7], v[30:31], v[74:75]
	v_fma_f64 v[76:77], v[4:5], v[0:1], -v[76:77]
	v_fma_f64 v[98:99], v[6:7], v[0:1], v[98:99]
	s_waitcnt lgkmcnt(3)
	v_mul_f64 v[96:97], v[18:19], v[28:29]
	v_mul_f64 v[104:105], v[16:17], v[28:29]
	;; [unrolled: 1-line block ×4, first 2 shown]
	v_fma_f64 v[100:101], v[12:13], v[30:31], -v[100:101]
	v_fma_f64 v[32:33], v[14:15], v[30:31], v[32:33]
	v_fma_f64 v[102:103], v[12:13], v[0:1], -v[102:103]
	v_fma_f64 v[112:113], v[14:15], v[0:1], v[2:3]
	ds_load_b128 v[0:3], v23 offset:2144
	ds_load_b128 v[4:7], v23 offset:112
	;; [unrolled: 1-line block ×4, first 2 shown]
	v_add_f64 v[84:85], v[84:85], v[86:87]
	v_add_f64 v[72:73], v[72:73], v[88:89]
	;; [unrolled: 1-line block ×8, first 2 shown]
	s_waitcnt lgkmcnt(4)
	v_mul_f64 v[68:69], v[52:53], v[44:45]
	v_mul_f64 v[70:71], v[50:51], v[44:45]
	;; [unrolled: 1-line block ×4, first 2 shown]
	s_waitcnt lgkmcnt(3)
	v_mul_f64 v[82:83], v[2:3], v[44:45]
	v_mul_f64 v[44:45], v[0:1], v[44:45]
	;; [unrolled: 1-line block ×4, first 2 shown]
	v_fma_f64 v[88:89], v[16:17], v[38:39], -v[92:93]
	v_fma_f64 v[90:91], v[18:19], v[38:39], v[94:95]
	v_fma_f64 v[92:93], v[16:17], v[26:27], -v[96:97]
	v_fma_f64 v[94:95], v[18:19], v[26:27], v[104:105]
	;; [unrolled: 2-line block ×4, first 2 shown]
	ds_load_b128 v[16:19], v22 offset:3840
	s_waitcnt lgkmcnt(0)
	s_barrier
	buffer_gl0_inv
	v_add_f64 v[36:37], v[84:85], v[56:57]
	v_add_f64 v[40:41], v[72:73], v[74:75]
	;; [unrolled: 1-line block ×8, first 2 shown]
	v_mul_f64 v[64:65], v[6:7], v[30:31]
	v_mul_f64 v[66:67], v[4:5], v[30:31]
	;; [unrolled: 1-line block ×4, first 2 shown]
	v_fma_f64 v[68:69], v[50:51], v[42:43], -v[68:69]
	v_mul_f64 v[72:73], v[6:7], v[18:19]
	v_mul_f64 v[74:75], v[4:5], v[18:19]
	;; [unrolled: 1-line block ×4, first 2 shown]
	v_fma_f64 v[70:71], v[52:53], v[42:43], v[70:71]
	v_fma_f64 v[50:51], v[50:51], v[46:47], -v[78:79]
	v_fma_f64 v[52:53], v[52:53], v[46:47], v[80:81]
	v_fma_f64 v[78:79], v[0:1], v[42:43], -v[82:83]
	;; [unrolled: 2-line block ×3, first 2 shown]
	v_fma_f64 v[2:3], v[2:3], v[46:47], v[48:49]
	v_add_f64 v[36:37], v[36:37], v[88:89]
	v_add_f64 v[40:41], v[40:41], v[90:91]
	v_add_f64 v[44:45], v[56:57], v[92:93]
	v_add_f64 v[46:47], v[58:59], v[94:95]
	v_add_f64 v[48:49], v[54:55], v[96:97]
	v_add_f64 v[32:33], v[32:33], v[38:39]
	v_add_f64 v[34:35], v[60:61], v[34:35]
	v_add_f64 v[26:27], v[62:63], v[26:27]
	v_fma_f64 v[38:39], v[4:5], v[28:29], -v[64:65]
	v_fma_f64 v[54:55], v[6:7], v[28:29], v[66:67]
	v_fma_f64 v[58:59], v[12:13], v[28:29], -v[76:77]
	v_fma_f64 v[28:29], v[14:15], v[28:29], v[30:31]
	;; [unrolled: 2-line block ×4, first 2 shown]
	v_add_f64 v[6:7], v[36:37], v[68:69]
	v_add_f64 v[14:15], v[40:41], v[70:71]
	;; [unrolled: 1-line block ×16, first 2 shown]
	s_cbranch_vccz .LBB1792_2
.LBB1792_3:
	v_add_nc_u32_e32 v21, s17, v21
	s_load_b32 s2, s[0:1], 0x0
	s_delay_alu instid0(VALU_DEP_1) | instskip(SKIP_2) | instid1(VALU_DEP_3)
	v_ashrrev_i32_e32 v10, 31, v21
	v_mul_lo_u32 v11, v21, s7
	v_mad_u64_u32 v[8:9], null, v21, s6, 0
	v_mul_lo_u32 v10, v10, s6
	s_delay_alu instid0(VALU_DEP_1) | instskip(SKIP_1) | instid1(VALU_DEP_2)
	v_add3_u32 v9, v9, v11, v10
	v_add_nc_u32_e32 v10, s16, v20
	v_lshlrev_b64 v[8:9], 4, v[8:9]
	s_delay_alu instid0(VALU_DEP_2) | instskip(SKIP_2) | instid1(VALU_DEP_3)
	v_cmp_le_i32_e64 s0, v21, v10
	s_waitcnt lgkmcnt(0)
	v_cmp_gt_i32_e32 vcc_lo, s2, v10
	v_add_co_u32 v20, s1, s4, v8
	s_delay_alu instid0(VALU_DEP_1) | instskip(SKIP_1) | instid1(SALU_CYCLE_1)
	v_add_co_ci_u32_e64 v22, s1, s5, v9, s1
	s_and_b32 s0, s0, vcc_lo
	s_and_saveexec_b32 s3, s0
	s_cbranch_execz .LBB1792_5
; %bb.4:
	v_ashrrev_i32_e32 v11, 31, v10
	v_cmp_ne_u32_e64 s0, v21, v10
	v_xor_b32_e32 v7, 0x80000000, v7
	s_delay_alu instid0(VALU_DEP_3) | instskip(NEXT) | instid1(VALU_DEP_3)
	v_lshlrev_b64 v[23:24], 4, v[10:11]
	v_cndmask_b32_e64 v9, 0, -v19, s0
	v_cndmask_b32_e64 v8, 0, v18, s0
	s_delay_alu instid0(VALU_DEP_3) | instskip(NEXT) | instid1(VALU_DEP_1)
	v_add_co_u32 v23, s1, v20, v23
	v_add_co_ci_u32_e64 v24, s1, v22, v24, s1
	global_store_b128 v[23:24], v[6:9], off
.LBB1792_5:
	s_or_b32 exec_lo, exec_lo, s3
	v_add_nc_u32_e32 v8, 16, v10
	s_delay_alu instid0(VALU_DEP_1) | instskip(SKIP_1) | instid1(VALU_DEP_1)
	v_cmp_le_i32_e64 s1, v21, v8
	v_cmp_gt_i32_e64 s0, s2, v8
	s_and_b32 s1, s1, s0
	s_delay_alu instid0(SALU_CYCLE_1)
	s_and_saveexec_b32 s3, s1
	s_cbranch_execz .LBB1792_7
; %bb.6:
	v_ashrrev_i32_e32 v9, 31, v8
	v_cmp_ne_u32_e64 s1, v21, v8
	v_xor_b32_e32 v5, 0x80000000, v5
	s_delay_alu instid0(VALU_DEP_3) | instskip(NEXT) | instid1(VALU_DEP_3)
	v_lshlrev_b64 v[18:19], 4, v[8:9]
	v_cndmask_b32_e64 v7, 0, -v17, s1
	v_cndmask_b32_e64 v6, 0, v16, s1
	s_delay_alu instid0(VALU_DEP_3) | instskip(NEXT) | instid1(VALU_DEP_1)
	v_add_co_u32 v17, s2, v20, v18
	v_add_co_ci_u32_e64 v18, s2, v22, v19, s2
	global_store_b128 v[17:18], v[4:7], off
.LBB1792_7:
	s_or_b32 exec_lo, exec_lo, s3
	v_add_nc_u32_e32 v9, 16, v21
	s_delay_alu instid0(VALU_DEP_1) | instskip(SKIP_3) | instid1(VALU_DEP_4)
	v_ashrrev_i32_e32 v6, 31, v9
	v_mul_lo_u32 v7, v9, s7
	v_mad_u64_u32 v[4:5], null, v9, s6, 0
	v_cmp_le_i32_e64 s1, v9, v10
	v_mul_lo_u32 v6, v6, s6
	s_delay_alu instid0(VALU_DEP_2) | instskip(NEXT) | instid1(VALU_DEP_1)
	s_and_b32 s1, s1, vcc_lo
	v_add3_u32 v5, v5, v7, v6
	s_delay_alu instid0(VALU_DEP_1) | instskip(NEXT) | instid1(VALU_DEP_1)
	v_lshlrev_b64 v[4:5], 4, v[4:5]
	v_add_co_u32 v6, s2, s4, v4
	s_delay_alu instid0(VALU_DEP_1)
	v_add_co_ci_u32_e64 v7, s2, s5, v5, s2
	s_and_saveexec_b32 s2, s1
	s_cbranch_execz .LBB1792_9
; %bb.8:
	v_ashrrev_i32_e32 v11, 31, v10
	v_cmp_ne_u32_e32 vcc_lo, v9, v10
	v_xor_b32_e32 v3, 0x80000000, v3
	s_delay_alu instid0(VALU_DEP_3) | instskip(SKIP_2) | instid1(VALU_DEP_3)
	v_lshlrev_b64 v[16:17], 4, v[10:11]
	v_cndmask_b32_e64 v5, 0, -v15, vcc_lo
	v_cndmask_b32_e32 v4, 0, v14, vcc_lo
	v_add_co_u32 v15, s1, v6, v16
	s_delay_alu instid0(VALU_DEP_1)
	v_add_co_ci_u32_e64 v16, s1, v7, v17, s1
	global_store_b128 v[15:16], v[2:5], off
.LBB1792_9:
	s_or_b32 exec_lo, exec_lo, s2
	v_cmp_le_i32_e32 vcc_lo, v9, v8
	s_and_b32 s0, vcc_lo, s0
	s_delay_alu instid0(SALU_CYCLE_1)
	s_and_saveexec_b32 s1, s0
	s_cbranch_execz .LBB1792_11
; %bb.10:
	v_ashrrev_i32_e32 v9, 31, v8
	v_cmp_ne_u32_e32 vcc_lo, v21, v10
	v_xor_b32_e32 v1, 0x80000000, v1
	s_delay_alu instid0(VALU_DEP_3) | instskip(SKIP_2) | instid1(VALU_DEP_3)
	v_lshlrev_b64 v[4:5], 4, v[8:9]
	v_cndmask_b32_e64 v3, 0, -v13, vcc_lo
	v_cndmask_b32_e32 v2, 0, v12, vcc_lo
	v_add_co_u32 v4, s0, v6, v4
	s_delay_alu instid0(VALU_DEP_1)
	v_add_co_ci_u32_e64 v5, s0, v7, v5, s0
	global_store_b128 v[4:5], v[0:3], off
.LBB1792_11:
	s_nop 0
	s_sendmsg sendmsg(MSG_DEALLOC_VGPRS)
	s_endpgm
	.section	.rodata,"a",@progbits
	.p2align	6, 0x0
	.amdhsa_kernel _ZL37rocblas_syrkx_herkx_restricted_kernelIl19rocblas_complex_numIdELi16ELi32ELi8ELin1ELi0ELb1ELc67ELc76EKPKS1_KPS1_EviT_PT9_S7_lS9_S7_lPT10_S7_li
		.amdhsa_group_segment_fixed_size 8192
		.amdhsa_private_segment_fixed_size 0
		.amdhsa_kernarg_size 92
		.amdhsa_user_sgpr_count 13
		.amdhsa_user_sgpr_dispatch_ptr 0
		.amdhsa_user_sgpr_queue_ptr 0
		.amdhsa_user_sgpr_kernarg_segment_ptr 1
		.amdhsa_user_sgpr_dispatch_id 0
		.amdhsa_user_sgpr_private_segment_size 0
		.amdhsa_wavefront_size32 1
		.amdhsa_uses_dynamic_stack 0
		.amdhsa_enable_private_segment 0
		.amdhsa_system_sgpr_workgroup_id_x 1
		.amdhsa_system_sgpr_workgroup_id_y 1
		.amdhsa_system_sgpr_workgroup_id_z 1
		.amdhsa_system_sgpr_workgroup_info 0
		.amdhsa_system_vgpr_workitem_id 1
		.amdhsa_next_free_vgpr 118
		.amdhsa_next_free_sgpr 20
		.amdhsa_reserve_vcc 1
		.amdhsa_float_round_mode_32 0
		.amdhsa_float_round_mode_16_64 0
		.amdhsa_float_denorm_mode_32 3
		.amdhsa_float_denorm_mode_16_64 3
		.amdhsa_dx10_clamp 1
		.amdhsa_ieee_mode 1
		.amdhsa_fp16_overflow 0
		.amdhsa_workgroup_processor_mode 1
		.amdhsa_memory_ordered 1
		.amdhsa_forward_progress 0
		.amdhsa_shared_vgpr_count 0
		.amdhsa_exception_fp_ieee_invalid_op 0
		.amdhsa_exception_fp_denorm_src 0
		.amdhsa_exception_fp_ieee_div_zero 0
		.amdhsa_exception_fp_ieee_overflow 0
		.amdhsa_exception_fp_ieee_underflow 0
		.amdhsa_exception_fp_ieee_inexact 0
		.amdhsa_exception_int_div_zero 0
	.end_amdhsa_kernel
	.section	.text._ZL37rocblas_syrkx_herkx_restricted_kernelIl19rocblas_complex_numIdELi16ELi32ELi8ELin1ELi0ELb1ELc67ELc76EKPKS1_KPS1_EviT_PT9_S7_lS9_S7_lPT10_S7_li,"axG",@progbits,_ZL37rocblas_syrkx_herkx_restricted_kernelIl19rocblas_complex_numIdELi16ELi32ELi8ELin1ELi0ELb1ELc67ELc76EKPKS1_KPS1_EviT_PT9_S7_lS9_S7_lPT10_S7_li,comdat
.Lfunc_end1792:
	.size	_ZL37rocblas_syrkx_herkx_restricted_kernelIl19rocblas_complex_numIdELi16ELi32ELi8ELin1ELi0ELb1ELc67ELc76EKPKS1_KPS1_EviT_PT9_S7_lS9_S7_lPT10_S7_li, .Lfunc_end1792-_ZL37rocblas_syrkx_herkx_restricted_kernelIl19rocblas_complex_numIdELi16ELi32ELi8ELin1ELi0ELb1ELc67ELc76EKPKS1_KPS1_EviT_PT9_S7_lS9_S7_lPT10_S7_li
                                        ; -- End function
	.section	.AMDGPU.csdata,"",@progbits
; Kernel info:
; codeLenInByte = 3124
; NumSgprs: 22
; NumVgprs: 118
; ScratchSize: 0
; MemoryBound: 0
; FloatMode: 240
; IeeeMode: 1
; LDSByteSize: 8192 bytes/workgroup (compile time only)
; SGPRBlocks: 2
; VGPRBlocks: 14
; NumSGPRsForWavesPerEU: 22
; NumVGPRsForWavesPerEU: 118
; Occupancy: 12
; WaveLimiterHint : 1
; COMPUTE_PGM_RSRC2:SCRATCH_EN: 0
; COMPUTE_PGM_RSRC2:USER_SGPR: 13
; COMPUTE_PGM_RSRC2:TRAP_HANDLER: 0
; COMPUTE_PGM_RSRC2:TGID_X_EN: 1
; COMPUTE_PGM_RSRC2:TGID_Y_EN: 1
; COMPUTE_PGM_RSRC2:TGID_Z_EN: 1
; COMPUTE_PGM_RSRC2:TIDIG_COMP_CNT: 1
	.section	.text._ZL37rocblas_syrkx_herkx_restricted_kernelIl19rocblas_complex_numIdELi16ELi32ELi8ELin1ELi0ELb1ELc78ELc76EKPKS1_KPS1_EviT_PT9_S7_lS9_S7_lPT10_S7_li,"axG",@progbits,_ZL37rocblas_syrkx_herkx_restricted_kernelIl19rocblas_complex_numIdELi16ELi32ELi8ELin1ELi0ELb1ELc78ELc76EKPKS1_KPS1_EviT_PT9_S7_lS9_S7_lPT10_S7_li,comdat
	.globl	_ZL37rocblas_syrkx_herkx_restricted_kernelIl19rocblas_complex_numIdELi16ELi32ELi8ELin1ELi0ELb1ELc78ELc76EKPKS1_KPS1_EviT_PT9_S7_lS9_S7_lPT10_S7_li ; -- Begin function _ZL37rocblas_syrkx_herkx_restricted_kernelIl19rocblas_complex_numIdELi16ELi32ELi8ELin1ELi0ELb1ELc78ELc76EKPKS1_KPS1_EviT_PT9_S7_lS9_S7_lPT10_S7_li
	.p2align	8
	.type	_ZL37rocblas_syrkx_herkx_restricted_kernelIl19rocblas_complex_numIdELi16ELi32ELi8ELin1ELi0ELb1ELc78ELc76EKPKS1_KPS1_EviT_PT9_S7_lS9_S7_lPT10_S7_li,@function
_ZL37rocblas_syrkx_herkx_restricted_kernelIl19rocblas_complex_numIdELi16ELi32ELi8ELin1ELi0ELb1ELc78ELc76EKPKS1_KPS1_EviT_PT9_S7_lS9_S7_lPT10_S7_li: ; @_ZL37rocblas_syrkx_herkx_restricted_kernelIl19rocblas_complex_numIdELi16ELi32ELi8ELin1ELi0ELb1ELc78ELc76EKPKS1_KPS1_EviT_PT9_S7_lS9_S7_lPT10_S7_li
; %bb.0:
	s_clause 0x1
	s_load_b128 s[4:7], s[0:1], 0x40
	s_load_b128 s[8:11], s[0:1], 0x8
	s_mov_b32 s2, s15
	s_mov_b32 s3, 0
	v_mov_b32_e32 v6, 0
	s_lshl_b64 s[2:3], s[2:3], 3
	v_dual_mov_b32 v7, 0 :: v_dual_and_b32 v20, 0x3ff, v0
	v_bfe_u32 v21, v0, 10, 10
	s_delay_alu instid0(VALU_DEP_3) | instskip(NEXT) | instid1(VALU_DEP_3)
	v_mov_b32_e32 v4, v6
	v_dual_mov_b32 v2, v6 :: v_dual_mov_b32 v3, v7
	v_dual_mov_b32 v19, v7 :: v_dual_mov_b32 v18, v6
	v_mov_b32_e32 v5, v7
	v_dual_mov_b32 v17, v7 :: v_dual_mov_b32 v16, v6
	v_dual_mov_b32 v15, v7 :: v_dual_mov_b32 v14, v6
	;; [unrolled: 1-line block ×3, first 2 shown]
	s_waitcnt lgkmcnt(0)
	s_add_u32 s4, s4, s2
	s_addc_u32 s5, s5, s3
	v_cmp_lt_i64_e64 s12, s[8:9], 1
	s_load_b64 s[4:5], s[4:5], 0x0
	v_dual_mov_b32 v13, v7 :: v_dual_mov_b32 v12, v6
	s_lshl_b32 s16, s13, 5
	s_lshl_b32 s17, s14, 5
	s_delay_alu instid0(VALU_DEP_2)
	s_and_b32 vcc_lo, exec_lo, s12
	s_cbranch_vccnz .LBB1793_3
; %bb.1:
	v_lshl_add_u32 v1, v21, 4, v20
	s_clause 0x1
	s_load_b64 s[18:19], s[0:1], 0x18
	s_load_b128 s[12:15], s[0:1], 0x28
	v_mov_b32_e32 v12, 0
	s_add_u32 s10, s10, s2
	s_addc_u32 s11, s11, s3
	v_lshrrev_b32_e32 v10, 3, v1
	v_and_b32_e32 v9, 31, v1
	v_lshrrev_b32_e32 v11, 5, v1
	s_load_b64 s[10:11], s[10:11], 0x0
	v_lshl_add_u32 v23, v21, 7, 0x1000
	v_dual_mov_b32 v13, 0 :: v_dual_add_nc_u32 v2, s17, v10
	v_and_b32_e32 v14, 7, v20
	s_delay_alu instid0(VALU_DEP_2) | instskip(NEXT) | instid1(VALU_DEP_3)
	v_ashrrev_i32_e32 v3, 31, v2
	v_dual_mov_b32 v17, v13 :: v_dual_mov_b32 v16, v12
	v_dual_mov_b32 v19, v13 :: v_dual_mov_b32 v18, v12
	s_waitcnt lgkmcnt(0)
	s_delay_alu instid0(VALU_DEP_3)
	v_mad_u64_u32 v[6:7], null, v14, s14, v[2:3]
	v_add_nc_u32_e32 v0, s16, v9
	s_add_u32 s2, s12, s2
	s_addc_u32 s3, s13, s3
	s_mov_b64 s[12:13], 0
	s_load_b64 s[2:3], s[2:3], 0x0
	v_ashrrev_i32_e32 v1, 31, v0
	s_delay_alu instid0(VALU_DEP_1) | instskip(NEXT) | instid1(VALU_DEP_1)
	v_mad_u64_u32 v[4:5], null, v11, s18, v[0:1]
	v_dual_mov_b32 v1, v7 :: v_dual_mov_b32 v0, v5
	s_delay_alu instid0(VALU_DEP_1) | instskip(NEXT) | instid1(VALU_DEP_1)
	v_mad_u64_u32 v[2:3], null, v11, s19, v[0:1]
	v_dual_mov_b32 v5, v2 :: v_dual_lshlrev_b32 v22, 4, v20
	v_mad_u64_u32 v[7:8], null, v14, s15, v[1:2]
	v_dual_mov_b32 v0, v12 :: v_dual_mov_b32 v1, v13
	s_delay_alu instid0(VALU_DEP_3)
	v_lshlrev_b64 v[4:5], 4, v[4:5]
	v_lshlrev_b32_e32 v3, 4, v14
	v_dual_mov_b32 v15, v13 :: v_dual_lshlrev_b32 v8, 4, v9
	v_lshlrev_b64 v[6:7], 4, v[6:7]
	v_mov_b32_e32 v14, v12
	v_add_co_u32 v4, vcc_lo, v4, s10
	v_add_co_ci_u32_e32 v5, vcc_lo, s11, v5, vcc_lo
	v_lshl_or_b32 v9, v10, 7, v3
	s_waitcnt lgkmcnt(0)
	v_add_co_u32 v6, vcc_lo, v6, s2
	v_add_co_ci_u32_e32 v7, vcc_lo, s3, v7, vcc_lo
	v_lshl_or_b32 v24, v11, 9, v8
	v_add_co_u32 v8, vcc_lo, v4, 8
	v_dual_mov_b32 v2, v12 :: v_dual_add_nc_u32 v25, 0x1000, v9
	v_add_co_ci_u32_e32 v9, vcc_lo, 0, v5, vcc_lo
	v_add_co_u32 v10, vcc_lo, v6, 8
	v_add_co_ci_u32_e32 v11, vcc_lo, 0, v7, vcc_lo
	v_mov_b32_e32 v4, v12
	v_dual_mov_b32 v6, v12 :: v_dual_mov_b32 v3, v13
	v_mov_b32_e32 v5, v13
	v_mov_b32_e32 v7, v13
	s_lshl_b64 s[2:3], s[18:19], 7
	s_lshl_b64 s[10:11], s[14:15], 7
.LBB1793_2:                             ; =>This Inner Loop Header: Depth=1
	global_load_b128 v[26:29], v[10:11], off offset:-8
	global_load_b128 v[30:33], v[8:9], off offset:-8
	s_add_u32 s12, s12, 8
	v_add_co_u32 v8, vcc_lo, v8, s2
	s_addc_u32 s13, s13, 0
	v_add_co_ci_u32_e32 v9, vcc_lo, s3, v9, vcc_lo
	v_cmp_ge_u64_e64 s14, s[12:13], s[8:9]
	v_add_co_u32 v10, vcc_lo, v10, s10
	v_add_co_ci_u32_e32 v11, vcc_lo, s11, v11, vcc_lo
	s_delay_alu instid0(VALU_DEP_3)
	s_and_b32 vcc_lo, exec_lo, s14
	s_waitcnt vmcnt(1)
	v_xor_b32_e32 v29, 0x80000000, v29
	s_waitcnt vmcnt(0)
	ds_store_b128 v24, v[30:33]
	ds_store_b128 v25, v[26:29]
	s_waitcnt lgkmcnt(0)
	s_barrier
	buffer_gl0_inv
	ds_load_b128 v[26:29], v23
	ds_load_b128 v[30:33], v22
	ds_load_b128 v[34:37], v22 offset:256
	ds_load_b128 v[38:41], v23 offset:2048
	;; [unrolled: 1-line block ×13, first 2 shown]
	s_waitcnt lgkmcnt(13)
	v_mul_f64 v[86:87], v[28:29], v[32:33]
	v_mul_f64 v[88:89], v[26:27], v[32:33]
	s_waitcnt lgkmcnt(12)
	v_mul_f64 v[90:91], v[28:29], v[36:37]
	v_mul_f64 v[92:93], v[26:27], v[36:37]
	;; [unrolled: 3-line block ×3, first 2 shown]
	v_mul_f64 v[96:97], v[40:41], v[36:37]
	v_mul_f64 v[36:37], v[38:39], v[36:37]
	s_waitcnt lgkmcnt(8)
	v_mul_f64 v[98:99], v[44:45], v[52:53]
	v_mul_f64 v[100:101], v[42:43], v[52:53]
	s_waitcnt lgkmcnt(7)
	v_mul_f64 v[102:103], v[44:45], v[56:57]
	v_mul_f64 v[104:105], v[42:43], v[56:57]
	;; [unrolled: 1-line block ×6, first 2 shown]
	s_waitcnt lgkmcnt(3)
	v_mul_f64 v[112:113], v[58:59], v[72:73]
	s_waitcnt lgkmcnt(2)
	v_mul_f64 v[114:115], v[76:77], v[68:69]
	v_mul_f64 v[116:117], v[76:77], v[72:73]
	v_fma_f64 v[86:87], v[26:27], v[30:31], -v[86:87]
	v_fma_f64 v[88:89], v[28:29], v[30:31], v[88:89]
	v_fma_f64 v[90:91], v[26:27], v[34:35], -v[90:91]
	v_fma_f64 v[92:93], v[28:29], v[34:35], v[92:93]
	;; [unrolled: 2-line block ×4, first 2 shown]
	v_mul_f64 v[36:37], v[60:61], v[68:69]
	v_mul_f64 v[40:41], v[58:59], v[68:69]
	;; [unrolled: 1-line block ×5, first 2 shown]
	v_fma_f64 v[98:99], v[42:43], v[50:51], -v[98:99]
	v_fma_f64 v[100:101], v[44:45], v[50:51], v[100:101]
	v_fma_f64 v[42:43], v[42:43], v[54:55], -v[102:103]
	v_fma_f64 v[44:45], v[44:45], v[54:55], v[104:105]
	v_fma_f64 v[102:103], v[46:47], v[50:51], -v[106:107]
	v_fma_f64 v[50:51], v[48:49], v[50:51], v[52:53]
	v_fma_f64 v[46:47], v[46:47], v[54:55], -v[108:109]
	v_fma_f64 v[48:49], v[48:49], v[54:55], v[56:57]
	ds_load_b128 v[26:29], v22 offset:1792
	ds_load_b128 v[30:33], v22 offset:2048
	v_add_f64 v[52:53], v[6:7], v[86:87]
	v_add_f64 v[18:19], v[18:19], v[88:89]
	;; [unrolled: 1-line block ×8, first 2 shown]
	s_waitcnt lgkmcnt(2)
	v_mul_f64 v[86:87], v[64:65], v[84:85]
	v_mul_f64 v[88:89], v[62:63], v[84:85]
	s_waitcnt lgkmcnt(1)
	v_mul_f64 v[90:91], v[64:65], v[28:29]
	v_mul_f64 v[92:93], v[62:63], v[28:29]
	;; [unrolled: 1-line block ×6, first 2 shown]
	v_fma_f64 v[106:107], v[58:59], v[66:67], -v[36:37]
	v_fma_f64 v[108:109], v[60:61], v[66:67], v[40:41]
	v_fma_f64 v[58:59], v[58:59], v[70:71], -v[96:97]
	v_fma_f64 v[60:61], v[60:61], v[70:71], v[112:113]
	;; [unrolled: 2-line block ×4, first 2 shown]
	ds_load_b128 v[0:3], v22 offset:2304
	ds_load_b128 v[4:7], v23 offset:64
	v_add_f64 v[52:53], v[52:53], v[98:99]
	v_add_f64 v[72:73], v[18:19], v[100:101]
	v_add_f64 v[42:43], v[54:55], v[42:43]
	v_add_f64 v[44:45], v[16:17], v[44:45]
	v_add_f64 v[54:55], v[56:57], v[102:103]
	v_add_f64 v[50:51], v[14:15], v[50:51]
	v_add_f64 v[46:47], v[38:39], v[46:47]
	v_add_f64 v[48:49], v[12:13], v[48:49]
	ds_load_b128 v[12:15], v23 offset:2112
	ds_load_b128 v[16:19], v23 offset:80
	;; [unrolled: 1-line block ×4, first 2 shown]
	s_waitcnt lgkmcnt(4)
	v_mul_f64 v[56:57], v[6:7], v[32:33]
	v_mul_f64 v[74:75], v[4:5], v[32:33]
	;; [unrolled: 1-line block ×4, first 2 shown]
	v_fma_f64 v[86:87], v[62:63], v[82:83], -v[86:87]
	v_fma_f64 v[88:89], v[64:65], v[82:83], v[88:89]
	v_fma_f64 v[62:63], v[62:63], v[26:27], -v[90:91]
	v_fma_f64 v[64:65], v[64:65], v[26:27], v[92:93]
	;; [unrolled: 2-line block ×4, first 2 shown]
	s_waitcnt lgkmcnt(3)
	v_mul_f64 v[100:101], v[14:15], v[32:33]
	v_mul_f64 v[32:33], v[12:13], v[32:33]
	;; [unrolled: 1-line block ×4, first 2 shown]
	s_waitcnt lgkmcnt(0)
	v_mul_f64 v[92:93], v[18:19], v[40:41]
	v_mul_f64 v[94:95], v[16:17], v[40:41]
	v_add_f64 v[84:85], v[52:53], v[106:107]
	v_add_f64 v[72:73], v[72:73], v[108:109]
	;; [unrolled: 1-line block ×8, first 2 shown]
	ds_load_b128 v[26:29], v22 offset:2816
	ds_load_b128 v[42:45], v22 offset:3072
	;; [unrolled: 1-line block ×4, first 2 shown]
	v_mul_f64 v[106:107], v[36:37], v[40:41]
	v_mul_f64 v[40:41], v[34:35], v[40:41]
	v_fma_f64 v[56:57], v[4:5], v[30:31], -v[56:57]
	v_fma_f64 v[74:75], v[6:7], v[30:31], v[74:75]
	v_fma_f64 v[76:77], v[4:5], v[0:1], -v[76:77]
	v_fma_f64 v[98:99], v[6:7], v[0:1], v[98:99]
	s_waitcnt lgkmcnt(3)
	v_mul_f64 v[96:97], v[18:19], v[28:29]
	v_mul_f64 v[104:105], v[16:17], v[28:29]
	;; [unrolled: 1-line block ×4, first 2 shown]
	v_fma_f64 v[100:101], v[12:13], v[30:31], -v[100:101]
	v_fma_f64 v[32:33], v[14:15], v[30:31], v[32:33]
	v_fma_f64 v[102:103], v[12:13], v[0:1], -v[102:103]
	v_fma_f64 v[112:113], v[14:15], v[0:1], v[2:3]
	ds_load_b128 v[0:3], v23 offset:2144
	ds_load_b128 v[4:7], v23 offset:112
	;; [unrolled: 1-line block ×4, first 2 shown]
	v_add_f64 v[84:85], v[84:85], v[86:87]
	v_add_f64 v[72:73], v[72:73], v[88:89]
	;; [unrolled: 1-line block ×8, first 2 shown]
	s_waitcnt lgkmcnt(4)
	v_mul_f64 v[68:69], v[52:53], v[44:45]
	v_mul_f64 v[70:71], v[50:51], v[44:45]
	;; [unrolled: 1-line block ×4, first 2 shown]
	s_waitcnt lgkmcnt(3)
	v_mul_f64 v[82:83], v[2:3], v[44:45]
	v_mul_f64 v[44:45], v[0:1], v[44:45]
	;; [unrolled: 1-line block ×4, first 2 shown]
	v_fma_f64 v[88:89], v[16:17], v[38:39], -v[92:93]
	v_fma_f64 v[90:91], v[18:19], v[38:39], v[94:95]
	v_fma_f64 v[92:93], v[16:17], v[26:27], -v[96:97]
	v_fma_f64 v[94:95], v[18:19], v[26:27], v[104:105]
	v_fma_f64 v[96:97], v[34:35], v[38:39], -v[106:107]
	v_fma_f64 v[38:39], v[36:37], v[38:39], v[40:41]
	v_fma_f64 v[34:35], v[34:35], v[26:27], -v[108:109]
	v_fma_f64 v[26:27], v[36:37], v[26:27], v[110:111]
	ds_load_b128 v[16:19], v22 offset:3840
	s_waitcnt lgkmcnt(0)
	s_barrier
	buffer_gl0_inv
	v_add_f64 v[36:37], v[84:85], v[56:57]
	v_add_f64 v[40:41], v[72:73], v[74:75]
	;; [unrolled: 1-line block ×8, first 2 shown]
	v_mul_f64 v[64:65], v[6:7], v[30:31]
	v_mul_f64 v[66:67], v[4:5], v[30:31]
	v_mul_f64 v[76:77], v[14:15], v[30:31]
	v_mul_f64 v[30:31], v[12:13], v[30:31]
	v_fma_f64 v[68:69], v[50:51], v[42:43], -v[68:69]
	v_mul_f64 v[72:73], v[6:7], v[18:19]
	v_mul_f64 v[74:75], v[4:5], v[18:19]
	;; [unrolled: 1-line block ×4, first 2 shown]
	v_fma_f64 v[70:71], v[52:53], v[42:43], v[70:71]
	v_fma_f64 v[50:51], v[50:51], v[46:47], -v[78:79]
	v_fma_f64 v[52:53], v[52:53], v[46:47], v[80:81]
	v_fma_f64 v[78:79], v[0:1], v[42:43], -v[82:83]
	;; [unrolled: 2-line block ×3, first 2 shown]
	v_fma_f64 v[2:3], v[2:3], v[46:47], v[48:49]
	v_add_f64 v[36:37], v[36:37], v[88:89]
	v_add_f64 v[40:41], v[40:41], v[90:91]
	;; [unrolled: 1-line block ×8, first 2 shown]
	v_fma_f64 v[38:39], v[4:5], v[28:29], -v[64:65]
	v_fma_f64 v[54:55], v[6:7], v[28:29], v[66:67]
	v_fma_f64 v[58:59], v[12:13], v[28:29], -v[76:77]
	v_fma_f64 v[28:29], v[14:15], v[28:29], v[30:31]
	;; [unrolled: 2-line block ×4, first 2 shown]
	v_add_f64 v[6:7], v[36:37], v[68:69]
	v_add_f64 v[14:15], v[40:41], v[70:71]
	;; [unrolled: 1-line block ×16, first 2 shown]
	s_cbranch_vccz .LBB1793_2
.LBB1793_3:
	v_add_nc_u32_e32 v21, s17, v21
	s_load_b32 s2, s[0:1], 0x0
	s_delay_alu instid0(VALU_DEP_1) | instskip(SKIP_2) | instid1(VALU_DEP_3)
	v_ashrrev_i32_e32 v10, 31, v21
	v_mul_lo_u32 v11, v21, s7
	v_mad_u64_u32 v[8:9], null, v21, s6, 0
	v_mul_lo_u32 v10, v10, s6
	s_delay_alu instid0(VALU_DEP_1) | instskip(SKIP_1) | instid1(VALU_DEP_2)
	v_add3_u32 v9, v9, v11, v10
	v_add_nc_u32_e32 v10, s16, v20
	v_lshlrev_b64 v[8:9], 4, v[8:9]
	s_delay_alu instid0(VALU_DEP_2) | instskip(SKIP_2) | instid1(VALU_DEP_3)
	v_cmp_le_i32_e64 s0, v21, v10
	s_waitcnt lgkmcnt(0)
	v_cmp_gt_i32_e32 vcc_lo, s2, v10
	v_add_co_u32 v20, s1, s4, v8
	s_delay_alu instid0(VALU_DEP_1) | instskip(SKIP_1) | instid1(SALU_CYCLE_1)
	v_add_co_ci_u32_e64 v22, s1, s5, v9, s1
	s_and_b32 s0, s0, vcc_lo
	s_and_saveexec_b32 s3, s0
	s_cbranch_execz .LBB1793_5
; %bb.4:
	v_ashrrev_i32_e32 v11, 31, v10
	v_cmp_ne_u32_e64 s0, v21, v10
	v_xor_b32_e32 v7, 0x80000000, v7
	s_delay_alu instid0(VALU_DEP_3) | instskip(NEXT) | instid1(VALU_DEP_3)
	v_lshlrev_b64 v[23:24], 4, v[10:11]
	v_cndmask_b32_e64 v9, 0, -v19, s0
	v_cndmask_b32_e64 v8, 0, v18, s0
	s_delay_alu instid0(VALU_DEP_3) | instskip(NEXT) | instid1(VALU_DEP_1)
	v_add_co_u32 v23, s1, v20, v23
	v_add_co_ci_u32_e64 v24, s1, v22, v24, s1
	global_store_b128 v[23:24], v[6:9], off
.LBB1793_5:
	s_or_b32 exec_lo, exec_lo, s3
	v_add_nc_u32_e32 v8, 16, v10
	s_delay_alu instid0(VALU_DEP_1) | instskip(SKIP_1) | instid1(VALU_DEP_1)
	v_cmp_le_i32_e64 s1, v21, v8
	v_cmp_gt_i32_e64 s0, s2, v8
	s_and_b32 s1, s1, s0
	s_delay_alu instid0(SALU_CYCLE_1)
	s_and_saveexec_b32 s3, s1
	s_cbranch_execz .LBB1793_7
; %bb.6:
	v_ashrrev_i32_e32 v9, 31, v8
	v_cmp_ne_u32_e64 s1, v21, v8
	v_xor_b32_e32 v5, 0x80000000, v5
	s_delay_alu instid0(VALU_DEP_3) | instskip(NEXT) | instid1(VALU_DEP_3)
	v_lshlrev_b64 v[18:19], 4, v[8:9]
	v_cndmask_b32_e64 v7, 0, -v17, s1
	v_cndmask_b32_e64 v6, 0, v16, s1
	s_delay_alu instid0(VALU_DEP_3) | instskip(NEXT) | instid1(VALU_DEP_1)
	v_add_co_u32 v17, s2, v20, v18
	v_add_co_ci_u32_e64 v18, s2, v22, v19, s2
	global_store_b128 v[17:18], v[4:7], off
.LBB1793_7:
	s_or_b32 exec_lo, exec_lo, s3
	v_add_nc_u32_e32 v9, 16, v21
	s_delay_alu instid0(VALU_DEP_1) | instskip(SKIP_3) | instid1(VALU_DEP_4)
	v_ashrrev_i32_e32 v6, 31, v9
	v_mul_lo_u32 v7, v9, s7
	v_mad_u64_u32 v[4:5], null, v9, s6, 0
	v_cmp_le_i32_e64 s1, v9, v10
	v_mul_lo_u32 v6, v6, s6
	s_delay_alu instid0(VALU_DEP_2) | instskip(NEXT) | instid1(VALU_DEP_1)
	s_and_b32 s1, s1, vcc_lo
	v_add3_u32 v5, v5, v7, v6
	s_delay_alu instid0(VALU_DEP_1) | instskip(NEXT) | instid1(VALU_DEP_1)
	v_lshlrev_b64 v[4:5], 4, v[4:5]
	v_add_co_u32 v6, s2, s4, v4
	s_delay_alu instid0(VALU_DEP_1)
	v_add_co_ci_u32_e64 v7, s2, s5, v5, s2
	s_and_saveexec_b32 s2, s1
	s_cbranch_execz .LBB1793_9
; %bb.8:
	v_ashrrev_i32_e32 v11, 31, v10
	v_cmp_ne_u32_e32 vcc_lo, v9, v10
	v_xor_b32_e32 v3, 0x80000000, v3
	s_delay_alu instid0(VALU_DEP_3) | instskip(SKIP_2) | instid1(VALU_DEP_3)
	v_lshlrev_b64 v[16:17], 4, v[10:11]
	v_cndmask_b32_e64 v5, 0, -v15, vcc_lo
	v_cndmask_b32_e32 v4, 0, v14, vcc_lo
	v_add_co_u32 v15, s1, v6, v16
	s_delay_alu instid0(VALU_DEP_1)
	v_add_co_ci_u32_e64 v16, s1, v7, v17, s1
	global_store_b128 v[15:16], v[2:5], off
.LBB1793_9:
	s_or_b32 exec_lo, exec_lo, s2
	v_cmp_le_i32_e32 vcc_lo, v9, v8
	s_and_b32 s0, vcc_lo, s0
	s_delay_alu instid0(SALU_CYCLE_1)
	s_and_saveexec_b32 s1, s0
	s_cbranch_execz .LBB1793_11
; %bb.10:
	v_ashrrev_i32_e32 v9, 31, v8
	v_cmp_ne_u32_e32 vcc_lo, v21, v10
	v_xor_b32_e32 v1, 0x80000000, v1
	s_delay_alu instid0(VALU_DEP_3) | instskip(SKIP_2) | instid1(VALU_DEP_3)
	v_lshlrev_b64 v[4:5], 4, v[8:9]
	v_cndmask_b32_e64 v3, 0, -v13, vcc_lo
	v_cndmask_b32_e32 v2, 0, v12, vcc_lo
	v_add_co_u32 v4, s0, v6, v4
	s_delay_alu instid0(VALU_DEP_1)
	v_add_co_ci_u32_e64 v5, s0, v7, v5, s0
	global_store_b128 v[4:5], v[0:3], off
.LBB1793_11:
	s_nop 0
	s_sendmsg sendmsg(MSG_DEALLOC_VGPRS)
	s_endpgm
	.section	.rodata,"a",@progbits
	.p2align	6, 0x0
	.amdhsa_kernel _ZL37rocblas_syrkx_herkx_restricted_kernelIl19rocblas_complex_numIdELi16ELi32ELi8ELin1ELi0ELb1ELc78ELc76EKPKS1_KPS1_EviT_PT9_S7_lS9_S7_lPT10_S7_li
		.amdhsa_group_segment_fixed_size 8192
		.amdhsa_private_segment_fixed_size 0
		.amdhsa_kernarg_size 92
		.amdhsa_user_sgpr_count 13
		.amdhsa_user_sgpr_dispatch_ptr 0
		.amdhsa_user_sgpr_queue_ptr 0
		.amdhsa_user_sgpr_kernarg_segment_ptr 1
		.amdhsa_user_sgpr_dispatch_id 0
		.amdhsa_user_sgpr_private_segment_size 0
		.amdhsa_wavefront_size32 1
		.amdhsa_uses_dynamic_stack 0
		.amdhsa_enable_private_segment 0
		.amdhsa_system_sgpr_workgroup_id_x 1
		.amdhsa_system_sgpr_workgroup_id_y 1
		.amdhsa_system_sgpr_workgroup_id_z 1
		.amdhsa_system_sgpr_workgroup_info 0
		.amdhsa_system_vgpr_workitem_id 1
		.amdhsa_next_free_vgpr 118
		.amdhsa_next_free_sgpr 20
		.amdhsa_reserve_vcc 1
		.amdhsa_float_round_mode_32 0
		.amdhsa_float_round_mode_16_64 0
		.amdhsa_float_denorm_mode_32 3
		.amdhsa_float_denorm_mode_16_64 3
		.amdhsa_dx10_clamp 1
		.amdhsa_ieee_mode 1
		.amdhsa_fp16_overflow 0
		.amdhsa_workgroup_processor_mode 1
		.amdhsa_memory_ordered 1
		.amdhsa_forward_progress 0
		.amdhsa_shared_vgpr_count 0
		.amdhsa_exception_fp_ieee_invalid_op 0
		.amdhsa_exception_fp_denorm_src 0
		.amdhsa_exception_fp_ieee_div_zero 0
		.amdhsa_exception_fp_ieee_overflow 0
		.amdhsa_exception_fp_ieee_underflow 0
		.amdhsa_exception_fp_ieee_inexact 0
		.amdhsa_exception_int_div_zero 0
	.end_amdhsa_kernel
	.section	.text._ZL37rocblas_syrkx_herkx_restricted_kernelIl19rocblas_complex_numIdELi16ELi32ELi8ELin1ELi0ELb1ELc78ELc76EKPKS1_KPS1_EviT_PT9_S7_lS9_S7_lPT10_S7_li,"axG",@progbits,_ZL37rocblas_syrkx_herkx_restricted_kernelIl19rocblas_complex_numIdELi16ELi32ELi8ELin1ELi0ELb1ELc78ELc76EKPKS1_KPS1_EviT_PT9_S7_lS9_S7_lPT10_S7_li,comdat
.Lfunc_end1793:
	.size	_ZL37rocblas_syrkx_herkx_restricted_kernelIl19rocblas_complex_numIdELi16ELi32ELi8ELin1ELi0ELb1ELc78ELc76EKPKS1_KPS1_EviT_PT9_S7_lS9_S7_lPT10_S7_li, .Lfunc_end1793-_ZL37rocblas_syrkx_herkx_restricted_kernelIl19rocblas_complex_numIdELi16ELi32ELi8ELin1ELi0ELb1ELc78ELc76EKPKS1_KPS1_EviT_PT9_S7_lS9_S7_lPT10_S7_li
                                        ; -- End function
	.section	.AMDGPU.csdata,"",@progbits
; Kernel info:
; codeLenInByte = 3092
; NumSgprs: 22
; NumVgprs: 118
; ScratchSize: 0
; MemoryBound: 0
; FloatMode: 240
; IeeeMode: 1
; LDSByteSize: 8192 bytes/workgroup (compile time only)
; SGPRBlocks: 2
; VGPRBlocks: 14
; NumSGPRsForWavesPerEU: 22
; NumVGPRsForWavesPerEU: 118
; Occupancy: 12
; WaveLimiterHint : 1
; COMPUTE_PGM_RSRC2:SCRATCH_EN: 0
; COMPUTE_PGM_RSRC2:USER_SGPR: 13
; COMPUTE_PGM_RSRC2:TRAP_HANDLER: 0
; COMPUTE_PGM_RSRC2:TGID_X_EN: 1
; COMPUTE_PGM_RSRC2:TGID_Y_EN: 1
; COMPUTE_PGM_RSRC2:TGID_Z_EN: 1
; COMPUTE_PGM_RSRC2:TIDIG_COMP_CNT: 1
	.section	.text._ZL37rocblas_syrkx_herkx_restricted_kernelIl19rocblas_complex_numIdELi16ELi32ELi8ELin1ELi0ELb1ELc84ELc85EKPKS1_KPS1_EviT_PT9_S7_lS9_S7_lPT10_S7_li,"axG",@progbits,_ZL37rocblas_syrkx_herkx_restricted_kernelIl19rocblas_complex_numIdELi16ELi32ELi8ELin1ELi0ELb1ELc84ELc85EKPKS1_KPS1_EviT_PT9_S7_lS9_S7_lPT10_S7_li,comdat
	.globl	_ZL37rocblas_syrkx_herkx_restricted_kernelIl19rocblas_complex_numIdELi16ELi32ELi8ELin1ELi0ELb1ELc84ELc85EKPKS1_KPS1_EviT_PT9_S7_lS9_S7_lPT10_S7_li ; -- Begin function _ZL37rocblas_syrkx_herkx_restricted_kernelIl19rocblas_complex_numIdELi16ELi32ELi8ELin1ELi0ELb1ELc84ELc85EKPKS1_KPS1_EviT_PT9_S7_lS9_S7_lPT10_S7_li
	.p2align	8
	.type	_ZL37rocblas_syrkx_herkx_restricted_kernelIl19rocblas_complex_numIdELi16ELi32ELi8ELin1ELi0ELb1ELc84ELc85EKPKS1_KPS1_EviT_PT9_S7_lS9_S7_lPT10_S7_li,@function
_ZL37rocblas_syrkx_herkx_restricted_kernelIl19rocblas_complex_numIdELi16ELi32ELi8ELin1ELi0ELb1ELc84ELc85EKPKS1_KPS1_EviT_PT9_S7_lS9_S7_lPT10_S7_li: ; @_ZL37rocblas_syrkx_herkx_restricted_kernelIl19rocblas_complex_numIdELi16ELi32ELi8ELin1ELi0ELb1ELc84ELc85EKPKS1_KPS1_EviT_PT9_S7_lS9_S7_lPT10_S7_li
; %bb.0:
	s_clause 0x1
	s_load_b128 s[4:7], s[0:1], 0x40
	s_load_b128 s[8:11], s[0:1], 0x8
	s_mov_b32 s2, s15
	s_mov_b32 s3, 0
	v_mov_b32_e32 v6, 0
	s_lshl_b64 s[16:17], s[2:3], 3
	v_dual_mov_b32 v7, 0 :: v_dual_and_b32 v20, 0x3ff, v0
	v_bfe_u32 v21, v0, 10, 10
	s_delay_alu instid0(VALU_DEP_3) | instskip(NEXT) | instid1(VALU_DEP_3)
	v_mov_b32_e32 v4, v6
	v_dual_mov_b32 v2, v6 :: v_dual_mov_b32 v3, v7
	v_dual_mov_b32 v19, v7 :: v_dual_mov_b32 v18, v6
	v_mov_b32_e32 v5, v7
	v_dual_mov_b32 v17, v7 :: v_dual_mov_b32 v16, v6
	v_dual_mov_b32 v15, v7 :: v_dual_mov_b32 v14, v6
	;; [unrolled: 1-line block ×3, first 2 shown]
	s_waitcnt lgkmcnt(0)
	s_add_u32 s2, s4, s16
	s_addc_u32 s3, s5, s17
	v_cmp_lt_i64_e64 s4, s[8:9], 1
	s_load_b64 s[2:3], s[2:3], 0x0
	v_dual_mov_b32 v13, v7 :: v_dual_mov_b32 v12, v6
	s_lshl_b32 s18, s13, 5
	s_lshl_b32 s19, s14, 5
	s_delay_alu instid0(VALU_DEP_2)
	s_and_b32 vcc_lo, exec_lo, s4
	s_cbranch_vccnz .LBB1794_3
; %bb.1:
	s_clause 0x1
	s_load_b128 s[12:15], s[0:1], 0x28
	s_load_b64 s[4:5], s[0:1], 0x18
	v_lshl_add_u32 v2, v21, 4, v20
	v_dual_mov_b32 v1, 0 :: v_dual_and_b32 v0, 7, v20
	s_add_u32 s10, s10, s16
	s_addc_u32 s11, s11, s17
	s_delay_alu instid0(VALU_DEP_2)
	v_lshrrev_b32_e32 v8, 3, v2
	v_and_b32_e32 v9, 31, v2
	v_lshrrev_b32_e32 v2, 5, v2
	v_mov_b32_e32 v3, v1
	s_load_b64 s[10:11], s[10:11], 0x0
	v_add_nc_u32_e32 v10, s19, v8
	v_add_nc_u32_e32 v6, s18, v9
	v_lshl_add_u32 v23, v21, 7, 0x1000
	s_delay_alu instid0(VALU_DEP_3) | instskip(NEXT) | instid1(VALU_DEP_3)
	v_ashrrev_i32_e32 v4, 31, v10
	v_ashrrev_i32_e32 v5, 31, v6
	s_waitcnt lgkmcnt(0)
	s_add_u32 s12, s12, s16
	v_mul_lo_u32 v13, v10, s15
	v_mul_lo_u32 v11, v4, s14
	;; [unrolled: 1-line block ×3, first 2 shown]
	v_mad_u64_u32 v[4:5], null, s4, v6, v[2:3]
	v_mul_lo_u32 v3, s5, v6
	v_mad_u64_u32 v[6:7], null, v10, s14, v[0:1]
	s_addc_u32 s13, s13, s17
	s_load_b64 s[4:5], s[12:13], 0x0
	s_delay_alu instid0(VALU_DEP_2) | instskip(NEXT) | instid1(VALU_DEP_2)
	v_add3_u32 v5, v3, v5, v12
	v_add3_u32 v7, v11, v7, v13
	v_mov_b32_e32 v12, 0
	v_dual_mov_b32 v13, 0 :: v_dual_lshlrev_b32 v0, 4, v0
	v_lshlrev_b32_e32 v3, 4, v9
	s_delay_alu instid0(VALU_DEP_2) | instskip(NEXT) | instid1(VALU_DEP_3)
	v_dual_mov_b32 v15, v13 :: v_dual_lshlrev_b32 v22, 4, v20
	v_lshl_or_b32 v8, v8, 7, v0
	v_lshlrev_b64 v[0:1], 4, v[4:5]
	s_delay_alu instid0(VALU_DEP_4) | instskip(SKIP_1) | instid1(VALU_DEP_4)
	v_lshl_or_b32 v24, v2, 9, v3
	v_lshlrev_b64 v[2:3], 4, v[6:7]
	v_dual_mov_b32 v14, v12 :: v_dual_add_nc_u32 v25, 0x1000, v8
	v_dual_mov_b32 v17, v13 :: v_dual_mov_b32 v16, v12
	v_add_co_u32 v0, vcc_lo, v0, s10
	v_add_co_ci_u32_e32 v1, vcc_lo, s11, v1, vcc_lo
	s_waitcnt lgkmcnt(0)
	v_add_co_u32 v2, vcc_lo, v2, s4
	v_add_co_ci_u32_e32 v3, vcc_lo, s5, v3, vcc_lo
	v_add_co_u32 v8, vcc_lo, v0, 8
	v_add_co_ci_u32_e32 v9, vcc_lo, 0, v1, vcc_lo
	s_delay_alu instid0(VALU_DEP_4)
	v_add_co_u32 v10, vcc_lo, v2, 8
	v_mov_b32_e32 v0, v12
	v_add_co_ci_u32_e32 v11, vcc_lo, 0, v3, vcc_lo
	v_dual_mov_b32 v1, v13 :: v_dual_mov_b32 v2, v12
	v_dual_mov_b32 v3, v13 :: v_dual_mov_b32 v4, v12
	v_mov_b32_e32 v5, v13
	v_dual_mov_b32 v19, v13 :: v_dual_mov_b32 v18, v12
	v_dual_mov_b32 v6, v12 :: v_dual_mov_b32 v7, v13
	s_mov_b64 s[4:5], 0
.LBB1794_2:                             ; =>This Inner Loop Header: Depth=1
	global_load_b128 v[26:29], v[8:9], off offset:-8
	global_load_b128 v[30:33], v[10:11], off offset:-8
	s_add_u32 s4, s4, 8
	v_add_co_u32 v8, vcc_lo, 0x80, v8
	s_addc_u32 s5, s5, 0
	v_add_co_ci_u32_e32 v9, vcc_lo, 0, v9, vcc_lo
	v_cmp_ge_u64_e64 s10, s[4:5], s[8:9]
	v_add_co_u32 v10, vcc_lo, 0x80, v10
	v_add_co_ci_u32_e32 v11, vcc_lo, 0, v11, vcc_lo
	s_waitcnt vmcnt(1)
	ds_store_b128 v24, v[26:29]
	s_waitcnt vmcnt(0)
	ds_store_b128 v25, v[30:33]
	s_waitcnt lgkmcnt(0)
	s_barrier
	buffer_gl0_inv
	ds_load_b128 v[26:29], v23
	ds_load_b128 v[30:33], v22
	ds_load_b128 v[34:37], v22 offset:256
	ds_load_b128 v[38:41], v23 offset:2048
	;; [unrolled: 1-line block ×13, first 2 shown]
	s_and_b32 vcc_lo, exec_lo, s10
	s_waitcnt lgkmcnt(13)
	v_mul_f64 v[86:87], v[28:29], v[32:33]
	v_mul_f64 v[88:89], v[26:27], v[32:33]
	s_waitcnt lgkmcnt(12)
	v_mul_f64 v[90:91], v[28:29], v[36:37]
	v_mul_f64 v[92:93], v[26:27], v[36:37]
	s_waitcnt lgkmcnt(11)
	v_mul_f64 v[94:95], v[40:41], v[32:33]
	v_mul_f64 v[32:33], v[38:39], v[32:33]
	v_mul_f64 v[96:97], v[40:41], v[36:37]
	v_mul_f64 v[36:37], v[38:39], v[36:37]
	s_waitcnt lgkmcnt(8)
	v_mul_f64 v[98:99], v[44:45], v[52:53]
	v_mul_f64 v[100:101], v[42:43], v[52:53]
	s_waitcnt lgkmcnt(7)
	v_mul_f64 v[102:103], v[44:45], v[56:57]
	v_mul_f64 v[104:105], v[42:43], v[56:57]
	;; [unrolled: 1-line block ×6, first 2 shown]
	s_waitcnt lgkmcnt(3)
	v_mul_f64 v[112:113], v[58:59], v[72:73]
	s_waitcnt lgkmcnt(2)
	v_mul_f64 v[114:115], v[76:77], v[68:69]
	v_mul_f64 v[116:117], v[76:77], v[72:73]
	v_fma_f64 v[86:87], v[26:27], v[30:31], -v[86:87]
	v_fma_f64 v[88:89], v[28:29], v[30:31], v[88:89]
	v_fma_f64 v[90:91], v[26:27], v[34:35], -v[90:91]
	v_fma_f64 v[92:93], v[28:29], v[34:35], v[92:93]
	v_fma_f64 v[94:95], v[38:39], v[30:31], -v[94:95]
	v_fma_f64 v[110:111], v[40:41], v[30:31], v[32:33]
	v_fma_f64 v[38:39], v[38:39], v[34:35], -v[96:97]
	v_fma_f64 v[34:35], v[40:41], v[34:35], v[36:37]
	v_mul_f64 v[36:37], v[60:61], v[68:69]
	v_mul_f64 v[40:41], v[58:59], v[68:69]
	;; [unrolled: 1-line block ×5, first 2 shown]
	v_fma_f64 v[98:99], v[42:43], v[50:51], -v[98:99]
	v_fma_f64 v[100:101], v[44:45], v[50:51], v[100:101]
	v_fma_f64 v[42:43], v[42:43], v[54:55], -v[102:103]
	v_fma_f64 v[44:45], v[44:45], v[54:55], v[104:105]
	v_fma_f64 v[102:103], v[46:47], v[50:51], -v[106:107]
	v_fma_f64 v[50:51], v[48:49], v[50:51], v[52:53]
	v_fma_f64 v[46:47], v[46:47], v[54:55], -v[108:109]
	v_fma_f64 v[48:49], v[48:49], v[54:55], v[56:57]
	ds_load_b128 v[26:29], v22 offset:1792
	ds_load_b128 v[30:33], v22 offset:2048
	v_add_f64 v[52:53], v[6:7], v[86:87]
	v_add_f64 v[18:19], v[18:19], v[88:89]
	;; [unrolled: 1-line block ×8, first 2 shown]
	s_waitcnt lgkmcnt(2)
	v_mul_f64 v[86:87], v[64:65], v[84:85]
	v_mul_f64 v[88:89], v[62:63], v[84:85]
	s_waitcnt lgkmcnt(1)
	v_mul_f64 v[90:91], v[64:65], v[28:29]
	v_mul_f64 v[92:93], v[62:63], v[28:29]
	;; [unrolled: 1-line block ×6, first 2 shown]
	v_fma_f64 v[106:107], v[58:59], v[66:67], -v[36:37]
	v_fma_f64 v[108:109], v[60:61], v[66:67], v[40:41]
	v_fma_f64 v[58:59], v[58:59], v[70:71], -v[96:97]
	v_fma_f64 v[60:61], v[60:61], v[70:71], v[112:113]
	;; [unrolled: 2-line block ×4, first 2 shown]
	ds_load_b128 v[0:3], v22 offset:2304
	ds_load_b128 v[4:7], v23 offset:64
	v_add_f64 v[52:53], v[52:53], v[98:99]
	v_add_f64 v[72:73], v[18:19], v[100:101]
	;; [unrolled: 1-line block ×8, first 2 shown]
	ds_load_b128 v[12:15], v23 offset:2112
	ds_load_b128 v[16:19], v23 offset:80
	;; [unrolled: 1-line block ×4, first 2 shown]
	s_waitcnt lgkmcnt(4)
	v_mul_f64 v[56:57], v[6:7], v[32:33]
	v_mul_f64 v[74:75], v[4:5], v[32:33]
	;; [unrolled: 1-line block ×4, first 2 shown]
	v_fma_f64 v[86:87], v[62:63], v[82:83], -v[86:87]
	v_fma_f64 v[88:89], v[64:65], v[82:83], v[88:89]
	v_fma_f64 v[62:63], v[62:63], v[26:27], -v[90:91]
	v_fma_f64 v[64:65], v[64:65], v[26:27], v[92:93]
	;; [unrolled: 2-line block ×4, first 2 shown]
	s_waitcnt lgkmcnt(3)
	v_mul_f64 v[100:101], v[14:15], v[32:33]
	v_mul_f64 v[32:33], v[12:13], v[32:33]
	;; [unrolled: 1-line block ×4, first 2 shown]
	s_waitcnt lgkmcnt(0)
	v_mul_f64 v[92:93], v[18:19], v[40:41]
	v_mul_f64 v[94:95], v[16:17], v[40:41]
	v_add_f64 v[84:85], v[52:53], v[106:107]
	v_add_f64 v[72:73], v[72:73], v[108:109]
	;; [unrolled: 1-line block ×8, first 2 shown]
	ds_load_b128 v[26:29], v22 offset:2816
	ds_load_b128 v[42:45], v22 offset:3072
	;; [unrolled: 1-line block ×4, first 2 shown]
	v_mul_f64 v[106:107], v[36:37], v[40:41]
	v_mul_f64 v[40:41], v[34:35], v[40:41]
	v_fma_f64 v[56:57], v[4:5], v[30:31], -v[56:57]
	v_fma_f64 v[74:75], v[6:7], v[30:31], v[74:75]
	v_fma_f64 v[76:77], v[4:5], v[0:1], -v[76:77]
	v_fma_f64 v[98:99], v[6:7], v[0:1], v[98:99]
	s_waitcnt lgkmcnt(3)
	v_mul_f64 v[96:97], v[18:19], v[28:29]
	v_mul_f64 v[104:105], v[16:17], v[28:29]
	;; [unrolled: 1-line block ×4, first 2 shown]
	v_fma_f64 v[100:101], v[12:13], v[30:31], -v[100:101]
	v_fma_f64 v[32:33], v[14:15], v[30:31], v[32:33]
	v_fma_f64 v[102:103], v[12:13], v[0:1], -v[102:103]
	v_fma_f64 v[112:113], v[14:15], v[0:1], v[2:3]
	ds_load_b128 v[0:3], v23 offset:2144
	ds_load_b128 v[4:7], v23 offset:112
	;; [unrolled: 1-line block ×4, first 2 shown]
	v_add_f64 v[84:85], v[84:85], v[86:87]
	v_add_f64 v[72:73], v[72:73], v[88:89]
	;; [unrolled: 1-line block ×8, first 2 shown]
	s_waitcnt lgkmcnt(4)
	v_mul_f64 v[68:69], v[52:53], v[44:45]
	v_mul_f64 v[70:71], v[50:51], v[44:45]
	;; [unrolled: 1-line block ×4, first 2 shown]
	s_waitcnt lgkmcnt(3)
	v_mul_f64 v[82:83], v[2:3], v[44:45]
	v_mul_f64 v[44:45], v[0:1], v[44:45]
	;; [unrolled: 1-line block ×4, first 2 shown]
	v_fma_f64 v[88:89], v[16:17], v[38:39], -v[92:93]
	v_fma_f64 v[90:91], v[18:19], v[38:39], v[94:95]
	v_fma_f64 v[92:93], v[16:17], v[26:27], -v[96:97]
	v_fma_f64 v[94:95], v[18:19], v[26:27], v[104:105]
	;; [unrolled: 2-line block ×4, first 2 shown]
	ds_load_b128 v[16:19], v22 offset:3840
	s_waitcnt lgkmcnt(0)
	s_barrier
	buffer_gl0_inv
	v_add_f64 v[36:37], v[84:85], v[56:57]
	v_add_f64 v[40:41], v[72:73], v[74:75]
	;; [unrolled: 1-line block ×8, first 2 shown]
	v_mul_f64 v[64:65], v[6:7], v[30:31]
	v_mul_f64 v[66:67], v[4:5], v[30:31]
	;; [unrolled: 1-line block ×4, first 2 shown]
	v_fma_f64 v[68:69], v[50:51], v[42:43], -v[68:69]
	v_mul_f64 v[72:73], v[6:7], v[18:19]
	v_mul_f64 v[74:75], v[4:5], v[18:19]
	;; [unrolled: 1-line block ×4, first 2 shown]
	v_fma_f64 v[70:71], v[52:53], v[42:43], v[70:71]
	v_fma_f64 v[50:51], v[50:51], v[46:47], -v[78:79]
	v_fma_f64 v[52:53], v[52:53], v[46:47], v[80:81]
	v_fma_f64 v[78:79], v[0:1], v[42:43], -v[82:83]
	;; [unrolled: 2-line block ×3, first 2 shown]
	v_fma_f64 v[2:3], v[2:3], v[46:47], v[48:49]
	v_add_f64 v[36:37], v[36:37], v[88:89]
	v_add_f64 v[40:41], v[40:41], v[90:91]
	;; [unrolled: 1-line block ×8, first 2 shown]
	v_fma_f64 v[38:39], v[4:5], v[28:29], -v[64:65]
	v_fma_f64 v[54:55], v[6:7], v[28:29], v[66:67]
	v_fma_f64 v[58:59], v[12:13], v[28:29], -v[76:77]
	v_fma_f64 v[28:29], v[14:15], v[28:29], v[30:31]
	;; [unrolled: 2-line block ×4, first 2 shown]
	v_add_f64 v[6:7], v[36:37], v[68:69]
	v_add_f64 v[14:15], v[40:41], v[70:71]
	;; [unrolled: 1-line block ×16, first 2 shown]
	s_cbranch_vccz .LBB1794_2
.LBB1794_3:
	v_add_nc_u32_e32 v21, s19, v21
	s_load_b32 s4, s[0:1], 0x0
	s_delay_alu instid0(VALU_DEP_1) | instskip(SKIP_2) | instid1(VALU_DEP_3)
	v_ashrrev_i32_e32 v10, 31, v21
	v_mul_lo_u32 v11, v21, s7
	v_mad_u64_u32 v[8:9], null, v21, s6, 0
	v_mul_lo_u32 v10, v10, s6
	s_delay_alu instid0(VALU_DEP_1) | instskip(SKIP_3) | instid1(VALU_DEP_3)
	v_add3_u32 v9, v9, v11, v10
	v_add_nc_u32_e32 v10, s18, v20
	s_waitcnt lgkmcnt(0)
	v_cmp_gt_i32_e32 vcc_lo, s4, v21
	v_lshlrev_b64 v[8:9], 4, v[8:9]
	s_delay_alu instid0(VALU_DEP_3) | instskip(NEXT) | instid1(VALU_DEP_1)
	v_cmp_le_i32_e64 s0, v10, v21
	s_and_b32 s0, vcc_lo, s0
	s_delay_alu instid0(VALU_DEP_2) | instskip(NEXT) | instid1(VALU_DEP_1)
	v_add_co_u32 v20, s1, s2, v8
	v_add_co_ci_u32_e64 v22, s1, s3, v9, s1
	s_and_saveexec_b32 s5, s0
	s_cbranch_execz .LBB1794_5
; %bb.4:
	v_ashrrev_i32_e32 v11, 31, v10
	v_cmp_ne_u32_e64 s0, v21, v10
	v_xor_b32_e32 v7, 0x80000000, v7
	s_delay_alu instid0(VALU_DEP_3) | instskip(NEXT) | instid1(VALU_DEP_3)
	v_lshlrev_b64 v[23:24], 4, v[10:11]
	v_cndmask_b32_e64 v9, 0, -v19, s0
	v_cndmask_b32_e64 v8, 0, v18, s0
	s_delay_alu instid0(VALU_DEP_3) | instskip(NEXT) | instid1(VALU_DEP_1)
	v_add_co_u32 v23, s1, v20, v23
	v_add_co_ci_u32_e64 v24, s1, v22, v24, s1
	global_store_b128 v[23:24], v[6:9], off
.LBB1794_5:
	s_or_b32 exec_lo, exec_lo, s5
	v_add_nc_u32_e32 v8, 16, v10
	s_delay_alu instid0(VALU_DEP_1) | instskip(NEXT) | instid1(VALU_DEP_1)
	v_cmp_le_i32_e64 s0, v8, v21
	s_and_b32 s0, vcc_lo, s0
	s_delay_alu instid0(SALU_CYCLE_1)
	s_and_saveexec_b32 s1, s0
	s_cbranch_execz .LBB1794_7
; %bb.6:
	v_ashrrev_i32_e32 v9, 31, v8
	v_cmp_ne_u32_e32 vcc_lo, v21, v8
	v_xor_b32_e32 v5, 0x80000000, v5
	s_delay_alu instid0(VALU_DEP_3) | instskip(SKIP_2) | instid1(VALU_DEP_3)
	v_lshlrev_b64 v[18:19], 4, v[8:9]
	v_cndmask_b32_e64 v7, 0, -v17, vcc_lo
	v_cndmask_b32_e32 v6, 0, v16, vcc_lo
	v_add_co_u32 v17, s0, v20, v18
	s_delay_alu instid0(VALU_DEP_1)
	v_add_co_ci_u32_e64 v18, s0, v22, v19, s0
	global_store_b128 v[17:18], v[4:7], off
.LBB1794_7:
	s_or_b32 exec_lo, exec_lo, s1
	v_add_nc_u32_e32 v9, 16, v21
	s_delay_alu instid0(VALU_DEP_1) | instskip(SKIP_3) | instid1(VALU_DEP_4)
	v_ashrrev_i32_e32 v6, 31, v9
	v_mul_lo_u32 v7, v9, s7
	v_mad_u64_u32 v[4:5], null, v9, s6, 0
	v_cmp_gt_i32_e32 vcc_lo, s4, v9
	v_mul_lo_u32 v6, v6, s6
	v_cmp_le_i32_e64 s0, v10, v9
	s_delay_alu instid0(VALU_DEP_1) | instskip(NEXT) | instid1(VALU_DEP_2)
	s_and_b32 s0, vcc_lo, s0
	v_add3_u32 v5, v5, v7, v6
	s_delay_alu instid0(VALU_DEP_1) | instskip(NEXT) | instid1(VALU_DEP_1)
	v_lshlrev_b64 v[4:5], 4, v[4:5]
	v_add_co_u32 v6, s1, s2, v4
	s_delay_alu instid0(VALU_DEP_1)
	v_add_co_ci_u32_e64 v7, s1, s3, v5, s1
	s_and_saveexec_b32 s2, s0
	s_cbranch_execz .LBB1794_9
; %bb.8:
	v_ashrrev_i32_e32 v11, 31, v10
	v_cmp_ne_u32_e64 s0, v9, v10
	v_xor_b32_e32 v3, 0x80000000, v3
	s_delay_alu instid0(VALU_DEP_3) | instskip(NEXT) | instid1(VALU_DEP_3)
	v_lshlrev_b64 v[16:17], 4, v[10:11]
	v_cndmask_b32_e64 v5, 0, -v15, s0
	v_cndmask_b32_e64 v4, 0, v14, s0
	s_delay_alu instid0(VALU_DEP_3) | instskip(NEXT) | instid1(VALU_DEP_1)
	v_add_co_u32 v15, s1, v6, v16
	v_add_co_ci_u32_e64 v16, s1, v7, v17, s1
	global_store_b128 v[15:16], v[2:5], off
.LBB1794_9:
	s_or_b32 exec_lo, exec_lo, s2
	v_cmp_le_i32_e64 s0, v8, v9
	s_delay_alu instid0(VALU_DEP_1) | instskip(NEXT) | instid1(SALU_CYCLE_1)
	s_and_b32 s0, vcc_lo, s0
	s_and_saveexec_b32 s1, s0
	s_cbranch_execz .LBB1794_11
; %bb.10:
	v_ashrrev_i32_e32 v9, 31, v8
	v_cmp_ne_u32_e32 vcc_lo, v21, v10
	v_xor_b32_e32 v1, 0x80000000, v1
	s_delay_alu instid0(VALU_DEP_3) | instskip(SKIP_2) | instid1(VALU_DEP_3)
	v_lshlrev_b64 v[4:5], 4, v[8:9]
	v_cndmask_b32_e64 v3, 0, -v13, vcc_lo
	v_cndmask_b32_e32 v2, 0, v12, vcc_lo
	v_add_co_u32 v4, s0, v6, v4
	s_delay_alu instid0(VALU_DEP_1)
	v_add_co_ci_u32_e64 v5, s0, v7, v5, s0
	global_store_b128 v[4:5], v[0:3], off
.LBB1794_11:
	s_nop 0
	s_sendmsg sendmsg(MSG_DEALLOC_VGPRS)
	s_endpgm
	.section	.rodata,"a",@progbits
	.p2align	6, 0x0
	.amdhsa_kernel _ZL37rocblas_syrkx_herkx_restricted_kernelIl19rocblas_complex_numIdELi16ELi32ELi8ELin1ELi0ELb1ELc84ELc85EKPKS1_KPS1_EviT_PT9_S7_lS9_S7_lPT10_S7_li
		.amdhsa_group_segment_fixed_size 8192
		.amdhsa_private_segment_fixed_size 0
		.amdhsa_kernarg_size 92
		.amdhsa_user_sgpr_count 13
		.amdhsa_user_sgpr_dispatch_ptr 0
		.amdhsa_user_sgpr_queue_ptr 0
		.amdhsa_user_sgpr_kernarg_segment_ptr 1
		.amdhsa_user_sgpr_dispatch_id 0
		.amdhsa_user_sgpr_private_segment_size 0
		.amdhsa_wavefront_size32 1
		.amdhsa_uses_dynamic_stack 0
		.amdhsa_enable_private_segment 0
		.amdhsa_system_sgpr_workgroup_id_x 1
		.amdhsa_system_sgpr_workgroup_id_y 1
		.amdhsa_system_sgpr_workgroup_id_z 1
		.amdhsa_system_sgpr_workgroup_info 0
		.amdhsa_system_vgpr_workitem_id 1
		.amdhsa_next_free_vgpr 118
		.amdhsa_next_free_sgpr 20
		.amdhsa_reserve_vcc 1
		.amdhsa_float_round_mode_32 0
		.amdhsa_float_round_mode_16_64 0
		.amdhsa_float_denorm_mode_32 3
		.amdhsa_float_denorm_mode_16_64 3
		.amdhsa_dx10_clamp 1
		.amdhsa_ieee_mode 1
		.amdhsa_fp16_overflow 0
		.amdhsa_workgroup_processor_mode 1
		.amdhsa_memory_ordered 1
		.amdhsa_forward_progress 0
		.amdhsa_shared_vgpr_count 0
		.amdhsa_exception_fp_ieee_invalid_op 0
		.amdhsa_exception_fp_denorm_src 0
		.amdhsa_exception_fp_ieee_div_zero 0
		.amdhsa_exception_fp_ieee_overflow 0
		.amdhsa_exception_fp_ieee_underflow 0
		.amdhsa_exception_fp_ieee_inexact 0
		.amdhsa_exception_int_div_zero 0
	.end_amdhsa_kernel
	.section	.text._ZL37rocblas_syrkx_herkx_restricted_kernelIl19rocblas_complex_numIdELi16ELi32ELi8ELin1ELi0ELb1ELc84ELc85EKPKS1_KPS1_EviT_PT9_S7_lS9_S7_lPT10_S7_li,"axG",@progbits,_ZL37rocblas_syrkx_herkx_restricted_kernelIl19rocblas_complex_numIdELi16ELi32ELi8ELin1ELi0ELb1ELc84ELc85EKPKS1_KPS1_EviT_PT9_S7_lS9_S7_lPT10_S7_li,comdat
.Lfunc_end1794:
	.size	_ZL37rocblas_syrkx_herkx_restricted_kernelIl19rocblas_complex_numIdELi16ELi32ELi8ELin1ELi0ELb1ELc84ELc85EKPKS1_KPS1_EviT_PT9_S7_lS9_S7_lPT10_S7_li, .Lfunc_end1794-_ZL37rocblas_syrkx_herkx_restricted_kernelIl19rocblas_complex_numIdELi16ELi32ELi8ELin1ELi0ELb1ELc84ELc85EKPKS1_KPS1_EviT_PT9_S7_lS9_S7_lPT10_S7_li
                                        ; -- End function
	.section	.AMDGPU.csdata,"",@progbits
; Kernel info:
; codeLenInByte = 3112
; NumSgprs: 22
; NumVgprs: 118
; ScratchSize: 0
; MemoryBound: 0
; FloatMode: 240
; IeeeMode: 1
; LDSByteSize: 8192 bytes/workgroup (compile time only)
; SGPRBlocks: 2
; VGPRBlocks: 14
; NumSGPRsForWavesPerEU: 22
; NumVGPRsForWavesPerEU: 118
; Occupancy: 12
; WaveLimiterHint : 1
; COMPUTE_PGM_RSRC2:SCRATCH_EN: 0
; COMPUTE_PGM_RSRC2:USER_SGPR: 13
; COMPUTE_PGM_RSRC2:TRAP_HANDLER: 0
; COMPUTE_PGM_RSRC2:TGID_X_EN: 1
; COMPUTE_PGM_RSRC2:TGID_Y_EN: 1
; COMPUTE_PGM_RSRC2:TGID_Z_EN: 1
; COMPUTE_PGM_RSRC2:TIDIG_COMP_CNT: 1
	.section	.text._ZL37rocblas_syrkx_herkx_restricted_kernelIl19rocblas_complex_numIdELi16ELi32ELi8ELin1ELi0ELb1ELc67ELc85EKPKS1_KPS1_EviT_PT9_S7_lS9_S7_lPT10_S7_li,"axG",@progbits,_ZL37rocblas_syrkx_herkx_restricted_kernelIl19rocblas_complex_numIdELi16ELi32ELi8ELin1ELi0ELb1ELc67ELc85EKPKS1_KPS1_EviT_PT9_S7_lS9_S7_lPT10_S7_li,comdat
	.globl	_ZL37rocblas_syrkx_herkx_restricted_kernelIl19rocblas_complex_numIdELi16ELi32ELi8ELin1ELi0ELb1ELc67ELc85EKPKS1_KPS1_EviT_PT9_S7_lS9_S7_lPT10_S7_li ; -- Begin function _ZL37rocblas_syrkx_herkx_restricted_kernelIl19rocblas_complex_numIdELi16ELi32ELi8ELin1ELi0ELb1ELc67ELc85EKPKS1_KPS1_EviT_PT9_S7_lS9_S7_lPT10_S7_li
	.p2align	8
	.type	_ZL37rocblas_syrkx_herkx_restricted_kernelIl19rocblas_complex_numIdELi16ELi32ELi8ELin1ELi0ELb1ELc67ELc85EKPKS1_KPS1_EviT_PT9_S7_lS9_S7_lPT10_S7_li,@function
_ZL37rocblas_syrkx_herkx_restricted_kernelIl19rocblas_complex_numIdELi16ELi32ELi8ELin1ELi0ELb1ELc67ELc85EKPKS1_KPS1_EviT_PT9_S7_lS9_S7_lPT10_S7_li: ; @_ZL37rocblas_syrkx_herkx_restricted_kernelIl19rocblas_complex_numIdELi16ELi32ELi8ELin1ELi0ELb1ELc67ELc85EKPKS1_KPS1_EviT_PT9_S7_lS9_S7_lPT10_S7_li
; %bb.0:
	s_clause 0x1
	s_load_b128 s[4:7], s[0:1], 0x40
	s_load_b128 s[8:11], s[0:1], 0x8
	s_mov_b32 s2, s15
	s_mov_b32 s3, 0
	v_mov_b32_e32 v6, 0
	s_lshl_b64 s[16:17], s[2:3], 3
	v_dual_mov_b32 v7, 0 :: v_dual_and_b32 v20, 0x3ff, v0
	v_bfe_u32 v21, v0, 10, 10
	s_delay_alu instid0(VALU_DEP_3) | instskip(NEXT) | instid1(VALU_DEP_3)
	v_mov_b32_e32 v4, v6
	v_dual_mov_b32 v2, v6 :: v_dual_mov_b32 v3, v7
	v_dual_mov_b32 v19, v7 :: v_dual_mov_b32 v18, v6
	v_mov_b32_e32 v5, v7
	v_dual_mov_b32 v17, v7 :: v_dual_mov_b32 v16, v6
	v_dual_mov_b32 v15, v7 :: v_dual_mov_b32 v14, v6
	;; [unrolled: 1-line block ×3, first 2 shown]
	s_waitcnt lgkmcnt(0)
	s_add_u32 s2, s4, s16
	s_addc_u32 s3, s5, s17
	v_cmp_lt_i64_e64 s4, s[8:9], 1
	s_load_b64 s[2:3], s[2:3], 0x0
	v_dual_mov_b32 v13, v7 :: v_dual_mov_b32 v12, v6
	s_lshl_b32 s18, s13, 5
	s_lshl_b32 s19, s14, 5
	s_delay_alu instid0(VALU_DEP_2)
	s_and_b32 vcc_lo, exec_lo, s4
	s_cbranch_vccnz .LBB1795_3
; %bb.1:
	s_clause 0x1
	s_load_b128 s[12:15], s[0:1], 0x28
	s_load_b64 s[4:5], s[0:1], 0x18
	v_lshl_add_u32 v2, v21, 4, v20
	v_dual_mov_b32 v1, 0 :: v_dual_and_b32 v0, 7, v20
	s_add_u32 s10, s10, s16
	s_addc_u32 s11, s11, s17
	s_delay_alu instid0(VALU_DEP_2)
	v_lshrrev_b32_e32 v8, 3, v2
	v_and_b32_e32 v9, 31, v2
	v_lshrrev_b32_e32 v2, 5, v2
	v_mov_b32_e32 v3, v1
	s_load_b64 s[10:11], s[10:11], 0x0
	v_add_nc_u32_e32 v10, s19, v8
	v_add_nc_u32_e32 v6, s18, v9
	v_lshl_add_u32 v23, v21, 7, 0x1000
	s_delay_alu instid0(VALU_DEP_3) | instskip(NEXT) | instid1(VALU_DEP_3)
	v_ashrrev_i32_e32 v4, 31, v10
	v_ashrrev_i32_e32 v5, 31, v6
	s_waitcnt lgkmcnt(0)
	s_add_u32 s12, s12, s16
	v_mul_lo_u32 v13, v10, s15
	v_mul_lo_u32 v11, v4, s14
	;; [unrolled: 1-line block ×3, first 2 shown]
	v_mad_u64_u32 v[4:5], null, s4, v6, v[2:3]
	v_mul_lo_u32 v3, s5, v6
	v_mad_u64_u32 v[6:7], null, v10, s14, v[0:1]
	s_addc_u32 s13, s13, s17
	s_load_b64 s[4:5], s[12:13], 0x0
	s_delay_alu instid0(VALU_DEP_2) | instskip(NEXT) | instid1(VALU_DEP_2)
	v_add3_u32 v5, v3, v5, v12
	v_add3_u32 v7, v11, v7, v13
	v_mov_b32_e32 v12, 0
	v_dual_mov_b32 v13, 0 :: v_dual_lshlrev_b32 v0, 4, v0
	v_lshlrev_b32_e32 v3, 4, v9
	s_delay_alu instid0(VALU_DEP_2) | instskip(NEXT) | instid1(VALU_DEP_3)
	v_dual_mov_b32 v15, v13 :: v_dual_lshlrev_b32 v22, 4, v20
	v_lshl_or_b32 v8, v8, 7, v0
	v_lshlrev_b64 v[0:1], 4, v[4:5]
	s_delay_alu instid0(VALU_DEP_4) | instskip(SKIP_1) | instid1(VALU_DEP_4)
	v_lshl_or_b32 v24, v2, 9, v3
	v_lshlrev_b64 v[2:3], 4, v[6:7]
	v_dual_mov_b32 v14, v12 :: v_dual_add_nc_u32 v25, 0x1000, v8
	v_dual_mov_b32 v17, v13 :: v_dual_mov_b32 v16, v12
	v_add_co_u32 v0, vcc_lo, v0, s10
	v_add_co_ci_u32_e32 v1, vcc_lo, s11, v1, vcc_lo
	s_waitcnt lgkmcnt(0)
	v_add_co_u32 v2, vcc_lo, v2, s4
	v_add_co_ci_u32_e32 v3, vcc_lo, s5, v3, vcc_lo
	v_add_co_u32 v8, vcc_lo, v0, 8
	v_add_co_ci_u32_e32 v9, vcc_lo, 0, v1, vcc_lo
	s_delay_alu instid0(VALU_DEP_4)
	v_add_co_u32 v10, vcc_lo, v2, 8
	v_mov_b32_e32 v0, v12
	v_add_co_ci_u32_e32 v11, vcc_lo, 0, v3, vcc_lo
	v_dual_mov_b32 v1, v13 :: v_dual_mov_b32 v2, v12
	v_dual_mov_b32 v3, v13 :: v_dual_mov_b32 v4, v12
	v_mov_b32_e32 v5, v13
	v_dual_mov_b32 v19, v13 :: v_dual_mov_b32 v18, v12
	v_dual_mov_b32 v6, v12 :: v_dual_mov_b32 v7, v13
	s_mov_b64 s[4:5], 0
.LBB1795_2:                             ; =>This Inner Loop Header: Depth=1
	global_load_b128 v[26:29], v[8:9], off offset:-8
	global_load_b128 v[30:33], v[10:11], off offset:-8
	s_add_u32 s4, s4, 8
	v_add_co_u32 v8, vcc_lo, 0x80, v8
	s_addc_u32 s5, s5, 0
	v_add_co_ci_u32_e32 v9, vcc_lo, 0, v9, vcc_lo
	v_cmp_ge_u64_e64 s10, s[4:5], s[8:9]
	v_add_co_u32 v10, vcc_lo, 0x80, v10
	v_add_co_ci_u32_e32 v11, vcc_lo, 0, v11, vcc_lo
	s_delay_alu instid0(VALU_DEP_3)
	s_and_b32 vcc_lo, exec_lo, s10
	s_waitcnt vmcnt(1)
	v_xor_b32_e32 v29, 0x80000000, v29
	ds_store_b128 v24, v[26:29]
	s_waitcnt vmcnt(0)
	ds_store_b128 v25, v[30:33]
	s_waitcnt lgkmcnt(0)
	s_barrier
	buffer_gl0_inv
	ds_load_b128 v[26:29], v23
	ds_load_b128 v[30:33], v22
	ds_load_b128 v[34:37], v22 offset:256
	ds_load_b128 v[38:41], v23 offset:2048
	;; [unrolled: 1-line block ×13, first 2 shown]
	s_waitcnt lgkmcnt(13)
	v_mul_f64 v[86:87], v[28:29], v[32:33]
	v_mul_f64 v[88:89], v[26:27], v[32:33]
	s_waitcnt lgkmcnt(12)
	v_mul_f64 v[90:91], v[28:29], v[36:37]
	v_mul_f64 v[92:93], v[26:27], v[36:37]
	s_waitcnt lgkmcnt(11)
	v_mul_f64 v[94:95], v[40:41], v[32:33]
	v_mul_f64 v[32:33], v[38:39], v[32:33]
	v_mul_f64 v[96:97], v[40:41], v[36:37]
	v_mul_f64 v[36:37], v[38:39], v[36:37]
	s_waitcnt lgkmcnt(8)
	v_mul_f64 v[98:99], v[44:45], v[52:53]
	v_mul_f64 v[100:101], v[42:43], v[52:53]
	s_waitcnt lgkmcnt(7)
	v_mul_f64 v[102:103], v[44:45], v[56:57]
	v_mul_f64 v[104:105], v[42:43], v[56:57]
	;; [unrolled: 1-line block ×6, first 2 shown]
	s_waitcnt lgkmcnt(3)
	v_mul_f64 v[112:113], v[58:59], v[72:73]
	s_waitcnt lgkmcnt(2)
	v_mul_f64 v[114:115], v[76:77], v[68:69]
	v_mul_f64 v[116:117], v[76:77], v[72:73]
	v_fma_f64 v[86:87], v[26:27], v[30:31], -v[86:87]
	v_fma_f64 v[88:89], v[28:29], v[30:31], v[88:89]
	v_fma_f64 v[90:91], v[26:27], v[34:35], -v[90:91]
	v_fma_f64 v[92:93], v[28:29], v[34:35], v[92:93]
	;; [unrolled: 2-line block ×4, first 2 shown]
	v_mul_f64 v[36:37], v[60:61], v[68:69]
	v_mul_f64 v[40:41], v[58:59], v[68:69]
	;; [unrolled: 1-line block ×5, first 2 shown]
	v_fma_f64 v[98:99], v[42:43], v[50:51], -v[98:99]
	v_fma_f64 v[100:101], v[44:45], v[50:51], v[100:101]
	v_fma_f64 v[42:43], v[42:43], v[54:55], -v[102:103]
	v_fma_f64 v[44:45], v[44:45], v[54:55], v[104:105]
	;; [unrolled: 2-line block ×4, first 2 shown]
	ds_load_b128 v[26:29], v22 offset:1792
	ds_load_b128 v[30:33], v22 offset:2048
	v_add_f64 v[52:53], v[6:7], v[86:87]
	v_add_f64 v[18:19], v[18:19], v[88:89]
	;; [unrolled: 1-line block ×8, first 2 shown]
	s_waitcnt lgkmcnt(2)
	v_mul_f64 v[86:87], v[64:65], v[84:85]
	v_mul_f64 v[88:89], v[62:63], v[84:85]
	s_waitcnt lgkmcnt(1)
	v_mul_f64 v[90:91], v[64:65], v[28:29]
	v_mul_f64 v[92:93], v[62:63], v[28:29]
	;; [unrolled: 1-line block ×6, first 2 shown]
	v_fma_f64 v[106:107], v[58:59], v[66:67], -v[36:37]
	v_fma_f64 v[108:109], v[60:61], v[66:67], v[40:41]
	v_fma_f64 v[58:59], v[58:59], v[70:71], -v[96:97]
	v_fma_f64 v[60:61], v[60:61], v[70:71], v[112:113]
	v_fma_f64 v[96:97], v[74:75], v[66:67], -v[114:115]
	v_fma_f64 v[66:67], v[76:77], v[66:67], v[68:69]
	v_fma_f64 v[68:69], v[74:75], v[70:71], -v[116:117]
	v_fma_f64 v[70:71], v[76:77], v[70:71], v[72:73]
	ds_load_b128 v[0:3], v22 offset:2304
	ds_load_b128 v[4:7], v23 offset:64
	v_add_f64 v[52:53], v[52:53], v[98:99]
	v_add_f64 v[72:73], v[18:19], v[100:101]
	;; [unrolled: 1-line block ×8, first 2 shown]
	ds_load_b128 v[12:15], v23 offset:2112
	ds_load_b128 v[16:19], v23 offset:80
	;; [unrolled: 1-line block ×4, first 2 shown]
	s_waitcnt lgkmcnt(4)
	v_mul_f64 v[56:57], v[6:7], v[32:33]
	v_mul_f64 v[74:75], v[4:5], v[32:33]
	;; [unrolled: 1-line block ×4, first 2 shown]
	v_fma_f64 v[86:87], v[62:63], v[82:83], -v[86:87]
	v_fma_f64 v[88:89], v[64:65], v[82:83], v[88:89]
	v_fma_f64 v[62:63], v[62:63], v[26:27], -v[90:91]
	v_fma_f64 v[64:65], v[64:65], v[26:27], v[92:93]
	;; [unrolled: 2-line block ×4, first 2 shown]
	s_waitcnt lgkmcnt(3)
	v_mul_f64 v[100:101], v[14:15], v[32:33]
	v_mul_f64 v[32:33], v[12:13], v[32:33]
	;; [unrolled: 1-line block ×4, first 2 shown]
	s_waitcnt lgkmcnt(0)
	v_mul_f64 v[92:93], v[18:19], v[40:41]
	v_mul_f64 v[94:95], v[16:17], v[40:41]
	v_add_f64 v[84:85], v[52:53], v[106:107]
	v_add_f64 v[72:73], v[72:73], v[108:109]
	;; [unrolled: 1-line block ×8, first 2 shown]
	ds_load_b128 v[26:29], v22 offset:2816
	ds_load_b128 v[42:45], v22 offset:3072
	;; [unrolled: 1-line block ×4, first 2 shown]
	v_mul_f64 v[106:107], v[36:37], v[40:41]
	v_mul_f64 v[40:41], v[34:35], v[40:41]
	v_fma_f64 v[56:57], v[4:5], v[30:31], -v[56:57]
	v_fma_f64 v[74:75], v[6:7], v[30:31], v[74:75]
	v_fma_f64 v[76:77], v[4:5], v[0:1], -v[76:77]
	v_fma_f64 v[98:99], v[6:7], v[0:1], v[98:99]
	s_waitcnt lgkmcnt(3)
	v_mul_f64 v[96:97], v[18:19], v[28:29]
	v_mul_f64 v[104:105], v[16:17], v[28:29]
	v_mul_f64 v[108:109], v[36:37], v[28:29]
	v_mul_f64 v[110:111], v[34:35], v[28:29]
	v_fma_f64 v[100:101], v[12:13], v[30:31], -v[100:101]
	v_fma_f64 v[32:33], v[14:15], v[30:31], v[32:33]
	v_fma_f64 v[102:103], v[12:13], v[0:1], -v[102:103]
	v_fma_f64 v[112:113], v[14:15], v[0:1], v[2:3]
	ds_load_b128 v[0:3], v23 offset:2144
	ds_load_b128 v[4:7], v23 offset:112
	;; [unrolled: 1-line block ×4, first 2 shown]
	v_add_f64 v[84:85], v[84:85], v[86:87]
	v_add_f64 v[72:73], v[72:73], v[88:89]
	;; [unrolled: 1-line block ×8, first 2 shown]
	s_waitcnt lgkmcnt(4)
	v_mul_f64 v[68:69], v[52:53], v[44:45]
	v_mul_f64 v[70:71], v[50:51], v[44:45]
	;; [unrolled: 1-line block ×4, first 2 shown]
	s_waitcnt lgkmcnt(3)
	v_mul_f64 v[82:83], v[2:3], v[44:45]
	v_mul_f64 v[44:45], v[0:1], v[44:45]
	;; [unrolled: 1-line block ×4, first 2 shown]
	v_fma_f64 v[88:89], v[16:17], v[38:39], -v[92:93]
	v_fma_f64 v[90:91], v[18:19], v[38:39], v[94:95]
	v_fma_f64 v[92:93], v[16:17], v[26:27], -v[96:97]
	v_fma_f64 v[94:95], v[18:19], v[26:27], v[104:105]
	;; [unrolled: 2-line block ×4, first 2 shown]
	ds_load_b128 v[16:19], v22 offset:3840
	s_waitcnt lgkmcnt(0)
	s_barrier
	buffer_gl0_inv
	v_add_f64 v[36:37], v[84:85], v[56:57]
	v_add_f64 v[40:41], v[72:73], v[74:75]
	v_add_f64 v[56:57], v[58:59], v[76:77]
	v_add_f64 v[58:59], v[60:61], v[98:99]
	v_add_f64 v[54:55], v[54:55], v[100:101]
	v_add_f64 v[32:33], v[62:63], v[32:33]
	v_add_f64 v[60:61], v[64:65], v[102:103]
	v_add_f64 v[62:63], v[66:67], v[112:113]
	v_mul_f64 v[64:65], v[6:7], v[30:31]
	v_mul_f64 v[66:67], v[4:5], v[30:31]
	;; [unrolled: 1-line block ×4, first 2 shown]
	v_fma_f64 v[68:69], v[50:51], v[42:43], -v[68:69]
	v_mul_f64 v[72:73], v[6:7], v[18:19]
	v_mul_f64 v[74:75], v[4:5], v[18:19]
	;; [unrolled: 1-line block ×4, first 2 shown]
	v_fma_f64 v[70:71], v[52:53], v[42:43], v[70:71]
	v_fma_f64 v[50:51], v[50:51], v[46:47], -v[78:79]
	v_fma_f64 v[52:53], v[52:53], v[46:47], v[80:81]
	v_fma_f64 v[78:79], v[0:1], v[42:43], -v[82:83]
	;; [unrolled: 2-line block ×3, first 2 shown]
	v_fma_f64 v[2:3], v[2:3], v[46:47], v[48:49]
	v_add_f64 v[36:37], v[36:37], v[88:89]
	v_add_f64 v[40:41], v[40:41], v[90:91]
	;; [unrolled: 1-line block ×8, first 2 shown]
	v_fma_f64 v[38:39], v[4:5], v[28:29], -v[64:65]
	v_fma_f64 v[54:55], v[6:7], v[28:29], v[66:67]
	v_fma_f64 v[58:59], v[12:13], v[28:29], -v[76:77]
	v_fma_f64 v[28:29], v[14:15], v[28:29], v[30:31]
	;; [unrolled: 2-line block ×4, first 2 shown]
	v_add_f64 v[6:7], v[36:37], v[68:69]
	v_add_f64 v[14:15], v[40:41], v[70:71]
	;; [unrolled: 1-line block ×16, first 2 shown]
	s_cbranch_vccz .LBB1795_2
.LBB1795_3:
	v_add_nc_u32_e32 v21, s19, v21
	s_load_b32 s4, s[0:1], 0x0
	s_delay_alu instid0(VALU_DEP_1) | instskip(SKIP_2) | instid1(VALU_DEP_3)
	v_ashrrev_i32_e32 v10, 31, v21
	v_mul_lo_u32 v11, v21, s7
	v_mad_u64_u32 v[8:9], null, v21, s6, 0
	v_mul_lo_u32 v10, v10, s6
	s_delay_alu instid0(VALU_DEP_1) | instskip(SKIP_3) | instid1(VALU_DEP_3)
	v_add3_u32 v9, v9, v11, v10
	v_add_nc_u32_e32 v10, s18, v20
	s_waitcnt lgkmcnt(0)
	v_cmp_gt_i32_e32 vcc_lo, s4, v21
	v_lshlrev_b64 v[8:9], 4, v[8:9]
	s_delay_alu instid0(VALU_DEP_3) | instskip(NEXT) | instid1(VALU_DEP_1)
	v_cmp_le_i32_e64 s0, v10, v21
	s_and_b32 s0, vcc_lo, s0
	s_delay_alu instid0(VALU_DEP_2) | instskip(NEXT) | instid1(VALU_DEP_1)
	v_add_co_u32 v20, s1, s2, v8
	v_add_co_ci_u32_e64 v22, s1, s3, v9, s1
	s_and_saveexec_b32 s5, s0
	s_cbranch_execz .LBB1795_5
; %bb.4:
	v_ashrrev_i32_e32 v11, 31, v10
	v_cmp_ne_u32_e64 s0, v21, v10
	v_xor_b32_e32 v7, 0x80000000, v7
	s_delay_alu instid0(VALU_DEP_3) | instskip(NEXT) | instid1(VALU_DEP_3)
	v_lshlrev_b64 v[23:24], 4, v[10:11]
	v_cndmask_b32_e64 v9, 0, -v19, s0
	v_cndmask_b32_e64 v8, 0, v18, s0
	s_delay_alu instid0(VALU_DEP_3) | instskip(NEXT) | instid1(VALU_DEP_1)
	v_add_co_u32 v23, s1, v20, v23
	v_add_co_ci_u32_e64 v24, s1, v22, v24, s1
	global_store_b128 v[23:24], v[6:9], off
.LBB1795_5:
	s_or_b32 exec_lo, exec_lo, s5
	v_add_nc_u32_e32 v8, 16, v10
	s_delay_alu instid0(VALU_DEP_1) | instskip(NEXT) | instid1(VALU_DEP_1)
	v_cmp_le_i32_e64 s0, v8, v21
	s_and_b32 s0, vcc_lo, s0
	s_delay_alu instid0(SALU_CYCLE_1)
	s_and_saveexec_b32 s1, s0
	s_cbranch_execz .LBB1795_7
; %bb.6:
	v_ashrrev_i32_e32 v9, 31, v8
	v_cmp_ne_u32_e32 vcc_lo, v21, v8
	v_xor_b32_e32 v5, 0x80000000, v5
	s_delay_alu instid0(VALU_DEP_3) | instskip(SKIP_2) | instid1(VALU_DEP_3)
	v_lshlrev_b64 v[18:19], 4, v[8:9]
	v_cndmask_b32_e64 v7, 0, -v17, vcc_lo
	v_cndmask_b32_e32 v6, 0, v16, vcc_lo
	v_add_co_u32 v17, s0, v20, v18
	s_delay_alu instid0(VALU_DEP_1)
	v_add_co_ci_u32_e64 v18, s0, v22, v19, s0
	global_store_b128 v[17:18], v[4:7], off
.LBB1795_7:
	s_or_b32 exec_lo, exec_lo, s1
	v_add_nc_u32_e32 v9, 16, v21
	s_delay_alu instid0(VALU_DEP_1) | instskip(SKIP_3) | instid1(VALU_DEP_4)
	v_ashrrev_i32_e32 v6, 31, v9
	v_mul_lo_u32 v7, v9, s7
	v_mad_u64_u32 v[4:5], null, v9, s6, 0
	v_cmp_gt_i32_e32 vcc_lo, s4, v9
	v_mul_lo_u32 v6, v6, s6
	v_cmp_le_i32_e64 s0, v10, v9
	s_delay_alu instid0(VALU_DEP_1) | instskip(NEXT) | instid1(VALU_DEP_2)
	s_and_b32 s0, vcc_lo, s0
	v_add3_u32 v5, v5, v7, v6
	s_delay_alu instid0(VALU_DEP_1) | instskip(NEXT) | instid1(VALU_DEP_1)
	v_lshlrev_b64 v[4:5], 4, v[4:5]
	v_add_co_u32 v6, s1, s2, v4
	s_delay_alu instid0(VALU_DEP_1)
	v_add_co_ci_u32_e64 v7, s1, s3, v5, s1
	s_and_saveexec_b32 s2, s0
	s_cbranch_execz .LBB1795_9
; %bb.8:
	v_ashrrev_i32_e32 v11, 31, v10
	v_cmp_ne_u32_e64 s0, v9, v10
	v_xor_b32_e32 v3, 0x80000000, v3
	s_delay_alu instid0(VALU_DEP_3) | instskip(NEXT) | instid1(VALU_DEP_3)
	v_lshlrev_b64 v[16:17], 4, v[10:11]
	v_cndmask_b32_e64 v5, 0, -v15, s0
	v_cndmask_b32_e64 v4, 0, v14, s0
	s_delay_alu instid0(VALU_DEP_3) | instskip(NEXT) | instid1(VALU_DEP_1)
	v_add_co_u32 v15, s1, v6, v16
	v_add_co_ci_u32_e64 v16, s1, v7, v17, s1
	global_store_b128 v[15:16], v[2:5], off
.LBB1795_9:
	s_or_b32 exec_lo, exec_lo, s2
	v_cmp_le_i32_e64 s0, v8, v9
	s_delay_alu instid0(VALU_DEP_1) | instskip(NEXT) | instid1(SALU_CYCLE_1)
	s_and_b32 s0, vcc_lo, s0
	s_and_saveexec_b32 s1, s0
	s_cbranch_execz .LBB1795_11
; %bb.10:
	v_ashrrev_i32_e32 v9, 31, v8
	v_cmp_ne_u32_e32 vcc_lo, v21, v10
	v_xor_b32_e32 v1, 0x80000000, v1
	s_delay_alu instid0(VALU_DEP_3) | instskip(SKIP_2) | instid1(VALU_DEP_3)
	v_lshlrev_b64 v[4:5], 4, v[8:9]
	v_cndmask_b32_e64 v3, 0, -v13, vcc_lo
	v_cndmask_b32_e32 v2, 0, v12, vcc_lo
	v_add_co_u32 v4, s0, v6, v4
	s_delay_alu instid0(VALU_DEP_1)
	v_add_co_ci_u32_e64 v5, s0, v7, v5, s0
	global_store_b128 v[4:5], v[0:3], off
.LBB1795_11:
	s_nop 0
	s_sendmsg sendmsg(MSG_DEALLOC_VGPRS)
	s_endpgm
	.section	.rodata,"a",@progbits
	.p2align	6, 0x0
	.amdhsa_kernel _ZL37rocblas_syrkx_herkx_restricted_kernelIl19rocblas_complex_numIdELi16ELi32ELi8ELin1ELi0ELb1ELc67ELc85EKPKS1_KPS1_EviT_PT9_S7_lS9_S7_lPT10_S7_li
		.amdhsa_group_segment_fixed_size 8192
		.amdhsa_private_segment_fixed_size 0
		.amdhsa_kernarg_size 92
		.amdhsa_user_sgpr_count 13
		.amdhsa_user_sgpr_dispatch_ptr 0
		.amdhsa_user_sgpr_queue_ptr 0
		.amdhsa_user_sgpr_kernarg_segment_ptr 1
		.amdhsa_user_sgpr_dispatch_id 0
		.amdhsa_user_sgpr_private_segment_size 0
		.amdhsa_wavefront_size32 1
		.amdhsa_uses_dynamic_stack 0
		.amdhsa_enable_private_segment 0
		.amdhsa_system_sgpr_workgroup_id_x 1
		.amdhsa_system_sgpr_workgroup_id_y 1
		.amdhsa_system_sgpr_workgroup_id_z 1
		.amdhsa_system_sgpr_workgroup_info 0
		.amdhsa_system_vgpr_workitem_id 1
		.amdhsa_next_free_vgpr 118
		.amdhsa_next_free_sgpr 20
		.amdhsa_reserve_vcc 1
		.amdhsa_float_round_mode_32 0
		.amdhsa_float_round_mode_16_64 0
		.amdhsa_float_denorm_mode_32 3
		.amdhsa_float_denorm_mode_16_64 3
		.amdhsa_dx10_clamp 1
		.amdhsa_ieee_mode 1
		.amdhsa_fp16_overflow 0
		.amdhsa_workgroup_processor_mode 1
		.amdhsa_memory_ordered 1
		.amdhsa_forward_progress 0
		.amdhsa_shared_vgpr_count 0
		.amdhsa_exception_fp_ieee_invalid_op 0
		.amdhsa_exception_fp_denorm_src 0
		.amdhsa_exception_fp_ieee_div_zero 0
		.amdhsa_exception_fp_ieee_overflow 0
		.amdhsa_exception_fp_ieee_underflow 0
		.amdhsa_exception_fp_ieee_inexact 0
		.amdhsa_exception_int_div_zero 0
	.end_amdhsa_kernel
	.section	.text._ZL37rocblas_syrkx_herkx_restricted_kernelIl19rocblas_complex_numIdELi16ELi32ELi8ELin1ELi0ELb1ELc67ELc85EKPKS1_KPS1_EviT_PT9_S7_lS9_S7_lPT10_S7_li,"axG",@progbits,_ZL37rocblas_syrkx_herkx_restricted_kernelIl19rocblas_complex_numIdELi16ELi32ELi8ELin1ELi0ELb1ELc67ELc85EKPKS1_KPS1_EviT_PT9_S7_lS9_S7_lPT10_S7_li,comdat
.Lfunc_end1795:
	.size	_ZL37rocblas_syrkx_herkx_restricted_kernelIl19rocblas_complex_numIdELi16ELi32ELi8ELin1ELi0ELb1ELc67ELc85EKPKS1_KPS1_EviT_PT9_S7_lS9_S7_lPT10_S7_li, .Lfunc_end1795-_ZL37rocblas_syrkx_herkx_restricted_kernelIl19rocblas_complex_numIdELi16ELi32ELi8ELin1ELi0ELb1ELc67ELc85EKPKS1_KPS1_EviT_PT9_S7_lS9_S7_lPT10_S7_li
                                        ; -- End function
	.section	.AMDGPU.csdata,"",@progbits
; Kernel info:
; codeLenInByte = 3124
; NumSgprs: 22
; NumVgprs: 118
; ScratchSize: 0
; MemoryBound: 0
; FloatMode: 240
; IeeeMode: 1
; LDSByteSize: 8192 bytes/workgroup (compile time only)
; SGPRBlocks: 2
; VGPRBlocks: 14
; NumSGPRsForWavesPerEU: 22
; NumVGPRsForWavesPerEU: 118
; Occupancy: 12
; WaveLimiterHint : 1
; COMPUTE_PGM_RSRC2:SCRATCH_EN: 0
; COMPUTE_PGM_RSRC2:USER_SGPR: 13
; COMPUTE_PGM_RSRC2:TRAP_HANDLER: 0
; COMPUTE_PGM_RSRC2:TGID_X_EN: 1
; COMPUTE_PGM_RSRC2:TGID_Y_EN: 1
; COMPUTE_PGM_RSRC2:TGID_Z_EN: 1
; COMPUTE_PGM_RSRC2:TIDIG_COMP_CNT: 1
	.section	.text._ZL37rocblas_syrkx_herkx_restricted_kernelIl19rocblas_complex_numIdELi16ELi32ELi8ELin1ELi0ELb1ELc78ELc85EKPKS1_KPS1_EviT_PT9_S7_lS9_S7_lPT10_S7_li,"axG",@progbits,_ZL37rocblas_syrkx_herkx_restricted_kernelIl19rocblas_complex_numIdELi16ELi32ELi8ELin1ELi0ELb1ELc78ELc85EKPKS1_KPS1_EviT_PT9_S7_lS9_S7_lPT10_S7_li,comdat
	.globl	_ZL37rocblas_syrkx_herkx_restricted_kernelIl19rocblas_complex_numIdELi16ELi32ELi8ELin1ELi0ELb1ELc78ELc85EKPKS1_KPS1_EviT_PT9_S7_lS9_S7_lPT10_S7_li ; -- Begin function _ZL37rocblas_syrkx_herkx_restricted_kernelIl19rocblas_complex_numIdELi16ELi32ELi8ELin1ELi0ELb1ELc78ELc85EKPKS1_KPS1_EviT_PT9_S7_lS9_S7_lPT10_S7_li
	.p2align	8
	.type	_ZL37rocblas_syrkx_herkx_restricted_kernelIl19rocblas_complex_numIdELi16ELi32ELi8ELin1ELi0ELb1ELc78ELc85EKPKS1_KPS1_EviT_PT9_S7_lS9_S7_lPT10_S7_li,@function
_ZL37rocblas_syrkx_herkx_restricted_kernelIl19rocblas_complex_numIdELi16ELi32ELi8ELin1ELi0ELb1ELc78ELc85EKPKS1_KPS1_EviT_PT9_S7_lS9_S7_lPT10_S7_li: ; @_ZL37rocblas_syrkx_herkx_restricted_kernelIl19rocblas_complex_numIdELi16ELi32ELi8ELin1ELi0ELb1ELc78ELc85EKPKS1_KPS1_EviT_PT9_S7_lS9_S7_lPT10_S7_li
; %bb.0:
	s_clause 0x1
	s_load_b128 s[4:7], s[0:1], 0x40
	s_load_b128 s[8:11], s[0:1], 0x8
	s_mov_b32 s2, s15
	s_mov_b32 s3, 0
	v_mov_b32_e32 v6, 0
	s_lshl_b64 s[16:17], s[2:3], 3
	v_dual_mov_b32 v7, 0 :: v_dual_and_b32 v20, 0x3ff, v0
	v_bfe_u32 v21, v0, 10, 10
	s_delay_alu instid0(VALU_DEP_3) | instskip(NEXT) | instid1(VALU_DEP_3)
	v_mov_b32_e32 v4, v6
	v_dual_mov_b32 v2, v6 :: v_dual_mov_b32 v3, v7
	v_dual_mov_b32 v19, v7 :: v_dual_mov_b32 v18, v6
	v_mov_b32_e32 v5, v7
	v_dual_mov_b32 v17, v7 :: v_dual_mov_b32 v16, v6
	v_dual_mov_b32 v15, v7 :: v_dual_mov_b32 v14, v6
	;; [unrolled: 1-line block ×3, first 2 shown]
	s_waitcnt lgkmcnt(0)
	s_add_u32 s2, s4, s16
	s_addc_u32 s3, s5, s17
	v_cmp_lt_i64_e64 s4, s[8:9], 1
	s_load_b64 s[2:3], s[2:3], 0x0
	v_dual_mov_b32 v13, v7 :: v_dual_mov_b32 v12, v6
	s_lshl_b32 s18, s13, 5
	s_lshl_b32 s19, s14, 5
	s_delay_alu instid0(VALU_DEP_2)
	s_and_b32 vcc_lo, exec_lo, s4
	s_cbranch_vccnz .LBB1796_3
; %bb.1:
	v_lshl_add_u32 v1, v21, 4, v20
	s_clause 0x1
	s_load_b64 s[4:5], s[0:1], 0x18
	s_load_b128 s[12:15], s[0:1], 0x28
	v_mov_b32_e32 v12, 0
	s_add_u32 s10, s10, s16
	s_addc_u32 s11, s11, s17
	v_lshrrev_b32_e32 v10, 3, v1
	v_and_b32_e32 v9, 31, v1
	v_lshrrev_b32_e32 v11, 5, v1
	s_load_b64 s[10:11], s[10:11], 0x0
	v_lshl_add_u32 v23, v21, 7, 0x1000
	v_dual_mov_b32 v13, 0 :: v_dual_add_nc_u32 v2, s19, v10
	v_and_b32_e32 v14, 7, v20
	s_delay_alu instid0(VALU_DEP_2) | instskip(NEXT) | instid1(VALU_DEP_3)
	v_ashrrev_i32_e32 v3, 31, v2
	v_dual_mov_b32 v17, v13 :: v_dual_mov_b32 v16, v12
	v_dual_mov_b32 v19, v13 :: v_dual_mov_b32 v18, v12
	s_waitcnt lgkmcnt(0)
	s_delay_alu instid0(VALU_DEP_3) | instskip(SKIP_4) | instid1(VALU_DEP_1)
	v_mad_u64_u32 v[6:7], null, v14, s14, v[2:3]
	v_add_nc_u32_e32 v0, s18, v9
	s_add_u32 s12, s12, s16
	s_addc_u32 s13, s13, s17
	s_load_b64 s[12:13], s[12:13], 0x0
	v_ashrrev_i32_e32 v1, 31, v0
	s_delay_alu instid0(VALU_DEP_1) | instskip(NEXT) | instid1(VALU_DEP_1)
	v_mad_u64_u32 v[4:5], null, v11, s4, v[0:1]
	v_dual_mov_b32 v1, v7 :: v_dual_mov_b32 v0, v5
	s_delay_alu instid0(VALU_DEP_1) | instskip(SKIP_2) | instid1(VALU_DEP_2)
	v_mad_u64_u32 v[2:3], null, v11, s5, v[0:1]
	v_lshlrev_b32_e32 v22, 4, v20
	s_lshl_b64 s[4:5], s[4:5], 7
	v_mov_b32_e32 v5, v2
	v_mad_u64_u32 v[7:8], null, v14, s15, v[1:2]
	v_dual_mov_b32 v0, v12 :: v_dual_mov_b32 v1, v13
	s_delay_alu instid0(VALU_DEP_3)
	v_lshlrev_b64 v[4:5], 4, v[4:5]
	v_lshlrev_b32_e32 v3, 4, v14
	v_dual_mov_b32 v15, v13 :: v_dual_lshlrev_b32 v8, 4, v9
	v_lshlrev_b64 v[6:7], 4, v[6:7]
	v_mov_b32_e32 v14, v12
	v_add_co_u32 v4, vcc_lo, v4, s10
	v_add_co_ci_u32_e32 v5, vcc_lo, s11, v5, vcc_lo
	v_lshl_or_b32 v9, v10, 7, v3
	s_waitcnt lgkmcnt(0)
	v_add_co_u32 v6, vcc_lo, v6, s12
	v_add_co_ci_u32_e32 v7, vcc_lo, s13, v7, vcc_lo
	v_lshl_or_b32 v24, v11, 9, v8
	v_add_co_u32 v8, vcc_lo, v4, 8
	v_dual_mov_b32 v2, v12 :: v_dual_add_nc_u32 v25, 0x1000, v9
	v_add_co_ci_u32_e32 v9, vcc_lo, 0, v5, vcc_lo
	v_add_co_u32 v10, vcc_lo, v6, 8
	v_add_co_ci_u32_e32 v11, vcc_lo, 0, v7, vcc_lo
	v_mov_b32_e32 v4, v12
	v_dual_mov_b32 v6, v12 :: v_dual_mov_b32 v3, v13
	v_mov_b32_e32 v5, v13
	v_mov_b32_e32 v7, v13
	s_lshl_b64 s[10:11], s[14:15], 7
	s_mov_b64 s[12:13], 0
.LBB1796_2:                             ; =>This Inner Loop Header: Depth=1
	global_load_b128 v[26:29], v[10:11], off offset:-8
	global_load_b128 v[30:33], v[8:9], off offset:-8
	s_add_u32 s12, s12, 8
	v_add_co_u32 v8, vcc_lo, v8, s4
	s_addc_u32 s13, s13, 0
	v_add_co_ci_u32_e32 v9, vcc_lo, s5, v9, vcc_lo
	v_cmp_ge_u64_e64 s14, s[12:13], s[8:9]
	v_add_co_u32 v10, vcc_lo, v10, s10
	v_add_co_ci_u32_e32 v11, vcc_lo, s11, v11, vcc_lo
	s_delay_alu instid0(VALU_DEP_3)
	s_and_b32 vcc_lo, exec_lo, s14
	s_waitcnt vmcnt(1)
	v_xor_b32_e32 v29, 0x80000000, v29
	s_waitcnt vmcnt(0)
	ds_store_b128 v24, v[30:33]
	ds_store_b128 v25, v[26:29]
	s_waitcnt lgkmcnt(0)
	s_barrier
	buffer_gl0_inv
	ds_load_b128 v[26:29], v23
	ds_load_b128 v[30:33], v22
	ds_load_b128 v[34:37], v22 offset:256
	ds_load_b128 v[38:41], v23 offset:2048
	;; [unrolled: 1-line block ×13, first 2 shown]
	s_waitcnt lgkmcnt(13)
	v_mul_f64 v[86:87], v[28:29], v[32:33]
	v_mul_f64 v[88:89], v[26:27], v[32:33]
	s_waitcnt lgkmcnt(12)
	v_mul_f64 v[90:91], v[28:29], v[36:37]
	v_mul_f64 v[92:93], v[26:27], v[36:37]
	;; [unrolled: 3-line block ×3, first 2 shown]
	v_mul_f64 v[96:97], v[40:41], v[36:37]
	v_mul_f64 v[36:37], v[38:39], v[36:37]
	s_waitcnt lgkmcnt(8)
	v_mul_f64 v[98:99], v[44:45], v[52:53]
	v_mul_f64 v[100:101], v[42:43], v[52:53]
	s_waitcnt lgkmcnt(7)
	v_mul_f64 v[102:103], v[44:45], v[56:57]
	v_mul_f64 v[104:105], v[42:43], v[56:57]
	;; [unrolled: 1-line block ×6, first 2 shown]
	s_waitcnt lgkmcnt(3)
	v_mul_f64 v[112:113], v[58:59], v[72:73]
	s_waitcnt lgkmcnt(2)
	v_mul_f64 v[114:115], v[76:77], v[68:69]
	v_mul_f64 v[116:117], v[76:77], v[72:73]
	v_fma_f64 v[86:87], v[26:27], v[30:31], -v[86:87]
	v_fma_f64 v[88:89], v[28:29], v[30:31], v[88:89]
	v_fma_f64 v[90:91], v[26:27], v[34:35], -v[90:91]
	v_fma_f64 v[92:93], v[28:29], v[34:35], v[92:93]
	;; [unrolled: 2-line block ×4, first 2 shown]
	v_mul_f64 v[36:37], v[60:61], v[68:69]
	v_mul_f64 v[40:41], v[58:59], v[68:69]
	;; [unrolled: 1-line block ×5, first 2 shown]
	v_fma_f64 v[98:99], v[42:43], v[50:51], -v[98:99]
	v_fma_f64 v[100:101], v[44:45], v[50:51], v[100:101]
	v_fma_f64 v[42:43], v[42:43], v[54:55], -v[102:103]
	v_fma_f64 v[44:45], v[44:45], v[54:55], v[104:105]
	;; [unrolled: 2-line block ×4, first 2 shown]
	ds_load_b128 v[26:29], v22 offset:1792
	ds_load_b128 v[30:33], v22 offset:2048
	v_add_f64 v[52:53], v[6:7], v[86:87]
	v_add_f64 v[18:19], v[18:19], v[88:89]
	;; [unrolled: 1-line block ×8, first 2 shown]
	s_waitcnt lgkmcnt(2)
	v_mul_f64 v[86:87], v[64:65], v[84:85]
	v_mul_f64 v[88:89], v[62:63], v[84:85]
	s_waitcnt lgkmcnt(1)
	v_mul_f64 v[90:91], v[64:65], v[28:29]
	v_mul_f64 v[92:93], v[62:63], v[28:29]
	;; [unrolled: 1-line block ×6, first 2 shown]
	v_fma_f64 v[106:107], v[58:59], v[66:67], -v[36:37]
	v_fma_f64 v[108:109], v[60:61], v[66:67], v[40:41]
	v_fma_f64 v[58:59], v[58:59], v[70:71], -v[96:97]
	v_fma_f64 v[60:61], v[60:61], v[70:71], v[112:113]
	;; [unrolled: 2-line block ×4, first 2 shown]
	ds_load_b128 v[0:3], v22 offset:2304
	ds_load_b128 v[4:7], v23 offset:64
	v_add_f64 v[52:53], v[52:53], v[98:99]
	v_add_f64 v[72:73], v[18:19], v[100:101]
	;; [unrolled: 1-line block ×8, first 2 shown]
	ds_load_b128 v[12:15], v23 offset:2112
	ds_load_b128 v[16:19], v23 offset:80
	ds_load_b128 v[34:37], v23 offset:2128
	ds_load_b128 v[38:41], v22 offset:2560
	s_waitcnt lgkmcnt(4)
	v_mul_f64 v[56:57], v[6:7], v[32:33]
	v_mul_f64 v[74:75], v[4:5], v[32:33]
	;; [unrolled: 1-line block ×4, first 2 shown]
	v_fma_f64 v[86:87], v[62:63], v[82:83], -v[86:87]
	v_fma_f64 v[88:89], v[64:65], v[82:83], v[88:89]
	v_fma_f64 v[62:63], v[62:63], v[26:27], -v[90:91]
	v_fma_f64 v[64:65], v[64:65], v[26:27], v[92:93]
	;; [unrolled: 2-line block ×4, first 2 shown]
	s_waitcnt lgkmcnt(3)
	v_mul_f64 v[100:101], v[14:15], v[32:33]
	v_mul_f64 v[32:33], v[12:13], v[32:33]
	;; [unrolled: 1-line block ×4, first 2 shown]
	s_waitcnt lgkmcnt(0)
	v_mul_f64 v[92:93], v[18:19], v[40:41]
	v_mul_f64 v[94:95], v[16:17], v[40:41]
	v_add_f64 v[84:85], v[52:53], v[106:107]
	v_add_f64 v[72:73], v[72:73], v[108:109]
	;; [unrolled: 1-line block ×8, first 2 shown]
	ds_load_b128 v[26:29], v22 offset:2816
	ds_load_b128 v[42:45], v22 offset:3072
	;; [unrolled: 1-line block ×4, first 2 shown]
	v_mul_f64 v[106:107], v[36:37], v[40:41]
	v_mul_f64 v[40:41], v[34:35], v[40:41]
	v_fma_f64 v[56:57], v[4:5], v[30:31], -v[56:57]
	v_fma_f64 v[74:75], v[6:7], v[30:31], v[74:75]
	v_fma_f64 v[76:77], v[4:5], v[0:1], -v[76:77]
	v_fma_f64 v[98:99], v[6:7], v[0:1], v[98:99]
	s_waitcnt lgkmcnt(3)
	v_mul_f64 v[96:97], v[18:19], v[28:29]
	v_mul_f64 v[104:105], v[16:17], v[28:29]
	v_mul_f64 v[108:109], v[36:37], v[28:29]
	v_mul_f64 v[110:111], v[34:35], v[28:29]
	v_fma_f64 v[100:101], v[12:13], v[30:31], -v[100:101]
	v_fma_f64 v[32:33], v[14:15], v[30:31], v[32:33]
	v_fma_f64 v[102:103], v[12:13], v[0:1], -v[102:103]
	v_fma_f64 v[112:113], v[14:15], v[0:1], v[2:3]
	ds_load_b128 v[0:3], v23 offset:2144
	ds_load_b128 v[4:7], v23 offset:112
	;; [unrolled: 1-line block ×4, first 2 shown]
	v_add_f64 v[84:85], v[84:85], v[86:87]
	v_add_f64 v[72:73], v[72:73], v[88:89]
	;; [unrolled: 1-line block ×8, first 2 shown]
	s_waitcnt lgkmcnt(4)
	v_mul_f64 v[68:69], v[52:53], v[44:45]
	v_mul_f64 v[70:71], v[50:51], v[44:45]
	;; [unrolled: 1-line block ×4, first 2 shown]
	s_waitcnt lgkmcnt(3)
	v_mul_f64 v[82:83], v[2:3], v[44:45]
	v_mul_f64 v[44:45], v[0:1], v[44:45]
	v_mul_f64 v[86:87], v[2:3], v[48:49]
	v_mul_f64 v[48:49], v[0:1], v[48:49]
	v_fma_f64 v[88:89], v[16:17], v[38:39], -v[92:93]
	v_fma_f64 v[90:91], v[18:19], v[38:39], v[94:95]
	v_fma_f64 v[92:93], v[16:17], v[26:27], -v[96:97]
	v_fma_f64 v[94:95], v[18:19], v[26:27], v[104:105]
	;; [unrolled: 2-line block ×4, first 2 shown]
	ds_load_b128 v[16:19], v22 offset:3840
	s_waitcnt lgkmcnt(0)
	s_barrier
	buffer_gl0_inv
	v_add_f64 v[36:37], v[84:85], v[56:57]
	v_add_f64 v[40:41], v[72:73], v[74:75]
	;; [unrolled: 1-line block ×8, first 2 shown]
	v_mul_f64 v[64:65], v[6:7], v[30:31]
	v_mul_f64 v[66:67], v[4:5], v[30:31]
	;; [unrolled: 1-line block ×4, first 2 shown]
	v_fma_f64 v[68:69], v[50:51], v[42:43], -v[68:69]
	v_mul_f64 v[72:73], v[6:7], v[18:19]
	v_mul_f64 v[74:75], v[4:5], v[18:19]
	;; [unrolled: 1-line block ×4, first 2 shown]
	v_fma_f64 v[70:71], v[52:53], v[42:43], v[70:71]
	v_fma_f64 v[50:51], v[50:51], v[46:47], -v[78:79]
	v_fma_f64 v[52:53], v[52:53], v[46:47], v[80:81]
	v_fma_f64 v[78:79], v[0:1], v[42:43], -v[82:83]
	;; [unrolled: 2-line block ×3, first 2 shown]
	v_fma_f64 v[2:3], v[2:3], v[46:47], v[48:49]
	v_add_f64 v[36:37], v[36:37], v[88:89]
	v_add_f64 v[40:41], v[40:41], v[90:91]
	;; [unrolled: 1-line block ×8, first 2 shown]
	v_fma_f64 v[38:39], v[4:5], v[28:29], -v[64:65]
	v_fma_f64 v[54:55], v[6:7], v[28:29], v[66:67]
	v_fma_f64 v[58:59], v[12:13], v[28:29], -v[76:77]
	v_fma_f64 v[28:29], v[14:15], v[28:29], v[30:31]
	;; [unrolled: 2-line block ×4, first 2 shown]
	v_add_f64 v[6:7], v[36:37], v[68:69]
	v_add_f64 v[14:15], v[40:41], v[70:71]
	;; [unrolled: 1-line block ×16, first 2 shown]
	s_cbranch_vccz .LBB1796_2
.LBB1796_3:
	v_add_nc_u32_e32 v21, s19, v21
	s_load_b32 s4, s[0:1], 0x0
	s_delay_alu instid0(VALU_DEP_1) | instskip(SKIP_2) | instid1(VALU_DEP_3)
	v_ashrrev_i32_e32 v10, 31, v21
	v_mul_lo_u32 v11, v21, s7
	v_mad_u64_u32 v[8:9], null, v21, s6, 0
	v_mul_lo_u32 v10, v10, s6
	s_delay_alu instid0(VALU_DEP_1) | instskip(SKIP_3) | instid1(VALU_DEP_3)
	v_add3_u32 v9, v9, v11, v10
	v_add_nc_u32_e32 v10, s18, v20
	s_waitcnt lgkmcnt(0)
	v_cmp_gt_i32_e32 vcc_lo, s4, v21
	v_lshlrev_b64 v[8:9], 4, v[8:9]
	s_delay_alu instid0(VALU_DEP_3) | instskip(NEXT) | instid1(VALU_DEP_1)
	v_cmp_le_i32_e64 s0, v10, v21
	s_and_b32 s0, vcc_lo, s0
	s_delay_alu instid0(VALU_DEP_2) | instskip(NEXT) | instid1(VALU_DEP_1)
	v_add_co_u32 v20, s1, s2, v8
	v_add_co_ci_u32_e64 v22, s1, s3, v9, s1
	s_and_saveexec_b32 s5, s0
	s_cbranch_execz .LBB1796_5
; %bb.4:
	v_ashrrev_i32_e32 v11, 31, v10
	v_cmp_ne_u32_e64 s0, v21, v10
	v_xor_b32_e32 v7, 0x80000000, v7
	s_delay_alu instid0(VALU_DEP_3) | instskip(NEXT) | instid1(VALU_DEP_3)
	v_lshlrev_b64 v[23:24], 4, v[10:11]
	v_cndmask_b32_e64 v9, 0, -v19, s0
	v_cndmask_b32_e64 v8, 0, v18, s0
	s_delay_alu instid0(VALU_DEP_3) | instskip(NEXT) | instid1(VALU_DEP_1)
	v_add_co_u32 v23, s1, v20, v23
	v_add_co_ci_u32_e64 v24, s1, v22, v24, s1
	global_store_b128 v[23:24], v[6:9], off
.LBB1796_5:
	s_or_b32 exec_lo, exec_lo, s5
	v_add_nc_u32_e32 v8, 16, v10
	s_delay_alu instid0(VALU_DEP_1) | instskip(NEXT) | instid1(VALU_DEP_1)
	v_cmp_le_i32_e64 s0, v8, v21
	s_and_b32 s0, vcc_lo, s0
	s_delay_alu instid0(SALU_CYCLE_1)
	s_and_saveexec_b32 s1, s0
	s_cbranch_execz .LBB1796_7
; %bb.6:
	v_ashrrev_i32_e32 v9, 31, v8
	v_cmp_ne_u32_e32 vcc_lo, v21, v8
	v_xor_b32_e32 v5, 0x80000000, v5
	s_delay_alu instid0(VALU_DEP_3) | instskip(SKIP_2) | instid1(VALU_DEP_3)
	v_lshlrev_b64 v[18:19], 4, v[8:9]
	v_cndmask_b32_e64 v7, 0, -v17, vcc_lo
	v_cndmask_b32_e32 v6, 0, v16, vcc_lo
	v_add_co_u32 v17, s0, v20, v18
	s_delay_alu instid0(VALU_DEP_1)
	v_add_co_ci_u32_e64 v18, s0, v22, v19, s0
	global_store_b128 v[17:18], v[4:7], off
.LBB1796_7:
	s_or_b32 exec_lo, exec_lo, s1
	v_add_nc_u32_e32 v9, 16, v21
	s_delay_alu instid0(VALU_DEP_1) | instskip(SKIP_3) | instid1(VALU_DEP_4)
	v_ashrrev_i32_e32 v6, 31, v9
	v_mul_lo_u32 v7, v9, s7
	v_mad_u64_u32 v[4:5], null, v9, s6, 0
	v_cmp_gt_i32_e32 vcc_lo, s4, v9
	v_mul_lo_u32 v6, v6, s6
	v_cmp_le_i32_e64 s0, v10, v9
	s_delay_alu instid0(VALU_DEP_1) | instskip(NEXT) | instid1(VALU_DEP_2)
	s_and_b32 s0, vcc_lo, s0
	v_add3_u32 v5, v5, v7, v6
	s_delay_alu instid0(VALU_DEP_1) | instskip(NEXT) | instid1(VALU_DEP_1)
	v_lshlrev_b64 v[4:5], 4, v[4:5]
	v_add_co_u32 v6, s1, s2, v4
	s_delay_alu instid0(VALU_DEP_1)
	v_add_co_ci_u32_e64 v7, s1, s3, v5, s1
	s_and_saveexec_b32 s2, s0
	s_cbranch_execz .LBB1796_9
; %bb.8:
	v_ashrrev_i32_e32 v11, 31, v10
	v_cmp_ne_u32_e64 s0, v9, v10
	v_xor_b32_e32 v3, 0x80000000, v3
	s_delay_alu instid0(VALU_DEP_3) | instskip(NEXT) | instid1(VALU_DEP_3)
	v_lshlrev_b64 v[16:17], 4, v[10:11]
	v_cndmask_b32_e64 v5, 0, -v15, s0
	v_cndmask_b32_e64 v4, 0, v14, s0
	s_delay_alu instid0(VALU_DEP_3) | instskip(NEXT) | instid1(VALU_DEP_1)
	v_add_co_u32 v15, s1, v6, v16
	v_add_co_ci_u32_e64 v16, s1, v7, v17, s1
	global_store_b128 v[15:16], v[2:5], off
.LBB1796_9:
	s_or_b32 exec_lo, exec_lo, s2
	v_cmp_le_i32_e64 s0, v8, v9
	s_delay_alu instid0(VALU_DEP_1) | instskip(NEXT) | instid1(SALU_CYCLE_1)
	s_and_b32 s0, vcc_lo, s0
	s_and_saveexec_b32 s1, s0
	s_cbranch_execz .LBB1796_11
; %bb.10:
	v_ashrrev_i32_e32 v9, 31, v8
	v_cmp_ne_u32_e32 vcc_lo, v21, v10
	v_xor_b32_e32 v1, 0x80000000, v1
	s_delay_alu instid0(VALU_DEP_3) | instskip(SKIP_2) | instid1(VALU_DEP_3)
	v_lshlrev_b64 v[4:5], 4, v[8:9]
	v_cndmask_b32_e64 v3, 0, -v13, vcc_lo
	v_cndmask_b32_e32 v2, 0, v12, vcc_lo
	v_add_co_u32 v4, s0, v6, v4
	s_delay_alu instid0(VALU_DEP_1)
	v_add_co_ci_u32_e64 v5, s0, v7, v5, s0
	global_store_b128 v[4:5], v[0:3], off
.LBB1796_11:
	s_nop 0
	s_sendmsg sendmsg(MSG_DEALLOC_VGPRS)
	s_endpgm
	.section	.rodata,"a",@progbits
	.p2align	6, 0x0
	.amdhsa_kernel _ZL37rocblas_syrkx_herkx_restricted_kernelIl19rocblas_complex_numIdELi16ELi32ELi8ELin1ELi0ELb1ELc78ELc85EKPKS1_KPS1_EviT_PT9_S7_lS9_S7_lPT10_S7_li
		.amdhsa_group_segment_fixed_size 8192
		.amdhsa_private_segment_fixed_size 0
		.amdhsa_kernarg_size 92
		.amdhsa_user_sgpr_count 13
		.amdhsa_user_sgpr_dispatch_ptr 0
		.amdhsa_user_sgpr_queue_ptr 0
		.amdhsa_user_sgpr_kernarg_segment_ptr 1
		.amdhsa_user_sgpr_dispatch_id 0
		.amdhsa_user_sgpr_private_segment_size 0
		.amdhsa_wavefront_size32 1
		.amdhsa_uses_dynamic_stack 0
		.amdhsa_enable_private_segment 0
		.amdhsa_system_sgpr_workgroup_id_x 1
		.amdhsa_system_sgpr_workgroup_id_y 1
		.amdhsa_system_sgpr_workgroup_id_z 1
		.amdhsa_system_sgpr_workgroup_info 0
		.amdhsa_system_vgpr_workitem_id 1
		.amdhsa_next_free_vgpr 118
		.amdhsa_next_free_sgpr 20
		.amdhsa_reserve_vcc 1
		.amdhsa_float_round_mode_32 0
		.amdhsa_float_round_mode_16_64 0
		.amdhsa_float_denorm_mode_32 3
		.amdhsa_float_denorm_mode_16_64 3
		.amdhsa_dx10_clamp 1
		.amdhsa_ieee_mode 1
		.amdhsa_fp16_overflow 0
		.amdhsa_workgroup_processor_mode 1
		.amdhsa_memory_ordered 1
		.amdhsa_forward_progress 0
		.amdhsa_shared_vgpr_count 0
		.amdhsa_exception_fp_ieee_invalid_op 0
		.amdhsa_exception_fp_denorm_src 0
		.amdhsa_exception_fp_ieee_div_zero 0
		.amdhsa_exception_fp_ieee_overflow 0
		.amdhsa_exception_fp_ieee_underflow 0
		.amdhsa_exception_fp_ieee_inexact 0
		.amdhsa_exception_int_div_zero 0
	.end_amdhsa_kernel
	.section	.text._ZL37rocblas_syrkx_herkx_restricted_kernelIl19rocblas_complex_numIdELi16ELi32ELi8ELin1ELi0ELb1ELc78ELc85EKPKS1_KPS1_EviT_PT9_S7_lS9_S7_lPT10_S7_li,"axG",@progbits,_ZL37rocblas_syrkx_herkx_restricted_kernelIl19rocblas_complex_numIdELi16ELi32ELi8ELin1ELi0ELb1ELc78ELc85EKPKS1_KPS1_EviT_PT9_S7_lS9_S7_lPT10_S7_li,comdat
.Lfunc_end1796:
	.size	_ZL37rocblas_syrkx_herkx_restricted_kernelIl19rocblas_complex_numIdELi16ELi32ELi8ELin1ELi0ELb1ELc78ELc85EKPKS1_KPS1_EviT_PT9_S7_lS9_S7_lPT10_S7_li, .Lfunc_end1796-_ZL37rocblas_syrkx_herkx_restricted_kernelIl19rocblas_complex_numIdELi16ELi32ELi8ELin1ELi0ELb1ELc78ELc85EKPKS1_KPS1_EviT_PT9_S7_lS9_S7_lPT10_S7_li
                                        ; -- End function
	.section	.AMDGPU.csdata,"",@progbits
; Kernel info:
; codeLenInByte = 3092
; NumSgprs: 22
; NumVgprs: 118
; ScratchSize: 0
; MemoryBound: 0
; FloatMode: 240
; IeeeMode: 1
; LDSByteSize: 8192 bytes/workgroup (compile time only)
; SGPRBlocks: 2
; VGPRBlocks: 14
; NumSGPRsForWavesPerEU: 22
; NumVGPRsForWavesPerEU: 118
; Occupancy: 12
; WaveLimiterHint : 1
; COMPUTE_PGM_RSRC2:SCRATCH_EN: 0
; COMPUTE_PGM_RSRC2:USER_SGPR: 13
; COMPUTE_PGM_RSRC2:TRAP_HANDLER: 0
; COMPUTE_PGM_RSRC2:TGID_X_EN: 1
; COMPUTE_PGM_RSRC2:TGID_Y_EN: 1
; COMPUTE_PGM_RSRC2:TGID_Z_EN: 1
; COMPUTE_PGM_RSRC2:TIDIG_COMP_CNT: 1
	.section	.text._ZL37rocblas_syrkx_herkx_restricted_kernelIl19rocblas_complex_numIdELi16ELi32ELi8ELb1ELb1ELc84ELc76EKPKS1_KPS1_EviT_T0_PT8_S7_lSA_S7_lS8_PT9_S7_li,"axG",@progbits,_ZL37rocblas_syrkx_herkx_restricted_kernelIl19rocblas_complex_numIdELi16ELi32ELi8ELb1ELb1ELc84ELc76EKPKS1_KPS1_EviT_T0_PT8_S7_lSA_S7_lS8_PT9_S7_li,comdat
	.globl	_ZL37rocblas_syrkx_herkx_restricted_kernelIl19rocblas_complex_numIdELi16ELi32ELi8ELb1ELb1ELc84ELc76EKPKS1_KPS1_EviT_T0_PT8_S7_lSA_S7_lS8_PT9_S7_li ; -- Begin function _ZL37rocblas_syrkx_herkx_restricted_kernelIl19rocblas_complex_numIdELi16ELi32ELi8ELb1ELb1ELc84ELc76EKPKS1_KPS1_EviT_T0_PT8_S7_lSA_S7_lS8_PT9_S7_li
	.p2align	8
	.type	_ZL37rocblas_syrkx_herkx_restricted_kernelIl19rocblas_complex_numIdELi16ELi32ELi8ELb1ELb1ELc84ELc76EKPKS1_KPS1_EviT_T0_PT8_S7_lSA_S7_lS8_PT9_S7_li,@function
_ZL37rocblas_syrkx_herkx_restricted_kernelIl19rocblas_complex_numIdELi16ELi32ELi8ELb1ELb1ELc84ELc76EKPKS1_KPS1_EviT_T0_PT8_S7_lSA_S7_lS8_PT9_S7_li: ; @_ZL37rocblas_syrkx_herkx_restricted_kernelIl19rocblas_complex_numIdELi16ELi32ELi8ELb1ELb1ELc84ELc76EKPKS1_KPS1_EviT_T0_PT8_S7_lSA_S7_lS8_PT9_S7_li
; %bb.0:
	s_clause 0x1
	s_load_b128 s[16:19], s[0:1], 0x60
	s_load_b256 s[4:11], s[0:1], 0x8
	s_mov_b32 s2, s15
	s_mov_b32 s3, 0
	v_mov_b32_e32 v16, 0
	s_lshl_b64 s[2:3], s[2:3], 3
	v_dual_mov_b32 v17, 0 :: v_dual_and_b32 v20, 0x3ff, v0
	v_bfe_u32 v21, v0, 10, 10
	s_delay_alu instid0(VALU_DEP_3) | instskip(NEXT) | instid1(VALU_DEP_3)
	v_mov_b32_e32 v12, v16
	v_dual_mov_b32 v14, v16 :: v_dual_mov_b32 v15, v17
	v_dual_mov_b32 v19, v17 :: v_dual_mov_b32 v18, v16
	;; [unrolled: 1-line block ×5, first 2 shown]
	v_mov_b32_e32 v7, v17
	s_waitcnt lgkmcnt(0)
	s_add_u32 s16, s16, s2
	s_addc_u32 s17, s17, s3
	s_load_b64 s[20:21], s[0:1], 0x28
	s_load_b64 s[16:17], s[16:17], 0x0
	v_cmp_lt_i64_e64 s12, s[4:5], 1
	v_dual_mov_b32 v4, v16 :: v_dual_mov_b32 v5, v17
	s_lshl_b32 s22, s13, 5
	s_lshl_b32 s23, s14, 5
	s_delay_alu instid0(VALU_DEP_2)
	s_and_b32 vcc_lo, exec_lo, s12
	s_cbranch_vccnz .LBB1797_3
; %bb.1:
	v_lshl_add_u32 v2, v21, 4, v20
	s_load_b128 s[12:15], s[0:1], 0x38
	v_dual_mov_b32 v1, 0 :: v_dual_and_b32 v0, 7, v20
	s_add_u32 s10, s10, s2
	s_delay_alu instid0(VALU_DEP_2)
	v_and_b32_e32 v9, 31, v2
	v_lshrrev_b32_e32 v8, 3, v2
	v_lshrrev_b32_e32 v2, 5, v2
	s_addc_u32 s11, s11, s3
	v_lshl_add_u32 v23, v21, 7, 0x1000
	v_add_nc_u32_e32 v6, s22, v9
	v_dual_mov_b32 v3, v1 :: v_dual_add_nc_u32 v10, s23, v8
	s_load_b64 s[10:11], s[10:11], 0x0
	s_delay_alu instid0(VALU_DEP_2) | instskip(NEXT) | instid1(VALU_DEP_2)
	v_ashrrev_i32_e32 v11, 31, v6
	v_ashrrev_i32_e32 v7, 31, v10
	s_waitcnt lgkmcnt(0)
	v_mad_u64_u32 v[4:5], null, s20, v6, v[2:3]
	v_mul_lo_u32 v3, s21, v6
	v_mul_lo_u32 v11, s20, v11
	s_add_u32 s2, s12, s2
	s_addc_u32 s3, s13, s3
	v_mul_lo_u32 v12, v7, s14
	s_load_b64 s[2:3], s[2:3], 0x0
	v_mul_lo_u32 v13, v10, s15
	v_mad_u64_u32 v[6:7], null, v10, s14, v[0:1]
	v_lshlrev_b32_e32 v0, 4, v0
	v_add3_u32 v5, v3, v5, v11
	s_delay_alu instid0(VALU_DEP_2) | instskip(NEXT) | instid1(VALU_DEP_2)
	v_lshl_or_b32 v8, v8, 7, v0
	v_lshlrev_b64 v[0:1], 4, v[4:5]
	v_mov_b32_e32 v4, 0
	v_add3_u32 v7, v12, v7, v13
	v_mov_b32_e32 v5, 0
	v_lshlrev_b32_e32 v3, 4, v9
	v_lshlrev_b32_e32 v22, 4, v20
	v_add_co_u32 v0, vcc_lo, v0, s10
	s_delay_alu instid0(VALU_DEP_4) | instskip(NEXT) | instid1(VALU_DEP_4)
	v_mov_b32_e32 v11, v5
	v_lshl_or_b32 v24, v2, 9, v3
	v_lshlrev_b64 v[2:3], 4, v[6:7]
	v_add_co_ci_u32_e32 v1, vcc_lo, s11, v1, vcc_lo
	v_mov_b32_e32 v7, v5
	v_dual_mov_b32 v10, v4 :: v_dual_add_nc_u32 v25, 0x1000, v8
	s_waitcnt lgkmcnt(0)
	s_delay_alu instid0(VALU_DEP_4) | instskip(SKIP_3) | instid1(VALU_DEP_4)
	v_add_co_u32 v2, vcc_lo, v2, s2
	v_add_co_ci_u32_e32 v3, vcc_lo, s3, v3, vcc_lo
	v_add_co_u32 v0, vcc_lo, v0, 8
	v_add_co_ci_u32_e32 v1, vcc_lo, 0, v1, vcc_lo
	v_add_co_u32 v2, vcc_lo, v2, 8
	s_delay_alu instid0(VALU_DEP_4)
	v_add_co_ci_u32_e32 v3, vcc_lo, 0, v3, vcc_lo
	v_dual_mov_b32 v6, v4 :: v_dual_mov_b32 v9, v5
	v_dual_mov_b32 v8, v4 :: v_dual_mov_b32 v15, v5
	v_dual_mov_b32 v14, v4 :: v_dual_mov_b32 v13, v5
	v_dual_mov_b32 v12, v4 :: v_dual_mov_b32 v19, v5
	v_dual_mov_b32 v18, v4 :: v_dual_mov_b32 v17, v5
	v_mov_b32_e32 v16, v4
	s_mov_b64 s[2:3], 0
.LBB1797_2:                             ; =>This Inner Loop Header: Depth=1
	global_load_b128 v[26:29], v[0:1], off offset:-8
	global_load_b128 v[30:33], v[2:3], off offset:-8
	s_add_u32 s2, s2, 8
	v_add_co_u32 v0, vcc_lo, 0x80, v0
	s_addc_u32 s3, s3, 0
	v_add_co_ci_u32_e32 v1, vcc_lo, 0, v1, vcc_lo
	v_cmp_ge_u64_e64 s10, s[2:3], s[4:5]
	v_add_co_u32 v2, vcc_lo, 0x80, v2
	v_add_co_ci_u32_e32 v3, vcc_lo, 0, v3, vcc_lo
	s_waitcnt vmcnt(1)
	ds_store_b128 v24, v[26:29]
	s_waitcnt vmcnt(0)
	ds_store_b128 v25, v[30:33]
	s_waitcnt lgkmcnt(0)
	s_barrier
	buffer_gl0_inv
	ds_load_b128 v[26:29], v23
	ds_load_b128 v[30:33], v22
	ds_load_b128 v[34:37], v22 offset:256
	ds_load_b128 v[38:41], v23 offset:2048
	;; [unrolled: 1-line block ×13, first 2 shown]
	s_and_b32 vcc_lo, exec_lo, s10
	s_waitcnt lgkmcnt(13)
	v_mul_f64 v[86:87], v[28:29], v[32:33]
	v_mul_f64 v[88:89], v[26:27], v[32:33]
	s_waitcnt lgkmcnt(12)
	v_mul_f64 v[90:91], v[28:29], v[36:37]
	v_mul_f64 v[92:93], v[26:27], v[36:37]
	;; [unrolled: 3-line block ×3, first 2 shown]
	v_mul_f64 v[96:97], v[40:41], v[36:37]
	v_mul_f64 v[36:37], v[38:39], v[36:37]
	s_waitcnt lgkmcnt(8)
	v_mul_f64 v[98:99], v[44:45], v[52:53]
	v_mul_f64 v[100:101], v[42:43], v[52:53]
	s_waitcnt lgkmcnt(7)
	v_mul_f64 v[102:103], v[44:45], v[56:57]
	v_mul_f64 v[104:105], v[42:43], v[56:57]
	;; [unrolled: 1-line block ×6, first 2 shown]
	s_waitcnt lgkmcnt(3)
	v_mul_f64 v[112:113], v[58:59], v[72:73]
	s_waitcnt lgkmcnt(2)
	v_mul_f64 v[114:115], v[76:77], v[68:69]
	v_mul_f64 v[116:117], v[76:77], v[72:73]
	v_fma_f64 v[86:87], v[26:27], v[30:31], -v[86:87]
	v_fma_f64 v[88:89], v[28:29], v[30:31], v[88:89]
	v_fma_f64 v[90:91], v[26:27], v[34:35], -v[90:91]
	v_fma_f64 v[92:93], v[28:29], v[34:35], v[92:93]
	;; [unrolled: 2-line block ×4, first 2 shown]
	v_mul_f64 v[36:37], v[60:61], v[68:69]
	v_mul_f64 v[40:41], v[58:59], v[68:69]
	;; [unrolled: 1-line block ×5, first 2 shown]
	v_fma_f64 v[98:99], v[42:43], v[50:51], -v[98:99]
	v_fma_f64 v[100:101], v[44:45], v[50:51], v[100:101]
	v_fma_f64 v[42:43], v[42:43], v[54:55], -v[102:103]
	v_fma_f64 v[44:45], v[44:45], v[54:55], v[104:105]
	;; [unrolled: 2-line block ×4, first 2 shown]
	ds_load_b128 v[26:29], v22 offset:1792
	ds_load_b128 v[30:33], v22 offset:2048
	s_waitcnt lgkmcnt(2)
	v_mul_f64 v[56:57], v[64:65], v[84:85]
	v_add_f64 v[16:17], v[16:17], v[86:87]
	v_add_f64 v[18:19], v[18:19], v[88:89]
	;; [unrolled: 1-line block ×8, first 2 shown]
	v_mul_f64 v[86:87], v[62:63], v[84:85]
	s_waitcnt lgkmcnt(1)
	v_mul_f64 v[88:89], v[64:65], v[28:29]
	v_mul_f64 v[90:91], v[62:63], v[28:29]
	;; [unrolled: 1-line block ×6, first 2 shown]
	v_fma_f64 v[104:105], v[58:59], v[66:67], -v[36:37]
	v_fma_f64 v[106:107], v[60:61], v[66:67], v[40:41]
	v_fma_f64 v[58:59], v[58:59], v[70:71], -v[96:97]
	v_fma_f64 v[60:61], v[60:61], v[70:71], v[112:113]
	;; [unrolled: 2-line block ×4, first 2 shown]
	ds_load_b128 v[4:7], v22 offset:2304
	ds_load_b128 v[8:11], v23 offset:64
	v_fma_f64 v[56:57], v[62:63], v[82:83], -v[56:57]
	v_add_f64 v[72:73], v[16:17], v[98:99]
	v_add_f64 v[74:75], v[18:19], v[100:101]
	;; [unrolled: 1-line block ×8, first 2 shown]
	ds_load_b128 v[12:15], v23 offset:2112
	ds_load_b128 v[16:19], v23 offset:80
	ds_load_b128 v[34:37], v23 offset:2128
	ds_load_b128 v[38:41], v22 offset:2560
	s_waitcnt lgkmcnt(4)
	v_mul_f64 v[54:55], v[10:11], v[32:33]
	v_mul_f64 v[76:77], v[8:9], v[32:33]
	;; [unrolled: 1-line block ×4, first 2 shown]
	v_fma_f64 v[86:87], v[64:65], v[82:83], v[86:87]
	v_fma_f64 v[62:63], v[62:63], v[26:27], -v[88:89]
	v_fma_f64 v[64:65], v[64:65], v[26:27], v[90:91]
	v_fma_f64 v[88:89], v[78:79], v[82:83], -v[92:93]
	;; [unrolled: 2-line block ×3, first 2 shown]
	v_fma_f64 v[80:81], v[80:81], v[26:27], v[28:29]
	s_waitcnt lgkmcnt(3)
	v_mul_f64 v[102:103], v[14:15], v[32:33]
	v_mul_f64 v[32:33], v[12:13], v[32:33]
	;; [unrolled: 1-line block ×4, first 2 shown]
	s_waitcnt lgkmcnt(0)
	v_mul_f64 v[90:91], v[18:19], v[40:41]
	v_mul_f64 v[92:93], v[16:17], v[40:41]
	v_add_f64 v[72:73], v[72:73], v[104:105]
	v_add_f64 v[74:75], v[74:75], v[106:107]
	;; [unrolled: 1-line block ×8, first 2 shown]
	ds_load_b128 v[26:29], v22 offset:2816
	ds_load_b128 v[42:45], v22 offset:3072
	ds_load_b128 v[46:49], v22 offset:3328
	ds_load_b128 v[50:53], v23 offset:96
	v_mul_f64 v[104:105], v[36:37], v[40:41]
	v_mul_f64 v[40:41], v[34:35], v[40:41]
	v_fma_f64 v[54:55], v[8:9], v[30:31], -v[54:55]
	v_fma_f64 v[76:77], v[10:11], v[30:31], v[76:77]
	v_fma_f64 v[98:99], v[8:9], v[4:5], -v[98:99]
	v_fma_f64 v[100:101], v[10:11], v[4:5], v[100:101]
	s_waitcnt lgkmcnt(3)
	v_mul_f64 v[94:95], v[18:19], v[28:29]
	v_mul_f64 v[96:97], v[16:17], v[28:29]
	;; [unrolled: 1-line block ×4, first 2 shown]
	v_fma_f64 v[102:103], v[12:13], v[30:31], -v[102:103]
	v_fma_f64 v[32:33], v[14:15], v[30:31], v[32:33]
	v_fma_f64 v[108:109], v[12:13], v[4:5], -v[108:109]
	v_fma_f64 v[112:113], v[14:15], v[4:5], v[6:7]
	ds_load_b128 v[4:7], v23 offset:2144
	ds_load_b128 v[8:11], v23 offset:112
	;; [unrolled: 1-line block ×4, first 2 shown]
	v_add_f64 v[56:57], v[72:73], v[56:57]
	v_add_f64 v[72:73], v[74:75], v[86:87]
	;; [unrolled: 1-line block ×8, first 2 shown]
	s_waitcnt lgkmcnt(4)
	v_mul_f64 v[70:71], v[52:53], v[44:45]
	v_mul_f64 v[74:75], v[50:51], v[44:45]
	;; [unrolled: 1-line block ×4, first 2 shown]
	s_waitcnt lgkmcnt(3)
	v_mul_f64 v[82:83], v[6:7], v[44:45]
	v_mul_f64 v[44:45], v[4:5], v[44:45]
	;; [unrolled: 1-line block ×4, first 2 shown]
	v_fma_f64 v[86:87], v[16:17], v[38:39], -v[90:91]
	v_fma_f64 v[88:89], v[18:19], v[38:39], v[92:93]
	v_fma_f64 v[90:91], v[16:17], v[26:27], -v[94:95]
	v_fma_f64 v[92:93], v[18:19], v[26:27], v[96:97]
	;; [unrolled: 2-line block ×4, first 2 shown]
	ds_load_b128 v[16:19], v22 offset:3840
	s_waitcnt lgkmcnt(0)
	s_barrier
	buffer_gl0_inv
	v_add_f64 v[36:37], v[56:57], v[54:55]
	v_add_f64 v[40:41], v[72:73], v[76:77]
	;; [unrolled: 1-line block ×8, first 2 shown]
	v_mul_f64 v[64:65], v[10:11], v[30:31]
	v_mul_f64 v[66:67], v[8:9], v[30:31]
	;; [unrolled: 1-line block ×4, first 2 shown]
	v_fma_f64 v[70:71], v[50:51], v[42:43], -v[70:71]
	v_mul_f64 v[68:69], v[10:11], v[18:19]
	v_mul_f64 v[72:73], v[8:9], v[18:19]
	;; [unrolled: 1-line block ×4, first 2 shown]
	v_fma_f64 v[74:75], v[52:53], v[42:43], v[74:75]
	v_fma_f64 v[50:51], v[50:51], v[46:47], -v[78:79]
	v_fma_f64 v[52:53], v[52:53], v[46:47], v[80:81]
	v_fma_f64 v[78:79], v[4:5], v[42:43], -v[82:83]
	;; [unrolled: 2-line block ×3, first 2 shown]
	v_fma_f64 v[6:7], v[6:7], v[46:47], v[48:49]
	v_add_f64 v[36:37], v[36:37], v[86:87]
	v_add_f64 v[40:41], v[40:41], v[88:89]
	;; [unrolled: 1-line block ×8, first 2 shown]
	v_fma_f64 v[38:39], v[8:9], v[28:29], -v[64:65]
	v_fma_f64 v[54:55], v[10:11], v[28:29], v[66:67]
	v_fma_f64 v[56:57], v[12:13], v[28:29], -v[76:77]
	v_fma_f64 v[28:29], v[14:15], v[28:29], v[30:31]
	;; [unrolled: 2-line block ×4, first 2 shown]
	v_add_f64 v[12:13], v[36:37], v[70:71]
	v_add_f64 v[14:15], v[40:41], v[74:75]
	v_add_f64 v[36:37], v[44:45], v[50:51]
	v_add_f64 v[40:41], v[46:47], v[52:53]
	v_add_f64 v[44:45], v[48:49], v[78:79]
	v_add_f64 v[32:33], v[32:33], v[42:43]
	v_add_f64 v[4:5], v[34:35], v[4:5]
	v_add_f64 v[26:27], v[26:27], v[6:7]
	v_add_f64 v[16:17], v[12:13], v[38:39]
	v_add_f64 v[18:19], v[14:15], v[54:55]
	v_add_f64 v[12:13], v[36:37], v[8:9]
	v_add_f64 v[14:15], v[40:41], v[10:11]
	v_add_f64 v[8:9], v[44:45], v[56:57]
	v_add_f64 v[10:11], v[32:33], v[28:29]
	v_add_f64 v[6:7], v[4:5], v[30:31]
	v_add_f64 v[4:5], v[26:27], v[58:59]
	s_cbranch_vccz .LBB1797_2
.LBB1797_3:
	v_add_nc_u32_e32 v21, s23, v21
	s_load_b32 s2, s[0:1], 0x0
	s_delay_alu instid0(VALU_DEP_1) | instskip(SKIP_2) | instid1(VALU_DEP_3)
	v_ashrrev_i32_e32 v0, 31, v21
	v_mul_lo_u32 v3, v21, s19
	v_mad_u64_u32 v[1:2], null, v21, s18, 0
	v_mul_lo_u32 v0, v0, s18
	s_delay_alu instid0(VALU_DEP_1) | instskip(SKIP_1) | instid1(VALU_DEP_2)
	v_add3_u32 v2, v2, v3, v0
	v_add_nc_u32_e32 v0, s22, v20
	v_lshlrev_b64 v[1:2], 4, v[1:2]
	s_delay_alu instid0(VALU_DEP_2) | instskip(SKIP_2) | instid1(VALU_DEP_3)
	v_cmp_le_i32_e64 s0, v21, v0
	s_waitcnt lgkmcnt(0)
	v_cmp_gt_i32_e32 vcc_lo, s2, v0
	v_add_co_u32 v20, s1, s16, v1
	s_delay_alu instid0(VALU_DEP_1) | instskip(SKIP_1) | instid1(SALU_CYCLE_1)
	v_add_co_ci_u32_e64 v22, s1, s17, v2, s1
	s_and_b32 s0, s0, vcc_lo
	s_and_saveexec_b32 s3, s0
	s_cbranch_execz .LBB1797_5
; %bb.4:
	v_mul_f64 v[1:2], s[6:7], v[18:19]
	v_mul_f64 v[18:19], s[8:9], v[18:19]
	v_cmp_ne_u32_e64 s0, v21, v0
	s_delay_alu instid0(VALU_DEP_3) | instskip(NEXT) | instid1(VALU_DEP_3)
	v_fma_f64 v[2:3], s[8:9], v[16:17], v[1:2]
	v_fma_f64 v[16:17], s[6:7], v[16:17], -v[18:19]
	v_ashrrev_i32_e32 v1, 31, v0
	s_delay_alu instid0(VALU_DEP_1) | instskip(NEXT) | instid1(VALU_DEP_1)
	v_lshlrev_b64 v[18:19], 4, v[0:1]
	v_add_co_u32 v23, s1, v20, v18
	s_delay_alu instid0(VALU_DEP_1)
	v_add_co_ci_u32_e64 v24, s1, v22, v19, s1
	v_cndmask_b32_e64 v19, 0, v3, s0
	v_cndmask_b32_e64 v18, 0, v2, s0
	global_store_b128 v[23:24], v[16:19], off
.LBB1797_5:
	s_or_b32 exec_lo, exec_lo, s3
	v_add_nc_u32_e32 v2, 16, v0
	s_delay_alu instid0(VALU_DEP_1) | instskip(SKIP_1) | instid1(VALU_DEP_1)
	v_cmp_le_i32_e64 s1, v21, v2
	v_cmp_gt_i32_e64 s0, s2, v2
	s_and_b32 s1, s1, s0
	s_delay_alu instid0(SALU_CYCLE_1)
	s_and_saveexec_b32 s3, s1
	s_cbranch_execz .LBB1797_7
; %bb.6:
	v_mul_f64 v[16:17], s[6:7], v[14:15]
	v_mul_f64 v[14:15], s[8:9], v[14:15]
	v_ashrrev_i32_e32 v3, 31, v2
	v_cmp_ne_u32_e64 s1, v21, v2
	s_delay_alu instid0(VALU_DEP_4) | instskip(NEXT) | instid1(VALU_DEP_4)
	v_fma_f64 v[16:17], s[8:9], v[12:13], v[16:17]
	v_fma_f64 v[12:13], s[6:7], v[12:13], -v[14:15]
	s_delay_alu instid0(VALU_DEP_4) | instskip(NEXT) | instid1(VALU_DEP_1)
	v_lshlrev_b64 v[14:15], 4, v[2:3]
	v_add_co_u32 v18, s2, v20, v14
	s_delay_alu instid0(VALU_DEP_1)
	v_add_co_ci_u32_e64 v19, s2, v22, v15, s2
	v_cndmask_b32_e64 v15, 0, v17, s1
	v_cndmask_b32_e64 v14, 0, v16, s1
	global_store_b128 v[18:19], v[12:15], off
.LBB1797_7:
	s_or_b32 exec_lo, exec_lo, s3
	v_add_nc_u32_e32 v3, 16, v21
	s_delay_alu instid0(VALU_DEP_1) | instskip(SKIP_3) | instid1(VALU_DEP_4)
	v_ashrrev_i32_e32 v1, 31, v3
	v_mul_lo_u32 v14, v3, s19
	v_mad_u64_u32 v[12:13], null, v3, s18, 0
	v_cmp_le_i32_e64 s1, v3, v0
	v_mul_lo_u32 v1, v1, s18
	s_delay_alu instid0(VALU_DEP_2) | instskip(NEXT) | instid1(VALU_DEP_1)
	s_and_b32 s1, s1, vcc_lo
	v_add3_u32 v13, v13, v14, v1
	s_delay_alu instid0(VALU_DEP_1) | instskip(NEXT) | instid1(VALU_DEP_1)
	v_lshlrev_b64 v[12:13], 4, v[12:13]
	v_add_co_u32 v12, s2, s16, v12
	s_delay_alu instid0(VALU_DEP_1)
	v_add_co_ci_u32_e64 v13, s2, s17, v13, s2
	s_and_saveexec_b32 s2, s1
	s_cbranch_execz .LBB1797_9
; %bb.8:
	v_mul_f64 v[14:15], s[6:7], v[10:11]
	v_mul_f64 v[10:11], s[8:9], v[10:11]
	v_ashrrev_i32_e32 v1, 31, v0
	v_cmp_ne_u32_e32 vcc_lo, v3, v0
	s_delay_alu instid0(VALU_DEP_4) | instskip(NEXT) | instid1(VALU_DEP_4)
	v_fma_f64 v[14:15], s[8:9], v[8:9], v[14:15]
	v_fma_f64 v[8:9], s[6:7], v[8:9], -v[10:11]
	s_delay_alu instid0(VALU_DEP_4) | instskip(NEXT) | instid1(VALU_DEP_1)
	v_lshlrev_b64 v[10:11], 4, v[0:1]
	v_add_co_u32 v16, s1, v12, v10
	s_delay_alu instid0(VALU_DEP_1)
	v_add_co_ci_u32_e64 v17, s1, v13, v11, s1
	v_dual_cndmask_b32 v11, 0, v15 :: v_dual_cndmask_b32 v10, 0, v14
	global_store_b128 v[16:17], v[8:11], off
.LBB1797_9:
	s_or_b32 exec_lo, exec_lo, s2
	v_cmp_le_i32_e32 vcc_lo, v3, v2
	s_and_b32 s0, vcc_lo, s0
	s_delay_alu instid0(SALU_CYCLE_1)
	s_and_saveexec_b32 s1, s0
	s_cbranch_execz .LBB1797_11
; %bb.10:
	v_mul_f64 v[8:9], s[6:7], v[4:5]
	v_mul_f64 v[3:4], s[8:9], v[4:5]
	v_cmp_ne_u32_e32 vcc_lo, v21, v0
	s_delay_alu instid0(VALU_DEP_3) | instskip(NEXT) | instid1(VALU_DEP_3)
	v_fma_f64 v[8:9], s[8:9], v[6:7], v[8:9]
	v_fma_f64 v[4:5], s[6:7], v[6:7], -v[3:4]
	v_ashrrev_i32_e32 v3, 31, v2
	s_delay_alu instid0(VALU_DEP_1) | instskip(NEXT) | instid1(VALU_DEP_1)
	v_lshlrev_b64 v[1:2], 4, v[2:3]
	v_add_co_u32 v0, s0, v12, v1
	s_delay_alu instid0(VALU_DEP_1)
	v_add_co_ci_u32_e64 v1, s0, v13, v2, s0
	v_dual_cndmask_b32 v7, 0, v9 :: v_dual_cndmask_b32 v6, 0, v8
	global_store_b128 v[0:1], v[4:7], off
.LBB1797_11:
	s_nop 0
	s_sendmsg sendmsg(MSG_DEALLOC_VGPRS)
	s_endpgm
	.section	.rodata,"a",@progbits
	.p2align	6, 0x0
	.amdhsa_kernel _ZL37rocblas_syrkx_herkx_restricted_kernelIl19rocblas_complex_numIdELi16ELi32ELi8ELb1ELb1ELc84ELc76EKPKS1_KPS1_EviT_T0_PT8_S7_lSA_S7_lS8_PT9_S7_li
		.amdhsa_group_segment_fixed_size 8192
		.amdhsa_private_segment_fixed_size 0
		.amdhsa_kernarg_size 124
		.amdhsa_user_sgpr_count 13
		.amdhsa_user_sgpr_dispatch_ptr 0
		.amdhsa_user_sgpr_queue_ptr 0
		.amdhsa_user_sgpr_kernarg_segment_ptr 1
		.amdhsa_user_sgpr_dispatch_id 0
		.amdhsa_user_sgpr_private_segment_size 0
		.amdhsa_wavefront_size32 1
		.amdhsa_uses_dynamic_stack 0
		.amdhsa_enable_private_segment 0
		.amdhsa_system_sgpr_workgroup_id_x 1
		.amdhsa_system_sgpr_workgroup_id_y 1
		.amdhsa_system_sgpr_workgroup_id_z 1
		.amdhsa_system_sgpr_workgroup_info 0
		.amdhsa_system_vgpr_workitem_id 1
		.amdhsa_next_free_vgpr 118
		.amdhsa_next_free_sgpr 24
		.amdhsa_reserve_vcc 1
		.amdhsa_float_round_mode_32 0
		.amdhsa_float_round_mode_16_64 0
		.amdhsa_float_denorm_mode_32 3
		.amdhsa_float_denorm_mode_16_64 3
		.amdhsa_dx10_clamp 1
		.amdhsa_ieee_mode 1
		.amdhsa_fp16_overflow 0
		.amdhsa_workgroup_processor_mode 1
		.amdhsa_memory_ordered 1
		.amdhsa_forward_progress 0
		.amdhsa_shared_vgpr_count 0
		.amdhsa_exception_fp_ieee_invalid_op 0
		.amdhsa_exception_fp_denorm_src 0
		.amdhsa_exception_fp_ieee_div_zero 0
		.amdhsa_exception_fp_ieee_overflow 0
		.amdhsa_exception_fp_ieee_underflow 0
		.amdhsa_exception_fp_ieee_inexact 0
		.amdhsa_exception_int_div_zero 0
	.end_amdhsa_kernel
	.section	.text._ZL37rocblas_syrkx_herkx_restricted_kernelIl19rocblas_complex_numIdELi16ELi32ELi8ELb1ELb1ELc84ELc76EKPKS1_KPS1_EviT_T0_PT8_S7_lSA_S7_lS8_PT9_S7_li,"axG",@progbits,_ZL37rocblas_syrkx_herkx_restricted_kernelIl19rocblas_complex_numIdELi16ELi32ELi8ELb1ELb1ELc84ELc76EKPKS1_KPS1_EviT_T0_PT8_S7_lSA_S7_lS8_PT9_S7_li,comdat
.Lfunc_end1797:
	.size	_ZL37rocblas_syrkx_herkx_restricted_kernelIl19rocblas_complex_numIdELi16ELi32ELi8ELb1ELb1ELc84ELc76EKPKS1_KPS1_EviT_T0_PT8_S7_lSA_S7_lS8_PT9_S7_li, .Lfunc_end1797-_ZL37rocblas_syrkx_herkx_restricted_kernelIl19rocblas_complex_numIdELi16ELi32ELi8ELb1ELb1ELc84ELc76EKPKS1_KPS1_EviT_T0_PT8_S7_lSA_S7_lS8_PT9_S7_li
                                        ; -- End function
	.section	.AMDGPU.csdata,"",@progbits
; Kernel info:
; codeLenInByte = 3212
; NumSgprs: 26
; NumVgprs: 118
; ScratchSize: 0
; MemoryBound: 0
; FloatMode: 240
; IeeeMode: 1
; LDSByteSize: 8192 bytes/workgroup (compile time only)
; SGPRBlocks: 3
; VGPRBlocks: 14
; NumSGPRsForWavesPerEU: 26
; NumVGPRsForWavesPerEU: 118
; Occupancy: 12
; WaveLimiterHint : 1
; COMPUTE_PGM_RSRC2:SCRATCH_EN: 0
; COMPUTE_PGM_RSRC2:USER_SGPR: 13
; COMPUTE_PGM_RSRC2:TRAP_HANDLER: 0
; COMPUTE_PGM_RSRC2:TGID_X_EN: 1
; COMPUTE_PGM_RSRC2:TGID_Y_EN: 1
; COMPUTE_PGM_RSRC2:TGID_Z_EN: 1
; COMPUTE_PGM_RSRC2:TIDIG_COMP_CNT: 1
	.section	.text._ZL37rocblas_syrkx_herkx_restricted_kernelIl19rocblas_complex_numIdELi16ELi32ELi8ELb1ELb1ELc67ELc76EKPKS1_KPS1_EviT_T0_PT8_S7_lSA_S7_lS8_PT9_S7_li,"axG",@progbits,_ZL37rocblas_syrkx_herkx_restricted_kernelIl19rocblas_complex_numIdELi16ELi32ELi8ELb1ELb1ELc67ELc76EKPKS1_KPS1_EviT_T0_PT8_S7_lSA_S7_lS8_PT9_S7_li,comdat
	.globl	_ZL37rocblas_syrkx_herkx_restricted_kernelIl19rocblas_complex_numIdELi16ELi32ELi8ELb1ELb1ELc67ELc76EKPKS1_KPS1_EviT_T0_PT8_S7_lSA_S7_lS8_PT9_S7_li ; -- Begin function _ZL37rocblas_syrkx_herkx_restricted_kernelIl19rocblas_complex_numIdELi16ELi32ELi8ELb1ELb1ELc67ELc76EKPKS1_KPS1_EviT_T0_PT8_S7_lSA_S7_lS8_PT9_S7_li
	.p2align	8
	.type	_ZL37rocblas_syrkx_herkx_restricted_kernelIl19rocblas_complex_numIdELi16ELi32ELi8ELb1ELb1ELc67ELc76EKPKS1_KPS1_EviT_T0_PT8_S7_lSA_S7_lS8_PT9_S7_li,@function
_ZL37rocblas_syrkx_herkx_restricted_kernelIl19rocblas_complex_numIdELi16ELi32ELi8ELb1ELb1ELc67ELc76EKPKS1_KPS1_EviT_T0_PT8_S7_lSA_S7_lS8_PT9_S7_li: ; @_ZL37rocblas_syrkx_herkx_restricted_kernelIl19rocblas_complex_numIdELi16ELi32ELi8ELb1ELb1ELc67ELc76EKPKS1_KPS1_EviT_T0_PT8_S7_lSA_S7_lS8_PT9_S7_li
; %bb.0:
	s_clause 0x1
	s_load_b128 s[16:19], s[0:1], 0x60
	s_load_b256 s[4:11], s[0:1], 0x8
	s_mov_b32 s2, s15
	s_mov_b32 s3, 0
	v_mov_b32_e32 v16, 0
	s_lshl_b64 s[2:3], s[2:3], 3
	v_dual_mov_b32 v17, 0 :: v_dual_and_b32 v20, 0x3ff, v0
	v_bfe_u32 v21, v0, 10, 10
	s_delay_alu instid0(VALU_DEP_3) | instskip(NEXT) | instid1(VALU_DEP_3)
	v_mov_b32_e32 v12, v16
	v_dual_mov_b32 v14, v16 :: v_dual_mov_b32 v15, v17
	v_dual_mov_b32 v19, v17 :: v_dual_mov_b32 v18, v16
	v_dual_mov_b32 v13, v17 :: v_dual_mov_b32 v8, v16
	v_dual_mov_b32 v9, v17 :: v_dual_mov_b32 v10, v16
	v_dual_mov_b32 v11, v17 :: v_dual_mov_b32 v6, v16
	v_mov_b32_e32 v7, v17
	s_waitcnt lgkmcnt(0)
	s_add_u32 s16, s16, s2
	s_addc_u32 s17, s17, s3
	s_load_b64 s[20:21], s[0:1], 0x28
	s_load_b64 s[16:17], s[16:17], 0x0
	v_cmp_lt_i64_e64 s12, s[4:5], 1
	v_dual_mov_b32 v4, v16 :: v_dual_mov_b32 v5, v17
	s_lshl_b32 s22, s13, 5
	s_lshl_b32 s23, s14, 5
	s_delay_alu instid0(VALU_DEP_2)
	s_and_b32 vcc_lo, exec_lo, s12
	s_cbranch_vccnz .LBB1798_3
; %bb.1:
	v_lshl_add_u32 v2, v21, 4, v20
	s_load_b128 s[12:15], s[0:1], 0x38
	v_dual_mov_b32 v1, 0 :: v_dual_and_b32 v0, 7, v20
	s_add_u32 s10, s10, s2
	s_delay_alu instid0(VALU_DEP_2)
	v_and_b32_e32 v9, 31, v2
	v_lshrrev_b32_e32 v8, 3, v2
	v_lshrrev_b32_e32 v2, 5, v2
	s_addc_u32 s11, s11, s3
	v_lshl_add_u32 v23, v21, 7, 0x1000
	v_add_nc_u32_e32 v6, s22, v9
	v_dual_mov_b32 v3, v1 :: v_dual_add_nc_u32 v10, s23, v8
	s_load_b64 s[10:11], s[10:11], 0x0
	s_delay_alu instid0(VALU_DEP_2) | instskip(NEXT) | instid1(VALU_DEP_2)
	v_ashrrev_i32_e32 v11, 31, v6
	v_ashrrev_i32_e32 v7, 31, v10
	s_waitcnt lgkmcnt(0)
	v_mad_u64_u32 v[4:5], null, s20, v6, v[2:3]
	v_mul_lo_u32 v3, s21, v6
	v_mul_lo_u32 v11, s20, v11
	s_add_u32 s2, s12, s2
	s_addc_u32 s3, s13, s3
	v_mul_lo_u32 v12, v7, s14
	s_load_b64 s[2:3], s[2:3], 0x0
	v_mul_lo_u32 v13, v10, s15
	v_mad_u64_u32 v[6:7], null, v10, s14, v[0:1]
	v_lshlrev_b32_e32 v0, 4, v0
	v_add3_u32 v5, v3, v5, v11
	s_delay_alu instid0(VALU_DEP_2) | instskip(NEXT) | instid1(VALU_DEP_2)
	v_lshl_or_b32 v8, v8, 7, v0
	v_lshlrev_b64 v[0:1], 4, v[4:5]
	v_mov_b32_e32 v4, 0
	v_add3_u32 v7, v12, v7, v13
	v_mov_b32_e32 v5, 0
	v_lshlrev_b32_e32 v3, 4, v9
	v_lshlrev_b32_e32 v22, 4, v20
	v_add_co_u32 v0, vcc_lo, v0, s10
	s_delay_alu instid0(VALU_DEP_4) | instskip(NEXT) | instid1(VALU_DEP_4)
	v_mov_b32_e32 v11, v5
	v_lshl_or_b32 v24, v2, 9, v3
	v_lshlrev_b64 v[2:3], 4, v[6:7]
	v_add_co_ci_u32_e32 v1, vcc_lo, s11, v1, vcc_lo
	v_mov_b32_e32 v7, v5
	v_dual_mov_b32 v10, v4 :: v_dual_add_nc_u32 v25, 0x1000, v8
	s_waitcnt lgkmcnt(0)
	s_delay_alu instid0(VALU_DEP_4) | instskip(SKIP_3) | instid1(VALU_DEP_4)
	v_add_co_u32 v2, vcc_lo, v2, s2
	v_add_co_ci_u32_e32 v3, vcc_lo, s3, v3, vcc_lo
	v_add_co_u32 v0, vcc_lo, v0, 8
	v_add_co_ci_u32_e32 v1, vcc_lo, 0, v1, vcc_lo
	v_add_co_u32 v2, vcc_lo, v2, 8
	s_delay_alu instid0(VALU_DEP_4)
	v_add_co_ci_u32_e32 v3, vcc_lo, 0, v3, vcc_lo
	v_dual_mov_b32 v6, v4 :: v_dual_mov_b32 v9, v5
	v_dual_mov_b32 v8, v4 :: v_dual_mov_b32 v15, v5
	;; [unrolled: 1-line block ×5, first 2 shown]
	v_mov_b32_e32 v16, v4
	s_mov_b64 s[2:3], 0
.LBB1798_2:                             ; =>This Inner Loop Header: Depth=1
	global_load_b128 v[26:29], v[0:1], off offset:-8
	global_load_b128 v[30:33], v[2:3], off offset:-8
	s_add_u32 s2, s2, 8
	v_add_co_u32 v0, vcc_lo, 0x80, v0
	s_addc_u32 s3, s3, 0
	v_add_co_ci_u32_e32 v1, vcc_lo, 0, v1, vcc_lo
	v_cmp_ge_u64_e64 s10, s[2:3], s[4:5]
	v_add_co_u32 v2, vcc_lo, 0x80, v2
	v_add_co_ci_u32_e32 v3, vcc_lo, 0, v3, vcc_lo
	s_delay_alu instid0(VALU_DEP_3)
	s_and_b32 vcc_lo, exec_lo, s10
	s_waitcnt vmcnt(1)
	v_xor_b32_e32 v29, 0x80000000, v29
	ds_store_b128 v24, v[26:29]
	s_waitcnt vmcnt(0)
	ds_store_b128 v25, v[30:33]
	s_waitcnt lgkmcnt(0)
	s_barrier
	buffer_gl0_inv
	ds_load_b128 v[26:29], v23
	ds_load_b128 v[30:33], v22
	ds_load_b128 v[34:37], v22 offset:256
	ds_load_b128 v[38:41], v23 offset:2048
	;; [unrolled: 1-line block ×13, first 2 shown]
	s_waitcnt lgkmcnt(13)
	v_mul_f64 v[86:87], v[28:29], v[32:33]
	v_mul_f64 v[88:89], v[26:27], v[32:33]
	s_waitcnt lgkmcnt(12)
	v_mul_f64 v[90:91], v[28:29], v[36:37]
	v_mul_f64 v[92:93], v[26:27], v[36:37]
	;; [unrolled: 3-line block ×3, first 2 shown]
	v_mul_f64 v[96:97], v[40:41], v[36:37]
	v_mul_f64 v[36:37], v[38:39], v[36:37]
	s_waitcnt lgkmcnt(8)
	v_mul_f64 v[98:99], v[44:45], v[52:53]
	v_mul_f64 v[100:101], v[42:43], v[52:53]
	s_waitcnt lgkmcnt(7)
	v_mul_f64 v[102:103], v[44:45], v[56:57]
	v_mul_f64 v[104:105], v[42:43], v[56:57]
	;; [unrolled: 1-line block ×6, first 2 shown]
	s_waitcnt lgkmcnt(3)
	v_mul_f64 v[112:113], v[58:59], v[72:73]
	s_waitcnt lgkmcnt(2)
	v_mul_f64 v[114:115], v[76:77], v[68:69]
	v_mul_f64 v[116:117], v[76:77], v[72:73]
	v_fma_f64 v[86:87], v[26:27], v[30:31], -v[86:87]
	v_fma_f64 v[88:89], v[28:29], v[30:31], v[88:89]
	v_fma_f64 v[90:91], v[26:27], v[34:35], -v[90:91]
	v_fma_f64 v[92:93], v[28:29], v[34:35], v[92:93]
	;; [unrolled: 2-line block ×4, first 2 shown]
	v_mul_f64 v[36:37], v[60:61], v[68:69]
	v_mul_f64 v[40:41], v[58:59], v[68:69]
	;; [unrolled: 1-line block ×5, first 2 shown]
	v_fma_f64 v[98:99], v[42:43], v[50:51], -v[98:99]
	v_fma_f64 v[100:101], v[44:45], v[50:51], v[100:101]
	v_fma_f64 v[42:43], v[42:43], v[54:55], -v[102:103]
	v_fma_f64 v[44:45], v[44:45], v[54:55], v[104:105]
	v_fma_f64 v[102:103], v[46:47], v[50:51], -v[106:107]
	v_fma_f64 v[50:51], v[48:49], v[50:51], v[52:53]
	v_fma_f64 v[46:47], v[46:47], v[54:55], -v[108:109]
	v_fma_f64 v[48:49], v[48:49], v[54:55], v[56:57]
	ds_load_b128 v[26:29], v22 offset:1792
	ds_load_b128 v[30:33], v22 offset:2048
	s_waitcnt lgkmcnt(2)
	v_mul_f64 v[56:57], v[64:65], v[84:85]
	v_add_f64 v[16:17], v[16:17], v[86:87]
	v_add_f64 v[18:19], v[18:19], v[88:89]
	;; [unrolled: 1-line block ×8, first 2 shown]
	v_mul_f64 v[86:87], v[62:63], v[84:85]
	s_waitcnt lgkmcnt(1)
	v_mul_f64 v[88:89], v[64:65], v[28:29]
	v_mul_f64 v[90:91], v[62:63], v[28:29]
	;; [unrolled: 1-line block ×6, first 2 shown]
	v_fma_f64 v[104:105], v[58:59], v[66:67], -v[36:37]
	v_fma_f64 v[106:107], v[60:61], v[66:67], v[40:41]
	v_fma_f64 v[58:59], v[58:59], v[70:71], -v[96:97]
	v_fma_f64 v[60:61], v[60:61], v[70:71], v[112:113]
	;; [unrolled: 2-line block ×4, first 2 shown]
	ds_load_b128 v[4:7], v22 offset:2304
	ds_load_b128 v[8:11], v23 offset:64
	v_fma_f64 v[56:57], v[62:63], v[82:83], -v[56:57]
	v_add_f64 v[72:73], v[16:17], v[98:99]
	v_add_f64 v[74:75], v[18:19], v[100:101]
	;; [unrolled: 1-line block ×8, first 2 shown]
	ds_load_b128 v[12:15], v23 offset:2112
	ds_load_b128 v[16:19], v23 offset:80
	;; [unrolled: 1-line block ×4, first 2 shown]
	s_waitcnt lgkmcnt(4)
	v_mul_f64 v[54:55], v[10:11], v[32:33]
	v_mul_f64 v[76:77], v[8:9], v[32:33]
	;; [unrolled: 1-line block ×4, first 2 shown]
	v_fma_f64 v[86:87], v[64:65], v[82:83], v[86:87]
	v_fma_f64 v[62:63], v[62:63], v[26:27], -v[88:89]
	v_fma_f64 v[64:65], v[64:65], v[26:27], v[90:91]
	v_fma_f64 v[88:89], v[78:79], v[82:83], -v[92:93]
	;; [unrolled: 2-line block ×3, first 2 shown]
	v_fma_f64 v[80:81], v[80:81], v[26:27], v[28:29]
	s_waitcnt lgkmcnt(3)
	v_mul_f64 v[102:103], v[14:15], v[32:33]
	v_mul_f64 v[32:33], v[12:13], v[32:33]
	;; [unrolled: 1-line block ×4, first 2 shown]
	s_waitcnt lgkmcnt(0)
	v_mul_f64 v[90:91], v[18:19], v[40:41]
	v_mul_f64 v[92:93], v[16:17], v[40:41]
	v_add_f64 v[72:73], v[72:73], v[104:105]
	v_add_f64 v[74:75], v[74:75], v[106:107]
	v_add_f64 v[58:59], v[42:43], v[58:59]
	v_add_f64 v[60:61], v[44:45], v[60:61]
	v_add_f64 v[84:85], v[52:53], v[96:97]
	v_add_f64 v[66:67], v[50:51], v[66:67]
	v_add_f64 v[68:69], v[46:47], v[68:69]
	v_add_f64 v[70:71], v[48:49], v[70:71]
	ds_load_b128 v[26:29], v22 offset:2816
	ds_load_b128 v[42:45], v22 offset:3072
	;; [unrolled: 1-line block ×4, first 2 shown]
	v_mul_f64 v[104:105], v[36:37], v[40:41]
	v_mul_f64 v[40:41], v[34:35], v[40:41]
	v_fma_f64 v[54:55], v[8:9], v[30:31], -v[54:55]
	v_fma_f64 v[76:77], v[10:11], v[30:31], v[76:77]
	v_fma_f64 v[98:99], v[8:9], v[4:5], -v[98:99]
	v_fma_f64 v[100:101], v[10:11], v[4:5], v[100:101]
	s_waitcnt lgkmcnt(3)
	v_mul_f64 v[94:95], v[18:19], v[28:29]
	v_mul_f64 v[96:97], v[16:17], v[28:29]
	;; [unrolled: 1-line block ×4, first 2 shown]
	v_fma_f64 v[102:103], v[12:13], v[30:31], -v[102:103]
	v_fma_f64 v[32:33], v[14:15], v[30:31], v[32:33]
	v_fma_f64 v[108:109], v[12:13], v[4:5], -v[108:109]
	v_fma_f64 v[112:113], v[14:15], v[4:5], v[6:7]
	ds_load_b128 v[4:7], v23 offset:2144
	ds_load_b128 v[8:11], v23 offset:112
	;; [unrolled: 1-line block ×4, first 2 shown]
	v_add_f64 v[56:57], v[72:73], v[56:57]
	v_add_f64 v[72:73], v[74:75], v[86:87]
	;; [unrolled: 1-line block ×8, first 2 shown]
	s_waitcnt lgkmcnt(4)
	v_mul_f64 v[70:71], v[52:53], v[44:45]
	v_mul_f64 v[74:75], v[50:51], v[44:45]
	;; [unrolled: 1-line block ×4, first 2 shown]
	s_waitcnt lgkmcnt(3)
	v_mul_f64 v[82:83], v[6:7], v[44:45]
	v_mul_f64 v[44:45], v[4:5], v[44:45]
	;; [unrolled: 1-line block ×4, first 2 shown]
	v_fma_f64 v[86:87], v[16:17], v[38:39], -v[90:91]
	v_fma_f64 v[88:89], v[18:19], v[38:39], v[92:93]
	v_fma_f64 v[90:91], v[16:17], v[26:27], -v[94:95]
	v_fma_f64 v[92:93], v[18:19], v[26:27], v[96:97]
	;; [unrolled: 2-line block ×4, first 2 shown]
	ds_load_b128 v[16:19], v22 offset:3840
	s_waitcnt lgkmcnt(0)
	s_barrier
	buffer_gl0_inv
	v_add_f64 v[36:37], v[56:57], v[54:55]
	v_add_f64 v[40:41], v[72:73], v[76:77]
	;; [unrolled: 1-line block ×8, first 2 shown]
	v_mul_f64 v[64:65], v[10:11], v[30:31]
	v_mul_f64 v[66:67], v[8:9], v[30:31]
	;; [unrolled: 1-line block ×4, first 2 shown]
	v_fma_f64 v[70:71], v[50:51], v[42:43], -v[70:71]
	v_mul_f64 v[68:69], v[10:11], v[18:19]
	v_mul_f64 v[72:73], v[8:9], v[18:19]
	v_mul_f64 v[96:97], v[14:15], v[18:19]
	v_mul_f64 v[18:19], v[12:13], v[18:19]
	v_fma_f64 v[74:75], v[52:53], v[42:43], v[74:75]
	v_fma_f64 v[50:51], v[50:51], v[46:47], -v[78:79]
	v_fma_f64 v[52:53], v[52:53], v[46:47], v[80:81]
	v_fma_f64 v[78:79], v[4:5], v[42:43], -v[82:83]
	;; [unrolled: 2-line block ×3, first 2 shown]
	v_fma_f64 v[6:7], v[6:7], v[46:47], v[48:49]
	v_add_f64 v[36:37], v[36:37], v[86:87]
	v_add_f64 v[40:41], v[40:41], v[88:89]
	;; [unrolled: 1-line block ×8, first 2 shown]
	v_fma_f64 v[38:39], v[8:9], v[28:29], -v[64:65]
	v_fma_f64 v[54:55], v[10:11], v[28:29], v[66:67]
	v_fma_f64 v[56:57], v[12:13], v[28:29], -v[76:77]
	v_fma_f64 v[28:29], v[14:15], v[28:29], v[30:31]
	;; [unrolled: 2-line block ×4, first 2 shown]
	v_add_f64 v[12:13], v[36:37], v[70:71]
	v_add_f64 v[14:15], v[40:41], v[74:75]
	;; [unrolled: 1-line block ×16, first 2 shown]
	s_cbranch_vccz .LBB1798_2
.LBB1798_3:
	v_add_nc_u32_e32 v21, s23, v21
	s_load_b32 s2, s[0:1], 0x0
	s_delay_alu instid0(VALU_DEP_1) | instskip(SKIP_2) | instid1(VALU_DEP_3)
	v_ashrrev_i32_e32 v0, 31, v21
	v_mul_lo_u32 v3, v21, s19
	v_mad_u64_u32 v[1:2], null, v21, s18, 0
	v_mul_lo_u32 v0, v0, s18
	s_delay_alu instid0(VALU_DEP_1) | instskip(SKIP_1) | instid1(VALU_DEP_2)
	v_add3_u32 v2, v2, v3, v0
	v_add_nc_u32_e32 v0, s22, v20
	v_lshlrev_b64 v[1:2], 4, v[1:2]
	s_delay_alu instid0(VALU_DEP_2) | instskip(SKIP_2) | instid1(VALU_DEP_3)
	v_cmp_le_i32_e64 s0, v21, v0
	s_waitcnt lgkmcnt(0)
	v_cmp_gt_i32_e32 vcc_lo, s2, v0
	v_add_co_u32 v20, s1, s16, v1
	s_delay_alu instid0(VALU_DEP_1) | instskip(SKIP_1) | instid1(SALU_CYCLE_1)
	v_add_co_ci_u32_e64 v22, s1, s17, v2, s1
	s_and_b32 s0, s0, vcc_lo
	s_and_saveexec_b32 s3, s0
	s_cbranch_execz .LBB1798_5
; %bb.4:
	v_mul_f64 v[1:2], s[6:7], v[18:19]
	v_mul_f64 v[18:19], s[8:9], v[18:19]
	v_cmp_ne_u32_e64 s0, v21, v0
	s_delay_alu instid0(VALU_DEP_3) | instskip(NEXT) | instid1(VALU_DEP_3)
	v_fma_f64 v[2:3], s[8:9], v[16:17], v[1:2]
	v_fma_f64 v[16:17], s[6:7], v[16:17], -v[18:19]
	v_ashrrev_i32_e32 v1, 31, v0
	s_delay_alu instid0(VALU_DEP_1) | instskip(NEXT) | instid1(VALU_DEP_1)
	v_lshlrev_b64 v[18:19], 4, v[0:1]
	v_add_co_u32 v23, s1, v20, v18
	s_delay_alu instid0(VALU_DEP_1)
	v_add_co_ci_u32_e64 v24, s1, v22, v19, s1
	v_cndmask_b32_e64 v19, 0, v3, s0
	v_cndmask_b32_e64 v18, 0, v2, s0
	global_store_b128 v[23:24], v[16:19], off
.LBB1798_5:
	s_or_b32 exec_lo, exec_lo, s3
	v_add_nc_u32_e32 v2, 16, v0
	s_delay_alu instid0(VALU_DEP_1) | instskip(SKIP_1) | instid1(VALU_DEP_1)
	v_cmp_le_i32_e64 s1, v21, v2
	v_cmp_gt_i32_e64 s0, s2, v2
	s_and_b32 s1, s1, s0
	s_delay_alu instid0(SALU_CYCLE_1)
	s_and_saveexec_b32 s3, s1
	s_cbranch_execz .LBB1798_7
; %bb.6:
	v_mul_f64 v[16:17], s[6:7], v[14:15]
	v_mul_f64 v[14:15], s[8:9], v[14:15]
	v_ashrrev_i32_e32 v3, 31, v2
	v_cmp_ne_u32_e64 s1, v21, v2
	s_delay_alu instid0(VALU_DEP_4) | instskip(NEXT) | instid1(VALU_DEP_4)
	v_fma_f64 v[16:17], s[8:9], v[12:13], v[16:17]
	v_fma_f64 v[12:13], s[6:7], v[12:13], -v[14:15]
	s_delay_alu instid0(VALU_DEP_4) | instskip(NEXT) | instid1(VALU_DEP_1)
	v_lshlrev_b64 v[14:15], 4, v[2:3]
	v_add_co_u32 v18, s2, v20, v14
	s_delay_alu instid0(VALU_DEP_1)
	v_add_co_ci_u32_e64 v19, s2, v22, v15, s2
	v_cndmask_b32_e64 v15, 0, v17, s1
	v_cndmask_b32_e64 v14, 0, v16, s1
	global_store_b128 v[18:19], v[12:15], off
.LBB1798_7:
	s_or_b32 exec_lo, exec_lo, s3
	v_add_nc_u32_e32 v3, 16, v21
	s_delay_alu instid0(VALU_DEP_1) | instskip(SKIP_3) | instid1(VALU_DEP_4)
	v_ashrrev_i32_e32 v1, 31, v3
	v_mul_lo_u32 v14, v3, s19
	v_mad_u64_u32 v[12:13], null, v3, s18, 0
	v_cmp_le_i32_e64 s1, v3, v0
	v_mul_lo_u32 v1, v1, s18
	s_delay_alu instid0(VALU_DEP_2) | instskip(NEXT) | instid1(VALU_DEP_1)
	s_and_b32 s1, s1, vcc_lo
	v_add3_u32 v13, v13, v14, v1
	s_delay_alu instid0(VALU_DEP_1) | instskip(NEXT) | instid1(VALU_DEP_1)
	v_lshlrev_b64 v[12:13], 4, v[12:13]
	v_add_co_u32 v12, s2, s16, v12
	s_delay_alu instid0(VALU_DEP_1)
	v_add_co_ci_u32_e64 v13, s2, s17, v13, s2
	s_and_saveexec_b32 s2, s1
	s_cbranch_execz .LBB1798_9
; %bb.8:
	v_mul_f64 v[14:15], s[6:7], v[10:11]
	v_mul_f64 v[10:11], s[8:9], v[10:11]
	v_ashrrev_i32_e32 v1, 31, v0
	v_cmp_ne_u32_e32 vcc_lo, v3, v0
	s_delay_alu instid0(VALU_DEP_4) | instskip(NEXT) | instid1(VALU_DEP_4)
	v_fma_f64 v[14:15], s[8:9], v[8:9], v[14:15]
	v_fma_f64 v[8:9], s[6:7], v[8:9], -v[10:11]
	s_delay_alu instid0(VALU_DEP_4) | instskip(NEXT) | instid1(VALU_DEP_1)
	v_lshlrev_b64 v[10:11], 4, v[0:1]
	v_add_co_u32 v16, s1, v12, v10
	s_delay_alu instid0(VALU_DEP_1)
	v_add_co_ci_u32_e64 v17, s1, v13, v11, s1
	v_dual_cndmask_b32 v11, 0, v15 :: v_dual_cndmask_b32 v10, 0, v14
	global_store_b128 v[16:17], v[8:11], off
.LBB1798_9:
	s_or_b32 exec_lo, exec_lo, s2
	v_cmp_le_i32_e32 vcc_lo, v3, v2
	s_and_b32 s0, vcc_lo, s0
	s_delay_alu instid0(SALU_CYCLE_1)
	s_and_saveexec_b32 s1, s0
	s_cbranch_execz .LBB1798_11
; %bb.10:
	v_mul_f64 v[8:9], s[6:7], v[4:5]
	v_mul_f64 v[3:4], s[8:9], v[4:5]
	v_cmp_ne_u32_e32 vcc_lo, v21, v0
	s_delay_alu instid0(VALU_DEP_3) | instskip(NEXT) | instid1(VALU_DEP_3)
	v_fma_f64 v[8:9], s[8:9], v[6:7], v[8:9]
	v_fma_f64 v[4:5], s[6:7], v[6:7], -v[3:4]
	v_ashrrev_i32_e32 v3, 31, v2
	s_delay_alu instid0(VALU_DEP_1) | instskip(NEXT) | instid1(VALU_DEP_1)
	v_lshlrev_b64 v[1:2], 4, v[2:3]
	v_add_co_u32 v0, s0, v12, v1
	s_delay_alu instid0(VALU_DEP_1)
	v_add_co_ci_u32_e64 v1, s0, v13, v2, s0
	v_dual_cndmask_b32 v7, 0, v9 :: v_dual_cndmask_b32 v6, 0, v8
	global_store_b128 v[0:1], v[4:7], off
.LBB1798_11:
	s_nop 0
	s_sendmsg sendmsg(MSG_DEALLOC_VGPRS)
	s_endpgm
	.section	.rodata,"a",@progbits
	.p2align	6, 0x0
	.amdhsa_kernel _ZL37rocblas_syrkx_herkx_restricted_kernelIl19rocblas_complex_numIdELi16ELi32ELi8ELb1ELb1ELc67ELc76EKPKS1_KPS1_EviT_T0_PT8_S7_lSA_S7_lS8_PT9_S7_li
		.amdhsa_group_segment_fixed_size 8192
		.amdhsa_private_segment_fixed_size 0
		.amdhsa_kernarg_size 124
		.amdhsa_user_sgpr_count 13
		.amdhsa_user_sgpr_dispatch_ptr 0
		.amdhsa_user_sgpr_queue_ptr 0
		.amdhsa_user_sgpr_kernarg_segment_ptr 1
		.amdhsa_user_sgpr_dispatch_id 0
		.amdhsa_user_sgpr_private_segment_size 0
		.amdhsa_wavefront_size32 1
		.amdhsa_uses_dynamic_stack 0
		.amdhsa_enable_private_segment 0
		.amdhsa_system_sgpr_workgroup_id_x 1
		.amdhsa_system_sgpr_workgroup_id_y 1
		.amdhsa_system_sgpr_workgroup_id_z 1
		.amdhsa_system_sgpr_workgroup_info 0
		.amdhsa_system_vgpr_workitem_id 1
		.amdhsa_next_free_vgpr 118
		.amdhsa_next_free_sgpr 24
		.amdhsa_reserve_vcc 1
		.amdhsa_float_round_mode_32 0
		.amdhsa_float_round_mode_16_64 0
		.amdhsa_float_denorm_mode_32 3
		.amdhsa_float_denorm_mode_16_64 3
		.amdhsa_dx10_clamp 1
		.amdhsa_ieee_mode 1
		.amdhsa_fp16_overflow 0
		.amdhsa_workgroup_processor_mode 1
		.amdhsa_memory_ordered 1
		.amdhsa_forward_progress 0
		.amdhsa_shared_vgpr_count 0
		.amdhsa_exception_fp_ieee_invalid_op 0
		.amdhsa_exception_fp_denorm_src 0
		.amdhsa_exception_fp_ieee_div_zero 0
		.amdhsa_exception_fp_ieee_overflow 0
		.amdhsa_exception_fp_ieee_underflow 0
		.amdhsa_exception_fp_ieee_inexact 0
		.amdhsa_exception_int_div_zero 0
	.end_amdhsa_kernel
	.section	.text._ZL37rocblas_syrkx_herkx_restricted_kernelIl19rocblas_complex_numIdELi16ELi32ELi8ELb1ELb1ELc67ELc76EKPKS1_KPS1_EviT_T0_PT8_S7_lSA_S7_lS8_PT9_S7_li,"axG",@progbits,_ZL37rocblas_syrkx_herkx_restricted_kernelIl19rocblas_complex_numIdELi16ELi32ELi8ELb1ELb1ELc67ELc76EKPKS1_KPS1_EviT_T0_PT8_S7_lSA_S7_lS8_PT9_S7_li,comdat
.Lfunc_end1798:
	.size	_ZL37rocblas_syrkx_herkx_restricted_kernelIl19rocblas_complex_numIdELi16ELi32ELi8ELb1ELb1ELc67ELc76EKPKS1_KPS1_EviT_T0_PT8_S7_lSA_S7_lS8_PT9_S7_li, .Lfunc_end1798-_ZL37rocblas_syrkx_herkx_restricted_kernelIl19rocblas_complex_numIdELi16ELi32ELi8ELb1ELb1ELc67ELc76EKPKS1_KPS1_EviT_T0_PT8_S7_lSA_S7_lS8_PT9_S7_li
                                        ; -- End function
	.section	.AMDGPU.csdata,"",@progbits
; Kernel info:
; codeLenInByte = 3224
; NumSgprs: 26
; NumVgprs: 118
; ScratchSize: 0
; MemoryBound: 0
; FloatMode: 240
; IeeeMode: 1
; LDSByteSize: 8192 bytes/workgroup (compile time only)
; SGPRBlocks: 3
; VGPRBlocks: 14
; NumSGPRsForWavesPerEU: 26
; NumVGPRsForWavesPerEU: 118
; Occupancy: 12
; WaveLimiterHint : 1
; COMPUTE_PGM_RSRC2:SCRATCH_EN: 0
; COMPUTE_PGM_RSRC2:USER_SGPR: 13
; COMPUTE_PGM_RSRC2:TRAP_HANDLER: 0
; COMPUTE_PGM_RSRC2:TGID_X_EN: 1
; COMPUTE_PGM_RSRC2:TGID_Y_EN: 1
; COMPUTE_PGM_RSRC2:TGID_Z_EN: 1
; COMPUTE_PGM_RSRC2:TIDIG_COMP_CNT: 1
	.section	.text._ZL37rocblas_syrkx_herkx_restricted_kernelIl19rocblas_complex_numIdELi16ELi32ELi8ELb1ELb1ELc78ELc76EKPKS1_KPS1_EviT_T0_PT8_S7_lSA_S7_lS8_PT9_S7_li,"axG",@progbits,_ZL37rocblas_syrkx_herkx_restricted_kernelIl19rocblas_complex_numIdELi16ELi32ELi8ELb1ELb1ELc78ELc76EKPKS1_KPS1_EviT_T0_PT8_S7_lSA_S7_lS8_PT9_S7_li,comdat
	.globl	_ZL37rocblas_syrkx_herkx_restricted_kernelIl19rocblas_complex_numIdELi16ELi32ELi8ELb1ELb1ELc78ELc76EKPKS1_KPS1_EviT_T0_PT8_S7_lSA_S7_lS8_PT9_S7_li ; -- Begin function _ZL37rocblas_syrkx_herkx_restricted_kernelIl19rocblas_complex_numIdELi16ELi32ELi8ELb1ELb1ELc78ELc76EKPKS1_KPS1_EviT_T0_PT8_S7_lSA_S7_lS8_PT9_S7_li
	.p2align	8
	.type	_ZL37rocblas_syrkx_herkx_restricted_kernelIl19rocblas_complex_numIdELi16ELi32ELi8ELb1ELb1ELc78ELc76EKPKS1_KPS1_EviT_T0_PT8_S7_lSA_S7_lS8_PT9_S7_li,@function
_ZL37rocblas_syrkx_herkx_restricted_kernelIl19rocblas_complex_numIdELi16ELi32ELi8ELb1ELb1ELc78ELc76EKPKS1_KPS1_EviT_T0_PT8_S7_lSA_S7_lS8_PT9_S7_li: ; @_ZL37rocblas_syrkx_herkx_restricted_kernelIl19rocblas_complex_numIdELi16ELi32ELi8ELb1ELb1ELc78ELc76EKPKS1_KPS1_EviT_T0_PT8_S7_lSA_S7_lS8_PT9_S7_li
; %bb.0:
	s_clause 0x1
	s_load_b128 s[16:19], s[0:1], 0x60
	s_load_b256 s[4:11], s[0:1], 0x8
	s_mov_b32 s2, s15
	s_mov_b32 s3, 0
	v_mov_b32_e32 v16, 0
	s_lshl_b64 s[20:21], s[2:3], 3
	v_dual_mov_b32 v17, 0 :: v_dual_and_b32 v20, 0x3ff, v0
	v_bfe_u32 v21, v0, 10, 10
	s_delay_alu instid0(VALU_DEP_3) | instskip(NEXT) | instid1(VALU_DEP_3)
	v_mov_b32_e32 v14, v16
	v_dual_mov_b32 v12, v16 :: v_dual_mov_b32 v13, v17
	v_dual_mov_b32 v19, v17 :: v_dual_mov_b32 v18, v16
	;; [unrolled: 1-line block ×5, first 2 shown]
	v_mov_b32_e32 v7, v17
	s_waitcnt lgkmcnt(0)
	s_add_u32 s16, s16, s20
	s_addc_u32 s17, s17, s21
	s_load_b64 s[2:3], s[0:1], 0x28
	s_load_b64 s[16:17], s[16:17], 0x0
	v_cmp_lt_i64_e64 s12, s[4:5], 1
	v_dual_mov_b32 v4, v16 :: v_dual_mov_b32 v5, v17
	s_lshl_b32 s22, s13, 5
	s_lshl_b32 s23, s14, 5
	s_delay_alu instid0(VALU_DEP_2)
	s_and_b32 vcc_lo, exec_lo, s12
	s_cbranch_vccnz .LBB1799_3
; %bb.1:
	v_lshl_add_u32 v1, v21, 4, v20
	s_load_b128 s[12:15], s[0:1], 0x38
	v_and_b32_e32 v6, 7, v20
	v_mov_b32_e32 v4, 0
	s_add_u32 s10, s10, s20
	v_dual_mov_b32 v5, 0 :: v_dual_and_b32 v14, 31, v1
	v_lshrrev_b32_e32 v15, 3, v1
	v_lshrrev_b32_e32 v16, 5, v1
	s_addc_u32 s11, s11, s21
	s_delay_alu instid0(VALU_DEP_3) | instskip(NEXT) | instid1(VALU_DEP_3)
	v_dual_mov_b32 v11, v5 :: v_dual_add_nc_u32 v0, s22, v14
	v_add_nc_u32_e32 v2, s23, v15
	s_load_b64 s[10:11], s[10:11], 0x0
	v_dual_mov_b32 v19, v5 :: v_dual_lshlrev_b32 v14, 4, v14
	s_delay_alu instid0(VALU_DEP_3) | instskip(NEXT) | instid1(VALU_DEP_3)
	v_ashrrev_i32_e32 v1, 31, v0
	v_ashrrev_i32_e32 v3, 31, v2
	v_lshlrev_b32_e32 v22, 4, v20
	s_delay_alu instid0(VALU_DEP_4)
	v_lshl_or_b32 v24, v16, 9, v14
	v_mov_b32_e32 v10, v4
	s_waitcnt lgkmcnt(0)
	v_mad_u64_u32 v[12:13], null, v16, s2, v[0:1]
	v_mad_u64_u32 v[0:1], null, v6, s14, v[2:3]
	s_add_u32 s12, s12, s20
	s_addc_u32 s13, s13, s21
	v_lshl_add_u32 v23, v21, 7, 0x1000
	s_load_b64 s[12:13], s[12:13], 0x0
	s_delay_alu instid0(VALU_DEP_3) | instskip(SKIP_1) | instid1(VALU_DEP_2)
	v_mov_b32_e32 v2, v13
	v_mov_b32_e32 v18, v4
	v_mad_u64_u32 v[8:9], null, v16, s3, v[2:3]
	s_lshl_b64 s[2:3], s[2:3], 7
	v_dual_mov_b32 v17, v5 :: v_dual_mov_b32 v16, v4
	s_delay_alu instid0(VALU_DEP_2) | instskip(SKIP_4) | instid1(VALU_DEP_3)
	v_mov_b32_e32 v13, v8
	v_mad_u64_u32 v[2:3], null, v6, s15, v[1:2]
	v_lshlrev_b32_e32 v1, 4, v6
	v_dual_mov_b32 v7, v5 :: v_dual_mov_b32 v6, v4
	v_dual_mov_b32 v9, v5 :: v_dual_mov_b32 v8, v4
	v_lshl_or_b32 v15, v15, 7, v1
	v_mov_b32_e32 v1, v2
	v_lshlrev_b64 v[2:3], 4, v[12:13]
	v_dual_mov_b32 v13, v5 :: v_dual_mov_b32 v12, v4
	s_delay_alu instid0(VALU_DEP_4) | instskip(NEXT) | instid1(VALU_DEP_4)
	v_add_nc_u32_e32 v25, 0x1000, v15
	v_lshlrev_b64 v[0:1], 4, v[0:1]
	s_delay_alu instid0(VALU_DEP_4) | instskip(SKIP_2) | instid1(VALU_DEP_3)
	v_add_co_u32 v2, vcc_lo, v2, s10
	v_add_co_ci_u32_e32 v3, vcc_lo, s11, v3, vcc_lo
	s_waitcnt lgkmcnt(0)
	v_add_co_u32 v14, vcc_lo, v0, s12
	s_delay_alu instid0(VALU_DEP_4) | instskip(SKIP_2) | instid1(VALU_DEP_4)
	v_add_co_ci_u32_e32 v15, vcc_lo, s13, v1, vcc_lo
	v_add_co_u32 v0, vcc_lo, v2, 8
	v_add_co_ci_u32_e32 v1, vcc_lo, 0, v3, vcc_lo
	v_add_co_u32 v2, vcc_lo, v14, 8
	s_delay_alu instid0(VALU_DEP_4)
	v_add_co_ci_u32_e32 v3, vcc_lo, 0, v15, vcc_lo
	v_dual_mov_b32 v15, v5 :: v_dual_mov_b32 v14, v4
	s_lshl_b64 s[10:11], s[14:15], 7
	s_mov_b64 s[12:13], 0
.LBB1799_2:                             ; =>This Inner Loop Header: Depth=1
	global_load_b128 v[26:29], v[2:3], off offset:-8
	global_load_b128 v[30:33], v[0:1], off offset:-8
	s_add_u32 s12, s12, 8
	v_add_co_u32 v0, vcc_lo, v0, s2
	s_addc_u32 s13, s13, 0
	v_add_co_ci_u32_e32 v1, vcc_lo, s3, v1, vcc_lo
	v_cmp_ge_u64_e64 s14, s[12:13], s[4:5]
	v_add_co_u32 v2, vcc_lo, v2, s10
	v_add_co_ci_u32_e32 v3, vcc_lo, s11, v3, vcc_lo
	s_delay_alu instid0(VALU_DEP_3)
	s_and_b32 vcc_lo, exec_lo, s14
	s_waitcnt vmcnt(1)
	v_xor_b32_e32 v29, 0x80000000, v29
	s_waitcnt vmcnt(0)
	ds_store_b128 v24, v[30:33]
	ds_store_b128 v25, v[26:29]
	s_waitcnt lgkmcnt(0)
	s_barrier
	buffer_gl0_inv
	ds_load_b128 v[26:29], v23
	ds_load_b128 v[30:33], v22
	ds_load_b128 v[34:37], v22 offset:256
	ds_load_b128 v[38:41], v23 offset:2048
	;; [unrolled: 1-line block ×13, first 2 shown]
	s_waitcnt lgkmcnt(13)
	v_mul_f64 v[86:87], v[28:29], v[32:33]
	v_mul_f64 v[88:89], v[26:27], v[32:33]
	s_waitcnt lgkmcnt(12)
	v_mul_f64 v[90:91], v[28:29], v[36:37]
	v_mul_f64 v[92:93], v[26:27], v[36:37]
	;; [unrolled: 3-line block ×3, first 2 shown]
	v_mul_f64 v[96:97], v[40:41], v[36:37]
	v_mul_f64 v[36:37], v[38:39], v[36:37]
	s_waitcnt lgkmcnt(8)
	v_mul_f64 v[98:99], v[44:45], v[52:53]
	v_mul_f64 v[100:101], v[42:43], v[52:53]
	s_waitcnt lgkmcnt(7)
	v_mul_f64 v[102:103], v[44:45], v[56:57]
	v_mul_f64 v[104:105], v[42:43], v[56:57]
	;; [unrolled: 1-line block ×6, first 2 shown]
	s_waitcnt lgkmcnt(3)
	v_mul_f64 v[112:113], v[58:59], v[72:73]
	s_waitcnt lgkmcnt(2)
	v_mul_f64 v[114:115], v[76:77], v[68:69]
	v_mul_f64 v[116:117], v[76:77], v[72:73]
	v_fma_f64 v[86:87], v[26:27], v[30:31], -v[86:87]
	v_fma_f64 v[88:89], v[28:29], v[30:31], v[88:89]
	v_fma_f64 v[90:91], v[26:27], v[34:35], -v[90:91]
	v_fma_f64 v[92:93], v[28:29], v[34:35], v[92:93]
	;; [unrolled: 2-line block ×4, first 2 shown]
	v_mul_f64 v[36:37], v[60:61], v[68:69]
	v_mul_f64 v[40:41], v[58:59], v[68:69]
	;; [unrolled: 1-line block ×5, first 2 shown]
	v_fma_f64 v[98:99], v[42:43], v[50:51], -v[98:99]
	v_fma_f64 v[100:101], v[44:45], v[50:51], v[100:101]
	v_fma_f64 v[42:43], v[42:43], v[54:55], -v[102:103]
	v_fma_f64 v[44:45], v[44:45], v[54:55], v[104:105]
	;; [unrolled: 2-line block ×4, first 2 shown]
	ds_load_b128 v[26:29], v22 offset:1792
	ds_load_b128 v[30:33], v22 offset:2048
	s_waitcnt lgkmcnt(2)
	v_mul_f64 v[56:57], v[64:65], v[84:85]
	v_add_f64 v[16:17], v[16:17], v[86:87]
	v_add_f64 v[18:19], v[18:19], v[88:89]
	;; [unrolled: 1-line block ×8, first 2 shown]
	v_mul_f64 v[86:87], v[62:63], v[84:85]
	s_waitcnt lgkmcnt(1)
	v_mul_f64 v[88:89], v[64:65], v[28:29]
	v_mul_f64 v[90:91], v[62:63], v[28:29]
	;; [unrolled: 1-line block ×6, first 2 shown]
	v_fma_f64 v[104:105], v[58:59], v[66:67], -v[36:37]
	v_fma_f64 v[106:107], v[60:61], v[66:67], v[40:41]
	v_fma_f64 v[58:59], v[58:59], v[70:71], -v[96:97]
	v_fma_f64 v[60:61], v[60:61], v[70:71], v[112:113]
	;; [unrolled: 2-line block ×4, first 2 shown]
	ds_load_b128 v[4:7], v22 offset:2304
	ds_load_b128 v[8:11], v23 offset:64
	v_fma_f64 v[56:57], v[62:63], v[82:83], -v[56:57]
	v_add_f64 v[72:73], v[16:17], v[98:99]
	v_add_f64 v[74:75], v[18:19], v[100:101]
	;; [unrolled: 1-line block ×8, first 2 shown]
	ds_load_b128 v[12:15], v23 offset:2112
	ds_load_b128 v[16:19], v23 offset:80
	;; [unrolled: 1-line block ×4, first 2 shown]
	s_waitcnt lgkmcnt(4)
	v_mul_f64 v[54:55], v[10:11], v[32:33]
	v_mul_f64 v[76:77], v[8:9], v[32:33]
	;; [unrolled: 1-line block ×4, first 2 shown]
	v_fma_f64 v[86:87], v[64:65], v[82:83], v[86:87]
	v_fma_f64 v[62:63], v[62:63], v[26:27], -v[88:89]
	v_fma_f64 v[64:65], v[64:65], v[26:27], v[90:91]
	v_fma_f64 v[88:89], v[78:79], v[82:83], -v[92:93]
	;; [unrolled: 2-line block ×3, first 2 shown]
	v_fma_f64 v[80:81], v[80:81], v[26:27], v[28:29]
	s_waitcnt lgkmcnt(3)
	v_mul_f64 v[102:103], v[14:15], v[32:33]
	v_mul_f64 v[32:33], v[12:13], v[32:33]
	;; [unrolled: 1-line block ×4, first 2 shown]
	s_waitcnt lgkmcnt(0)
	v_mul_f64 v[90:91], v[18:19], v[40:41]
	v_mul_f64 v[92:93], v[16:17], v[40:41]
	v_add_f64 v[72:73], v[72:73], v[104:105]
	v_add_f64 v[74:75], v[74:75], v[106:107]
	;; [unrolled: 1-line block ×8, first 2 shown]
	ds_load_b128 v[26:29], v22 offset:2816
	ds_load_b128 v[42:45], v22 offset:3072
	;; [unrolled: 1-line block ×4, first 2 shown]
	v_mul_f64 v[104:105], v[36:37], v[40:41]
	v_mul_f64 v[40:41], v[34:35], v[40:41]
	v_fma_f64 v[54:55], v[8:9], v[30:31], -v[54:55]
	v_fma_f64 v[76:77], v[10:11], v[30:31], v[76:77]
	v_fma_f64 v[98:99], v[8:9], v[4:5], -v[98:99]
	v_fma_f64 v[100:101], v[10:11], v[4:5], v[100:101]
	s_waitcnt lgkmcnt(3)
	v_mul_f64 v[94:95], v[18:19], v[28:29]
	v_mul_f64 v[96:97], v[16:17], v[28:29]
	;; [unrolled: 1-line block ×4, first 2 shown]
	v_fma_f64 v[102:103], v[12:13], v[30:31], -v[102:103]
	v_fma_f64 v[32:33], v[14:15], v[30:31], v[32:33]
	v_fma_f64 v[108:109], v[12:13], v[4:5], -v[108:109]
	v_fma_f64 v[112:113], v[14:15], v[4:5], v[6:7]
	ds_load_b128 v[4:7], v23 offset:2144
	ds_load_b128 v[8:11], v23 offset:112
	;; [unrolled: 1-line block ×4, first 2 shown]
	v_add_f64 v[56:57], v[72:73], v[56:57]
	v_add_f64 v[72:73], v[74:75], v[86:87]
	;; [unrolled: 1-line block ×8, first 2 shown]
	s_waitcnt lgkmcnt(4)
	v_mul_f64 v[70:71], v[52:53], v[44:45]
	v_mul_f64 v[74:75], v[50:51], v[44:45]
	;; [unrolled: 1-line block ×4, first 2 shown]
	s_waitcnt lgkmcnt(3)
	v_mul_f64 v[82:83], v[6:7], v[44:45]
	v_mul_f64 v[44:45], v[4:5], v[44:45]
	;; [unrolled: 1-line block ×4, first 2 shown]
	v_fma_f64 v[86:87], v[16:17], v[38:39], -v[90:91]
	v_fma_f64 v[88:89], v[18:19], v[38:39], v[92:93]
	v_fma_f64 v[90:91], v[16:17], v[26:27], -v[94:95]
	v_fma_f64 v[92:93], v[18:19], v[26:27], v[96:97]
	;; [unrolled: 2-line block ×4, first 2 shown]
	ds_load_b128 v[16:19], v22 offset:3840
	s_waitcnt lgkmcnt(0)
	s_barrier
	buffer_gl0_inv
	v_add_f64 v[36:37], v[56:57], v[54:55]
	v_add_f64 v[40:41], v[72:73], v[76:77]
	;; [unrolled: 1-line block ×8, first 2 shown]
	v_mul_f64 v[64:65], v[10:11], v[30:31]
	v_mul_f64 v[66:67], v[8:9], v[30:31]
	;; [unrolled: 1-line block ×4, first 2 shown]
	v_fma_f64 v[70:71], v[50:51], v[42:43], -v[70:71]
	v_mul_f64 v[68:69], v[10:11], v[18:19]
	v_mul_f64 v[72:73], v[8:9], v[18:19]
	;; [unrolled: 1-line block ×4, first 2 shown]
	v_fma_f64 v[74:75], v[52:53], v[42:43], v[74:75]
	v_fma_f64 v[50:51], v[50:51], v[46:47], -v[78:79]
	v_fma_f64 v[52:53], v[52:53], v[46:47], v[80:81]
	v_fma_f64 v[78:79], v[4:5], v[42:43], -v[82:83]
	;; [unrolled: 2-line block ×3, first 2 shown]
	v_fma_f64 v[6:7], v[6:7], v[46:47], v[48:49]
	v_add_f64 v[36:37], v[36:37], v[86:87]
	v_add_f64 v[40:41], v[40:41], v[88:89]
	;; [unrolled: 1-line block ×8, first 2 shown]
	v_fma_f64 v[38:39], v[8:9], v[28:29], -v[64:65]
	v_fma_f64 v[54:55], v[10:11], v[28:29], v[66:67]
	v_fma_f64 v[56:57], v[12:13], v[28:29], -v[76:77]
	v_fma_f64 v[28:29], v[14:15], v[28:29], v[30:31]
	;; [unrolled: 2-line block ×4, first 2 shown]
	v_add_f64 v[12:13], v[36:37], v[70:71]
	v_add_f64 v[14:15], v[40:41], v[74:75]
	;; [unrolled: 1-line block ×16, first 2 shown]
	s_cbranch_vccz .LBB1799_2
.LBB1799_3:
	v_add_nc_u32_e32 v21, s23, v21
	s_waitcnt lgkmcnt(0)
	s_load_b32 s2, s[0:1], 0x0
	s_delay_alu instid0(VALU_DEP_1) | instskip(SKIP_2) | instid1(VALU_DEP_3)
	v_ashrrev_i32_e32 v0, 31, v21
	v_mul_lo_u32 v3, v21, s19
	v_mad_u64_u32 v[1:2], null, v21, s18, 0
	v_mul_lo_u32 v0, v0, s18
	s_delay_alu instid0(VALU_DEP_1) | instskip(SKIP_1) | instid1(VALU_DEP_2)
	v_add3_u32 v2, v2, v3, v0
	v_add_nc_u32_e32 v0, s22, v20
	v_lshlrev_b64 v[1:2], 4, v[1:2]
	s_delay_alu instid0(VALU_DEP_2) | instskip(SKIP_2) | instid1(VALU_DEP_3)
	v_cmp_le_i32_e64 s0, v21, v0
	s_waitcnt lgkmcnt(0)
	v_cmp_gt_i32_e32 vcc_lo, s2, v0
	v_add_co_u32 v20, s1, s16, v1
	s_delay_alu instid0(VALU_DEP_1) | instskip(SKIP_1) | instid1(SALU_CYCLE_1)
	v_add_co_ci_u32_e64 v22, s1, s17, v2, s1
	s_and_b32 s0, s0, vcc_lo
	s_and_saveexec_b32 s3, s0
	s_cbranch_execz .LBB1799_5
; %bb.4:
	v_mul_f64 v[1:2], s[6:7], v[18:19]
	v_mul_f64 v[18:19], s[8:9], v[18:19]
	v_cmp_ne_u32_e64 s0, v21, v0
	s_delay_alu instid0(VALU_DEP_3) | instskip(NEXT) | instid1(VALU_DEP_3)
	v_fma_f64 v[2:3], s[8:9], v[16:17], v[1:2]
	v_fma_f64 v[16:17], s[6:7], v[16:17], -v[18:19]
	v_ashrrev_i32_e32 v1, 31, v0
	s_delay_alu instid0(VALU_DEP_1) | instskip(NEXT) | instid1(VALU_DEP_1)
	v_lshlrev_b64 v[18:19], 4, v[0:1]
	v_add_co_u32 v23, s1, v20, v18
	s_delay_alu instid0(VALU_DEP_1)
	v_add_co_ci_u32_e64 v24, s1, v22, v19, s1
	v_cndmask_b32_e64 v19, 0, v3, s0
	v_cndmask_b32_e64 v18, 0, v2, s0
	global_store_b128 v[23:24], v[16:19], off
.LBB1799_5:
	s_or_b32 exec_lo, exec_lo, s3
	v_add_nc_u32_e32 v2, 16, v0
	s_delay_alu instid0(VALU_DEP_1) | instskip(SKIP_1) | instid1(VALU_DEP_1)
	v_cmp_le_i32_e64 s1, v21, v2
	v_cmp_gt_i32_e64 s0, s2, v2
	s_and_b32 s1, s1, s0
	s_delay_alu instid0(SALU_CYCLE_1)
	s_and_saveexec_b32 s3, s1
	s_cbranch_execz .LBB1799_7
; %bb.6:
	v_mul_f64 v[16:17], s[6:7], v[12:13]
	v_mul_f64 v[12:13], s[8:9], v[12:13]
	v_ashrrev_i32_e32 v3, 31, v2
	v_cmp_ne_u32_e64 s1, v21, v2
	s_delay_alu instid0(VALU_DEP_4) | instskip(NEXT) | instid1(VALU_DEP_4)
	v_fma_f64 v[16:17], s[8:9], v[14:15], v[16:17]
	v_fma_f64 v[12:13], s[6:7], v[14:15], -v[12:13]
	s_delay_alu instid0(VALU_DEP_4) | instskip(NEXT) | instid1(VALU_DEP_1)
	v_lshlrev_b64 v[14:15], 4, v[2:3]
	v_add_co_u32 v18, s2, v20, v14
	s_delay_alu instid0(VALU_DEP_1)
	v_add_co_ci_u32_e64 v19, s2, v22, v15, s2
	v_cndmask_b32_e64 v15, 0, v17, s1
	v_cndmask_b32_e64 v14, 0, v16, s1
	global_store_b128 v[18:19], v[12:15], off
.LBB1799_7:
	s_or_b32 exec_lo, exec_lo, s3
	v_add_nc_u32_e32 v3, 16, v21
	s_delay_alu instid0(VALU_DEP_1) | instskip(SKIP_3) | instid1(VALU_DEP_4)
	v_ashrrev_i32_e32 v1, 31, v3
	v_mul_lo_u32 v14, v3, s19
	v_mad_u64_u32 v[12:13], null, v3, s18, 0
	v_cmp_le_i32_e64 s1, v3, v0
	v_mul_lo_u32 v1, v1, s18
	s_delay_alu instid0(VALU_DEP_2) | instskip(NEXT) | instid1(VALU_DEP_1)
	s_and_b32 s1, s1, vcc_lo
	v_add3_u32 v13, v13, v14, v1
	s_delay_alu instid0(VALU_DEP_1) | instskip(NEXT) | instid1(VALU_DEP_1)
	v_lshlrev_b64 v[12:13], 4, v[12:13]
	v_add_co_u32 v12, s2, s16, v12
	s_delay_alu instid0(VALU_DEP_1)
	v_add_co_ci_u32_e64 v13, s2, s17, v13, s2
	s_and_saveexec_b32 s2, s1
	s_cbranch_execz .LBB1799_9
; %bb.8:
	v_mul_f64 v[14:15], s[6:7], v[10:11]
	v_mul_f64 v[10:11], s[8:9], v[10:11]
	v_ashrrev_i32_e32 v1, 31, v0
	v_cmp_ne_u32_e32 vcc_lo, v3, v0
	s_delay_alu instid0(VALU_DEP_4) | instskip(NEXT) | instid1(VALU_DEP_4)
	v_fma_f64 v[14:15], s[8:9], v[8:9], v[14:15]
	v_fma_f64 v[8:9], s[6:7], v[8:9], -v[10:11]
	s_delay_alu instid0(VALU_DEP_4) | instskip(NEXT) | instid1(VALU_DEP_1)
	v_lshlrev_b64 v[10:11], 4, v[0:1]
	v_add_co_u32 v16, s1, v12, v10
	s_delay_alu instid0(VALU_DEP_1)
	v_add_co_ci_u32_e64 v17, s1, v13, v11, s1
	v_dual_cndmask_b32 v11, 0, v15 :: v_dual_cndmask_b32 v10, 0, v14
	global_store_b128 v[16:17], v[8:11], off
.LBB1799_9:
	s_or_b32 exec_lo, exec_lo, s2
	v_cmp_le_i32_e32 vcc_lo, v3, v2
	s_and_b32 s0, vcc_lo, s0
	s_delay_alu instid0(SALU_CYCLE_1)
	s_and_saveexec_b32 s1, s0
	s_cbranch_execz .LBB1799_11
; %bb.10:
	v_mul_f64 v[8:9], s[6:7], v[4:5]
	v_mul_f64 v[3:4], s[8:9], v[4:5]
	v_cmp_ne_u32_e32 vcc_lo, v21, v0
	s_delay_alu instid0(VALU_DEP_3) | instskip(NEXT) | instid1(VALU_DEP_3)
	v_fma_f64 v[8:9], s[8:9], v[6:7], v[8:9]
	v_fma_f64 v[4:5], s[6:7], v[6:7], -v[3:4]
	v_ashrrev_i32_e32 v3, 31, v2
	s_delay_alu instid0(VALU_DEP_1) | instskip(NEXT) | instid1(VALU_DEP_1)
	v_lshlrev_b64 v[1:2], 4, v[2:3]
	v_add_co_u32 v0, s0, v12, v1
	s_delay_alu instid0(VALU_DEP_1)
	v_add_co_ci_u32_e64 v1, s0, v13, v2, s0
	v_dual_cndmask_b32 v7, 0, v9 :: v_dual_cndmask_b32 v6, 0, v8
	global_store_b128 v[0:1], v[4:7], off
.LBB1799_11:
	s_nop 0
	s_sendmsg sendmsg(MSG_DEALLOC_VGPRS)
	s_endpgm
	.section	.rodata,"a",@progbits
	.p2align	6, 0x0
	.amdhsa_kernel _ZL37rocblas_syrkx_herkx_restricted_kernelIl19rocblas_complex_numIdELi16ELi32ELi8ELb1ELb1ELc78ELc76EKPKS1_KPS1_EviT_T0_PT8_S7_lSA_S7_lS8_PT9_S7_li
		.amdhsa_group_segment_fixed_size 8192
		.amdhsa_private_segment_fixed_size 0
		.amdhsa_kernarg_size 124
		.amdhsa_user_sgpr_count 13
		.amdhsa_user_sgpr_dispatch_ptr 0
		.amdhsa_user_sgpr_queue_ptr 0
		.amdhsa_user_sgpr_kernarg_segment_ptr 1
		.amdhsa_user_sgpr_dispatch_id 0
		.amdhsa_user_sgpr_private_segment_size 0
		.amdhsa_wavefront_size32 1
		.amdhsa_uses_dynamic_stack 0
		.amdhsa_enable_private_segment 0
		.amdhsa_system_sgpr_workgroup_id_x 1
		.amdhsa_system_sgpr_workgroup_id_y 1
		.amdhsa_system_sgpr_workgroup_id_z 1
		.amdhsa_system_sgpr_workgroup_info 0
		.amdhsa_system_vgpr_workitem_id 1
		.amdhsa_next_free_vgpr 118
		.amdhsa_next_free_sgpr 24
		.amdhsa_reserve_vcc 1
		.amdhsa_float_round_mode_32 0
		.amdhsa_float_round_mode_16_64 0
		.amdhsa_float_denorm_mode_32 3
		.amdhsa_float_denorm_mode_16_64 3
		.amdhsa_dx10_clamp 1
		.amdhsa_ieee_mode 1
		.amdhsa_fp16_overflow 0
		.amdhsa_workgroup_processor_mode 1
		.amdhsa_memory_ordered 1
		.amdhsa_forward_progress 0
		.amdhsa_shared_vgpr_count 0
		.amdhsa_exception_fp_ieee_invalid_op 0
		.amdhsa_exception_fp_denorm_src 0
		.amdhsa_exception_fp_ieee_div_zero 0
		.amdhsa_exception_fp_ieee_overflow 0
		.amdhsa_exception_fp_ieee_underflow 0
		.amdhsa_exception_fp_ieee_inexact 0
		.amdhsa_exception_int_div_zero 0
	.end_amdhsa_kernel
	.section	.text._ZL37rocblas_syrkx_herkx_restricted_kernelIl19rocblas_complex_numIdELi16ELi32ELi8ELb1ELb1ELc78ELc76EKPKS1_KPS1_EviT_T0_PT8_S7_lSA_S7_lS8_PT9_S7_li,"axG",@progbits,_ZL37rocblas_syrkx_herkx_restricted_kernelIl19rocblas_complex_numIdELi16ELi32ELi8ELb1ELb1ELc78ELc76EKPKS1_KPS1_EviT_T0_PT8_S7_lSA_S7_lS8_PT9_S7_li,comdat
.Lfunc_end1799:
	.size	_ZL37rocblas_syrkx_herkx_restricted_kernelIl19rocblas_complex_numIdELi16ELi32ELi8ELb1ELb1ELc78ELc76EKPKS1_KPS1_EviT_T0_PT8_S7_lSA_S7_lS8_PT9_S7_li, .Lfunc_end1799-_ZL37rocblas_syrkx_herkx_restricted_kernelIl19rocblas_complex_numIdELi16ELi32ELi8ELb1ELb1ELc78ELc76EKPKS1_KPS1_EviT_T0_PT8_S7_lSA_S7_lS8_PT9_S7_li
                                        ; -- End function
	.section	.AMDGPU.csdata,"",@progbits
; Kernel info:
; codeLenInByte = 3212
; NumSgprs: 26
; NumVgprs: 118
; ScratchSize: 0
; MemoryBound: 0
; FloatMode: 240
; IeeeMode: 1
; LDSByteSize: 8192 bytes/workgroup (compile time only)
; SGPRBlocks: 3
; VGPRBlocks: 14
; NumSGPRsForWavesPerEU: 26
; NumVGPRsForWavesPerEU: 118
; Occupancy: 12
; WaveLimiterHint : 1
; COMPUTE_PGM_RSRC2:SCRATCH_EN: 0
; COMPUTE_PGM_RSRC2:USER_SGPR: 13
; COMPUTE_PGM_RSRC2:TRAP_HANDLER: 0
; COMPUTE_PGM_RSRC2:TGID_X_EN: 1
; COMPUTE_PGM_RSRC2:TGID_Y_EN: 1
; COMPUTE_PGM_RSRC2:TGID_Z_EN: 1
; COMPUTE_PGM_RSRC2:TIDIG_COMP_CNT: 1
	.section	.text._ZL37rocblas_syrkx_herkx_restricted_kernelIl19rocblas_complex_numIdELi16ELi32ELi8ELb1ELb1ELc84ELc85EKPKS1_KPS1_EviT_T0_PT8_S7_lSA_S7_lS8_PT9_S7_li,"axG",@progbits,_ZL37rocblas_syrkx_herkx_restricted_kernelIl19rocblas_complex_numIdELi16ELi32ELi8ELb1ELb1ELc84ELc85EKPKS1_KPS1_EviT_T0_PT8_S7_lSA_S7_lS8_PT9_S7_li,comdat
	.globl	_ZL37rocblas_syrkx_herkx_restricted_kernelIl19rocblas_complex_numIdELi16ELi32ELi8ELb1ELb1ELc84ELc85EKPKS1_KPS1_EviT_T0_PT8_S7_lSA_S7_lS8_PT9_S7_li ; -- Begin function _ZL37rocblas_syrkx_herkx_restricted_kernelIl19rocblas_complex_numIdELi16ELi32ELi8ELb1ELb1ELc84ELc85EKPKS1_KPS1_EviT_T0_PT8_S7_lSA_S7_lS8_PT9_S7_li
	.p2align	8
	.type	_ZL37rocblas_syrkx_herkx_restricted_kernelIl19rocblas_complex_numIdELi16ELi32ELi8ELb1ELb1ELc84ELc85EKPKS1_KPS1_EviT_T0_PT8_S7_lSA_S7_lS8_PT9_S7_li,@function
_ZL37rocblas_syrkx_herkx_restricted_kernelIl19rocblas_complex_numIdELi16ELi32ELi8ELb1ELb1ELc84ELc85EKPKS1_KPS1_EviT_T0_PT8_S7_lSA_S7_lS8_PT9_S7_li: ; @_ZL37rocblas_syrkx_herkx_restricted_kernelIl19rocblas_complex_numIdELi16ELi32ELi8ELb1ELb1ELc84ELc85EKPKS1_KPS1_EviT_T0_PT8_S7_lSA_S7_lS8_PT9_S7_li
; %bb.0:
	s_clause 0x1
	s_load_b128 s[16:19], s[0:1], 0x60
	s_load_b256 s[4:11], s[0:1], 0x8
	s_mov_b32 s2, s15
	s_mov_b32 s3, 0
	v_mov_b32_e32 v16, 0
	s_lshl_b64 s[20:21], s[2:3], 3
	v_dual_mov_b32 v17, 0 :: v_dual_and_b32 v20, 0x3ff, v0
	v_bfe_u32 v21, v0, 10, 10
	s_delay_alu instid0(VALU_DEP_3) | instskip(NEXT) | instid1(VALU_DEP_3)
	v_mov_b32_e32 v12, v16
	v_dual_mov_b32 v14, v16 :: v_dual_mov_b32 v15, v17
	v_dual_mov_b32 v19, v17 :: v_dual_mov_b32 v18, v16
	;; [unrolled: 1-line block ×5, first 2 shown]
	v_mov_b32_e32 v7, v17
	s_waitcnt lgkmcnt(0)
	s_add_u32 s2, s16, s20
	s_addc_u32 s3, s17, s21
	s_load_b64 s[16:17], s[0:1], 0x28
	s_load_b64 s[2:3], s[2:3], 0x0
	v_cmp_lt_i64_e64 s12, s[4:5], 1
	v_dual_mov_b32 v4, v16 :: v_dual_mov_b32 v5, v17
	s_lshl_b32 s22, s13, 5
	s_lshl_b32 s23, s14, 5
	s_delay_alu instid0(VALU_DEP_2)
	s_and_b32 vcc_lo, exec_lo, s12
	s_cbranch_vccnz .LBB1800_3
; %bb.1:
	v_lshl_add_u32 v2, v21, 4, v20
	s_load_b128 s[12:15], s[0:1], 0x38
	v_dual_mov_b32 v1, 0 :: v_dual_and_b32 v0, 7, v20
	s_add_u32 s10, s10, s20
	s_delay_alu instid0(VALU_DEP_2)
	v_and_b32_e32 v9, 31, v2
	v_lshrrev_b32_e32 v8, 3, v2
	v_lshrrev_b32_e32 v2, 5, v2
	s_addc_u32 s11, s11, s21
	v_lshl_add_u32 v23, v21, 7, 0x1000
	v_add_nc_u32_e32 v6, s22, v9
	v_dual_mov_b32 v3, v1 :: v_dual_add_nc_u32 v10, s23, v8
	s_load_b64 s[10:11], s[10:11], 0x0
	s_delay_alu instid0(VALU_DEP_2) | instskip(NEXT) | instid1(VALU_DEP_2)
	v_ashrrev_i32_e32 v11, 31, v6
	v_ashrrev_i32_e32 v7, 31, v10
	s_waitcnt lgkmcnt(0)
	v_mad_u64_u32 v[4:5], null, s16, v6, v[2:3]
	v_mul_lo_u32 v3, s17, v6
	v_mul_lo_u32 v11, s16, v11
	s_add_u32 s12, s12, s20
	s_addc_u32 s13, s13, s21
	v_mul_lo_u32 v12, v7, s14
	s_load_b64 s[12:13], s[12:13], 0x0
	v_mul_lo_u32 v13, v10, s15
	v_mad_u64_u32 v[6:7], null, v10, s14, v[0:1]
	v_lshlrev_b32_e32 v0, 4, v0
	v_add3_u32 v5, v3, v5, v11
	s_delay_alu instid0(VALU_DEP_2) | instskip(NEXT) | instid1(VALU_DEP_2)
	v_lshl_or_b32 v8, v8, 7, v0
	v_lshlrev_b64 v[0:1], 4, v[4:5]
	v_mov_b32_e32 v4, 0
	v_add3_u32 v7, v12, v7, v13
	v_mov_b32_e32 v5, 0
	v_lshlrev_b32_e32 v3, 4, v9
	v_lshlrev_b32_e32 v22, 4, v20
	v_add_co_u32 v0, vcc_lo, v0, s10
	s_delay_alu instid0(VALU_DEP_4) | instskip(NEXT) | instid1(VALU_DEP_4)
	v_mov_b32_e32 v11, v5
	v_lshl_or_b32 v24, v2, 9, v3
	v_lshlrev_b64 v[2:3], 4, v[6:7]
	v_add_co_ci_u32_e32 v1, vcc_lo, s11, v1, vcc_lo
	v_mov_b32_e32 v7, v5
	v_dual_mov_b32 v10, v4 :: v_dual_add_nc_u32 v25, 0x1000, v8
	s_waitcnt lgkmcnt(0)
	s_delay_alu instid0(VALU_DEP_4) | instskip(SKIP_3) | instid1(VALU_DEP_4)
	v_add_co_u32 v2, vcc_lo, v2, s12
	v_add_co_ci_u32_e32 v3, vcc_lo, s13, v3, vcc_lo
	v_add_co_u32 v0, vcc_lo, v0, 8
	v_add_co_ci_u32_e32 v1, vcc_lo, 0, v1, vcc_lo
	v_add_co_u32 v2, vcc_lo, v2, 8
	s_delay_alu instid0(VALU_DEP_4)
	v_add_co_ci_u32_e32 v3, vcc_lo, 0, v3, vcc_lo
	v_dual_mov_b32 v6, v4 :: v_dual_mov_b32 v9, v5
	v_dual_mov_b32 v8, v4 :: v_dual_mov_b32 v15, v5
	;; [unrolled: 1-line block ×5, first 2 shown]
	v_mov_b32_e32 v16, v4
	s_mov_b64 s[10:11], 0
.LBB1800_2:                             ; =>This Inner Loop Header: Depth=1
	global_load_b128 v[26:29], v[0:1], off offset:-8
	global_load_b128 v[30:33], v[2:3], off offset:-8
	s_add_u32 s10, s10, 8
	v_add_co_u32 v0, vcc_lo, 0x80, v0
	s_addc_u32 s11, s11, 0
	v_add_co_ci_u32_e32 v1, vcc_lo, 0, v1, vcc_lo
	v_cmp_ge_u64_e64 s12, s[10:11], s[4:5]
	v_add_co_u32 v2, vcc_lo, 0x80, v2
	v_add_co_ci_u32_e32 v3, vcc_lo, 0, v3, vcc_lo
	s_waitcnt vmcnt(1)
	ds_store_b128 v24, v[26:29]
	s_waitcnt vmcnt(0)
	ds_store_b128 v25, v[30:33]
	s_waitcnt lgkmcnt(0)
	s_barrier
	buffer_gl0_inv
	ds_load_b128 v[26:29], v23
	ds_load_b128 v[30:33], v22
	ds_load_b128 v[34:37], v22 offset:256
	ds_load_b128 v[38:41], v23 offset:2048
	;; [unrolled: 1-line block ×13, first 2 shown]
	s_and_b32 vcc_lo, exec_lo, s12
	s_waitcnt lgkmcnt(13)
	v_mul_f64 v[86:87], v[28:29], v[32:33]
	v_mul_f64 v[88:89], v[26:27], v[32:33]
	s_waitcnt lgkmcnt(12)
	v_mul_f64 v[90:91], v[28:29], v[36:37]
	v_mul_f64 v[92:93], v[26:27], v[36:37]
	;; [unrolled: 3-line block ×3, first 2 shown]
	v_mul_f64 v[96:97], v[40:41], v[36:37]
	v_mul_f64 v[36:37], v[38:39], v[36:37]
	s_waitcnt lgkmcnt(8)
	v_mul_f64 v[98:99], v[44:45], v[52:53]
	v_mul_f64 v[100:101], v[42:43], v[52:53]
	s_waitcnt lgkmcnt(7)
	v_mul_f64 v[102:103], v[44:45], v[56:57]
	v_mul_f64 v[104:105], v[42:43], v[56:57]
	;; [unrolled: 1-line block ×6, first 2 shown]
	s_waitcnt lgkmcnt(3)
	v_mul_f64 v[112:113], v[58:59], v[72:73]
	s_waitcnt lgkmcnt(2)
	v_mul_f64 v[114:115], v[76:77], v[68:69]
	v_mul_f64 v[116:117], v[76:77], v[72:73]
	v_fma_f64 v[86:87], v[26:27], v[30:31], -v[86:87]
	v_fma_f64 v[88:89], v[28:29], v[30:31], v[88:89]
	v_fma_f64 v[90:91], v[26:27], v[34:35], -v[90:91]
	v_fma_f64 v[92:93], v[28:29], v[34:35], v[92:93]
	;; [unrolled: 2-line block ×4, first 2 shown]
	v_mul_f64 v[36:37], v[60:61], v[68:69]
	v_mul_f64 v[40:41], v[58:59], v[68:69]
	;; [unrolled: 1-line block ×5, first 2 shown]
	v_fma_f64 v[98:99], v[42:43], v[50:51], -v[98:99]
	v_fma_f64 v[100:101], v[44:45], v[50:51], v[100:101]
	v_fma_f64 v[42:43], v[42:43], v[54:55], -v[102:103]
	v_fma_f64 v[44:45], v[44:45], v[54:55], v[104:105]
	;; [unrolled: 2-line block ×4, first 2 shown]
	ds_load_b128 v[26:29], v22 offset:1792
	ds_load_b128 v[30:33], v22 offset:2048
	s_waitcnt lgkmcnt(2)
	v_mul_f64 v[56:57], v[64:65], v[84:85]
	v_add_f64 v[16:17], v[16:17], v[86:87]
	v_add_f64 v[18:19], v[18:19], v[88:89]
	;; [unrolled: 1-line block ×8, first 2 shown]
	v_mul_f64 v[86:87], v[62:63], v[84:85]
	s_waitcnt lgkmcnt(1)
	v_mul_f64 v[88:89], v[64:65], v[28:29]
	v_mul_f64 v[90:91], v[62:63], v[28:29]
	;; [unrolled: 1-line block ×6, first 2 shown]
	v_fma_f64 v[104:105], v[58:59], v[66:67], -v[36:37]
	v_fma_f64 v[106:107], v[60:61], v[66:67], v[40:41]
	v_fma_f64 v[58:59], v[58:59], v[70:71], -v[96:97]
	v_fma_f64 v[60:61], v[60:61], v[70:71], v[112:113]
	;; [unrolled: 2-line block ×4, first 2 shown]
	ds_load_b128 v[4:7], v22 offset:2304
	ds_load_b128 v[8:11], v23 offset:64
	v_fma_f64 v[56:57], v[62:63], v[82:83], -v[56:57]
	v_add_f64 v[72:73], v[16:17], v[98:99]
	v_add_f64 v[74:75], v[18:19], v[100:101]
	;; [unrolled: 1-line block ×8, first 2 shown]
	ds_load_b128 v[12:15], v23 offset:2112
	ds_load_b128 v[16:19], v23 offset:80
	;; [unrolled: 1-line block ×4, first 2 shown]
	s_waitcnt lgkmcnt(4)
	v_mul_f64 v[54:55], v[10:11], v[32:33]
	v_mul_f64 v[76:77], v[8:9], v[32:33]
	;; [unrolled: 1-line block ×4, first 2 shown]
	v_fma_f64 v[86:87], v[64:65], v[82:83], v[86:87]
	v_fma_f64 v[62:63], v[62:63], v[26:27], -v[88:89]
	v_fma_f64 v[64:65], v[64:65], v[26:27], v[90:91]
	v_fma_f64 v[88:89], v[78:79], v[82:83], -v[92:93]
	;; [unrolled: 2-line block ×3, first 2 shown]
	v_fma_f64 v[80:81], v[80:81], v[26:27], v[28:29]
	s_waitcnt lgkmcnt(3)
	v_mul_f64 v[102:103], v[14:15], v[32:33]
	v_mul_f64 v[32:33], v[12:13], v[32:33]
	;; [unrolled: 1-line block ×4, first 2 shown]
	s_waitcnt lgkmcnt(0)
	v_mul_f64 v[90:91], v[18:19], v[40:41]
	v_mul_f64 v[92:93], v[16:17], v[40:41]
	v_add_f64 v[72:73], v[72:73], v[104:105]
	v_add_f64 v[74:75], v[74:75], v[106:107]
	;; [unrolled: 1-line block ×8, first 2 shown]
	ds_load_b128 v[26:29], v22 offset:2816
	ds_load_b128 v[42:45], v22 offset:3072
	;; [unrolled: 1-line block ×4, first 2 shown]
	v_mul_f64 v[104:105], v[36:37], v[40:41]
	v_mul_f64 v[40:41], v[34:35], v[40:41]
	v_fma_f64 v[54:55], v[8:9], v[30:31], -v[54:55]
	v_fma_f64 v[76:77], v[10:11], v[30:31], v[76:77]
	v_fma_f64 v[98:99], v[8:9], v[4:5], -v[98:99]
	v_fma_f64 v[100:101], v[10:11], v[4:5], v[100:101]
	s_waitcnt lgkmcnt(3)
	v_mul_f64 v[94:95], v[18:19], v[28:29]
	v_mul_f64 v[96:97], v[16:17], v[28:29]
	v_mul_f64 v[106:107], v[36:37], v[28:29]
	v_mul_f64 v[110:111], v[34:35], v[28:29]
	v_fma_f64 v[102:103], v[12:13], v[30:31], -v[102:103]
	v_fma_f64 v[32:33], v[14:15], v[30:31], v[32:33]
	v_fma_f64 v[108:109], v[12:13], v[4:5], -v[108:109]
	v_fma_f64 v[112:113], v[14:15], v[4:5], v[6:7]
	ds_load_b128 v[4:7], v23 offset:2144
	ds_load_b128 v[8:11], v23 offset:112
	;; [unrolled: 1-line block ×4, first 2 shown]
	v_add_f64 v[56:57], v[72:73], v[56:57]
	v_add_f64 v[72:73], v[74:75], v[86:87]
	v_add_f64 v[58:59], v[58:59], v[62:63]
	v_add_f64 v[60:61], v[60:61], v[64:65]
	v_add_f64 v[62:63], v[84:85], v[88:89]
	v_add_f64 v[64:65], v[66:67], v[82:83]
	v_add_f64 v[66:67], v[68:69], v[78:79]
	v_add_f64 v[68:69], v[70:71], v[80:81]
	s_waitcnt lgkmcnt(4)
	v_mul_f64 v[70:71], v[52:53], v[44:45]
	v_mul_f64 v[74:75], v[50:51], v[44:45]
	;; [unrolled: 1-line block ×4, first 2 shown]
	s_waitcnt lgkmcnt(3)
	v_mul_f64 v[82:83], v[6:7], v[44:45]
	v_mul_f64 v[44:45], v[4:5], v[44:45]
	;; [unrolled: 1-line block ×4, first 2 shown]
	v_fma_f64 v[86:87], v[16:17], v[38:39], -v[90:91]
	v_fma_f64 v[88:89], v[18:19], v[38:39], v[92:93]
	v_fma_f64 v[90:91], v[16:17], v[26:27], -v[94:95]
	v_fma_f64 v[92:93], v[18:19], v[26:27], v[96:97]
	;; [unrolled: 2-line block ×4, first 2 shown]
	ds_load_b128 v[16:19], v22 offset:3840
	s_waitcnt lgkmcnt(0)
	s_barrier
	buffer_gl0_inv
	v_add_f64 v[36:37], v[56:57], v[54:55]
	v_add_f64 v[40:41], v[72:73], v[76:77]
	;; [unrolled: 1-line block ×8, first 2 shown]
	v_mul_f64 v[64:65], v[10:11], v[30:31]
	v_mul_f64 v[66:67], v[8:9], v[30:31]
	;; [unrolled: 1-line block ×4, first 2 shown]
	v_fma_f64 v[70:71], v[50:51], v[42:43], -v[70:71]
	v_mul_f64 v[68:69], v[10:11], v[18:19]
	v_mul_f64 v[72:73], v[8:9], v[18:19]
	;; [unrolled: 1-line block ×4, first 2 shown]
	v_fma_f64 v[74:75], v[52:53], v[42:43], v[74:75]
	v_fma_f64 v[50:51], v[50:51], v[46:47], -v[78:79]
	v_fma_f64 v[52:53], v[52:53], v[46:47], v[80:81]
	v_fma_f64 v[78:79], v[4:5], v[42:43], -v[82:83]
	;; [unrolled: 2-line block ×3, first 2 shown]
	v_fma_f64 v[6:7], v[6:7], v[46:47], v[48:49]
	v_add_f64 v[36:37], v[36:37], v[86:87]
	v_add_f64 v[40:41], v[40:41], v[88:89]
	;; [unrolled: 1-line block ×8, first 2 shown]
	v_fma_f64 v[38:39], v[8:9], v[28:29], -v[64:65]
	v_fma_f64 v[54:55], v[10:11], v[28:29], v[66:67]
	v_fma_f64 v[56:57], v[12:13], v[28:29], -v[76:77]
	v_fma_f64 v[28:29], v[14:15], v[28:29], v[30:31]
	;; [unrolled: 2-line block ×4, first 2 shown]
	v_add_f64 v[12:13], v[36:37], v[70:71]
	v_add_f64 v[14:15], v[40:41], v[74:75]
	;; [unrolled: 1-line block ×16, first 2 shown]
	s_cbranch_vccz .LBB1800_2
.LBB1800_3:
	v_add_nc_u32_e32 v21, s23, v21
	s_load_b32 s4, s[0:1], 0x0
	s_delay_alu instid0(VALU_DEP_1) | instskip(SKIP_2) | instid1(VALU_DEP_3)
	v_ashrrev_i32_e32 v0, 31, v21
	v_mul_lo_u32 v3, v21, s19
	v_mad_u64_u32 v[1:2], null, v21, s18, 0
	v_mul_lo_u32 v0, v0, s18
	s_delay_alu instid0(VALU_DEP_1) | instskip(SKIP_3) | instid1(VALU_DEP_3)
	v_add3_u32 v2, v2, v3, v0
	v_add_nc_u32_e32 v0, s22, v20
	s_waitcnt lgkmcnt(0)
	v_cmp_gt_i32_e32 vcc_lo, s4, v21
	v_lshlrev_b64 v[1:2], 4, v[1:2]
	s_delay_alu instid0(VALU_DEP_3) | instskip(NEXT) | instid1(VALU_DEP_1)
	v_cmp_le_i32_e64 s0, v0, v21
	s_and_b32 s0, vcc_lo, s0
	s_delay_alu instid0(VALU_DEP_2) | instskip(NEXT) | instid1(VALU_DEP_1)
	v_add_co_u32 v20, s1, s2, v1
	v_add_co_ci_u32_e64 v22, s1, s3, v2, s1
	s_and_saveexec_b32 s5, s0
	s_cbranch_execz .LBB1800_5
; %bb.4:
	v_mul_f64 v[1:2], s[6:7], v[18:19]
	v_mul_f64 v[18:19], s[8:9], v[18:19]
	v_cmp_ne_u32_e64 s0, v21, v0
	s_delay_alu instid0(VALU_DEP_3) | instskip(NEXT) | instid1(VALU_DEP_3)
	v_fma_f64 v[2:3], s[8:9], v[16:17], v[1:2]
	v_fma_f64 v[16:17], s[6:7], v[16:17], -v[18:19]
	v_ashrrev_i32_e32 v1, 31, v0
	s_delay_alu instid0(VALU_DEP_1) | instskip(NEXT) | instid1(VALU_DEP_1)
	v_lshlrev_b64 v[18:19], 4, v[0:1]
	v_add_co_u32 v23, s1, v20, v18
	s_delay_alu instid0(VALU_DEP_1)
	v_add_co_ci_u32_e64 v24, s1, v22, v19, s1
	v_cndmask_b32_e64 v19, 0, v3, s0
	v_cndmask_b32_e64 v18, 0, v2, s0
	global_store_b128 v[23:24], v[16:19], off
.LBB1800_5:
	s_or_b32 exec_lo, exec_lo, s5
	v_add_nc_u32_e32 v2, 16, v0
	s_delay_alu instid0(VALU_DEP_1) | instskip(NEXT) | instid1(VALU_DEP_1)
	v_cmp_le_i32_e64 s0, v2, v21
	s_and_b32 s0, vcc_lo, s0
	s_delay_alu instid0(SALU_CYCLE_1)
	s_and_saveexec_b32 s1, s0
	s_cbranch_execz .LBB1800_7
; %bb.6:
	v_mul_f64 v[16:17], s[6:7], v[14:15]
	v_mul_f64 v[14:15], s[8:9], v[14:15]
	v_ashrrev_i32_e32 v3, 31, v2
	v_cmp_ne_u32_e32 vcc_lo, v21, v2
	s_delay_alu instid0(VALU_DEP_4) | instskip(NEXT) | instid1(VALU_DEP_4)
	v_fma_f64 v[16:17], s[8:9], v[12:13], v[16:17]
	v_fma_f64 v[12:13], s[6:7], v[12:13], -v[14:15]
	s_delay_alu instid0(VALU_DEP_4) | instskip(NEXT) | instid1(VALU_DEP_1)
	v_lshlrev_b64 v[14:15], 4, v[2:3]
	v_add_co_u32 v18, s0, v20, v14
	s_delay_alu instid0(VALU_DEP_1)
	v_add_co_ci_u32_e64 v19, s0, v22, v15, s0
	v_dual_cndmask_b32 v15, 0, v17 :: v_dual_cndmask_b32 v14, 0, v16
	global_store_b128 v[18:19], v[12:15], off
.LBB1800_7:
	s_or_b32 exec_lo, exec_lo, s1
	v_add_nc_u32_e32 v3, 16, v21
	s_delay_alu instid0(VALU_DEP_1) | instskip(SKIP_3) | instid1(VALU_DEP_4)
	v_ashrrev_i32_e32 v1, 31, v3
	v_mul_lo_u32 v14, v3, s19
	v_mad_u64_u32 v[12:13], null, v3, s18, 0
	v_cmp_gt_i32_e32 vcc_lo, s4, v3
	v_mul_lo_u32 v1, v1, s18
	v_cmp_le_i32_e64 s0, v0, v3
	s_delay_alu instid0(VALU_DEP_1) | instskip(NEXT) | instid1(VALU_DEP_2)
	s_and_b32 s0, vcc_lo, s0
	v_add3_u32 v13, v13, v14, v1
	s_delay_alu instid0(VALU_DEP_1) | instskip(NEXT) | instid1(VALU_DEP_1)
	v_lshlrev_b64 v[12:13], 4, v[12:13]
	v_add_co_u32 v12, s1, s2, v12
	s_delay_alu instid0(VALU_DEP_1)
	v_add_co_ci_u32_e64 v13, s1, s3, v13, s1
	s_and_saveexec_b32 s2, s0
	s_cbranch_execz .LBB1800_9
; %bb.8:
	v_mul_f64 v[14:15], s[6:7], v[10:11]
	v_mul_f64 v[10:11], s[8:9], v[10:11]
	v_ashrrev_i32_e32 v1, 31, v0
	v_cmp_ne_u32_e64 s0, v3, v0
	s_delay_alu instid0(VALU_DEP_4) | instskip(NEXT) | instid1(VALU_DEP_4)
	v_fma_f64 v[14:15], s[8:9], v[8:9], v[14:15]
	v_fma_f64 v[8:9], s[6:7], v[8:9], -v[10:11]
	s_delay_alu instid0(VALU_DEP_4) | instskip(NEXT) | instid1(VALU_DEP_1)
	v_lshlrev_b64 v[10:11], 4, v[0:1]
	v_add_co_u32 v16, s1, v12, v10
	s_delay_alu instid0(VALU_DEP_1)
	v_add_co_ci_u32_e64 v17, s1, v13, v11, s1
	v_cndmask_b32_e64 v11, 0, v15, s0
	v_cndmask_b32_e64 v10, 0, v14, s0
	global_store_b128 v[16:17], v[8:11], off
.LBB1800_9:
	s_or_b32 exec_lo, exec_lo, s2
	v_cmp_le_i32_e64 s0, v2, v3
	s_delay_alu instid0(VALU_DEP_1) | instskip(NEXT) | instid1(SALU_CYCLE_1)
	s_and_b32 s0, vcc_lo, s0
	s_and_saveexec_b32 s1, s0
	s_cbranch_execz .LBB1800_11
; %bb.10:
	v_mul_f64 v[8:9], s[6:7], v[4:5]
	v_mul_f64 v[3:4], s[8:9], v[4:5]
	v_cmp_ne_u32_e32 vcc_lo, v21, v0
	s_delay_alu instid0(VALU_DEP_3) | instskip(NEXT) | instid1(VALU_DEP_3)
	v_fma_f64 v[8:9], s[8:9], v[6:7], v[8:9]
	v_fma_f64 v[4:5], s[6:7], v[6:7], -v[3:4]
	v_ashrrev_i32_e32 v3, 31, v2
	s_delay_alu instid0(VALU_DEP_1) | instskip(NEXT) | instid1(VALU_DEP_1)
	v_lshlrev_b64 v[1:2], 4, v[2:3]
	v_add_co_u32 v0, s0, v12, v1
	s_delay_alu instid0(VALU_DEP_1)
	v_add_co_ci_u32_e64 v1, s0, v13, v2, s0
	v_dual_cndmask_b32 v7, 0, v9 :: v_dual_cndmask_b32 v6, 0, v8
	global_store_b128 v[0:1], v[4:7], off
.LBB1800_11:
	s_nop 0
	s_sendmsg sendmsg(MSG_DEALLOC_VGPRS)
	s_endpgm
	.section	.rodata,"a",@progbits
	.p2align	6, 0x0
	.amdhsa_kernel _ZL37rocblas_syrkx_herkx_restricted_kernelIl19rocblas_complex_numIdELi16ELi32ELi8ELb1ELb1ELc84ELc85EKPKS1_KPS1_EviT_T0_PT8_S7_lSA_S7_lS8_PT9_S7_li
		.amdhsa_group_segment_fixed_size 8192
		.amdhsa_private_segment_fixed_size 0
		.amdhsa_kernarg_size 124
		.amdhsa_user_sgpr_count 13
		.amdhsa_user_sgpr_dispatch_ptr 0
		.amdhsa_user_sgpr_queue_ptr 0
		.amdhsa_user_sgpr_kernarg_segment_ptr 1
		.amdhsa_user_sgpr_dispatch_id 0
		.amdhsa_user_sgpr_private_segment_size 0
		.amdhsa_wavefront_size32 1
		.amdhsa_uses_dynamic_stack 0
		.amdhsa_enable_private_segment 0
		.amdhsa_system_sgpr_workgroup_id_x 1
		.amdhsa_system_sgpr_workgroup_id_y 1
		.amdhsa_system_sgpr_workgroup_id_z 1
		.amdhsa_system_sgpr_workgroup_info 0
		.amdhsa_system_vgpr_workitem_id 1
		.amdhsa_next_free_vgpr 118
		.amdhsa_next_free_sgpr 24
		.amdhsa_reserve_vcc 1
		.amdhsa_float_round_mode_32 0
		.amdhsa_float_round_mode_16_64 0
		.amdhsa_float_denorm_mode_32 3
		.amdhsa_float_denorm_mode_16_64 3
		.amdhsa_dx10_clamp 1
		.amdhsa_ieee_mode 1
		.amdhsa_fp16_overflow 0
		.amdhsa_workgroup_processor_mode 1
		.amdhsa_memory_ordered 1
		.amdhsa_forward_progress 0
		.amdhsa_shared_vgpr_count 0
		.amdhsa_exception_fp_ieee_invalid_op 0
		.amdhsa_exception_fp_denorm_src 0
		.amdhsa_exception_fp_ieee_div_zero 0
		.amdhsa_exception_fp_ieee_overflow 0
		.amdhsa_exception_fp_ieee_underflow 0
		.amdhsa_exception_fp_ieee_inexact 0
		.amdhsa_exception_int_div_zero 0
	.end_amdhsa_kernel
	.section	.text._ZL37rocblas_syrkx_herkx_restricted_kernelIl19rocblas_complex_numIdELi16ELi32ELi8ELb1ELb1ELc84ELc85EKPKS1_KPS1_EviT_T0_PT8_S7_lSA_S7_lS8_PT9_S7_li,"axG",@progbits,_ZL37rocblas_syrkx_herkx_restricted_kernelIl19rocblas_complex_numIdELi16ELi32ELi8ELb1ELb1ELc84ELc85EKPKS1_KPS1_EviT_T0_PT8_S7_lSA_S7_lS8_PT9_S7_li,comdat
.Lfunc_end1800:
	.size	_ZL37rocblas_syrkx_herkx_restricted_kernelIl19rocblas_complex_numIdELi16ELi32ELi8ELb1ELb1ELc84ELc85EKPKS1_KPS1_EviT_T0_PT8_S7_lSA_S7_lS8_PT9_S7_li, .Lfunc_end1800-_ZL37rocblas_syrkx_herkx_restricted_kernelIl19rocblas_complex_numIdELi16ELi32ELi8ELb1ELb1ELc84ELc85EKPKS1_KPS1_EviT_T0_PT8_S7_lSA_S7_lS8_PT9_S7_li
                                        ; -- End function
	.section	.AMDGPU.csdata,"",@progbits
; Kernel info:
; codeLenInByte = 3212
; NumSgprs: 26
; NumVgprs: 118
; ScratchSize: 0
; MemoryBound: 0
; FloatMode: 240
; IeeeMode: 1
; LDSByteSize: 8192 bytes/workgroup (compile time only)
; SGPRBlocks: 3
; VGPRBlocks: 14
; NumSGPRsForWavesPerEU: 26
; NumVGPRsForWavesPerEU: 118
; Occupancy: 12
; WaveLimiterHint : 1
; COMPUTE_PGM_RSRC2:SCRATCH_EN: 0
; COMPUTE_PGM_RSRC2:USER_SGPR: 13
; COMPUTE_PGM_RSRC2:TRAP_HANDLER: 0
; COMPUTE_PGM_RSRC2:TGID_X_EN: 1
; COMPUTE_PGM_RSRC2:TGID_Y_EN: 1
; COMPUTE_PGM_RSRC2:TGID_Z_EN: 1
; COMPUTE_PGM_RSRC2:TIDIG_COMP_CNT: 1
	.section	.text._ZL37rocblas_syrkx_herkx_restricted_kernelIl19rocblas_complex_numIdELi16ELi32ELi8ELb1ELb1ELc67ELc85EKPKS1_KPS1_EviT_T0_PT8_S7_lSA_S7_lS8_PT9_S7_li,"axG",@progbits,_ZL37rocblas_syrkx_herkx_restricted_kernelIl19rocblas_complex_numIdELi16ELi32ELi8ELb1ELb1ELc67ELc85EKPKS1_KPS1_EviT_T0_PT8_S7_lSA_S7_lS8_PT9_S7_li,comdat
	.globl	_ZL37rocblas_syrkx_herkx_restricted_kernelIl19rocblas_complex_numIdELi16ELi32ELi8ELb1ELb1ELc67ELc85EKPKS1_KPS1_EviT_T0_PT8_S7_lSA_S7_lS8_PT9_S7_li ; -- Begin function _ZL37rocblas_syrkx_herkx_restricted_kernelIl19rocblas_complex_numIdELi16ELi32ELi8ELb1ELb1ELc67ELc85EKPKS1_KPS1_EviT_T0_PT8_S7_lSA_S7_lS8_PT9_S7_li
	.p2align	8
	.type	_ZL37rocblas_syrkx_herkx_restricted_kernelIl19rocblas_complex_numIdELi16ELi32ELi8ELb1ELb1ELc67ELc85EKPKS1_KPS1_EviT_T0_PT8_S7_lSA_S7_lS8_PT9_S7_li,@function
_ZL37rocblas_syrkx_herkx_restricted_kernelIl19rocblas_complex_numIdELi16ELi32ELi8ELb1ELb1ELc67ELc85EKPKS1_KPS1_EviT_T0_PT8_S7_lSA_S7_lS8_PT9_S7_li: ; @_ZL37rocblas_syrkx_herkx_restricted_kernelIl19rocblas_complex_numIdELi16ELi32ELi8ELb1ELb1ELc67ELc85EKPKS1_KPS1_EviT_T0_PT8_S7_lSA_S7_lS8_PT9_S7_li
; %bb.0:
	s_clause 0x1
	s_load_b128 s[16:19], s[0:1], 0x60
	s_load_b256 s[4:11], s[0:1], 0x8
	s_mov_b32 s2, s15
	s_mov_b32 s3, 0
	v_mov_b32_e32 v16, 0
	s_lshl_b64 s[20:21], s[2:3], 3
	v_dual_mov_b32 v17, 0 :: v_dual_and_b32 v20, 0x3ff, v0
	v_bfe_u32 v21, v0, 10, 10
	s_delay_alu instid0(VALU_DEP_3) | instskip(NEXT) | instid1(VALU_DEP_3)
	v_mov_b32_e32 v12, v16
	v_dual_mov_b32 v14, v16 :: v_dual_mov_b32 v15, v17
	v_dual_mov_b32 v19, v17 :: v_dual_mov_b32 v18, v16
	;; [unrolled: 1-line block ×5, first 2 shown]
	v_mov_b32_e32 v7, v17
	s_waitcnt lgkmcnt(0)
	s_add_u32 s2, s16, s20
	s_addc_u32 s3, s17, s21
	s_load_b64 s[16:17], s[0:1], 0x28
	s_load_b64 s[2:3], s[2:3], 0x0
	v_cmp_lt_i64_e64 s12, s[4:5], 1
	v_dual_mov_b32 v4, v16 :: v_dual_mov_b32 v5, v17
	s_lshl_b32 s22, s13, 5
	s_lshl_b32 s23, s14, 5
	s_delay_alu instid0(VALU_DEP_2)
	s_and_b32 vcc_lo, exec_lo, s12
	s_cbranch_vccnz .LBB1801_3
; %bb.1:
	v_lshl_add_u32 v2, v21, 4, v20
	s_load_b128 s[12:15], s[0:1], 0x38
	v_dual_mov_b32 v1, 0 :: v_dual_and_b32 v0, 7, v20
	s_add_u32 s10, s10, s20
	s_delay_alu instid0(VALU_DEP_2)
	v_and_b32_e32 v9, 31, v2
	v_lshrrev_b32_e32 v8, 3, v2
	v_lshrrev_b32_e32 v2, 5, v2
	s_addc_u32 s11, s11, s21
	v_lshl_add_u32 v23, v21, 7, 0x1000
	v_add_nc_u32_e32 v6, s22, v9
	v_dual_mov_b32 v3, v1 :: v_dual_add_nc_u32 v10, s23, v8
	s_load_b64 s[10:11], s[10:11], 0x0
	s_delay_alu instid0(VALU_DEP_2) | instskip(NEXT) | instid1(VALU_DEP_2)
	v_ashrrev_i32_e32 v11, 31, v6
	v_ashrrev_i32_e32 v7, 31, v10
	s_waitcnt lgkmcnt(0)
	v_mad_u64_u32 v[4:5], null, s16, v6, v[2:3]
	v_mul_lo_u32 v3, s17, v6
	v_mul_lo_u32 v11, s16, v11
	s_add_u32 s12, s12, s20
	s_addc_u32 s13, s13, s21
	v_mul_lo_u32 v12, v7, s14
	s_load_b64 s[12:13], s[12:13], 0x0
	v_mul_lo_u32 v13, v10, s15
	v_mad_u64_u32 v[6:7], null, v10, s14, v[0:1]
	v_lshlrev_b32_e32 v0, 4, v0
	v_add3_u32 v5, v3, v5, v11
	s_delay_alu instid0(VALU_DEP_2) | instskip(NEXT) | instid1(VALU_DEP_2)
	v_lshl_or_b32 v8, v8, 7, v0
	v_lshlrev_b64 v[0:1], 4, v[4:5]
	v_mov_b32_e32 v4, 0
	v_add3_u32 v7, v12, v7, v13
	v_mov_b32_e32 v5, 0
	v_lshlrev_b32_e32 v3, 4, v9
	v_lshlrev_b32_e32 v22, 4, v20
	v_add_co_u32 v0, vcc_lo, v0, s10
	s_delay_alu instid0(VALU_DEP_4) | instskip(NEXT) | instid1(VALU_DEP_4)
	v_mov_b32_e32 v11, v5
	v_lshl_or_b32 v24, v2, 9, v3
	v_lshlrev_b64 v[2:3], 4, v[6:7]
	v_add_co_ci_u32_e32 v1, vcc_lo, s11, v1, vcc_lo
	v_mov_b32_e32 v7, v5
	v_dual_mov_b32 v10, v4 :: v_dual_add_nc_u32 v25, 0x1000, v8
	s_waitcnt lgkmcnt(0)
	s_delay_alu instid0(VALU_DEP_4) | instskip(SKIP_3) | instid1(VALU_DEP_4)
	v_add_co_u32 v2, vcc_lo, v2, s12
	v_add_co_ci_u32_e32 v3, vcc_lo, s13, v3, vcc_lo
	v_add_co_u32 v0, vcc_lo, v0, 8
	v_add_co_ci_u32_e32 v1, vcc_lo, 0, v1, vcc_lo
	v_add_co_u32 v2, vcc_lo, v2, 8
	s_delay_alu instid0(VALU_DEP_4)
	v_add_co_ci_u32_e32 v3, vcc_lo, 0, v3, vcc_lo
	v_dual_mov_b32 v6, v4 :: v_dual_mov_b32 v9, v5
	v_dual_mov_b32 v8, v4 :: v_dual_mov_b32 v15, v5
	;; [unrolled: 1-line block ×5, first 2 shown]
	v_mov_b32_e32 v16, v4
	s_mov_b64 s[10:11], 0
.LBB1801_2:                             ; =>This Inner Loop Header: Depth=1
	global_load_b128 v[26:29], v[0:1], off offset:-8
	global_load_b128 v[30:33], v[2:3], off offset:-8
	s_add_u32 s10, s10, 8
	v_add_co_u32 v0, vcc_lo, 0x80, v0
	s_addc_u32 s11, s11, 0
	v_add_co_ci_u32_e32 v1, vcc_lo, 0, v1, vcc_lo
	v_cmp_ge_u64_e64 s12, s[10:11], s[4:5]
	v_add_co_u32 v2, vcc_lo, 0x80, v2
	v_add_co_ci_u32_e32 v3, vcc_lo, 0, v3, vcc_lo
	s_delay_alu instid0(VALU_DEP_3)
	s_and_b32 vcc_lo, exec_lo, s12
	s_waitcnt vmcnt(1)
	v_xor_b32_e32 v29, 0x80000000, v29
	ds_store_b128 v24, v[26:29]
	s_waitcnt vmcnt(0)
	ds_store_b128 v25, v[30:33]
	s_waitcnt lgkmcnt(0)
	s_barrier
	buffer_gl0_inv
	ds_load_b128 v[26:29], v23
	ds_load_b128 v[30:33], v22
	ds_load_b128 v[34:37], v22 offset:256
	ds_load_b128 v[38:41], v23 offset:2048
	;; [unrolled: 1-line block ×13, first 2 shown]
	s_waitcnt lgkmcnt(13)
	v_mul_f64 v[86:87], v[28:29], v[32:33]
	v_mul_f64 v[88:89], v[26:27], v[32:33]
	s_waitcnt lgkmcnt(12)
	v_mul_f64 v[90:91], v[28:29], v[36:37]
	v_mul_f64 v[92:93], v[26:27], v[36:37]
	;; [unrolled: 3-line block ×3, first 2 shown]
	v_mul_f64 v[96:97], v[40:41], v[36:37]
	v_mul_f64 v[36:37], v[38:39], v[36:37]
	s_waitcnt lgkmcnt(8)
	v_mul_f64 v[98:99], v[44:45], v[52:53]
	v_mul_f64 v[100:101], v[42:43], v[52:53]
	s_waitcnt lgkmcnt(7)
	v_mul_f64 v[102:103], v[44:45], v[56:57]
	v_mul_f64 v[104:105], v[42:43], v[56:57]
	;; [unrolled: 1-line block ×6, first 2 shown]
	s_waitcnt lgkmcnt(3)
	v_mul_f64 v[112:113], v[58:59], v[72:73]
	s_waitcnt lgkmcnt(2)
	v_mul_f64 v[114:115], v[76:77], v[68:69]
	v_mul_f64 v[116:117], v[76:77], v[72:73]
	v_fma_f64 v[86:87], v[26:27], v[30:31], -v[86:87]
	v_fma_f64 v[88:89], v[28:29], v[30:31], v[88:89]
	v_fma_f64 v[90:91], v[26:27], v[34:35], -v[90:91]
	v_fma_f64 v[92:93], v[28:29], v[34:35], v[92:93]
	v_fma_f64 v[94:95], v[38:39], v[30:31], -v[94:95]
	v_fma_f64 v[110:111], v[40:41], v[30:31], v[32:33]
	v_fma_f64 v[38:39], v[38:39], v[34:35], -v[96:97]
	v_fma_f64 v[34:35], v[40:41], v[34:35], v[36:37]
	v_mul_f64 v[36:37], v[60:61], v[68:69]
	v_mul_f64 v[40:41], v[58:59], v[68:69]
	;; [unrolled: 1-line block ×5, first 2 shown]
	v_fma_f64 v[98:99], v[42:43], v[50:51], -v[98:99]
	v_fma_f64 v[100:101], v[44:45], v[50:51], v[100:101]
	v_fma_f64 v[42:43], v[42:43], v[54:55], -v[102:103]
	v_fma_f64 v[44:45], v[44:45], v[54:55], v[104:105]
	v_fma_f64 v[102:103], v[46:47], v[50:51], -v[106:107]
	v_fma_f64 v[50:51], v[48:49], v[50:51], v[52:53]
	v_fma_f64 v[46:47], v[46:47], v[54:55], -v[108:109]
	v_fma_f64 v[48:49], v[48:49], v[54:55], v[56:57]
	ds_load_b128 v[26:29], v22 offset:1792
	ds_load_b128 v[30:33], v22 offset:2048
	s_waitcnt lgkmcnt(2)
	v_mul_f64 v[56:57], v[64:65], v[84:85]
	v_add_f64 v[16:17], v[16:17], v[86:87]
	v_add_f64 v[18:19], v[18:19], v[88:89]
	;; [unrolled: 1-line block ×8, first 2 shown]
	v_mul_f64 v[86:87], v[62:63], v[84:85]
	s_waitcnt lgkmcnt(1)
	v_mul_f64 v[88:89], v[64:65], v[28:29]
	v_mul_f64 v[90:91], v[62:63], v[28:29]
	v_mul_f64 v[92:93], v[80:81], v[84:85]
	v_mul_f64 v[84:85], v[78:79], v[84:85]
	v_mul_f64 v[94:95], v[80:81], v[28:29]
	v_mul_f64 v[28:29], v[78:79], v[28:29]
	v_fma_f64 v[104:105], v[58:59], v[66:67], -v[36:37]
	v_fma_f64 v[106:107], v[60:61], v[66:67], v[40:41]
	v_fma_f64 v[58:59], v[58:59], v[70:71], -v[96:97]
	v_fma_f64 v[60:61], v[60:61], v[70:71], v[112:113]
	;; [unrolled: 2-line block ×4, first 2 shown]
	ds_load_b128 v[4:7], v22 offset:2304
	ds_load_b128 v[8:11], v23 offset:64
	v_fma_f64 v[56:57], v[62:63], v[82:83], -v[56:57]
	v_add_f64 v[72:73], v[16:17], v[98:99]
	v_add_f64 v[74:75], v[18:19], v[100:101]
	;; [unrolled: 1-line block ×8, first 2 shown]
	ds_load_b128 v[12:15], v23 offset:2112
	ds_load_b128 v[16:19], v23 offset:80
	;; [unrolled: 1-line block ×4, first 2 shown]
	s_waitcnt lgkmcnt(4)
	v_mul_f64 v[54:55], v[10:11], v[32:33]
	v_mul_f64 v[76:77], v[8:9], v[32:33]
	;; [unrolled: 1-line block ×4, first 2 shown]
	v_fma_f64 v[86:87], v[64:65], v[82:83], v[86:87]
	v_fma_f64 v[62:63], v[62:63], v[26:27], -v[88:89]
	v_fma_f64 v[64:65], v[64:65], v[26:27], v[90:91]
	v_fma_f64 v[88:89], v[78:79], v[82:83], -v[92:93]
	;; [unrolled: 2-line block ×3, first 2 shown]
	v_fma_f64 v[80:81], v[80:81], v[26:27], v[28:29]
	s_waitcnt lgkmcnt(3)
	v_mul_f64 v[102:103], v[14:15], v[32:33]
	v_mul_f64 v[32:33], v[12:13], v[32:33]
	;; [unrolled: 1-line block ×4, first 2 shown]
	s_waitcnt lgkmcnt(0)
	v_mul_f64 v[90:91], v[18:19], v[40:41]
	v_mul_f64 v[92:93], v[16:17], v[40:41]
	v_add_f64 v[72:73], v[72:73], v[104:105]
	v_add_f64 v[74:75], v[74:75], v[106:107]
	;; [unrolled: 1-line block ×8, first 2 shown]
	ds_load_b128 v[26:29], v22 offset:2816
	ds_load_b128 v[42:45], v22 offset:3072
	;; [unrolled: 1-line block ×4, first 2 shown]
	v_mul_f64 v[104:105], v[36:37], v[40:41]
	v_mul_f64 v[40:41], v[34:35], v[40:41]
	v_fma_f64 v[54:55], v[8:9], v[30:31], -v[54:55]
	v_fma_f64 v[76:77], v[10:11], v[30:31], v[76:77]
	v_fma_f64 v[98:99], v[8:9], v[4:5], -v[98:99]
	v_fma_f64 v[100:101], v[10:11], v[4:5], v[100:101]
	s_waitcnt lgkmcnt(3)
	v_mul_f64 v[94:95], v[18:19], v[28:29]
	v_mul_f64 v[96:97], v[16:17], v[28:29]
	;; [unrolled: 1-line block ×4, first 2 shown]
	v_fma_f64 v[102:103], v[12:13], v[30:31], -v[102:103]
	v_fma_f64 v[32:33], v[14:15], v[30:31], v[32:33]
	v_fma_f64 v[108:109], v[12:13], v[4:5], -v[108:109]
	v_fma_f64 v[112:113], v[14:15], v[4:5], v[6:7]
	ds_load_b128 v[4:7], v23 offset:2144
	ds_load_b128 v[8:11], v23 offset:112
	;; [unrolled: 1-line block ×4, first 2 shown]
	v_add_f64 v[56:57], v[72:73], v[56:57]
	v_add_f64 v[72:73], v[74:75], v[86:87]
	;; [unrolled: 1-line block ×8, first 2 shown]
	s_waitcnt lgkmcnt(4)
	v_mul_f64 v[70:71], v[52:53], v[44:45]
	v_mul_f64 v[74:75], v[50:51], v[44:45]
	;; [unrolled: 1-line block ×4, first 2 shown]
	s_waitcnt lgkmcnt(3)
	v_mul_f64 v[82:83], v[6:7], v[44:45]
	v_mul_f64 v[44:45], v[4:5], v[44:45]
	;; [unrolled: 1-line block ×4, first 2 shown]
	v_fma_f64 v[86:87], v[16:17], v[38:39], -v[90:91]
	v_fma_f64 v[88:89], v[18:19], v[38:39], v[92:93]
	v_fma_f64 v[90:91], v[16:17], v[26:27], -v[94:95]
	v_fma_f64 v[92:93], v[18:19], v[26:27], v[96:97]
	;; [unrolled: 2-line block ×4, first 2 shown]
	ds_load_b128 v[16:19], v22 offset:3840
	s_waitcnt lgkmcnt(0)
	s_barrier
	buffer_gl0_inv
	v_add_f64 v[36:37], v[56:57], v[54:55]
	v_add_f64 v[40:41], v[72:73], v[76:77]
	;; [unrolled: 1-line block ×8, first 2 shown]
	v_mul_f64 v[64:65], v[10:11], v[30:31]
	v_mul_f64 v[66:67], v[8:9], v[30:31]
	;; [unrolled: 1-line block ×4, first 2 shown]
	v_fma_f64 v[70:71], v[50:51], v[42:43], -v[70:71]
	v_mul_f64 v[68:69], v[10:11], v[18:19]
	v_mul_f64 v[72:73], v[8:9], v[18:19]
	;; [unrolled: 1-line block ×4, first 2 shown]
	v_fma_f64 v[74:75], v[52:53], v[42:43], v[74:75]
	v_fma_f64 v[50:51], v[50:51], v[46:47], -v[78:79]
	v_fma_f64 v[52:53], v[52:53], v[46:47], v[80:81]
	v_fma_f64 v[78:79], v[4:5], v[42:43], -v[82:83]
	;; [unrolled: 2-line block ×3, first 2 shown]
	v_fma_f64 v[6:7], v[6:7], v[46:47], v[48:49]
	v_add_f64 v[36:37], v[36:37], v[86:87]
	v_add_f64 v[40:41], v[40:41], v[88:89]
	;; [unrolled: 1-line block ×8, first 2 shown]
	v_fma_f64 v[38:39], v[8:9], v[28:29], -v[64:65]
	v_fma_f64 v[54:55], v[10:11], v[28:29], v[66:67]
	v_fma_f64 v[56:57], v[12:13], v[28:29], -v[76:77]
	v_fma_f64 v[28:29], v[14:15], v[28:29], v[30:31]
	;; [unrolled: 2-line block ×4, first 2 shown]
	v_add_f64 v[12:13], v[36:37], v[70:71]
	v_add_f64 v[14:15], v[40:41], v[74:75]
	;; [unrolled: 1-line block ×16, first 2 shown]
	s_cbranch_vccz .LBB1801_2
.LBB1801_3:
	v_add_nc_u32_e32 v21, s23, v21
	s_load_b32 s4, s[0:1], 0x0
	s_delay_alu instid0(VALU_DEP_1) | instskip(SKIP_2) | instid1(VALU_DEP_3)
	v_ashrrev_i32_e32 v0, 31, v21
	v_mul_lo_u32 v3, v21, s19
	v_mad_u64_u32 v[1:2], null, v21, s18, 0
	v_mul_lo_u32 v0, v0, s18
	s_delay_alu instid0(VALU_DEP_1) | instskip(SKIP_3) | instid1(VALU_DEP_3)
	v_add3_u32 v2, v2, v3, v0
	v_add_nc_u32_e32 v0, s22, v20
	s_waitcnt lgkmcnt(0)
	v_cmp_gt_i32_e32 vcc_lo, s4, v21
	v_lshlrev_b64 v[1:2], 4, v[1:2]
	s_delay_alu instid0(VALU_DEP_3) | instskip(NEXT) | instid1(VALU_DEP_1)
	v_cmp_le_i32_e64 s0, v0, v21
	s_and_b32 s0, vcc_lo, s0
	s_delay_alu instid0(VALU_DEP_2) | instskip(NEXT) | instid1(VALU_DEP_1)
	v_add_co_u32 v20, s1, s2, v1
	v_add_co_ci_u32_e64 v22, s1, s3, v2, s1
	s_and_saveexec_b32 s5, s0
	s_cbranch_execz .LBB1801_5
; %bb.4:
	v_mul_f64 v[1:2], s[6:7], v[18:19]
	v_mul_f64 v[18:19], s[8:9], v[18:19]
	v_cmp_ne_u32_e64 s0, v21, v0
	s_delay_alu instid0(VALU_DEP_3) | instskip(NEXT) | instid1(VALU_DEP_3)
	v_fma_f64 v[2:3], s[8:9], v[16:17], v[1:2]
	v_fma_f64 v[16:17], s[6:7], v[16:17], -v[18:19]
	v_ashrrev_i32_e32 v1, 31, v0
	s_delay_alu instid0(VALU_DEP_1) | instskip(NEXT) | instid1(VALU_DEP_1)
	v_lshlrev_b64 v[18:19], 4, v[0:1]
	v_add_co_u32 v23, s1, v20, v18
	s_delay_alu instid0(VALU_DEP_1)
	v_add_co_ci_u32_e64 v24, s1, v22, v19, s1
	v_cndmask_b32_e64 v19, 0, v3, s0
	v_cndmask_b32_e64 v18, 0, v2, s0
	global_store_b128 v[23:24], v[16:19], off
.LBB1801_5:
	s_or_b32 exec_lo, exec_lo, s5
	v_add_nc_u32_e32 v2, 16, v0
	s_delay_alu instid0(VALU_DEP_1) | instskip(NEXT) | instid1(VALU_DEP_1)
	v_cmp_le_i32_e64 s0, v2, v21
	s_and_b32 s0, vcc_lo, s0
	s_delay_alu instid0(SALU_CYCLE_1)
	s_and_saveexec_b32 s1, s0
	s_cbranch_execz .LBB1801_7
; %bb.6:
	v_mul_f64 v[16:17], s[6:7], v[14:15]
	v_mul_f64 v[14:15], s[8:9], v[14:15]
	v_ashrrev_i32_e32 v3, 31, v2
	v_cmp_ne_u32_e32 vcc_lo, v21, v2
	s_delay_alu instid0(VALU_DEP_4) | instskip(NEXT) | instid1(VALU_DEP_4)
	v_fma_f64 v[16:17], s[8:9], v[12:13], v[16:17]
	v_fma_f64 v[12:13], s[6:7], v[12:13], -v[14:15]
	s_delay_alu instid0(VALU_DEP_4) | instskip(NEXT) | instid1(VALU_DEP_1)
	v_lshlrev_b64 v[14:15], 4, v[2:3]
	v_add_co_u32 v18, s0, v20, v14
	s_delay_alu instid0(VALU_DEP_1)
	v_add_co_ci_u32_e64 v19, s0, v22, v15, s0
	v_dual_cndmask_b32 v15, 0, v17 :: v_dual_cndmask_b32 v14, 0, v16
	global_store_b128 v[18:19], v[12:15], off
.LBB1801_7:
	s_or_b32 exec_lo, exec_lo, s1
	v_add_nc_u32_e32 v3, 16, v21
	s_delay_alu instid0(VALU_DEP_1) | instskip(SKIP_3) | instid1(VALU_DEP_4)
	v_ashrrev_i32_e32 v1, 31, v3
	v_mul_lo_u32 v14, v3, s19
	v_mad_u64_u32 v[12:13], null, v3, s18, 0
	v_cmp_gt_i32_e32 vcc_lo, s4, v3
	v_mul_lo_u32 v1, v1, s18
	v_cmp_le_i32_e64 s0, v0, v3
	s_delay_alu instid0(VALU_DEP_1) | instskip(NEXT) | instid1(VALU_DEP_2)
	s_and_b32 s0, vcc_lo, s0
	v_add3_u32 v13, v13, v14, v1
	s_delay_alu instid0(VALU_DEP_1) | instskip(NEXT) | instid1(VALU_DEP_1)
	v_lshlrev_b64 v[12:13], 4, v[12:13]
	v_add_co_u32 v12, s1, s2, v12
	s_delay_alu instid0(VALU_DEP_1)
	v_add_co_ci_u32_e64 v13, s1, s3, v13, s1
	s_and_saveexec_b32 s2, s0
	s_cbranch_execz .LBB1801_9
; %bb.8:
	v_mul_f64 v[14:15], s[6:7], v[10:11]
	v_mul_f64 v[10:11], s[8:9], v[10:11]
	v_ashrrev_i32_e32 v1, 31, v0
	v_cmp_ne_u32_e64 s0, v3, v0
	s_delay_alu instid0(VALU_DEP_4) | instskip(NEXT) | instid1(VALU_DEP_4)
	v_fma_f64 v[14:15], s[8:9], v[8:9], v[14:15]
	v_fma_f64 v[8:9], s[6:7], v[8:9], -v[10:11]
	s_delay_alu instid0(VALU_DEP_4) | instskip(NEXT) | instid1(VALU_DEP_1)
	v_lshlrev_b64 v[10:11], 4, v[0:1]
	v_add_co_u32 v16, s1, v12, v10
	s_delay_alu instid0(VALU_DEP_1)
	v_add_co_ci_u32_e64 v17, s1, v13, v11, s1
	v_cndmask_b32_e64 v11, 0, v15, s0
	v_cndmask_b32_e64 v10, 0, v14, s0
	global_store_b128 v[16:17], v[8:11], off
.LBB1801_9:
	s_or_b32 exec_lo, exec_lo, s2
	v_cmp_le_i32_e64 s0, v2, v3
	s_delay_alu instid0(VALU_DEP_1) | instskip(NEXT) | instid1(SALU_CYCLE_1)
	s_and_b32 s0, vcc_lo, s0
	s_and_saveexec_b32 s1, s0
	s_cbranch_execz .LBB1801_11
; %bb.10:
	v_mul_f64 v[8:9], s[6:7], v[4:5]
	v_mul_f64 v[3:4], s[8:9], v[4:5]
	v_cmp_ne_u32_e32 vcc_lo, v21, v0
	s_delay_alu instid0(VALU_DEP_3) | instskip(NEXT) | instid1(VALU_DEP_3)
	v_fma_f64 v[8:9], s[8:9], v[6:7], v[8:9]
	v_fma_f64 v[4:5], s[6:7], v[6:7], -v[3:4]
	v_ashrrev_i32_e32 v3, 31, v2
	s_delay_alu instid0(VALU_DEP_1) | instskip(NEXT) | instid1(VALU_DEP_1)
	v_lshlrev_b64 v[1:2], 4, v[2:3]
	v_add_co_u32 v0, s0, v12, v1
	s_delay_alu instid0(VALU_DEP_1)
	v_add_co_ci_u32_e64 v1, s0, v13, v2, s0
	v_dual_cndmask_b32 v7, 0, v9 :: v_dual_cndmask_b32 v6, 0, v8
	global_store_b128 v[0:1], v[4:7], off
.LBB1801_11:
	s_nop 0
	s_sendmsg sendmsg(MSG_DEALLOC_VGPRS)
	s_endpgm
	.section	.rodata,"a",@progbits
	.p2align	6, 0x0
	.amdhsa_kernel _ZL37rocblas_syrkx_herkx_restricted_kernelIl19rocblas_complex_numIdELi16ELi32ELi8ELb1ELb1ELc67ELc85EKPKS1_KPS1_EviT_T0_PT8_S7_lSA_S7_lS8_PT9_S7_li
		.amdhsa_group_segment_fixed_size 8192
		.amdhsa_private_segment_fixed_size 0
		.amdhsa_kernarg_size 124
		.amdhsa_user_sgpr_count 13
		.amdhsa_user_sgpr_dispatch_ptr 0
		.amdhsa_user_sgpr_queue_ptr 0
		.amdhsa_user_sgpr_kernarg_segment_ptr 1
		.amdhsa_user_sgpr_dispatch_id 0
		.amdhsa_user_sgpr_private_segment_size 0
		.amdhsa_wavefront_size32 1
		.amdhsa_uses_dynamic_stack 0
		.amdhsa_enable_private_segment 0
		.amdhsa_system_sgpr_workgroup_id_x 1
		.amdhsa_system_sgpr_workgroup_id_y 1
		.amdhsa_system_sgpr_workgroup_id_z 1
		.amdhsa_system_sgpr_workgroup_info 0
		.amdhsa_system_vgpr_workitem_id 1
		.amdhsa_next_free_vgpr 118
		.amdhsa_next_free_sgpr 24
		.amdhsa_reserve_vcc 1
		.amdhsa_float_round_mode_32 0
		.amdhsa_float_round_mode_16_64 0
		.amdhsa_float_denorm_mode_32 3
		.amdhsa_float_denorm_mode_16_64 3
		.amdhsa_dx10_clamp 1
		.amdhsa_ieee_mode 1
		.amdhsa_fp16_overflow 0
		.amdhsa_workgroup_processor_mode 1
		.amdhsa_memory_ordered 1
		.amdhsa_forward_progress 0
		.amdhsa_shared_vgpr_count 0
		.amdhsa_exception_fp_ieee_invalid_op 0
		.amdhsa_exception_fp_denorm_src 0
		.amdhsa_exception_fp_ieee_div_zero 0
		.amdhsa_exception_fp_ieee_overflow 0
		.amdhsa_exception_fp_ieee_underflow 0
		.amdhsa_exception_fp_ieee_inexact 0
		.amdhsa_exception_int_div_zero 0
	.end_amdhsa_kernel
	.section	.text._ZL37rocblas_syrkx_herkx_restricted_kernelIl19rocblas_complex_numIdELi16ELi32ELi8ELb1ELb1ELc67ELc85EKPKS1_KPS1_EviT_T0_PT8_S7_lSA_S7_lS8_PT9_S7_li,"axG",@progbits,_ZL37rocblas_syrkx_herkx_restricted_kernelIl19rocblas_complex_numIdELi16ELi32ELi8ELb1ELb1ELc67ELc85EKPKS1_KPS1_EviT_T0_PT8_S7_lSA_S7_lS8_PT9_S7_li,comdat
.Lfunc_end1801:
	.size	_ZL37rocblas_syrkx_herkx_restricted_kernelIl19rocblas_complex_numIdELi16ELi32ELi8ELb1ELb1ELc67ELc85EKPKS1_KPS1_EviT_T0_PT8_S7_lSA_S7_lS8_PT9_S7_li, .Lfunc_end1801-_ZL37rocblas_syrkx_herkx_restricted_kernelIl19rocblas_complex_numIdELi16ELi32ELi8ELb1ELb1ELc67ELc85EKPKS1_KPS1_EviT_T0_PT8_S7_lSA_S7_lS8_PT9_S7_li
                                        ; -- End function
	.section	.AMDGPU.csdata,"",@progbits
; Kernel info:
; codeLenInByte = 3224
; NumSgprs: 26
; NumVgprs: 118
; ScratchSize: 0
; MemoryBound: 0
; FloatMode: 240
; IeeeMode: 1
; LDSByteSize: 8192 bytes/workgroup (compile time only)
; SGPRBlocks: 3
; VGPRBlocks: 14
; NumSGPRsForWavesPerEU: 26
; NumVGPRsForWavesPerEU: 118
; Occupancy: 12
; WaveLimiterHint : 1
; COMPUTE_PGM_RSRC2:SCRATCH_EN: 0
; COMPUTE_PGM_RSRC2:USER_SGPR: 13
; COMPUTE_PGM_RSRC2:TRAP_HANDLER: 0
; COMPUTE_PGM_RSRC2:TGID_X_EN: 1
; COMPUTE_PGM_RSRC2:TGID_Y_EN: 1
; COMPUTE_PGM_RSRC2:TGID_Z_EN: 1
; COMPUTE_PGM_RSRC2:TIDIG_COMP_CNT: 1
	.section	.text._ZL37rocblas_syrkx_herkx_restricted_kernelIl19rocblas_complex_numIdELi16ELi32ELi8ELb1ELb1ELc78ELc85EKPKS1_KPS1_EviT_T0_PT8_S7_lSA_S7_lS8_PT9_S7_li,"axG",@progbits,_ZL37rocblas_syrkx_herkx_restricted_kernelIl19rocblas_complex_numIdELi16ELi32ELi8ELb1ELb1ELc78ELc85EKPKS1_KPS1_EviT_T0_PT8_S7_lSA_S7_lS8_PT9_S7_li,comdat
	.globl	_ZL37rocblas_syrkx_herkx_restricted_kernelIl19rocblas_complex_numIdELi16ELi32ELi8ELb1ELb1ELc78ELc85EKPKS1_KPS1_EviT_T0_PT8_S7_lSA_S7_lS8_PT9_S7_li ; -- Begin function _ZL37rocblas_syrkx_herkx_restricted_kernelIl19rocblas_complex_numIdELi16ELi32ELi8ELb1ELb1ELc78ELc85EKPKS1_KPS1_EviT_T0_PT8_S7_lSA_S7_lS8_PT9_S7_li
	.p2align	8
	.type	_ZL37rocblas_syrkx_herkx_restricted_kernelIl19rocblas_complex_numIdELi16ELi32ELi8ELb1ELb1ELc78ELc85EKPKS1_KPS1_EviT_T0_PT8_S7_lSA_S7_lS8_PT9_S7_li,@function
_ZL37rocblas_syrkx_herkx_restricted_kernelIl19rocblas_complex_numIdELi16ELi32ELi8ELb1ELb1ELc78ELc85EKPKS1_KPS1_EviT_T0_PT8_S7_lSA_S7_lS8_PT9_S7_li: ; @_ZL37rocblas_syrkx_herkx_restricted_kernelIl19rocblas_complex_numIdELi16ELi32ELi8ELb1ELb1ELc78ELc85EKPKS1_KPS1_EviT_T0_PT8_S7_lSA_S7_lS8_PT9_S7_li
; %bb.0:
	s_clause 0x1
	s_load_b128 s[16:19], s[0:1], 0x60
	s_load_b256 s[4:11], s[0:1], 0x8
	s_mov_b32 s2, s15
	s_mov_b32 s3, 0
	v_mov_b32_e32 v16, 0
	s_lshl_b64 s[20:21], s[2:3], 3
	v_dual_mov_b32 v17, 0 :: v_dual_and_b32 v20, 0x3ff, v0
	v_bfe_u32 v21, v0, 10, 10
	s_delay_alu instid0(VALU_DEP_3) | instskip(NEXT) | instid1(VALU_DEP_3)
	v_mov_b32_e32 v14, v16
	v_dual_mov_b32 v12, v16 :: v_dual_mov_b32 v13, v17
	v_dual_mov_b32 v19, v17 :: v_dual_mov_b32 v18, v16
	;; [unrolled: 1-line block ×5, first 2 shown]
	v_mov_b32_e32 v7, v17
	s_waitcnt lgkmcnt(0)
	s_add_u32 s2, s16, s20
	s_addc_u32 s3, s17, s21
	s_load_b64 s[16:17], s[0:1], 0x28
	s_load_b64 s[2:3], s[2:3], 0x0
	v_cmp_lt_i64_e64 s12, s[4:5], 1
	v_dual_mov_b32 v4, v16 :: v_dual_mov_b32 v5, v17
	s_lshl_b32 s22, s13, 5
	s_lshl_b32 s23, s14, 5
	s_delay_alu instid0(VALU_DEP_2)
	s_and_b32 vcc_lo, exec_lo, s12
	s_cbranch_vccnz .LBB1802_3
; %bb.1:
	v_lshl_add_u32 v1, v21, 4, v20
	s_load_b128 s[12:15], s[0:1], 0x38
	v_and_b32_e32 v6, 7, v20
	v_mov_b32_e32 v4, 0
	s_add_u32 s10, s10, s20
	v_dual_mov_b32 v5, 0 :: v_dual_and_b32 v14, 31, v1
	v_lshrrev_b32_e32 v15, 3, v1
	v_lshrrev_b32_e32 v16, 5, v1
	s_addc_u32 s11, s11, s21
	s_delay_alu instid0(VALU_DEP_3) | instskip(NEXT) | instid1(VALU_DEP_3)
	v_dual_mov_b32 v11, v5 :: v_dual_add_nc_u32 v0, s22, v14
	v_add_nc_u32_e32 v2, s23, v15
	s_load_b64 s[10:11], s[10:11], 0x0
	v_dual_mov_b32 v19, v5 :: v_dual_lshlrev_b32 v14, 4, v14
	s_delay_alu instid0(VALU_DEP_3) | instskip(NEXT) | instid1(VALU_DEP_3)
	v_ashrrev_i32_e32 v1, 31, v0
	v_ashrrev_i32_e32 v3, 31, v2
	v_lshlrev_b32_e32 v22, 4, v20
	s_delay_alu instid0(VALU_DEP_4)
	v_lshl_or_b32 v24, v16, 9, v14
	v_mov_b32_e32 v10, v4
	s_waitcnt lgkmcnt(0)
	v_mad_u64_u32 v[12:13], null, v16, s16, v[0:1]
	v_mad_u64_u32 v[0:1], null, v6, s14, v[2:3]
	s_add_u32 s12, s12, s20
	s_addc_u32 s13, s13, s21
	v_lshl_add_u32 v23, v21, 7, 0x1000
	s_load_b64 s[12:13], s[12:13], 0x0
	s_delay_alu instid0(VALU_DEP_3) | instskip(SKIP_1) | instid1(VALU_DEP_2)
	v_mov_b32_e32 v2, v13
	v_mov_b32_e32 v18, v4
	v_mad_u64_u32 v[8:9], null, v16, s17, v[2:3]
	v_dual_mov_b32 v17, v5 :: v_dual_mov_b32 v16, v4
	s_delay_alu instid0(VALU_DEP_2) | instskip(SKIP_4) | instid1(VALU_DEP_3)
	v_mov_b32_e32 v13, v8
	v_mad_u64_u32 v[2:3], null, v6, s15, v[1:2]
	v_lshlrev_b32_e32 v1, 4, v6
	v_dual_mov_b32 v7, v5 :: v_dual_mov_b32 v6, v4
	v_dual_mov_b32 v9, v5 :: v_dual_mov_b32 v8, v4
	v_lshl_or_b32 v15, v15, 7, v1
	v_mov_b32_e32 v1, v2
	v_lshlrev_b64 v[2:3], 4, v[12:13]
	v_dual_mov_b32 v13, v5 :: v_dual_mov_b32 v12, v4
	s_delay_alu instid0(VALU_DEP_4) | instskip(NEXT) | instid1(VALU_DEP_4)
	v_add_nc_u32_e32 v25, 0x1000, v15
	v_lshlrev_b64 v[0:1], 4, v[0:1]
	s_delay_alu instid0(VALU_DEP_4) | instskip(SKIP_2) | instid1(VALU_DEP_3)
	v_add_co_u32 v2, vcc_lo, v2, s10
	v_add_co_ci_u32_e32 v3, vcc_lo, s11, v3, vcc_lo
	s_waitcnt lgkmcnt(0)
	v_add_co_u32 v14, vcc_lo, v0, s12
	s_delay_alu instid0(VALU_DEP_4) | instskip(SKIP_2) | instid1(VALU_DEP_4)
	v_add_co_ci_u32_e32 v15, vcc_lo, s13, v1, vcc_lo
	v_add_co_u32 v0, vcc_lo, v2, 8
	v_add_co_ci_u32_e32 v1, vcc_lo, 0, v3, vcc_lo
	v_add_co_u32 v2, vcc_lo, v14, 8
	s_delay_alu instid0(VALU_DEP_4)
	v_add_co_ci_u32_e32 v3, vcc_lo, 0, v15, vcc_lo
	v_dual_mov_b32 v15, v5 :: v_dual_mov_b32 v14, v4
	s_lshl_b64 s[10:11], s[16:17], 7
	s_lshl_b64 s[12:13], s[14:15], 7
	s_mov_b64 s[14:15], 0
.LBB1802_2:                             ; =>This Inner Loop Header: Depth=1
	global_load_b128 v[26:29], v[2:3], off offset:-8
	global_load_b128 v[30:33], v[0:1], off offset:-8
	s_add_u32 s14, s14, 8
	v_add_co_u32 v0, vcc_lo, v0, s10
	s_addc_u32 s15, s15, 0
	v_add_co_ci_u32_e32 v1, vcc_lo, s11, v1, vcc_lo
	v_cmp_ge_u64_e64 s16, s[14:15], s[4:5]
	v_add_co_u32 v2, vcc_lo, v2, s12
	v_add_co_ci_u32_e32 v3, vcc_lo, s13, v3, vcc_lo
	s_delay_alu instid0(VALU_DEP_3)
	s_and_b32 vcc_lo, exec_lo, s16
	s_waitcnt vmcnt(1)
	v_xor_b32_e32 v29, 0x80000000, v29
	s_waitcnt vmcnt(0)
	ds_store_b128 v24, v[30:33]
	ds_store_b128 v25, v[26:29]
	s_waitcnt lgkmcnt(0)
	s_barrier
	buffer_gl0_inv
	ds_load_b128 v[26:29], v23
	ds_load_b128 v[30:33], v22
	ds_load_b128 v[34:37], v22 offset:256
	ds_load_b128 v[38:41], v23 offset:2048
	ds_load_b128 v[42:45], v23 offset:16
	ds_load_b128 v[46:49], v23 offset:2064
	ds_load_b128 v[50:53], v22 offset:512
	ds_load_b128 v[54:57], v22 offset:768
	ds_load_b128 v[58:61], v23 offset:32
	ds_load_b128 v[62:65], v23 offset:48
	ds_load_b128 v[66:69], v22 offset:1024
	ds_load_b128 v[70:73], v22 offset:1280
	ds_load_b128 v[74:77], v23 offset:2080
	ds_load_b128 v[78:81], v23 offset:2096
	ds_load_b128 v[82:85], v22 offset:1536
	s_waitcnt lgkmcnt(13)
	v_mul_f64 v[86:87], v[28:29], v[32:33]
	v_mul_f64 v[88:89], v[26:27], v[32:33]
	s_waitcnt lgkmcnt(12)
	v_mul_f64 v[90:91], v[28:29], v[36:37]
	v_mul_f64 v[92:93], v[26:27], v[36:37]
	;; [unrolled: 3-line block ×3, first 2 shown]
	v_mul_f64 v[96:97], v[40:41], v[36:37]
	v_mul_f64 v[36:37], v[38:39], v[36:37]
	s_waitcnt lgkmcnt(8)
	v_mul_f64 v[98:99], v[44:45], v[52:53]
	v_mul_f64 v[100:101], v[42:43], v[52:53]
	s_waitcnt lgkmcnt(7)
	v_mul_f64 v[102:103], v[44:45], v[56:57]
	v_mul_f64 v[104:105], v[42:43], v[56:57]
	;; [unrolled: 1-line block ×6, first 2 shown]
	s_waitcnt lgkmcnt(3)
	v_mul_f64 v[112:113], v[58:59], v[72:73]
	s_waitcnt lgkmcnt(2)
	v_mul_f64 v[114:115], v[76:77], v[68:69]
	v_mul_f64 v[116:117], v[76:77], v[72:73]
	v_fma_f64 v[86:87], v[26:27], v[30:31], -v[86:87]
	v_fma_f64 v[88:89], v[28:29], v[30:31], v[88:89]
	v_fma_f64 v[90:91], v[26:27], v[34:35], -v[90:91]
	v_fma_f64 v[92:93], v[28:29], v[34:35], v[92:93]
	;; [unrolled: 2-line block ×4, first 2 shown]
	v_mul_f64 v[36:37], v[60:61], v[68:69]
	v_mul_f64 v[40:41], v[58:59], v[68:69]
	;; [unrolled: 1-line block ×5, first 2 shown]
	v_fma_f64 v[98:99], v[42:43], v[50:51], -v[98:99]
	v_fma_f64 v[100:101], v[44:45], v[50:51], v[100:101]
	v_fma_f64 v[42:43], v[42:43], v[54:55], -v[102:103]
	v_fma_f64 v[44:45], v[44:45], v[54:55], v[104:105]
	;; [unrolled: 2-line block ×4, first 2 shown]
	ds_load_b128 v[26:29], v22 offset:1792
	ds_load_b128 v[30:33], v22 offset:2048
	s_waitcnt lgkmcnt(2)
	v_mul_f64 v[56:57], v[64:65], v[84:85]
	v_add_f64 v[16:17], v[16:17], v[86:87]
	v_add_f64 v[18:19], v[18:19], v[88:89]
	;; [unrolled: 1-line block ×8, first 2 shown]
	v_mul_f64 v[86:87], v[62:63], v[84:85]
	s_waitcnt lgkmcnt(1)
	v_mul_f64 v[88:89], v[64:65], v[28:29]
	v_mul_f64 v[90:91], v[62:63], v[28:29]
	;; [unrolled: 1-line block ×6, first 2 shown]
	v_fma_f64 v[104:105], v[58:59], v[66:67], -v[36:37]
	v_fma_f64 v[106:107], v[60:61], v[66:67], v[40:41]
	v_fma_f64 v[58:59], v[58:59], v[70:71], -v[96:97]
	v_fma_f64 v[60:61], v[60:61], v[70:71], v[112:113]
	;; [unrolled: 2-line block ×4, first 2 shown]
	ds_load_b128 v[4:7], v22 offset:2304
	ds_load_b128 v[8:11], v23 offset:64
	v_fma_f64 v[56:57], v[62:63], v[82:83], -v[56:57]
	v_add_f64 v[72:73], v[16:17], v[98:99]
	v_add_f64 v[74:75], v[18:19], v[100:101]
	;; [unrolled: 1-line block ×8, first 2 shown]
	ds_load_b128 v[12:15], v23 offset:2112
	ds_load_b128 v[16:19], v23 offset:80
	;; [unrolled: 1-line block ×4, first 2 shown]
	s_waitcnt lgkmcnt(4)
	v_mul_f64 v[54:55], v[10:11], v[32:33]
	v_mul_f64 v[76:77], v[8:9], v[32:33]
	;; [unrolled: 1-line block ×4, first 2 shown]
	v_fma_f64 v[86:87], v[64:65], v[82:83], v[86:87]
	v_fma_f64 v[62:63], v[62:63], v[26:27], -v[88:89]
	v_fma_f64 v[64:65], v[64:65], v[26:27], v[90:91]
	v_fma_f64 v[88:89], v[78:79], v[82:83], -v[92:93]
	;; [unrolled: 2-line block ×3, first 2 shown]
	v_fma_f64 v[80:81], v[80:81], v[26:27], v[28:29]
	s_waitcnt lgkmcnt(3)
	v_mul_f64 v[102:103], v[14:15], v[32:33]
	v_mul_f64 v[32:33], v[12:13], v[32:33]
	;; [unrolled: 1-line block ×4, first 2 shown]
	s_waitcnt lgkmcnt(0)
	v_mul_f64 v[90:91], v[18:19], v[40:41]
	v_mul_f64 v[92:93], v[16:17], v[40:41]
	v_add_f64 v[72:73], v[72:73], v[104:105]
	v_add_f64 v[74:75], v[74:75], v[106:107]
	;; [unrolled: 1-line block ×8, first 2 shown]
	ds_load_b128 v[26:29], v22 offset:2816
	ds_load_b128 v[42:45], v22 offset:3072
	;; [unrolled: 1-line block ×4, first 2 shown]
	v_mul_f64 v[104:105], v[36:37], v[40:41]
	v_mul_f64 v[40:41], v[34:35], v[40:41]
	v_fma_f64 v[54:55], v[8:9], v[30:31], -v[54:55]
	v_fma_f64 v[76:77], v[10:11], v[30:31], v[76:77]
	v_fma_f64 v[98:99], v[8:9], v[4:5], -v[98:99]
	v_fma_f64 v[100:101], v[10:11], v[4:5], v[100:101]
	s_waitcnt lgkmcnt(3)
	v_mul_f64 v[94:95], v[18:19], v[28:29]
	v_mul_f64 v[96:97], v[16:17], v[28:29]
	;; [unrolled: 1-line block ×4, first 2 shown]
	v_fma_f64 v[102:103], v[12:13], v[30:31], -v[102:103]
	v_fma_f64 v[32:33], v[14:15], v[30:31], v[32:33]
	v_fma_f64 v[108:109], v[12:13], v[4:5], -v[108:109]
	v_fma_f64 v[112:113], v[14:15], v[4:5], v[6:7]
	ds_load_b128 v[4:7], v23 offset:2144
	ds_load_b128 v[8:11], v23 offset:112
	;; [unrolled: 1-line block ×4, first 2 shown]
	v_add_f64 v[56:57], v[72:73], v[56:57]
	v_add_f64 v[72:73], v[74:75], v[86:87]
	;; [unrolled: 1-line block ×8, first 2 shown]
	s_waitcnt lgkmcnt(4)
	v_mul_f64 v[70:71], v[52:53], v[44:45]
	v_mul_f64 v[74:75], v[50:51], v[44:45]
	;; [unrolled: 1-line block ×4, first 2 shown]
	s_waitcnt lgkmcnt(3)
	v_mul_f64 v[82:83], v[6:7], v[44:45]
	v_mul_f64 v[44:45], v[4:5], v[44:45]
	;; [unrolled: 1-line block ×4, first 2 shown]
	v_fma_f64 v[86:87], v[16:17], v[38:39], -v[90:91]
	v_fma_f64 v[88:89], v[18:19], v[38:39], v[92:93]
	v_fma_f64 v[90:91], v[16:17], v[26:27], -v[94:95]
	v_fma_f64 v[92:93], v[18:19], v[26:27], v[96:97]
	;; [unrolled: 2-line block ×4, first 2 shown]
	ds_load_b128 v[16:19], v22 offset:3840
	s_waitcnt lgkmcnt(0)
	s_barrier
	buffer_gl0_inv
	v_add_f64 v[36:37], v[56:57], v[54:55]
	v_add_f64 v[40:41], v[72:73], v[76:77]
	;; [unrolled: 1-line block ×8, first 2 shown]
	v_mul_f64 v[64:65], v[10:11], v[30:31]
	v_mul_f64 v[66:67], v[8:9], v[30:31]
	;; [unrolled: 1-line block ×4, first 2 shown]
	v_fma_f64 v[70:71], v[50:51], v[42:43], -v[70:71]
	v_mul_f64 v[68:69], v[10:11], v[18:19]
	v_mul_f64 v[72:73], v[8:9], v[18:19]
	;; [unrolled: 1-line block ×4, first 2 shown]
	v_fma_f64 v[74:75], v[52:53], v[42:43], v[74:75]
	v_fma_f64 v[50:51], v[50:51], v[46:47], -v[78:79]
	v_fma_f64 v[52:53], v[52:53], v[46:47], v[80:81]
	v_fma_f64 v[78:79], v[4:5], v[42:43], -v[82:83]
	;; [unrolled: 2-line block ×3, first 2 shown]
	v_fma_f64 v[6:7], v[6:7], v[46:47], v[48:49]
	v_add_f64 v[36:37], v[36:37], v[86:87]
	v_add_f64 v[40:41], v[40:41], v[88:89]
	;; [unrolled: 1-line block ×8, first 2 shown]
	v_fma_f64 v[38:39], v[8:9], v[28:29], -v[64:65]
	v_fma_f64 v[54:55], v[10:11], v[28:29], v[66:67]
	v_fma_f64 v[56:57], v[12:13], v[28:29], -v[76:77]
	v_fma_f64 v[28:29], v[14:15], v[28:29], v[30:31]
	;; [unrolled: 2-line block ×4, first 2 shown]
	v_add_f64 v[12:13], v[36:37], v[70:71]
	v_add_f64 v[14:15], v[40:41], v[74:75]
	;; [unrolled: 1-line block ×16, first 2 shown]
	s_cbranch_vccz .LBB1802_2
.LBB1802_3:
	v_add_nc_u32_e32 v21, s23, v21
	s_load_b32 s4, s[0:1], 0x0
	s_delay_alu instid0(VALU_DEP_1) | instskip(SKIP_2) | instid1(VALU_DEP_3)
	v_ashrrev_i32_e32 v0, 31, v21
	v_mul_lo_u32 v3, v21, s19
	v_mad_u64_u32 v[1:2], null, v21, s18, 0
	v_mul_lo_u32 v0, v0, s18
	s_delay_alu instid0(VALU_DEP_1) | instskip(SKIP_3) | instid1(VALU_DEP_3)
	v_add3_u32 v2, v2, v3, v0
	v_add_nc_u32_e32 v0, s22, v20
	s_waitcnt lgkmcnt(0)
	v_cmp_gt_i32_e32 vcc_lo, s4, v21
	v_lshlrev_b64 v[1:2], 4, v[1:2]
	s_delay_alu instid0(VALU_DEP_3) | instskip(NEXT) | instid1(VALU_DEP_1)
	v_cmp_le_i32_e64 s0, v0, v21
	s_and_b32 s0, vcc_lo, s0
	s_delay_alu instid0(VALU_DEP_2) | instskip(NEXT) | instid1(VALU_DEP_1)
	v_add_co_u32 v20, s1, s2, v1
	v_add_co_ci_u32_e64 v22, s1, s3, v2, s1
	s_and_saveexec_b32 s5, s0
	s_cbranch_execz .LBB1802_5
; %bb.4:
	v_mul_f64 v[1:2], s[6:7], v[18:19]
	v_mul_f64 v[18:19], s[8:9], v[18:19]
	v_cmp_ne_u32_e64 s0, v21, v0
	s_delay_alu instid0(VALU_DEP_3) | instskip(NEXT) | instid1(VALU_DEP_3)
	v_fma_f64 v[2:3], s[8:9], v[16:17], v[1:2]
	v_fma_f64 v[16:17], s[6:7], v[16:17], -v[18:19]
	v_ashrrev_i32_e32 v1, 31, v0
	s_delay_alu instid0(VALU_DEP_1) | instskip(NEXT) | instid1(VALU_DEP_1)
	v_lshlrev_b64 v[18:19], 4, v[0:1]
	v_add_co_u32 v23, s1, v20, v18
	s_delay_alu instid0(VALU_DEP_1)
	v_add_co_ci_u32_e64 v24, s1, v22, v19, s1
	v_cndmask_b32_e64 v19, 0, v3, s0
	v_cndmask_b32_e64 v18, 0, v2, s0
	global_store_b128 v[23:24], v[16:19], off
.LBB1802_5:
	s_or_b32 exec_lo, exec_lo, s5
	v_add_nc_u32_e32 v2, 16, v0
	s_delay_alu instid0(VALU_DEP_1) | instskip(NEXT) | instid1(VALU_DEP_1)
	v_cmp_le_i32_e64 s0, v2, v21
	s_and_b32 s0, vcc_lo, s0
	s_delay_alu instid0(SALU_CYCLE_1)
	s_and_saveexec_b32 s1, s0
	s_cbranch_execz .LBB1802_7
; %bb.6:
	v_mul_f64 v[16:17], s[6:7], v[12:13]
	v_mul_f64 v[12:13], s[8:9], v[12:13]
	v_ashrrev_i32_e32 v3, 31, v2
	v_cmp_ne_u32_e32 vcc_lo, v21, v2
	s_delay_alu instid0(VALU_DEP_4) | instskip(NEXT) | instid1(VALU_DEP_4)
	v_fma_f64 v[16:17], s[8:9], v[14:15], v[16:17]
	v_fma_f64 v[12:13], s[6:7], v[14:15], -v[12:13]
	s_delay_alu instid0(VALU_DEP_4) | instskip(NEXT) | instid1(VALU_DEP_1)
	v_lshlrev_b64 v[14:15], 4, v[2:3]
	v_add_co_u32 v18, s0, v20, v14
	s_delay_alu instid0(VALU_DEP_1)
	v_add_co_ci_u32_e64 v19, s0, v22, v15, s0
	v_dual_cndmask_b32 v15, 0, v17 :: v_dual_cndmask_b32 v14, 0, v16
	global_store_b128 v[18:19], v[12:15], off
.LBB1802_7:
	s_or_b32 exec_lo, exec_lo, s1
	v_add_nc_u32_e32 v3, 16, v21
	s_delay_alu instid0(VALU_DEP_1) | instskip(SKIP_3) | instid1(VALU_DEP_4)
	v_ashrrev_i32_e32 v1, 31, v3
	v_mul_lo_u32 v14, v3, s19
	v_mad_u64_u32 v[12:13], null, v3, s18, 0
	v_cmp_gt_i32_e32 vcc_lo, s4, v3
	v_mul_lo_u32 v1, v1, s18
	v_cmp_le_i32_e64 s0, v0, v3
	s_delay_alu instid0(VALU_DEP_1) | instskip(NEXT) | instid1(VALU_DEP_2)
	s_and_b32 s0, vcc_lo, s0
	v_add3_u32 v13, v13, v14, v1
	s_delay_alu instid0(VALU_DEP_1) | instskip(NEXT) | instid1(VALU_DEP_1)
	v_lshlrev_b64 v[12:13], 4, v[12:13]
	v_add_co_u32 v12, s1, s2, v12
	s_delay_alu instid0(VALU_DEP_1)
	v_add_co_ci_u32_e64 v13, s1, s3, v13, s1
	s_and_saveexec_b32 s2, s0
	s_cbranch_execz .LBB1802_9
; %bb.8:
	v_mul_f64 v[14:15], s[6:7], v[10:11]
	v_mul_f64 v[10:11], s[8:9], v[10:11]
	v_ashrrev_i32_e32 v1, 31, v0
	v_cmp_ne_u32_e64 s0, v3, v0
	s_delay_alu instid0(VALU_DEP_4) | instskip(NEXT) | instid1(VALU_DEP_4)
	v_fma_f64 v[14:15], s[8:9], v[8:9], v[14:15]
	v_fma_f64 v[8:9], s[6:7], v[8:9], -v[10:11]
	s_delay_alu instid0(VALU_DEP_4) | instskip(NEXT) | instid1(VALU_DEP_1)
	v_lshlrev_b64 v[10:11], 4, v[0:1]
	v_add_co_u32 v16, s1, v12, v10
	s_delay_alu instid0(VALU_DEP_1)
	v_add_co_ci_u32_e64 v17, s1, v13, v11, s1
	v_cndmask_b32_e64 v11, 0, v15, s0
	v_cndmask_b32_e64 v10, 0, v14, s0
	global_store_b128 v[16:17], v[8:11], off
.LBB1802_9:
	s_or_b32 exec_lo, exec_lo, s2
	v_cmp_le_i32_e64 s0, v2, v3
	s_delay_alu instid0(VALU_DEP_1) | instskip(NEXT) | instid1(SALU_CYCLE_1)
	s_and_b32 s0, vcc_lo, s0
	s_and_saveexec_b32 s1, s0
	s_cbranch_execz .LBB1802_11
; %bb.10:
	v_mul_f64 v[8:9], s[6:7], v[4:5]
	v_mul_f64 v[3:4], s[8:9], v[4:5]
	v_cmp_ne_u32_e32 vcc_lo, v21, v0
	s_delay_alu instid0(VALU_DEP_3) | instskip(NEXT) | instid1(VALU_DEP_3)
	v_fma_f64 v[8:9], s[8:9], v[6:7], v[8:9]
	v_fma_f64 v[4:5], s[6:7], v[6:7], -v[3:4]
	v_ashrrev_i32_e32 v3, 31, v2
	s_delay_alu instid0(VALU_DEP_1) | instskip(NEXT) | instid1(VALU_DEP_1)
	v_lshlrev_b64 v[1:2], 4, v[2:3]
	v_add_co_u32 v0, s0, v12, v1
	s_delay_alu instid0(VALU_DEP_1)
	v_add_co_ci_u32_e64 v1, s0, v13, v2, s0
	v_dual_cndmask_b32 v7, 0, v9 :: v_dual_cndmask_b32 v6, 0, v8
	global_store_b128 v[0:1], v[4:7], off
.LBB1802_11:
	s_nop 0
	s_sendmsg sendmsg(MSG_DEALLOC_VGPRS)
	s_endpgm
	.section	.rodata,"a",@progbits
	.p2align	6, 0x0
	.amdhsa_kernel _ZL37rocblas_syrkx_herkx_restricted_kernelIl19rocblas_complex_numIdELi16ELi32ELi8ELb1ELb1ELc78ELc85EKPKS1_KPS1_EviT_T0_PT8_S7_lSA_S7_lS8_PT9_S7_li
		.amdhsa_group_segment_fixed_size 8192
		.amdhsa_private_segment_fixed_size 0
		.amdhsa_kernarg_size 124
		.amdhsa_user_sgpr_count 13
		.amdhsa_user_sgpr_dispatch_ptr 0
		.amdhsa_user_sgpr_queue_ptr 0
		.amdhsa_user_sgpr_kernarg_segment_ptr 1
		.amdhsa_user_sgpr_dispatch_id 0
		.amdhsa_user_sgpr_private_segment_size 0
		.amdhsa_wavefront_size32 1
		.amdhsa_uses_dynamic_stack 0
		.amdhsa_enable_private_segment 0
		.amdhsa_system_sgpr_workgroup_id_x 1
		.amdhsa_system_sgpr_workgroup_id_y 1
		.amdhsa_system_sgpr_workgroup_id_z 1
		.amdhsa_system_sgpr_workgroup_info 0
		.amdhsa_system_vgpr_workitem_id 1
		.amdhsa_next_free_vgpr 118
		.amdhsa_next_free_sgpr 24
		.amdhsa_reserve_vcc 1
		.amdhsa_float_round_mode_32 0
		.amdhsa_float_round_mode_16_64 0
		.amdhsa_float_denorm_mode_32 3
		.amdhsa_float_denorm_mode_16_64 3
		.amdhsa_dx10_clamp 1
		.amdhsa_ieee_mode 1
		.amdhsa_fp16_overflow 0
		.amdhsa_workgroup_processor_mode 1
		.amdhsa_memory_ordered 1
		.amdhsa_forward_progress 0
		.amdhsa_shared_vgpr_count 0
		.amdhsa_exception_fp_ieee_invalid_op 0
		.amdhsa_exception_fp_denorm_src 0
		.amdhsa_exception_fp_ieee_div_zero 0
		.amdhsa_exception_fp_ieee_overflow 0
		.amdhsa_exception_fp_ieee_underflow 0
		.amdhsa_exception_fp_ieee_inexact 0
		.amdhsa_exception_int_div_zero 0
	.end_amdhsa_kernel
	.section	.text._ZL37rocblas_syrkx_herkx_restricted_kernelIl19rocblas_complex_numIdELi16ELi32ELi8ELb1ELb1ELc78ELc85EKPKS1_KPS1_EviT_T0_PT8_S7_lSA_S7_lS8_PT9_S7_li,"axG",@progbits,_ZL37rocblas_syrkx_herkx_restricted_kernelIl19rocblas_complex_numIdELi16ELi32ELi8ELb1ELb1ELc78ELc85EKPKS1_KPS1_EviT_T0_PT8_S7_lSA_S7_lS8_PT9_S7_li,comdat
.Lfunc_end1802:
	.size	_ZL37rocblas_syrkx_herkx_restricted_kernelIl19rocblas_complex_numIdELi16ELi32ELi8ELb1ELb1ELc78ELc85EKPKS1_KPS1_EviT_T0_PT8_S7_lSA_S7_lS8_PT9_S7_li, .Lfunc_end1802-_ZL37rocblas_syrkx_herkx_restricted_kernelIl19rocblas_complex_numIdELi16ELi32ELi8ELb1ELb1ELc78ELc85EKPKS1_KPS1_EviT_T0_PT8_S7_lSA_S7_lS8_PT9_S7_li
                                        ; -- End function
	.section	.AMDGPU.csdata,"",@progbits
; Kernel info:
; codeLenInByte = 3208
; NumSgprs: 26
; NumVgprs: 118
; ScratchSize: 0
; MemoryBound: 0
; FloatMode: 240
; IeeeMode: 1
; LDSByteSize: 8192 bytes/workgroup (compile time only)
; SGPRBlocks: 3
; VGPRBlocks: 14
; NumSGPRsForWavesPerEU: 26
; NumVGPRsForWavesPerEU: 118
; Occupancy: 12
; WaveLimiterHint : 1
; COMPUTE_PGM_RSRC2:SCRATCH_EN: 0
; COMPUTE_PGM_RSRC2:USER_SGPR: 13
; COMPUTE_PGM_RSRC2:TRAP_HANDLER: 0
; COMPUTE_PGM_RSRC2:TGID_X_EN: 1
; COMPUTE_PGM_RSRC2:TGID_Y_EN: 1
; COMPUTE_PGM_RSRC2:TGID_Z_EN: 1
; COMPUTE_PGM_RSRC2:TIDIG_COMP_CNT: 1
	.section	.text._ZL37rocblas_syrkx_herkx_restricted_kernelIl19rocblas_complex_numIdELi16ELi32ELi8ELb0ELb1ELc84ELc76EKPKS1_KPS1_EviT_T0_PT8_S7_lSA_S7_lS8_PT9_S7_li,"axG",@progbits,_ZL37rocblas_syrkx_herkx_restricted_kernelIl19rocblas_complex_numIdELi16ELi32ELi8ELb0ELb1ELc84ELc76EKPKS1_KPS1_EviT_T0_PT8_S7_lSA_S7_lS8_PT9_S7_li,comdat
	.globl	_ZL37rocblas_syrkx_herkx_restricted_kernelIl19rocblas_complex_numIdELi16ELi32ELi8ELb0ELb1ELc84ELc76EKPKS1_KPS1_EviT_T0_PT8_S7_lSA_S7_lS8_PT9_S7_li ; -- Begin function _ZL37rocblas_syrkx_herkx_restricted_kernelIl19rocblas_complex_numIdELi16ELi32ELi8ELb0ELb1ELc84ELc76EKPKS1_KPS1_EviT_T0_PT8_S7_lSA_S7_lS8_PT9_S7_li
	.p2align	8
	.type	_ZL37rocblas_syrkx_herkx_restricted_kernelIl19rocblas_complex_numIdELi16ELi32ELi8ELb0ELb1ELc84ELc76EKPKS1_KPS1_EviT_T0_PT8_S7_lSA_S7_lS8_PT9_S7_li,@function
_ZL37rocblas_syrkx_herkx_restricted_kernelIl19rocblas_complex_numIdELi16ELi32ELi8ELb0ELb1ELc84ELc76EKPKS1_KPS1_EviT_T0_PT8_S7_lSA_S7_lS8_PT9_S7_li: ; @_ZL37rocblas_syrkx_herkx_restricted_kernelIl19rocblas_complex_numIdELi16ELi32ELi8ELb0ELb1ELc84ELc76EKPKS1_KPS1_EviT_T0_PT8_S7_lSA_S7_lS8_PT9_S7_li
; %bb.0:
	s_clause 0x1
	s_load_b256 s[4:11], s[0:1], 0x50
	s_load_b256 s[16:23], s[0:1], 0x8
	s_mov_b32 s2, s15
	s_mov_b32 s3, 0
	v_mov_b32_e32 v16, 0
	s_lshl_b64 s[24:25], s[2:3], 3
	v_dual_mov_b32 v17, 0 :: v_dual_and_b32 v20, 0x3ff, v0
	v_bfe_u32 v21, v0, 10, 10
	s_delay_alu instid0(VALU_DEP_3) | instskip(NEXT) | instid1(VALU_DEP_3)
	v_mov_b32_e32 v12, v16
	v_dual_mov_b32 v14, v16 :: v_dual_mov_b32 v15, v17
	v_dual_mov_b32 v19, v17 :: v_dual_mov_b32 v18, v16
	;; [unrolled: 1-line block ×5, first 2 shown]
	v_mov_b32_e32 v7, v17
	s_waitcnt lgkmcnt(0)
	s_add_u32 s2, s8, s24
	s_addc_u32 s3, s9, s25
	s_load_b64 s[8:9], s[0:1], 0x28
	s_load_b64 s[2:3], s[2:3], 0x0
	v_cmp_lt_i64_e64 s12, s[16:17], 1
	v_dual_mov_b32 v4, v16 :: v_dual_mov_b32 v5, v17
	s_lshl_b32 s26, s13, 5
	s_lshl_b32 s27, s14, 5
	s_delay_alu instid0(VALU_DEP_2)
	s_and_b32 vcc_lo, exec_lo, s12
	s_cbranch_vccnz .LBB1803_3
; %bb.1:
	v_lshl_add_u32 v2, v21, 4, v20
	s_load_b128 s[12:15], s[0:1], 0x38
	v_dual_mov_b32 v1, 0 :: v_dual_and_b32 v0, 7, v20
	s_add_u32 s22, s22, s24
	s_delay_alu instid0(VALU_DEP_2)
	v_and_b32_e32 v9, 31, v2
	v_lshrrev_b32_e32 v8, 3, v2
	v_lshrrev_b32_e32 v2, 5, v2
	s_addc_u32 s23, s23, s25
	v_lshl_add_u32 v23, v21, 7, 0x1000
	v_add_nc_u32_e32 v6, s26, v9
	v_dual_mov_b32 v3, v1 :: v_dual_add_nc_u32 v10, s27, v8
	s_load_b64 s[22:23], s[22:23], 0x0
	s_delay_alu instid0(VALU_DEP_2) | instskip(NEXT) | instid1(VALU_DEP_2)
	v_ashrrev_i32_e32 v11, 31, v6
	v_ashrrev_i32_e32 v7, 31, v10
	s_waitcnt lgkmcnt(0)
	v_mad_u64_u32 v[4:5], null, s8, v6, v[2:3]
	v_mul_lo_u32 v3, s9, v6
	v_mul_lo_u32 v11, s8, v11
	s_add_u32 s12, s12, s24
	s_addc_u32 s13, s13, s25
	v_mul_lo_u32 v12, v7, s14
	s_load_b64 s[8:9], s[12:13], 0x0
	v_mul_lo_u32 v13, v10, s15
	v_mad_u64_u32 v[6:7], null, v10, s14, v[0:1]
	v_lshlrev_b32_e32 v0, 4, v0
	v_add3_u32 v5, v3, v5, v11
	s_delay_alu instid0(VALU_DEP_2) | instskip(NEXT) | instid1(VALU_DEP_2)
	v_lshl_or_b32 v8, v8, 7, v0
	v_lshlrev_b64 v[0:1], 4, v[4:5]
	v_mov_b32_e32 v4, 0
	v_add3_u32 v7, v12, v7, v13
	v_mov_b32_e32 v5, 0
	v_lshlrev_b32_e32 v3, 4, v9
	v_lshlrev_b32_e32 v22, 4, v20
	v_add_co_u32 v0, vcc_lo, v0, s22
	s_delay_alu instid0(VALU_DEP_4) | instskip(NEXT) | instid1(VALU_DEP_4)
	v_mov_b32_e32 v11, v5
	v_lshl_or_b32 v24, v2, 9, v3
	v_lshlrev_b64 v[2:3], 4, v[6:7]
	v_add_co_ci_u32_e32 v1, vcc_lo, s23, v1, vcc_lo
	v_mov_b32_e32 v7, v5
	v_dual_mov_b32 v10, v4 :: v_dual_add_nc_u32 v25, 0x1000, v8
	s_waitcnt lgkmcnt(0)
	s_delay_alu instid0(VALU_DEP_4) | instskip(SKIP_3) | instid1(VALU_DEP_4)
	v_add_co_u32 v2, vcc_lo, v2, s8
	v_add_co_ci_u32_e32 v3, vcc_lo, s9, v3, vcc_lo
	v_add_co_u32 v0, vcc_lo, v0, 8
	v_add_co_ci_u32_e32 v1, vcc_lo, 0, v1, vcc_lo
	v_add_co_u32 v2, vcc_lo, v2, 8
	s_delay_alu instid0(VALU_DEP_4)
	v_add_co_ci_u32_e32 v3, vcc_lo, 0, v3, vcc_lo
	v_dual_mov_b32 v6, v4 :: v_dual_mov_b32 v9, v5
	v_dual_mov_b32 v8, v4 :: v_dual_mov_b32 v15, v5
	;; [unrolled: 1-line block ×5, first 2 shown]
	v_mov_b32_e32 v16, v4
	s_mov_b64 s[8:9], 0
.LBB1803_2:                             ; =>This Inner Loop Header: Depth=1
	global_load_b128 v[26:29], v[0:1], off offset:-8
	global_load_b128 v[30:33], v[2:3], off offset:-8
	s_add_u32 s8, s8, 8
	v_add_co_u32 v0, vcc_lo, 0x80, v0
	s_addc_u32 s9, s9, 0
	v_add_co_ci_u32_e32 v1, vcc_lo, 0, v1, vcc_lo
	v_cmp_ge_u64_e64 s12, s[8:9], s[16:17]
	v_add_co_u32 v2, vcc_lo, 0x80, v2
	v_add_co_ci_u32_e32 v3, vcc_lo, 0, v3, vcc_lo
	s_waitcnt vmcnt(1)
	ds_store_b128 v24, v[26:29]
	s_waitcnt vmcnt(0)
	ds_store_b128 v25, v[30:33]
	s_waitcnt lgkmcnt(0)
	s_barrier
	buffer_gl0_inv
	ds_load_b128 v[26:29], v23
	ds_load_b128 v[30:33], v22
	ds_load_b128 v[34:37], v22 offset:256
	ds_load_b128 v[38:41], v23 offset:2048
	;; [unrolled: 1-line block ×13, first 2 shown]
	s_and_b32 vcc_lo, exec_lo, s12
	s_waitcnt lgkmcnt(13)
	v_mul_f64 v[86:87], v[28:29], v[32:33]
	v_mul_f64 v[88:89], v[26:27], v[32:33]
	s_waitcnt lgkmcnt(12)
	v_mul_f64 v[90:91], v[28:29], v[36:37]
	v_mul_f64 v[92:93], v[26:27], v[36:37]
	;; [unrolled: 3-line block ×3, first 2 shown]
	v_mul_f64 v[96:97], v[40:41], v[36:37]
	v_mul_f64 v[36:37], v[38:39], v[36:37]
	s_waitcnt lgkmcnt(8)
	v_mul_f64 v[98:99], v[44:45], v[52:53]
	v_mul_f64 v[100:101], v[42:43], v[52:53]
	s_waitcnt lgkmcnt(7)
	v_mul_f64 v[102:103], v[44:45], v[56:57]
	v_mul_f64 v[104:105], v[42:43], v[56:57]
	;; [unrolled: 1-line block ×6, first 2 shown]
	s_waitcnt lgkmcnt(3)
	v_mul_f64 v[112:113], v[58:59], v[72:73]
	s_waitcnt lgkmcnt(2)
	v_mul_f64 v[114:115], v[76:77], v[68:69]
	v_mul_f64 v[116:117], v[76:77], v[72:73]
	v_fma_f64 v[86:87], v[26:27], v[30:31], -v[86:87]
	v_fma_f64 v[88:89], v[28:29], v[30:31], v[88:89]
	v_fma_f64 v[90:91], v[26:27], v[34:35], -v[90:91]
	v_fma_f64 v[92:93], v[28:29], v[34:35], v[92:93]
	;; [unrolled: 2-line block ×4, first 2 shown]
	v_mul_f64 v[36:37], v[60:61], v[68:69]
	v_mul_f64 v[40:41], v[58:59], v[68:69]
	;; [unrolled: 1-line block ×5, first 2 shown]
	v_fma_f64 v[98:99], v[42:43], v[50:51], -v[98:99]
	v_fma_f64 v[100:101], v[44:45], v[50:51], v[100:101]
	v_fma_f64 v[42:43], v[42:43], v[54:55], -v[102:103]
	v_fma_f64 v[44:45], v[44:45], v[54:55], v[104:105]
	;; [unrolled: 2-line block ×4, first 2 shown]
	ds_load_b128 v[26:29], v22 offset:1792
	ds_load_b128 v[30:33], v22 offset:2048
	s_waitcnt lgkmcnt(2)
	v_mul_f64 v[56:57], v[64:65], v[84:85]
	v_add_f64 v[16:17], v[16:17], v[86:87]
	v_add_f64 v[18:19], v[18:19], v[88:89]
	;; [unrolled: 1-line block ×8, first 2 shown]
	v_mul_f64 v[86:87], v[62:63], v[84:85]
	s_waitcnt lgkmcnt(1)
	v_mul_f64 v[88:89], v[64:65], v[28:29]
	v_mul_f64 v[90:91], v[62:63], v[28:29]
	;; [unrolled: 1-line block ×6, first 2 shown]
	v_fma_f64 v[104:105], v[58:59], v[66:67], -v[36:37]
	v_fma_f64 v[106:107], v[60:61], v[66:67], v[40:41]
	v_fma_f64 v[58:59], v[58:59], v[70:71], -v[96:97]
	v_fma_f64 v[60:61], v[60:61], v[70:71], v[112:113]
	v_fma_f64 v[96:97], v[74:75], v[66:67], -v[114:115]
	v_fma_f64 v[66:67], v[76:77], v[66:67], v[68:69]
	v_fma_f64 v[68:69], v[74:75], v[70:71], -v[116:117]
	v_fma_f64 v[70:71], v[76:77], v[70:71], v[72:73]
	ds_load_b128 v[4:7], v22 offset:2304
	ds_load_b128 v[8:11], v23 offset:64
	v_fma_f64 v[56:57], v[62:63], v[82:83], -v[56:57]
	v_add_f64 v[72:73], v[16:17], v[98:99]
	v_add_f64 v[74:75], v[18:19], v[100:101]
	;; [unrolled: 1-line block ×8, first 2 shown]
	ds_load_b128 v[12:15], v23 offset:2112
	ds_load_b128 v[16:19], v23 offset:80
	;; [unrolled: 1-line block ×4, first 2 shown]
	s_waitcnt lgkmcnt(4)
	v_mul_f64 v[54:55], v[10:11], v[32:33]
	v_mul_f64 v[76:77], v[8:9], v[32:33]
	;; [unrolled: 1-line block ×4, first 2 shown]
	v_fma_f64 v[86:87], v[64:65], v[82:83], v[86:87]
	v_fma_f64 v[62:63], v[62:63], v[26:27], -v[88:89]
	v_fma_f64 v[64:65], v[64:65], v[26:27], v[90:91]
	v_fma_f64 v[88:89], v[78:79], v[82:83], -v[92:93]
	v_fma_f64 v[82:83], v[80:81], v[82:83], v[84:85]
	v_fma_f64 v[78:79], v[78:79], v[26:27], -v[94:95]
	v_fma_f64 v[80:81], v[80:81], v[26:27], v[28:29]
	s_waitcnt lgkmcnt(3)
	v_mul_f64 v[102:103], v[14:15], v[32:33]
	v_mul_f64 v[32:33], v[12:13], v[32:33]
	;; [unrolled: 1-line block ×4, first 2 shown]
	s_waitcnt lgkmcnt(0)
	v_mul_f64 v[90:91], v[18:19], v[40:41]
	v_mul_f64 v[92:93], v[16:17], v[40:41]
	v_add_f64 v[72:73], v[72:73], v[104:105]
	v_add_f64 v[74:75], v[74:75], v[106:107]
	;; [unrolled: 1-line block ×8, first 2 shown]
	ds_load_b128 v[26:29], v22 offset:2816
	ds_load_b128 v[42:45], v22 offset:3072
	;; [unrolled: 1-line block ×4, first 2 shown]
	v_mul_f64 v[104:105], v[36:37], v[40:41]
	v_mul_f64 v[40:41], v[34:35], v[40:41]
	v_fma_f64 v[54:55], v[8:9], v[30:31], -v[54:55]
	v_fma_f64 v[76:77], v[10:11], v[30:31], v[76:77]
	v_fma_f64 v[98:99], v[8:9], v[4:5], -v[98:99]
	v_fma_f64 v[100:101], v[10:11], v[4:5], v[100:101]
	s_waitcnt lgkmcnt(3)
	v_mul_f64 v[94:95], v[18:19], v[28:29]
	v_mul_f64 v[96:97], v[16:17], v[28:29]
	;; [unrolled: 1-line block ×4, first 2 shown]
	v_fma_f64 v[102:103], v[12:13], v[30:31], -v[102:103]
	v_fma_f64 v[32:33], v[14:15], v[30:31], v[32:33]
	v_fma_f64 v[108:109], v[12:13], v[4:5], -v[108:109]
	v_fma_f64 v[112:113], v[14:15], v[4:5], v[6:7]
	ds_load_b128 v[4:7], v23 offset:2144
	ds_load_b128 v[8:11], v23 offset:112
	;; [unrolled: 1-line block ×4, first 2 shown]
	v_add_f64 v[56:57], v[72:73], v[56:57]
	v_add_f64 v[72:73], v[74:75], v[86:87]
	;; [unrolled: 1-line block ×8, first 2 shown]
	s_waitcnt lgkmcnt(4)
	v_mul_f64 v[70:71], v[52:53], v[44:45]
	v_mul_f64 v[74:75], v[50:51], v[44:45]
	;; [unrolled: 1-line block ×4, first 2 shown]
	s_waitcnt lgkmcnt(3)
	v_mul_f64 v[82:83], v[6:7], v[44:45]
	v_mul_f64 v[44:45], v[4:5], v[44:45]
	;; [unrolled: 1-line block ×4, first 2 shown]
	v_fma_f64 v[86:87], v[16:17], v[38:39], -v[90:91]
	v_fma_f64 v[88:89], v[18:19], v[38:39], v[92:93]
	v_fma_f64 v[90:91], v[16:17], v[26:27], -v[94:95]
	v_fma_f64 v[92:93], v[18:19], v[26:27], v[96:97]
	;; [unrolled: 2-line block ×4, first 2 shown]
	ds_load_b128 v[16:19], v22 offset:3840
	s_waitcnt lgkmcnt(0)
	s_barrier
	buffer_gl0_inv
	v_add_f64 v[36:37], v[56:57], v[54:55]
	v_add_f64 v[40:41], v[72:73], v[76:77]
	v_add_f64 v[54:55], v[58:59], v[98:99]
	v_add_f64 v[56:57], v[60:61], v[100:101]
	v_add_f64 v[58:59], v[62:63], v[102:103]
	v_add_f64 v[32:33], v[64:65], v[32:33]
	v_add_f64 v[60:61], v[66:67], v[108:109]
	v_add_f64 v[62:63], v[68:69], v[112:113]
	v_mul_f64 v[64:65], v[10:11], v[30:31]
	v_mul_f64 v[66:67], v[8:9], v[30:31]
	;; [unrolled: 1-line block ×4, first 2 shown]
	v_fma_f64 v[70:71], v[50:51], v[42:43], -v[70:71]
	v_mul_f64 v[68:69], v[10:11], v[18:19]
	v_mul_f64 v[72:73], v[8:9], v[18:19]
	;; [unrolled: 1-line block ×4, first 2 shown]
	v_fma_f64 v[74:75], v[52:53], v[42:43], v[74:75]
	v_fma_f64 v[50:51], v[50:51], v[46:47], -v[78:79]
	v_fma_f64 v[52:53], v[52:53], v[46:47], v[80:81]
	v_fma_f64 v[78:79], v[4:5], v[42:43], -v[82:83]
	;; [unrolled: 2-line block ×3, first 2 shown]
	v_fma_f64 v[6:7], v[6:7], v[46:47], v[48:49]
	v_add_f64 v[36:37], v[36:37], v[86:87]
	v_add_f64 v[40:41], v[40:41], v[88:89]
	;; [unrolled: 1-line block ×8, first 2 shown]
	v_fma_f64 v[38:39], v[8:9], v[28:29], -v[64:65]
	v_fma_f64 v[54:55], v[10:11], v[28:29], v[66:67]
	v_fma_f64 v[56:57], v[12:13], v[28:29], -v[76:77]
	v_fma_f64 v[28:29], v[14:15], v[28:29], v[30:31]
	;; [unrolled: 2-line block ×4, first 2 shown]
	v_add_f64 v[12:13], v[36:37], v[70:71]
	v_add_f64 v[14:15], v[40:41], v[74:75]
	;; [unrolled: 1-line block ×16, first 2 shown]
	s_cbranch_vccz .LBB1803_2
.LBB1803_3:
	v_add_nc_u32_e32 v21, s27, v21
	s_waitcnt lgkmcnt(0)
	s_load_b32 s8, s[0:1], 0x0
	s_delay_alu instid0(VALU_DEP_1) | instskip(SKIP_2) | instid1(VALU_DEP_3)
	v_ashrrev_i32_e32 v0, 31, v21
	v_mul_lo_u32 v3, v21, s11
	v_mad_u64_u32 v[1:2], null, v21, s10, 0
	v_mul_lo_u32 v0, v0, s10
	s_delay_alu instid0(VALU_DEP_1) | instskip(SKIP_1) | instid1(VALU_DEP_2)
	v_add3_u32 v2, v2, v3, v0
	v_add_nc_u32_e32 v0, s26, v20
	v_lshlrev_b64 v[1:2], 4, v[1:2]
	s_delay_alu instid0(VALU_DEP_2) | instskip(SKIP_2) | instid1(VALU_DEP_3)
	v_cmp_le_i32_e64 s0, v21, v0
	s_waitcnt lgkmcnt(0)
	v_cmp_gt_i32_e32 vcc_lo, s8, v0
	v_add_co_u32 v20, s1, s2, v1
	s_delay_alu instid0(VALU_DEP_1) | instskip(SKIP_1) | instid1(SALU_CYCLE_1)
	v_add_co_ci_u32_e64 v22, s1, s3, v2, s1
	s_and_b32 s0, s0, vcc_lo
	s_and_saveexec_b32 s1, s0
	s_cbranch_execz .LBB1803_5
; %bb.4:
	v_ashrrev_i32_e32 v1, 31, v0
	v_mul_f64 v[27:28], s[18:19], v[18:19]
	v_mul_f64 v[18:19], s[20:21], v[18:19]
	s_delay_alu instid0(VALU_DEP_3) | instskip(NEXT) | instid1(VALU_DEP_1)
	v_lshlrev_b64 v[1:2], 4, v[0:1]
	v_add_co_u32 v1, s0, v20, v1
	s_delay_alu instid0(VALU_DEP_1)
	v_add_co_ci_u32_e64 v2, s0, v22, v2, s0
	v_cmp_ne_u32_e64 s0, v21, v0
	global_load_b128 v[23:26], v[1:2], off
	v_fma_f64 v[27:28], s[20:21], v[16:17], v[27:28]
	v_fma_f64 v[16:17], s[18:19], v[16:17], -v[18:19]
	s_waitcnt vmcnt(0)
	v_mul_f64 v[29:30], s[4:5], v[25:26]
	v_mul_f64 v[25:26], s[6:7], v[25:26]
	s_delay_alu instid0(VALU_DEP_2) | instskip(NEXT) | instid1(VALU_DEP_2)
	v_fma_f64 v[29:30], s[6:7], v[23:24], v[29:30]
	v_fma_f64 v[18:19], s[4:5], v[23:24], -v[25:26]
	s_delay_alu instid0(VALU_DEP_2) | instskip(NEXT) | instid1(VALU_DEP_2)
	v_add_f64 v[23:24], v[27:28], v[29:30]
	v_add_f64 v[16:17], v[16:17], v[18:19]
	s_delay_alu instid0(VALU_DEP_2) | instskip(NEXT) | instid1(VALU_DEP_3)
	v_cndmask_b32_e64 v19, 0, v24, s0
	v_cndmask_b32_e64 v18, 0, v23, s0
	global_store_b128 v[1:2], v[16:19], off
.LBB1803_5:
	s_or_b32 exec_lo, exec_lo, s1
	v_add_nc_u32_e32 v2, 16, v0
	s_delay_alu instid0(VALU_DEP_1) | instskip(SKIP_1) | instid1(VALU_DEP_1)
	v_cmp_le_i32_e64 s1, v21, v2
	v_cmp_gt_i32_e64 s0, s8, v2
	s_and_b32 s1, s1, s0
	s_delay_alu instid0(SALU_CYCLE_1)
	s_and_saveexec_b32 s8, s1
	s_cbranch_execz .LBB1803_7
; %bb.6:
	v_ashrrev_i32_e32 v3, 31, v2
	v_mul_f64 v[25:26], s[18:19], v[14:15]
	v_mul_f64 v[14:15], s[20:21], v[14:15]
	s_delay_alu instid0(VALU_DEP_3) | instskip(NEXT) | instid1(VALU_DEP_1)
	v_lshlrev_b64 v[16:17], 4, v[2:3]
	v_add_co_u32 v23, s1, v20, v16
	s_delay_alu instid0(VALU_DEP_1)
	v_add_co_ci_u32_e64 v24, s1, v22, v17, s1
	v_cmp_ne_u32_e64 s1, v21, v2
	global_load_b128 v[16:19], v[23:24], off
	v_fma_f64 v[25:26], s[20:21], v[12:13], v[25:26]
	v_fma_f64 v[12:13], s[18:19], v[12:13], -v[14:15]
	s_waitcnt vmcnt(0)
	v_mul_f64 v[27:28], s[4:5], v[18:19]
	v_mul_f64 v[18:19], s[6:7], v[18:19]
	s_delay_alu instid0(VALU_DEP_2) | instskip(NEXT) | instid1(VALU_DEP_2)
	v_fma_f64 v[27:28], s[6:7], v[16:17], v[27:28]
	v_fma_f64 v[14:15], s[4:5], v[16:17], -v[18:19]
	s_delay_alu instid0(VALU_DEP_2) | instskip(NEXT) | instid1(VALU_DEP_2)
	v_add_f64 v[16:17], v[25:26], v[27:28]
	v_add_f64 v[12:13], v[12:13], v[14:15]
	s_delay_alu instid0(VALU_DEP_2) | instskip(NEXT) | instid1(VALU_DEP_3)
	v_cndmask_b32_e64 v15, 0, v17, s1
	v_cndmask_b32_e64 v14, 0, v16, s1
	global_store_b128 v[23:24], v[12:15], off
.LBB1803_7:
	s_or_b32 exec_lo, exec_lo, s8
	v_add_nc_u32_e32 v3, 16, v21
	s_delay_alu instid0(VALU_DEP_1) | instskip(SKIP_3) | instid1(VALU_DEP_4)
	v_ashrrev_i32_e32 v1, 31, v3
	v_mul_lo_u32 v14, v3, s11
	v_mad_u64_u32 v[12:13], null, v3, s10, 0
	v_cmp_le_i32_e64 s1, v3, v0
	v_mul_lo_u32 v1, v1, s10
	s_delay_alu instid0(VALU_DEP_1) | instskip(NEXT) | instid1(VALU_DEP_1)
	v_add3_u32 v13, v13, v14, v1
	v_lshlrev_b64 v[12:13], 4, v[12:13]
	s_delay_alu instid0(VALU_DEP_1) | instskip(NEXT) | instid1(VALU_DEP_1)
	v_add_co_u32 v12, s2, s2, v12
	v_add_co_ci_u32_e64 v13, s2, s3, v13, s2
	s_and_b32 s2, s1, vcc_lo
	s_delay_alu instid0(SALU_CYCLE_1)
	s_and_saveexec_b32 s1, s2
	s_cbranch_execz .LBB1803_9
; %bb.8:
	v_ashrrev_i32_e32 v1, 31, v0
	v_mul_f64 v[22:23], s[18:19], v[10:11]
	v_mul_f64 v[10:11], s[20:21], v[10:11]
	s_delay_alu instid0(VALU_DEP_3) | instskip(NEXT) | instid1(VALU_DEP_1)
	v_lshlrev_b64 v[14:15], 4, v[0:1]
	v_add_co_u32 v18, vcc_lo, v12, v14
	s_delay_alu instid0(VALU_DEP_2)
	v_add_co_ci_u32_e32 v19, vcc_lo, v13, v15, vcc_lo
	v_cmp_ne_u32_e32 vcc_lo, v3, v0
	global_load_b128 v[14:17], v[18:19], off
	v_fma_f64 v[22:23], s[20:21], v[8:9], v[22:23]
	v_fma_f64 v[8:9], s[18:19], v[8:9], -v[10:11]
	s_waitcnt vmcnt(0)
	v_mul_f64 v[24:25], s[4:5], v[16:17]
	v_mul_f64 v[16:17], s[6:7], v[16:17]
	s_delay_alu instid0(VALU_DEP_2) | instskip(NEXT) | instid1(VALU_DEP_2)
	v_fma_f64 v[24:25], s[6:7], v[14:15], v[24:25]
	v_fma_f64 v[10:11], s[4:5], v[14:15], -v[16:17]
	s_delay_alu instid0(VALU_DEP_2) | instskip(NEXT) | instid1(VALU_DEP_2)
	v_add_f64 v[14:15], v[22:23], v[24:25]
	v_add_f64 v[8:9], v[8:9], v[10:11]
	s_delay_alu instid0(VALU_DEP_2)
	v_dual_cndmask_b32 v11, 0, v15 :: v_dual_cndmask_b32 v10, 0, v14
	global_store_b128 v[18:19], v[8:11], off
.LBB1803_9:
	s_or_b32 exec_lo, exec_lo, s1
	v_cmp_le_i32_e32 vcc_lo, v3, v2
	s_and_b32 s0, vcc_lo, s0
	s_delay_alu instid0(SALU_CYCLE_1)
	s_and_saveexec_b32 s1, s0
	s_cbranch_execz .LBB1803_11
; %bb.10:
	v_ashrrev_i32_e32 v3, 31, v2
	s_delay_alu instid0(VALU_DEP_1) | instskip(NEXT) | instid1(VALU_DEP_1)
	v_lshlrev_b64 v[1:2], 4, v[2:3]
	v_add_co_u32 v12, vcc_lo, v12, v1
	s_delay_alu instid0(VALU_DEP_2)
	v_add_co_ci_u32_e32 v13, vcc_lo, v13, v2, vcc_lo
	v_mul_f64 v[1:2], s[18:19], v[4:5]
	v_mul_f64 v[3:4], s[20:21], v[4:5]
	v_cmp_ne_u32_e32 vcc_lo, v21, v0
	global_load_b128 v[8:11], v[12:13], off
	v_fma_f64 v[1:2], s[20:21], v[6:7], v[1:2]
	v_fma_f64 v[3:4], s[18:19], v[6:7], -v[3:4]
	s_waitcnt vmcnt(0)
	v_mul_f64 v[14:15], s[4:5], v[10:11]
	v_mul_f64 v[10:11], s[6:7], v[10:11]
	s_delay_alu instid0(VALU_DEP_2) | instskip(NEXT) | instid1(VALU_DEP_2)
	v_fma_f64 v[14:15], s[6:7], v[8:9], v[14:15]
	v_fma_f64 v[5:6], s[4:5], v[8:9], -v[10:11]
	s_delay_alu instid0(VALU_DEP_2) | instskip(NEXT) | instid1(VALU_DEP_2)
	v_add_f64 v[7:8], v[1:2], v[14:15]
	v_add_f64 v[1:2], v[3:4], v[5:6]
	s_delay_alu instid0(VALU_DEP_2)
	v_dual_cndmask_b32 v4, 0, v8 :: v_dual_cndmask_b32 v3, 0, v7
	global_store_b128 v[12:13], v[1:4], off
.LBB1803_11:
	s_nop 0
	s_sendmsg sendmsg(MSG_DEALLOC_VGPRS)
	s_endpgm
	.section	.rodata,"a",@progbits
	.p2align	6, 0x0
	.amdhsa_kernel _ZL37rocblas_syrkx_herkx_restricted_kernelIl19rocblas_complex_numIdELi16ELi32ELi8ELb0ELb1ELc84ELc76EKPKS1_KPS1_EviT_T0_PT8_S7_lSA_S7_lS8_PT9_S7_li
		.amdhsa_group_segment_fixed_size 8192
		.amdhsa_private_segment_fixed_size 0
		.amdhsa_kernarg_size 124
		.amdhsa_user_sgpr_count 13
		.amdhsa_user_sgpr_dispatch_ptr 0
		.amdhsa_user_sgpr_queue_ptr 0
		.amdhsa_user_sgpr_kernarg_segment_ptr 1
		.amdhsa_user_sgpr_dispatch_id 0
		.amdhsa_user_sgpr_private_segment_size 0
		.amdhsa_wavefront_size32 1
		.amdhsa_uses_dynamic_stack 0
		.amdhsa_enable_private_segment 0
		.amdhsa_system_sgpr_workgroup_id_x 1
		.amdhsa_system_sgpr_workgroup_id_y 1
		.amdhsa_system_sgpr_workgroup_id_z 1
		.amdhsa_system_sgpr_workgroup_info 0
		.amdhsa_system_vgpr_workitem_id 1
		.amdhsa_next_free_vgpr 118
		.amdhsa_next_free_sgpr 28
		.amdhsa_reserve_vcc 1
		.amdhsa_float_round_mode_32 0
		.amdhsa_float_round_mode_16_64 0
		.amdhsa_float_denorm_mode_32 3
		.amdhsa_float_denorm_mode_16_64 3
		.amdhsa_dx10_clamp 1
		.amdhsa_ieee_mode 1
		.amdhsa_fp16_overflow 0
		.amdhsa_workgroup_processor_mode 1
		.amdhsa_memory_ordered 1
		.amdhsa_forward_progress 0
		.amdhsa_shared_vgpr_count 0
		.amdhsa_exception_fp_ieee_invalid_op 0
		.amdhsa_exception_fp_denorm_src 0
		.amdhsa_exception_fp_ieee_div_zero 0
		.amdhsa_exception_fp_ieee_overflow 0
		.amdhsa_exception_fp_ieee_underflow 0
		.amdhsa_exception_fp_ieee_inexact 0
		.amdhsa_exception_int_div_zero 0
	.end_amdhsa_kernel
	.section	.text._ZL37rocblas_syrkx_herkx_restricted_kernelIl19rocblas_complex_numIdELi16ELi32ELi8ELb0ELb1ELc84ELc76EKPKS1_KPS1_EviT_T0_PT8_S7_lSA_S7_lS8_PT9_S7_li,"axG",@progbits,_ZL37rocblas_syrkx_herkx_restricted_kernelIl19rocblas_complex_numIdELi16ELi32ELi8ELb0ELb1ELc84ELc76EKPKS1_KPS1_EviT_T0_PT8_S7_lSA_S7_lS8_PT9_S7_li,comdat
.Lfunc_end1803:
	.size	_ZL37rocblas_syrkx_herkx_restricted_kernelIl19rocblas_complex_numIdELi16ELi32ELi8ELb0ELb1ELc84ELc76EKPKS1_KPS1_EviT_T0_PT8_S7_lSA_S7_lS8_PT9_S7_li, .Lfunc_end1803-_ZL37rocblas_syrkx_herkx_restricted_kernelIl19rocblas_complex_numIdELi16ELi32ELi8ELb0ELb1ELc84ELc76EKPKS1_KPS1_EviT_T0_PT8_S7_lSA_S7_lS8_PT9_S7_li
                                        ; -- End function
	.section	.AMDGPU.csdata,"",@progbits
; Kernel info:
; codeLenInByte = 3480
; NumSgprs: 30
; NumVgprs: 118
; ScratchSize: 0
; MemoryBound: 0
; FloatMode: 240
; IeeeMode: 1
; LDSByteSize: 8192 bytes/workgroup (compile time only)
; SGPRBlocks: 3
; VGPRBlocks: 14
; NumSGPRsForWavesPerEU: 30
; NumVGPRsForWavesPerEU: 118
; Occupancy: 12
; WaveLimiterHint : 1
; COMPUTE_PGM_RSRC2:SCRATCH_EN: 0
; COMPUTE_PGM_RSRC2:USER_SGPR: 13
; COMPUTE_PGM_RSRC2:TRAP_HANDLER: 0
; COMPUTE_PGM_RSRC2:TGID_X_EN: 1
; COMPUTE_PGM_RSRC2:TGID_Y_EN: 1
; COMPUTE_PGM_RSRC2:TGID_Z_EN: 1
; COMPUTE_PGM_RSRC2:TIDIG_COMP_CNT: 1
	.section	.text._ZL37rocblas_syrkx_herkx_restricted_kernelIl19rocblas_complex_numIdELi16ELi32ELi8ELb0ELb1ELc67ELc76EKPKS1_KPS1_EviT_T0_PT8_S7_lSA_S7_lS8_PT9_S7_li,"axG",@progbits,_ZL37rocblas_syrkx_herkx_restricted_kernelIl19rocblas_complex_numIdELi16ELi32ELi8ELb0ELb1ELc67ELc76EKPKS1_KPS1_EviT_T0_PT8_S7_lSA_S7_lS8_PT9_S7_li,comdat
	.globl	_ZL37rocblas_syrkx_herkx_restricted_kernelIl19rocblas_complex_numIdELi16ELi32ELi8ELb0ELb1ELc67ELc76EKPKS1_KPS1_EviT_T0_PT8_S7_lSA_S7_lS8_PT9_S7_li ; -- Begin function _ZL37rocblas_syrkx_herkx_restricted_kernelIl19rocblas_complex_numIdELi16ELi32ELi8ELb0ELb1ELc67ELc76EKPKS1_KPS1_EviT_T0_PT8_S7_lSA_S7_lS8_PT9_S7_li
	.p2align	8
	.type	_ZL37rocblas_syrkx_herkx_restricted_kernelIl19rocblas_complex_numIdELi16ELi32ELi8ELb0ELb1ELc67ELc76EKPKS1_KPS1_EviT_T0_PT8_S7_lSA_S7_lS8_PT9_S7_li,@function
_ZL37rocblas_syrkx_herkx_restricted_kernelIl19rocblas_complex_numIdELi16ELi32ELi8ELb0ELb1ELc67ELc76EKPKS1_KPS1_EviT_T0_PT8_S7_lSA_S7_lS8_PT9_S7_li: ; @_ZL37rocblas_syrkx_herkx_restricted_kernelIl19rocblas_complex_numIdELi16ELi32ELi8ELb0ELb1ELc67ELc76EKPKS1_KPS1_EviT_T0_PT8_S7_lSA_S7_lS8_PT9_S7_li
; %bb.0:
	s_clause 0x1
	s_load_b256 s[4:11], s[0:1], 0x50
	s_load_b256 s[16:23], s[0:1], 0x8
	s_mov_b32 s2, s15
	s_mov_b32 s3, 0
	v_mov_b32_e32 v16, 0
	s_lshl_b64 s[24:25], s[2:3], 3
	v_dual_mov_b32 v17, 0 :: v_dual_and_b32 v20, 0x3ff, v0
	v_bfe_u32 v21, v0, 10, 10
	s_delay_alu instid0(VALU_DEP_3) | instskip(NEXT) | instid1(VALU_DEP_3)
	v_mov_b32_e32 v12, v16
	v_dual_mov_b32 v14, v16 :: v_dual_mov_b32 v15, v17
	v_dual_mov_b32 v19, v17 :: v_dual_mov_b32 v18, v16
	;; [unrolled: 1-line block ×5, first 2 shown]
	v_mov_b32_e32 v7, v17
	s_waitcnt lgkmcnt(0)
	s_add_u32 s2, s8, s24
	s_addc_u32 s3, s9, s25
	s_load_b64 s[8:9], s[0:1], 0x28
	s_load_b64 s[2:3], s[2:3], 0x0
	v_cmp_lt_i64_e64 s12, s[16:17], 1
	v_dual_mov_b32 v4, v16 :: v_dual_mov_b32 v5, v17
	s_lshl_b32 s26, s13, 5
	s_lshl_b32 s27, s14, 5
	s_delay_alu instid0(VALU_DEP_2)
	s_and_b32 vcc_lo, exec_lo, s12
	s_cbranch_vccnz .LBB1804_3
; %bb.1:
	v_lshl_add_u32 v2, v21, 4, v20
	s_load_b128 s[12:15], s[0:1], 0x38
	v_dual_mov_b32 v1, 0 :: v_dual_and_b32 v0, 7, v20
	s_add_u32 s22, s22, s24
	s_delay_alu instid0(VALU_DEP_2)
	v_and_b32_e32 v9, 31, v2
	v_lshrrev_b32_e32 v8, 3, v2
	v_lshrrev_b32_e32 v2, 5, v2
	s_addc_u32 s23, s23, s25
	v_lshl_add_u32 v23, v21, 7, 0x1000
	v_add_nc_u32_e32 v6, s26, v9
	v_dual_mov_b32 v3, v1 :: v_dual_add_nc_u32 v10, s27, v8
	s_load_b64 s[22:23], s[22:23], 0x0
	s_delay_alu instid0(VALU_DEP_2) | instskip(NEXT) | instid1(VALU_DEP_2)
	v_ashrrev_i32_e32 v11, 31, v6
	v_ashrrev_i32_e32 v7, 31, v10
	s_waitcnt lgkmcnt(0)
	v_mad_u64_u32 v[4:5], null, s8, v6, v[2:3]
	v_mul_lo_u32 v3, s9, v6
	v_mul_lo_u32 v11, s8, v11
	s_add_u32 s12, s12, s24
	s_addc_u32 s13, s13, s25
	v_mul_lo_u32 v12, v7, s14
	s_load_b64 s[8:9], s[12:13], 0x0
	v_mul_lo_u32 v13, v10, s15
	v_mad_u64_u32 v[6:7], null, v10, s14, v[0:1]
	v_lshlrev_b32_e32 v0, 4, v0
	v_add3_u32 v5, v3, v5, v11
	s_delay_alu instid0(VALU_DEP_2) | instskip(NEXT) | instid1(VALU_DEP_2)
	v_lshl_or_b32 v8, v8, 7, v0
	v_lshlrev_b64 v[0:1], 4, v[4:5]
	v_mov_b32_e32 v4, 0
	v_add3_u32 v7, v12, v7, v13
	v_mov_b32_e32 v5, 0
	v_lshlrev_b32_e32 v3, 4, v9
	v_lshlrev_b32_e32 v22, 4, v20
	v_add_co_u32 v0, vcc_lo, v0, s22
	s_delay_alu instid0(VALU_DEP_4) | instskip(NEXT) | instid1(VALU_DEP_4)
	v_mov_b32_e32 v11, v5
	v_lshl_or_b32 v24, v2, 9, v3
	v_lshlrev_b64 v[2:3], 4, v[6:7]
	v_add_co_ci_u32_e32 v1, vcc_lo, s23, v1, vcc_lo
	v_mov_b32_e32 v7, v5
	v_dual_mov_b32 v10, v4 :: v_dual_add_nc_u32 v25, 0x1000, v8
	s_waitcnt lgkmcnt(0)
	s_delay_alu instid0(VALU_DEP_4) | instskip(SKIP_3) | instid1(VALU_DEP_4)
	v_add_co_u32 v2, vcc_lo, v2, s8
	v_add_co_ci_u32_e32 v3, vcc_lo, s9, v3, vcc_lo
	v_add_co_u32 v0, vcc_lo, v0, 8
	v_add_co_ci_u32_e32 v1, vcc_lo, 0, v1, vcc_lo
	v_add_co_u32 v2, vcc_lo, v2, 8
	s_delay_alu instid0(VALU_DEP_4)
	v_add_co_ci_u32_e32 v3, vcc_lo, 0, v3, vcc_lo
	v_dual_mov_b32 v6, v4 :: v_dual_mov_b32 v9, v5
	v_dual_mov_b32 v8, v4 :: v_dual_mov_b32 v15, v5
	;; [unrolled: 1-line block ×5, first 2 shown]
	v_mov_b32_e32 v16, v4
	s_mov_b64 s[8:9], 0
.LBB1804_2:                             ; =>This Inner Loop Header: Depth=1
	global_load_b128 v[26:29], v[0:1], off offset:-8
	global_load_b128 v[30:33], v[2:3], off offset:-8
	s_add_u32 s8, s8, 8
	v_add_co_u32 v0, vcc_lo, 0x80, v0
	s_addc_u32 s9, s9, 0
	v_add_co_ci_u32_e32 v1, vcc_lo, 0, v1, vcc_lo
	v_cmp_ge_u64_e64 s12, s[8:9], s[16:17]
	v_add_co_u32 v2, vcc_lo, 0x80, v2
	v_add_co_ci_u32_e32 v3, vcc_lo, 0, v3, vcc_lo
	s_delay_alu instid0(VALU_DEP_3)
	s_and_b32 vcc_lo, exec_lo, s12
	s_waitcnt vmcnt(1)
	v_xor_b32_e32 v29, 0x80000000, v29
	ds_store_b128 v24, v[26:29]
	s_waitcnt vmcnt(0)
	ds_store_b128 v25, v[30:33]
	s_waitcnt lgkmcnt(0)
	s_barrier
	buffer_gl0_inv
	ds_load_b128 v[26:29], v23
	ds_load_b128 v[30:33], v22
	ds_load_b128 v[34:37], v22 offset:256
	ds_load_b128 v[38:41], v23 offset:2048
	;; [unrolled: 1-line block ×13, first 2 shown]
	s_waitcnt lgkmcnt(13)
	v_mul_f64 v[86:87], v[28:29], v[32:33]
	v_mul_f64 v[88:89], v[26:27], v[32:33]
	s_waitcnt lgkmcnt(12)
	v_mul_f64 v[90:91], v[28:29], v[36:37]
	v_mul_f64 v[92:93], v[26:27], v[36:37]
	;; [unrolled: 3-line block ×3, first 2 shown]
	v_mul_f64 v[96:97], v[40:41], v[36:37]
	v_mul_f64 v[36:37], v[38:39], v[36:37]
	s_waitcnt lgkmcnt(8)
	v_mul_f64 v[98:99], v[44:45], v[52:53]
	v_mul_f64 v[100:101], v[42:43], v[52:53]
	s_waitcnt lgkmcnt(7)
	v_mul_f64 v[102:103], v[44:45], v[56:57]
	v_mul_f64 v[104:105], v[42:43], v[56:57]
	;; [unrolled: 1-line block ×6, first 2 shown]
	s_waitcnt lgkmcnt(3)
	v_mul_f64 v[112:113], v[58:59], v[72:73]
	s_waitcnt lgkmcnt(2)
	v_mul_f64 v[114:115], v[76:77], v[68:69]
	v_mul_f64 v[116:117], v[76:77], v[72:73]
	v_fma_f64 v[86:87], v[26:27], v[30:31], -v[86:87]
	v_fma_f64 v[88:89], v[28:29], v[30:31], v[88:89]
	v_fma_f64 v[90:91], v[26:27], v[34:35], -v[90:91]
	v_fma_f64 v[92:93], v[28:29], v[34:35], v[92:93]
	;; [unrolled: 2-line block ×4, first 2 shown]
	v_mul_f64 v[36:37], v[60:61], v[68:69]
	v_mul_f64 v[40:41], v[58:59], v[68:69]
	;; [unrolled: 1-line block ×5, first 2 shown]
	v_fma_f64 v[98:99], v[42:43], v[50:51], -v[98:99]
	v_fma_f64 v[100:101], v[44:45], v[50:51], v[100:101]
	v_fma_f64 v[42:43], v[42:43], v[54:55], -v[102:103]
	v_fma_f64 v[44:45], v[44:45], v[54:55], v[104:105]
	;; [unrolled: 2-line block ×4, first 2 shown]
	ds_load_b128 v[26:29], v22 offset:1792
	ds_load_b128 v[30:33], v22 offset:2048
	s_waitcnt lgkmcnt(2)
	v_mul_f64 v[56:57], v[64:65], v[84:85]
	v_add_f64 v[16:17], v[16:17], v[86:87]
	v_add_f64 v[18:19], v[18:19], v[88:89]
	;; [unrolled: 1-line block ×8, first 2 shown]
	v_mul_f64 v[86:87], v[62:63], v[84:85]
	s_waitcnt lgkmcnt(1)
	v_mul_f64 v[88:89], v[64:65], v[28:29]
	v_mul_f64 v[90:91], v[62:63], v[28:29]
	;; [unrolled: 1-line block ×6, first 2 shown]
	v_fma_f64 v[104:105], v[58:59], v[66:67], -v[36:37]
	v_fma_f64 v[106:107], v[60:61], v[66:67], v[40:41]
	v_fma_f64 v[58:59], v[58:59], v[70:71], -v[96:97]
	v_fma_f64 v[60:61], v[60:61], v[70:71], v[112:113]
	;; [unrolled: 2-line block ×4, first 2 shown]
	ds_load_b128 v[4:7], v22 offset:2304
	ds_load_b128 v[8:11], v23 offset:64
	v_fma_f64 v[56:57], v[62:63], v[82:83], -v[56:57]
	v_add_f64 v[72:73], v[16:17], v[98:99]
	v_add_f64 v[74:75], v[18:19], v[100:101]
	;; [unrolled: 1-line block ×8, first 2 shown]
	ds_load_b128 v[12:15], v23 offset:2112
	ds_load_b128 v[16:19], v23 offset:80
	;; [unrolled: 1-line block ×4, first 2 shown]
	s_waitcnt lgkmcnt(4)
	v_mul_f64 v[54:55], v[10:11], v[32:33]
	v_mul_f64 v[76:77], v[8:9], v[32:33]
	;; [unrolled: 1-line block ×4, first 2 shown]
	v_fma_f64 v[86:87], v[64:65], v[82:83], v[86:87]
	v_fma_f64 v[62:63], v[62:63], v[26:27], -v[88:89]
	v_fma_f64 v[64:65], v[64:65], v[26:27], v[90:91]
	v_fma_f64 v[88:89], v[78:79], v[82:83], -v[92:93]
	;; [unrolled: 2-line block ×3, first 2 shown]
	v_fma_f64 v[80:81], v[80:81], v[26:27], v[28:29]
	s_waitcnt lgkmcnt(3)
	v_mul_f64 v[102:103], v[14:15], v[32:33]
	v_mul_f64 v[32:33], v[12:13], v[32:33]
	;; [unrolled: 1-line block ×4, first 2 shown]
	s_waitcnt lgkmcnt(0)
	v_mul_f64 v[90:91], v[18:19], v[40:41]
	v_mul_f64 v[92:93], v[16:17], v[40:41]
	v_add_f64 v[72:73], v[72:73], v[104:105]
	v_add_f64 v[74:75], v[74:75], v[106:107]
	;; [unrolled: 1-line block ×8, first 2 shown]
	ds_load_b128 v[26:29], v22 offset:2816
	ds_load_b128 v[42:45], v22 offset:3072
	;; [unrolled: 1-line block ×4, first 2 shown]
	v_mul_f64 v[104:105], v[36:37], v[40:41]
	v_mul_f64 v[40:41], v[34:35], v[40:41]
	v_fma_f64 v[54:55], v[8:9], v[30:31], -v[54:55]
	v_fma_f64 v[76:77], v[10:11], v[30:31], v[76:77]
	v_fma_f64 v[98:99], v[8:9], v[4:5], -v[98:99]
	v_fma_f64 v[100:101], v[10:11], v[4:5], v[100:101]
	s_waitcnt lgkmcnt(3)
	v_mul_f64 v[94:95], v[18:19], v[28:29]
	v_mul_f64 v[96:97], v[16:17], v[28:29]
	;; [unrolled: 1-line block ×4, first 2 shown]
	v_fma_f64 v[102:103], v[12:13], v[30:31], -v[102:103]
	v_fma_f64 v[32:33], v[14:15], v[30:31], v[32:33]
	v_fma_f64 v[108:109], v[12:13], v[4:5], -v[108:109]
	v_fma_f64 v[112:113], v[14:15], v[4:5], v[6:7]
	ds_load_b128 v[4:7], v23 offset:2144
	ds_load_b128 v[8:11], v23 offset:112
	;; [unrolled: 1-line block ×4, first 2 shown]
	v_add_f64 v[56:57], v[72:73], v[56:57]
	v_add_f64 v[72:73], v[74:75], v[86:87]
	;; [unrolled: 1-line block ×8, first 2 shown]
	s_waitcnt lgkmcnt(4)
	v_mul_f64 v[70:71], v[52:53], v[44:45]
	v_mul_f64 v[74:75], v[50:51], v[44:45]
	;; [unrolled: 1-line block ×4, first 2 shown]
	s_waitcnt lgkmcnt(3)
	v_mul_f64 v[82:83], v[6:7], v[44:45]
	v_mul_f64 v[44:45], v[4:5], v[44:45]
	;; [unrolled: 1-line block ×4, first 2 shown]
	v_fma_f64 v[86:87], v[16:17], v[38:39], -v[90:91]
	v_fma_f64 v[88:89], v[18:19], v[38:39], v[92:93]
	v_fma_f64 v[90:91], v[16:17], v[26:27], -v[94:95]
	v_fma_f64 v[92:93], v[18:19], v[26:27], v[96:97]
	;; [unrolled: 2-line block ×4, first 2 shown]
	ds_load_b128 v[16:19], v22 offset:3840
	s_waitcnt lgkmcnt(0)
	s_barrier
	buffer_gl0_inv
	v_add_f64 v[36:37], v[56:57], v[54:55]
	v_add_f64 v[40:41], v[72:73], v[76:77]
	;; [unrolled: 1-line block ×8, first 2 shown]
	v_mul_f64 v[64:65], v[10:11], v[30:31]
	v_mul_f64 v[66:67], v[8:9], v[30:31]
	;; [unrolled: 1-line block ×4, first 2 shown]
	v_fma_f64 v[70:71], v[50:51], v[42:43], -v[70:71]
	v_mul_f64 v[68:69], v[10:11], v[18:19]
	v_mul_f64 v[72:73], v[8:9], v[18:19]
	;; [unrolled: 1-line block ×4, first 2 shown]
	v_fma_f64 v[74:75], v[52:53], v[42:43], v[74:75]
	v_fma_f64 v[50:51], v[50:51], v[46:47], -v[78:79]
	v_fma_f64 v[52:53], v[52:53], v[46:47], v[80:81]
	v_fma_f64 v[78:79], v[4:5], v[42:43], -v[82:83]
	;; [unrolled: 2-line block ×3, first 2 shown]
	v_fma_f64 v[6:7], v[6:7], v[46:47], v[48:49]
	v_add_f64 v[36:37], v[36:37], v[86:87]
	v_add_f64 v[40:41], v[40:41], v[88:89]
	;; [unrolled: 1-line block ×8, first 2 shown]
	v_fma_f64 v[38:39], v[8:9], v[28:29], -v[64:65]
	v_fma_f64 v[54:55], v[10:11], v[28:29], v[66:67]
	v_fma_f64 v[56:57], v[12:13], v[28:29], -v[76:77]
	v_fma_f64 v[28:29], v[14:15], v[28:29], v[30:31]
	;; [unrolled: 2-line block ×4, first 2 shown]
	v_add_f64 v[12:13], v[36:37], v[70:71]
	v_add_f64 v[14:15], v[40:41], v[74:75]
	;; [unrolled: 1-line block ×16, first 2 shown]
	s_cbranch_vccz .LBB1804_2
.LBB1804_3:
	v_add_nc_u32_e32 v21, s27, v21
	s_waitcnt lgkmcnt(0)
	s_load_b32 s8, s[0:1], 0x0
	s_delay_alu instid0(VALU_DEP_1) | instskip(SKIP_2) | instid1(VALU_DEP_3)
	v_ashrrev_i32_e32 v0, 31, v21
	v_mul_lo_u32 v3, v21, s11
	v_mad_u64_u32 v[1:2], null, v21, s10, 0
	v_mul_lo_u32 v0, v0, s10
	s_delay_alu instid0(VALU_DEP_1) | instskip(SKIP_1) | instid1(VALU_DEP_2)
	v_add3_u32 v2, v2, v3, v0
	v_add_nc_u32_e32 v0, s26, v20
	v_lshlrev_b64 v[1:2], 4, v[1:2]
	s_delay_alu instid0(VALU_DEP_2) | instskip(SKIP_2) | instid1(VALU_DEP_3)
	v_cmp_le_i32_e64 s0, v21, v0
	s_waitcnt lgkmcnt(0)
	v_cmp_gt_i32_e32 vcc_lo, s8, v0
	v_add_co_u32 v20, s1, s2, v1
	s_delay_alu instid0(VALU_DEP_1) | instskip(SKIP_1) | instid1(SALU_CYCLE_1)
	v_add_co_ci_u32_e64 v22, s1, s3, v2, s1
	s_and_b32 s0, s0, vcc_lo
	s_and_saveexec_b32 s1, s0
	s_cbranch_execz .LBB1804_5
; %bb.4:
	v_ashrrev_i32_e32 v1, 31, v0
	v_mul_f64 v[27:28], s[18:19], v[18:19]
	v_mul_f64 v[18:19], s[20:21], v[18:19]
	s_delay_alu instid0(VALU_DEP_3) | instskip(NEXT) | instid1(VALU_DEP_1)
	v_lshlrev_b64 v[1:2], 4, v[0:1]
	v_add_co_u32 v1, s0, v20, v1
	s_delay_alu instid0(VALU_DEP_1)
	v_add_co_ci_u32_e64 v2, s0, v22, v2, s0
	v_cmp_ne_u32_e64 s0, v21, v0
	global_load_b128 v[23:26], v[1:2], off
	v_fma_f64 v[27:28], s[20:21], v[16:17], v[27:28]
	v_fma_f64 v[16:17], s[18:19], v[16:17], -v[18:19]
	s_waitcnt vmcnt(0)
	v_mul_f64 v[29:30], s[4:5], v[25:26]
	v_mul_f64 v[25:26], s[6:7], v[25:26]
	s_delay_alu instid0(VALU_DEP_2) | instskip(NEXT) | instid1(VALU_DEP_2)
	v_fma_f64 v[29:30], s[6:7], v[23:24], v[29:30]
	v_fma_f64 v[18:19], s[4:5], v[23:24], -v[25:26]
	s_delay_alu instid0(VALU_DEP_2) | instskip(NEXT) | instid1(VALU_DEP_2)
	v_add_f64 v[23:24], v[27:28], v[29:30]
	v_add_f64 v[16:17], v[16:17], v[18:19]
	s_delay_alu instid0(VALU_DEP_2) | instskip(NEXT) | instid1(VALU_DEP_3)
	v_cndmask_b32_e64 v19, 0, v24, s0
	v_cndmask_b32_e64 v18, 0, v23, s0
	global_store_b128 v[1:2], v[16:19], off
.LBB1804_5:
	s_or_b32 exec_lo, exec_lo, s1
	v_add_nc_u32_e32 v2, 16, v0
	s_delay_alu instid0(VALU_DEP_1) | instskip(SKIP_1) | instid1(VALU_DEP_1)
	v_cmp_le_i32_e64 s1, v21, v2
	v_cmp_gt_i32_e64 s0, s8, v2
	s_and_b32 s1, s1, s0
	s_delay_alu instid0(SALU_CYCLE_1)
	s_and_saveexec_b32 s8, s1
	s_cbranch_execz .LBB1804_7
; %bb.6:
	v_ashrrev_i32_e32 v3, 31, v2
	v_mul_f64 v[25:26], s[18:19], v[14:15]
	v_mul_f64 v[14:15], s[20:21], v[14:15]
	s_delay_alu instid0(VALU_DEP_3) | instskip(NEXT) | instid1(VALU_DEP_1)
	v_lshlrev_b64 v[16:17], 4, v[2:3]
	v_add_co_u32 v23, s1, v20, v16
	s_delay_alu instid0(VALU_DEP_1)
	v_add_co_ci_u32_e64 v24, s1, v22, v17, s1
	v_cmp_ne_u32_e64 s1, v21, v2
	global_load_b128 v[16:19], v[23:24], off
	v_fma_f64 v[25:26], s[20:21], v[12:13], v[25:26]
	v_fma_f64 v[12:13], s[18:19], v[12:13], -v[14:15]
	s_waitcnt vmcnt(0)
	v_mul_f64 v[27:28], s[4:5], v[18:19]
	v_mul_f64 v[18:19], s[6:7], v[18:19]
	s_delay_alu instid0(VALU_DEP_2) | instskip(NEXT) | instid1(VALU_DEP_2)
	v_fma_f64 v[27:28], s[6:7], v[16:17], v[27:28]
	v_fma_f64 v[14:15], s[4:5], v[16:17], -v[18:19]
	s_delay_alu instid0(VALU_DEP_2) | instskip(NEXT) | instid1(VALU_DEP_2)
	v_add_f64 v[16:17], v[25:26], v[27:28]
	v_add_f64 v[12:13], v[12:13], v[14:15]
	s_delay_alu instid0(VALU_DEP_2) | instskip(NEXT) | instid1(VALU_DEP_3)
	v_cndmask_b32_e64 v15, 0, v17, s1
	v_cndmask_b32_e64 v14, 0, v16, s1
	global_store_b128 v[23:24], v[12:15], off
.LBB1804_7:
	s_or_b32 exec_lo, exec_lo, s8
	v_add_nc_u32_e32 v3, 16, v21
	s_delay_alu instid0(VALU_DEP_1) | instskip(SKIP_3) | instid1(VALU_DEP_4)
	v_ashrrev_i32_e32 v1, 31, v3
	v_mul_lo_u32 v14, v3, s11
	v_mad_u64_u32 v[12:13], null, v3, s10, 0
	v_cmp_le_i32_e64 s1, v3, v0
	v_mul_lo_u32 v1, v1, s10
	s_delay_alu instid0(VALU_DEP_1) | instskip(NEXT) | instid1(VALU_DEP_1)
	v_add3_u32 v13, v13, v14, v1
	v_lshlrev_b64 v[12:13], 4, v[12:13]
	s_delay_alu instid0(VALU_DEP_1) | instskip(NEXT) | instid1(VALU_DEP_1)
	v_add_co_u32 v12, s2, s2, v12
	v_add_co_ci_u32_e64 v13, s2, s3, v13, s2
	s_and_b32 s2, s1, vcc_lo
	s_delay_alu instid0(SALU_CYCLE_1)
	s_and_saveexec_b32 s1, s2
	s_cbranch_execz .LBB1804_9
; %bb.8:
	v_ashrrev_i32_e32 v1, 31, v0
	v_mul_f64 v[22:23], s[18:19], v[10:11]
	v_mul_f64 v[10:11], s[20:21], v[10:11]
	s_delay_alu instid0(VALU_DEP_3) | instskip(NEXT) | instid1(VALU_DEP_1)
	v_lshlrev_b64 v[14:15], 4, v[0:1]
	v_add_co_u32 v18, vcc_lo, v12, v14
	s_delay_alu instid0(VALU_DEP_2)
	v_add_co_ci_u32_e32 v19, vcc_lo, v13, v15, vcc_lo
	v_cmp_ne_u32_e32 vcc_lo, v3, v0
	global_load_b128 v[14:17], v[18:19], off
	v_fma_f64 v[22:23], s[20:21], v[8:9], v[22:23]
	v_fma_f64 v[8:9], s[18:19], v[8:9], -v[10:11]
	s_waitcnt vmcnt(0)
	v_mul_f64 v[24:25], s[4:5], v[16:17]
	v_mul_f64 v[16:17], s[6:7], v[16:17]
	s_delay_alu instid0(VALU_DEP_2) | instskip(NEXT) | instid1(VALU_DEP_2)
	v_fma_f64 v[24:25], s[6:7], v[14:15], v[24:25]
	v_fma_f64 v[10:11], s[4:5], v[14:15], -v[16:17]
	s_delay_alu instid0(VALU_DEP_2) | instskip(NEXT) | instid1(VALU_DEP_2)
	v_add_f64 v[14:15], v[22:23], v[24:25]
	v_add_f64 v[8:9], v[8:9], v[10:11]
	s_delay_alu instid0(VALU_DEP_2)
	v_dual_cndmask_b32 v11, 0, v15 :: v_dual_cndmask_b32 v10, 0, v14
	global_store_b128 v[18:19], v[8:11], off
.LBB1804_9:
	s_or_b32 exec_lo, exec_lo, s1
	v_cmp_le_i32_e32 vcc_lo, v3, v2
	s_and_b32 s0, vcc_lo, s0
	s_delay_alu instid0(SALU_CYCLE_1)
	s_and_saveexec_b32 s1, s0
	s_cbranch_execz .LBB1804_11
; %bb.10:
	v_ashrrev_i32_e32 v3, 31, v2
	s_delay_alu instid0(VALU_DEP_1) | instskip(NEXT) | instid1(VALU_DEP_1)
	v_lshlrev_b64 v[1:2], 4, v[2:3]
	v_add_co_u32 v12, vcc_lo, v12, v1
	s_delay_alu instid0(VALU_DEP_2)
	v_add_co_ci_u32_e32 v13, vcc_lo, v13, v2, vcc_lo
	v_mul_f64 v[1:2], s[18:19], v[4:5]
	v_mul_f64 v[3:4], s[20:21], v[4:5]
	v_cmp_ne_u32_e32 vcc_lo, v21, v0
	global_load_b128 v[8:11], v[12:13], off
	v_fma_f64 v[1:2], s[20:21], v[6:7], v[1:2]
	v_fma_f64 v[3:4], s[18:19], v[6:7], -v[3:4]
	s_waitcnt vmcnt(0)
	v_mul_f64 v[14:15], s[4:5], v[10:11]
	v_mul_f64 v[10:11], s[6:7], v[10:11]
	s_delay_alu instid0(VALU_DEP_2) | instskip(NEXT) | instid1(VALU_DEP_2)
	v_fma_f64 v[14:15], s[6:7], v[8:9], v[14:15]
	v_fma_f64 v[5:6], s[4:5], v[8:9], -v[10:11]
	s_delay_alu instid0(VALU_DEP_2) | instskip(NEXT) | instid1(VALU_DEP_2)
	v_add_f64 v[7:8], v[1:2], v[14:15]
	v_add_f64 v[1:2], v[3:4], v[5:6]
	s_delay_alu instid0(VALU_DEP_2)
	v_dual_cndmask_b32 v4, 0, v8 :: v_dual_cndmask_b32 v3, 0, v7
	global_store_b128 v[12:13], v[1:4], off
.LBB1804_11:
	s_nop 0
	s_sendmsg sendmsg(MSG_DEALLOC_VGPRS)
	s_endpgm
	.section	.rodata,"a",@progbits
	.p2align	6, 0x0
	.amdhsa_kernel _ZL37rocblas_syrkx_herkx_restricted_kernelIl19rocblas_complex_numIdELi16ELi32ELi8ELb0ELb1ELc67ELc76EKPKS1_KPS1_EviT_T0_PT8_S7_lSA_S7_lS8_PT9_S7_li
		.amdhsa_group_segment_fixed_size 8192
		.amdhsa_private_segment_fixed_size 0
		.amdhsa_kernarg_size 124
		.amdhsa_user_sgpr_count 13
		.amdhsa_user_sgpr_dispatch_ptr 0
		.amdhsa_user_sgpr_queue_ptr 0
		.amdhsa_user_sgpr_kernarg_segment_ptr 1
		.amdhsa_user_sgpr_dispatch_id 0
		.amdhsa_user_sgpr_private_segment_size 0
		.amdhsa_wavefront_size32 1
		.amdhsa_uses_dynamic_stack 0
		.amdhsa_enable_private_segment 0
		.amdhsa_system_sgpr_workgroup_id_x 1
		.amdhsa_system_sgpr_workgroup_id_y 1
		.amdhsa_system_sgpr_workgroup_id_z 1
		.amdhsa_system_sgpr_workgroup_info 0
		.amdhsa_system_vgpr_workitem_id 1
		.amdhsa_next_free_vgpr 118
		.amdhsa_next_free_sgpr 28
		.amdhsa_reserve_vcc 1
		.amdhsa_float_round_mode_32 0
		.amdhsa_float_round_mode_16_64 0
		.amdhsa_float_denorm_mode_32 3
		.amdhsa_float_denorm_mode_16_64 3
		.amdhsa_dx10_clamp 1
		.amdhsa_ieee_mode 1
		.amdhsa_fp16_overflow 0
		.amdhsa_workgroup_processor_mode 1
		.amdhsa_memory_ordered 1
		.amdhsa_forward_progress 0
		.amdhsa_shared_vgpr_count 0
		.amdhsa_exception_fp_ieee_invalid_op 0
		.amdhsa_exception_fp_denorm_src 0
		.amdhsa_exception_fp_ieee_div_zero 0
		.amdhsa_exception_fp_ieee_overflow 0
		.amdhsa_exception_fp_ieee_underflow 0
		.amdhsa_exception_fp_ieee_inexact 0
		.amdhsa_exception_int_div_zero 0
	.end_amdhsa_kernel
	.section	.text._ZL37rocblas_syrkx_herkx_restricted_kernelIl19rocblas_complex_numIdELi16ELi32ELi8ELb0ELb1ELc67ELc76EKPKS1_KPS1_EviT_T0_PT8_S7_lSA_S7_lS8_PT9_S7_li,"axG",@progbits,_ZL37rocblas_syrkx_herkx_restricted_kernelIl19rocblas_complex_numIdELi16ELi32ELi8ELb0ELb1ELc67ELc76EKPKS1_KPS1_EviT_T0_PT8_S7_lSA_S7_lS8_PT9_S7_li,comdat
.Lfunc_end1804:
	.size	_ZL37rocblas_syrkx_herkx_restricted_kernelIl19rocblas_complex_numIdELi16ELi32ELi8ELb0ELb1ELc67ELc76EKPKS1_KPS1_EviT_T0_PT8_S7_lSA_S7_lS8_PT9_S7_li, .Lfunc_end1804-_ZL37rocblas_syrkx_herkx_restricted_kernelIl19rocblas_complex_numIdELi16ELi32ELi8ELb0ELb1ELc67ELc76EKPKS1_KPS1_EviT_T0_PT8_S7_lSA_S7_lS8_PT9_S7_li
                                        ; -- End function
	.section	.AMDGPU.csdata,"",@progbits
; Kernel info:
; codeLenInByte = 3492
; NumSgprs: 30
; NumVgprs: 118
; ScratchSize: 0
; MemoryBound: 0
; FloatMode: 240
; IeeeMode: 1
; LDSByteSize: 8192 bytes/workgroup (compile time only)
; SGPRBlocks: 3
; VGPRBlocks: 14
; NumSGPRsForWavesPerEU: 30
; NumVGPRsForWavesPerEU: 118
; Occupancy: 12
; WaveLimiterHint : 1
; COMPUTE_PGM_RSRC2:SCRATCH_EN: 0
; COMPUTE_PGM_RSRC2:USER_SGPR: 13
; COMPUTE_PGM_RSRC2:TRAP_HANDLER: 0
; COMPUTE_PGM_RSRC2:TGID_X_EN: 1
; COMPUTE_PGM_RSRC2:TGID_Y_EN: 1
; COMPUTE_PGM_RSRC2:TGID_Z_EN: 1
; COMPUTE_PGM_RSRC2:TIDIG_COMP_CNT: 1
	.section	.text._ZL37rocblas_syrkx_herkx_restricted_kernelIl19rocblas_complex_numIdELi16ELi32ELi8ELb0ELb1ELc78ELc76EKPKS1_KPS1_EviT_T0_PT8_S7_lSA_S7_lS8_PT9_S7_li,"axG",@progbits,_ZL37rocblas_syrkx_herkx_restricted_kernelIl19rocblas_complex_numIdELi16ELi32ELi8ELb0ELb1ELc78ELc76EKPKS1_KPS1_EviT_T0_PT8_S7_lSA_S7_lS8_PT9_S7_li,comdat
	.globl	_ZL37rocblas_syrkx_herkx_restricted_kernelIl19rocblas_complex_numIdELi16ELi32ELi8ELb0ELb1ELc78ELc76EKPKS1_KPS1_EviT_T0_PT8_S7_lSA_S7_lS8_PT9_S7_li ; -- Begin function _ZL37rocblas_syrkx_herkx_restricted_kernelIl19rocblas_complex_numIdELi16ELi32ELi8ELb0ELb1ELc78ELc76EKPKS1_KPS1_EviT_T0_PT8_S7_lSA_S7_lS8_PT9_S7_li
	.p2align	8
	.type	_ZL37rocblas_syrkx_herkx_restricted_kernelIl19rocblas_complex_numIdELi16ELi32ELi8ELb0ELb1ELc78ELc76EKPKS1_KPS1_EviT_T0_PT8_S7_lSA_S7_lS8_PT9_S7_li,@function
_ZL37rocblas_syrkx_herkx_restricted_kernelIl19rocblas_complex_numIdELi16ELi32ELi8ELb0ELb1ELc78ELc76EKPKS1_KPS1_EviT_T0_PT8_S7_lSA_S7_lS8_PT9_S7_li: ; @_ZL37rocblas_syrkx_herkx_restricted_kernelIl19rocblas_complex_numIdELi16ELi32ELi8ELb0ELb1ELc78ELc76EKPKS1_KPS1_EviT_T0_PT8_S7_lSA_S7_lS8_PT9_S7_li
; %bb.0:
	s_clause 0x1
	s_load_b256 s[4:11], s[0:1], 0x50
	s_load_b256 s[16:23], s[0:1], 0x8
	s_mov_b32 s2, s15
	s_mov_b32 s3, 0
	v_mov_b32_e32 v16, 0
	s_lshl_b64 s[24:25], s[2:3], 3
	v_dual_mov_b32 v17, 0 :: v_dual_and_b32 v20, 0x3ff, v0
	v_bfe_u32 v21, v0, 10, 10
	s_delay_alu instid0(VALU_DEP_3) | instskip(NEXT) | instid1(VALU_DEP_3)
	v_mov_b32_e32 v14, v16
	v_dual_mov_b32 v12, v16 :: v_dual_mov_b32 v13, v17
	v_dual_mov_b32 v19, v17 :: v_dual_mov_b32 v18, v16
	;; [unrolled: 1-line block ×5, first 2 shown]
	v_mov_b32_e32 v7, v17
	s_waitcnt lgkmcnt(0)
	s_add_u32 s2, s8, s24
	s_addc_u32 s3, s9, s25
	s_load_b64 s[8:9], s[0:1], 0x28
	s_load_b64 s[2:3], s[2:3], 0x0
	v_cmp_lt_i64_e64 s12, s[16:17], 1
	v_dual_mov_b32 v4, v16 :: v_dual_mov_b32 v5, v17
	s_lshl_b32 s26, s13, 5
	s_lshl_b32 s27, s14, 5
	s_delay_alu instid0(VALU_DEP_2)
	s_and_b32 vcc_lo, exec_lo, s12
	s_cbranch_vccnz .LBB1805_3
; %bb.1:
	v_lshl_add_u32 v1, v21, 4, v20
	s_load_b128 s[12:15], s[0:1], 0x38
	v_and_b32_e32 v6, 7, v20
	v_mov_b32_e32 v4, 0
	s_add_u32 s22, s22, s24
	v_dual_mov_b32 v5, 0 :: v_dual_and_b32 v14, 31, v1
	v_lshrrev_b32_e32 v15, 3, v1
	v_lshrrev_b32_e32 v16, 5, v1
	s_addc_u32 s23, s23, s25
	s_delay_alu instid0(VALU_DEP_3) | instskip(NEXT) | instid1(VALU_DEP_3)
	v_dual_mov_b32 v11, v5 :: v_dual_add_nc_u32 v0, s26, v14
	v_add_nc_u32_e32 v2, s27, v15
	s_load_b64 s[22:23], s[22:23], 0x0
	v_dual_mov_b32 v19, v5 :: v_dual_lshlrev_b32 v14, 4, v14
	s_delay_alu instid0(VALU_DEP_3) | instskip(NEXT) | instid1(VALU_DEP_3)
	v_ashrrev_i32_e32 v1, 31, v0
	v_ashrrev_i32_e32 v3, 31, v2
	v_lshlrev_b32_e32 v22, 4, v20
	s_delay_alu instid0(VALU_DEP_4)
	v_lshl_or_b32 v24, v16, 9, v14
	v_mov_b32_e32 v10, v4
	s_waitcnt lgkmcnt(0)
	v_mad_u64_u32 v[12:13], null, v16, s8, v[0:1]
	v_mad_u64_u32 v[0:1], null, v6, s14, v[2:3]
	s_add_u32 s12, s12, s24
	s_addc_u32 s13, s13, s25
	v_lshl_add_u32 v23, v21, 7, 0x1000
	s_load_b64 s[12:13], s[12:13], 0x0
	s_delay_alu instid0(VALU_DEP_3) | instskip(SKIP_1) | instid1(VALU_DEP_2)
	v_mov_b32_e32 v2, v13
	v_mov_b32_e32 v18, v4
	v_mad_u64_u32 v[8:9], null, v16, s9, v[2:3]
	s_lshl_b64 s[8:9], s[8:9], 7
	v_dual_mov_b32 v17, v5 :: v_dual_mov_b32 v16, v4
	s_delay_alu instid0(VALU_DEP_2) | instskip(SKIP_4) | instid1(VALU_DEP_3)
	v_mov_b32_e32 v13, v8
	v_mad_u64_u32 v[2:3], null, v6, s15, v[1:2]
	v_lshlrev_b32_e32 v1, 4, v6
	v_dual_mov_b32 v7, v5 :: v_dual_mov_b32 v6, v4
	v_dual_mov_b32 v9, v5 :: v_dual_mov_b32 v8, v4
	v_lshl_or_b32 v15, v15, 7, v1
	v_mov_b32_e32 v1, v2
	v_lshlrev_b64 v[2:3], 4, v[12:13]
	v_dual_mov_b32 v13, v5 :: v_dual_mov_b32 v12, v4
	s_delay_alu instid0(VALU_DEP_4) | instskip(NEXT) | instid1(VALU_DEP_4)
	v_add_nc_u32_e32 v25, 0x1000, v15
	v_lshlrev_b64 v[0:1], 4, v[0:1]
	s_delay_alu instid0(VALU_DEP_4) | instskip(SKIP_2) | instid1(VALU_DEP_3)
	v_add_co_u32 v2, vcc_lo, v2, s22
	v_add_co_ci_u32_e32 v3, vcc_lo, s23, v3, vcc_lo
	s_waitcnt lgkmcnt(0)
	v_add_co_u32 v14, vcc_lo, v0, s12
	s_delay_alu instid0(VALU_DEP_4) | instskip(SKIP_2) | instid1(VALU_DEP_4)
	v_add_co_ci_u32_e32 v15, vcc_lo, s13, v1, vcc_lo
	v_add_co_u32 v0, vcc_lo, v2, 8
	v_add_co_ci_u32_e32 v1, vcc_lo, 0, v3, vcc_lo
	v_add_co_u32 v2, vcc_lo, v14, 8
	s_delay_alu instid0(VALU_DEP_4)
	v_add_co_ci_u32_e32 v3, vcc_lo, 0, v15, vcc_lo
	v_dual_mov_b32 v15, v5 :: v_dual_mov_b32 v14, v4
	s_lshl_b64 s[12:13], s[14:15], 7
	s_mov_b64 s[14:15], 0
.LBB1805_2:                             ; =>This Inner Loop Header: Depth=1
	global_load_b128 v[26:29], v[2:3], off offset:-8
	global_load_b128 v[30:33], v[0:1], off offset:-8
	s_add_u32 s14, s14, 8
	v_add_co_u32 v0, vcc_lo, v0, s8
	s_addc_u32 s15, s15, 0
	v_add_co_ci_u32_e32 v1, vcc_lo, s9, v1, vcc_lo
	v_cmp_ge_u64_e64 s22, s[14:15], s[16:17]
	v_add_co_u32 v2, vcc_lo, v2, s12
	v_add_co_ci_u32_e32 v3, vcc_lo, s13, v3, vcc_lo
	s_delay_alu instid0(VALU_DEP_3)
	s_and_b32 vcc_lo, exec_lo, s22
	s_waitcnt vmcnt(1)
	v_xor_b32_e32 v29, 0x80000000, v29
	s_waitcnt vmcnt(0)
	ds_store_b128 v24, v[30:33]
	ds_store_b128 v25, v[26:29]
	s_waitcnt lgkmcnt(0)
	s_barrier
	buffer_gl0_inv
	ds_load_b128 v[26:29], v23
	ds_load_b128 v[30:33], v22
	ds_load_b128 v[34:37], v22 offset:256
	ds_load_b128 v[38:41], v23 offset:2048
	;; [unrolled: 1-line block ×13, first 2 shown]
	s_waitcnt lgkmcnt(13)
	v_mul_f64 v[86:87], v[28:29], v[32:33]
	v_mul_f64 v[88:89], v[26:27], v[32:33]
	s_waitcnt lgkmcnt(12)
	v_mul_f64 v[90:91], v[28:29], v[36:37]
	v_mul_f64 v[92:93], v[26:27], v[36:37]
	;; [unrolled: 3-line block ×3, first 2 shown]
	v_mul_f64 v[96:97], v[40:41], v[36:37]
	v_mul_f64 v[36:37], v[38:39], v[36:37]
	s_waitcnt lgkmcnt(8)
	v_mul_f64 v[98:99], v[44:45], v[52:53]
	v_mul_f64 v[100:101], v[42:43], v[52:53]
	s_waitcnt lgkmcnt(7)
	v_mul_f64 v[102:103], v[44:45], v[56:57]
	v_mul_f64 v[104:105], v[42:43], v[56:57]
	;; [unrolled: 1-line block ×6, first 2 shown]
	s_waitcnt lgkmcnt(3)
	v_mul_f64 v[112:113], v[58:59], v[72:73]
	s_waitcnt lgkmcnt(2)
	v_mul_f64 v[114:115], v[76:77], v[68:69]
	v_mul_f64 v[116:117], v[76:77], v[72:73]
	v_fma_f64 v[86:87], v[26:27], v[30:31], -v[86:87]
	v_fma_f64 v[88:89], v[28:29], v[30:31], v[88:89]
	v_fma_f64 v[90:91], v[26:27], v[34:35], -v[90:91]
	v_fma_f64 v[92:93], v[28:29], v[34:35], v[92:93]
	;; [unrolled: 2-line block ×4, first 2 shown]
	v_mul_f64 v[36:37], v[60:61], v[68:69]
	v_mul_f64 v[40:41], v[58:59], v[68:69]
	;; [unrolled: 1-line block ×5, first 2 shown]
	v_fma_f64 v[98:99], v[42:43], v[50:51], -v[98:99]
	v_fma_f64 v[100:101], v[44:45], v[50:51], v[100:101]
	v_fma_f64 v[42:43], v[42:43], v[54:55], -v[102:103]
	v_fma_f64 v[44:45], v[44:45], v[54:55], v[104:105]
	;; [unrolled: 2-line block ×4, first 2 shown]
	ds_load_b128 v[26:29], v22 offset:1792
	ds_load_b128 v[30:33], v22 offset:2048
	s_waitcnt lgkmcnt(2)
	v_mul_f64 v[56:57], v[64:65], v[84:85]
	v_add_f64 v[16:17], v[16:17], v[86:87]
	v_add_f64 v[18:19], v[18:19], v[88:89]
	;; [unrolled: 1-line block ×8, first 2 shown]
	v_mul_f64 v[86:87], v[62:63], v[84:85]
	s_waitcnt lgkmcnt(1)
	v_mul_f64 v[88:89], v[64:65], v[28:29]
	v_mul_f64 v[90:91], v[62:63], v[28:29]
	v_mul_f64 v[92:93], v[80:81], v[84:85]
	v_mul_f64 v[84:85], v[78:79], v[84:85]
	v_mul_f64 v[94:95], v[80:81], v[28:29]
	v_mul_f64 v[28:29], v[78:79], v[28:29]
	v_fma_f64 v[104:105], v[58:59], v[66:67], -v[36:37]
	v_fma_f64 v[106:107], v[60:61], v[66:67], v[40:41]
	v_fma_f64 v[58:59], v[58:59], v[70:71], -v[96:97]
	v_fma_f64 v[60:61], v[60:61], v[70:71], v[112:113]
	;; [unrolled: 2-line block ×4, first 2 shown]
	ds_load_b128 v[4:7], v22 offset:2304
	ds_load_b128 v[8:11], v23 offset:64
	v_fma_f64 v[56:57], v[62:63], v[82:83], -v[56:57]
	v_add_f64 v[72:73], v[16:17], v[98:99]
	v_add_f64 v[74:75], v[18:19], v[100:101]
	;; [unrolled: 1-line block ×8, first 2 shown]
	ds_load_b128 v[12:15], v23 offset:2112
	ds_load_b128 v[16:19], v23 offset:80
	;; [unrolled: 1-line block ×4, first 2 shown]
	s_waitcnt lgkmcnt(4)
	v_mul_f64 v[54:55], v[10:11], v[32:33]
	v_mul_f64 v[76:77], v[8:9], v[32:33]
	;; [unrolled: 1-line block ×4, first 2 shown]
	v_fma_f64 v[86:87], v[64:65], v[82:83], v[86:87]
	v_fma_f64 v[62:63], v[62:63], v[26:27], -v[88:89]
	v_fma_f64 v[64:65], v[64:65], v[26:27], v[90:91]
	v_fma_f64 v[88:89], v[78:79], v[82:83], -v[92:93]
	;; [unrolled: 2-line block ×3, first 2 shown]
	v_fma_f64 v[80:81], v[80:81], v[26:27], v[28:29]
	s_waitcnt lgkmcnt(3)
	v_mul_f64 v[102:103], v[14:15], v[32:33]
	v_mul_f64 v[32:33], v[12:13], v[32:33]
	;; [unrolled: 1-line block ×4, first 2 shown]
	s_waitcnt lgkmcnt(0)
	v_mul_f64 v[90:91], v[18:19], v[40:41]
	v_mul_f64 v[92:93], v[16:17], v[40:41]
	v_add_f64 v[72:73], v[72:73], v[104:105]
	v_add_f64 v[74:75], v[74:75], v[106:107]
	v_add_f64 v[58:59], v[42:43], v[58:59]
	v_add_f64 v[60:61], v[44:45], v[60:61]
	v_add_f64 v[84:85], v[52:53], v[96:97]
	v_add_f64 v[66:67], v[50:51], v[66:67]
	v_add_f64 v[68:69], v[46:47], v[68:69]
	v_add_f64 v[70:71], v[48:49], v[70:71]
	ds_load_b128 v[26:29], v22 offset:2816
	ds_load_b128 v[42:45], v22 offset:3072
	;; [unrolled: 1-line block ×4, first 2 shown]
	v_mul_f64 v[104:105], v[36:37], v[40:41]
	v_mul_f64 v[40:41], v[34:35], v[40:41]
	v_fma_f64 v[54:55], v[8:9], v[30:31], -v[54:55]
	v_fma_f64 v[76:77], v[10:11], v[30:31], v[76:77]
	v_fma_f64 v[98:99], v[8:9], v[4:5], -v[98:99]
	v_fma_f64 v[100:101], v[10:11], v[4:5], v[100:101]
	s_waitcnt lgkmcnt(3)
	v_mul_f64 v[94:95], v[18:19], v[28:29]
	v_mul_f64 v[96:97], v[16:17], v[28:29]
	;; [unrolled: 1-line block ×4, first 2 shown]
	v_fma_f64 v[102:103], v[12:13], v[30:31], -v[102:103]
	v_fma_f64 v[32:33], v[14:15], v[30:31], v[32:33]
	v_fma_f64 v[108:109], v[12:13], v[4:5], -v[108:109]
	v_fma_f64 v[112:113], v[14:15], v[4:5], v[6:7]
	ds_load_b128 v[4:7], v23 offset:2144
	ds_load_b128 v[8:11], v23 offset:112
	;; [unrolled: 1-line block ×4, first 2 shown]
	v_add_f64 v[56:57], v[72:73], v[56:57]
	v_add_f64 v[72:73], v[74:75], v[86:87]
	;; [unrolled: 1-line block ×8, first 2 shown]
	s_waitcnt lgkmcnt(4)
	v_mul_f64 v[70:71], v[52:53], v[44:45]
	v_mul_f64 v[74:75], v[50:51], v[44:45]
	;; [unrolled: 1-line block ×4, first 2 shown]
	s_waitcnt lgkmcnt(3)
	v_mul_f64 v[82:83], v[6:7], v[44:45]
	v_mul_f64 v[44:45], v[4:5], v[44:45]
	v_mul_f64 v[84:85], v[6:7], v[48:49]
	v_mul_f64 v[48:49], v[4:5], v[48:49]
	v_fma_f64 v[86:87], v[16:17], v[38:39], -v[90:91]
	v_fma_f64 v[88:89], v[18:19], v[38:39], v[92:93]
	v_fma_f64 v[90:91], v[16:17], v[26:27], -v[94:95]
	v_fma_f64 v[92:93], v[18:19], v[26:27], v[96:97]
	;; [unrolled: 2-line block ×4, first 2 shown]
	ds_load_b128 v[16:19], v22 offset:3840
	s_waitcnt lgkmcnt(0)
	s_barrier
	buffer_gl0_inv
	v_add_f64 v[36:37], v[56:57], v[54:55]
	v_add_f64 v[40:41], v[72:73], v[76:77]
	;; [unrolled: 1-line block ×8, first 2 shown]
	v_mul_f64 v[64:65], v[10:11], v[30:31]
	v_mul_f64 v[66:67], v[8:9], v[30:31]
	;; [unrolled: 1-line block ×4, first 2 shown]
	v_fma_f64 v[70:71], v[50:51], v[42:43], -v[70:71]
	v_mul_f64 v[68:69], v[10:11], v[18:19]
	v_mul_f64 v[72:73], v[8:9], v[18:19]
	;; [unrolled: 1-line block ×4, first 2 shown]
	v_fma_f64 v[74:75], v[52:53], v[42:43], v[74:75]
	v_fma_f64 v[50:51], v[50:51], v[46:47], -v[78:79]
	v_fma_f64 v[52:53], v[52:53], v[46:47], v[80:81]
	v_fma_f64 v[78:79], v[4:5], v[42:43], -v[82:83]
	;; [unrolled: 2-line block ×3, first 2 shown]
	v_fma_f64 v[6:7], v[6:7], v[46:47], v[48:49]
	v_add_f64 v[36:37], v[36:37], v[86:87]
	v_add_f64 v[40:41], v[40:41], v[88:89]
	;; [unrolled: 1-line block ×8, first 2 shown]
	v_fma_f64 v[38:39], v[8:9], v[28:29], -v[64:65]
	v_fma_f64 v[54:55], v[10:11], v[28:29], v[66:67]
	v_fma_f64 v[56:57], v[12:13], v[28:29], -v[76:77]
	v_fma_f64 v[28:29], v[14:15], v[28:29], v[30:31]
	;; [unrolled: 2-line block ×4, first 2 shown]
	v_add_f64 v[12:13], v[36:37], v[70:71]
	v_add_f64 v[14:15], v[40:41], v[74:75]
	;; [unrolled: 1-line block ×16, first 2 shown]
	s_cbranch_vccz .LBB1805_2
.LBB1805_3:
	v_add_nc_u32_e32 v21, s27, v21
	s_waitcnt lgkmcnt(0)
	s_load_b32 s8, s[0:1], 0x0
	s_delay_alu instid0(VALU_DEP_1) | instskip(SKIP_2) | instid1(VALU_DEP_3)
	v_ashrrev_i32_e32 v0, 31, v21
	v_mul_lo_u32 v3, v21, s11
	v_mad_u64_u32 v[1:2], null, v21, s10, 0
	v_mul_lo_u32 v0, v0, s10
	s_delay_alu instid0(VALU_DEP_1) | instskip(SKIP_1) | instid1(VALU_DEP_2)
	v_add3_u32 v2, v2, v3, v0
	v_add_nc_u32_e32 v0, s26, v20
	v_lshlrev_b64 v[1:2], 4, v[1:2]
	s_delay_alu instid0(VALU_DEP_2) | instskip(SKIP_2) | instid1(VALU_DEP_3)
	v_cmp_le_i32_e64 s0, v21, v0
	s_waitcnt lgkmcnt(0)
	v_cmp_gt_i32_e32 vcc_lo, s8, v0
	v_add_co_u32 v20, s1, s2, v1
	s_delay_alu instid0(VALU_DEP_1) | instskip(SKIP_1) | instid1(SALU_CYCLE_1)
	v_add_co_ci_u32_e64 v22, s1, s3, v2, s1
	s_and_b32 s0, s0, vcc_lo
	s_and_saveexec_b32 s1, s0
	s_cbranch_execz .LBB1805_5
; %bb.4:
	v_ashrrev_i32_e32 v1, 31, v0
	v_mul_f64 v[27:28], s[18:19], v[18:19]
	v_mul_f64 v[18:19], s[20:21], v[18:19]
	s_delay_alu instid0(VALU_DEP_3) | instskip(NEXT) | instid1(VALU_DEP_1)
	v_lshlrev_b64 v[1:2], 4, v[0:1]
	v_add_co_u32 v1, s0, v20, v1
	s_delay_alu instid0(VALU_DEP_1)
	v_add_co_ci_u32_e64 v2, s0, v22, v2, s0
	v_cmp_ne_u32_e64 s0, v21, v0
	global_load_b128 v[23:26], v[1:2], off
	v_fma_f64 v[27:28], s[20:21], v[16:17], v[27:28]
	v_fma_f64 v[16:17], s[18:19], v[16:17], -v[18:19]
	s_waitcnt vmcnt(0)
	v_mul_f64 v[29:30], s[4:5], v[25:26]
	v_mul_f64 v[25:26], s[6:7], v[25:26]
	s_delay_alu instid0(VALU_DEP_2) | instskip(NEXT) | instid1(VALU_DEP_2)
	v_fma_f64 v[29:30], s[6:7], v[23:24], v[29:30]
	v_fma_f64 v[18:19], s[4:5], v[23:24], -v[25:26]
	s_delay_alu instid0(VALU_DEP_2) | instskip(NEXT) | instid1(VALU_DEP_2)
	v_add_f64 v[23:24], v[27:28], v[29:30]
	v_add_f64 v[16:17], v[16:17], v[18:19]
	s_delay_alu instid0(VALU_DEP_2) | instskip(NEXT) | instid1(VALU_DEP_3)
	v_cndmask_b32_e64 v19, 0, v24, s0
	v_cndmask_b32_e64 v18, 0, v23, s0
	global_store_b128 v[1:2], v[16:19], off
.LBB1805_5:
	s_or_b32 exec_lo, exec_lo, s1
	v_add_nc_u32_e32 v2, 16, v0
	s_delay_alu instid0(VALU_DEP_1) | instskip(SKIP_1) | instid1(VALU_DEP_1)
	v_cmp_le_i32_e64 s1, v21, v2
	v_cmp_gt_i32_e64 s0, s8, v2
	s_and_b32 s1, s1, s0
	s_delay_alu instid0(SALU_CYCLE_1)
	s_and_saveexec_b32 s8, s1
	s_cbranch_execz .LBB1805_7
; %bb.6:
	v_ashrrev_i32_e32 v3, 31, v2
	v_mul_f64 v[25:26], s[18:19], v[12:13]
	v_mul_f64 v[12:13], s[20:21], v[12:13]
	s_delay_alu instid0(VALU_DEP_3) | instskip(NEXT) | instid1(VALU_DEP_1)
	v_lshlrev_b64 v[16:17], 4, v[2:3]
	v_add_co_u32 v23, s1, v20, v16
	s_delay_alu instid0(VALU_DEP_1)
	v_add_co_ci_u32_e64 v24, s1, v22, v17, s1
	v_cmp_ne_u32_e64 s1, v21, v2
	global_load_b128 v[16:19], v[23:24], off
	v_fma_f64 v[25:26], s[20:21], v[14:15], v[25:26]
	v_fma_f64 v[12:13], s[18:19], v[14:15], -v[12:13]
	s_waitcnt vmcnt(0)
	v_mul_f64 v[27:28], s[4:5], v[18:19]
	v_mul_f64 v[18:19], s[6:7], v[18:19]
	s_delay_alu instid0(VALU_DEP_2) | instskip(NEXT) | instid1(VALU_DEP_2)
	v_fma_f64 v[27:28], s[6:7], v[16:17], v[27:28]
	v_fma_f64 v[14:15], s[4:5], v[16:17], -v[18:19]
	s_delay_alu instid0(VALU_DEP_2) | instskip(NEXT) | instid1(VALU_DEP_2)
	v_add_f64 v[16:17], v[25:26], v[27:28]
	v_add_f64 v[12:13], v[12:13], v[14:15]
	s_delay_alu instid0(VALU_DEP_2) | instskip(NEXT) | instid1(VALU_DEP_3)
	v_cndmask_b32_e64 v15, 0, v17, s1
	v_cndmask_b32_e64 v14, 0, v16, s1
	global_store_b128 v[23:24], v[12:15], off
.LBB1805_7:
	s_or_b32 exec_lo, exec_lo, s8
	v_add_nc_u32_e32 v3, 16, v21
	s_delay_alu instid0(VALU_DEP_1) | instskip(SKIP_3) | instid1(VALU_DEP_4)
	v_ashrrev_i32_e32 v1, 31, v3
	v_mul_lo_u32 v14, v3, s11
	v_mad_u64_u32 v[12:13], null, v3, s10, 0
	v_cmp_le_i32_e64 s1, v3, v0
	v_mul_lo_u32 v1, v1, s10
	s_delay_alu instid0(VALU_DEP_1) | instskip(NEXT) | instid1(VALU_DEP_1)
	v_add3_u32 v13, v13, v14, v1
	v_lshlrev_b64 v[12:13], 4, v[12:13]
	s_delay_alu instid0(VALU_DEP_1) | instskip(NEXT) | instid1(VALU_DEP_1)
	v_add_co_u32 v12, s2, s2, v12
	v_add_co_ci_u32_e64 v13, s2, s3, v13, s2
	s_and_b32 s2, s1, vcc_lo
	s_delay_alu instid0(SALU_CYCLE_1)
	s_and_saveexec_b32 s1, s2
	s_cbranch_execz .LBB1805_9
; %bb.8:
	v_ashrrev_i32_e32 v1, 31, v0
	v_mul_f64 v[22:23], s[18:19], v[10:11]
	v_mul_f64 v[10:11], s[20:21], v[10:11]
	s_delay_alu instid0(VALU_DEP_3) | instskip(NEXT) | instid1(VALU_DEP_1)
	v_lshlrev_b64 v[14:15], 4, v[0:1]
	v_add_co_u32 v18, vcc_lo, v12, v14
	s_delay_alu instid0(VALU_DEP_2)
	v_add_co_ci_u32_e32 v19, vcc_lo, v13, v15, vcc_lo
	v_cmp_ne_u32_e32 vcc_lo, v3, v0
	global_load_b128 v[14:17], v[18:19], off
	v_fma_f64 v[22:23], s[20:21], v[8:9], v[22:23]
	v_fma_f64 v[8:9], s[18:19], v[8:9], -v[10:11]
	s_waitcnt vmcnt(0)
	v_mul_f64 v[24:25], s[4:5], v[16:17]
	v_mul_f64 v[16:17], s[6:7], v[16:17]
	s_delay_alu instid0(VALU_DEP_2) | instskip(NEXT) | instid1(VALU_DEP_2)
	v_fma_f64 v[24:25], s[6:7], v[14:15], v[24:25]
	v_fma_f64 v[10:11], s[4:5], v[14:15], -v[16:17]
	s_delay_alu instid0(VALU_DEP_2) | instskip(NEXT) | instid1(VALU_DEP_2)
	v_add_f64 v[14:15], v[22:23], v[24:25]
	v_add_f64 v[8:9], v[8:9], v[10:11]
	s_delay_alu instid0(VALU_DEP_2)
	v_dual_cndmask_b32 v11, 0, v15 :: v_dual_cndmask_b32 v10, 0, v14
	global_store_b128 v[18:19], v[8:11], off
.LBB1805_9:
	s_or_b32 exec_lo, exec_lo, s1
	v_cmp_le_i32_e32 vcc_lo, v3, v2
	s_and_b32 s0, vcc_lo, s0
	s_delay_alu instid0(SALU_CYCLE_1)
	s_and_saveexec_b32 s1, s0
	s_cbranch_execz .LBB1805_11
; %bb.10:
	v_ashrrev_i32_e32 v3, 31, v2
	s_delay_alu instid0(VALU_DEP_1) | instskip(NEXT) | instid1(VALU_DEP_1)
	v_lshlrev_b64 v[1:2], 4, v[2:3]
	v_add_co_u32 v12, vcc_lo, v12, v1
	s_delay_alu instid0(VALU_DEP_2)
	v_add_co_ci_u32_e32 v13, vcc_lo, v13, v2, vcc_lo
	v_mul_f64 v[1:2], s[18:19], v[4:5]
	v_mul_f64 v[3:4], s[20:21], v[4:5]
	v_cmp_ne_u32_e32 vcc_lo, v21, v0
	global_load_b128 v[8:11], v[12:13], off
	v_fma_f64 v[1:2], s[20:21], v[6:7], v[1:2]
	v_fma_f64 v[3:4], s[18:19], v[6:7], -v[3:4]
	s_waitcnt vmcnt(0)
	v_mul_f64 v[14:15], s[4:5], v[10:11]
	v_mul_f64 v[10:11], s[6:7], v[10:11]
	s_delay_alu instid0(VALU_DEP_2) | instskip(NEXT) | instid1(VALU_DEP_2)
	v_fma_f64 v[14:15], s[6:7], v[8:9], v[14:15]
	v_fma_f64 v[5:6], s[4:5], v[8:9], -v[10:11]
	s_delay_alu instid0(VALU_DEP_2) | instskip(NEXT) | instid1(VALU_DEP_2)
	v_add_f64 v[7:8], v[1:2], v[14:15]
	v_add_f64 v[1:2], v[3:4], v[5:6]
	s_delay_alu instid0(VALU_DEP_2)
	v_dual_cndmask_b32 v4, 0, v8 :: v_dual_cndmask_b32 v3, 0, v7
	global_store_b128 v[12:13], v[1:4], off
.LBB1805_11:
	s_nop 0
	s_sendmsg sendmsg(MSG_DEALLOC_VGPRS)
	s_endpgm
	.section	.rodata,"a",@progbits
	.p2align	6, 0x0
	.amdhsa_kernel _ZL37rocblas_syrkx_herkx_restricted_kernelIl19rocblas_complex_numIdELi16ELi32ELi8ELb0ELb1ELc78ELc76EKPKS1_KPS1_EviT_T0_PT8_S7_lSA_S7_lS8_PT9_S7_li
		.amdhsa_group_segment_fixed_size 8192
		.amdhsa_private_segment_fixed_size 0
		.amdhsa_kernarg_size 124
		.amdhsa_user_sgpr_count 13
		.amdhsa_user_sgpr_dispatch_ptr 0
		.amdhsa_user_sgpr_queue_ptr 0
		.amdhsa_user_sgpr_kernarg_segment_ptr 1
		.amdhsa_user_sgpr_dispatch_id 0
		.amdhsa_user_sgpr_private_segment_size 0
		.amdhsa_wavefront_size32 1
		.amdhsa_uses_dynamic_stack 0
		.amdhsa_enable_private_segment 0
		.amdhsa_system_sgpr_workgroup_id_x 1
		.amdhsa_system_sgpr_workgroup_id_y 1
		.amdhsa_system_sgpr_workgroup_id_z 1
		.amdhsa_system_sgpr_workgroup_info 0
		.amdhsa_system_vgpr_workitem_id 1
		.amdhsa_next_free_vgpr 118
		.amdhsa_next_free_sgpr 28
		.amdhsa_reserve_vcc 1
		.amdhsa_float_round_mode_32 0
		.amdhsa_float_round_mode_16_64 0
		.amdhsa_float_denorm_mode_32 3
		.amdhsa_float_denorm_mode_16_64 3
		.amdhsa_dx10_clamp 1
		.amdhsa_ieee_mode 1
		.amdhsa_fp16_overflow 0
		.amdhsa_workgroup_processor_mode 1
		.amdhsa_memory_ordered 1
		.amdhsa_forward_progress 0
		.amdhsa_shared_vgpr_count 0
		.amdhsa_exception_fp_ieee_invalid_op 0
		.amdhsa_exception_fp_denorm_src 0
		.amdhsa_exception_fp_ieee_div_zero 0
		.amdhsa_exception_fp_ieee_overflow 0
		.amdhsa_exception_fp_ieee_underflow 0
		.amdhsa_exception_fp_ieee_inexact 0
		.amdhsa_exception_int_div_zero 0
	.end_amdhsa_kernel
	.section	.text._ZL37rocblas_syrkx_herkx_restricted_kernelIl19rocblas_complex_numIdELi16ELi32ELi8ELb0ELb1ELc78ELc76EKPKS1_KPS1_EviT_T0_PT8_S7_lSA_S7_lS8_PT9_S7_li,"axG",@progbits,_ZL37rocblas_syrkx_herkx_restricted_kernelIl19rocblas_complex_numIdELi16ELi32ELi8ELb0ELb1ELc78ELc76EKPKS1_KPS1_EviT_T0_PT8_S7_lSA_S7_lS8_PT9_S7_li,comdat
.Lfunc_end1805:
	.size	_ZL37rocblas_syrkx_herkx_restricted_kernelIl19rocblas_complex_numIdELi16ELi32ELi8ELb0ELb1ELc78ELc76EKPKS1_KPS1_EviT_T0_PT8_S7_lSA_S7_lS8_PT9_S7_li, .Lfunc_end1805-_ZL37rocblas_syrkx_herkx_restricted_kernelIl19rocblas_complex_numIdELi16ELi32ELi8ELb0ELb1ELc78ELc76EKPKS1_KPS1_EviT_T0_PT8_S7_lSA_S7_lS8_PT9_S7_li
                                        ; -- End function
	.section	.AMDGPU.csdata,"",@progbits
; Kernel info:
; codeLenInByte = 3476
; NumSgprs: 30
; NumVgprs: 118
; ScratchSize: 0
; MemoryBound: 0
; FloatMode: 240
; IeeeMode: 1
; LDSByteSize: 8192 bytes/workgroup (compile time only)
; SGPRBlocks: 3
; VGPRBlocks: 14
; NumSGPRsForWavesPerEU: 30
; NumVGPRsForWavesPerEU: 118
; Occupancy: 12
; WaveLimiterHint : 1
; COMPUTE_PGM_RSRC2:SCRATCH_EN: 0
; COMPUTE_PGM_RSRC2:USER_SGPR: 13
; COMPUTE_PGM_RSRC2:TRAP_HANDLER: 0
; COMPUTE_PGM_RSRC2:TGID_X_EN: 1
; COMPUTE_PGM_RSRC2:TGID_Y_EN: 1
; COMPUTE_PGM_RSRC2:TGID_Z_EN: 1
; COMPUTE_PGM_RSRC2:TIDIG_COMP_CNT: 1
	.section	.text._ZL37rocblas_syrkx_herkx_restricted_kernelIl19rocblas_complex_numIdELi16ELi32ELi8ELb0ELb1ELc84ELc85EKPKS1_KPS1_EviT_T0_PT8_S7_lSA_S7_lS8_PT9_S7_li,"axG",@progbits,_ZL37rocblas_syrkx_herkx_restricted_kernelIl19rocblas_complex_numIdELi16ELi32ELi8ELb0ELb1ELc84ELc85EKPKS1_KPS1_EviT_T0_PT8_S7_lSA_S7_lS8_PT9_S7_li,comdat
	.globl	_ZL37rocblas_syrkx_herkx_restricted_kernelIl19rocblas_complex_numIdELi16ELi32ELi8ELb0ELb1ELc84ELc85EKPKS1_KPS1_EviT_T0_PT8_S7_lSA_S7_lS8_PT9_S7_li ; -- Begin function _ZL37rocblas_syrkx_herkx_restricted_kernelIl19rocblas_complex_numIdELi16ELi32ELi8ELb0ELb1ELc84ELc85EKPKS1_KPS1_EviT_T0_PT8_S7_lSA_S7_lS8_PT9_S7_li
	.p2align	8
	.type	_ZL37rocblas_syrkx_herkx_restricted_kernelIl19rocblas_complex_numIdELi16ELi32ELi8ELb0ELb1ELc84ELc85EKPKS1_KPS1_EviT_T0_PT8_S7_lSA_S7_lS8_PT9_S7_li,@function
_ZL37rocblas_syrkx_herkx_restricted_kernelIl19rocblas_complex_numIdELi16ELi32ELi8ELb0ELb1ELc84ELc85EKPKS1_KPS1_EviT_T0_PT8_S7_lSA_S7_lS8_PT9_S7_li: ; @_ZL37rocblas_syrkx_herkx_restricted_kernelIl19rocblas_complex_numIdELi16ELi32ELi8ELb0ELb1ELc84ELc85EKPKS1_KPS1_EviT_T0_PT8_S7_lSA_S7_lS8_PT9_S7_li
; %bb.0:
	s_clause 0x1
	s_load_b256 s[4:11], s[0:1], 0x50
	s_load_b256 s[16:23], s[0:1], 0x8
	s_mov_b32 s2, s15
	s_mov_b32 s3, 0
	v_mov_b32_e32 v16, 0
	s_lshl_b64 s[24:25], s[2:3], 3
	v_dual_mov_b32 v17, 0 :: v_dual_and_b32 v20, 0x3ff, v0
	v_bfe_u32 v21, v0, 10, 10
	s_delay_alu instid0(VALU_DEP_3) | instskip(NEXT) | instid1(VALU_DEP_3)
	v_mov_b32_e32 v12, v16
	v_dual_mov_b32 v14, v16 :: v_dual_mov_b32 v15, v17
	v_dual_mov_b32 v19, v17 :: v_dual_mov_b32 v18, v16
	;; [unrolled: 1-line block ×5, first 2 shown]
	v_mov_b32_e32 v7, v17
	s_waitcnt lgkmcnt(0)
	s_add_u32 s2, s8, s24
	s_addc_u32 s3, s9, s25
	s_load_b64 s[8:9], s[0:1], 0x28
	s_load_b64 s[2:3], s[2:3], 0x0
	v_cmp_lt_i64_e64 s12, s[16:17], 1
	v_dual_mov_b32 v4, v16 :: v_dual_mov_b32 v5, v17
	s_lshl_b32 s26, s13, 5
	s_lshl_b32 s27, s14, 5
	s_delay_alu instid0(VALU_DEP_2)
	s_and_b32 vcc_lo, exec_lo, s12
	s_cbranch_vccnz .LBB1806_3
; %bb.1:
	v_lshl_add_u32 v2, v21, 4, v20
	s_load_b128 s[12:15], s[0:1], 0x38
	v_dual_mov_b32 v1, 0 :: v_dual_and_b32 v0, 7, v20
	s_add_u32 s22, s22, s24
	s_delay_alu instid0(VALU_DEP_2)
	v_and_b32_e32 v9, 31, v2
	v_lshrrev_b32_e32 v8, 3, v2
	v_lshrrev_b32_e32 v2, 5, v2
	s_addc_u32 s23, s23, s25
	v_lshl_add_u32 v23, v21, 7, 0x1000
	v_add_nc_u32_e32 v6, s26, v9
	v_dual_mov_b32 v3, v1 :: v_dual_add_nc_u32 v10, s27, v8
	s_load_b64 s[22:23], s[22:23], 0x0
	s_delay_alu instid0(VALU_DEP_2) | instskip(NEXT) | instid1(VALU_DEP_2)
	v_ashrrev_i32_e32 v11, 31, v6
	v_ashrrev_i32_e32 v7, 31, v10
	s_waitcnt lgkmcnt(0)
	v_mad_u64_u32 v[4:5], null, s8, v6, v[2:3]
	v_mul_lo_u32 v3, s9, v6
	v_mul_lo_u32 v11, s8, v11
	s_add_u32 s12, s12, s24
	s_addc_u32 s13, s13, s25
	v_mul_lo_u32 v12, v7, s14
	s_load_b64 s[8:9], s[12:13], 0x0
	v_mul_lo_u32 v13, v10, s15
	v_mad_u64_u32 v[6:7], null, v10, s14, v[0:1]
	v_lshlrev_b32_e32 v0, 4, v0
	v_add3_u32 v5, v3, v5, v11
	s_delay_alu instid0(VALU_DEP_2) | instskip(NEXT) | instid1(VALU_DEP_2)
	v_lshl_or_b32 v8, v8, 7, v0
	v_lshlrev_b64 v[0:1], 4, v[4:5]
	v_mov_b32_e32 v4, 0
	v_add3_u32 v7, v12, v7, v13
	v_mov_b32_e32 v5, 0
	v_lshlrev_b32_e32 v3, 4, v9
	v_lshlrev_b32_e32 v22, 4, v20
	v_add_co_u32 v0, vcc_lo, v0, s22
	s_delay_alu instid0(VALU_DEP_4) | instskip(NEXT) | instid1(VALU_DEP_4)
	v_mov_b32_e32 v11, v5
	v_lshl_or_b32 v24, v2, 9, v3
	v_lshlrev_b64 v[2:3], 4, v[6:7]
	v_add_co_ci_u32_e32 v1, vcc_lo, s23, v1, vcc_lo
	v_mov_b32_e32 v7, v5
	v_dual_mov_b32 v10, v4 :: v_dual_add_nc_u32 v25, 0x1000, v8
	s_waitcnt lgkmcnt(0)
	s_delay_alu instid0(VALU_DEP_4) | instskip(SKIP_3) | instid1(VALU_DEP_4)
	v_add_co_u32 v2, vcc_lo, v2, s8
	v_add_co_ci_u32_e32 v3, vcc_lo, s9, v3, vcc_lo
	v_add_co_u32 v0, vcc_lo, v0, 8
	v_add_co_ci_u32_e32 v1, vcc_lo, 0, v1, vcc_lo
	v_add_co_u32 v2, vcc_lo, v2, 8
	s_delay_alu instid0(VALU_DEP_4)
	v_add_co_ci_u32_e32 v3, vcc_lo, 0, v3, vcc_lo
	v_dual_mov_b32 v6, v4 :: v_dual_mov_b32 v9, v5
	v_dual_mov_b32 v8, v4 :: v_dual_mov_b32 v15, v5
	;; [unrolled: 1-line block ×5, first 2 shown]
	v_mov_b32_e32 v16, v4
	s_mov_b64 s[8:9], 0
.LBB1806_2:                             ; =>This Inner Loop Header: Depth=1
	global_load_b128 v[26:29], v[0:1], off offset:-8
	global_load_b128 v[30:33], v[2:3], off offset:-8
	s_add_u32 s8, s8, 8
	v_add_co_u32 v0, vcc_lo, 0x80, v0
	s_addc_u32 s9, s9, 0
	v_add_co_ci_u32_e32 v1, vcc_lo, 0, v1, vcc_lo
	v_cmp_ge_u64_e64 s12, s[8:9], s[16:17]
	v_add_co_u32 v2, vcc_lo, 0x80, v2
	v_add_co_ci_u32_e32 v3, vcc_lo, 0, v3, vcc_lo
	s_waitcnt vmcnt(1)
	ds_store_b128 v24, v[26:29]
	s_waitcnt vmcnt(0)
	ds_store_b128 v25, v[30:33]
	s_waitcnt lgkmcnt(0)
	s_barrier
	buffer_gl0_inv
	ds_load_b128 v[26:29], v23
	ds_load_b128 v[30:33], v22
	ds_load_b128 v[34:37], v22 offset:256
	ds_load_b128 v[38:41], v23 offset:2048
	;; [unrolled: 1-line block ×13, first 2 shown]
	s_and_b32 vcc_lo, exec_lo, s12
	s_waitcnt lgkmcnt(13)
	v_mul_f64 v[86:87], v[28:29], v[32:33]
	v_mul_f64 v[88:89], v[26:27], v[32:33]
	s_waitcnt lgkmcnt(12)
	v_mul_f64 v[90:91], v[28:29], v[36:37]
	v_mul_f64 v[92:93], v[26:27], v[36:37]
	;; [unrolled: 3-line block ×3, first 2 shown]
	v_mul_f64 v[96:97], v[40:41], v[36:37]
	v_mul_f64 v[36:37], v[38:39], v[36:37]
	s_waitcnt lgkmcnt(8)
	v_mul_f64 v[98:99], v[44:45], v[52:53]
	v_mul_f64 v[100:101], v[42:43], v[52:53]
	s_waitcnt lgkmcnt(7)
	v_mul_f64 v[102:103], v[44:45], v[56:57]
	v_mul_f64 v[104:105], v[42:43], v[56:57]
	;; [unrolled: 1-line block ×6, first 2 shown]
	s_waitcnt lgkmcnt(3)
	v_mul_f64 v[112:113], v[58:59], v[72:73]
	s_waitcnt lgkmcnt(2)
	v_mul_f64 v[114:115], v[76:77], v[68:69]
	v_mul_f64 v[116:117], v[76:77], v[72:73]
	v_fma_f64 v[86:87], v[26:27], v[30:31], -v[86:87]
	v_fma_f64 v[88:89], v[28:29], v[30:31], v[88:89]
	v_fma_f64 v[90:91], v[26:27], v[34:35], -v[90:91]
	v_fma_f64 v[92:93], v[28:29], v[34:35], v[92:93]
	;; [unrolled: 2-line block ×4, first 2 shown]
	v_mul_f64 v[36:37], v[60:61], v[68:69]
	v_mul_f64 v[40:41], v[58:59], v[68:69]
	;; [unrolled: 1-line block ×5, first 2 shown]
	v_fma_f64 v[98:99], v[42:43], v[50:51], -v[98:99]
	v_fma_f64 v[100:101], v[44:45], v[50:51], v[100:101]
	v_fma_f64 v[42:43], v[42:43], v[54:55], -v[102:103]
	v_fma_f64 v[44:45], v[44:45], v[54:55], v[104:105]
	;; [unrolled: 2-line block ×4, first 2 shown]
	ds_load_b128 v[26:29], v22 offset:1792
	ds_load_b128 v[30:33], v22 offset:2048
	s_waitcnt lgkmcnt(2)
	v_mul_f64 v[56:57], v[64:65], v[84:85]
	v_add_f64 v[16:17], v[16:17], v[86:87]
	v_add_f64 v[18:19], v[18:19], v[88:89]
	;; [unrolled: 1-line block ×8, first 2 shown]
	v_mul_f64 v[86:87], v[62:63], v[84:85]
	s_waitcnt lgkmcnt(1)
	v_mul_f64 v[88:89], v[64:65], v[28:29]
	v_mul_f64 v[90:91], v[62:63], v[28:29]
	;; [unrolled: 1-line block ×6, first 2 shown]
	v_fma_f64 v[104:105], v[58:59], v[66:67], -v[36:37]
	v_fma_f64 v[106:107], v[60:61], v[66:67], v[40:41]
	v_fma_f64 v[58:59], v[58:59], v[70:71], -v[96:97]
	v_fma_f64 v[60:61], v[60:61], v[70:71], v[112:113]
	;; [unrolled: 2-line block ×4, first 2 shown]
	ds_load_b128 v[4:7], v22 offset:2304
	ds_load_b128 v[8:11], v23 offset:64
	v_fma_f64 v[56:57], v[62:63], v[82:83], -v[56:57]
	v_add_f64 v[72:73], v[16:17], v[98:99]
	v_add_f64 v[74:75], v[18:19], v[100:101]
	;; [unrolled: 1-line block ×8, first 2 shown]
	ds_load_b128 v[12:15], v23 offset:2112
	ds_load_b128 v[16:19], v23 offset:80
	;; [unrolled: 1-line block ×4, first 2 shown]
	s_waitcnt lgkmcnt(4)
	v_mul_f64 v[54:55], v[10:11], v[32:33]
	v_mul_f64 v[76:77], v[8:9], v[32:33]
	v_mul_f64 v[98:99], v[10:11], v[6:7]
	v_mul_f64 v[100:101], v[8:9], v[6:7]
	v_fma_f64 v[86:87], v[64:65], v[82:83], v[86:87]
	v_fma_f64 v[62:63], v[62:63], v[26:27], -v[88:89]
	v_fma_f64 v[64:65], v[64:65], v[26:27], v[90:91]
	v_fma_f64 v[88:89], v[78:79], v[82:83], -v[92:93]
	;; [unrolled: 2-line block ×3, first 2 shown]
	v_fma_f64 v[80:81], v[80:81], v[26:27], v[28:29]
	s_waitcnt lgkmcnt(3)
	v_mul_f64 v[102:103], v[14:15], v[32:33]
	v_mul_f64 v[32:33], v[12:13], v[32:33]
	;; [unrolled: 1-line block ×4, first 2 shown]
	s_waitcnt lgkmcnt(0)
	v_mul_f64 v[90:91], v[18:19], v[40:41]
	v_mul_f64 v[92:93], v[16:17], v[40:41]
	v_add_f64 v[72:73], v[72:73], v[104:105]
	v_add_f64 v[74:75], v[74:75], v[106:107]
	;; [unrolled: 1-line block ×8, first 2 shown]
	ds_load_b128 v[26:29], v22 offset:2816
	ds_load_b128 v[42:45], v22 offset:3072
	;; [unrolled: 1-line block ×4, first 2 shown]
	v_mul_f64 v[104:105], v[36:37], v[40:41]
	v_mul_f64 v[40:41], v[34:35], v[40:41]
	v_fma_f64 v[54:55], v[8:9], v[30:31], -v[54:55]
	v_fma_f64 v[76:77], v[10:11], v[30:31], v[76:77]
	v_fma_f64 v[98:99], v[8:9], v[4:5], -v[98:99]
	v_fma_f64 v[100:101], v[10:11], v[4:5], v[100:101]
	s_waitcnt lgkmcnt(3)
	v_mul_f64 v[94:95], v[18:19], v[28:29]
	v_mul_f64 v[96:97], v[16:17], v[28:29]
	;; [unrolled: 1-line block ×4, first 2 shown]
	v_fma_f64 v[102:103], v[12:13], v[30:31], -v[102:103]
	v_fma_f64 v[32:33], v[14:15], v[30:31], v[32:33]
	v_fma_f64 v[108:109], v[12:13], v[4:5], -v[108:109]
	v_fma_f64 v[112:113], v[14:15], v[4:5], v[6:7]
	ds_load_b128 v[4:7], v23 offset:2144
	ds_load_b128 v[8:11], v23 offset:112
	;; [unrolled: 1-line block ×4, first 2 shown]
	v_add_f64 v[56:57], v[72:73], v[56:57]
	v_add_f64 v[72:73], v[74:75], v[86:87]
	;; [unrolled: 1-line block ×8, first 2 shown]
	s_waitcnt lgkmcnt(4)
	v_mul_f64 v[70:71], v[52:53], v[44:45]
	v_mul_f64 v[74:75], v[50:51], v[44:45]
	;; [unrolled: 1-line block ×4, first 2 shown]
	s_waitcnt lgkmcnt(3)
	v_mul_f64 v[82:83], v[6:7], v[44:45]
	v_mul_f64 v[44:45], v[4:5], v[44:45]
	;; [unrolled: 1-line block ×4, first 2 shown]
	v_fma_f64 v[86:87], v[16:17], v[38:39], -v[90:91]
	v_fma_f64 v[88:89], v[18:19], v[38:39], v[92:93]
	v_fma_f64 v[90:91], v[16:17], v[26:27], -v[94:95]
	v_fma_f64 v[92:93], v[18:19], v[26:27], v[96:97]
	;; [unrolled: 2-line block ×4, first 2 shown]
	ds_load_b128 v[16:19], v22 offset:3840
	s_waitcnt lgkmcnt(0)
	s_barrier
	buffer_gl0_inv
	v_add_f64 v[36:37], v[56:57], v[54:55]
	v_add_f64 v[40:41], v[72:73], v[76:77]
	;; [unrolled: 1-line block ×8, first 2 shown]
	v_mul_f64 v[64:65], v[10:11], v[30:31]
	v_mul_f64 v[66:67], v[8:9], v[30:31]
	;; [unrolled: 1-line block ×4, first 2 shown]
	v_fma_f64 v[70:71], v[50:51], v[42:43], -v[70:71]
	v_mul_f64 v[68:69], v[10:11], v[18:19]
	v_mul_f64 v[72:73], v[8:9], v[18:19]
	;; [unrolled: 1-line block ×4, first 2 shown]
	v_fma_f64 v[74:75], v[52:53], v[42:43], v[74:75]
	v_fma_f64 v[50:51], v[50:51], v[46:47], -v[78:79]
	v_fma_f64 v[52:53], v[52:53], v[46:47], v[80:81]
	v_fma_f64 v[78:79], v[4:5], v[42:43], -v[82:83]
	;; [unrolled: 2-line block ×3, first 2 shown]
	v_fma_f64 v[6:7], v[6:7], v[46:47], v[48:49]
	v_add_f64 v[36:37], v[36:37], v[86:87]
	v_add_f64 v[40:41], v[40:41], v[88:89]
	;; [unrolled: 1-line block ×8, first 2 shown]
	v_fma_f64 v[38:39], v[8:9], v[28:29], -v[64:65]
	v_fma_f64 v[54:55], v[10:11], v[28:29], v[66:67]
	v_fma_f64 v[56:57], v[12:13], v[28:29], -v[76:77]
	v_fma_f64 v[28:29], v[14:15], v[28:29], v[30:31]
	;; [unrolled: 2-line block ×4, first 2 shown]
	v_add_f64 v[12:13], v[36:37], v[70:71]
	v_add_f64 v[14:15], v[40:41], v[74:75]
	;; [unrolled: 1-line block ×16, first 2 shown]
	s_cbranch_vccz .LBB1806_2
.LBB1806_3:
	v_add_nc_u32_e32 v21, s27, v21
	s_waitcnt lgkmcnt(0)
	s_load_b32 s8, s[0:1], 0x0
	s_delay_alu instid0(VALU_DEP_1) | instskip(SKIP_2) | instid1(VALU_DEP_3)
	v_ashrrev_i32_e32 v0, 31, v21
	v_mul_lo_u32 v3, v21, s11
	v_mad_u64_u32 v[1:2], null, v21, s10, 0
	v_mul_lo_u32 v0, v0, s10
	s_delay_alu instid0(VALU_DEP_1) | instskip(SKIP_3) | instid1(VALU_DEP_3)
	v_add3_u32 v2, v2, v3, v0
	v_add_nc_u32_e32 v0, s26, v20
	s_waitcnt lgkmcnt(0)
	v_cmp_gt_i32_e32 vcc_lo, s8, v21
	v_lshlrev_b64 v[1:2], 4, v[1:2]
	s_delay_alu instid0(VALU_DEP_3) | instskip(NEXT) | instid1(VALU_DEP_1)
	v_cmp_le_i32_e64 s0, v0, v21
	s_and_b32 s0, vcc_lo, s0
	s_delay_alu instid0(VALU_DEP_2) | instskip(NEXT) | instid1(VALU_DEP_1)
	v_add_co_u32 v20, s1, s2, v1
	v_add_co_ci_u32_e64 v22, s1, s3, v2, s1
	s_and_saveexec_b32 s1, s0
	s_cbranch_execz .LBB1806_5
; %bb.4:
	v_ashrrev_i32_e32 v1, 31, v0
	v_mul_f64 v[27:28], s[18:19], v[18:19]
	v_mul_f64 v[18:19], s[20:21], v[18:19]
	s_delay_alu instid0(VALU_DEP_3) | instskip(NEXT) | instid1(VALU_DEP_1)
	v_lshlrev_b64 v[1:2], 4, v[0:1]
	v_add_co_u32 v1, s0, v20, v1
	s_delay_alu instid0(VALU_DEP_1)
	v_add_co_ci_u32_e64 v2, s0, v22, v2, s0
	v_cmp_ne_u32_e64 s0, v21, v0
	global_load_b128 v[23:26], v[1:2], off
	v_fma_f64 v[27:28], s[20:21], v[16:17], v[27:28]
	v_fma_f64 v[16:17], s[18:19], v[16:17], -v[18:19]
	s_waitcnt vmcnt(0)
	v_mul_f64 v[29:30], s[4:5], v[25:26]
	v_mul_f64 v[25:26], s[6:7], v[25:26]
	s_delay_alu instid0(VALU_DEP_2) | instskip(NEXT) | instid1(VALU_DEP_2)
	v_fma_f64 v[29:30], s[6:7], v[23:24], v[29:30]
	v_fma_f64 v[18:19], s[4:5], v[23:24], -v[25:26]
	s_delay_alu instid0(VALU_DEP_2) | instskip(NEXT) | instid1(VALU_DEP_2)
	v_add_f64 v[23:24], v[27:28], v[29:30]
	v_add_f64 v[16:17], v[16:17], v[18:19]
	s_delay_alu instid0(VALU_DEP_2) | instskip(NEXT) | instid1(VALU_DEP_3)
	v_cndmask_b32_e64 v19, 0, v24, s0
	v_cndmask_b32_e64 v18, 0, v23, s0
	global_store_b128 v[1:2], v[16:19], off
.LBB1806_5:
	s_or_b32 exec_lo, exec_lo, s1
	v_add_nc_u32_e32 v2, 16, v0
	s_delay_alu instid0(VALU_DEP_1) | instskip(NEXT) | instid1(VALU_DEP_1)
	v_cmp_le_i32_e64 s0, v2, v21
	s_and_b32 s1, vcc_lo, s0
	s_delay_alu instid0(SALU_CYCLE_1)
	s_and_saveexec_b32 s0, s1
	s_cbranch_execz .LBB1806_7
; %bb.6:
	v_ashrrev_i32_e32 v3, 31, v2
	v_mul_f64 v[25:26], s[18:19], v[14:15]
	v_mul_f64 v[14:15], s[20:21], v[14:15]
	s_delay_alu instid0(VALU_DEP_3) | instskip(NEXT) | instid1(VALU_DEP_1)
	v_lshlrev_b64 v[16:17], 4, v[2:3]
	v_add_co_u32 v23, vcc_lo, v20, v16
	s_delay_alu instid0(VALU_DEP_2)
	v_add_co_ci_u32_e32 v24, vcc_lo, v22, v17, vcc_lo
	v_cmp_ne_u32_e32 vcc_lo, v21, v2
	global_load_b128 v[16:19], v[23:24], off
	v_fma_f64 v[25:26], s[20:21], v[12:13], v[25:26]
	v_fma_f64 v[12:13], s[18:19], v[12:13], -v[14:15]
	s_waitcnt vmcnt(0)
	v_mul_f64 v[27:28], s[4:5], v[18:19]
	v_mul_f64 v[18:19], s[6:7], v[18:19]
	s_delay_alu instid0(VALU_DEP_2) | instskip(NEXT) | instid1(VALU_DEP_2)
	v_fma_f64 v[27:28], s[6:7], v[16:17], v[27:28]
	v_fma_f64 v[14:15], s[4:5], v[16:17], -v[18:19]
	s_delay_alu instid0(VALU_DEP_2) | instskip(NEXT) | instid1(VALU_DEP_2)
	v_add_f64 v[16:17], v[25:26], v[27:28]
	v_add_f64 v[12:13], v[12:13], v[14:15]
	s_delay_alu instid0(VALU_DEP_2)
	v_dual_cndmask_b32 v15, 0, v17 :: v_dual_cndmask_b32 v14, 0, v16
	global_store_b128 v[23:24], v[12:15], off
.LBB1806_7:
	s_or_b32 exec_lo, exec_lo, s0
	v_add_nc_u32_e32 v3, 16, v21
	s_delay_alu instid0(VALU_DEP_1) | instskip(SKIP_3) | instid1(VALU_DEP_4)
	v_ashrrev_i32_e32 v1, 31, v3
	v_mul_lo_u32 v14, v3, s11
	v_mad_u64_u32 v[12:13], null, v3, s10, 0
	v_cmp_gt_i32_e32 vcc_lo, s8, v3
	v_mul_lo_u32 v1, v1, s10
	v_cmp_le_i32_e64 s0, v0, v3
	s_delay_alu instid0(VALU_DEP_1) | instskip(NEXT) | instid1(VALU_DEP_2)
	s_and_b32 s0, vcc_lo, s0
	v_add3_u32 v13, v13, v14, v1
	s_delay_alu instid0(VALU_DEP_1) | instskip(NEXT) | instid1(VALU_DEP_1)
	v_lshlrev_b64 v[12:13], 4, v[12:13]
	v_add_co_u32 v12, s1, s2, v12
	s_delay_alu instid0(VALU_DEP_1)
	v_add_co_ci_u32_e64 v13, s1, s3, v13, s1
	s_and_saveexec_b32 s1, s0
	s_cbranch_execz .LBB1806_9
; %bb.8:
	v_ashrrev_i32_e32 v1, 31, v0
	v_mul_f64 v[22:23], s[18:19], v[10:11]
	v_mul_f64 v[10:11], s[20:21], v[10:11]
	s_delay_alu instid0(VALU_DEP_3) | instskip(NEXT) | instid1(VALU_DEP_1)
	v_lshlrev_b64 v[14:15], 4, v[0:1]
	v_add_co_u32 v18, s0, v12, v14
	s_delay_alu instid0(VALU_DEP_1)
	v_add_co_ci_u32_e64 v19, s0, v13, v15, s0
	v_cmp_ne_u32_e64 s0, v3, v0
	global_load_b128 v[14:17], v[18:19], off
	v_fma_f64 v[22:23], s[20:21], v[8:9], v[22:23]
	v_fma_f64 v[8:9], s[18:19], v[8:9], -v[10:11]
	s_waitcnt vmcnt(0)
	v_mul_f64 v[24:25], s[4:5], v[16:17]
	v_mul_f64 v[16:17], s[6:7], v[16:17]
	s_delay_alu instid0(VALU_DEP_2) | instskip(NEXT) | instid1(VALU_DEP_2)
	v_fma_f64 v[24:25], s[6:7], v[14:15], v[24:25]
	v_fma_f64 v[10:11], s[4:5], v[14:15], -v[16:17]
	s_delay_alu instid0(VALU_DEP_2) | instskip(NEXT) | instid1(VALU_DEP_2)
	v_add_f64 v[14:15], v[22:23], v[24:25]
	v_add_f64 v[8:9], v[8:9], v[10:11]
	s_delay_alu instid0(VALU_DEP_2) | instskip(NEXT) | instid1(VALU_DEP_3)
	v_cndmask_b32_e64 v11, 0, v15, s0
	v_cndmask_b32_e64 v10, 0, v14, s0
	global_store_b128 v[18:19], v[8:11], off
.LBB1806_9:
	s_or_b32 exec_lo, exec_lo, s1
	v_cmp_le_i32_e64 s0, v2, v3
	s_delay_alu instid0(VALU_DEP_1) | instskip(NEXT) | instid1(SALU_CYCLE_1)
	s_and_b32 s0, vcc_lo, s0
	s_and_saveexec_b32 s1, s0
	s_cbranch_execz .LBB1806_11
; %bb.10:
	v_ashrrev_i32_e32 v3, 31, v2
	s_delay_alu instid0(VALU_DEP_1) | instskip(NEXT) | instid1(VALU_DEP_1)
	v_lshlrev_b64 v[1:2], 4, v[2:3]
	v_add_co_u32 v12, vcc_lo, v12, v1
	s_delay_alu instid0(VALU_DEP_2)
	v_add_co_ci_u32_e32 v13, vcc_lo, v13, v2, vcc_lo
	v_mul_f64 v[1:2], s[18:19], v[4:5]
	v_mul_f64 v[3:4], s[20:21], v[4:5]
	v_cmp_ne_u32_e32 vcc_lo, v21, v0
	global_load_b128 v[8:11], v[12:13], off
	v_fma_f64 v[1:2], s[20:21], v[6:7], v[1:2]
	v_fma_f64 v[3:4], s[18:19], v[6:7], -v[3:4]
	s_waitcnt vmcnt(0)
	v_mul_f64 v[14:15], s[4:5], v[10:11]
	v_mul_f64 v[10:11], s[6:7], v[10:11]
	s_delay_alu instid0(VALU_DEP_2) | instskip(NEXT) | instid1(VALU_DEP_2)
	v_fma_f64 v[14:15], s[6:7], v[8:9], v[14:15]
	v_fma_f64 v[5:6], s[4:5], v[8:9], -v[10:11]
	s_delay_alu instid0(VALU_DEP_2) | instskip(NEXT) | instid1(VALU_DEP_2)
	v_add_f64 v[7:8], v[1:2], v[14:15]
	v_add_f64 v[1:2], v[3:4], v[5:6]
	s_delay_alu instid0(VALU_DEP_2)
	v_dual_cndmask_b32 v4, 0, v8 :: v_dual_cndmask_b32 v3, 0, v7
	global_store_b128 v[12:13], v[1:4], off
.LBB1806_11:
	s_nop 0
	s_sendmsg sendmsg(MSG_DEALLOC_VGPRS)
	s_endpgm
	.section	.rodata,"a",@progbits
	.p2align	6, 0x0
	.amdhsa_kernel _ZL37rocblas_syrkx_herkx_restricted_kernelIl19rocblas_complex_numIdELi16ELi32ELi8ELb0ELb1ELc84ELc85EKPKS1_KPS1_EviT_T0_PT8_S7_lSA_S7_lS8_PT9_S7_li
		.amdhsa_group_segment_fixed_size 8192
		.amdhsa_private_segment_fixed_size 0
		.amdhsa_kernarg_size 124
		.amdhsa_user_sgpr_count 13
		.amdhsa_user_sgpr_dispatch_ptr 0
		.amdhsa_user_sgpr_queue_ptr 0
		.amdhsa_user_sgpr_kernarg_segment_ptr 1
		.amdhsa_user_sgpr_dispatch_id 0
		.amdhsa_user_sgpr_private_segment_size 0
		.amdhsa_wavefront_size32 1
		.amdhsa_uses_dynamic_stack 0
		.amdhsa_enable_private_segment 0
		.amdhsa_system_sgpr_workgroup_id_x 1
		.amdhsa_system_sgpr_workgroup_id_y 1
		.amdhsa_system_sgpr_workgroup_id_z 1
		.amdhsa_system_sgpr_workgroup_info 0
		.amdhsa_system_vgpr_workitem_id 1
		.amdhsa_next_free_vgpr 118
		.amdhsa_next_free_sgpr 28
		.amdhsa_reserve_vcc 1
		.amdhsa_float_round_mode_32 0
		.amdhsa_float_round_mode_16_64 0
		.amdhsa_float_denorm_mode_32 3
		.amdhsa_float_denorm_mode_16_64 3
		.amdhsa_dx10_clamp 1
		.amdhsa_ieee_mode 1
		.amdhsa_fp16_overflow 0
		.amdhsa_workgroup_processor_mode 1
		.amdhsa_memory_ordered 1
		.amdhsa_forward_progress 0
		.amdhsa_shared_vgpr_count 0
		.amdhsa_exception_fp_ieee_invalid_op 0
		.amdhsa_exception_fp_denorm_src 0
		.amdhsa_exception_fp_ieee_div_zero 0
		.amdhsa_exception_fp_ieee_overflow 0
		.amdhsa_exception_fp_ieee_underflow 0
		.amdhsa_exception_fp_ieee_inexact 0
		.amdhsa_exception_int_div_zero 0
	.end_amdhsa_kernel
	.section	.text._ZL37rocblas_syrkx_herkx_restricted_kernelIl19rocblas_complex_numIdELi16ELi32ELi8ELb0ELb1ELc84ELc85EKPKS1_KPS1_EviT_T0_PT8_S7_lSA_S7_lS8_PT9_S7_li,"axG",@progbits,_ZL37rocblas_syrkx_herkx_restricted_kernelIl19rocblas_complex_numIdELi16ELi32ELi8ELb0ELb1ELc84ELc85EKPKS1_KPS1_EviT_T0_PT8_S7_lSA_S7_lS8_PT9_S7_li,comdat
.Lfunc_end1806:
	.size	_ZL37rocblas_syrkx_herkx_restricted_kernelIl19rocblas_complex_numIdELi16ELi32ELi8ELb0ELb1ELc84ELc85EKPKS1_KPS1_EviT_T0_PT8_S7_lSA_S7_lS8_PT9_S7_li, .Lfunc_end1806-_ZL37rocblas_syrkx_herkx_restricted_kernelIl19rocblas_complex_numIdELi16ELi32ELi8ELb0ELb1ELc84ELc85EKPKS1_KPS1_EviT_T0_PT8_S7_lSA_S7_lS8_PT9_S7_li
                                        ; -- End function
	.section	.AMDGPU.csdata,"",@progbits
; Kernel info:
; codeLenInByte = 3480
; NumSgprs: 30
; NumVgprs: 118
; ScratchSize: 0
; MemoryBound: 0
; FloatMode: 240
; IeeeMode: 1
; LDSByteSize: 8192 bytes/workgroup (compile time only)
; SGPRBlocks: 3
; VGPRBlocks: 14
; NumSGPRsForWavesPerEU: 30
; NumVGPRsForWavesPerEU: 118
; Occupancy: 12
; WaveLimiterHint : 1
; COMPUTE_PGM_RSRC2:SCRATCH_EN: 0
; COMPUTE_PGM_RSRC2:USER_SGPR: 13
; COMPUTE_PGM_RSRC2:TRAP_HANDLER: 0
; COMPUTE_PGM_RSRC2:TGID_X_EN: 1
; COMPUTE_PGM_RSRC2:TGID_Y_EN: 1
; COMPUTE_PGM_RSRC2:TGID_Z_EN: 1
; COMPUTE_PGM_RSRC2:TIDIG_COMP_CNT: 1
	.section	.text._ZL37rocblas_syrkx_herkx_restricted_kernelIl19rocblas_complex_numIdELi16ELi32ELi8ELb0ELb1ELc67ELc85EKPKS1_KPS1_EviT_T0_PT8_S7_lSA_S7_lS8_PT9_S7_li,"axG",@progbits,_ZL37rocblas_syrkx_herkx_restricted_kernelIl19rocblas_complex_numIdELi16ELi32ELi8ELb0ELb1ELc67ELc85EKPKS1_KPS1_EviT_T0_PT8_S7_lSA_S7_lS8_PT9_S7_li,comdat
	.globl	_ZL37rocblas_syrkx_herkx_restricted_kernelIl19rocblas_complex_numIdELi16ELi32ELi8ELb0ELb1ELc67ELc85EKPKS1_KPS1_EviT_T0_PT8_S7_lSA_S7_lS8_PT9_S7_li ; -- Begin function _ZL37rocblas_syrkx_herkx_restricted_kernelIl19rocblas_complex_numIdELi16ELi32ELi8ELb0ELb1ELc67ELc85EKPKS1_KPS1_EviT_T0_PT8_S7_lSA_S7_lS8_PT9_S7_li
	.p2align	8
	.type	_ZL37rocblas_syrkx_herkx_restricted_kernelIl19rocblas_complex_numIdELi16ELi32ELi8ELb0ELb1ELc67ELc85EKPKS1_KPS1_EviT_T0_PT8_S7_lSA_S7_lS8_PT9_S7_li,@function
_ZL37rocblas_syrkx_herkx_restricted_kernelIl19rocblas_complex_numIdELi16ELi32ELi8ELb0ELb1ELc67ELc85EKPKS1_KPS1_EviT_T0_PT8_S7_lSA_S7_lS8_PT9_S7_li: ; @_ZL37rocblas_syrkx_herkx_restricted_kernelIl19rocblas_complex_numIdELi16ELi32ELi8ELb0ELb1ELc67ELc85EKPKS1_KPS1_EviT_T0_PT8_S7_lSA_S7_lS8_PT9_S7_li
; %bb.0:
	s_clause 0x1
	s_load_b256 s[4:11], s[0:1], 0x50
	s_load_b256 s[16:23], s[0:1], 0x8
	s_mov_b32 s2, s15
	s_mov_b32 s3, 0
	v_mov_b32_e32 v16, 0
	s_lshl_b64 s[24:25], s[2:3], 3
	v_dual_mov_b32 v17, 0 :: v_dual_and_b32 v20, 0x3ff, v0
	v_bfe_u32 v21, v0, 10, 10
	s_delay_alu instid0(VALU_DEP_3) | instskip(NEXT) | instid1(VALU_DEP_3)
	v_mov_b32_e32 v12, v16
	v_dual_mov_b32 v14, v16 :: v_dual_mov_b32 v15, v17
	v_dual_mov_b32 v19, v17 :: v_dual_mov_b32 v18, v16
	;; [unrolled: 1-line block ×5, first 2 shown]
	v_mov_b32_e32 v7, v17
	s_waitcnt lgkmcnt(0)
	s_add_u32 s2, s8, s24
	s_addc_u32 s3, s9, s25
	s_load_b64 s[8:9], s[0:1], 0x28
	s_load_b64 s[2:3], s[2:3], 0x0
	v_cmp_lt_i64_e64 s12, s[16:17], 1
	v_dual_mov_b32 v4, v16 :: v_dual_mov_b32 v5, v17
	s_lshl_b32 s26, s13, 5
	s_lshl_b32 s27, s14, 5
	s_delay_alu instid0(VALU_DEP_2)
	s_and_b32 vcc_lo, exec_lo, s12
	s_cbranch_vccnz .LBB1807_3
; %bb.1:
	v_lshl_add_u32 v2, v21, 4, v20
	s_load_b128 s[12:15], s[0:1], 0x38
	v_dual_mov_b32 v1, 0 :: v_dual_and_b32 v0, 7, v20
	s_add_u32 s22, s22, s24
	s_delay_alu instid0(VALU_DEP_2)
	v_and_b32_e32 v9, 31, v2
	v_lshrrev_b32_e32 v8, 3, v2
	v_lshrrev_b32_e32 v2, 5, v2
	s_addc_u32 s23, s23, s25
	v_lshl_add_u32 v23, v21, 7, 0x1000
	v_add_nc_u32_e32 v6, s26, v9
	v_dual_mov_b32 v3, v1 :: v_dual_add_nc_u32 v10, s27, v8
	s_load_b64 s[22:23], s[22:23], 0x0
	s_delay_alu instid0(VALU_DEP_2) | instskip(NEXT) | instid1(VALU_DEP_2)
	v_ashrrev_i32_e32 v11, 31, v6
	v_ashrrev_i32_e32 v7, 31, v10
	s_waitcnt lgkmcnt(0)
	v_mad_u64_u32 v[4:5], null, s8, v6, v[2:3]
	v_mul_lo_u32 v3, s9, v6
	v_mul_lo_u32 v11, s8, v11
	s_add_u32 s12, s12, s24
	s_addc_u32 s13, s13, s25
	v_mul_lo_u32 v12, v7, s14
	s_load_b64 s[8:9], s[12:13], 0x0
	v_mul_lo_u32 v13, v10, s15
	v_mad_u64_u32 v[6:7], null, v10, s14, v[0:1]
	v_lshlrev_b32_e32 v0, 4, v0
	v_add3_u32 v5, v3, v5, v11
	s_delay_alu instid0(VALU_DEP_2) | instskip(NEXT) | instid1(VALU_DEP_2)
	v_lshl_or_b32 v8, v8, 7, v0
	v_lshlrev_b64 v[0:1], 4, v[4:5]
	v_mov_b32_e32 v4, 0
	v_add3_u32 v7, v12, v7, v13
	v_mov_b32_e32 v5, 0
	v_lshlrev_b32_e32 v3, 4, v9
	v_lshlrev_b32_e32 v22, 4, v20
	v_add_co_u32 v0, vcc_lo, v0, s22
	s_delay_alu instid0(VALU_DEP_4) | instskip(NEXT) | instid1(VALU_DEP_4)
	v_mov_b32_e32 v11, v5
	v_lshl_or_b32 v24, v2, 9, v3
	v_lshlrev_b64 v[2:3], 4, v[6:7]
	v_add_co_ci_u32_e32 v1, vcc_lo, s23, v1, vcc_lo
	v_mov_b32_e32 v7, v5
	v_dual_mov_b32 v10, v4 :: v_dual_add_nc_u32 v25, 0x1000, v8
	s_waitcnt lgkmcnt(0)
	s_delay_alu instid0(VALU_DEP_4) | instskip(SKIP_3) | instid1(VALU_DEP_4)
	v_add_co_u32 v2, vcc_lo, v2, s8
	v_add_co_ci_u32_e32 v3, vcc_lo, s9, v3, vcc_lo
	v_add_co_u32 v0, vcc_lo, v0, 8
	v_add_co_ci_u32_e32 v1, vcc_lo, 0, v1, vcc_lo
	v_add_co_u32 v2, vcc_lo, v2, 8
	s_delay_alu instid0(VALU_DEP_4)
	v_add_co_ci_u32_e32 v3, vcc_lo, 0, v3, vcc_lo
	v_dual_mov_b32 v6, v4 :: v_dual_mov_b32 v9, v5
	v_dual_mov_b32 v8, v4 :: v_dual_mov_b32 v15, v5
	;; [unrolled: 1-line block ×5, first 2 shown]
	v_mov_b32_e32 v16, v4
	s_mov_b64 s[8:9], 0
.LBB1807_2:                             ; =>This Inner Loop Header: Depth=1
	global_load_b128 v[26:29], v[0:1], off offset:-8
	global_load_b128 v[30:33], v[2:3], off offset:-8
	s_add_u32 s8, s8, 8
	v_add_co_u32 v0, vcc_lo, 0x80, v0
	s_addc_u32 s9, s9, 0
	v_add_co_ci_u32_e32 v1, vcc_lo, 0, v1, vcc_lo
	v_cmp_ge_u64_e64 s12, s[8:9], s[16:17]
	v_add_co_u32 v2, vcc_lo, 0x80, v2
	v_add_co_ci_u32_e32 v3, vcc_lo, 0, v3, vcc_lo
	s_delay_alu instid0(VALU_DEP_3)
	s_and_b32 vcc_lo, exec_lo, s12
	s_waitcnt vmcnt(1)
	v_xor_b32_e32 v29, 0x80000000, v29
	ds_store_b128 v24, v[26:29]
	s_waitcnt vmcnt(0)
	ds_store_b128 v25, v[30:33]
	s_waitcnt lgkmcnt(0)
	s_barrier
	buffer_gl0_inv
	ds_load_b128 v[26:29], v23
	ds_load_b128 v[30:33], v22
	ds_load_b128 v[34:37], v22 offset:256
	ds_load_b128 v[38:41], v23 offset:2048
	;; [unrolled: 1-line block ×13, first 2 shown]
	s_waitcnt lgkmcnt(13)
	v_mul_f64 v[86:87], v[28:29], v[32:33]
	v_mul_f64 v[88:89], v[26:27], v[32:33]
	s_waitcnt lgkmcnt(12)
	v_mul_f64 v[90:91], v[28:29], v[36:37]
	v_mul_f64 v[92:93], v[26:27], v[36:37]
	;; [unrolled: 3-line block ×3, first 2 shown]
	v_mul_f64 v[96:97], v[40:41], v[36:37]
	v_mul_f64 v[36:37], v[38:39], v[36:37]
	s_waitcnt lgkmcnt(8)
	v_mul_f64 v[98:99], v[44:45], v[52:53]
	v_mul_f64 v[100:101], v[42:43], v[52:53]
	s_waitcnt lgkmcnt(7)
	v_mul_f64 v[102:103], v[44:45], v[56:57]
	v_mul_f64 v[104:105], v[42:43], v[56:57]
	;; [unrolled: 1-line block ×6, first 2 shown]
	s_waitcnt lgkmcnt(3)
	v_mul_f64 v[112:113], v[58:59], v[72:73]
	s_waitcnt lgkmcnt(2)
	v_mul_f64 v[114:115], v[76:77], v[68:69]
	v_mul_f64 v[116:117], v[76:77], v[72:73]
	v_fma_f64 v[86:87], v[26:27], v[30:31], -v[86:87]
	v_fma_f64 v[88:89], v[28:29], v[30:31], v[88:89]
	v_fma_f64 v[90:91], v[26:27], v[34:35], -v[90:91]
	v_fma_f64 v[92:93], v[28:29], v[34:35], v[92:93]
	;; [unrolled: 2-line block ×4, first 2 shown]
	v_mul_f64 v[36:37], v[60:61], v[68:69]
	v_mul_f64 v[40:41], v[58:59], v[68:69]
	;; [unrolled: 1-line block ×5, first 2 shown]
	v_fma_f64 v[98:99], v[42:43], v[50:51], -v[98:99]
	v_fma_f64 v[100:101], v[44:45], v[50:51], v[100:101]
	v_fma_f64 v[42:43], v[42:43], v[54:55], -v[102:103]
	v_fma_f64 v[44:45], v[44:45], v[54:55], v[104:105]
	;; [unrolled: 2-line block ×4, first 2 shown]
	ds_load_b128 v[26:29], v22 offset:1792
	ds_load_b128 v[30:33], v22 offset:2048
	s_waitcnt lgkmcnt(2)
	v_mul_f64 v[56:57], v[64:65], v[84:85]
	v_add_f64 v[16:17], v[16:17], v[86:87]
	v_add_f64 v[18:19], v[18:19], v[88:89]
	;; [unrolled: 1-line block ×8, first 2 shown]
	v_mul_f64 v[86:87], v[62:63], v[84:85]
	s_waitcnt lgkmcnt(1)
	v_mul_f64 v[88:89], v[64:65], v[28:29]
	v_mul_f64 v[90:91], v[62:63], v[28:29]
	;; [unrolled: 1-line block ×6, first 2 shown]
	v_fma_f64 v[104:105], v[58:59], v[66:67], -v[36:37]
	v_fma_f64 v[106:107], v[60:61], v[66:67], v[40:41]
	v_fma_f64 v[58:59], v[58:59], v[70:71], -v[96:97]
	v_fma_f64 v[60:61], v[60:61], v[70:71], v[112:113]
	v_fma_f64 v[96:97], v[74:75], v[66:67], -v[114:115]
	v_fma_f64 v[66:67], v[76:77], v[66:67], v[68:69]
	v_fma_f64 v[68:69], v[74:75], v[70:71], -v[116:117]
	v_fma_f64 v[70:71], v[76:77], v[70:71], v[72:73]
	ds_load_b128 v[4:7], v22 offset:2304
	ds_load_b128 v[8:11], v23 offset:64
	v_fma_f64 v[56:57], v[62:63], v[82:83], -v[56:57]
	v_add_f64 v[72:73], v[16:17], v[98:99]
	v_add_f64 v[74:75], v[18:19], v[100:101]
	;; [unrolled: 1-line block ×8, first 2 shown]
	ds_load_b128 v[12:15], v23 offset:2112
	ds_load_b128 v[16:19], v23 offset:80
	ds_load_b128 v[34:37], v23 offset:2128
	ds_load_b128 v[38:41], v22 offset:2560
	s_waitcnt lgkmcnt(4)
	v_mul_f64 v[54:55], v[10:11], v[32:33]
	v_mul_f64 v[76:77], v[8:9], v[32:33]
	;; [unrolled: 1-line block ×4, first 2 shown]
	v_fma_f64 v[86:87], v[64:65], v[82:83], v[86:87]
	v_fma_f64 v[62:63], v[62:63], v[26:27], -v[88:89]
	v_fma_f64 v[64:65], v[64:65], v[26:27], v[90:91]
	v_fma_f64 v[88:89], v[78:79], v[82:83], -v[92:93]
	;; [unrolled: 2-line block ×3, first 2 shown]
	v_fma_f64 v[80:81], v[80:81], v[26:27], v[28:29]
	s_waitcnt lgkmcnt(3)
	v_mul_f64 v[102:103], v[14:15], v[32:33]
	v_mul_f64 v[32:33], v[12:13], v[32:33]
	;; [unrolled: 1-line block ×4, first 2 shown]
	s_waitcnt lgkmcnt(0)
	v_mul_f64 v[90:91], v[18:19], v[40:41]
	v_mul_f64 v[92:93], v[16:17], v[40:41]
	v_add_f64 v[72:73], v[72:73], v[104:105]
	v_add_f64 v[74:75], v[74:75], v[106:107]
	;; [unrolled: 1-line block ×8, first 2 shown]
	ds_load_b128 v[26:29], v22 offset:2816
	ds_load_b128 v[42:45], v22 offset:3072
	;; [unrolled: 1-line block ×4, first 2 shown]
	v_mul_f64 v[104:105], v[36:37], v[40:41]
	v_mul_f64 v[40:41], v[34:35], v[40:41]
	v_fma_f64 v[54:55], v[8:9], v[30:31], -v[54:55]
	v_fma_f64 v[76:77], v[10:11], v[30:31], v[76:77]
	v_fma_f64 v[98:99], v[8:9], v[4:5], -v[98:99]
	v_fma_f64 v[100:101], v[10:11], v[4:5], v[100:101]
	s_waitcnt lgkmcnt(3)
	v_mul_f64 v[94:95], v[18:19], v[28:29]
	v_mul_f64 v[96:97], v[16:17], v[28:29]
	;; [unrolled: 1-line block ×4, first 2 shown]
	v_fma_f64 v[102:103], v[12:13], v[30:31], -v[102:103]
	v_fma_f64 v[32:33], v[14:15], v[30:31], v[32:33]
	v_fma_f64 v[108:109], v[12:13], v[4:5], -v[108:109]
	v_fma_f64 v[112:113], v[14:15], v[4:5], v[6:7]
	ds_load_b128 v[4:7], v23 offset:2144
	ds_load_b128 v[8:11], v23 offset:112
	;; [unrolled: 1-line block ×4, first 2 shown]
	v_add_f64 v[56:57], v[72:73], v[56:57]
	v_add_f64 v[72:73], v[74:75], v[86:87]
	;; [unrolled: 1-line block ×8, first 2 shown]
	s_waitcnt lgkmcnt(4)
	v_mul_f64 v[70:71], v[52:53], v[44:45]
	v_mul_f64 v[74:75], v[50:51], v[44:45]
	;; [unrolled: 1-line block ×4, first 2 shown]
	s_waitcnt lgkmcnt(3)
	v_mul_f64 v[82:83], v[6:7], v[44:45]
	v_mul_f64 v[44:45], v[4:5], v[44:45]
	v_mul_f64 v[84:85], v[6:7], v[48:49]
	v_mul_f64 v[48:49], v[4:5], v[48:49]
	v_fma_f64 v[86:87], v[16:17], v[38:39], -v[90:91]
	v_fma_f64 v[88:89], v[18:19], v[38:39], v[92:93]
	v_fma_f64 v[90:91], v[16:17], v[26:27], -v[94:95]
	v_fma_f64 v[92:93], v[18:19], v[26:27], v[96:97]
	;; [unrolled: 2-line block ×4, first 2 shown]
	ds_load_b128 v[16:19], v22 offset:3840
	s_waitcnt lgkmcnt(0)
	s_barrier
	buffer_gl0_inv
	v_add_f64 v[36:37], v[56:57], v[54:55]
	v_add_f64 v[40:41], v[72:73], v[76:77]
	;; [unrolled: 1-line block ×8, first 2 shown]
	v_mul_f64 v[64:65], v[10:11], v[30:31]
	v_mul_f64 v[66:67], v[8:9], v[30:31]
	;; [unrolled: 1-line block ×4, first 2 shown]
	v_fma_f64 v[70:71], v[50:51], v[42:43], -v[70:71]
	v_mul_f64 v[68:69], v[10:11], v[18:19]
	v_mul_f64 v[72:73], v[8:9], v[18:19]
	;; [unrolled: 1-line block ×4, first 2 shown]
	v_fma_f64 v[74:75], v[52:53], v[42:43], v[74:75]
	v_fma_f64 v[50:51], v[50:51], v[46:47], -v[78:79]
	v_fma_f64 v[52:53], v[52:53], v[46:47], v[80:81]
	v_fma_f64 v[78:79], v[4:5], v[42:43], -v[82:83]
	;; [unrolled: 2-line block ×3, first 2 shown]
	v_fma_f64 v[6:7], v[6:7], v[46:47], v[48:49]
	v_add_f64 v[36:37], v[36:37], v[86:87]
	v_add_f64 v[40:41], v[40:41], v[88:89]
	;; [unrolled: 1-line block ×8, first 2 shown]
	v_fma_f64 v[38:39], v[8:9], v[28:29], -v[64:65]
	v_fma_f64 v[54:55], v[10:11], v[28:29], v[66:67]
	v_fma_f64 v[56:57], v[12:13], v[28:29], -v[76:77]
	v_fma_f64 v[28:29], v[14:15], v[28:29], v[30:31]
	;; [unrolled: 2-line block ×4, first 2 shown]
	v_add_f64 v[12:13], v[36:37], v[70:71]
	v_add_f64 v[14:15], v[40:41], v[74:75]
	;; [unrolled: 1-line block ×16, first 2 shown]
	s_cbranch_vccz .LBB1807_2
.LBB1807_3:
	v_add_nc_u32_e32 v21, s27, v21
	s_waitcnt lgkmcnt(0)
	s_load_b32 s8, s[0:1], 0x0
	s_delay_alu instid0(VALU_DEP_1) | instskip(SKIP_2) | instid1(VALU_DEP_3)
	v_ashrrev_i32_e32 v0, 31, v21
	v_mul_lo_u32 v3, v21, s11
	v_mad_u64_u32 v[1:2], null, v21, s10, 0
	v_mul_lo_u32 v0, v0, s10
	s_delay_alu instid0(VALU_DEP_1) | instskip(SKIP_3) | instid1(VALU_DEP_3)
	v_add3_u32 v2, v2, v3, v0
	v_add_nc_u32_e32 v0, s26, v20
	s_waitcnt lgkmcnt(0)
	v_cmp_gt_i32_e32 vcc_lo, s8, v21
	v_lshlrev_b64 v[1:2], 4, v[1:2]
	s_delay_alu instid0(VALU_DEP_3) | instskip(NEXT) | instid1(VALU_DEP_1)
	v_cmp_le_i32_e64 s0, v0, v21
	s_and_b32 s0, vcc_lo, s0
	s_delay_alu instid0(VALU_DEP_2) | instskip(NEXT) | instid1(VALU_DEP_1)
	v_add_co_u32 v20, s1, s2, v1
	v_add_co_ci_u32_e64 v22, s1, s3, v2, s1
	s_and_saveexec_b32 s1, s0
	s_cbranch_execz .LBB1807_5
; %bb.4:
	v_ashrrev_i32_e32 v1, 31, v0
	v_mul_f64 v[27:28], s[18:19], v[18:19]
	v_mul_f64 v[18:19], s[20:21], v[18:19]
	s_delay_alu instid0(VALU_DEP_3) | instskip(NEXT) | instid1(VALU_DEP_1)
	v_lshlrev_b64 v[1:2], 4, v[0:1]
	v_add_co_u32 v1, s0, v20, v1
	s_delay_alu instid0(VALU_DEP_1)
	v_add_co_ci_u32_e64 v2, s0, v22, v2, s0
	v_cmp_ne_u32_e64 s0, v21, v0
	global_load_b128 v[23:26], v[1:2], off
	v_fma_f64 v[27:28], s[20:21], v[16:17], v[27:28]
	v_fma_f64 v[16:17], s[18:19], v[16:17], -v[18:19]
	s_waitcnt vmcnt(0)
	v_mul_f64 v[29:30], s[4:5], v[25:26]
	v_mul_f64 v[25:26], s[6:7], v[25:26]
	s_delay_alu instid0(VALU_DEP_2) | instskip(NEXT) | instid1(VALU_DEP_2)
	v_fma_f64 v[29:30], s[6:7], v[23:24], v[29:30]
	v_fma_f64 v[18:19], s[4:5], v[23:24], -v[25:26]
	s_delay_alu instid0(VALU_DEP_2) | instskip(NEXT) | instid1(VALU_DEP_2)
	v_add_f64 v[23:24], v[27:28], v[29:30]
	v_add_f64 v[16:17], v[16:17], v[18:19]
	s_delay_alu instid0(VALU_DEP_2) | instskip(NEXT) | instid1(VALU_DEP_3)
	v_cndmask_b32_e64 v19, 0, v24, s0
	v_cndmask_b32_e64 v18, 0, v23, s0
	global_store_b128 v[1:2], v[16:19], off
.LBB1807_5:
	s_or_b32 exec_lo, exec_lo, s1
	v_add_nc_u32_e32 v2, 16, v0
	s_delay_alu instid0(VALU_DEP_1) | instskip(NEXT) | instid1(VALU_DEP_1)
	v_cmp_le_i32_e64 s0, v2, v21
	s_and_b32 s1, vcc_lo, s0
	s_delay_alu instid0(SALU_CYCLE_1)
	s_and_saveexec_b32 s0, s1
	s_cbranch_execz .LBB1807_7
; %bb.6:
	v_ashrrev_i32_e32 v3, 31, v2
	v_mul_f64 v[25:26], s[18:19], v[14:15]
	v_mul_f64 v[14:15], s[20:21], v[14:15]
	s_delay_alu instid0(VALU_DEP_3) | instskip(NEXT) | instid1(VALU_DEP_1)
	v_lshlrev_b64 v[16:17], 4, v[2:3]
	v_add_co_u32 v23, vcc_lo, v20, v16
	s_delay_alu instid0(VALU_DEP_2)
	v_add_co_ci_u32_e32 v24, vcc_lo, v22, v17, vcc_lo
	v_cmp_ne_u32_e32 vcc_lo, v21, v2
	global_load_b128 v[16:19], v[23:24], off
	v_fma_f64 v[25:26], s[20:21], v[12:13], v[25:26]
	v_fma_f64 v[12:13], s[18:19], v[12:13], -v[14:15]
	s_waitcnt vmcnt(0)
	v_mul_f64 v[27:28], s[4:5], v[18:19]
	v_mul_f64 v[18:19], s[6:7], v[18:19]
	s_delay_alu instid0(VALU_DEP_2) | instskip(NEXT) | instid1(VALU_DEP_2)
	v_fma_f64 v[27:28], s[6:7], v[16:17], v[27:28]
	v_fma_f64 v[14:15], s[4:5], v[16:17], -v[18:19]
	s_delay_alu instid0(VALU_DEP_2) | instskip(NEXT) | instid1(VALU_DEP_2)
	v_add_f64 v[16:17], v[25:26], v[27:28]
	v_add_f64 v[12:13], v[12:13], v[14:15]
	s_delay_alu instid0(VALU_DEP_2)
	v_dual_cndmask_b32 v15, 0, v17 :: v_dual_cndmask_b32 v14, 0, v16
	global_store_b128 v[23:24], v[12:15], off
.LBB1807_7:
	s_or_b32 exec_lo, exec_lo, s0
	v_add_nc_u32_e32 v3, 16, v21
	s_delay_alu instid0(VALU_DEP_1) | instskip(SKIP_3) | instid1(VALU_DEP_4)
	v_ashrrev_i32_e32 v1, 31, v3
	v_mul_lo_u32 v14, v3, s11
	v_mad_u64_u32 v[12:13], null, v3, s10, 0
	v_cmp_gt_i32_e32 vcc_lo, s8, v3
	v_mul_lo_u32 v1, v1, s10
	v_cmp_le_i32_e64 s0, v0, v3
	s_delay_alu instid0(VALU_DEP_1) | instskip(NEXT) | instid1(VALU_DEP_2)
	s_and_b32 s0, vcc_lo, s0
	v_add3_u32 v13, v13, v14, v1
	s_delay_alu instid0(VALU_DEP_1) | instskip(NEXT) | instid1(VALU_DEP_1)
	v_lshlrev_b64 v[12:13], 4, v[12:13]
	v_add_co_u32 v12, s1, s2, v12
	s_delay_alu instid0(VALU_DEP_1)
	v_add_co_ci_u32_e64 v13, s1, s3, v13, s1
	s_and_saveexec_b32 s1, s0
	s_cbranch_execz .LBB1807_9
; %bb.8:
	v_ashrrev_i32_e32 v1, 31, v0
	v_mul_f64 v[22:23], s[18:19], v[10:11]
	v_mul_f64 v[10:11], s[20:21], v[10:11]
	s_delay_alu instid0(VALU_DEP_3) | instskip(NEXT) | instid1(VALU_DEP_1)
	v_lshlrev_b64 v[14:15], 4, v[0:1]
	v_add_co_u32 v18, s0, v12, v14
	s_delay_alu instid0(VALU_DEP_1)
	v_add_co_ci_u32_e64 v19, s0, v13, v15, s0
	v_cmp_ne_u32_e64 s0, v3, v0
	global_load_b128 v[14:17], v[18:19], off
	v_fma_f64 v[22:23], s[20:21], v[8:9], v[22:23]
	v_fma_f64 v[8:9], s[18:19], v[8:9], -v[10:11]
	s_waitcnt vmcnt(0)
	v_mul_f64 v[24:25], s[4:5], v[16:17]
	v_mul_f64 v[16:17], s[6:7], v[16:17]
	s_delay_alu instid0(VALU_DEP_2) | instskip(NEXT) | instid1(VALU_DEP_2)
	v_fma_f64 v[24:25], s[6:7], v[14:15], v[24:25]
	v_fma_f64 v[10:11], s[4:5], v[14:15], -v[16:17]
	s_delay_alu instid0(VALU_DEP_2) | instskip(NEXT) | instid1(VALU_DEP_2)
	v_add_f64 v[14:15], v[22:23], v[24:25]
	v_add_f64 v[8:9], v[8:9], v[10:11]
	s_delay_alu instid0(VALU_DEP_2) | instskip(NEXT) | instid1(VALU_DEP_3)
	v_cndmask_b32_e64 v11, 0, v15, s0
	v_cndmask_b32_e64 v10, 0, v14, s0
	global_store_b128 v[18:19], v[8:11], off
.LBB1807_9:
	s_or_b32 exec_lo, exec_lo, s1
	v_cmp_le_i32_e64 s0, v2, v3
	s_delay_alu instid0(VALU_DEP_1) | instskip(NEXT) | instid1(SALU_CYCLE_1)
	s_and_b32 s0, vcc_lo, s0
	s_and_saveexec_b32 s1, s0
	s_cbranch_execz .LBB1807_11
; %bb.10:
	v_ashrrev_i32_e32 v3, 31, v2
	s_delay_alu instid0(VALU_DEP_1) | instskip(NEXT) | instid1(VALU_DEP_1)
	v_lshlrev_b64 v[1:2], 4, v[2:3]
	v_add_co_u32 v12, vcc_lo, v12, v1
	s_delay_alu instid0(VALU_DEP_2)
	v_add_co_ci_u32_e32 v13, vcc_lo, v13, v2, vcc_lo
	v_mul_f64 v[1:2], s[18:19], v[4:5]
	v_mul_f64 v[3:4], s[20:21], v[4:5]
	v_cmp_ne_u32_e32 vcc_lo, v21, v0
	global_load_b128 v[8:11], v[12:13], off
	v_fma_f64 v[1:2], s[20:21], v[6:7], v[1:2]
	v_fma_f64 v[3:4], s[18:19], v[6:7], -v[3:4]
	s_waitcnt vmcnt(0)
	v_mul_f64 v[14:15], s[4:5], v[10:11]
	v_mul_f64 v[10:11], s[6:7], v[10:11]
	s_delay_alu instid0(VALU_DEP_2) | instskip(NEXT) | instid1(VALU_DEP_2)
	v_fma_f64 v[14:15], s[6:7], v[8:9], v[14:15]
	v_fma_f64 v[5:6], s[4:5], v[8:9], -v[10:11]
	s_delay_alu instid0(VALU_DEP_2) | instskip(NEXT) | instid1(VALU_DEP_2)
	v_add_f64 v[7:8], v[1:2], v[14:15]
	v_add_f64 v[1:2], v[3:4], v[5:6]
	s_delay_alu instid0(VALU_DEP_2)
	v_dual_cndmask_b32 v4, 0, v8 :: v_dual_cndmask_b32 v3, 0, v7
	global_store_b128 v[12:13], v[1:4], off
.LBB1807_11:
	s_nop 0
	s_sendmsg sendmsg(MSG_DEALLOC_VGPRS)
	s_endpgm
	.section	.rodata,"a",@progbits
	.p2align	6, 0x0
	.amdhsa_kernel _ZL37rocblas_syrkx_herkx_restricted_kernelIl19rocblas_complex_numIdELi16ELi32ELi8ELb0ELb1ELc67ELc85EKPKS1_KPS1_EviT_T0_PT8_S7_lSA_S7_lS8_PT9_S7_li
		.amdhsa_group_segment_fixed_size 8192
		.amdhsa_private_segment_fixed_size 0
		.amdhsa_kernarg_size 124
		.amdhsa_user_sgpr_count 13
		.amdhsa_user_sgpr_dispatch_ptr 0
		.amdhsa_user_sgpr_queue_ptr 0
		.amdhsa_user_sgpr_kernarg_segment_ptr 1
		.amdhsa_user_sgpr_dispatch_id 0
		.amdhsa_user_sgpr_private_segment_size 0
		.amdhsa_wavefront_size32 1
		.amdhsa_uses_dynamic_stack 0
		.amdhsa_enable_private_segment 0
		.amdhsa_system_sgpr_workgroup_id_x 1
		.amdhsa_system_sgpr_workgroup_id_y 1
		.amdhsa_system_sgpr_workgroup_id_z 1
		.amdhsa_system_sgpr_workgroup_info 0
		.amdhsa_system_vgpr_workitem_id 1
		.amdhsa_next_free_vgpr 118
		.amdhsa_next_free_sgpr 28
		.amdhsa_reserve_vcc 1
		.amdhsa_float_round_mode_32 0
		.amdhsa_float_round_mode_16_64 0
		.amdhsa_float_denorm_mode_32 3
		.amdhsa_float_denorm_mode_16_64 3
		.amdhsa_dx10_clamp 1
		.amdhsa_ieee_mode 1
		.amdhsa_fp16_overflow 0
		.amdhsa_workgroup_processor_mode 1
		.amdhsa_memory_ordered 1
		.amdhsa_forward_progress 0
		.amdhsa_shared_vgpr_count 0
		.amdhsa_exception_fp_ieee_invalid_op 0
		.amdhsa_exception_fp_denorm_src 0
		.amdhsa_exception_fp_ieee_div_zero 0
		.amdhsa_exception_fp_ieee_overflow 0
		.amdhsa_exception_fp_ieee_underflow 0
		.amdhsa_exception_fp_ieee_inexact 0
		.amdhsa_exception_int_div_zero 0
	.end_amdhsa_kernel
	.section	.text._ZL37rocblas_syrkx_herkx_restricted_kernelIl19rocblas_complex_numIdELi16ELi32ELi8ELb0ELb1ELc67ELc85EKPKS1_KPS1_EviT_T0_PT8_S7_lSA_S7_lS8_PT9_S7_li,"axG",@progbits,_ZL37rocblas_syrkx_herkx_restricted_kernelIl19rocblas_complex_numIdELi16ELi32ELi8ELb0ELb1ELc67ELc85EKPKS1_KPS1_EviT_T0_PT8_S7_lSA_S7_lS8_PT9_S7_li,comdat
.Lfunc_end1807:
	.size	_ZL37rocblas_syrkx_herkx_restricted_kernelIl19rocblas_complex_numIdELi16ELi32ELi8ELb0ELb1ELc67ELc85EKPKS1_KPS1_EviT_T0_PT8_S7_lSA_S7_lS8_PT9_S7_li, .Lfunc_end1807-_ZL37rocblas_syrkx_herkx_restricted_kernelIl19rocblas_complex_numIdELi16ELi32ELi8ELb0ELb1ELc67ELc85EKPKS1_KPS1_EviT_T0_PT8_S7_lSA_S7_lS8_PT9_S7_li
                                        ; -- End function
	.section	.AMDGPU.csdata,"",@progbits
; Kernel info:
; codeLenInByte = 3492
; NumSgprs: 30
; NumVgprs: 118
; ScratchSize: 0
; MemoryBound: 0
; FloatMode: 240
; IeeeMode: 1
; LDSByteSize: 8192 bytes/workgroup (compile time only)
; SGPRBlocks: 3
; VGPRBlocks: 14
; NumSGPRsForWavesPerEU: 30
; NumVGPRsForWavesPerEU: 118
; Occupancy: 12
; WaveLimiterHint : 1
; COMPUTE_PGM_RSRC2:SCRATCH_EN: 0
; COMPUTE_PGM_RSRC2:USER_SGPR: 13
; COMPUTE_PGM_RSRC2:TRAP_HANDLER: 0
; COMPUTE_PGM_RSRC2:TGID_X_EN: 1
; COMPUTE_PGM_RSRC2:TGID_Y_EN: 1
; COMPUTE_PGM_RSRC2:TGID_Z_EN: 1
; COMPUTE_PGM_RSRC2:TIDIG_COMP_CNT: 1
	.section	.text._ZL37rocblas_syrkx_herkx_restricted_kernelIl19rocblas_complex_numIdELi16ELi32ELi8ELb0ELb1ELc78ELc85EKPKS1_KPS1_EviT_T0_PT8_S7_lSA_S7_lS8_PT9_S7_li,"axG",@progbits,_ZL37rocblas_syrkx_herkx_restricted_kernelIl19rocblas_complex_numIdELi16ELi32ELi8ELb0ELb1ELc78ELc85EKPKS1_KPS1_EviT_T0_PT8_S7_lSA_S7_lS8_PT9_S7_li,comdat
	.globl	_ZL37rocblas_syrkx_herkx_restricted_kernelIl19rocblas_complex_numIdELi16ELi32ELi8ELb0ELb1ELc78ELc85EKPKS1_KPS1_EviT_T0_PT8_S7_lSA_S7_lS8_PT9_S7_li ; -- Begin function _ZL37rocblas_syrkx_herkx_restricted_kernelIl19rocblas_complex_numIdELi16ELi32ELi8ELb0ELb1ELc78ELc85EKPKS1_KPS1_EviT_T0_PT8_S7_lSA_S7_lS8_PT9_S7_li
	.p2align	8
	.type	_ZL37rocblas_syrkx_herkx_restricted_kernelIl19rocblas_complex_numIdELi16ELi32ELi8ELb0ELb1ELc78ELc85EKPKS1_KPS1_EviT_T0_PT8_S7_lSA_S7_lS8_PT9_S7_li,@function
_ZL37rocblas_syrkx_herkx_restricted_kernelIl19rocblas_complex_numIdELi16ELi32ELi8ELb0ELb1ELc78ELc85EKPKS1_KPS1_EviT_T0_PT8_S7_lSA_S7_lS8_PT9_S7_li: ; @_ZL37rocblas_syrkx_herkx_restricted_kernelIl19rocblas_complex_numIdELi16ELi32ELi8ELb0ELb1ELc78ELc85EKPKS1_KPS1_EviT_T0_PT8_S7_lSA_S7_lS8_PT9_S7_li
; %bb.0:
	s_clause 0x1
	s_load_b256 s[4:11], s[0:1], 0x50
	s_load_b256 s[16:23], s[0:1], 0x8
	s_mov_b32 s2, s15
	s_mov_b32 s3, 0
	v_mov_b32_e32 v16, 0
	s_lshl_b64 s[24:25], s[2:3], 3
	v_dual_mov_b32 v17, 0 :: v_dual_and_b32 v20, 0x3ff, v0
	v_bfe_u32 v21, v0, 10, 10
	s_delay_alu instid0(VALU_DEP_3) | instskip(NEXT) | instid1(VALU_DEP_3)
	v_mov_b32_e32 v14, v16
	v_dual_mov_b32 v12, v16 :: v_dual_mov_b32 v13, v17
	v_dual_mov_b32 v19, v17 :: v_dual_mov_b32 v18, v16
	;; [unrolled: 1-line block ×5, first 2 shown]
	v_mov_b32_e32 v7, v17
	s_waitcnt lgkmcnt(0)
	s_add_u32 s2, s8, s24
	s_addc_u32 s3, s9, s25
	s_load_b64 s[8:9], s[0:1], 0x28
	s_load_b64 s[2:3], s[2:3], 0x0
	v_cmp_lt_i64_e64 s12, s[16:17], 1
	v_dual_mov_b32 v4, v16 :: v_dual_mov_b32 v5, v17
	s_lshl_b32 s26, s13, 5
	s_lshl_b32 s27, s14, 5
	s_delay_alu instid0(VALU_DEP_2)
	s_and_b32 vcc_lo, exec_lo, s12
	s_cbranch_vccnz .LBB1808_3
; %bb.1:
	v_lshl_add_u32 v1, v21, 4, v20
	s_load_b128 s[12:15], s[0:1], 0x38
	v_and_b32_e32 v6, 7, v20
	v_mov_b32_e32 v4, 0
	s_add_u32 s22, s22, s24
	v_dual_mov_b32 v5, 0 :: v_dual_and_b32 v14, 31, v1
	v_lshrrev_b32_e32 v15, 3, v1
	v_lshrrev_b32_e32 v16, 5, v1
	s_addc_u32 s23, s23, s25
	s_delay_alu instid0(VALU_DEP_3) | instskip(NEXT) | instid1(VALU_DEP_3)
	v_dual_mov_b32 v11, v5 :: v_dual_add_nc_u32 v0, s26, v14
	v_add_nc_u32_e32 v2, s27, v15
	s_load_b64 s[22:23], s[22:23], 0x0
	v_dual_mov_b32 v19, v5 :: v_dual_lshlrev_b32 v14, 4, v14
	s_delay_alu instid0(VALU_DEP_3) | instskip(NEXT) | instid1(VALU_DEP_3)
	v_ashrrev_i32_e32 v1, 31, v0
	v_ashrrev_i32_e32 v3, 31, v2
	v_lshlrev_b32_e32 v22, 4, v20
	s_delay_alu instid0(VALU_DEP_4)
	v_lshl_or_b32 v24, v16, 9, v14
	v_mov_b32_e32 v10, v4
	s_waitcnt lgkmcnt(0)
	v_mad_u64_u32 v[12:13], null, v16, s8, v[0:1]
	v_mad_u64_u32 v[0:1], null, v6, s14, v[2:3]
	s_add_u32 s12, s12, s24
	s_addc_u32 s13, s13, s25
	v_lshl_add_u32 v23, v21, 7, 0x1000
	s_load_b64 s[12:13], s[12:13], 0x0
	s_delay_alu instid0(VALU_DEP_3) | instskip(SKIP_1) | instid1(VALU_DEP_2)
	v_mov_b32_e32 v2, v13
	v_mov_b32_e32 v18, v4
	v_mad_u64_u32 v[8:9], null, v16, s9, v[2:3]
	s_lshl_b64 s[8:9], s[8:9], 7
	v_dual_mov_b32 v17, v5 :: v_dual_mov_b32 v16, v4
	s_delay_alu instid0(VALU_DEP_2) | instskip(SKIP_4) | instid1(VALU_DEP_3)
	v_mov_b32_e32 v13, v8
	v_mad_u64_u32 v[2:3], null, v6, s15, v[1:2]
	v_lshlrev_b32_e32 v1, 4, v6
	v_dual_mov_b32 v7, v5 :: v_dual_mov_b32 v6, v4
	v_dual_mov_b32 v9, v5 :: v_dual_mov_b32 v8, v4
	v_lshl_or_b32 v15, v15, 7, v1
	v_mov_b32_e32 v1, v2
	v_lshlrev_b64 v[2:3], 4, v[12:13]
	v_dual_mov_b32 v13, v5 :: v_dual_mov_b32 v12, v4
	s_delay_alu instid0(VALU_DEP_4) | instskip(NEXT) | instid1(VALU_DEP_4)
	v_add_nc_u32_e32 v25, 0x1000, v15
	v_lshlrev_b64 v[0:1], 4, v[0:1]
	s_delay_alu instid0(VALU_DEP_4) | instskip(SKIP_2) | instid1(VALU_DEP_3)
	v_add_co_u32 v2, vcc_lo, v2, s22
	v_add_co_ci_u32_e32 v3, vcc_lo, s23, v3, vcc_lo
	s_waitcnt lgkmcnt(0)
	v_add_co_u32 v14, vcc_lo, v0, s12
	s_delay_alu instid0(VALU_DEP_4) | instskip(SKIP_2) | instid1(VALU_DEP_4)
	v_add_co_ci_u32_e32 v15, vcc_lo, s13, v1, vcc_lo
	v_add_co_u32 v0, vcc_lo, v2, 8
	v_add_co_ci_u32_e32 v1, vcc_lo, 0, v3, vcc_lo
	v_add_co_u32 v2, vcc_lo, v14, 8
	s_delay_alu instid0(VALU_DEP_4)
	v_add_co_ci_u32_e32 v3, vcc_lo, 0, v15, vcc_lo
	v_dual_mov_b32 v15, v5 :: v_dual_mov_b32 v14, v4
	s_lshl_b64 s[12:13], s[14:15], 7
	s_mov_b64 s[14:15], 0
.LBB1808_2:                             ; =>This Inner Loop Header: Depth=1
	global_load_b128 v[26:29], v[2:3], off offset:-8
	global_load_b128 v[30:33], v[0:1], off offset:-8
	s_add_u32 s14, s14, 8
	v_add_co_u32 v0, vcc_lo, v0, s8
	s_addc_u32 s15, s15, 0
	v_add_co_ci_u32_e32 v1, vcc_lo, s9, v1, vcc_lo
	v_cmp_ge_u64_e64 s22, s[14:15], s[16:17]
	v_add_co_u32 v2, vcc_lo, v2, s12
	v_add_co_ci_u32_e32 v3, vcc_lo, s13, v3, vcc_lo
	s_delay_alu instid0(VALU_DEP_3)
	s_and_b32 vcc_lo, exec_lo, s22
	s_waitcnt vmcnt(1)
	v_xor_b32_e32 v29, 0x80000000, v29
	s_waitcnt vmcnt(0)
	ds_store_b128 v24, v[30:33]
	ds_store_b128 v25, v[26:29]
	s_waitcnt lgkmcnt(0)
	s_barrier
	buffer_gl0_inv
	ds_load_b128 v[26:29], v23
	ds_load_b128 v[30:33], v22
	ds_load_b128 v[34:37], v22 offset:256
	ds_load_b128 v[38:41], v23 offset:2048
	;; [unrolled: 1-line block ×13, first 2 shown]
	s_waitcnt lgkmcnt(13)
	v_mul_f64 v[86:87], v[28:29], v[32:33]
	v_mul_f64 v[88:89], v[26:27], v[32:33]
	s_waitcnt lgkmcnt(12)
	v_mul_f64 v[90:91], v[28:29], v[36:37]
	v_mul_f64 v[92:93], v[26:27], v[36:37]
	;; [unrolled: 3-line block ×3, first 2 shown]
	v_mul_f64 v[96:97], v[40:41], v[36:37]
	v_mul_f64 v[36:37], v[38:39], v[36:37]
	s_waitcnt lgkmcnt(8)
	v_mul_f64 v[98:99], v[44:45], v[52:53]
	v_mul_f64 v[100:101], v[42:43], v[52:53]
	s_waitcnt lgkmcnt(7)
	v_mul_f64 v[102:103], v[44:45], v[56:57]
	v_mul_f64 v[104:105], v[42:43], v[56:57]
	;; [unrolled: 1-line block ×6, first 2 shown]
	s_waitcnt lgkmcnt(3)
	v_mul_f64 v[112:113], v[58:59], v[72:73]
	s_waitcnt lgkmcnt(2)
	v_mul_f64 v[114:115], v[76:77], v[68:69]
	v_mul_f64 v[116:117], v[76:77], v[72:73]
	v_fma_f64 v[86:87], v[26:27], v[30:31], -v[86:87]
	v_fma_f64 v[88:89], v[28:29], v[30:31], v[88:89]
	v_fma_f64 v[90:91], v[26:27], v[34:35], -v[90:91]
	v_fma_f64 v[92:93], v[28:29], v[34:35], v[92:93]
	;; [unrolled: 2-line block ×4, first 2 shown]
	v_mul_f64 v[36:37], v[60:61], v[68:69]
	v_mul_f64 v[40:41], v[58:59], v[68:69]
	;; [unrolled: 1-line block ×5, first 2 shown]
	v_fma_f64 v[98:99], v[42:43], v[50:51], -v[98:99]
	v_fma_f64 v[100:101], v[44:45], v[50:51], v[100:101]
	v_fma_f64 v[42:43], v[42:43], v[54:55], -v[102:103]
	v_fma_f64 v[44:45], v[44:45], v[54:55], v[104:105]
	;; [unrolled: 2-line block ×4, first 2 shown]
	ds_load_b128 v[26:29], v22 offset:1792
	ds_load_b128 v[30:33], v22 offset:2048
	s_waitcnt lgkmcnt(2)
	v_mul_f64 v[56:57], v[64:65], v[84:85]
	v_add_f64 v[16:17], v[16:17], v[86:87]
	v_add_f64 v[18:19], v[18:19], v[88:89]
	;; [unrolled: 1-line block ×8, first 2 shown]
	v_mul_f64 v[86:87], v[62:63], v[84:85]
	s_waitcnt lgkmcnt(1)
	v_mul_f64 v[88:89], v[64:65], v[28:29]
	v_mul_f64 v[90:91], v[62:63], v[28:29]
	;; [unrolled: 1-line block ×6, first 2 shown]
	v_fma_f64 v[104:105], v[58:59], v[66:67], -v[36:37]
	v_fma_f64 v[106:107], v[60:61], v[66:67], v[40:41]
	v_fma_f64 v[58:59], v[58:59], v[70:71], -v[96:97]
	v_fma_f64 v[60:61], v[60:61], v[70:71], v[112:113]
	;; [unrolled: 2-line block ×4, first 2 shown]
	ds_load_b128 v[4:7], v22 offset:2304
	ds_load_b128 v[8:11], v23 offset:64
	v_fma_f64 v[56:57], v[62:63], v[82:83], -v[56:57]
	v_add_f64 v[72:73], v[16:17], v[98:99]
	v_add_f64 v[74:75], v[18:19], v[100:101]
	;; [unrolled: 1-line block ×8, first 2 shown]
	ds_load_b128 v[12:15], v23 offset:2112
	ds_load_b128 v[16:19], v23 offset:80
	;; [unrolled: 1-line block ×4, first 2 shown]
	s_waitcnt lgkmcnt(4)
	v_mul_f64 v[54:55], v[10:11], v[32:33]
	v_mul_f64 v[76:77], v[8:9], v[32:33]
	;; [unrolled: 1-line block ×4, first 2 shown]
	v_fma_f64 v[86:87], v[64:65], v[82:83], v[86:87]
	v_fma_f64 v[62:63], v[62:63], v[26:27], -v[88:89]
	v_fma_f64 v[64:65], v[64:65], v[26:27], v[90:91]
	v_fma_f64 v[88:89], v[78:79], v[82:83], -v[92:93]
	;; [unrolled: 2-line block ×3, first 2 shown]
	v_fma_f64 v[80:81], v[80:81], v[26:27], v[28:29]
	s_waitcnt lgkmcnt(3)
	v_mul_f64 v[102:103], v[14:15], v[32:33]
	v_mul_f64 v[32:33], v[12:13], v[32:33]
	;; [unrolled: 1-line block ×4, first 2 shown]
	s_waitcnt lgkmcnt(0)
	v_mul_f64 v[90:91], v[18:19], v[40:41]
	v_mul_f64 v[92:93], v[16:17], v[40:41]
	v_add_f64 v[72:73], v[72:73], v[104:105]
	v_add_f64 v[74:75], v[74:75], v[106:107]
	;; [unrolled: 1-line block ×8, first 2 shown]
	ds_load_b128 v[26:29], v22 offset:2816
	ds_load_b128 v[42:45], v22 offset:3072
	;; [unrolled: 1-line block ×4, first 2 shown]
	v_mul_f64 v[104:105], v[36:37], v[40:41]
	v_mul_f64 v[40:41], v[34:35], v[40:41]
	v_fma_f64 v[54:55], v[8:9], v[30:31], -v[54:55]
	v_fma_f64 v[76:77], v[10:11], v[30:31], v[76:77]
	v_fma_f64 v[98:99], v[8:9], v[4:5], -v[98:99]
	v_fma_f64 v[100:101], v[10:11], v[4:5], v[100:101]
	s_waitcnt lgkmcnt(3)
	v_mul_f64 v[94:95], v[18:19], v[28:29]
	v_mul_f64 v[96:97], v[16:17], v[28:29]
	;; [unrolled: 1-line block ×4, first 2 shown]
	v_fma_f64 v[102:103], v[12:13], v[30:31], -v[102:103]
	v_fma_f64 v[32:33], v[14:15], v[30:31], v[32:33]
	v_fma_f64 v[108:109], v[12:13], v[4:5], -v[108:109]
	v_fma_f64 v[112:113], v[14:15], v[4:5], v[6:7]
	ds_load_b128 v[4:7], v23 offset:2144
	ds_load_b128 v[8:11], v23 offset:112
	;; [unrolled: 1-line block ×4, first 2 shown]
	v_add_f64 v[56:57], v[72:73], v[56:57]
	v_add_f64 v[72:73], v[74:75], v[86:87]
	;; [unrolled: 1-line block ×8, first 2 shown]
	s_waitcnt lgkmcnt(4)
	v_mul_f64 v[70:71], v[52:53], v[44:45]
	v_mul_f64 v[74:75], v[50:51], v[44:45]
	;; [unrolled: 1-line block ×4, first 2 shown]
	s_waitcnt lgkmcnt(3)
	v_mul_f64 v[82:83], v[6:7], v[44:45]
	v_mul_f64 v[44:45], v[4:5], v[44:45]
	;; [unrolled: 1-line block ×4, first 2 shown]
	v_fma_f64 v[86:87], v[16:17], v[38:39], -v[90:91]
	v_fma_f64 v[88:89], v[18:19], v[38:39], v[92:93]
	v_fma_f64 v[90:91], v[16:17], v[26:27], -v[94:95]
	v_fma_f64 v[92:93], v[18:19], v[26:27], v[96:97]
	;; [unrolled: 2-line block ×4, first 2 shown]
	ds_load_b128 v[16:19], v22 offset:3840
	s_waitcnt lgkmcnt(0)
	s_barrier
	buffer_gl0_inv
	v_add_f64 v[36:37], v[56:57], v[54:55]
	v_add_f64 v[40:41], v[72:73], v[76:77]
	;; [unrolled: 1-line block ×8, first 2 shown]
	v_mul_f64 v[64:65], v[10:11], v[30:31]
	v_mul_f64 v[66:67], v[8:9], v[30:31]
	;; [unrolled: 1-line block ×4, first 2 shown]
	v_fma_f64 v[70:71], v[50:51], v[42:43], -v[70:71]
	v_mul_f64 v[68:69], v[10:11], v[18:19]
	v_mul_f64 v[72:73], v[8:9], v[18:19]
	;; [unrolled: 1-line block ×4, first 2 shown]
	v_fma_f64 v[74:75], v[52:53], v[42:43], v[74:75]
	v_fma_f64 v[50:51], v[50:51], v[46:47], -v[78:79]
	v_fma_f64 v[52:53], v[52:53], v[46:47], v[80:81]
	v_fma_f64 v[78:79], v[4:5], v[42:43], -v[82:83]
	;; [unrolled: 2-line block ×3, first 2 shown]
	v_fma_f64 v[6:7], v[6:7], v[46:47], v[48:49]
	v_add_f64 v[36:37], v[36:37], v[86:87]
	v_add_f64 v[40:41], v[40:41], v[88:89]
	;; [unrolled: 1-line block ×8, first 2 shown]
	v_fma_f64 v[38:39], v[8:9], v[28:29], -v[64:65]
	v_fma_f64 v[54:55], v[10:11], v[28:29], v[66:67]
	v_fma_f64 v[56:57], v[12:13], v[28:29], -v[76:77]
	v_fma_f64 v[28:29], v[14:15], v[28:29], v[30:31]
	;; [unrolled: 2-line block ×4, first 2 shown]
	v_add_f64 v[12:13], v[36:37], v[70:71]
	v_add_f64 v[14:15], v[40:41], v[74:75]
	;; [unrolled: 1-line block ×16, first 2 shown]
	s_cbranch_vccz .LBB1808_2
.LBB1808_3:
	v_add_nc_u32_e32 v21, s27, v21
	s_waitcnt lgkmcnt(0)
	s_load_b32 s8, s[0:1], 0x0
	s_delay_alu instid0(VALU_DEP_1) | instskip(SKIP_2) | instid1(VALU_DEP_3)
	v_ashrrev_i32_e32 v0, 31, v21
	v_mul_lo_u32 v3, v21, s11
	v_mad_u64_u32 v[1:2], null, v21, s10, 0
	v_mul_lo_u32 v0, v0, s10
	s_delay_alu instid0(VALU_DEP_1) | instskip(SKIP_3) | instid1(VALU_DEP_3)
	v_add3_u32 v2, v2, v3, v0
	v_add_nc_u32_e32 v0, s26, v20
	s_waitcnt lgkmcnt(0)
	v_cmp_gt_i32_e32 vcc_lo, s8, v21
	v_lshlrev_b64 v[1:2], 4, v[1:2]
	s_delay_alu instid0(VALU_DEP_3) | instskip(NEXT) | instid1(VALU_DEP_1)
	v_cmp_le_i32_e64 s0, v0, v21
	s_and_b32 s0, vcc_lo, s0
	s_delay_alu instid0(VALU_DEP_2) | instskip(NEXT) | instid1(VALU_DEP_1)
	v_add_co_u32 v20, s1, s2, v1
	v_add_co_ci_u32_e64 v22, s1, s3, v2, s1
	s_and_saveexec_b32 s1, s0
	s_cbranch_execz .LBB1808_5
; %bb.4:
	v_ashrrev_i32_e32 v1, 31, v0
	v_mul_f64 v[27:28], s[18:19], v[18:19]
	v_mul_f64 v[18:19], s[20:21], v[18:19]
	s_delay_alu instid0(VALU_DEP_3) | instskip(NEXT) | instid1(VALU_DEP_1)
	v_lshlrev_b64 v[1:2], 4, v[0:1]
	v_add_co_u32 v1, s0, v20, v1
	s_delay_alu instid0(VALU_DEP_1)
	v_add_co_ci_u32_e64 v2, s0, v22, v2, s0
	v_cmp_ne_u32_e64 s0, v21, v0
	global_load_b128 v[23:26], v[1:2], off
	v_fma_f64 v[27:28], s[20:21], v[16:17], v[27:28]
	v_fma_f64 v[16:17], s[18:19], v[16:17], -v[18:19]
	s_waitcnt vmcnt(0)
	v_mul_f64 v[29:30], s[4:5], v[25:26]
	v_mul_f64 v[25:26], s[6:7], v[25:26]
	s_delay_alu instid0(VALU_DEP_2) | instskip(NEXT) | instid1(VALU_DEP_2)
	v_fma_f64 v[29:30], s[6:7], v[23:24], v[29:30]
	v_fma_f64 v[18:19], s[4:5], v[23:24], -v[25:26]
	s_delay_alu instid0(VALU_DEP_2) | instskip(NEXT) | instid1(VALU_DEP_2)
	v_add_f64 v[23:24], v[27:28], v[29:30]
	v_add_f64 v[16:17], v[16:17], v[18:19]
	s_delay_alu instid0(VALU_DEP_2) | instskip(NEXT) | instid1(VALU_DEP_3)
	v_cndmask_b32_e64 v19, 0, v24, s0
	v_cndmask_b32_e64 v18, 0, v23, s0
	global_store_b128 v[1:2], v[16:19], off
.LBB1808_5:
	s_or_b32 exec_lo, exec_lo, s1
	v_add_nc_u32_e32 v2, 16, v0
	s_delay_alu instid0(VALU_DEP_1) | instskip(NEXT) | instid1(VALU_DEP_1)
	v_cmp_le_i32_e64 s0, v2, v21
	s_and_b32 s1, vcc_lo, s0
	s_delay_alu instid0(SALU_CYCLE_1)
	s_and_saveexec_b32 s0, s1
	s_cbranch_execz .LBB1808_7
; %bb.6:
	v_ashrrev_i32_e32 v3, 31, v2
	v_mul_f64 v[25:26], s[18:19], v[12:13]
	v_mul_f64 v[12:13], s[20:21], v[12:13]
	s_delay_alu instid0(VALU_DEP_3) | instskip(NEXT) | instid1(VALU_DEP_1)
	v_lshlrev_b64 v[16:17], 4, v[2:3]
	v_add_co_u32 v23, vcc_lo, v20, v16
	s_delay_alu instid0(VALU_DEP_2)
	v_add_co_ci_u32_e32 v24, vcc_lo, v22, v17, vcc_lo
	v_cmp_ne_u32_e32 vcc_lo, v21, v2
	global_load_b128 v[16:19], v[23:24], off
	v_fma_f64 v[25:26], s[20:21], v[14:15], v[25:26]
	v_fma_f64 v[12:13], s[18:19], v[14:15], -v[12:13]
	s_waitcnt vmcnt(0)
	v_mul_f64 v[27:28], s[4:5], v[18:19]
	v_mul_f64 v[18:19], s[6:7], v[18:19]
	s_delay_alu instid0(VALU_DEP_2) | instskip(NEXT) | instid1(VALU_DEP_2)
	v_fma_f64 v[27:28], s[6:7], v[16:17], v[27:28]
	v_fma_f64 v[14:15], s[4:5], v[16:17], -v[18:19]
	s_delay_alu instid0(VALU_DEP_2) | instskip(NEXT) | instid1(VALU_DEP_2)
	v_add_f64 v[16:17], v[25:26], v[27:28]
	v_add_f64 v[12:13], v[12:13], v[14:15]
	s_delay_alu instid0(VALU_DEP_2)
	v_dual_cndmask_b32 v15, 0, v17 :: v_dual_cndmask_b32 v14, 0, v16
	global_store_b128 v[23:24], v[12:15], off
.LBB1808_7:
	s_or_b32 exec_lo, exec_lo, s0
	v_add_nc_u32_e32 v3, 16, v21
	s_delay_alu instid0(VALU_DEP_1) | instskip(SKIP_3) | instid1(VALU_DEP_4)
	v_ashrrev_i32_e32 v1, 31, v3
	v_mul_lo_u32 v14, v3, s11
	v_mad_u64_u32 v[12:13], null, v3, s10, 0
	v_cmp_gt_i32_e32 vcc_lo, s8, v3
	v_mul_lo_u32 v1, v1, s10
	v_cmp_le_i32_e64 s0, v0, v3
	s_delay_alu instid0(VALU_DEP_1) | instskip(NEXT) | instid1(VALU_DEP_2)
	s_and_b32 s0, vcc_lo, s0
	v_add3_u32 v13, v13, v14, v1
	s_delay_alu instid0(VALU_DEP_1) | instskip(NEXT) | instid1(VALU_DEP_1)
	v_lshlrev_b64 v[12:13], 4, v[12:13]
	v_add_co_u32 v12, s1, s2, v12
	s_delay_alu instid0(VALU_DEP_1)
	v_add_co_ci_u32_e64 v13, s1, s3, v13, s1
	s_and_saveexec_b32 s1, s0
	s_cbranch_execz .LBB1808_9
; %bb.8:
	v_ashrrev_i32_e32 v1, 31, v0
	v_mul_f64 v[22:23], s[18:19], v[10:11]
	v_mul_f64 v[10:11], s[20:21], v[10:11]
	s_delay_alu instid0(VALU_DEP_3) | instskip(NEXT) | instid1(VALU_DEP_1)
	v_lshlrev_b64 v[14:15], 4, v[0:1]
	v_add_co_u32 v18, s0, v12, v14
	s_delay_alu instid0(VALU_DEP_1)
	v_add_co_ci_u32_e64 v19, s0, v13, v15, s0
	v_cmp_ne_u32_e64 s0, v3, v0
	global_load_b128 v[14:17], v[18:19], off
	v_fma_f64 v[22:23], s[20:21], v[8:9], v[22:23]
	v_fma_f64 v[8:9], s[18:19], v[8:9], -v[10:11]
	s_waitcnt vmcnt(0)
	v_mul_f64 v[24:25], s[4:5], v[16:17]
	v_mul_f64 v[16:17], s[6:7], v[16:17]
	s_delay_alu instid0(VALU_DEP_2) | instskip(NEXT) | instid1(VALU_DEP_2)
	v_fma_f64 v[24:25], s[6:7], v[14:15], v[24:25]
	v_fma_f64 v[10:11], s[4:5], v[14:15], -v[16:17]
	s_delay_alu instid0(VALU_DEP_2) | instskip(NEXT) | instid1(VALU_DEP_2)
	v_add_f64 v[14:15], v[22:23], v[24:25]
	v_add_f64 v[8:9], v[8:9], v[10:11]
	s_delay_alu instid0(VALU_DEP_2) | instskip(NEXT) | instid1(VALU_DEP_3)
	v_cndmask_b32_e64 v11, 0, v15, s0
	v_cndmask_b32_e64 v10, 0, v14, s0
	global_store_b128 v[18:19], v[8:11], off
.LBB1808_9:
	s_or_b32 exec_lo, exec_lo, s1
	v_cmp_le_i32_e64 s0, v2, v3
	s_delay_alu instid0(VALU_DEP_1) | instskip(NEXT) | instid1(SALU_CYCLE_1)
	s_and_b32 s0, vcc_lo, s0
	s_and_saveexec_b32 s1, s0
	s_cbranch_execz .LBB1808_11
; %bb.10:
	v_ashrrev_i32_e32 v3, 31, v2
	s_delay_alu instid0(VALU_DEP_1) | instskip(NEXT) | instid1(VALU_DEP_1)
	v_lshlrev_b64 v[1:2], 4, v[2:3]
	v_add_co_u32 v12, vcc_lo, v12, v1
	s_delay_alu instid0(VALU_DEP_2)
	v_add_co_ci_u32_e32 v13, vcc_lo, v13, v2, vcc_lo
	v_mul_f64 v[1:2], s[18:19], v[4:5]
	v_mul_f64 v[3:4], s[20:21], v[4:5]
	v_cmp_ne_u32_e32 vcc_lo, v21, v0
	global_load_b128 v[8:11], v[12:13], off
	v_fma_f64 v[1:2], s[20:21], v[6:7], v[1:2]
	v_fma_f64 v[3:4], s[18:19], v[6:7], -v[3:4]
	s_waitcnt vmcnt(0)
	v_mul_f64 v[14:15], s[4:5], v[10:11]
	v_mul_f64 v[10:11], s[6:7], v[10:11]
	s_delay_alu instid0(VALU_DEP_2) | instskip(NEXT) | instid1(VALU_DEP_2)
	v_fma_f64 v[14:15], s[6:7], v[8:9], v[14:15]
	v_fma_f64 v[5:6], s[4:5], v[8:9], -v[10:11]
	s_delay_alu instid0(VALU_DEP_2) | instskip(NEXT) | instid1(VALU_DEP_2)
	v_add_f64 v[7:8], v[1:2], v[14:15]
	v_add_f64 v[1:2], v[3:4], v[5:6]
	s_delay_alu instid0(VALU_DEP_2)
	v_dual_cndmask_b32 v4, 0, v8 :: v_dual_cndmask_b32 v3, 0, v7
	global_store_b128 v[12:13], v[1:4], off
.LBB1808_11:
	s_nop 0
	s_sendmsg sendmsg(MSG_DEALLOC_VGPRS)
	s_endpgm
	.section	.rodata,"a",@progbits
	.p2align	6, 0x0
	.amdhsa_kernel _ZL37rocblas_syrkx_herkx_restricted_kernelIl19rocblas_complex_numIdELi16ELi32ELi8ELb0ELb1ELc78ELc85EKPKS1_KPS1_EviT_T0_PT8_S7_lSA_S7_lS8_PT9_S7_li
		.amdhsa_group_segment_fixed_size 8192
		.amdhsa_private_segment_fixed_size 0
		.amdhsa_kernarg_size 124
		.amdhsa_user_sgpr_count 13
		.amdhsa_user_sgpr_dispatch_ptr 0
		.amdhsa_user_sgpr_queue_ptr 0
		.amdhsa_user_sgpr_kernarg_segment_ptr 1
		.amdhsa_user_sgpr_dispatch_id 0
		.amdhsa_user_sgpr_private_segment_size 0
		.amdhsa_wavefront_size32 1
		.amdhsa_uses_dynamic_stack 0
		.amdhsa_enable_private_segment 0
		.amdhsa_system_sgpr_workgroup_id_x 1
		.amdhsa_system_sgpr_workgroup_id_y 1
		.amdhsa_system_sgpr_workgroup_id_z 1
		.amdhsa_system_sgpr_workgroup_info 0
		.amdhsa_system_vgpr_workitem_id 1
		.amdhsa_next_free_vgpr 118
		.amdhsa_next_free_sgpr 28
		.amdhsa_reserve_vcc 1
		.amdhsa_float_round_mode_32 0
		.amdhsa_float_round_mode_16_64 0
		.amdhsa_float_denorm_mode_32 3
		.amdhsa_float_denorm_mode_16_64 3
		.amdhsa_dx10_clamp 1
		.amdhsa_ieee_mode 1
		.amdhsa_fp16_overflow 0
		.amdhsa_workgroup_processor_mode 1
		.amdhsa_memory_ordered 1
		.amdhsa_forward_progress 0
		.amdhsa_shared_vgpr_count 0
		.amdhsa_exception_fp_ieee_invalid_op 0
		.amdhsa_exception_fp_denorm_src 0
		.amdhsa_exception_fp_ieee_div_zero 0
		.amdhsa_exception_fp_ieee_overflow 0
		.amdhsa_exception_fp_ieee_underflow 0
		.amdhsa_exception_fp_ieee_inexact 0
		.amdhsa_exception_int_div_zero 0
	.end_amdhsa_kernel
	.section	.text._ZL37rocblas_syrkx_herkx_restricted_kernelIl19rocblas_complex_numIdELi16ELi32ELi8ELb0ELb1ELc78ELc85EKPKS1_KPS1_EviT_T0_PT8_S7_lSA_S7_lS8_PT9_S7_li,"axG",@progbits,_ZL37rocblas_syrkx_herkx_restricted_kernelIl19rocblas_complex_numIdELi16ELi32ELi8ELb0ELb1ELc78ELc85EKPKS1_KPS1_EviT_T0_PT8_S7_lSA_S7_lS8_PT9_S7_li,comdat
.Lfunc_end1808:
	.size	_ZL37rocblas_syrkx_herkx_restricted_kernelIl19rocblas_complex_numIdELi16ELi32ELi8ELb0ELb1ELc78ELc85EKPKS1_KPS1_EviT_T0_PT8_S7_lSA_S7_lS8_PT9_S7_li, .Lfunc_end1808-_ZL37rocblas_syrkx_herkx_restricted_kernelIl19rocblas_complex_numIdELi16ELi32ELi8ELb0ELb1ELc78ELc85EKPKS1_KPS1_EviT_T0_PT8_S7_lSA_S7_lS8_PT9_S7_li
                                        ; -- End function
	.section	.AMDGPU.csdata,"",@progbits
; Kernel info:
; codeLenInByte = 3476
; NumSgprs: 30
; NumVgprs: 118
; ScratchSize: 0
; MemoryBound: 0
; FloatMode: 240
; IeeeMode: 1
; LDSByteSize: 8192 bytes/workgroup (compile time only)
; SGPRBlocks: 3
; VGPRBlocks: 14
; NumSGPRsForWavesPerEU: 30
; NumVGPRsForWavesPerEU: 118
; Occupancy: 12
; WaveLimiterHint : 1
; COMPUTE_PGM_RSRC2:SCRATCH_EN: 0
; COMPUTE_PGM_RSRC2:USER_SGPR: 13
; COMPUTE_PGM_RSRC2:TRAP_HANDLER: 0
; COMPUTE_PGM_RSRC2:TGID_X_EN: 1
; COMPUTE_PGM_RSRC2:TGID_Y_EN: 1
; COMPUTE_PGM_RSRC2:TGID_Z_EN: 1
; COMPUTE_PGM_RSRC2:TIDIG_COMP_CNT: 1
	.section	.text._ZL41rocblas_syrkx_herkx_small_restrict_kernelIl19rocblas_complex_numIdELi16ELb1ELb1ELc84ELc76EKPKS1_KPS1_EviT_T0_PT6_S7_lSA_S7_lS8_PT7_S7_li,"axG",@progbits,_ZL41rocblas_syrkx_herkx_small_restrict_kernelIl19rocblas_complex_numIdELi16ELb1ELb1ELc84ELc76EKPKS1_KPS1_EviT_T0_PT6_S7_lSA_S7_lS8_PT7_S7_li,comdat
	.globl	_ZL41rocblas_syrkx_herkx_small_restrict_kernelIl19rocblas_complex_numIdELi16ELb1ELb1ELc84ELc76EKPKS1_KPS1_EviT_T0_PT6_S7_lSA_S7_lS8_PT7_S7_li ; -- Begin function _ZL41rocblas_syrkx_herkx_small_restrict_kernelIl19rocblas_complex_numIdELi16ELb1ELb1ELc84ELc76EKPKS1_KPS1_EviT_T0_PT6_S7_lSA_S7_lS8_PT7_S7_li
	.p2align	8
	.type	_ZL41rocblas_syrkx_herkx_small_restrict_kernelIl19rocblas_complex_numIdELi16ELb1ELb1ELc84ELc76EKPKS1_KPS1_EviT_T0_PT6_S7_lSA_S7_lS8_PT7_S7_li,@function
_ZL41rocblas_syrkx_herkx_small_restrict_kernelIl19rocblas_complex_numIdELi16ELb1ELb1ELc84ELc76EKPKS1_KPS1_EviT_T0_PT6_S7_lSA_S7_lS8_PT7_S7_li: ; @_ZL41rocblas_syrkx_herkx_small_restrict_kernelIl19rocblas_complex_numIdELi16ELb1ELb1ELc84ELc76EKPKS1_KPS1_EviT_T0_PT6_S7_lSA_S7_lS8_PT7_S7_li
; %bb.0:
	s_clause 0x1
	s_load_b128 s[16:19], s[0:1], 0x60
	s_load_b256 s[4:11], s[0:1], 0x8
	s_mov_b32 s2, s15
	s_mov_b32 s3, 0
	v_and_b32_e32 v2, 0x3ff, v0
	s_lshl_b64 s[20:21], s[2:3], 3
	v_bfe_u32 v3, v0, 10, 10
	v_mov_b32_e32 v6, 0
	v_mov_b32_e32 v7, 0
	v_lshl_add_u32 v0, s13, 4, v2
	s_delay_alu instid0(VALU_DEP_4) | instskip(NEXT) | instid1(VALU_DEP_3)
	v_lshl_add_u32 v10, s14, 4, v3
	v_dual_mov_b32 v9, v7 :: v_dual_mov_b32 v8, v6
	s_delay_alu instid0(VALU_DEP_3) | instskip(NEXT) | instid1(VALU_DEP_3)
	v_ashrrev_i32_e32 v1, 31, v0
	v_ashrrev_i32_e32 v11, 31, v10
	s_waitcnt lgkmcnt(0)
	s_add_u32 s2, s16, s20
	s_addc_u32 s3, s17, s21
	s_load_b64 s[16:17], s[0:1], 0x28
	s_load_b64 s[2:3], s[2:3], 0x0
	v_cmp_lt_i64_e64 s12, s[4:5], 1
	s_delay_alu instid0(VALU_DEP_1)
	s_and_b32 vcc_lo, exec_lo, s12
	s_cbranch_vccnz .LBB1809_3
; %bb.1:
	s_load_b128 s[12:15], s[0:1], 0x38
	s_waitcnt lgkmcnt(0)
	v_mul_lo_u32 v6, v0, s17
	v_mul_lo_u32 v7, v1, s16
	v_mad_u64_u32 v[4:5], null, v0, s16, 0
	v_lshlrev_b32_e32 v17, 4, v3
	v_lshlrev_b32_e32 v16, 8, v3
	s_delay_alu instid0(VALU_DEP_3) | instskip(SKIP_2) | instid1(VALU_DEP_4)
	v_add3_u32 v5, v5, v6, v7
	v_mov_b32_e32 v6, 0
	v_dual_mov_b32 v7, 0 :: v_dual_lshlrev_b32 v12, 4, v2
	v_add_nc_u32_e32 v13, 0x1000, v16
	s_delay_alu instid0(VALU_DEP_4)
	v_lshlrev_b64 v[4:5], 4, v[4:5]
	s_add_u32 s0, s12, s20
	s_addc_u32 s1, s13, s21
	s_add_u32 s10, s10, s20
	s_load_b64 s[0:1], s[0:1], 0x0
	s_addc_u32 s11, s11, s21
	v_mul_lo_u32 v14, v10, s15
	v_mul_lo_u32 v15, v11, s14
	v_mad_u64_u32 v[8:9], null, v10, s14, 0
	s_load_b64 s[10:11], s[10:11], 0x0
	s_delay_alu instid0(VALU_DEP_1) | instskip(NEXT) | instid1(VALU_DEP_1)
	v_add3_u32 v9, v9, v14, v15
	v_lshlrev_b64 v[2:3], 4, v[8:9]
	s_waitcnt lgkmcnt(0)
	v_add_co_u32 v8, s0, s0, v12
	s_delay_alu instid0(VALU_DEP_1) | instskip(NEXT) | instid1(VALU_DEP_2)
	v_add_co_ci_u32_e64 v9, null, s1, 0, s0
	v_add_co_u32 v2, vcc_lo, v8, v2
	s_delay_alu instid0(VALU_DEP_2) | instskip(SKIP_3) | instid1(VALU_DEP_1)
	v_add_co_ci_u32_e32 v3, vcc_lo, v9, v3, vcc_lo
	v_dual_mov_b32 v9, v7 :: v_dual_mov_b32 v8, v6
	v_add_nc_u32_e32 v14, v12, v16
	v_add_co_u32 v16, s0, s10, v17
	v_add_co_ci_u32_e64 v17, null, s11, 0, s0
	v_add_nc_u32_e32 v15, v13, v12
	s_delay_alu instid0(VALU_DEP_3) | instskip(NEXT) | instid1(VALU_DEP_3)
	v_add_co_u32 v4, vcc_lo, v16, v4
	v_add_co_ci_u32_e32 v5, vcc_lo, v17, v5, vcc_lo
	s_mov_b64 s[0:1], 0
.LBB1809_2:                             ; =>This Inner Loop Header: Depth=1
	global_load_b128 v[16:19], v[4:5], off
	global_load_b128 v[20:23], v[2:3], off
	s_add_u32 s0, s0, 16
	v_add_co_u32 v2, vcc_lo, 0x100, v2
	s_addc_u32 s1, s1, 0
	v_add_co_ci_u32_e32 v3, vcc_lo, 0, v3, vcc_lo
	v_cmp_lt_i64_e64 s10, s[0:1], s[4:5]
	v_add_co_u32 v4, vcc_lo, 0x100, v4
	v_add_co_ci_u32_e32 v5, vcc_lo, 0, v5, vcc_lo
	s_waitcnt vmcnt(1)
	ds_store_2addr_b64 v14, v[16:17], v[18:19] offset1:1
	s_waitcnt vmcnt(0)
	ds_store_2addr_b64 v15, v[20:21], v[22:23] offset1:1
	s_waitcnt lgkmcnt(0)
	s_barrier
	buffer_gl0_inv
	ds_load_b128 v[16:19], v12
	ds_load_b128 v[20:23], v13
	ds_load_b128 v[24:27], v13 offset:16
	ds_load_b128 v[28:31], v12 offset:256
	s_and_b32 vcc_lo, exec_lo, s10
	s_waitcnt lgkmcnt(2)
	v_mul_f64 v[32:33], v[22:23], v[18:19]
	v_mul_f64 v[18:19], v[20:21], v[18:19]
	s_waitcnt lgkmcnt(0)
	v_mul_f64 v[38:39], v[26:27], v[30:31]
	v_mul_f64 v[40:41], v[24:25], v[30:31]
	s_delay_alu instid0(VALU_DEP_4) | instskip(NEXT) | instid1(VALU_DEP_4)
	v_fma_f64 v[42:43], v[20:21], v[16:17], -v[32:33]
	v_fma_f64 v[44:45], v[22:23], v[16:17], v[18:19]
	ds_load_b128 v[16:19], v12 offset:512
	ds_load_b128 v[20:23], v13 offset:32
	;; [unrolled: 1-line block ×4, first 2 shown]
	v_fma_f64 v[24:25], v[24:25], v[28:29], -v[38:39]
	v_fma_f64 v[26:27], v[26:27], v[28:29], v[40:41]
	s_waitcnt lgkmcnt(2)
	v_mul_f64 v[46:47], v[22:23], v[18:19]
	v_mul_f64 v[18:19], v[20:21], v[18:19]
	s_waitcnt lgkmcnt(0)
	v_mul_f64 v[28:29], v[32:33], v[36:37]
	v_mul_f64 v[36:37], v[30:31], v[36:37]
	v_add_f64 v[8:9], v[8:9], v[42:43]
	v_add_f64 v[6:7], v[6:7], v[44:45]
	v_fma_f64 v[38:39], v[20:21], v[16:17], -v[46:47]
	v_fma_f64 v[40:41], v[22:23], v[16:17], v[18:19]
	v_fma_f64 v[28:29], v[30:31], v[34:35], -v[28:29]
	v_fma_f64 v[30:31], v[32:33], v[34:35], v[36:37]
	v_add_f64 v[42:43], v[8:9], v[24:25]
	v_add_f64 v[44:45], v[6:7], v[26:27]
	ds_load_b128 v[6:9], v12 offset:1024
	ds_load_b128 v[16:19], v13 offset:64
	;; [unrolled: 1-line block ×4, first 2 shown]
	s_waitcnt lgkmcnt(2)
	v_mul_f64 v[46:47], v[18:19], v[8:9]
	v_mul_f64 v[8:9], v[16:17], v[8:9]
	s_waitcnt lgkmcnt(0)
	v_mul_f64 v[36:37], v[22:23], v[26:27]
	v_add_f64 v[32:33], v[42:43], v[38:39]
	v_add_f64 v[34:35], v[44:45], v[40:41]
	v_mul_f64 v[38:39], v[20:21], v[26:27]
	v_fma_f64 v[40:41], v[16:17], v[6:7], -v[46:47]
	v_fma_f64 v[42:43], v[18:19], v[6:7], v[8:9]
	v_fma_f64 v[20:21], v[20:21], v[24:25], -v[36:37]
	v_add_f64 v[44:45], v[32:33], v[28:29]
	v_add_f64 v[34:35], v[34:35], v[30:31]
	ds_load_b128 v[6:9], v12 offset:1536
	ds_load_b128 v[16:19], v13 offset:96
	;; [unrolled: 1-line block ×4, first 2 shown]
	v_fma_f64 v[22:23], v[22:23], v[24:25], v[38:39]
	s_waitcnt lgkmcnt(2)
	v_mul_f64 v[46:47], v[18:19], v[8:9]
	v_mul_f64 v[8:9], v[16:17], v[8:9]
	s_waitcnt lgkmcnt(0)
	v_mul_f64 v[36:37], v[28:29], v[32:33]
	v_mul_f64 v[38:39], v[26:27], v[32:33]
	v_add_f64 v[24:25], v[44:45], v[40:41]
	v_add_f64 v[34:35], v[34:35], v[42:43]
	v_fma_f64 v[40:41], v[16:17], v[6:7], -v[46:47]
	v_fma_f64 v[42:43], v[18:19], v[6:7], v[8:9]
	v_fma_f64 v[26:27], v[26:27], v[30:31], -v[36:37]
	v_fma_f64 v[28:29], v[28:29], v[30:31], v[38:39]
	v_add_f64 v[24:25], v[24:25], v[20:21]
	v_add_f64 v[44:45], v[34:35], v[22:23]
	ds_load_b128 v[6:9], v12 offset:2048
	ds_load_b128 v[16:19], v13 offset:128
	;; [unrolled: 1-line block ×4, first 2 shown]
	s_waitcnt lgkmcnt(2)
	v_mul_f64 v[46:47], v[18:19], v[8:9]
	v_mul_f64 v[8:9], v[16:17], v[8:9]
	s_waitcnt lgkmcnt(0)
	v_mul_f64 v[36:37], v[22:23], v[34:35]
	v_mul_f64 v[34:35], v[20:21], v[34:35]
	v_add_f64 v[24:25], v[24:25], v[40:41]
	v_add_f64 v[30:31], v[44:45], v[42:43]
	v_fma_f64 v[38:39], v[16:17], v[6:7], -v[46:47]
	v_fma_f64 v[40:41], v[18:19], v[6:7], v[8:9]
	v_fma_f64 v[20:21], v[20:21], v[32:33], -v[36:37]
	v_fma_f64 v[22:23], v[22:23], v[32:33], v[34:35]
	v_add_f64 v[42:43], v[24:25], v[26:27]
	v_add_f64 v[44:45], v[30:31], v[28:29]
	ds_load_b128 v[6:9], v12 offset:2560
	ds_load_b128 v[16:19], v13 offset:160
	;; [unrolled: 1-line block ×4, first 2 shown]
	s_waitcnt lgkmcnt(2)
	v_mul_f64 v[46:47], v[18:19], v[8:9]
	v_mul_f64 v[8:9], v[16:17], v[8:9]
	s_waitcnt lgkmcnt(0)
	v_mul_f64 v[36:37], v[26:27], v[30:31]
	v_add_f64 v[32:33], v[42:43], v[38:39]
	v_add_f64 v[34:35], v[44:45], v[40:41]
	v_mul_f64 v[38:39], v[24:25], v[30:31]
	v_fma_f64 v[40:41], v[16:17], v[6:7], -v[46:47]
	v_fma_f64 v[42:43], v[18:19], v[6:7], v[8:9]
	v_fma_f64 v[24:25], v[24:25], v[28:29], -v[36:37]
	v_add_f64 v[44:45], v[32:33], v[20:21]
	v_add_f64 v[34:35], v[34:35], v[22:23]
	ds_load_b128 v[6:9], v12 offset:3072
	ds_load_b128 v[16:19], v13 offset:192
	;; [unrolled: 1-line block ×4, first 2 shown]
	v_fma_f64 v[26:27], v[26:27], v[28:29], v[38:39]
	s_waitcnt lgkmcnt(2)
	v_mul_f64 v[46:47], v[18:19], v[8:9]
	v_mul_f64 v[8:9], v[16:17], v[8:9]
	s_waitcnt lgkmcnt(0)
	v_mul_f64 v[36:37], v[22:23], v[32:33]
	v_mul_f64 v[38:39], v[20:21], v[32:33]
	v_add_f64 v[28:29], v[44:45], v[40:41]
	v_add_f64 v[34:35], v[34:35], v[42:43]
	v_fma_f64 v[40:41], v[16:17], v[6:7], -v[46:47]
	v_fma_f64 v[42:43], v[18:19], v[6:7], v[8:9]
	v_fma_f64 v[20:21], v[20:21], v[30:31], -v[36:37]
	v_fma_f64 v[22:23], v[22:23], v[30:31], v[38:39]
	v_add_f64 v[28:29], v[28:29], v[24:25]
	v_add_f64 v[44:45], v[34:35], v[26:27]
	ds_load_b128 v[6:9], v12 offset:3584
	ds_load_b128 v[16:19], v13 offset:224
	;; [unrolled: 1-line block ×4, first 2 shown]
	s_waitcnt lgkmcnt(0)
	s_barrier
	buffer_gl0_inv
	v_mul_f64 v[46:47], v[18:19], v[8:9]
	v_mul_f64 v[8:9], v[16:17], v[8:9]
	;; [unrolled: 1-line block ×4, first 2 shown]
	v_add_f64 v[28:29], v[28:29], v[40:41]
	v_add_f64 v[30:31], v[44:45], v[42:43]
	v_fma_f64 v[16:17], v[16:17], v[6:7], -v[46:47]
	v_fma_f64 v[6:7], v[18:19], v[6:7], v[8:9]
	s_delay_alu instid0(VALU_DEP_4) | instskip(NEXT) | instid1(VALU_DEP_4)
	v_add_f64 v[8:9], v[28:29], v[20:21]
	v_add_f64 v[18:19], v[30:31], v[22:23]
	v_fma_f64 v[20:21], v[24:25], v[32:33], -v[36:37]
	v_fma_f64 v[22:23], v[26:27], v[32:33], v[34:35]
	s_delay_alu instid0(VALU_DEP_4) | instskip(NEXT) | instid1(VALU_DEP_4)
	v_add_f64 v[8:9], v[8:9], v[16:17]
	v_add_f64 v[6:7], v[18:19], v[6:7]
	s_delay_alu instid0(VALU_DEP_2) | instskip(NEXT) | instid1(VALU_DEP_2)
	v_add_f64 v[8:9], v[8:9], v[20:21]
	v_add_f64 v[6:7], v[6:7], v[22:23]
	s_cbranch_vccnz .LBB1809_2
.LBB1809_3:
	s_mov_b32 s0, exec_lo
	v_cmpx_le_i32_e64 v10, v0
	s_cbranch_execz .LBB1809_5
; %bb.4:
	s_delay_alu instid0(VALU_DEP_2) | instskip(SKIP_1) | instid1(VALU_DEP_2)
	v_mul_f64 v[2:3], s[6:7], v[6:7]
	v_mul_f64 v[4:5], s[8:9], v[6:7]
	v_fma_f64 v[6:7], s[8:9], v[8:9], v[2:3]
	s_delay_alu instid0(VALU_DEP_2) | instskip(SKIP_3) | instid1(VALU_DEP_1)
	v_fma_f64 v[2:3], s[6:7], v[8:9], -v[4:5]
	v_mul_lo_u32 v8, v10, s19
	v_mul_lo_u32 v9, v11, s18
	v_mad_u64_u32 v[4:5], null, v10, s18, 0
	v_add3_u32 v5, v5, v8, v9
	v_lshlrev_b64 v[8:9], 4, v[0:1]
	s_delay_alu instid0(VALU_DEP_2) | instskip(SKIP_1) | instid1(VALU_DEP_1)
	v_lshlrev_b64 v[4:5], 4, v[4:5]
	s_waitcnt lgkmcnt(0)
	v_add_co_u32 v1, vcc_lo, s2, v4
	s_delay_alu instid0(VALU_DEP_2) | instskip(SKIP_1) | instid1(VALU_DEP_3)
	v_add_co_ci_u32_e32 v4, vcc_lo, s3, v5, vcc_lo
	v_cmp_ne_u32_e32 vcc_lo, v0, v10
	v_add_co_u32 v0, s0, v1, v8
	s_delay_alu instid0(VALU_DEP_1)
	v_add_co_ci_u32_e64 v1, s0, v4, v9, s0
	v_dual_cndmask_b32 v5, 0, v7 :: v_dual_cndmask_b32 v4, 0, v6
	global_store_b128 v[0:1], v[2:5], off
.LBB1809_5:
	s_nop 0
	s_sendmsg sendmsg(MSG_DEALLOC_VGPRS)
	s_endpgm
	.section	.rodata,"a",@progbits
	.p2align	6, 0x0
	.amdhsa_kernel _ZL41rocblas_syrkx_herkx_small_restrict_kernelIl19rocblas_complex_numIdELi16ELb1ELb1ELc84ELc76EKPKS1_KPS1_EviT_T0_PT6_S7_lSA_S7_lS8_PT7_S7_li
		.amdhsa_group_segment_fixed_size 8192
		.amdhsa_private_segment_fixed_size 0
		.amdhsa_kernarg_size 124
		.amdhsa_user_sgpr_count 13
		.amdhsa_user_sgpr_dispatch_ptr 0
		.amdhsa_user_sgpr_queue_ptr 0
		.amdhsa_user_sgpr_kernarg_segment_ptr 1
		.amdhsa_user_sgpr_dispatch_id 0
		.amdhsa_user_sgpr_private_segment_size 0
		.amdhsa_wavefront_size32 1
		.amdhsa_uses_dynamic_stack 0
		.amdhsa_enable_private_segment 0
		.amdhsa_system_sgpr_workgroup_id_x 1
		.amdhsa_system_sgpr_workgroup_id_y 1
		.amdhsa_system_sgpr_workgroup_id_z 1
		.amdhsa_system_sgpr_workgroup_info 0
		.amdhsa_system_vgpr_workitem_id 1
		.amdhsa_next_free_vgpr 48
		.amdhsa_next_free_sgpr 22
		.amdhsa_reserve_vcc 1
		.amdhsa_float_round_mode_32 0
		.amdhsa_float_round_mode_16_64 0
		.amdhsa_float_denorm_mode_32 3
		.amdhsa_float_denorm_mode_16_64 3
		.amdhsa_dx10_clamp 1
		.amdhsa_ieee_mode 1
		.amdhsa_fp16_overflow 0
		.amdhsa_workgroup_processor_mode 1
		.amdhsa_memory_ordered 1
		.amdhsa_forward_progress 0
		.amdhsa_shared_vgpr_count 0
		.amdhsa_exception_fp_ieee_invalid_op 0
		.amdhsa_exception_fp_denorm_src 0
		.amdhsa_exception_fp_ieee_div_zero 0
		.amdhsa_exception_fp_ieee_overflow 0
		.amdhsa_exception_fp_ieee_underflow 0
		.amdhsa_exception_fp_ieee_inexact 0
		.amdhsa_exception_int_div_zero 0
	.end_amdhsa_kernel
	.section	.text._ZL41rocblas_syrkx_herkx_small_restrict_kernelIl19rocblas_complex_numIdELi16ELb1ELb1ELc84ELc76EKPKS1_KPS1_EviT_T0_PT6_S7_lSA_S7_lS8_PT7_S7_li,"axG",@progbits,_ZL41rocblas_syrkx_herkx_small_restrict_kernelIl19rocblas_complex_numIdELi16ELb1ELb1ELc84ELc76EKPKS1_KPS1_EviT_T0_PT6_S7_lSA_S7_lS8_PT7_S7_li,comdat
.Lfunc_end1809:
	.size	_ZL41rocblas_syrkx_herkx_small_restrict_kernelIl19rocblas_complex_numIdELi16ELb1ELb1ELc84ELc76EKPKS1_KPS1_EviT_T0_PT6_S7_lSA_S7_lS8_PT7_S7_li, .Lfunc_end1809-_ZL41rocblas_syrkx_herkx_small_restrict_kernelIl19rocblas_complex_numIdELi16ELb1ELb1ELc84ELc76EKPKS1_KPS1_EviT_T0_PT6_S7_lSA_S7_lS8_PT7_S7_li
                                        ; -- End function
	.section	.AMDGPU.csdata,"",@progbits
; Kernel info:
; codeLenInByte = 1804
; NumSgprs: 24
; NumVgprs: 48
; ScratchSize: 0
; MemoryBound: 0
; FloatMode: 240
; IeeeMode: 1
; LDSByteSize: 8192 bytes/workgroup (compile time only)
; SGPRBlocks: 2
; VGPRBlocks: 5
; NumSGPRsForWavesPerEU: 24
; NumVGPRsForWavesPerEU: 48
; Occupancy: 16
; WaveLimiterHint : 1
; COMPUTE_PGM_RSRC2:SCRATCH_EN: 0
; COMPUTE_PGM_RSRC2:USER_SGPR: 13
; COMPUTE_PGM_RSRC2:TRAP_HANDLER: 0
; COMPUTE_PGM_RSRC2:TGID_X_EN: 1
; COMPUTE_PGM_RSRC2:TGID_Y_EN: 1
; COMPUTE_PGM_RSRC2:TGID_Z_EN: 1
; COMPUTE_PGM_RSRC2:TIDIG_COMP_CNT: 1
	.section	.text._ZL41rocblas_syrkx_herkx_small_restrict_kernelIl19rocblas_complex_numIdELi16ELb1ELb1ELc67ELc76EKPKS1_KPS1_EviT_T0_PT6_S7_lSA_S7_lS8_PT7_S7_li,"axG",@progbits,_ZL41rocblas_syrkx_herkx_small_restrict_kernelIl19rocblas_complex_numIdELi16ELb1ELb1ELc67ELc76EKPKS1_KPS1_EviT_T0_PT6_S7_lSA_S7_lS8_PT7_S7_li,comdat
	.globl	_ZL41rocblas_syrkx_herkx_small_restrict_kernelIl19rocblas_complex_numIdELi16ELb1ELb1ELc67ELc76EKPKS1_KPS1_EviT_T0_PT6_S7_lSA_S7_lS8_PT7_S7_li ; -- Begin function _ZL41rocblas_syrkx_herkx_small_restrict_kernelIl19rocblas_complex_numIdELi16ELb1ELb1ELc67ELc76EKPKS1_KPS1_EviT_T0_PT6_S7_lSA_S7_lS8_PT7_S7_li
	.p2align	8
	.type	_ZL41rocblas_syrkx_herkx_small_restrict_kernelIl19rocblas_complex_numIdELi16ELb1ELb1ELc67ELc76EKPKS1_KPS1_EviT_T0_PT6_S7_lSA_S7_lS8_PT7_S7_li,@function
_ZL41rocblas_syrkx_herkx_small_restrict_kernelIl19rocblas_complex_numIdELi16ELb1ELb1ELc67ELc76EKPKS1_KPS1_EviT_T0_PT6_S7_lSA_S7_lS8_PT7_S7_li: ; @_ZL41rocblas_syrkx_herkx_small_restrict_kernelIl19rocblas_complex_numIdELi16ELb1ELb1ELc67ELc76EKPKS1_KPS1_EviT_T0_PT6_S7_lSA_S7_lS8_PT7_S7_li
; %bb.0:
	s_clause 0x1
	s_load_b128 s[16:19], s[0:1], 0x60
	s_load_b256 s[4:11], s[0:1], 0x8
	s_mov_b32 s2, s15
	s_mov_b32 s3, 0
	v_dual_mov_b32 v6, 0 :: v_dual_and_b32 v3, 0x3ff, v0
	s_lshl_b64 s[20:21], s[2:3], 3
	v_bfe_u32 v2, v0, 10, 10
	v_mov_b32_e32 v7, 0
	s_delay_alu instid0(VALU_DEP_3) | instskip(NEXT) | instid1(VALU_DEP_3)
	v_lshl_add_u32 v0, s13, 4, v3
	v_lshl_add_u32 v10, s14, 4, v2
	s_delay_alu instid0(VALU_DEP_3) | instskip(NEXT) | instid1(VALU_DEP_3)
	v_dual_mov_b32 v9, v7 :: v_dual_mov_b32 v8, v6
	v_ashrrev_i32_e32 v1, 31, v0
	s_delay_alu instid0(VALU_DEP_3)
	v_ashrrev_i32_e32 v11, 31, v10
	s_waitcnt lgkmcnt(0)
	s_add_u32 s2, s16, s20
	s_addc_u32 s3, s17, s21
	s_load_b64 s[16:17], s[0:1], 0x28
	s_load_b64 s[2:3], s[2:3], 0x0
	v_cmp_lt_i64_e64 s12, s[4:5], 1
	s_delay_alu instid0(VALU_DEP_1)
	s_and_b32 vcc_lo, exec_lo, s12
	s_cbranch_vccnz .LBB1810_3
; %bb.1:
	s_load_b128 s[12:15], s[0:1], 0x38
	s_waitcnt lgkmcnt(0)
	v_mul_lo_u32 v6, s17, v0
	v_mul_lo_u32 v7, s16, v1
	v_mad_u64_u32 v[4:5], null, s16, v0, 0
	v_lshlrev_b32_e32 v14, 8, v2
	v_lshlrev_b32_e32 v18, 4, v2
	s_delay_alu instid0(VALU_DEP_3) | instskip(SKIP_3) | instid1(VALU_DEP_4)
	v_add3_u32 v5, v5, v7, v6
	v_mov_b32_e32 v6, 0
	v_dual_mov_b32 v7, 0 :: v_dual_lshlrev_b32 v12, 4, v3
	v_add_nc_u32_e32 v13, 0x1000, v14
	v_lshlrev_b64 v[2:3], 4, v[4:5]
	s_add_u32 s0, s12, s20
	s_addc_u32 s1, s13, s21
	s_add_u32 s10, s10, s20
	s_load_b64 s[0:1], s[0:1], 0x0
	s_addc_u32 s11, s11, s21
	v_mul_lo_u32 v16, v10, s15
	s_load_b64 s[10:11], s[10:11], 0x0
	v_mul_lo_u32 v17, v11, s14
	v_mad_u64_u32 v[8:9], null, v10, s14, 0
	v_add_co_u32 v4, vcc_lo, v2, v18
	v_add_co_ci_u32_e32 v5, vcc_lo, 0, v3, vcc_lo
	s_delay_alu instid0(VALU_DEP_3) | instskip(NEXT) | instid1(VALU_DEP_1)
	v_add3_u32 v9, v9, v16, v17
	v_lshlrev_b64 v[2:3], 4, v[8:9]
	s_waitcnt lgkmcnt(0)
	v_add_co_u32 v8, s0, s0, v12
	s_delay_alu instid0(VALU_DEP_1) | instskip(SKIP_2) | instid1(VALU_DEP_4)
	v_add_co_ci_u32_e64 v9, null, s1, 0, s0
	v_add_co_u32 v4, vcc_lo, v4, s10
	v_add_co_ci_u32_e32 v5, vcc_lo, s11, v5, vcc_lo
	v_add_co_u32 v2, vcc_lo, v8, v2
	s_delay_alu instid0(VALU_DEP_4) | instskip(NEXT) | instid1(VALU_DEP_4)
	v_add_co_ci_u32_e32 v3, vcc_lo, v9, v3, vcc_lo
	v_add_co_u32 v4, vcc_lo, v4, 8
	v_dual_mov_b32 v9, v7 :: v_dual_mov_b32 v8, v6
	v_add_nc_u32_e32 v14, v12, v14
	v_add_nc_u32_e32 v15, v13, v12
	v_add_co_ci_u32_e32 v5, vcc_lo, 0, v5, vcc_lo
	s_mov_b64 s[0:1], 0
.LBB1810_2:                             ; =>This Inner Loop Header: Depth=1
	global_load_b128 v[16:19], v[4:5], off offset:-8
	global_load_b128 v[20:23], v[2:3], off
	s_add_u32 s0, s0, 16
	v_add_co_u32 v2, vcc_lo, 0x100, v2
	s_addc_u32 s1, s1, 0
	v_add_co_ci_u32_e32 v3, vcc_lo, 0, v3, vcc_lo
	v_cmp_lt_i64_e64 s10, s[0:1], s[4:5]
	v_add_co_u32 v4, vcc_lo, 0x100, v4
	v_add_co_ci_u32_e32 v5, vcc_lo, 0, v5, vcc_lo
	s_delay_alu instid0(VALU_DEP_3)
	s_and_b32 vcc_lo, exec_lo, s10
	s_waitcnt vmcnt(1)
	v_xor_b32_e32 v19, 0x80000000, v19
	ds_store_b128 v14, v[16:19]
	s_waitcnt vmcnt(0)
	ds_store_2addr_b64 v15, v[20:21], v[22:23] offset1:1
	s_waitcnt lgkmcnt(0)
	s_barrier
	buffer_gl0_inv
	ds_load_b128 v[16:19], v12
	ds_load_b128 v[20:23], v13
	ds_load_b128 v[24:27], v13 offset:16
	ds_load_b128 v[28:31], v12 offset:256
	s_waitcnt lgkmcnt(2)
	v_mul_f64 v[32:33], v[22:23], v[18:19]
	v_mul_f64 v[18:19], v[20:21], v[18:19]
	s_waitcnt lgkmcnt(0)
	v_mul_f64 v[38:39], v[26:27], v[30:31]
	v_mul_f64 v[40:41], v[24:25], v[30:31]
	s_delay_alu instid0(VALU_DEP_4) | instskip(NEXT) | instid1(VALU_DEP_4)
	v_fma_f64 v[42:43], v[20:21], v[16:17], -v[32:33]
	v_fma_f64 v[44:45], v[22:23], v[16:17], v[18:19]
	ds_load_b128 v[16:19], v12 offset:512
	ds_load_b128 v[20:23], v13 offset:32
	;; [unrolled: 1-line block ×4, first 2 shown]
	v_fma_f64 v[24:25], v[24:25], v[28:29], -v[38:39]
	v_fma_f64 v[26:27], v[26:27], v[28:29], v[40:41]
	s_waitcnt lgkmcnt(2)
	v_mul_f64 v[46:47], v[22:23], v[18:19]
	v_mul_f64 v[18:19], v[20:21], v[18:19]
	s_waitcnt lgkmcnt(0)
	v_mul_f64 v[28:29], v[32:33], v[36:37]
	v_mul_f64 v[36:37], v[30:31], v[36:37]
	v_add_f64 v[8:9], v[8:9], v[42:43]
	v_add_f64 v[6:7], v[6:7], v[44:45]
	v_fma_f64 v[38:39], v[20:21], v[16:17], -v[46:47]
	v_fma_f64 v[40:41], v[22:23], v[16:17], v[18:19]
	v_fma_f64 v[28:29], v[30:31], v[34:35], -v[28:29]
	v_fma_f64 v[30:31], v[32:33], v[34:35], v[36:37]
	v_add_f64 v[42:43], v[8:9], v[24:25]
	v_add_f64 v[44:45], v[6:7], v[26:27]
	ds_load_b128 v[6:9], v12 offset:1024
	ds_load_b128 v[16:19], v13 offset:64
	;; [unrolled: 1-line block ×4, first 2 shown]
	s_waitcnt lgkmcnt(2)
	v_mul_f64 v[46:47], v[18:19], v[8:9]
	v_mul_f64 v[8:9], v[16:17], v[8:9]
	s_waitcnt lgkmcnt(0)
	v_mul_f64 v[36:37], v[22:23], v[26:27]
	v_add_f64 v[32:33], v[42:43], v[38:39]
	v_add_f64 v[34:35], v[44:45], v[40:41]
	v_mul_f64 v[38:39], v[20:21], v[26:27]
	v_fma_f64 v[40:41], v[16:17], v[6:7], -v[46:47]
	v_fma_f64 v[42:43], v[18:19], v[6:7], v[8:9]
	v_fma_f64 v[20:21], v[20:21], v[24:25], -v[36:37]
	v_add_f64 v[44:45], v[32:33], v[28:29]
	v_add_f64 v[34:35], v[34:35], v[30:31]
	ds_load_b128 v[6:9], v12 offset:1536
	ds_load_b128 v[16:19], v13 offset:96
	;; [unrolled: 1-line block ×4, first 2 shown]
	v_fma_f64 v[22:23], v[22:23], v[24:25], v[38:39]
	s_waitcnt lgkmcnt(2)
	v_mul_f64 v[46:47], v[18:19], v[8:9]
	v_mul_f64 v[8:9], v[16:17], v[8:9]
	s_waitcnt lgkmcnt(0)
	v_mul_f64 v[36:37], v[28:29], v[32:33]
	v_mul_f64 v[38:39], v[26:27], v[32:33]
	v_add_f64 v[24:25], v[44:45], v[40:41]
	v_add_f64 v[34:35], v[34:35], v[42:43]
	v_fma_f64 v[40:41], v[16:17], v[6:7], -v[46:47]
	v_fma_f64 v[42:43], v[18:19], v[6:7], v[8:9]
	v_fma_f64 v[26:27], v[26:27], v[30:31], -v[36:37]
	v_fma_f64 v[28:29], v[28:29], v[30:31], v[38:39]
	v_add_f64 v[24:25], v[24:25], v[20:21]
	v_add_f64 v[44:45], v[34:35], v[22:23]
	ds_load_b128 v[6:9], v12 offset:2048
	ds_load_b128 v[16:19], v13 offset:128
	;; [unrolled: 1-line block ×4, first 2 shown]
	s_waitcnt lgkmcnt(2)
	v_mul_f64 v[46:47], v[18:19], v[8:9]
	v_mul_f64 v[8:9], v[16:17], v[8:9]
	s_waitcnt lgkmcnt(0)
	v_mul_f64 v[36:37], v[22:23], v[34:35]
	v_mul_f64 v[34:35], v[20:21], v[34:35]
	v_add_f64 v[24:25], v[24:25], v[40:41]
	v_add_f64 v[30:31], v[44:45], v[42:43]
	v_fma_f64 v[38:39], v[16:17], v[6:7], -v[46:47]
	v_fma_f64 v[40:41], v[18:19], v[6:7], v[8:9]
	v_fma_f64 v[20:21], v[20:21], v[32:33], -v[36:37]
	v_fma_f64 v[22:23], v[22:23], v[32:33], v[34:35]
	v_add_f64 v[42:43], v[24:25], v[26:27]
	v_add_f64 v[44:45], v[30:31], v[28:29]
	ds_load_b128 v[6:9], v12 offset:2560
	ds_load_b128 v[16:19], v13 offset:160
	;; [unrolled: 1-line block ×4, first 2 shown]
	s_waitcnt lgkmcnt(2)
	v_mul_f64 v[46:47], v[18:19], v[8:9]
	v_mul_f64 v[8:9], v[16:17], v[8:9]
	s_waitcnt lgkmcnt(0)
	v_mul_f64 v[36:37], v[26:27], v[30:31]
	v_add_f64 v[32:33], v[42:43], v[38:39]
	v_add_f64 v[34:35], v[44:45], v[40:41]
	v_mul_f64 v[38:39], v[24:25], v[30:31]
	v_fma_f64 v[40:41], v[16:17], v[6:7], -v[46:47]
	v_fma_f64 v[42:43], v[18:19], v[6:7], v[8:9]
	v_fma_f64 v[24:25], v[24:25], v[28:29], -v[36:37]
	v_add_f64 v[44:45], v[32:33], v[20:21]
	v_add_f64 v[34:35], v[34:35], v[22:23]
	ds_load_b128 v[6:9], v12 offset:3072
	ds_load_b128 v[16:19], v13 offset:192
	;; [unrolled: 1-line block ×4, first 2 shown]
	v_fma_f64 v[26:27], v[26:27], v[28:29], v[38:39]
	s_waitcnt lgkmcnt(2)
	v_mul_f64 v[46:47], v[18:19], v[8:9]
	v_mul_f64 v[8:9], v[16:17], v[8:9]
	s_waitcnt lgkmcnt(0)
	v_mul_f64 v[36:37], v[22:23], v[32:33]
	v_mul_f64 v[38:39], v[20:21], v[32:33]
	v_add_f64 v[28:29], v[44:45], v[40:41]
	v_add_f64 v[34:35], v[34:35], v[42:43]
	v_fma_f64 v[40:41], v[16:17], v[6:7], -v[46:47]
	v_fma_f64 v[42:43], v[18:19], v[6:7], v[8:9]
	v_fma_f64 v[20:21], v[20:21], v[30:31], -v[36:37]
	v_fma_f64 v[22:23], v[22:23], v[30:31], v[38:39]
	v_add_f64 v[28:29], v[28:29], v[24:25]
	v_add_f64 v[44:45], v[34:35], v[26:27]
	ds_load_b128 v[6:9], v12 offset:3584
	ds_load_b128 v[16:19], v13 offset:224
	;; [unrolled: 1-line block ×4, first 2 shown]
	s_waitcnt lgkmcnt(0)
	s_barrier
	buffer_gl0_inv
	v_mul_f64 v[46:47], v[18:19], v[8:9]
	v_mul_f64 v[8:9], v[16:17], v[8:9]
	;; [unrolled: 1-line block ×4, first 2 shown]
	v_add_f64 v[28:29], v[28:29], v[40:41]
	v_add_f64 v[30:31], v[44:45], v[42:43]
	v_fma_f64 v[16:17], v[16:17], v[6:7], -v[46:47]
	v_fma_f64 v[6:7], v[18:19], v[6:7], v[8:9]
	s_delay_alu instid0(VALU_DEP_4) | instskip(NEXT) | instid1(VALU_DEP_4)
	v_add_f64 v[8:9], v[28:29], v[20:21]
	v_add_f64 v[18:19], v[30:31], v[22:23]
	v_fma_f64 v[20:21], v[24:25], v[32:33], -v[36:37]
	v_fma_f64 v[22:23], v[26:27], v[32:33], v[34:35]
	s_delay_alu instid0(VALU_DEP_4) | instskip(NEXT) | instid1(VALU_DEP_4)
	v_add_f64 v[8:9], v[8:9], v[16:17]
	v_add_f64 v[6:7], v[18:19], v[6:7]
	s_delay_alu instid0(VALU_DEP_2) | instskip(NEXT) | instid1(VALU_DEP_2)
	v_add_f64 v[8:9], v[8:9], v[20:21]
	v_add_f64 v[6:7], v[6:7], v[22:23]
	s_cbranch_vccnz .LBB1810_2
.LBB1810_3:
	s_mov_b32 s0, exec_lo
	v_cmpx_le_i32_e64 v10, v0
	s_cbranch_execz .LBB1810_5
; %bb.4:
	s_delay_alu instid0(VALU_DEP_2) | instskip(SKIP_1) | instid1(VALU_DEP_2)
	v_mul_f64 v[2:3], s[6:7], v[6:7]
	v_mul_f64 v[4:5], s[8:9], v[6:7]
	v_fma_f64 v[6:7], s[8:9], v[8:9], v[2:3]
	s_delay_alu instid0(VALU_DEP_2) | instskip(SKIP_3) | instid1(VALU_DEP_1)
	v_fma_f64 v[2:3], s[6:7], v[8:9], -v[4:5]
	v_mul_lo_u32 v8, v10, s19
	v_mul_lo_u32 v9, v11, s18
	v_mad_u64_u32 v[4:5], null, v10, s18, 0
	v_add3_u32 v5, v5, v8, v9
	v_lshlrev_b64 v[8:9], 4, v[0:1]
	s_delay_alu instid0(VALU_DEP_2) | instskip(SKIP_1) | instid1(VALU_DEP_1)
	v_lshlrev_b64 v[4:5], 4, v[4:5]
	s_waitcnt lgkmcnt(0)
	v_add_co_u32 v1, vcc_lo, s2, v4
	s_delay_alu instid0(VALU_DEP_2) | instskip(SKIP_1) | instid1(VALU_DEP_3)
	v_add_co_ci_u32_e32 v4, vcc_lo, s3, v5, vcc_lo
	v_cmp_ne_u32_e32 vcc_lo, v0, v10
	v_add_co_u32 v0, s0, v1, v8
	s_delay_alu instid0(VALU_DEP_1)
	v_add_co_ci_u32_e64 v1, s0, v4, v9, s0
	v_dual_cndmask_b32 v5, 0, v7 :: v_dual_cndmask_b32 v4, 0, v6
	global_store_b128 v[0:1], v[2:5], off
.LBB1810_5:
	s_nop 0
	s_sendmsg sendmsg(MSG_DEALLOC_VGPRS)
	s_endpgm
	.section	.rodata,"a",@progbits
	.p2align	6, 0x0
	.amdhsa_kernel _ZL41rocblas_syrkx_herkx_small_restrict_kernelIl19rocblas_complex_numIdELi16ELb1ELb1ELc67ELc76EKPKS1_KPS1_EviT_T0_PT6_S7_lSA_S7_lS8_PT7_S7_li
		.amdhsa_group_segment_fixed_size 8192
		.amdhsa_private_segment_fixed_size 0
		.amdhsa_kernarg_size 124
		.amdhsa_user_sgpr_count 13
		.amdhsa_user_sgpr_dispatch_ptr 0
		.amdhsa_user_sgpr_queue_ptr 0
		.amdhsa_user_sgpr_kernarg_segment_ptr 1
		.amdhsa_user_sgpr_dispatch_id 0
		.amdhsa_user_sgpr_private_segment_size 0
		.amdhsa_wavefront_size32 1
		.amdhsa_uses_dynamic_stack 0
		.amdhsa_enable_private_segment 0
		.amdhsa_system_sgpr_workgroup_id_x 1
		.amdhsa_system_sgpr_workgroup_id_y 1
		.amdhsa_system_sgpr_workgroup_id_z 1
		.amdhsa_system_sgpr_workgroup_info 0
		.amdhsa_system_vgpr_workitem_id 1
		.amdhsa_next_free_vgpr 48
		.amdhsa_next_free_sgpr 22
		.amdhsa_reserve_vcc 1
		.amdhsa_float_round_mode_32 0
		.amdhsa_float_round_mode_16_64 0
		.amdhsa_float_denorm_mode_32 3
		.amdhsa_float_denorm_mode_16_64 3
		.amdhsa_dx10_clamp 1
		.amdhsa_ieee_mode 1
		.amdhsa_fp16_overflow 0
		.amdhsa_workgroup_processor_mode 1
		.amdhsa_memory_ordered 1
		.amdhsa_forward_progress 0
		.amdhsa_shared_vgpr_count 0
		.amdhsa_exception_fp_ieee_invalid_op 0
		.amdhsa_exception_fp_denorm_src 0
		.amdhsa_exception_fp_ieee_div_zero 0
		.amdhsa_exception_fp_ieee_overflow 0
		.amdhsa_exception_fp_ieee_underflow 0
		.amdhsa_exception_fp_ieee_inexact 0
		.amdhsa_exception_int_div_zero 0
	.end_amdhsa_kernel
	.section	.text._ZL41rocblas_syrkx_herkx_small_restrict_kernelIl19rocblas_complex_numIdELi16ELb1ELb1ELc67ELc76EKPKS1_KPS1_EviT_T0_PT6_S7_lSA_S7_lS8_PT7_S7_li,"axG",@progbits,_ZL41rocblas_syrkx_herkx_small_restrict_kernelIl19rocblas_complex_numIdELi16ELb1ELb1ELc67ELc76EKPKS1_KPS1_EviT_T0_PT6_S7_lSA_S7_lS8_PT7_S7_li,comdat
.Lfunc_end1810:
	.size	_ZL41rocblas_syrkx_herkx_small_restrict_kernelIl19rocblas_complex_numIdELi16ELb1ELb1ELc67ELc76EKPKS1_KPS1_EviT_T0_PT6_S7_lSA_S7_lS8_PT7_S7_li, .Lfunc_end1810-_ZL41rocblas_syrkx_herkx_small_restrict_kernelIl19rocblas_complex_numIdELi16ELb1ELb1ELc67ELc76EKPKS1_KPS1_EviT_T0_PT6_S7_lSA_S7_lS8_PT7_S7_li
                                        ; -- End function
	.section	.AMDGPU.csdata,"",@progbits
; Kernel info:
; codeLenInByte = 1820
; NumSgprs: 24
; NumVgprs: 48
; ScratchSize: 0
; MemoryBound: 0
; FloatMode: 240
; IeeeMode: 1
; LDSByteSize: 8192 bytes/workgroup (compile time only)
; SGPRBlocks: 2
; VGPRBlocks: 5
; NumSGPRsForWavesPerEU: 24
; NumVGPRsForWavesPerEU: 48
; Occupancy: 16
; WaveLimiterHint : 1
; COMPUTE_PGM_RSRC2:SCRATCH_EN: 0
; COMPUTE_PGM_RSRC2:USER_SGPR: 13
; COMPUTE_PGM_RSRC2:TRAP_HANDLER: 0
; COMPUTE_PGM_RSRC2:TGID_X_EN: 1
; COMPUTE_PGM_RSRC2:TGID_Y_EN: 1
; COMPUTE_PGM_RSRC2:TGID_Z_EN: 1
; COMPUTE_PGM_RSRC2:TIDIG_COMP_CNT: 1
	.section	.text._ZL41rocblas_syrkx_herkx_small_restrict_kernelIl19rocblas_complex_numIdELi16ELb1ELb1ELc78ELc76EKPKS1_KPS1_EviT_T0_PT6_S7_lSA_S7_lS8_PT7_S7_li,"axG",@progbits,_ZL41rocblas_syrkx_herkx_small_restrict_kernelIl19rocblas_complex_numIdELi16ELb1ELb1ELc78ELc76EKPKS1_KPS1_EviT_T0_PT6_S7_lSA_S7_lS8_PT7_S7_li,comdat
	.globl	_ZL41rocblas_syrkx_herkx_small_restrict_kernelIl19rocblas_complex_numIdELi16ELb1ELb1ELc78ELc76EKPKS1_KPS1_EviT_T0_PT6_S7_lSA_S7_lS8_PT7_S7_li ; -- Begin function _ZL41rocblas_syrkx_herkx_small_restrict_kernelIl19rocblas_complex_numIdELi16ELb1ELb1ELc78ELc76EKPKS1_KPS1_EviT_T0_PT6_S7_lSA_S7_lS8_PT7_S7_li
	.p2align	8
	.type	_ZL41rocblas_syrkx_herkx_small_restrict_kernelIl19rocblas_complex_numIdELi16ELb1ELb1ELc78ELc76EKPKS1_KPS1_EviT_T0_PT6_S7_lSA_S7_lS8_PT7_S7_li,@function
_ZL41rocblas_syrkx_herkx_small_restrict_kernelIl19rocblas_complex_numIdELi16ELb1ELb1ELc78ELc76EKPKS1_KPS1_EviT_T0_PT6_S7_lSA_S7_lS8_PT7_S7_li: ; @_ZL41rocblas_syrkx_herkx_small_restrict_kernelIl19rocblas_complex_numIdELi16ELb1ELb1ELc78ELc76EKPKS1_KPS1_EviT_T0_PT6_S7_lSA_S7_lS8_PT7_S7_li
; %bb.0:
	s_clause 0x1
	s_load_b128 s[16:19], s[0:1], 0x60
	s_load_b256 s[4:11], s[0:1], 0x8
	s_mov_b32 s2, s15
	s_mov_b32 s3, 0
	v_dual_mov_b32 v8, 0 :: v_dual_and_b32 v5, 0x3ff, v0
	s_lshl_b64 s[22:23], s[2:3], 3
	v_bfe_u32 v4, v0, 10, 10
	v_mov_b32_e32 v9, 0
	s_delay_alu instid0(VALU_DEP_3) | instskip(NEXT) | instid1(VALU_DEP_3)
	v_lshl_add_u32 v0, s13, 4, v5
	v_lshl_add_u32 v2, s14, 4, v4
	s_delay_alu instid0(VALU_DEP_3) | instskip(NEXT) | instid1(VALU_DEP_3)
	v_dual_mov_b32 v11, v9 :: v_dual_mov_b32 v10, v8
	v_ashrrev_i32_e32 v1, 31, v0
	s_delay_alu instid0(VALU_DEP_3)
	v_ashrrev_i32_e32 v3, 31, v2
	s_waitcnt lgkmcnt(0)
	s_add_u32 s2, s16, s22
	s_addc_u32 s3, s17, s23
	s_load_b64 s[20:21], s[0:1], 0x28
	s_load_b64 s[16:17], s[2:3], 0x0
	v_cmp_lt_i64_e64 s2, s[4:5], 1
	s_delay_alu instid0(VALU_DEP_1)
	s_and_b32 vcc_lo, exec_lo, s2
	s_cbranch_vccnz .LBB1811_3
; %bb.1:
	s_load_b128 s[0:3], s[0:1], 0x38
	s_waitcnt lgkmcnt(0)
	v_mad_u64_u32 v[10:11], null, s20, v4, 0
	v_lshlrev_b64 v[16:17], 4, v[2:3]
	v_lshlrev_b64 v[18:19], 4, v[0:1]
	s_delay_alu instid0(VALU_DEP_3)
	v_mov_b32_e32 v8, v11
	v_mad_u64_u32 v[6:7], null, s2, v5, 0
	s_add_u32 s0, s0, s22
	s_addc_u32 s1, s1, s23
	s_add_u32 s10, s10, s22
	s_load_b64 s[0:1], s[0:1], 0x0
	s_addc_u32 s11, s11, s23
	s_load_b64 s[10:11], s[10:11], 0x0
	s_delay_alu instid0(VALU_DEP_1) | instskip(NEXT) | instid1(VALU_DEP_1)
	v_mad_u64_u32 v[13:14], null, s3, v5, v[7:8]
	v_dual_mov_b32 v7, v13 :: v_dual_lshlrev_b32 v20, 8, v4
	s_delay_alu instid0(VALU_DEP_1) | instskip(SKIP_2) | instid1(VALU_DEP_4)
	v_add_nc_u32_e32 v13, 0x1000, v20
	v_mad_u64_u32 v[14:15], null, s21, v4, v[8:9]
	v_lshlrev_b32_e32 v12, 4, v5
	v_lshlrev_b64 v[4:5], 4, v[6:7]
	s_delay_alu instid0(VALU_DEP_3) | instskip(NEXT) | instid1(VALU_DEP_2)
	v_mov_b32_e32 v11, v14
	v_add_co_u32 v4, vcc_lo, v4, v16
	s_delay_alu instid0(VALU_DEP_3) | instskip(NEXT) | instid1(VALU_DEP_3)
	v_add_co_ci_u32_e32 v5, vcc_lo, v5, v17, vcc_lo
	v_lshlrev_b64 v[6:7], 4, v[10:11]
	v_dual_mov_b32 v8, 0 :: v_dual_add_nc_u32 v15, v13, v12
	v_dual_mov_b32 v9, 0 :: v_dual_add_nc_u32 v14, v12, v20
	s_delay_alu instid0(VALU_DEP_3) | instskip(NEXT) | instid1(VALU_DEP_4)
	v_add_co_u32 v6, vcc_lo, v6, v18
	v_add_co_ci_u32_e32 v7, vcc_lo, v7, v19, vcc_lo
	s_waitcnt lgkmcnt(0)
	v_add_co_u32 v10, vcc_lo, v4, s0
	v_add_co_ci_u32_e32 v11, vcc_lo, s1, v5, vcc_lo
	v_add_co_u32 v4, vcc_lo, s10, v6
	v_add_co_ci_u32_e32 v5, vcc_lo, s11, v7, vcc_lo
	s_delay_alu instid0(VALU_DEP_4) | instskip(NEXT) | instid1(VALU_DEP_4)
	v_add_co_u32 v6, vcc_lo, v10, 8
	v_add_co_ci_u32_e32 v7, vcc_lo, 0, v11, vcc_lo
	v_dual_mov_b32 v11, v9 :: v_dual_mov_b32 v10, v8
	s_lshl_b64 s[0:1], s[2:3], 8
	s_lshl_b64 s[2:3], s[20:21], 8
	s_mov_b64 s[10:11], 0
.LBB1811_2:                             ; =>This Inner Loop Header: Depth=1
	global_load_b128 v[16:19], v[6:7], off offset:-8
	global_load_b128 v[20:23], v[4:5], off
	s_add_u32 s10, s10, 16
	v_add_co_u32 v6, vcc_lo, v6, s0
	s_addc_u32 s11, s11, 0
	v_add_co_ci_u32_e32 v7, vcc_lo, s1, v7, vcc_lo
	v_cmp_lt_i64_e64 s12, s[10:11], s[4:5]
	v_add_co_u32 v4, vcc_lo, v4, s2
	v_add_co_ci_u32_e32 v5, vcc_lo, s3, v5, vcc_lo
	s_delay_alu instid0(VALU_DEP_3)
	s_and_b32 vcc_lo, exec_lo, s12
	s_waitcnt vmcnt(1)
	v_xor_b32_e32 v19, 0x80000000, v19
	s_waitcnt vmcnt(0)
	ds_store_2addr_b64 v14, v[20:21], v[22:23] offset1:1
	ds_store_b128 v15, v[16:19]
	s_waitcnt lgkmcnt(0)
	s_barrier
	buffer_gl0_inv
	ds_load_b128 v[16:19], v12
	ds_load_b128 v[20:23], v13
	ds_load_b128 v[24:27], v13 offset:16
	ds_load_b128 v[28:31], v12 offset:256
	s_waitcnt lgkmcnt(2)
	v_mul_f64 v[32:33], v[22:23], v[18:19]
	v_mul_f64 v[18:19], v[20:21], v[18:19]
	s_waitcnt lgkmcnt(0)
	v_mul_f64 v[38:39], v[26:27], v[30:31]
	v_mul_f64 v[40:41], v[24:25], v[30:31]
	s_delay_alu instid0(VALU_DEP_4) | instskip(NEXT) | instid1(VALU_DEP_4)
	v_fma_f64 v[42:43], v[20:21], v[16:17], -v[32:33]
	v_fma_f64 v[44:45], v[22:23], v[16:17], v[18:19]
	ds_load_b128 v[16:19], v12 offset:512
	ds_load_b128 v[20:23], v13 offset:32
	;; [unrolled: 1-line block ×4, first 2 shown]
	v_fma_f64 v[24:25], v[24:25], v[28:29], -v[38:39]
	v_fma_f64 v[26:27], v[26:27], v[28:29], v[40:41]
	s_waitcnt lgkmcnt(2)
	v_mul_f64 v[46:47], v[22:23], v[18:19]
	v_mul_f64 v[18:19], v[20:21], v[18:19]
	s_waitcnt lgkmcnt(0)
	v_mul_f64 v[28:29], v[32:33], v[36:37]
	v_mul_f64 v[36:37], v[30:31], v[36:37]
	v_add_f64 v[10:11], v[10:11], v[42:43]
	v_add_f64 v[8:9], v[8:9], v[44:45]
	v_fma_f64 v[38:39], v[20:21], v[16:17], -v[46:47]
	v_fma_f64 v[40:41], v[22:23], v[16:17], v[18:19]
	v_fma_f64 v[28:29], v[30:31], v[34:35], -v[28:29]
	v_fma_f64 v[30:31], v[32:33], v[34:35], v[36:37]
	v_add_f64 v[42:43], v[10:11], v[24:25]
	v_add_f64 v[44:45], v[8:9], v[26:27]
	ds_load_b128 v[8:11], v12 offset:1024
	ds_load_b128 v[16:19], v13 offset:64
	;; [unrolled: 1-line block ×4, first 2 shown]
	s_waitcnt lgkmcnt(2)
	v_mul_f64 v[46:47], v[18:19], v[10:11]
	v_mul_f64 v[10:11], v[16:17], v[10:11]
	s_waitcnt lgkmcnt(0)
	v_mul_f64 v[36:37], v[22:23], v[26:27]
	v_add_f64 v[32:33], v[42:43], v[38:39]
	v_add_f64 v[34:35], v[44:45], v[40:41]
	v_mul_f64 v[38:39], v[20:21], v[26:27]
	v_fma_f64 v[40:41], v[16:17], v[8:9], -v[46:47]
	v_fma_f64 v[42:43], v[18:19], v[8:9], v[10:11]
	v_fma_f64 v[20:21], v[20:21], v[24:25], -v[36:37]
	v_add_f64 v[44:45], v[32:33], v[28:29]
	v_add_f64 v[34:35], v[34:35], v[30:31]
	ds_load_b128 v[8:11], v12 offset:1536
	ds_load_b128 v[16:19], v13 offset:96
	;; [unrolled: 1-line block ×4, first 2 shown]
	v_fma_f64 v[22:23], v[22:23], v[24:25], v[38:39]
	s_waitcnt lgkmcnt(2)
	v_mul_f64 v[46:47], v[18:19], v[10:11]
	v_mul_f64 v[10:11], v[16:17], v[10:11]
	s_waitcnt lgkmcnt(0)
	v_mul_f64 v[36:37], v[28:29], v[32:33]
	v_mul_f64 v[38:39], v[26:27], v[32:33]
	v_add_f64 v[24:25], v[44:45], v[40:41]
	v_add_f64 v[34:35], v[34:35], v[42:43]
	v_fma_f64 v[40:41], v[16:17], v[8:9], -v[46:47]
	v_fma_f64 v[42:43], v[18:19], v[8:9], v[10:11]
	v_fma_f64 v[26:27], v[26:27], v[30:31], -v[36:37]
	v_fma_f64 v[28:29], v[28:29], v[30:31], v[38:39]
	v_add_f64 v[24:25], v[24:25], v[20:21]
	v_add_f64 v[44:45], v[34:35], v[22:23]
	ds_load_b128 v[8:11], v12 offset:2048
	ds_load_b128 v[16:19], v13 offset:128
	;; [unrolled: 1-line block ×4, first 2 shown]
	s_waitcnt lgkmcnt(2)
	v_mul_f64 v[46:47], v[18:19], v[10:11]
	v_mul_f64 v[10:11], v[16:17], v[10:11]
	s_waitcnt lgkmcnt(0)
	v_mul_f64 v[36:37], v[22:23], v[34:35]
	v_mul_f64 v[34:35], v[20:21], v[34:35]
	v_add_f64 v[24:25], v[24:25], v[40:41]
	v_add_f64 v[30:31], v[44:45], v[42:43]
	v_fma_f64 v[38:39], v[16:17], v[8:9], -v[46:47]
	v_fma_f64 v[40:41], v[18:19], v[8:9], v[10:11]
	v_fma_f64 v[20:21], v[20:21], v[32:33], -v[36:37]
	v_fma_f64 v[22:23], v[22:23], v[32:33], v[34:35]
	v_add_f64 v[42:43], v[24:25], v[26:27]
	v_add_f64 v[44:45], v[30:31], v[28:29]
	ds_load_b128 v[8:11], v12 offset:2560
	ds_load_b128 v[16:19], v13 offset:160
	;; [unrolled: 1-line block ×4, first 2 shown]
	s_waitcnt lgkmcnt(2)
	v_mul_f64 v[46:47], v[18:19], v[10:11]
	v_mul_f64 v[10:11], v[16:17], v[10:11]
	s_waitcnt lgkmcnt(0)
	v_mul_f64 v[36:37], v[26:27], v[30:31]
	v_add_f64 v[32:33], v[42:43], v[38:39]
	v_add_f64 v[34:35], v[44:45], v[40:41]
	v_mul_f64 v[38:39], v[24:25], v[30:31]
	v_fma_f64 v[40:41], v[16:17], v[8:9], -v[46:47]
	v_fma_f64 v[42:43], v[18:19], v[8:9], v[10:11]
	v_fma_f64 v[24:25], v[24:25], v[28:29], -v[36:37]
	v_add_f64 v[44:45], v[32:33], v[20:21]
	v_add_f64 v[34:35], v[34:35], v[22:23]
	ds_load_b128 v[8:11], v12 offset:3072
	ds_load_b128 v[16:19], v13 offset:192
	;; [unrolled: 1-line block ×4, first 2 shown]
	v_fma_f64 v[26:27], v[26:27], v[28:29], v[38:39]
	s_waitcnt lgkmcnt(2)
	v_mul_f64 v[46:47], v[18:19], v[10:11]
	v_mul_f64 v[10:11], v[16:17], v[10:11]
	s_waitcnt lgkmcnt(0)
	v_mul_f64 v[36:37], v[22:23], v[32:33]
	v_mul_f64 v[38:39], v[20:21], v[32:33]
	v_add_f64 v[28:29], v[44:45], v[40:41]
	v_add_f64 v[34:35], v[34:35], v[42:43]
	v_fma_f64 v[40:41], v[16:17], v[8:9], -v[46:47]
	v_fma_f64 v[42:43], v[18:19], v[8:9], v[10:11]
	v_fma_f64 v[20:21], v[20:21], v[30:31], -v[36:37]
	v_fma_f64 v[22:23], v[22:23], v[30:31], v[38:39]
	v_add_f64 v[28:29], v[28:29], v[24:25]
	v_add_f64 v[44:45], v[34:35], v[26:27]
	ds_load_b128 v[8:11], v12 offset:3584
	ds_load_b128 v[16:19], v13 offset:224
	;; [unrolled: 1-line block ×4, first 2 shown]
	s_waitcnt lgkmcnt(0)
	s_barrier
	buffer_gl0_inv
	v_mul_f64 v[46:47], v[18:19], v[10:11]
	v_mul_f64 v[10:11], v[16:17], v[10:11]
	;; [unrolled: 1-line block ×4, first 2 shown]
	v_add_f64 v[28:29], v[28:29], v[40:41]
	v_add_f64 v[30:31], v[44:45], v[42:43]
	v_fma_f64 v[16:17], v[16:17], v[8:9], -v[46:47]
	v_fma_f64 v[8:9], v[18:19], v[8:9], v[10:11]
	s_delay_alu instid0(VALU_DEP_4) | instskip(NEXT) | instid1(VALU_DEP_4)
	v_add_f64 v[10:11], v[28:29], v[20:21]
	v_add_f64 v[18:19], v[30:31], v[22:23]
	v_fma_f64 v[20:21], v[24:25], v[32:33], -v[36:37]
	v_fma_f64 v[22:23], v[26:27], v[32:33], v[34:35]
	s_delay_alu instid0(VALU_DEP_4) | instskip(NEXT) | instid1(VALU_DEP_4)
	v_add_f64 v[10:11], v[10:11], v[16:17]
	v_add_f64 v[8:9], v[18:19], v[8:9]
	s_delay_alu instid0(VALU_DEP_2) | instskip(NEXT) | instid1(VALU_DEP_2)
	v_add_f64 v[10:11], v[10:11], v[20:21]
	v_add_f64 v[8:9], v[8:9], v[22:23]
	s_cbranch_vccnz .LBB1811_2
.LBB1811_3:
	s_mov_b32 s0, exec_lo
	v_cmpx_le_i32_e64 v2, v0
	s_cbranch_execz .LBB1811_5
; %bb.4:
	s_delay_alu instid0(VALU_DEP_2) | instskip(SKIP_2) | instid1(VALU_DEP_3)
	v_mul_f64 v[4:5], s[6:7], v[8:9]
	v_mul_f64 v[6:7], s[8:9], v[8:9]
	v_mul_lo_u32 v3, v3, s18
	v_fma_f64 v[8:9], s[8:9], v[10:11], v[4:5]
	s_delay_alu instid0(VALU_DEP_3) | instskip(SKIP_2) | instid1(VALU_DEP_1)
	v_fma_f64 v[4:5], s[6:7], v[10:11], -v[6:7]
	v_mul_lo_u32 v10, v2, s19
	v_mad_u64_u32 v[6:7], null, v2, s18, 0
	v_add3_u32 v7, v7, v10, v3
	v_lshlrev_b64 v[10:11], 4, v[0:1]
	s_delay_alu instid0(VALU_DEP_2) | instskip(SKIP_1) | instid1(VALU_DEP_1)
	v_lshlrev_b64 v[6:7], 4, v[6:7]
	s_waitcnt lgkmcnt(0)
	v_add_co_u32 v1, vcc_lo, s16, v6
	s_delay_alu instid0(VALU_DEP_2) | instskip(SKIP_1) | instid1(VALU_DEP_3)
	v_add_co_ci_u32_e32 v3, vcc_lo, s17, v7, vcc_lo
	v_cmp_ne_u32_e32 vcc_lo, v0, v2
	v_add_co_u32 v0, s0, v1, v10
	s_delay_alu instid0(VALU_DEP_1)
	v_add_co_ci_u32_e64 v1, s0, v3, v11, s0
	v_dual_cndmask_b32 v7, 0, v9 :: v_dual_cndmask_b32 v6, 0, v8
	global_store_b128 v[0:1], v[4:7], off
.LBB1811_5:
	s_nop 0
	s_sendmsg sendmsg(MSG_DEALLOC_VGPRS)
	s_endpgm
	.section	.rodata,"a",@progbits
	.p2align	6, 0x0
	.amdhsa_kernel _ZL41rocblas_syrkx_herkx_small_restrict_kernelIl19rocblas_complex_numIdELi16ELb1ELb1ELc78ELc76EKPKS1_KPS1_EviT_T0_PT6_S7_lSA_S7_lS8_PT7_S7_li
		.amdhsa_group_segment_fixed_size 8192
		.amdhsa_private_segment_fixed_size 0
		.amdhsa_kernarg_size 124
		.amdhsa_user_sgpr_count 13
		.amdhsa_user_sgpr_dispatch_ptr 0
		.amdhsa_user_sgpr_queue_ptr 0
		.amdhsa_user_sgpr_kernarg_segment_ptr 1
		.amdhsa_user_sgpr_dispatch_id 0
		.amdhsa_user_sgpr_private_segment_size 0
		.amdhsa_wavefront_size32 1
		.amdhsa_uses_dynamic_stack 0
		.amdhsa_enable_private_segment 0
		.amdhsa_system_sgpr_workgroup_id_x 1
		.amdhsa_system_sgpr_workgroup_id_y 1
		.amdhsa_system_sgpr_workgroup_id_z 1
		.amdhsa_system_sgpr_workgroup_info 0
		.amdhsa_system_vgpr_workitem_id 1
		.amdhsa_next_free_vgpr 48
		.amdhsa_next_free_sgpr 24
		.amdhsa_reserve_vcc 1
		.amdhsa_float_round_mode_32 0
		.amdhsa_float_round_mode_16_64 0
		.amdhsa_float_denorm_mode_32 3
		.amdhsa_float_denorm_mode_16_64 3
		.amdhsa_dx10_clamp 1
		.amdhsa_ieee_mode 1
		.amdhsa_fp16_overflow 0
		.amdhsa_workgroup_processor_mode 1
		.amdhsa_memory_ordered 1
		.amdhsa_forward_progress 0
		.amdhsa_shared_vgpr_count 0
		.amdhsa_exception_fp_ieee_invalid_op 0
		.amdhsa_exception_fp_denorm_src 0
		.amdhsa_exception_fp_ieee_div_zero 0
		.amdhsa_exception_fp_ieee_overflow 0
		.amdhsa_exception_fp_ieee_underflow 0
		.amdhsa_exception_fp_ieee_inexact 0
		.amdhsa_exception_int_div_zero 0
	.end_amdhsa_kernel
	.section	.text._ZL41rocblas_syrkx_herkx_small_restrict_kernelIl19rocblas_complex_numIdELi16ELb1ELb1ELc78ELc76EKPKS1_KPS1_EviT_T0_PT6_S7_lSA_S7_lS8_PT7_S7_li,"axG",@progbits,_ZL41rocblas_syrkx_herkx_small_restrict_kernelIl19rocblas_complex_numIdELi16ELb1ELb1ELc78ELc76EKPKS1_KPS1_EviT_T0_PT6_S7_lSA_S7_lS8_PT7_S7_li,comdat
.Lfunc_end1811:
	.size	_ZL41rocblas_syrkx_herkx_small_restrict_kernelIl19rocblas_complex_numIdELi16ELb1ELb1ELc78ELc76EKPKS1_KPS1_EviT_T0_PT6_S7_lSA_S7_lS8_PT7_S7_li, .Lfunc_end1811-_ZL41rocblas_syrkx_herkx_small_restrict_kernelIl19rocblas_complex_numIdELi16ELb1ELb1ELc78ELc76EKPKS1_KPS1_EviT_T0_PT6_S7_lSA_S7_lS8_PT7_S7_li
                                        ; -- End function
	.section	.AMDGPU.csdata,"",@progbits
; Kernel info:
; codeLenInByte = 1820
; NumSgprs: 26
; NumVgprs: 48
; ScratchSize: 0
; MemoryBound: 0
; FloatMode: 240
; IeeeMode: 1
; LDSByteSize: 8192 bytes/workgroup (compile time only)
; SGPRBlocks: 3
; VGPRBlocks: 5
; NumSGPRsForWavesPerEU: 26
; NumVGPRsForWavesPerEU: 48
; Occupancy: 16
; WaveLimiterHint : 1
; COMPUTE_PGM_RSRC2:SCRATCH_EN: 0
; COMPUTE_PGM_RSRC2:USER_SGPR: 13
; COMPUTE_PGM_RSRC2:TRAP_HANDLER: 0
; COMPUTE_PGM_RSRC2:TGID_X_EN: 1
; COMPUTE_PGM_RSRC2:TGID_Y_EN: 1
; COMPUTE_PGM_RSRC2:TGID_Z_EN: 1
; COMPUTE_PGM_RSRC2:TIDIG_COMP_CNT: 1
	.section	.text._ZL41rocblas_syrkx_herkx_small_restrict_kernelIl19rocblas_complex_numIdELi16ELb1ELb1ELc84ELc85EKPKS1_KPS1_EviT_T0_PT6_S7_lSA_S7_lS8_PT7_S7_li,"axG",@progbits,_ZL41rocblas_syrkx_herkx_small_restrict_kernelIl19rocblas_complex_numIdELi16ELb1ELb1ELc84ELc85EKPKS1_KPS1_EviT_T0_PT6_S7_lSA_S7_lS8_PT7_S7_li,comdat
	.globl	_ZL41rocblas_syrkx_herkx_small_restrict_kernelIl19rocblas_complex_numIdELi16ELb1ELb1ELc84ELc85EKPKS1_KPS1_EviT_T0_PT6_S7_lSA_S7_lS8_PT7_S7_li ; -- Begin function _ZL41rocblas_syrkx_herkx_small_restrict_kernelIl19rocblas_complex_numIdELi16ELb1ELb1ELc84ELc85EKPKS1_KPS1_EviT_T0_PT6_S7_lSA_S7_lS8_PT7_S7_li
	.p2align	8
	.type	_ZL41rocblas_syrkx_herkx_small_restrict_kernelIl19rocblas_complex_numIdELi16ELb1ELb1ELc84ELc85EKPKS1_KPS1_EviT_T0_PT6_S7_lSA_S7_lS8_PT7_S7_li,@function
_ZL41rocblas_syrkx_herkx_small_restrict_kernelIl19rocblas_complex_numIdELi16ELb1ELb1ELc84ELc85EKPKS1_KPS1_EviT_T0_PT6_S7_lSA_S7_lS8_PT7_S7_li: ; @_ZL41rocblas_syrkx_herkx_small_restrict_kernelIl19rocblas_complex_numIdELi16ELb1ELb1ELc84ELc85EKPKS1_KPS1_EviT_T0_PT6_S7_lSA_S7_lS8_PT7_S7_li
; %bb.0:
	s_clause 0x1
	s_load_b128 s[16:19], s[0:1], 0x60
	s_load_b256 s[4:11], s[0:1], 0x8
	s_mov_b32 s2, s15
	s_mov_b32 s3, 0
	v_and_b32_e32 v2, 0x3ff, v0
	s_lshl_b64 s[20:21], s[2:3], 3
	v_bfe_u32 v3, v0, 10, 10
	v_mov_b32_e32 v6, 0
	v_mov_b32_e32 v7, 0
	v_lshl_add_u32 v0, s13, 4, v2
	s_delay_alu instid0(VALU_DEP_4) | instskip(NEXT) | instid1(VALU_DEP_3)
	v_lshl_add_u32 v10, s14, 4, v3
	v_dual_mov_b32 v9, v7 :: v_dual_mov_b32 v8, v6
	s_delay_alu instid0(VALU_DEP_3) | instskip(NEXT) | instid1(VALU_DEP_3)
	v_ashrrev_i32_e32 v1, 31, v0
	v_ashrrev_i32_e32 v11, 31, v10
	s_waitcnt lgkmcnt(0)
	s_add_u32 s2, s16, s20
	s_addc_u32 s3, s17, s21
	s_load_b64 s[16:17], s[0:1], 0x28
	s_load_b64 s[2:3], s[2:3], 0x0
	v_cmp_lt_i64_e64 s12, s[4:5], 1
	s_delay_alu instid0(VALU_DEP_1)
	s_and_b32 vcc_lo, exec_lo, s12
	s_cbranch_vccnz .LBB1812_3
; %bb.1:
	s_load_b128 s[12:15], s[0:1], 0x38
	s_waitcnt lgkmcnt(0)
	v_mul_lo_u32 v6, v0, s17
	v_mul_lo_u32 v7, v1, s16
	v_mad_u64_u32 v[4:5], null, v0, s16, 0
	v_lshlrev_b32_e32 v17, 4, v3
	v_lshlrev_b32_e32 v16, 8, v3
	s_delay_alu instid0(VALU_DEP_3) | instskip(SKIP_2) | instid1(VALU_DEP_4)
	v_add3_u32 v5, v5, v6, v7
	v_mov_b32_e32 v6, 0
	v_dual_mov_b32 v7, 0 :: v_dual_lshlrev_b32 v12, 4, v2
	v_add_nc_u32_e32 v13, 0x1000, v16
	s_delay_alu instid0(VALU_DEP_4)
	v_lshlrev_b64 v[4:5], 4, v[4:5]
	s_add_u32 s0, s12, s20
	s_addc_u32 s1, s13, s21
	s_add_u32 s10, s10, s20
	s_load_b64 s[0:1], s[0:1], 0x0
	s_addc_u32 s11, s11, s21
	v_mul_lo_u32 v14, v10, s15
	v_mul_lo_u32 v15, v11, s14
	v_mad_u64_u32 v[8:9], null, v10, s14, 0
	s_load_b64 s[10:11], s[10:11], 0x0
	s_delay_alu instid0(VALU_DEP_1) | instskip(NEXT) | instid1(VALU_DEP_1)
	v_add3_u32 v9, v9, v14, v15
	v_lshlrev_b64 v[2:3], 4, v[8:9]
	s_waitcnt lgkmcnt(0)
	v_add_co_u32 v8, s0, s0, v12
	s_delay_alu instid0(VALU_DEP_1) | instskip(NEXT) | instid1(VALU_DEP_2)
	v_add_co_ci_u32_e64 v9, null, s1, 0, s0
	v_add_co_u32 v2, vcc_lo, v8, v2
	s_delay_alu instid0(VALU_DEP_2) | instskip(SKIP_3) | instid1(VALU_DEP_1)
	v_add_co_ci_u32_e32 v3, vcc_lo, v9, v3, vcc_lo
	v_dual_mov_b32 v9, v7 :: v_dual_mov_b32 v8, v6
	v_add_nc_u32_e32 v14, v12, v16
	v_add_co_u32 v16, s0, s10, v17
	v_add_co_ci_u32_e64 v17, null, s11, 0, s0
	v_add_nc_u32_e32 v15, v13, v12
	s_delay_alu instid0(VALU_DEP_3) | instskip(NEXT) | instid1(VALU_DEP_3)
	v_add_co_u32 v4, vcc_lo, v16, v4
	v_add_co_ci_u32_e32 v5, vcc_lo, v17, v5, vcc_lo
	s_mov_b64 s[0:1], 0
.LBB1812_2:                             ; =>This Inner Loop Header: Depth=1
	global_load_b128 v[16:19], v[4:5], off
	global_load_b128 v[20:23], v[2:3], off
	s_add_u32 s0, s0, 16
	v_add_co_u32 v2, vcc_lo, 0x100, v2
	s_addc_u32 s1, s1, 0
	v_add_co_ci_u32_e32 v3, vcc_lo, 0, v3, vcc_lo
	v_cmp_lt_i64_e64 s10, s[0:1], s[4:5]
	v_add_co_u32 v4, vcc_lo, 0x100, v4
	v_add_co_ci_u32_e32 v5, vcc_lo, 0, v5, vcc_lo
	s_waitcnt vmcnt(1)
	ds_store_2addr_b64 v14, v[16:17], v[18:19] offset1:1
	s_waitcnt vmcnt(0)
	ds_store_2addr_b64 v15, v[20:21], v[22:23] offset1:1
	s_waitcnt lgkmcnt(0)
	s_barrier
	buffer_gl0_inv
	ds_load_b128 v[16:19], v12
	ds_load_b128 v[20:23], v13
	ds_load_b128 v[24:27], v13 offset:16
	ds_load_b128 v[28:31], v12 offset:256
	s_and_b32 vcc_lo, exec_lo, s10
	s_waitcnt lgkmcnt(2)
	v_mul_f64 v[32:33], v[22:23], v[18:19]
	v_mul_f64 v[18:19], v[20:21], v[18:19]
	s_waitcnt lgkmcnt(0)
	v_mul_f64 v[38:39], v[26:27], v[30:31]
	v_mul_f64 v[40:41], v[24:25], v[30:31]
	s_delay_alu instid0(VALU_DEP_4) | instskip(NEXT) | instid1(VALU_DEP_4)
	v_fma_f64 v[42:43], v[20:21], v[16:17], -v[32:33]
	v_fma_f64 v[44:45], v[22:23], v[16:17], v[18:19]
	ds_load_b128 v[16:19], v12 offset:512
	ds_load_b128 v[20:23], v13 offset:32
	;; [unrolled: 1-line block ×4, first 2 shown]
	v_fma_f64 v[24:25], v[24:25], v[28:29], -v[38:39]
	v_fma_f64 v[26:27], v[26:27], v[28:29], v[40:41]
	s_waitcnt lgkmcnt(2)
	v_mul_f64 v[46:47], v[22:23], v[18:19]
	v_mul_f64 v[18:19], v[20:21], v[18:19]
	s_waitcnt lgkmcnt(0)
	v_mul_f64 v[28:29], v[32:33], v[36:37]
	v_mul_f64 v[36:37], v[30:31], v[36:37]
	v_add_f64 v[8:9], v[8:9], v[42:43]
	v_add_f64 v[6:7], v[6:7], v[44:45]
	v_fma_f64 v[38:39], v[20:21], v[16:17], -v[46:47]
	v_fma_f64 v[40:41], v[22:23], v[16:17], v[18:19]
	v_fma_f64 v[28:29], v[30:31], v[34:35], -v[28:29]
	v_fma_f64 v[30:31], v[32:33], v[34:35], v[36:37]
	v_add_f64 v[42:43], v[8:9], v[24:25]
	v_add_f64 v[44:45], v[6:7], v[26:27]
	ds_load_b128 v[6:9], v12 offset:1024
	ds_load_b128 v[16:19], v13 offset:64
	;; [unrolled: 1-line block ×4, first 2 shown]
	s_waitcnt lgkmcnt(2)
	v_mul_f64 v[46:47], v[18:19], v[8:9]
	v_mul_f64 v[8:9], v[16:17], v[8:9]
	s_waitcnt lgkmcnt(0)
	v_mul_f64 v[36:37], v[22:23], v[26:27]
	v_add_f64 v[32:33], v[42:43], v[38:39]
	v_add_f64 v[34:35], v[44:45], v[40:41]
	v_mul_f64 v[38:39], v[20:21], v[26:27]
	v_fma_f64 v[40:41], v[16:17], v[6:7], -v[46:47]
	v_fma_f64 v[42:43], v[18:19], v[6:7], v[8:9]
	v_fma_f64 v[20:21], v[20:21], v[24:25], -v[36:37]
	v_add_f64 v[44:45], v[32:33], v[28:29]
	v_add_f64 v[34:35], v[34:35], v[30:31]
	ds_load_b128 v[6:9], v12 offset:1536
	ds_load_b128 v[16:19], v13 offset:96
	;; [unrolled: 1-line block ×4, first 2 shown]
	v_fma_f64 v[22:23], v[22:23], v[24:25], v[38:39]
	s_waitcnt lgkmcnt(2)
	v_mul_f64 v[46:47], v[18:19], v[8:9]
	v_mul_f64 v[8:9], v[16:17], v[8:9]
	s_waitcnt lgkmcnt(0)
	v_mul_f64 v[36:37], v[28:29], v[32:33]
	v_mul_f64 v[38:39], v[26:27], v[32:33]
	v_add_f64 v[24:25], v[44:45], v[40:41]
	v_add_f64 v[34:35], v[34:35], v[42:43]
	v_fma_f64 v[40:41], v[16:17], v[6:7], -v[46:47]
	v_fma_f64 v[42:43], v[18:19], v[6:7], v[8:9]
	v_fma_f64 v[26:27], v[26:27], v[30:31], -v[36:37]
	v_fma_f64 v[28:29], v[28:29], v[30:31], v[38:39]
	v_add_f64 v[24:25], v[24:25], v[20:21]
	v_add_f64 v[44:45], v[34:35], v[22:23]
	ds_load_b128 v[6:9], v12 offset:2048
	ds_load_b128 v[16:19], v13 offset:128
	ds_load_b128 v[20:23], v13 offset:144
	ds_load_b128 v[32:35], v12 offset:2304
	s_waitcnt lgkmcnt(2)
	v_mul_f64 v[46:47], v[18:19], v[8:9]
	v_mul_f64 v[8:9], v[16:17], v[8:9]
	s_waitcnt lgkmcnt(0)
	v_mul_f64 v[36:37], v[22:23], v[34:35]
	v_mul_f64 v[34:35], v[20:21], v[34:35]
	v_add_f64 v[24:25], v[24:25], v[40:41]
	v_add_f64 v[30:31], v[44:45], v[42:43]
	v_fma_f64 v[38:39], v[16:17], v[6:7], -v[46:47]
	v_fma_f64 v[40:41], v[18:19], v[6:7], v[8:9]
	v_fma_f64 v[20:21], v[20:21], v[32:33], -v[36:37]
	v_fma_f64 v[22:23], v[22:23], v[32:33], v[34:35]
	v_add_f64 v[42:43], v[24:25], v[26:27]
	v_add_f64 v[44:45], v[30:31], v[28:29]
	ds_load_b128 v[6:9], v12 offset:2560
	ds_load_b128 v[16:19], v13 offset:160
	;; [unrolled: 1-line block ×4, first 2 shown]
	s_waitcnt lgkmcnt(2)
	v_mul_f64 v[46:47], v[18:19], v[8:9]
	v_mul_f64 v[8:9], v[16:17], v[8:9]
	s_waitcnt lgkmcnt(0)
	v_mul_f64 v[36:37], v[26:27], v[30:31]
	v_add_f64 v[32:33], v[42:43], v[38:39]
	v_add_f64 v[34:35], v[44:45], v[40:41]
	v_mul_f64 v[38:39], v[24:25], v[30:31]
	v_fma_f64 v[40:41], v[16:17], v[6:7], -v[46:47]
	v_fma_f64 v[42:43], v[18:19], v[6:7], v[8:9]
	v_fma_f64 v[24:25], v[24:25], v[28:29], -v[36:37]
	v_add_f64 v[44:45], v[32:33], v[20:21]
	v_add_f64 v[34:35], v[34:35], v[22:23]
	ds_load_b128 v[6:9], v12 offset:3072
	ds_load_b128 v[16:19], v13 offset:192
	;; [unrolled: 1-line block ×4, first 2 shown]
	v_fma_f64 v[26:27], v[26:27], v[28:29], v[38:39]
	s_waitcnt lgkmcnt(2)
	v_mul_f64 v[46:47], v[18:19], v[8:9]
	v_mul_f64 v[8:9], v[16:17], v[8:9]
	s_waitcnt lgkmcnt(0)
	v_mul_f64 v[36:37], v[22:23], v[32:33]
	v_mul_f64 v[38:39], v[20:21], v[32:33]
	v_add_f64 v[28:29], v[44:45], v[40:41]
	v_add_f64 v[34:35], v[34:35], v[42:43]
	v_fma_f64 v[40:41], v[16:17], v[6:7], -v[46:47]
	v_fma_f64 v[42:43], v[18:19], v[6:7], v[8:9]
	v_fma_f64 v[20:21], v[20:21], v[30:31], -v[36:37]
	v_fma_f64 v[22:23], v[22:23], v[30:31], v[38:39]
	v_add_f64 v[28:29], v[28:29], v[24:25]
	v_add_f64 v[44:45], v[34:35], v[26:27]
	ds_load_b128 v[6:9], v12 offset:3584
	ds_load_b128 v[16:19], v13 offset:224
	;; [unrolled: 1-line block ×4, first 2 shown]
	s_waitcnt lgkmcnt(0)
	s_barrier
	buffer_gl0_inv
	v_mul_f64 v[46:47], v[18:19], v[8:9]
	v_mul_f64 v[8:9], v[16:17], v[8:9]
	;; [unrolled: 1-line block ×4, first 2 shown]
	v_add_f64 v[28:29], v[28:29], v[40:41]
	v_add_f64 v[30:31], v[44:45], v[42:43]
	v_fma_f64 v[16:17], v[16:17], v[6:7], -v[46:47]
	v_fma_f64 v[6:7], v[18:19], v[6:7], v[8:9]
	s_delay_alu instid0(VALU_DEP_4) | instskip(NEXT) | instid1(VALU_DEP_4)
	v_add_f64 v[8:9], v[28:29], v[20:21]
	v_add_f64 v[18:19], v[30:31], v[22:23]
	v_fma_f64 v[20:21], v[24:25], v[32:33], -v[36:37]
	v_fma_f64 v[22:23], v[26:27], v[32:33], v[34:35]
	s_delay_alu instid0(VALU_DEP_4) | instskip(NEXT) | instid1(VALU_DEP_4)
	v_add_f64 v[8:9], v[8:9], v[16:17]
	v_add_f64 v[6:7], v[18:19], v[6:7]
	s_delay_alu instid0(VALU_DEP_2) | instskip(NEXT) | instid1(VALU_DEP_2)
	v_add_f64 v[8:9], v[8:9], v[20:21]
	v_add_f64 v[6:7], v[6:7], v[22:23]
	s_cbranch_vccnz .LBB1812_2
.LBB1812_3:
	s_mov_b32 s0, exec_lo
	v_cmpx_le_i32_e64 v0, v10
	s_cbranch_execz .LBB1812_5
; %bb.4:
	s_delay_alu instid0(VALU_DEP_2) | instskip(SKIP_1) | instid1(VALU_DEP_2)
	v_mul_f64 v[2:3], s[6:7], v[6:7]
	v_mul_f64 v[4:5], s[8:9], v[6:7]
	v_fma_f64 v[6:7], s[8:9], v[8:9], v[2:3]
	s_delay_alu instid0(VALU_DEP_2) | instskip(SKIP_3) | instid1(VALU_DEP_1)
	v_fma_f64 v[2:3], s[6:7], v[8:9], -v[4:5]
	v_mul_lo_u32 v8, v10, s19
	v_mul_lo_u32 v9, v11, s18
	v_mad_u64_u32 v[4:5], null, v10, s18, 0
	v_add3_u32 v5, v5, v8, v9
	v_lshlrev_b64 v[8:9], 4, v[0:1]
	s_delay_alu instid0(VALU_DEP_2) | instskip(SKIP_1) | instid1(VALU_DEP_1)
	v_lshlrev_b64 v[4:5], 4, v[4:5]
	s_waitcnt lgkmcnt(0)
	v_add_co_u32 v1, vcc_lo, s2, v4
	s_delay_alu instid0(VALU_DEP_2) | instskip(SKIP_1) | instid1(VALU_DEP_3)
	v_add_co_ci_u32_e32 v4, vcc_lo, s3, v5, vcc_lo
	v_cmp_ne_u32_e32 vcc_lo, v0, v10
	v_add_co_u32 v0, s0, v1, v8
	s_delay_alu instid0(VALU_DEP_1)
	v_add_co_ci_u32_e64 v1, s0, v4, v9, s0
	v_dual_cndmask_b32 v5, 0, v7 :: v_dual_cndmask_b32 v4, 0, v6
	global_store_b128 v[0:1], v[2:5], off
.LBB1812_5:
	s_nop 0
	s_sendmsg sendmsg(MSG_DEALLOC_VGPRS)
	s_endpgm
	.section	.rodata,"a",@progbits
	.p2align	6, 0x0
	.amdhsa_kernel _ZL41rocblas_syrkx_herkx_small_restrict_kernelIl19rocblas_complex_numIdELi16ELb1ELb1ELc84ELc85EKPKS1_KPS1_EviT_T0_PT6_S7_lSA_S7_lS8_PT7_S7_li
		.amdhsa_group_segment_fixed_size 8192
		.amdhsa_private_segment_fixed_size 0
		.amdhsa_kernarg_size 124
		.amdhsa_user_sgpr_count 13
		.amdhsa_user_sgpr_dispatch_ptr 0
		.amdhsa_user_sgpr_queue_ptr 0
		.amdhsa_user_sgpr_kernarg_segment_ptr 1
		.amdhsa_user_sgpr_dispatch_id 0
		.amdhsa_user_sgpr_private_segment_size 0
		.amdhsa_wavefront_size32 1
		.amdhsa_uses_dynamic_stack 0
		.amdhsa_enable_private_segment 0
		.amdhsa_system_sgpr_workgroup_id_x 1
		.amdhsa_system_sgpr_workgroup_id_y 1
		.amdhsa_system_sgpr_workgroup_id_z 1
		.amdhsa_system_sgpr_workgroup_info 0
		.amdhsa_system_vgpr_workitem_id 1
		.amdhsa_next_free_vgpr 48
		.amdhsa_next_free_sgpr 22
		.amdhsa_reserve_vcc 1
		.amdhsa_float_round_mode_32 0
		.amdhsa_float_round_mode_16_64 0
		.amdhsa_float_denorm_mode_32 3
		.amdhsa_float_denorm_mode_16_64 3
		.amdhsa_dx10_clamp 1
		.amdhsa_ieee_mode 1
		.amdhsa_fp16_overflow 0
		.amdhsa_workgroup_processor_mode 1
		.amdhsa_memory_ordered 1
		.amdhsa_forward_progress 0
		.amdhsa_shared_vgpr_count 0
		.amdhsa_exception_fp_ieee_invalid_op 0
		.amdhsa_exception_fp_denorm_src 0
		.amdhsa_exception_fp_ieee_div_zero 0
		.amdhsa_exception_fp_ieee_overflow 0
		.amdhsa_exception_fp_ieee_underflow 0
		.amdhsa_exception_fp_ieee_inexact 0
		.amdhsa_exception_int_div_zero 0
	.end_amdhsa_kernel
	.section	.text._ZL41rocblas_syrkx_herkx_small_restrict_kernelIl19rocblas_complex_numIdELi16ELb1ELb1ELc84ELc85EKPKS1_KPS1_EviT_T0_PT6_S7_lSA_S7_lS8_PT7_S7_li,"axG",@progbits,_ZL41rocblas_syrkx_herkx_small_restrict_kernelIl19rocblas_complex_numIdELi16ELb1ELb1ELc84ELc85EKPKS1_KPS1_EviT_T0_PT6_S7_lSA_S7_lS8_PT7_S7_li,comdat
.Lfunc_end1812:
	.size	_ZL41rocblas_syrkx_herkx_small_restrict_kernelIl19rocblas_complex_numIdELi16ELb1ELb1ELc84ELc85EKPKS1_KPS1_EviT_T0_PT6_S7_lSA_S7_lS8_PT7_S7_li, .Lfunc_end1812-_ZL41rocblas_syrkx_herkx_small_restrict_kernelIl19rocblas_complex_numIdELi16ELb1ELb1ELc84ELc85EKPKS1_KPS1_EviT_T0_PT6_S7_lSA_S7_lS8_PT7_S7_li
                                        ; -- End function
	.section	.AMDGPU.csdata,"",@progbits
; Kernel info:
; codeLenInByte = 1804
; NumSgprs: 24
; NumVgprs: 48
; ScratchSize: 0
; MemoryBound: 0
; FloatMode: 240
; IeeeMode: 1
; LDSByteSize: 8192 bytes/workgroup (compile time only)
; SGPRBlocks: 2
; VGPRBlocks: 5
; NumSGPRsForWavesPerEU: 24
; NumVGPRsForWavesPerEU: 48
; Occupancy: 16
; WaveLimiterHint : 1
; COMPUTE_PGM_RSRC2:SCRATCH_EN: 0
; COMPUTE_PGM_RSRC2:USER_SGPR: 13
; COMPUTE_PGM_RSRC2:TRAP_HANDLER: 0
; COMPUTE_PGM_RSRC2:TGID_X_EN: 1
; COMPUTE_PGM_RSRC2:TGID_Y_EN: 1
; COMPUTE_PGM_RSRC2:TGID_Z_EN: 1
; COMPUTE_PGM_RSRC2:TIDIG_COMP_CNT: 1
	.section	.text._ZL41rocblas_syrkx_herkx_small_restrict_kernelIl19rocblas_complex_numIdELi16ELb1ELb1ELc67ELc85EKPKS1_KPS1_EviT_T0_PT6_S7_lSA_S7_lS8_PT7_S7_li,"axG",@progbits,_ZL41rocblas_syrkx_herkx_small_restrict_kernelIl19rocblas_complex_numIdELi16ELb1ELb1ELc67ELc85EKPKS1_KPS1_EviT_T0_PT6_S7_lSA_S7_lS8_PT7_S7_li,comdat
	.globl	_ZL41rocblas_syrkx_herkx_small_restrict_kernelIl19rocblas_complex_numIdELi16ELb1ELb1ELc67ELc85EKPKS1_KPS1_EviT_T0_PT6_S7_lSA_S7_lS8_PT7_S7_li ; -- Begin function _ZL41rocblas_syrkx_herkx_small_restrict_kernelIl19rocblas_complex_numIdELi16ELb1ELb1ELc67ELc85EKPKS1_KPS1_EviT_T0_PT6_S7_lSA_S7_lS8_PT7_S7_li
	.p2align	8
	.type	_ZL41rocblas_syrkx_herkx_small_restrict_kernelIl19rocblas_complex_numIdELi16ELb1ELb1ELc67ELc85EKPKS1_KPS1_EviT_T0_PT6_S7_lSA_S7_lS8_PT7_S7_li,@function
_ZL41rocblas_syrkx_herkx_small_restrict_kernelIl19rocblas_complex_numIdELi16ELb1ELb1ELc67ELc85EKPKS1_KPS1_EviT_T0_PT6_S7_lSA_S7_lS8_PT7_S7_li: ; @_ZL41rocblas_syrkx_herkx_small_restrict_kernelIl19rocblas_complex_numIdELi16ELb1ELb1ELc67ELc85EKPKS1_KPS1_EviT_T0_PT6_S7_lSA_S7_lS8_PT7_S7_li
; %bb.0:
	s_clause 0x1
	s_load_b128 s[16:19], s[0:1], 0x60
	s_load_b256 s[4:11], s[0:1], 0x8
	s_mov_b32 s2, s15
	s_mov_b32 s3, 0
	v_dual_mov_b32 v6, 0 :: v_dual_and_b32 v3, 0x3ff, v0
	s_lshl_b64 s[20:21], s[2:3], 3
	v_bfe_u32 v2, v0, 10, 10
	v_mov_b32_e32 v7, 0
	s_delay_alu instid0(VALU_DEP_3) | instskip(NEXT) | instid1(VALU_DEP_3)
	v_lshl_add_u32 v0, s13, 4, v3
	v_lshl_add_u32 v10, s14, 4, v2
	s_delay_alu instid0(VALU_DEP_3) | instskip(NEXT) | instid1(VALU_DEP_3)
	v_dual_mov_b32 v9, v7 :: v_dual_mov_b32 v8, v6
	v_ashrrev_i32_e32 v1, 31, v0
	s_delay_alu instid0(VALU_DEP_3)
	v_ashrrev_i32_e32 v11, 31, v10
	s_waitcnt lgkmcnt(0)
	s_add_u32 s2, s16, s20
	s_addc_u32 s3, s17, s21
	s_load_b64 s[16:17], s[0:1], 0x28
	s_load_b64 s[2:3], s[2:3], 0x0
	v_cmp_lt_i64_e64 s12, s[4:5], 1
	s_delay_alu instid0(VALU_DEP_1)
	s_and_b32 vcc_lo, exec_lo, s12
	s_cbranch_vccnz .LBB1813_3
; %bb.1:
	s_load_b128 s[12:15], s[0:1], 0x38
	s_waitcnt lgkmcnt(0)
	v_mul_lo_u32 v6, s17, v0
	v_mul_lo_u32 v7, s16, v1
	v_mad_u64_u32 v[4:5], null, s16, v0, 0
	v_lshlrev_b32_e32 v14, 8, v2
	v_lshlrev_b32_e32 v18, 4, v2
	s_delay_alu instid0(VALU_DEP_3) | instskip(SKIP_3) | instid1(VALU_DEP_4)
	v_add3_u32 v5, v5, v7, v6
	v_mov_b32_e32 v6, 0
	v_dual_mov_b32 v7, 0 :: v_dual_lshlrev_b32 v12, 4, v3
	v_add_nc_u32_e32 v13, 0x1000, v14
	v_lshlrev_b64 v[2:3], 4, v[4:5]
	s_add_u32 s0, s12, s20
	s_addc_u32 s1, s13, s21
	s_add_u32 s10, s10, s20
	s_load_b64 s[0:1], s[0:1], 0x0
	s_addc_u32 s11, s11, s21
	v_mul_lo_u32 v16, v10, s15
	s_load_b64 s[10:11], s[10:11], 0x0
	v_mul_lo_u32 v17, v11, s14
	v_mad_u64_u32 v[8:9], null, v10, s14, 0
	v_add_co_u32 v4, vcc_lo, v2, v18
	v_add_co_ci_u32_e32 v5, vcc_lo, 0, v3, vcc_lo
	s_delay_alu instid0(VALU_DEP_3) | instskip(NEXT) | instid1(VALU_DEP_1)
	v_add3_u32 v9, v9, v16, v17
	v_lshlrev_b64 v[2:3], 4, v[8:9]
	s_waitcnt lgkmcnt(0)
	v_add_co_u32 v8, s0, s0, v12
	s_delay_alu instid0(VALU_DEP_1) | instskip(SKIP_2) | instid1(VALU_DEP_4)
	v_add_co_ci_u32_e64 v9, null, s1, 0, s0
	v_add_co_u32 v4, vcc_lo, v4, s10
	v_add_co_ci_u32_e32 v5, vcc_lo, s11, v5, vcc_lo
	v_add_co_u32 v2, vcc_lo, v8, v2
	s_delay_alu instid0(VALU_DEP_4) | instskip(NEXT) | instid1(VALU_DEP_4)
	v_add_co_ci_u32_e32 v3, vcc_lo, v9, v3, vcc_lo
	v_add_co_u32 v4, vcc_lo, v4, 8
	v_dual_mov_b32 v9, v7 :: v_dual_mov_b32 v8, v6
	v_add_nc_u32_e32 v14, v12, v14
	v_add_nc_u32_e32 v15, v13, v12
	v_add_co_ci_u32_e32 v5, vcc_lo, 0, v5, vcc_lo
	s_mov_b64 s[0:1], 0
.LBB1813_2:                             ; =>This Inner Loop Header: Depth=1
	global_load_b128 v[16:19], v[4:5], off offset:-8
	global_load_b128 v[20:23], v[2:3], off
	s_add_u32 s0, s0, 16
	v_add_co_u32 v2, vcc_lo, 0x100, v2
	s_addc_u32 s1, s1, 0
	v_add_co_ci_u32_e32 v3, vcc_lo, 0, v3, vcc_lo
	v_cmp_lt_i64_e64 s10, s[0:1], s[4:5]
	v_add_co_u32 v4, vcc_lo, 0x100, v4
	v_add_co_ci_u32_e32 v5, vcc_lo, 0, v5, vcc_lo
	s_delay_alu instid0(VALU_DEP_3)
	s_and_b32 vcc_lo, exec_lo, s10
	s_waitcnt vmcnt(1)
	v_xor_b32_e32 v19, 0x80000000, v19
	ds_store_b128 v14, v[16:19]
	s_waitcnt vmcnt(0)
	ds_store_2addr_b64 v15, v[20:21], v[22:23] offset1:1
	s_waitcnt lgkmcnt(0)
	s_barrier
	buffer_gl0_inv
	ds_load_b128 v[16:19], v12
	ds_load_b128 v[20:23], v13
	ds_load_b128 v[24:27], v13 offset:16
	ds_load_b128 v[28:31], v12 offset:256
	s_waitcnt lgkmcnt(2)
	v_mul_f64 v[32:33], v[22:23], v[18:19]
	v_mul_f64 v[18:19], v[20:21], v[18:19]
	s_waitcnt lgkmcnt(0)
	v_mul_f64 v[38:39], v[26:27], v[30:31]
	v_mul_f64 v[40:41], v[24:25], v[30:31]
	s_delay_alu instid0(VALU_DEP_4) | instskip(NEXT) | instid1(VALU_DEP_4)
	v_fma_f64 v[42:43], v[20:21], v[16:17], -v[32:33]
	v_fma_f64 v[44:45], v[22:23], v[16:17], v[18:19]
	ds_load_b128 v[16:19], v12 offset:512
	ds_load_b128 v[20:23], v13 offset:32
	;; [unrolled: 1-line block ×4, first 2 shown]
	v_fma_f64 v[24:25], v[24:25], v[28:29], -v[38:39]
	v_fma_f64 v[26:27], v[26:27], v[28:29], v[40:41]
	s_waitcnt lgkmcnt(2)
	v_mul_f64 v[46:47], v[22:23], v[18:19]
	v_mul_f64 v[18:19], v[20:21], v[18:19]
	s_waitcnt lgkmcnt(0)
	v_mul_f64 v[28:29], v[32:33], v[36:37]
	v_mul_f64 v[36:37], v[30:31], v[36:37]
	v_add_f64 v[8:9], v[8:9], v[42:43]
	v_add_f64 v[6:7], v[6:7], v[44:45]
	v_fma_f64 v[38:39], v[20:21], v[16:17], -v[46:47]
	v_fma_f64 v[40:41], v[22:23], v[16:17], v[18:19]
	v_fma_f64 v[28:29], v[30:31], v[34:35], -v[28:29]
	v_fma_f64 v[30:31], v[32:33], v[34:35], v[36:37]
	v_add_f64 v[42:43], v[8:9], v[24:25]
	v_add_f64 v[44:45], v[6:7], v[26:27]
	ds_load_b128 v[6:9], v12 offset:1024
	ds_load_b128 v[16:19], v13 offset:64
	;; [unrolled: 1-line block ×4, first 2 shown]
	s_waitcnt lgkmcnt(2)
	v_mul_f64 v[46:47], v[18:19], v[8:9]
	v_mul_f64 v[8:9], v[16:17], v[8:9]
	s_waitcnt lgkmcnt(0)
	v_mul_f64 v[36:37], v[22:23], v[26:27]
	v_add_f64 v[32:33], v[42:43], v[38:39]
	v_add_f64 v[34:35], v[44:45], v[40:41]
	v_mul_f64 v[38:39], v[20:21], v[26:27]
	v_fma_f64 v[40:41], v[16:17], v[6:7], -v[46:47]
	v_fma_f64 v[42:43], v[18:19], v[6:7], v[8:9]
	v_fma_f64 v[20:21], v[20:21], v[24:25], -v[36:37]
	v_add_f64 v[44:45], v[32:33], v[28:29]
	v_add_f64 v[34:35], v[34:35], v[30:31]
	ds_load_b128 v[6:9], v12 offset:1536
	ds_load_b128 v[16:19], v13 offset:96
	;; [unrolled: 1-line block ×4, first 2 shown]
	v_fma_f64 v[22:23], v[22:23], v[24:25], v[38:39]
	s_waitcnt lgkmcnt(2)
	v_mul_f64 v[46:47], v[18:19], v[8:9]
	v_mul_f64 v[8:9], v[16:17], v[8:9]
	s_waitcnt lgkmcnt(0)
	v_mul_f64 v[36:37], v[28:29], v[32:33]
	v_mul_f64 v[38:39], v[26:27], v[32:33]
	v_add_f64 v[24:25], v[44:45], v[40:41]
	v_add_f64 v[34:35], v[34:35], v[42:43]
	v_fma_f64 v[40:41], v[16:17], v[6:7], -v[46:47]
	v_fma_f64 v[42:43], v[18:19], v[6:7], v[8:9]
	v_fma_f64 v[26:27], v[26:27], v[30:31], -v[36:37]
	v_fma_f64 v[28:29], v[28:29], v[30:31], v[38:39]
	v_add_f64 v[24:25], v[24:25], v[20:21]
	v_add_f64 v[44:45], v[34:35], v[22:23]
	ds_load_b128 v[6:9], v12 offset:2048
	ds_load_b128 v[16:19], v13 offset:128
	;; [unrolled: 1-line block ×4, first 2 shown]
	s_waitcnt lgkmcnt(2)
	v_mul_f64 v[46:47], v[18:19], v[8:9]
	v_mul_f64 v[8:9], v[16:17], v[8:9]
	s_waitcnt lgkmcnt(0)
	v_mul_f64 v[36:37], v[22:23], v[34:35]
	v_mul_f64 v[34:35], v[20:21], v[34:35]
	v_add_f64 v[24:25], v[24:25], v[40:41]
	v_add_f64 v[30:31], v[44:45], v[42:43]
	v_fma_f64 v[38:39], v[16:17], v[6:7], -v[46:47]
	v_fma_f64 v[40:41], v[18:19], v[6:7], v[8:9]
	v_fma_f64 v[20:21], v[20:21], v[32:33], -v[36:37]
	v_fma_f64 v[22:23], v[22:23], v[32:33], v[34:35]
	v_add_f64 v[42:43], v[24:25], v[26:27]
	v_add_f64 v[44:45], v[30:31], v[28:29]
	ds_load_b128 v[6:9], v12 offset:2560
	ds_load_b128 v[16:19], v13 offset:160
	;; [unrolled: 1-line block ×4, first 2 shown]
	s_waitcnt lgkmcnt(2)
	v_mul_f64 v[46:47], v[18:19], v[8:9]
	v_mul_f64 v[8:9], v[16:17], v[8:9]
	s_waitcnt lgkmcnt(0)
	v_mul_f64 v[36:37], v[26:27], v[30:31]
	v_add_f64 v[32:33], v[42:43], v[38:39]
	v_add_f64 v[34:35], v[44:45], v[40:41]
	v_mul_f64 v[38:39], v[24:25], v[30:31]
	v_fma_f64 v[40:41], v[16:17], v[6:7], -v[46:47]
	v_fma_f64 v[42:43], v[18:19], v[6:7], v[8:9]
	v_fma_f64 v[24:25], v[24:25], v[28:29], -v[36:37]
	v_add_f64 v[44:45], v[32:33], v[20:21]
	v_add_f64 v[34:35], v[34:35], v[22:23]
	ds_load_b128 v[6:9], v12 offset:3072
	ds_load_b128 v[16:19], v13 offset:192
	;; [unrolled: 1-line block ×4, first 2 shown]
	v_fma_f64 v[26:27], v[26:27], v[28:29], v[38:39]
	s_waitcnt lgkmcnt(2)
	v_mul_f64 v[46:47], v[18:19], v[8:9]
	v_mul_f64 v[8:9], v[16:17], v[8:9]
	s_waitcnt lgkmcnt(0)
	v_mul_f64 v[36:37], v[22:23], v[32:33]
	v_mul_f64 v[38:39], v[20:21], v[32:33]
	v_add_f64 v[28:29], v[44:45], v[40:41]
	v_add_f64 v[34:35], v[34:35], v[42:43]
	v_fma_f64 v[40:41], v[16:17], v[6:7], -v[46:47]
	v_fma_f64 v[42:43], v[18:19], v[6:7], v[8:9]
	v_fma_f64 v[20:21], v[20:21], v[30:31], -v[36:37]
	v_fma_f64 v[22:23], v[22:23], v[30:31], v[38:39]
	v_add_f64 v[28:29], v[28:29], v[24:25]
	v_add_f64 v[44:45], v[34:35], v[26:27]
	ds_load_b128 v[6:9], v12 offset:3584
	ds_load_b128 v[16:19], v13 offset:224
	;; [unrolled: 1-line block ×4, first 2 shown]
	s_waitcnt lgkmcnt(0)
	s_barrier
	buffer_gl0_inv
	v_mul_f64 v[46:47], v[18:19], v[8:9]
	v_mul_f64 v[8:9], v[16:17], v[8:9]
	;; [unrolled: 1-line block ×4, first 2 shown]
	v_add_f64 v[28:29], v[28:29], v[40:41]
	v_add_f64 v[30:31], v[44:45], v[42:43]
	v_fma_f64 v[16:17], v[16:17], v[6:7], -v[46:47]
	v_fma_f64 v[6:7], v[18:19], v[6:7], v[8:9]
	s_delay_alu instid0(VALU_DEP_4) | instskip(NEXT) | instid1(VALU_DEP_4)
	v_add_f64 v[8:9], v[28:29], v[20:21]
	v_add_f64 v[18:19], v[30:31], v[22:23]
	v_fma_f64 v[20:21], v[24:25], v[32:33], -v[36:37]
	v_fma_f64 v[22:23], v[26:27], v[32:33], v[34:35]
	s_delay_alu instid0(VALU_DEP_4) | instskip(NEXT) | instid1(VALU_DEP_4)
	v_add_f64 v[8:9], v[8:9], v[16:17]
	v_add_f64 v[6:7], v[18:19], v[6:7]
	s_delay_alu instid0(VALU_DEP_2) | instskip(NEXT) | instid1(VALU_DEP_2)
	v_add_f64 v[8:9], v[8:9], v[20:21]
	v_add_f64 v[6:7], v[6:7], v[22:23]
	s_cbranch_vccnz .LBB1813_2
.LBB1813_3:
	s_mov_b32 s0, exec_lo
	v_cmpx_le_i32_e64 v0, v10
	s_cbranch_execz .LBB1813_5
; %bb.4:
	s_delay_alu instid0(VALU_DEP_2) | instskip(SKIP_1) | instid1(VALU_DEP_2)
	v_mul_f64 v[2:3], s[6:7], v[6:7]
	v_mul_f64 v[4:5], s[8:9], v[6:7]
	v_fma_f64 v[6:7], s[8:9], v[8:9], v[2:3]
	s_delay_alu instid0(VALU_DEP_2) | instskip(SKIP_3) | instid1(VALU_DEP_1)
	v_fma_f64 v[2:3], s[6:7], v[8:9], -v[4:5]
	v_mul_lo_u32 v8, v10, s19
	v_mul_lo_u32 v9, v11, s18
	v_mad_u64_u32 v[4:5], null, v10, s18, 0
	v_add3_u32 v5, v5, v8, v9
	v_lshlrev_b64 v[8:9], 4, v[0:1]
	s_delay_alu instid0(VALU_DEP_2) | instskip(SKIP_1) | instid1(VALU_DEP_1)
	v_lshlrev_b64 v[4:5], 4, v[4:5]
	s_waitcnt lgkmcnt(0)
	v_add_co_u32 v1, vcc_lo, s2, v4
	s_delay_alu instid0(VALU_DEP_2) | instskip(SKIP_1) | instid1(VALU_DEP_3)
	v_add_co_ci_u32_e32 v4, vcc_lo, s3, v5, vcc_lo
	v_cmp_ne_u32_e32 vcc_lo, v0, v10
	v_add_co_u32 v0, s0, v1, v8
	s_delay_alu instid0(VALU_DEP_1)
	v_add_co_ci_u32_e64 v1, s0, v4, v9, s0
	v_dual_cndmask_b32 v5, 0, v7 :: v_dual_cndmask_b32 v4, 0, v6
	global_store_b128 v[0:1], v[2:5], off
.LBB1813_5:
	s_nop 0
	s_sendmsg sendmsg(MSG_DEALLOC_VGPRS)
	s_endpgm
	.section	.rodata,"a",@progbits
	.p2align	6, 0x0
	.amdhsa_kernel _ZL41rocblas_syrkx_herkx_small_restrict_kernelIl19rocblas_complex_numIdELi16ELb1ELb1ELc67ELc85EKPKS1_KPS1_EviT_T0_PT6_S7_lSA_S7_lS8_PT7_S7_li
		.amdhsa_group_segment_fixed_size 8192
		.amdhsa_private_segment_fixed_size 0
		.amdhsa_kernarg_size 124
		.amdhsa_user_sgpr_count 13
		.amdhsa_user_sgpr_dispatch_ptr 0
		.amdhsa_user_sgpr_queue_ptr 0
		.amdhsa_user_sgpr_kernarg_segment_ptr 1
		.amdhsa_user_sgpr_dispatch_id 0
		.amdhsa_user_sgpr_private_segment_size 0
		.amdhsa_wavefront_size32 1
		.amdhsa_uses_dynamic_stack 0
		.amdhsa_enable_private_segment 0
		.amdhsa_system_sgpr_workgroup_id_x 1
		.amdhsa_system_sgpr_workgroup_id_y 1
		.amdhsa_system_sgpr_workgroup_id_z 1
		.amdhsa_system_sgpr_workgroup_info 0
		.amdhsa_system_vgpr_workitem_id 1
		.amdhsa_next_free_vgpr 48
		.amdhsa_next_free_sgpr 22
		.amdhsa_reserve_vcc 1
		.amdhsa_float_round_mode_32 0
		.amdhsa_float_round_mode_16_64 0
		.amdhsa_float_denorm_mode_32 3
		.amdhsa_float_denorm_mode_16_64 3
		.amdhsa_dx10_clamp 1
		.amdhsa_ieee_mode 1
		.amdhsa_fp16_overflow 0
		.amdhsa_workgroup_processor_mode 1
		.amdhsa_memory_ordered 1
		.amdhsa_forward_progress 0
		.amdhsa_shared_vgpr_count 0
		.amdhsa_exception_fp_ieee_invalid_op 0
		.amdhsa_exception_fp_denorm_src 0
		.amdhsa_exception_fp_ieee_div_zero 0
		.amdhsa_exception_fp_ieee_overflow 0
		.amdhsa_exception_fp_ieee_underflow 0
		.amdhsa_exception_fp_ieee_inexact 0
		.amdhsa_exception_int_div_zero 0
	.end_amdhsa_kernel
	.section	.text._ZL41rocblas_syrkx_herkx_small_restrict_kernelIl19rocblas_complex_numIdELi16ELb1ELb1ELc67ELc85EKPKS1_KPS1_EviT_T0_PT6_S7_lSA_S7_lS8_PT7_S7_li,"axG",@progbits,_ZL41rocblas_syrkx_herkx_small_restrict_kernelIl19rocblas_complex_numIdELi16ELb1ELb1ELc67ELc85EKPKS1_KPS1_EviT_T0_PT6_S7_lSA_S7_lS8_PT7_S7_li,comdat
.Lfunc_end1813:
	.size	_ZL41rocblas_syrkx_herkx_small_restrict_kernelIl19rocblas_complex_numIdELi16ELb1ELb1ELc67ELc85EKPKS1_KPS1_EviT_T0_PT6_S7_lSA_S7_lS8_PT7_S7_li, .Lfunc_end1813-_ZL41rocblas_syrkx_herkx_small_restrict_kernelIl19rocblas_complex_numIdELi16ELb1ELb1ELc67ELc85EKPKS1_KPS1_EviT_T0_PT6_S7_lSA_S7_lS8_PT7_S7_li
                                        ; -- End function
	.section	.AMDGPU.csdata,"",@progbits
; Kernel info:
; codeLenInByte = 1820
; NumSgprs: 24
; NumVgprs: 48
; ScratchSize: 0
; MemoryBound: 0
; FloatMode: 240
; IeeeMode: 1
; LDSByteSize: 8192 bytes/workgroup (compile time only)
; SGPRBlocks: 2
; VGPRBlocks: 5
; NumSGPRsForWavesPerEU: 24
; NumVGPRsForWavesPerEU: 48
; Occupancy: 16
; WaveLimiterHint : 1
; COMPUTE_PGM_RSRC2:SCRATCH_EN: 0
; COMPUTE_PGM_RSRC2:USER_SGPR: 13
; COMPUTE_PGM_RSRC2:TRAP_HANDLER: 0
; COMPUTE_PGM_RSRC2:TGID_X_EN: 1
; COMPUTE_PGM_RSRC2:TGID_Y_EN: 1
; COMPUTE_PGM_RSRC2:TGID_Z_EN: 1
; COMPUTE_PGM_RSRC2:TIDIG_COMP_CNT: 1
	.section	.text._ZL41rocblas_syrkx_herkx_small_restrict_kernelIl19rocblas_complex_numIdELi16ELb1ELb1ELc78ELc85EKPKS1_KPS1_EviT_T0_PT6_S7_lSA_S7_lS8_PT7_S7_li,"axG",@progbits,_ZL41rocblas_syrkx_herkx_small_restrict_kernelIl19rocblas_complex_numIdELi16ELb1ELb1ELc78ELc85EKPKS1_KPS1_EviT_T0_PT6_S7_lSA_S7_lS8_PT7_S7_li,comdat
	.globl	_ZL41rocblas_syrkx_herkx_small_restrict_kernelIl19rocblas_complex_numIdELi16ELb1ELb1ELc78ELc85EKPKS1_KPS1_EviT_T0_PT6_S7_lSA_S7_lS8_PT7_S7_li ; -- Begin function _ZL41rocblas_syrkx_herkx_small_restrict_kernelIl19rocblas_complex_numIdELi16ELb1ELb1ELc78ELc85EKPKS1_KPS1_EviT_T0_PT6_S7_lSA_S7_lS8_PT7_S7_li
	.p2align	8
	.type	_ZL41rocblas_syrkx_herkx_small_restrict_kernelIl19rocblas_complex_numIdELi16ELb1ELb1ELc78ELc85EKPKS1_KPS1_EviT_T0_PT6_S7_lSA_S7_lS8_PT7_S7_li,@function
_ZL41rocblas_syrkx_herkx_small_restrict_kernelIl19rocblas_complex_numIdELi16ELb1ELb1ELc78ELc85EKPKS1_KPS1_EviT_T0_PT6_S7_lSA_S7_lS8_PT7_S7_li: ; @_ZL41rocblas_syrkx_herkx_small_restrict_kernelIl19rocblas_complex_numIdELi16ELb1ELb1ELc78ELc85EKPKS1_KPS1_EviT_T0_PT6_S7_lSA_S7_lS8_PT7_S7_li
; %bb.0:
	s_clause 0x1
	s_load_b128 s[16:19], s[0:1], 0x60
	s_load_b256 s[4:11], s[0:1], 0x8
	s_mov_b32 s2, s15
	s_mov_b32 s3, 0
	v_dual_mov_b32 v8, 0 :: v_dual_and_b32 v5, 0x3ff, v0
	s_lshl_b64 s[22:23], s[2:3], 3
	v_bfe_u32 v4, v0, 10, 10
	v_mov_b32_e32 v9, 0
	s_delay_alu instid0(VALU_DEP_3) | instskip(NEXT) | instid1(VALU_DEP_3)
	v_lshl_add_u32 v0, s13, 4, v5
	v_lshl_add_u32 v2, s14, 4, v4
	s_delay_alu instid0(VALU_DEP_3) | instskip(NEXT) | instid1(VALU_DEP_3)
	v_dual_mov_b32 v11, v9 :: v_dual_mov_b32 v10, v8
	v_ashrrev_i32_e32 v1, 31, v0
	s_delay_alu instid0(VALU_DEP_3)
	v_ashrrev_i32_e32 v3, 31, v2
	s_waitcnt lgkmcnt(0)
	s_add_u32 s2, s16, s22
	s_addc_u32 s3, s17, s23
	s_load_b64 s[20:21], s[0:1], 0x28
	s_load_b64 s[16:17], s[2:3], 0x0
	v_cmp_lt_i64_e64 s2, s[4:5], 1
	s_delay_alu instid0(VALU_DEP_1)
	s_and_b32 vcc_lo, exec_lo, s2
	s_cbranch_vccnz .LBB1814_3
; %bb.1:
	s_load_b128 s[0:3], s[0:1], 0x38
	s_waitcnt lgkmcnt(0)
	v_mad_u64_u32 v[10:11], null, s20, v4, 0
	v_lshlrev_b64 v[16:17], 4, v[2:3]
	v_lshlrev_b64 v[18:19], 4, v[0:1]
	s_delay_alu instid0(VALU_DEP_3)
	v_mov_b32_e32 v8, v11
	v_mad_u64_u32 v[6:7], null, s2, v5, 0
	s_add_u32 s0, s0, s22
	s_addc_u32 s1, s1, s23
	s_add_u32 s10, s10, s22
	s_load_b64 s[0:1], s[0:1], 0x0
	s_addc_u32 s11, s11, s23
	s_load_b64 s[10:11], s[10:11], 0x0
	s_delay_alu instid0(VALU_DEP_1) | instskip(NEXT) | instid1(VALU_DEP_1)
	v_mad_u64_u32 v[13:14], null, s3, v5, v[7:8]
	v_dual_mov_b32 v7, v13 :: v_dual_lshlrev_b32 v20, 8, v4
	s_delay_alu instid0(VALU_DEP_1) | instskip(SKIP_2) | instid1(VALU_DEP_4)
	v_add_nc_u32_e32 v13, 0x1000, v20
	v_mad_u64_u32 v[14:15], null, s21, v4, v[8:9]
	v_lshlrev_b32_e32 v12, 4, v5
	v_lshlrev_b64 v[4:5], 4, v[6:7]
	s_delay_alu instid0(VALU_DEP_3) | instskip(NEXT) | instid1(VALU_DEP_2)
	v_mov_b32_e32 v11, v14
	v_add_co_u32 v4, vcc_lo, v4, v16
	s_delay_alu instid0(VALU_DEP_3) | instskip(NEXT) | instid1(VALU_DEP_3)
	v_add_co_ci_u32_e32 v5, vcc_lo, v5, v17, vcc_lo
	v_lshlrev_b64 v[6:7], 4, v[10:11]
	v_dual_mov_b32 v8, 0 :: v_dual_add_nc_u32 v15, v13, v12
	v_dual_mov_b32 v9, 0 :: v_dual_add_nc_u32 v14, v12, v20
	s_delay_alu instid0(VALU_DEP_3) | instskip(NEXT) | instid1(VALU_DEP_4)
	v_add_co_u32 v6, vcc_lo, v6, v18
	v_add_co_ci_u32_e32 v7, vcc_lo, v7, v19, vcc_lo
	s_waitcnt lgkmcnt(0)
	v_add_co_u32 v10, vcc_lo, v4, s0
	v_add_co_ci_u32_e32 v11, vcc_lo, s1, v5, vcc_lo
	v_add_co_u32 v4, vcc_lo, s10, v6
	v_add_co_ci_u32_e32 v5, vcc_lo, s11, v7, vcc_lo
	s_delay_alu instid0(VALU_DEP_4) | instskip(NEXT) | instid1(VALU_DEP_4)
	v_add_co_u32 v6, vcc_lo, v10, 8
	v_add_co_ci_u32_e32 v7, vcc_lo, 0, v11, vcc_lo
	v_dual_mov_b32 v11, v9 :: v_dual_mov_b32 v10, v8
	s_lshl_b64 s[0:1], s[2:3], 8
	s_lshl_b64 s[2:3], s[20:21], 8
	s_mov_b64 s[10:11], 0
.LBB1814_2:                             ; =>This Inner Loop Header: Depth=1
	global_load_b128 v[16:19], v[6:7], off offset:-8
	global_load_b128 v[20:23], v[4:5], off
	s_add_u32 s10, s10, 16
	v_add_co_u32 v6, vcc_lo, v6, s0
	s_addc_u32 s11, s11, 0
	v_add_co_ci_u32_e32 v7, vcc_lo, s1, v7, vcc_lo
	v_cmp_lt_i64_e64 s12, s[10:11], s[4:5]
	v_add_co_u32 v4, vcc_lo, v4, s2
	v_add_co_ci_u32_e32 v5, vcc_lo, s3, v5, vcc_lo
	s_delay_alu instid0(VALU_DEP_3)
	s_and_b32 vcc_lo, exec_lo, s12
	s_waitcnt vmcnt(1)
	v_xor_b32_e32 v19, 0x80000000, v19
	s_waitcnt vmcnt(0)
	ds_store_2addr_b64 v14, v[20:21], v[22:23] offset1:1
	ds_store_b128 v15, v[16:19]
	s_waitcnt lgkmcnt(0)
	s_barrier
	buffer_gl0_inv
	ds_load_b128 v[16:19], v12
	ds_load_b128 v[20:23], v13
	ds_load_b128 v[24:27], v13 offset:16
	ds_load_b128 v[28:31], v12 offset:256
	s_waitcnt lgkmcnt(2)
	v_mul_f64 v[32:33], v[22:23], v[18:19]
	v_mul_f64 v[18:19], v[20:21], v[18:19]
	s_waitcnt lgkmcnt(0)
	v_mul_f64 v[38:39], v[26:27], v[30:31]
	v_mul_f64 v[40:41], v[24:25], v[30:31]
	s_delay_alu instid0(VALU_DEP_4) | instskip(NEXT) | instid1(VALU_DEP_4)
	v_fma_f64 v[42:43], v[20:21], v[16:17], -v[32:33]
	v_fma_f64 v[44:45], v[22:23], v[16:17], v[18:19]
	ds_load_b128 v[16:19], v12 offset:512
	ds_load_b128 v[20:23], v13 offset:32
	ds_load_b128 v[30:33], v13 offset:48
	ds_load_b128 v[34:37], v12 offset:768
	v_fma_f64 v[24:25], v[24:25], v[28:29], -v[38:39]
	v_fma_f64 v[26:27], v[26:27], v[28:29], v[40:41]
	s_waitcnt lgkmcnt(2)
	v_mul_f64 v[46:47], v[22:23], v[18:19]
	v_mul_f64 v[18:19], v[20:21], v[18:19]
	s_waitcnt lgkmcnt(0)
	v_mul_f64 v[28:29], v[32:33], v[36:37]
	v_mul_f64 v[36:37], v[30:31], v[36:37]
	v_add_f64 v[10:11], v[10:11], v[42:43]
	v_add_f64 v[8:9], v[8:9], v[44:45]
	v_fma_f64 v[38:39], v[20:21], v[16:17], -v[46:47]
	v_fma_f64 v[40:41], v[22:23], v[16:17], v[18:19]
	v_fma_f64 v[28:29], v[30:31], v[34:35], -v[28:29]
	v_fma_f64 v[30:31], v[32:33], v[34:35], v[36:37]
	v_add_f64 v[42:43], v[10:11], v[24:25]
	v_add_f64 v[44:45], v[8:9], v[26:27]
	ds_load_b128 v[8:11], v12 offset:1024
	ds_load_b128 v[16:19], v13 offset:64
	;; [unrolled: 1-line block ×4, first 2 shown]
	s_waitcnt lgkmcnt(2)
	v_mul_f64 v[46:47], v[18:19], v[10:11]
	v_mul_f64 v[10:11], v[16:17], v[10:11]
	s_waitcnt lgkmcnt(0)
	v_mul_f64 v[36:37], v[22:23], v[26:27]
	v_add_f64 v[32:33], v[42:43], v[38:39]
	v_add_f64 v[34:35], v[44:45], v[40:41]
	v_mul_f64 v[38:39], v[20:21], v[26:27]
	v_fma_f64 v[40:41], v[16:17], v[8:9], -v[46:47]
	v_fma_f64 v[42:43], v[18:19], v[8:9], v[10:11]
	v_fma_f64 v[20:21], v[20:21], v[24:25], -v[36:37]
	v_add_f64 v[44:45], v[32:33], v[28:29]
	v_add_f64 v[34:35], v[34:35], v[30:31]
	ds_load_b128 v[8:11], v12 offset:1536
	ds_load_b128 v[16:19], v13 offset:96
	;; [unrolled: 1-line block ×4, first 2 shown]
	v_fma_f64 v[22:23], v[22:23], v[24:25], v[38:39]
	s_waitcnt lgkmcnt(2)
	v_mul_f64 v[46:47], v[18:19], v[10:11]
	v_mul_f64 v[10:11], v[16:17], v[10:11]
	s_waitcnt lgkmcnt(0)
	v_mul_f64 v[36:37], v[28:29], v[32:33]
	v_mul_f64 v[38:39], v[26:27], v[32:33]
	v_add_f64 v[24:25], v[44:45], v[40:41]
	v_add_f64 v[34:35], v[34:35], v[42:43]
	v_fma_f64 v[40:41], v[16:17], v[8:9], -v[46:47]
	v_fma_f64 v[42:43], v[18:19], v[8:9], v[10:11]
	v_fma_f64 v[26:27], v[26:27], v[30:31], -v[36:37]
	v_fma_f64 v[28:29], v[28:29], v[30:31], v[38:39]
	v_add_f64 v[24:25], v[24:25], v[20:21]
	v_add_f64 v[44:45], v[34:35], v[22:23]
	ds_load_b128 v[8:11], v12 offset:2048
	ds_load_b128 v[16:19], v13 offset:128
	;; [unrolled: 1-line block ×4, first 2 shown]
	s_waitcnt lgkmcnt(2)
	v_mul_f64 v[46:47], v[18:19], v[10:11]
	v_mul_f64 v[10:11], v[16:17], v[10:11]
	s_waitcnt lgkmcnt(0)
	v_mul_f64 v[36:37], v[22:23], v[34:35]
	v_mul_f64 v[34:35], v[20:21], v[34:35]
	v_add_f64 v[24:25], v[24:25], v[40:41]
	v_add_f64 v[30:31], v[44:45], v[42:43]
	v_fma_f64 v[38:39], v[16:17], v[8:9], -v[46:47]
	v_fma_f64 v[40:41], v[18:19], v[8:9], v[10:11]
	v_fma_f64 v[20:21], v[20:21], v[32:33], -v[36:37]
	v_fma_f64 v[22:23], v[22:23], v[32:33], v[34:35]
	v_add_f64 v[42:43], v[24:25], v[26:27]
	v_add_f64 v[44:45], v[30:31], v[28:29]
	ds_load_b128 v[8:11], v12 offset:2560
	ds_load_b128 v[16:19], v13 offset:160
	;; [unrolled: 1-line block ×4, first 2 shown]
	s_waitcnt lgkmcnt(2)
	v_mul_f64 v[46:47], v[18:19], v[10:11]
	v_mul_f64 v[10:11], v[16:17], v[10:11]
	s_waitcnt lgkmcnt(0)
	v_mul_f64 v[36:37], v[26:27], v[30:31]
	v_add_f64 v[32:33], v[42:43], v[38:39]
	v_add_f64 v[34:35], v[44:45], v[40:41]
	v_mul_f64 v[38:39], v[24:25], v[30:31]
	v_fma_f64 v[40:41], v[16:17], v[8:9], -v[46:47]
	v_fma_f64 v[42:43], v[18:19], v[8:9], v[10:11]
	v_fma_f64 v[24:25], v[24:25], v[28:29], -v[36:37]
	v_add_f64 v[44:45], v[32:33], v[20:21]
	v_add_f64 v[34:35], v[34:35], v[22:23]
	ds_load_b128 v[8:11], v12 offset:3072
	ds_load_b128 v[16:19], v13 offset:192
	;; [unrolled: 1-line block ×4, first 2 shown]
	v_fma_f64 v[26:27], v[26:27], v[28:29], v[38:39]
	s_waitcnt lgkmcnt(2)
	v_mul_f64 v[46:47], v[18:19], v[10:11]
	v_mul_f64 v[10:11], v[16:17], v[10:11]
	s_waitcnt lgkmcnt(0)
	v_mul_f64 v[36:37], v[22:23], v[32:33]
	v_mul_f64 v[38:39], v[20:21], v[32:33]
	v_add_f64 v[28:29], v[44:45], v[40:41]
	v_add_f64 v[34:35], v[34:35], v[42:43]
	v_fma_f64 v[40:41], v[16:17], v[8:9], -v[46:47]
	v_fma_f64 v[42:43], v[18:19], v[8:9], v[10:11]
	v_fma_f64 v[20:21], v[20:21], v[30:31], -v[36:37]
	v_fma_f64 v[22:23], v[22:23], v[30:31], v[38:39]
	v_add_f64 v[28:29], v[28:29], v[24:25]
	v_add_f64 v[44:45], v[34:35], v[26:27]
	ds_load_b128 v[8:11], v12 offset:3584
	ds_load_b128 v[16:19], v13 offset:224
	;; [unrolled: 1-line block ×4, first 2 shown]
	s_waitcnt lgkmcnt(0)
	s_barrier
	buffer_gl0_inv
	v_mul_f64 v[46:47], v[18:19], v[10:11]
	v_mul_f64 v[10:11], v[16:17], v[10:11]
	;; [unrolled: 1-line block ×4, first 2 shown]
	v_add_f64 v[28:29], v[28:29], v[40:41]
	v_add_f64 v[30:31], v[44:45], v[42:43]
	v_fma_f64 v[16:17], v[16:17], v[8:9], -v[46:47]
	v_fma_f64 v[8:9], v[18:19], v[8:9], v[10:11]
	s_delay_alu instid0(VALU_DEP_4) | instskip(NEXT) | instid1(VALU_DEP_4)
	v_add_f64 v[10:11], v[28:29], v[20:21]
	v_add_f64 v[18:19], v[30:31], v[22:23]
	v_fma_f64 v[20:21], v[24:25], v[32:33], -v[36:37]
	v_fma_f64 v[22:23], v[26:27], v[32:33], v[34:35]
	s_delay_alu instid0(VALU_DEP_4) | instskip(NEXT) | instid1(VALU_DEP_4)
	v_add_f64 v[10:11], v[10:11], v[16:17]
	v_add_f64 v[8:9], v[18:19], v[8:9]
	s_delay_alu instid0(VALU_DEP_2) | instskip(NEXT) | instid1(VALU_DEP_2)
	v_add_f64 v[10:11], v[10:11], v[20:21]
	v_add_f64 v[8:9], v[8:9], v[22:23]
	s_cbranch_vccnz .LBB1814_2
.LBB1814_3:
	s_mov_b32 s0, exec_lo
	v_cmpx_le_i32_e64 v0, v2
	s_cbranch_execz .LBB1814_5
; %bb.4:
	s_delay_alu instid0(VALU_DEP_2) | instskip(SKIP_2) | instid1(VALU_DEP_3)
	v_mul_f64 v[4:5], s[6:7], v[8:9]
	v_mul_f64 v[6:7], s[8:9], v[8:9]
	v_mul_lo_u32 v3, v3, s18
	v_fma_f64 v[8:9], s[8:9], v[10:11], v[4:5]
	s_delay_alu instid0(VALU_DEP_3) | instskip(SKIP_2) | instid1(VALU_DEP_1)
	v_fma_f64 v[4:5], s[6:7], v[10:11], -v[6:7]
	v_mul_lo_u32 v10, v2, s19
	v_mad_u64_u32 v[6:7], null, v2, s18, 0
	v_add3_u32 v7, v7, v10, v3
	v_lshlrev_b64 v[10:11], 4, v[0:1]
	s_delay_alu instid0(VALU_DEP_2) | instskip(SKIP_1) | instid1(VALU_DEP_1)
	v_lshlrev_b64 v[6:7], 4, v[6:7]
	s_waitcnt lgkmcnt(0)
	v_add_co_u32 v1, vcc_lo, s16, v6
	s_delay_alu instid0(VALU_DEP_2) | instskip(SKIP_1) | instid1(VALU_DEP_3)
	v_add_co_ci_u32_e32 v3, vcc_lo, s17, v7, vcc_lo
	v_cmp_ne_u32_e32 vcc_lo, v0, v2
	v_add_co_u32 v0, s0, v1, v10
	s_delay_alu instid0(VALU_DEP_1)
	v_add_co_ci_u32_e64 v1, s0, v3, v11, s0
	v_dual_cndmask_b32 v7, 0, v9 :: v_dual_cndmask_b32 v6, 0, v8
	global_store_b128 v[0:1], v[4:7], off
.LBB1814_5:
	s_nop 0
	s_sendmsg sendmsg(MSG_DEALLOC_VGPRS)
	s_endpgm
	.section	.rodata,"a",@progbits
	.p2align	6, 0x0
	.amdhsa_kernel _ZL41rocblas_syrkx_herkx_small_restrict_kernelIl19rocblas_complex_numIdELi16ELb1ELb1ELc78ELc85EKPKS1_KPS1_EviT_T0_PT6_S7_lSA_S7_lS8_PT7_S7_li
		.amdhsa_group_segment_fixed_size 8192
		.amdhsa_private_segment_fixed_size 0
		.amdhsa_kernarg_size 124
		.amdhsa_user_sgpr_count 13
		.amdhsa_user_sgpr_dispatch_ptr 0
		.amdhsa_user_sgpr_queue_ptr 0
		.amdhsa_user_sgpr_kernarg_segment_ptr 1
		.amdhsa_user_sgpr_dispatch_id 0
		.amdhsa_user_sgpr_private_segment_size 0
		.amdhsa_wavefront_size32 1
		.amdhsa_uses_dynamic_stack 0
		.amdhsa_enable_private_segment 0
		.amdhsa_system_sgpr_workgroup_id_x 1
		.amdhsa_system_sgpr_workgroup_id_y 1
		.amdhsa_system_sgpr_workgroup_id_z 1
		.amdhsa_system_sgpr_workgroup_info 0
		.amdhsa_system_vgpr_workitem_id 1
		.amdhsa_next_free_vgpr 48
		.amdhsa_next_free_sgpr 24
		.amdhsa_reserve_vcc 1
		.amdhsa_float_round_mode_32 0
		.amdhsa_float_round_mode_16_64 0
		.amdhsa_float_denorm_mode_32 3
		.amdhsa_float_denorm_mode_16_64 3
		.amdhsa_dx10_clamp 1
		.amdhsa_ieee_mode 1
		.amdhsa_fp16_overflow 0
		.amdhsa_workgroup_processor_mode 1
		.amdhsa_memory_ordered 1
		.amdhsa_forward_progress 0
		.amdhsa_shared_vgpr_count 0
		.amdhsa_exception_fp_ieee_invalid_op 0
		.amdhsa_exception_fp_denorm_src 0
		.amdhsa_exception_fp_ieee_div_zero 0
		.amdhsa_exception_fp_ieee_overflow 0
		.amdhsa_exception_fp_ieee_underflow 0
		.amdhsa_exception_fp_ieee_inexact 0
		.amdhsa_exception_int_div_zero 0
	.end_amdhsa_kernel
	.section	.text._ZL41rocblas_syrkx_herkx_small_restrict_kernelIl19rocblas_complex_numIdELi16ELb1ELb1ELc78ELc85EKPKS1_KPS1_EviT_T0_PT6_S7_lSA_S7_lS8_PT7_S7_li,"axG",@progbits,_ZL41rocblas_syrkx_herkx_small_restrict_kernelIl19rocblas_complex_numIdELi16ELb1ELb1ELc78ELc85EKPKS1_KPS1_EviT_T0_PT6_S7_lSA_S7_lS8_PT7_S7_li,comdat
.Lfunc_end1814:
	.size	_ZL41rocblas_syrkx_herkx_small_restrict_kernelIl19rocblas_complex_numIdELi16ELb1ELb1ELc78ELc85EKPKS1_KPS1_EviT_T0_PT6_S7_lSA_S7_lS8_PT7_S7_li, .Lfunc_end1814-_ZL41rocblas_syrkx_herkx_small_restrict_kernelIl19rocblas_complex_numIdELi16ELb1ELb1ELc78ELc85EKPKS1_KPS1_EviT_T0_PT6_S7_lSA_S7_lS8_PT7_S7_li
                                        ; -- End function
	.section	.AMDGPU.csdata,"",@progbits
; Kernel info:
; codeLenInByte = 1820
; NumSgprs: 26
; NumVgprs: 48
; ScratchSize: 0
; MemoryBound: 0
; FloatMode: 240
; IeeeMode: 1
; LDSByteSize: 8192 bytes/workgroup (compile time only)
; SGPRBlocks: 3
; VGPRBlocks: 5
; NumSGPRsForWavesPerEU: 26
; NumVGPRsForWavesPerEU: 48
; Occupancy: 16
; WaveLimiterHint : 1
; COMPUTE_PGM_RSRC2:SCRATCH_EN: 0
; COMPUTE_PGM_RSRC2:USER_SGPR: 13
; COMPUTE_PGM_RSRC2:TRAP_HANDLER: 0
; COMPUTE_PGM_RSRC2:TGID_X_EN: 1
; COMPUTE_PGM_RSRC2:TGID_Y_EN: 1
; COMPUTE_PGM_RSRC2:TGID_Z_EN: 1
; COMPUTE_PGM_RSRC2:TIDIG_COMP_CNT: 1
	.section	.text._ZL41rocblas_syrkx_herkx_small_restrict_kernelIl19rocblas_complex_numIdELi16ELb0ELb1ELc84ELc76EKPKS1_KPS1_EviT_T0_PT6_S7_lSA_S7_lS8_PT7_S7_li,"axG",@progbits,_ZL41rocblas_syrkx_herkx_small_restrict_kernelIl19rocblas_complex_numIdELi16ELb0ELb1ELc84ELc76EKPKS1_KPS1_EviT_T0_PT6_S7_lSA_S7_lS8_PT7_S7_li,comdat
	.globl	_ZL41rocblas_syrkx_herkx_small_restrict_kernelIl19rocblas_complex_numIdELi16ELb0ELb1ELc84ELc76EKPKS1_KPS1_EviT_T0_PT6_S7_lSA_S7_lS8_PT7_S7_li ; -- Begin function _ZL41rocblas_syrkx_herkx_small_restrict_kernelIl19rocblas_complex_numIdELi16ELb0ELb1ELc84ELc76EKPKS1_KPS1_EviT_T0_PT6_S7_lSA_S7_lS8_PT7_S7_li
	.p2align	8
	.type	_ZL41rocblas_syrkx_herkx_small_restrict_kernelIl19rocblas_complex_numIdELi16ELb0ELb1ELc84ELc76EKPKS1_KPS1_EviT_T0_PT6_S7_lSA_S7_lS8_PT7_S7_li,@function
_ZL41rocblas_syrkx_herkx_small_restrict_kernelIl19rocblas_complex_numIdELi16ELb0ELb1ELc84ELc76EKPKS1_KPS1_EviT_T0_PT6_S7_lSA_S7_lS8_PT7_S7_li: ; @_ZL41rocblas_syrkx_herkx_small_restrict_kernelIl19rocblas_complex_numIdELi16ELb0ELb1ELc84ELc76EKPKS1_KPS1_EviT_T0_PT6_S7_lSA_S7_lS8_PT7_S7_li
; %bb.0:
	s_clause 0x1
	s_load_b256 s[4:11], s[0:1], 0x50
	s_load_b256 s[16:23], s[0:1], 0x8
	s_mov_b32 s2, s15
	s_mov_b32 s3, 0
	v_and_b32_e32 v2, 0x3ff, v0
	s_lshl_b64 s[24:25], s[2:3], 3
	v_bfe_u32 v3, v0, 10, 10
	v_mov_b32_e32 v6, 0
	v_mov_b32_e32 v7, 0
	v_lshl_add_u32 v0, s13, 4, v2
	s_delay_alu instid0(VALU_DEP_4) | instskip(NEXT) | instid1(VALU_DEP_3)
	v_lshl_add_u32 v10, s14, 4, v3
	v_dual_mov_b32 v9, v7 :: v_dual_mov_b32 v8, v6
	s_delay_alu instid0(VALU_DEP_3) | instskip(NEXT) | instid1(VALU_DEP_3)
	v_ashrrev_i32_e32 v1, 31, v0
	v_ashrrev_i32_e32 v11, 31, v10
	s_waitcnt lgkmcnt(0)
	s_add_u32 s2, s8, s24
	s_addc_u32 s3, s9, s25
	s_load_b64 s[8:9], s[0:1], 0x28
	s_load_b64 s[2:3], s[2:3], 0x0
	v_cmp_lt_i64_e64 s12, s[16:17], 1
	s_delay_alu instid0(VALU_DEP_1)
	s_and_b32 vcc_lo, exec_lo, s12
	s_cbranch_vccnz .LBB1815_3
; %bb.1:
	s_load_b128 s[12:15], s[0:1], 0x38
	s_waitcnt lgkmcnt(0)
	v_mul_lo_u32 v7, v1, s8
	v_mad_u64_u32 v[4:5], null, v0, s8, 0
	v_mul_lo_u32 v6, v0, s9
	v_lshlrev_b32_e32 v17, 4, v3
	v_lshlrev_b32_e32 v16, 8, v3
	s_delay_alu instid0(VALU_DEP_3) | instskip(SKIP_2) | instid1(VALU_DEP_4)
	v_add3_u32 v5, v5, v6, v7
	v_mov_b32_e32 v6, 0
	v_dual_mov_b32 v7, 0 :: v_dual_lshlrev_b32 v12, 4, v2
	v_add_nc_u32_e32 v13, 0x1000, v16
	s_delay_alu instid0(VALU_DEP_4)
	v_lshlrev_b64 v[4:5], 4, v[4:5]
	s_add_u32 s0, s12, s24
	s_addc_u32 s1, s13, s25
	s_add_u32 s8, s22, s24
	s_load_b64 s[0:1], s[0:1], 0x0
	s_addc_u32 s9, s23, s25
	v_mul_lo_u32 v14, v10, s15
	v_mul_lo_u32 v15, v11, s14
	v_mad_u64_u32 v[8:9], null, v10, s14, 0
	s_load_b64 s[8:9], s[8:9], 0x0
	s_delay_alu instid0(VALU_DEP_1) | instskip(NEXT) | instid1(VALU_DEP_1)
	v_add3_u32 v9, v9, v14, v15
	v_lshlrev_b64 v[2:3], 4, v[8:9]
	s_waitcnt lgkmcnt(0)
	v_add_co_u32 v8, s0, s0, v12
	s_delay_alu instid0(VALU_DEP_1) | instskip(NEXT) | instid1(VALU_DEP_2)
	v_add_co_ci_u32_e64 v9, null, s1, 0, s0
	v_add_co_u32 v2, vcc_lo, v8, v2
	s_delay_alu instid0(VALU_DEP_2) | instskip(SKIP_3) | instid1(VALU_DEP_1)
	v_add_co_ci_u32_e32 v3, vcc_lo, v9, v3, vcc_lo
	v_dual_mov_b32 v9, v7 :: v_dual_mov_b32 v8, v6
	v_add_nc_u32_e32 v14, v12, v16
	v_add_co_u32 v16, s0, s8, v17
	v_add_co_ci_u32_e64 v17, null, s9, 0, s0
	v_add_nc_u32_e32 v15, v13, v12
	s_delay_alu instid0(VALU_DEP_3) | instskip(NEXT) | instid1(VALU_DEP_3)
	v_add_co_u32 v4, vcc_lo, v16, v4
	v_add_co_ci_u32_e32 v5, vcc_lo, v17, v5, vcc_lo
	s_mov_b64 s[0:1], 0
.LBB1815_2:                             ; =>This Inner Loop Header: Depth=1
	global_load_b128 v[16:19], v[4:5], off
	global_load_b128 v[20:23], v[2:3], off
	s_add_u32 s0, s0, 16
	v_add_co_u32 v2, vcc_lo, 0x100, v2
	s_addc_u32 s1, s1, 0
	v_add_co_ci_u32_e32 v3, vcc_lo, 0, v3, vcc_lo
	v_cmp_lt_i64_e64 s8, s[0:1], s[16:17]
	v_add_co_u32 v4, vcc_lo, 0x100, v4
	v_add_co_ci_u32_e32 v5, vcc_lo, 0, v5, vcc_lo
	s_waitcnt vmcnt(1)
	ds_store_2addr_b64 v14, v[16:17], v[18:19] offset1:1
	s_waitcnt vmcnt(0)
	ds_store_2addr_b64 v15, v[20:21], v[22:23] offset1:1
	s_waitcnt lgkmcnt(0)
	s_barrier
	buffer_gl0_inv
	ds_load_b128 v[16:19], v12
	ds_load_b128 v[20:23], v13
	ds_load_b128 v[24:27], v13 offset:16
	ds_load_b128 v[28:31], v12 offset:256
	s_and_b32 vcc_lo, exec_lo, s8
	s_waitcnt lgkmcnt(2)
	v_mul_f64 v[32:33], v[22:23], v[18:19]
	v_mul_f64 v[18:19], v[20:21], v[18:19]
	s_waitcnt lgkmcnt(0)
	v_mul_f64 v[38:39], v[26:27], v[30:31]
	v_mul_f64 v[40:41], v[24:25], v[30:31]
	s_delay_alu instid0(VALU_DEP_4) | instskip(NEXT) | instid1(VALU_DEP_4)
	v_fma_f64 v[42:43], v[20:21], v[16:17], -v[32:33]
	v_fma_f64 v[44:45], v[22:23], v[16:17], v[18:19]
	ds_load_b128 v[16:19], v12 offset:512
	ds_load_b128 v[20:23], v13 offset:32
	;; [unrolled: 1-line block ×4, first 2 shown]
	v_fma_f64 v[24:25], v[24:25], v[28:29], -v[38:39]
	v_fma_f64 v[26:27], v[26:27], v[28:29], v[40:41]
	s_waitcnt lgkmcnt(2)
	v_mul_f64 v[46:47], v[22:23], v[18:19]
	v_mul_f64 v[18:19], v[20:21], v[18:19]
	s_waitcnt lgkmcnt(0)
	v_mul_f64 v[28:29], v[32:33], v[36:37]
	v_mul_f64 v[36:37], v[30:31], v[36:37]
	v_add_f64 v[8:9], v[8:9], v[42:43]
	v_add_f64 v[6:7], v[6:7], v[44:45]
	v_fma_f64 v[38:39], v[20:21], v[16:17], -v[46:47]
	v_fma_f64 v[40:41], v[22:23], v[16:17], v[18:19]
	v_fma_f64 v[28:29], v[30:31], v[34:35], -v[28:29]
	v_fma_f64 v[30:31], v[32:33], v[34:35], v[36:37]
	v_add_f64 v[42:43], v[8:9], v[24:25]
	v_add_f64 v[44:45], v[6:7], v[26:27]
	ds_load_b128 v[6:9], v12 offset:1024
	ds_load_b128 v[16:19], v13 offset:64
	;; [unrolled: 1-line block ×4, first 2 shown]
	s_waitcnt lgkmcnt(2)
	v_mul_f64 v[46:47], v[18:19], v[8:9]
	v_mul_f64 v[8:9], v[16:17], v[8:9]
	s_waitcnt lgkmcnt(0)
	v_mul_f64 v[36:37], v[22:23], v[26:27]
	v_add_f64 v[32:33], v[42:43], v[38:39]
	v_add_f64 v[34:35], v[44:45], v[40:41]
	v_mul_f64 v[38:39], v[20:21], v[26:27]
	v_fma_f64 v[40:41], v[16:17], v[6:7], -v[46:47]
	v_fma_f64 v[42:43], v[18:19], v[6:7], v[8:9]
	v_fma_f64 v[20:21], v[20:21], v[24:25], -v[36:37]
	v_add_f64 v[44:45], v[32:33], v[28:29]
	v_add_f64 v[34:35], v[34:35], v[30:31]
	ds_load_b128 v[6:9], v12 offset:1536
	ds_load_b128 v[16:19], v13 offset:96
	ds_load_b128 v[26:29], v13 offset:112
	ds_load_b128 v[30:33], v12 offset:1792
	v_fma_f64 v[22:23], v[22:23], v[24:25], v[38:39]
	s_waitcnt lgkmcnt(2)
	v_mul_f64 v[46:47], v[18:19], v[8:9]
	v_mul_f64 v[8:9], v[16:17], v[8:9]
	s_waitcnt lgkmcnt(0)
	v_mul_f64 v[36:37], v[28:29], v[32:33]
	v_mul_f64 v[38:39], v[26:27], v[32:33]
	v_add_f64 v[24:25], v[44:45], v[40:41]
	v_add_f64 v[34:35], v[34:35], v[42:43]
	v_fma_f64 v[40:41], v[16:17], v[6:7], -v[46:47]
	v_fma_f64 v[42:43], v[18:19], v[6:7], v[8:9]
	v_fma_f64 v[26:27], v[26:27], v[30:31], -v[36:37]
	v_fma_f64 v[28:29], v[28:29], v[30:31], v[38:39]
	v_add_f64 v[24:25], v[24:25], v[20:21]
	v_add_f64 v[44:45], v[34:35], v[22:23]
	ds_load_b128 v[6:9], v12 offset:2048
	ds_load_b128 v[16:19], v13 offset:128
	;; [unrolled: 1-line block ×4, first 2 shown]
	s_waitcnt lgkmcnt(2)
	v_mul_f64 v[46:47], v[18:19], v[8:9]
	v_mul_f64 v[8:9], v[16:17], v[8:9]
	s_waitcnt lgkmcnt(0)
	v_mul_f64 v[36:37], v[22:23], v[34:35]
	v_mul_f64 v[34:35], v[20:21], v[34:35]
	v_add_f64 v[24:25], v[24:25], v[40:41]
	v_add_f64 v[30:31], v[44:45], v[42:43]
	v_fma_f64 v[38:39], v[16:17], v[6:7], -v[46:47]
	v_fma_f64 v[40:41], v[18:19], v[6:7], v[8:9]
	v_fma_f64 v[20:21], v[20:21], v[32:33], -v[36:37]
	v_fma_f64 v[22:23], v[22:23], v[32:33], v[34:35]
	v_add_f64 v[42:43], v[24:25], v[26:27]
	v_add_f64 v[44:45], v[30:31], v[28:29]
	ds_load_b128 v[6:9], v12 offset:2560
	ds_load_b128 v[16:19], v13 offset:160
	;; [unrolled: 1-line block ×4, first 2 shown]
	s_waitcnt lgkmcnt(2)
	v_mul_f64 v[46:47], v[18:19], v[8:9]
	v_mul_f64 v[8:9], v[16:17], v[8:9]
	s_waitcnt lgkmcnt(0)
	v_mul_f64 v[36:37], v[26:27], v[30:31]
	v_add_f64 v[32:33], v[42:43], v[38:39]
	v_add_f64 v[34:35], v[44:45], v[40:41]
	v_mul_f64 v[38:39], v[24:25], v[30:31]
	v_fma_f64 v[40:41], v[16:17], v[6:7], -v[46:47]
	v_fma_f64 v[42:43], v[18:19], v[6:7], v[8:9]
	v_fma_f64 v[24:25], v[24:25], v[28:29], -v[36:37]
	v_add_f64 v[44:45], v[32:33], v[20:21]
	v_add_f64 v[34:35], v[34:35], v[22:23]
	ds_load_b128 v[6:9], v12 offset:3072
	ds_load_b128 v[16:19], v13 offset:192
	ds_load_b128 v[20:23], v13 offset:208
	ds_load_b128 v[30:33], v12 offset:3328
	v_fma_f64 v[26:27], v[26:27], v[28:29], v[38:39]
	s_waitcnt lgkmcnt(2)
	v_mul_f64 v[46:47], v[18:19], v[8:9]
	v_mul_f64 v[8:9], v[16:17], v[8:9]
	s_waitcnt lgkmcnt(0)
	v_mul_f64 v[36:37], v[22:23], v[32:33]
	v_mul_f64 v[38:39], v[20:21], v[32:33]
	v_add_f64 v[28:29], v[44:45], v[40:41]
	v_add_f64 v[34:35], v[34:35], v[42:43]
	v_fma_f64 v[40:41], v[16:17], v[6:7], -v[46:47]
	v_fma_f64 v[42:43], v[18:19], v[6:7], v[8:9]
	v_fma_f64 v[20:21], v[20:21], v[30:31], -v[36:37]
	v_fma_f64 v[22:23], v[22:23], v[30:31], v[38:39]
	v_add_f64 v[28:29], v[28:29], v[24:25]
	v_add_f64 v[44:45], v[34:35], v[26:27]
	ds_load_b128 v[6:9], v12 offset:3584
	ds_load_b128 v[16:19], v13 offset:224
	;; [unrolled: 1-line block ×4, first 2 shown]
	s_waitcnt lgkmcnt(0)
	s_barrier
	buffer_gl0_inv
	v_mul_f64 v[46:47], v[18:19], v[8:9]
	v_mul_f64 v[8:9], v[16:17], v[8:9]
	;; [unrolled: 1-line block ×4, first 2 shown]
	v_add_f64 v[28:29], v[28:29], v[40:41]
	v_add_f64 v[30:31], v[44:45], v[42:43]
	v_fma_f64 v[16:17], v[16:17], v[6:7], -v[46:47]
	v_fma_f64 v[6:7], v[18:19], v[6:7], v[8:9]
	s_delay_alu instid0(VALU_DEP_4) | instskip(NEXT) | instid1(VALU_DEP_4)
	v_add_f64 v[8:9], v[28:29], v[20:21]
	v_add_f64 v[18:19], v[30:31], v[22:23]
	v_fma_f64 v[20:21], v[24:25], v[32:33], -v[36:37]
	v_fma_f64 v[22:23], v[26:27], v[32:33], v[34:35]
	s_delay_alu instid0(VALU_DEP_4) | instskip(NEXT) | instid1(VALU_DEP_4)
	v_add_f64 v[8:9], v[8:9], v[16:17]
	v_add_f64 v[6:7], v[18:19], v[6:7]
	s_delay_alu instid0(VALU_DEP_2) | instskip(NEXT) | instid1(VALU_DEP_2)
	v_add_f64 v[8:9], v[8:9], v[20:21]
	v_add_f64 v[6:7], v[6:7], v[22:23]
	s_cbranch_vccnz .LBB1815_2
.LBB1815_3:
	s_mov_b32 s0, exec_lo
	v_cmpx_le_i32_e64 v10, v0
	s_cbranch_execz .LBB1815_5
; %bb.4:
	v_mul_lo_u32 v4, v10, s11
	v_mul_lo_u32 v5, v11, s10
	v_mad_u64_u32 v[2:3], null, v10, s10, 0
	v_mul_f64 v[13:14], s[18:19], v[6:7]
	s_delay_alu instid0(VALU_DEP_2) | instskip(SKIP_1) | instid1(VALU_DEP_2)
	v_add3_u32 v3, v3, v4, v5
	v_lshlrev_b64 v[4:5], 4, v[0:1]
	v_lshlrev_b64 v[2:3], 4, v[2:3]
	s_waitcnt lgkmcnt(0)
	s_delay_alu instid0(VALU_DEP_1) | instskip(NEXT) | instid1(VALU_DEP_2)
	v_add_co_u32 v1, vcc_lo, s2, v2
	v_add_co_ci_u32_e32 v2, vcc_lo, s3, v3, vcc_lo
	s_delay_alu instid0(VALU_DEP_2) | instskip(NEXT) | instid1(VALU_DEP_2)
	v_add_co_u32 v11, vcc_lo, v1, v4
	v_add_co_ci_u32_e32 v12, vcc_lo, v2, v5, vcc_lo
	v_mul_f64 v[5:6], s[20:21], v[6:7]
	v_cmp_ne_u32_e32 vcc_lo, v0, v10
	global_load_b128 v[1:4], v[11:12], off
	v_fma_f64 v[13:14], s[20:21], v[8:9], v[13:14]
	v_fma_f64 v[5:6], s[18:19], v[8:9], -v[5:6]
	s_waitcnt vmcnt(0)
	v_mul_f64 v[15:16], s[4:5], v[3:4]
	v_mul_f64 v[3:4], s[6:7], v[3:4]
	s_delay_alu instid0(VALU_DEP_2) | instskip(NEXT) | instid1(VALU_DEP_2)
	v_fma_f64 v[15:16], s[6:7], v[1:2], v[15:16]
	v_fma_f64 v[1:2], s[4:5], v[1:2], -v[3:4]
	s_delay_alu instid0(VALU_DEP_2) | instskip(NEXT) | instid1(VALU_DEP_2)
	v_add_f64 v[3:4], v[13:14], v[15:16]
	v_add_f64 v[1:2], v[5:6], v[1:2]
	s_delay_alu instid0(VALU_DEP_2)
	v_dual_cndmask_b32 v4, 0, v4 :: v_dual_cndmask_b32 v3, 0, v3
	global_store_b128 v[11:12], v[1:4], off
.LBB1815_5:
	s_nop 0
	s_sendmsg sendmsg(MSG_DEALLOC_VGPRS)
	s_endpgm
	.section	.rodata,"a",@progbits
	.p2align	6, 0x0
	.amdhsa_kernel _ZL41rocblas_syrkx_herkx_small_restrict_kernelIl19rocblas_complex_numIdELi16ELb0ELb1ELc84ELc76EKPKS1_KPS1_EviT_T0_PT6_S7_lSA_S7_lS8_PT7_S7_li
		.amdhsa_group_segment_fixed_size 8192
		.amdhsa_private_segment_fixed_size 0
		.amdhsa_kernarg_size 124
		.amdhsa_user_sgpr_count 13
		.amdhsa_user_sgpr_dispatch_ptr 0
		.amdhsa_user_sgpr_queue_ptr 0
		.amdhsa_user_sgpr_kernarg_segment_ptr 1
		.amdhsa_user_sgpr_dispatch_id 0
		.amdhsa_user_sgpr_private_segment_size 0
		.amdhsa_wavefront_size32 1
		.amdhsa_uses_dynamic_stack 0
		.amdhsa_enable_private_segment 0
		.amdhsa_system_sgpr_workgroup_id_x 1
		.amdhsa_system_sgpr_workgroup_id_y 1
		.amdhsa_system_sgpr_workgroup_id_z 1
		.amdhsa_system_sgpr_workgroup_info 0
		.amdhsa_system_vgpr_workitem_id 1
		.amdhsa_next_free_vgpr 48
		.amdhsa_next_free_sgpr 26
		.amdhsa_reserve_vcc 1
		.amdhsa_float_round_mode_32 0
		.amdhsa_float_round_mode_16_64 0
		.amdhsa_float_denorm_mode_32 3
		.amdhsa_float_denorm_mode_16_64 3
		.amdhsa_dx10_clamp 1
		.amdhsa_ieee_mode 1
		.amdhsa_fp16_overflow 0
		.amdhsa_workgroup_processor_mode 1
		.amdhsa_memory_ordered 1
		.amdhsa_forward_progress 0
		.amdhsa_shared_vgpr_count 0
		.amdhsa_exception_fp_ieee_invalid_op 0
		.amdhsa_exception_fp_denorm_src 0
		.amdhsa_exception_fp_ieee_div_zero 0
		.amdhsa_exception_fp_ieee_overflow 0
		.amdhsa_exception_fp_ieee_underflow 0
		.amdhsa_exception_fp_ieee_inexact 0
		.amdhsa_exception_int_div_zero 0
	.end_amdhsa_kernel
	.section	.text._ZL41rocblas_syrkx_herkx_small_restrict_kernelIl19rocblas_complex_numIdELi16ELb0ELb1ELc84ELc76EKPKS1_KPS1_EviT_T0_PT6_S7_lSA_S7_lS8_PT7_S7_li,"axG",@progbits,_ZL41rocblas_syrkx_herkx_small_restrict_kernelIl19rocblas_complex_numIdELi16ELb0ELb1ELc84ELc76EKPKS1_KPS1_EviT_T0_PT6_S7_lSA_S7_lS8_PT7_S7_li,comdat
.Lfunc_end1815:
	.size	_ZL41rocblas_syrkx_herkx_small_restrict_kernelIl19rocblas_complex_numIdELi16ELb0ELb1ELc84ELc76EKPKS1_KPS1_EviT_T0_PT6_S7_lSA_S7_lS8_PT7_S7_li, .Lfunc_end1815-_ZL41rocblas_syrkx_herkx_small_restrict_kernelIl19rocblas_complex_numIdELi16ELb0ELb1ELc84ELc76EKPKS1_KPS1_EviT_T0_PT6_S7_lSA_S7_lS8_PT7_S7_li
                                        ; -- End function
	.section	.AMDGPU.csdata,"",@progbits
; Kernel info:
; codeLenInByte = 1864
; NumSgprs: 28
; NumVgprs: 48
; ScratchSize: 0
; MemoryBound: 0
; FloatMode: 240
; IeeeMode: 1
; LDSByteSize: 8192 bytes/workgroup (compile time only)
; SGPRBlocks: 3
; VGPRBlocks: 5
; NumSGPRsForWavesPerEU: 28
; NumVGPRsForWavesPerEU: 48
; Occupancy: 16
; WaveLimiterHint : 1
; COMPUTE_PGM_RSRC2:SCRATCH_EN: 0
; COMPUTE_PGM_RSRC2:USER_SGPR: 13
; COMPUTE_PGM_RSRC2:TRAP_HANDLER: 0
; COMPUTE_PGM_RSRC2:TGID_X_EN: 1
; COMPUTE_PGM_RSRC2:TGID_Y_EN: 1
; COMPUTE_PGM_RSRC2:TGID_Z_EN: 1
; COMPUTE_PGM_RSRC2:TIDIG_COMP_CNT: 1
	.section	.text._ZL41rocblas_syrkx_herkx_small_restrict_kernelIl19rocblas_complex_numIdELi16ELb0ELb1ELc67ELc76EKPKS1_KPS1_EviT_T0_PT6_S7_lSA_S7_lS8_PT7_S7_li,"axG",@progbits,_ZL41rocblas_syrkx_herkx_small_restrict_kernelIl19rocblas_complex_numIdELi16ELb0ELb1ELc67ELc76EKPKS1_KPS1_EviT_T0_PT6_S7_lSA_S7_lS8_PT7_S7_li,comdat
	.globl	_ZL41rocblas_syrkx_herkx_small_restrict_kernelIl19rocblas_complex_numIdELi16ELb0ELb1ELc67ELc76EKPKS1_KPS1_EviT_T0_PT6_S7_lSA_S7_lS8_PT7_S7_li ; -- Begin function _ZL41rocblas_syrkx_herkx_small_restrict_kernelIl19rocblas_complex_numIdELi16ELb0ELb1ELc67ELc76EKPKS1_KPS1_EviT_T0_PT6_S7_lSA_S7_lS8_PT7_S7_li
	.p2align	8
	.type	_ZL41rocblas_syrkx_herkx_small_restrict_kernelIl19rocblas_complex_numIdELi16ELb0ELb1ELc67ELc76EKPKS1_KPS1_EviT_T0_PT6_S7_lSA_S7_lS8_PT7_S7_li,@function
_ZL41rocblas_syrkx_herkx_small_restrict_kernelIl19rocblas_complex_numIdELi16ELb0ELb1ELc67ELc76EKPKS1_KPS1_EviT_T0_PT6_S7_lSA_S7_lS8_PT7_S7_li: ; @_ZL41rocblas_syrkx_herkx_small_restrict_kernelIl19rocblas_complex_numIdELi16ELb0ELb1ELc67ELc76EKPKS1_KPS1_EviT_T0_PT6_S7_lSA_S7_lS8_PT7_S7_li
; %bb.0:
	s_clause 0x1
	s_load_b256 s[4:11], s[0:1], 0x50
	s_load_b256 s[16:23], s[0:1], 0x8
	s_mov_b32 s2, s15
	s_mov_b32 s3, 0
	v_dual_mov_b32 v6, 0 :: v_dual_and_b32 v3, 0x3ff, v0
	s_lshl_b64 s[24:25], s[2:3], 3
	v_bfe_u32 v2, v0, 10, 10
	v_mov_b32_e32 v7, 0
	s_delay_alu instid0(VALU_DEP_3) | instskip(NEXT) | instid1(VALU_DEP_3)
	v_lshl_add_u32 v0, s13, 4, v3
	v_lshl_add_u32 v10, s14, 4, v2
	s_delay_alu instid0(VALU_DEP_3) | instskip(NEXT) | instid1(VALU_DEP_3)
	v_dual_mov_b32 v9, v7 :: v_dual_mov_b32 v8, v6
	v_ashrrev_i32_e32 v1, 31, v0
	s_delay_alu instid0(VALU_DEP_3)
	v_ashrrev_i32_e32 v11, 31, v10
	s_waitcnt lgkmcnt(0)
	s_add_u32 s2, s8, s24
	s_addc_u32 s3, s9, s25
	s_load_b64 s[8:9], s[0:1], 0x28
	s_load_b64 s[2:3], s[2:3], 0x0
	v_cmp_lt_i64_e64 s12, s[16:17], 1
	s_delay_alu instid0(VALU_DEP_1)
	s_and_b32 vcc_lo, exec_lo, s12
	s_cbranch_vccnz .LBB1816_3
; %bb.1:
	s_load_b128 s[12:15], s[0:1], 0x38
	s_waitcnt lgkmcnt(0)
	v_mul_lo_u32 v6, s9, v0
	v_mul_lo_u32 v7, s8, v1
	v_mad_u64_u32 v[4:5], null, s8, v0, 0
	v_lshlrev_b32_e32 v14, 8, v2
	v_lshlrev_b32_e32 v18, 4, v2
	s_delay_alu instid0(VALU_DEP_3) | instskip(SKIP_3) | instid1(VALU_DEP_4)
	v_add3_u32 v5, v5, v7, v6
	v_mov_b32_e32 v6, 0
	v_dual_mov_b32 v7, 0 :: v_dual_lshlrev_b32 v12, 4, v3
	v_add_nc_u32_e32 v13, 0x1000, v14
	v_lshlrev_b64 v[2:3], 4, v[4:5]
	s_add_u32 s0, s12, s24
	s_addc_u32 s1, s13, s25
	s_add_u32 s8, s22, s24
	s_load_b64 s[0:1], s[0:1], 0x0
	s_addc_u32 s9, s23, s25
	v_mul_lo_u32 v16, v10, s15
	s_load_b64 s[8:9], s[8:9], 0x0
	v_mul_lo_u32 v17, v11, s14
	v_mad_u64_u32 v[8:9], null, v10, s14, 0
	v_add_co_u32 v4, vcc_lo, v2, v18
	v_add_co_ci_u32_e32 v5, vcc_lo, 0, v3, vcc_lo
	s_delay_alu instid0(VALU_DEP_3) | instskip(NEXT) | instid1(VALU_DEP_1)
	v_add3_u32 v9, v9, v16, v17
	v_lshlrev_b64 v[2:3], 4, v[8:9]
	s_waitcnt lgkmcnt(0)
	v_add_co_u32 v8, s0, s0, v12
	s_delay_alu instid0(VALU_DEP_1) | instskip(SKIP_2) | instid1(VALU_DEP_4)
	v_add_co_ci_u32_e64 v9, null, s1, 0, s0
	v_add_co_u32 v4, vcc_lo, v4, s8
	v_add_co_ci_u32_e32 v5, vcc_lo, s9, v5, vcc_lo
	v_add_co_u32 v2, vcc_lo, v8, v2
	s_delay_alu instid0(VALU_DEP_4) | instskip(NEXT) | instid1(VALU_DEP_4)
	v_add_co_ci_u32_e32 v3, vcc_lo, v9, v3, vcc_lo
	v_add_co_u32 v4, vcc_lo, v4, 8
	v_dual_mov_b32 v9, v7 :: v_dual_mov_b32 v8, v6
	v_add_nc_u32_e32 v14, v12, v14
	v_add_nc_u32_e32 v15, v13, v12
	v_add_co_ci_u32_e32 v5, vcc_lo, 0, v5, vcc_lo
	s_mov_b64 s[0:1], 0
.LBB1816_2:                             ; =>This Inner Loop Header: Depth=1
	global_load_b128 v[16:19], v[4:5], off offset:-8
	global_load_b128 v[20:23], v[2:3], off
	s_add_u32 s0, s0, 16
	v_add_co_u32 v2, vcc_lo, 0x100, v2
	s_addc_u32 s1, s1, 0
	v_add_co_ci_u32_e32 v3, vcc_lo, 0, v3, vcc_lo
	v_cmp_lt_i64_e64 s8, s[0:1], s[16:17]
	v_add_co_u32 v4, vcc_lo, 0x100, v4
	v_add_co_ci_u32_e32 v5, vcc_lo, 0, v5, vcc_lo
	s_delay_alu instid0(VALU_DEP_3)
	s_and_b32 vcc_lo, exec_lo, s8
	s_waitcnt vmcnt(1)
	v_xor_b32_e32 v19, 0x80000000, v19
	ds_store_b128 v14, v[16:19]
	s_waitcnt vmcnt(0)
	ds_store_2addr_b64 v15, v[20:21], v[22:23] offset1:1
	s_waitcnt lgkmcnt(0)
	s_barrier
	buffer_gl0_inv
	ds_load_b128 v[16:19], v12
	ds_load_b128 v[20:23], v13
	ds_load_b128 v[24:27], v13 offset:16
	ds_load_b128 v[28:31], v12 offset:256
	s_waitcnt lgkmcnt(2)
	v_mul_f64 v[32:33], v[22:23], v[18:19]
	v_mul_f64 v[18:19], v[20:21], v[18:19]
	s_waitcnt lgkmcnt(0)
	v_mul_f64 v[38:39], v[26:27], v[30:31]
	v_mul_f64 v[40:41], v[24:25], v[30:31]
	s_delay_alu instid0(VALU_DEP_4) | instskip(NEXT) | instid1(VALU_DEP_4)
	v_fma_f64 v[42:43], v[20:21], v[16:17], -v[32:33]
	v_fma_f64 v[44:45], v[22:23], v[16:17], v[18:19]
	ds_load_b128 v[16:19], v12 offset:512
	ds_load_b128 v[20:23], v13 offset:32
	;; [unrolled: 1-line block ×4, first 2 shown]
	v_fma_f64 v[24:25], v[24:25], v[28:29], -v[38:39]
	v_fma_f64 v[26:27], v[26:27], v[28:29], v[40:41]
	s_waitcnt lgkmcnt(2)
	v_mul_f64 v[46:47], v[22:23], v[18:19]
	v_mul_f64 v[18:19], v[20:21], v[18:19]
	s_waitcnt lgkmcnt(0)
	v_mul_f64 v[28:29], v[32:33], v[36:37]
	v_mul_f64 v[36:37], v[30:31], v[36:37]
	v_add_f64 v[8:9], v[8:9], v[42:43]
	v_add_f64 v[6:7], v[6:7], v[44:45]
	v_fma_f64 v[38:39], v[20:21], v[16:17], -v[46:47]
	v_fma_f64 v[40:41], v[22:23], v[16:17], v[18:19]
	v_fma_f64 v[28:29], v[30:31], v[34:35], -v[28:29]
	v_fma_f64 v[30:31], v[32:33], v[34:35], v[36:37]
	v_add_f64 v[42:43], v[8:9], v[24:25]
	v_add_f64 v[44:45], v[6:7], v[26:27]
	ds_load_b128 v[6:9], v12 offset:1024
	ds_load_b128 v[16:19], v13 offset:64
	;; [unrolled: 1-line block ×4, first 2 shown]
	s_waitcnt lgkmcnt(2)
	v_mul_f64 v[46:47], v[18:19], v[8:9]
	v_mul_f64 v[8:9], v[16:17], v[8:9]
	s_waitcnt lgkmcnt(0)
	v_mul_f64 v[36:37], v[22:23], v[26:27]
	v_add_f64 v[32:33], v[42:43], v[38:39]
	v_add_f64 v[34:35], v[44:45], v[40:41]
	v_mul_f64 v[38:39], v[20:21], v[26:27]
	v_fma_f64 v[40:41], v[16:17], v[6:7], -v[46:47]
	v_fma_f64 v[42:43], v[18:19], v[6:7], v[8:9]
	v_fma_f64 v[20:21], v[20:21], v[24:25], -v[36:37]
	v_add_f64 v[44:45], v[32:33], v[28:29]
	v_add_f64 v[34:35], v[34:35], v[30:31]
	ds_load_b128 v[6:9], v12 offset:1536
	ds_load_b128 v[16:19], v13 offset:96
	;; [unrolled: 1-line block ×4, first 2 shown]
	v_fma_f64 v[22:23], v[22:23], v[24:25], v[38:39]
	s_waitcnt lgkmcnt(2)
	v_mul_f64 v[46:47], v[18:19], v[8:9]
	v_mul_f64 v[8:9], v[16:17], v[8:9]
	s_waitcnt lgkmcnt(0)
	v_mul_f64 v[36:37], v[28:29], v[32:33]
	v_mul_f64 v[38:39], v[26:27], v[32:33]
	v_add_f64 v[24:25], v[44:45], v[40:41]
	v_add_f64 v[34:35], v[34:35], v[42:43]
	v_fma_f64 v[40:41], v[16:17], v[6:7], -v[46:47]
	v_fma_f64 v[42:43], v[18:19], v[6:7], v[8:9]
	v_fma_f64 v[26:27], v[26:27], v[30:31], -v[36:37]
	v_fma_f64 v[28:29], v[28:29], v[30:31], v[38:39]
	v_add_f64 v[24:25], v[24:25], v[20:21]
	v_add_f64 v[44:45], v[34:35], v[22:23]
	ds_load_b128 v[6:9], v12 offset:2048
	ds_load_b128 v[16:19], v13 offset:128
	;; [unrolled: 1-line block ×4, first 2 shown]
	s_waitcnt lgkmcnt(2)
	v_mul_f64 v[46:47], v[18:19], v[8:9]
	v_mul_f64 v[8:9], v[16:17], v[8:9]
	s_waitcnt lgkmcnt(0)
	v_mul_f64 v[36:37], v[22:23], v[34:35]
	v_mul_f64 v[34:35], v[20:21], v[34:35]
	v_add_f64 v[24:25], v[24:25], v[40:41]
	v_add_f64 v[30:31], v[44:45], v[42:43]
	v_fma_f64 v[38:39], v[16:17], v[6:7], -v[46:47]
	v_fma_f64 v[40:41], v[18:19], v[6:7], v[8:9]
	v_fma_f64 v[20:21], v[20:21], v[32:33], -v[36:37]
	v_fma_f64 v[22:23], v[22:23], v[32:33], v[34:35]
	v_add_f64 v[42:43], v[24:25], v[26:27]
	v_add_f64 v[44:45], v[30:31], v[28:29]
	ds_load_b128 v[6:9], v12 offset:2560
	ds_load_b128 v[16:19], v13 offset:160
	;; [unrolled: 1-line block ×4, first 2 shown]
	s_waitcnt lgkmcnt(2)
	v_mul_f64 v[46:47], v[18:19], v[8:9]
	v_mul_f64 v[8:9], v[16:17], v[8:9]
	s_waitcnt lgkmcnt(0)
	v_mul_f64 v[36:37], v[26:27], v[30:31]
	v_add_f64 v[32:33], v[42:43], v[38:39]
	v_add_f64 v[34:35], v[44:45], v[40:41]
	v_mul_f64 v[38:39], v[24:25], v[30:31]
	v_fma_f64 v[40:41], v[16:17], v[6:7], -v[46:47]
	v_fma_f64 v[42:43], v[18:19], v[6:7], v[8:9]
	v_fma_f64 v[24:25], v[24:25], v[28:29], -v[36:37]
	v_add_f64 v[44:45], v[32:33], v[20:21]
	v_add_f64 v[34:35], v[34:35], v[22:23]
	ds_load_b128 v[6:9], v12 offset:3072
	ds_load_b128 v[16:19], v13 offset:192
	;; [unrolled: 1-line block ×4, first 2 shown]
	v_fma_f64 v[26:27], v[26:27], v[28:29], v[38:39]
	s_waitcnt lgkmcnt(2)
	v_mul_f64 v[46:47], v[18:19], v[8:9]
	v_mul_f64 v[8:9], v[16:17], v[8:9]
	s_waitcnt lgkmcnt(0)
	v_mul_f64 v[36:37], v[22:23], v[32:33]
	v_mul_f64 v[38:39], v[20:21], v[32:33]
	v_add_f64 v[28:29], v[44:45], v[40:41]
	v_add_f64 v[34:35], v[34:35], v[42:43]
	v_fma_f64 v[40:41], v[16:17], v[6:7], -v[46:47]
	v_fma_f64 v[42:43], v[18:19], v[6:7], v[8:9]
	v_fma_f64 v[20:21], v[20:21], v[30:31], -v[36:37]
	v_fma_f64 v[22:23], v[22:23], v[30:31], v[38:39]
	v_add_f64 v[28:29], v[28:29], v[24:25]
	v_add_f64 v[44:45], v[34:35], v[26:27]
	ds_load_b128 v[6:9], v12 offset:3584
	ds_load_b128 v[16:19], v13 offset:224
	;; [unrolled: 1-line block ×4, first 2 shown]
	s_waitcnt lgkmcnt(0)
	s_barrier
	buffer_gl0_inv
	v_mul_f64 v[46:47], v[18:19], v[8:9]
	v_mul_f64 v[8:9], v[16:17], v[8:9]
	;; [unrolled: 1-line block ×4, first 2 shown]
	v_add_f64 v[28:29], v[28:29], v[40:41]
	v_add_f64 v[30:31], v[44:45], v[42:43]
	v_fma_f64 v[16:17], v[16:17], v[6:7], -v[46:47]
	v_fma_f64 v[6:7], v[18:19], v[6:7], v[8:9]
	s_delay_alu instid0(VALU_DEP_4) | instskip(NEXT) | instid1(VALU_DEP_4)
	v_add_f64 v[8:9], v[28:29], v[20:21]
	v_add_f64 v[18:19], v[30:31], v[22:23]
	v_fma_f64 v[20:21], v[24:25], v[32:33], -v[36:37]
	v_fma_f64 v[22:23], v[26:27], v[32:33], v[34:35]
	s_delay_alu instid0(VALU_DEP_4) | instskip(NEXT) | instid1(VALU_DEP_4)
	v_add_f64 v[8:9], v[8:9], v[16:17]
	v_add_f64 v[6:7], v[18:19], v[6:7]
	s_delay_alu instid0(VALU_DEP_2) | instskip(NEXT) | instid1(VALU_DEP_2)
	v_add_f64 v[8:9], v[8:9], v[20:21]
	v_add_f64 v[6:7], v[6:7], v[22:23]
	s_cbranch_vccnz .LBB1816_2
.LBB1816_3:
	s_mov_b32 s0, exec_lo
	v_cmpx_le_i32_e64 v10, v0
	s_cbranch_execz .LBB1816_5
; %bb.4:
	v_mul_lo_u32 v4, v10, s11
	v_mul_lo_u32 v5, v11, s10
	v_mad_u64_u32 v[2:3], null, v10, s10, 0
	v_mul_f64 v[13:14], s[18:19], v[6:7]
	s_delay_alu instid0(VALU_DEP_2) | instskip(SKIP_1) | instid1(VALU_DEP_2)
	v_add3_u32 v3, v3, v4, v5
	v_lshlrev_b64 v[4:5], 4, v[0:1]
	v_lshlrev_b64 v[2:3], 4, v[2:3]
	s_waitcnt lgkmcnt(0)
	s_delay_alu instid0(VALU_DEP_1) | instskip(NEXT) | instid1(VALU_DEP_2)
	v_add_co_u32 v1, vcc_lo, s2, v2
	v_add_co_ci_u32_e32 v2, vcc_lo, s3, v3, vcc_lo
	s_delay_alu instid0(VALU_DEP_2) | instskip(NEXT) | instid1(VALU_DEP_2)
	v_add_co_u32 v11, vcc_lo, v1, v4
	v_add_co_ci_u32_e32 v12, vcc_lo, v2, v5, vcc_lo
	v_mul_f64 v[5:6], s[20:21], v[6:7]
	v_cmp_ne_u32_e32 vcc_lo, v0, v10
	global_load_b128 v[1:4], v[11:12], off
	v_fma_f64 v[13:14], s[20:21], v[8:9], v[13:14]
	v_fma_f64 v[5:6], s[18:19], v[8:9], -v[5:6]
	s_waitcnt vmcnt(0)
	v_mul_f64 v[15:16], s[4:5], v[3:4]
	v_mul_f64 v[3:4], s[6:7], v[3:4]
	s_delay_alu instid0(VALU_DEP_2) | instskip(NEXT) | instid1(VALU_DEP_2)
	v_fma_f64 v[15:16], s[6:7], v[1:2], v[15:16]
	v_fma_f64 v[1:2], s[4:5], v[1:2], -v[3:4]
	s_delay_alu instid0(VALU_DEP_2) | instskip(NEXT) | instid1(VALU_DEP_2)
	v_add_f64 v[3:4], v[13:14], v[15:16]
	v_add_f64 v[1:2], v[5:6], v[1:2]
	s_delay_alu instid0(VALU_DEP_2)
	v_dual_cndmask_b32 v4, 0, v4 :: v_dual_cndmask_b32 v3, 0, v3
	global_store_b128 v[11:12], v[1:4], off
.LBB1816_5:
	s_nop 0
	s_sendmsg sendmsg(MSG_DEALLOC_VGPRS)
	s_endpgm
	.section	.rodata,"a",@progbits
	.p2align	6, 0x0
	.amdhsa_kernel _ZL41rocblas_syrkx_herkx_small_restrict_kernelIl19rocblas_complex_numIdELi16ELb0ELb1ELc67ELc76EKPKS1_KPS1_EviT_T0_PT6_S7_lSA_S7_lS8_PT7_S7_li
		.amdhsa_group_segment_fixed_size 8192
		.amdhsa_private_segment_fixed_size 0
		.amdhsa_kernarg_size 124
		.amdhsa_user_sgpr_count 13
		.amdhsa_user_sgpr_dispatch_ptr 0
		.amdhsa_user_sgpr_queue_ptr 0
		.amdhsa_user_sgpr_kernarg_segment_ptr 1
		.amdhsa_user_sgpr_dispatch_id 0
		.amdhsa_user_sgpr_private_segment_size 0
		.amdhsa_wavefront_size32 1
		.amdhsa_uses_dynamic_stack 0
		.amdhsa_enable_private_segment 0
		.amdhsa_system_sgpr_workgroup_id_x 1
		.amdhsa_system_sgpr_workgroup_id_y 1
		.amdhsa_system_sgpr_workgroup_id_z 1
		.amdhsa_system_sgpr_workgroup_info 0
		.amdhsa_system_vgpr_workitem_id 1
		.amdhsa_next_free_vgpr 48
		.amdhsa_next_free_sgpr 26
		.amdhsa_reserve_vcc 1
		.amdhsa_float_round_mode_32 0
		.amdhsa_float_round_mode_16_64 0
		.amdhsa_float_denorm_mode_32 3
		.amdhsa_float_denorm_mode_16_64 3
		.amdhsa_dx10_clamp 1
		.amdhsa_ieee_mode 1
		.amdhsa_fp16_overflow 0
		.amdhsa_workgroup_processor_mode 1
		.amdhsa_memory_ordered 1
		.amdhsa_forward_progress 0
		.amdhsa_shared_vgpr_count 0
		.amdhsa_exception_fp_ieee_invalid_op 0
		.amdhsa_exception_fp_denorm_src 0
		.amdhsa_exception_fp_ieee_div_zero 0
		.amdhsa_exception_fp_ieee_overflow 0
		.amdhsa_exception_fp_ieee_underflow 0
		.amdhsa_exception_fp_ieee_inexact 0
		.amdhsa_exception_int_div_zero 0
	.end_amdhsa_kernel
	.section	.text._ZL41rocblas_syrkx_herkx_small_restrict_kernelIl19rocblas_complex_numIdELi16ELb0ELb1ELc67ELc76EKPKS1_KPS1_EviT_T0_PT6_S7_lSA_S7_lS8_PT7_S7_li,"axG",@progbits,_ZL41rocblas_syrkx_herkx_small_restrict_kernelIl19rocblas_complex_numIdELi16ELb0ELb1ELc67ELc76EKPKS1_KPS1_EviT_T0_PT6_S7_lSA_S7_lS8_PT7_S7_li,comdat
.Lfunc_end1816:
	.size	_ZL41rocblas_syrkx_herkx_small_restrict_kernelIl19rocblas_complex_numIdELi16ELb0ELb1ELc67ELc76EKPKS1_KPS1_EviT_T0_PT6_S7_lSA_S7_lS8_PT7_S7_li, .Lfunc_end1816-_ZL41rocblas_syrkx_herkx_small_restrict_kernelIl19rocblas_complex_numIdELi16ELb0ELb1ELc67ELc76EKPKS1_KPS1_EviT_T0_PT6_S7_lSA_S7_lS8_PT7_S7_li
                                        ; -- End function
	.section	.AMDGPU.csdata,"",@progbits
; Kernel info:
; codeLenInByte = 1880
; NumSgprs: 28
; NumVgprs: 48
; ScratchSize: 0
; MemoryBound: 0
; FloatMode: 240
; IeeeMode: 1
; LDSByteSize: 8192 bytes/workgroup (compile time only)
; SGPRBlocks: 3
; VGPRBlocks: 5
; NumSGPRsForWavesPerEU: 28
; NumVGPRsForWavesPerEU: 48
; Occupancy: 16
; WaveLimiterHint : 1
; COMPUTE_PGM_RSRC2:SCRATCH_EN: 0
; COMPUTE_PGM_RSRC2:USER_SGPR: 13
; COMPUTE_PGM_RSRC2:TRAP_HANDLER: 0
; COMPUTE_PGM_RSRC2:TGID_X_EN: 1
; COMPUTE_PGM_RSRC2:TGID_Y_EN: 1
; COMPUTE_PGM_RSRC2:TGID_Z_EN: 1
; COMPUTE_PGM_RSRC2:TIDIG_COMP_CNT: 1
	.section	.text._ZL41rocblas_syrkx_herkx_small_restrict_kernelIl19rocblas_complex_numIdELi16ELb0ELb1ELc78ELc76EKPKS1_KPS1_EviT_T0_PT6_S7_lSA_S7_lS8_PT7_S7_li,"axG",@progbits,_ZL41rocblas_syrkx_herkx_small_restrict_kernelIl19rocblas_complex_numIdELi16ELb0ELb1ELc78ELc76EKPKS1_KPS1_EviT_T0_PT6_S7_lSA_S7_lS8_PT7_S7_li,comdat
	.globl	_ZL41rocblas_syrkx_herkx_small_restrict_kernelIl19rocblas_complex_numIdELi16ELb0ELb1ELc78ELc76EKPKS1_KPS1_EviT_T0_PT6_S7_lSA_S7_lS8_PT7_S7_li ; -- Begin function _ZL41rocblas_syrkx_herkx_small_restrict_kernelIl19rocblas_complex_numIdELi16ELb0ELb1ELc78ELc76EKPKS1_KPS1_EviT_T0_PT6_S7_lSA_S7_lS8_PT7_S7_li
	.p2align	8
	.type	_ZL41rocblas_syrkx_herkx_small_restrict_kernelIl19rocblas_complex_numIdELi16ELb0ELb1ELc78ELc76EKPKS1_KPS1_EviT_T0_PT6_S7_lSA_S7_lS8_PT7_S7_li,@function
_ZL41rocblas_syrkx_herkx_small_restrict_kernelIl19rocblas_complex_numIdELi16ELb0ELb1ELc78ELc76EKPKS1_KPS1_EviT_T0_PT6_S7_lSA_S7_lS8_PT7_S7_li: ; @_ZL41rocblas_syrkx_herkx_small_restrict_kernelIl19rocblas_complex_numIdELi16ELb0ELb1ELc78ELc76EKPKS1_KPS1_EviT_T0_PT6_S7_lSA_S7_lS8_PT7_S7_li
; %bb.0:
	s_clause 0x1
	s_load_b256 s[4:11], s[0:1], 0x50
	s_load_b256 s[16:23], s[0:1], 0x8
	s_mov_b32 s2, s15
	s_mov_b32 s3, 0
	v_dual_mov_b32 v8, 0 :: v_dual_and_b32 v5, 0x3ff, v0
	s_lshl_b64 s[26:27], s[2:3], 3
	v_bfe_u32 v4, v0, 10, 10
	v_mov_b32_e32 v9, 0
	s_delay_alu instid0(VALU_DEP_3) | instskip(NEXT) | instid1(VALU_DEP_3)
	v_lshl_add_u32 v0, s13, 4, v5
	v_lshl_add_u32 v2, s14, 4, v4
	s_delay_alu instid0(VALU_DEP_3) | instskip(NEXT) | instid1(VALU_DEP_3)
	v_dual_mov_b32 v11, v9 :: v_dual_mov_b32 v10, v8
	v_ashrrev_i32_e32 v1, 31, v0
	s_delay_alu instid0(VALU_DEP_3)
	v_ashrrev_i32_e32 v3, 31, v2
	s_waitcnt lgkmcnt(0)
	s_add_u32 s2, s8, s26
	s_addc_u32 s3, s9, s27
	s_load_b64 s[24:25], s[0:1], 0x28
	s_load_b64 s[8:9], s[2:3], 0x0
	v_cmp_lt_i64_e64 s2, s[16:17], 1
	s_delay_alu instid0(VALU_DEP_1)
	s_and_b32 vcc_lo, exec_lo, s2
	s_cbranch_vccnz .LBB1817_3
; %bb.1:
	s_load_b128 s[0:3], s[0:1], 0x38
	s_waitcnt lgkmcnt(0)
	v_mad_u64_u32 v[10:11], null, s24, v4, 0
	v_lshlrev_b64 v[16:17], 4, v[2:3]
	v_lshlrev_b64 v[18:19], 4, v[0:1]
	s_delay_alu instid0(VALU_DEP_3)
	v_mov_b32_e32 v8, v11
	v_mad_u64_u32 v[6:7], null, s2, v5, 0
	s_add_u32 s0, s0, s26
	s_addc_u32 s1, s1, s27
	s_add_u32 s12, s22, s26
	s_load_b64 s[0:1], s[0:1], 0x0
	s_addc_u32 s13, s23, s27
	s_load_b64 s[12:13], s[12:13], 0x0
	s_delay_alu instid0(VALU_DEP_1) | instskip(NEXT) | instid1(VALU_DEP_1)
	v_mad_u64_u32 v[13:14], null, s3, v5, v[7:8]
	v_dual_mov_b32 v7, v13 :: v_dual_lshlrev_b32 v20, 8, v4
	s_delay_alu instid0(VALU_DEP_1) | instskip(SKIP_2) | instid1(VALU_DEP_4)
	v_add_nc_u32_e32 v13, 0x1000, v20
	v_mad_u64_u32 v[14:15], null, s25, v4, v[8:9]
	v_lshlrev_b32_e32 v12, 4, v5
	v_lshlrev_b64 v[4:5], 4, v[6:7]
	s_delay_alu instid0(VALU_DEP_3) | instskip(NEXT) | instid1(VALU_DEP_2)
	v_mov_b32_e32 v11, v14
	v_add_co_u32 v4, vcc_lo, v4, v16
	s_delay_alu instid0(VALU_DEP_3) | instskip(NEXT) | instid1(VALU_DEP_3)
	v_add_co_ci_u32_e32 v5, vcc_lo, v5, v17, vcc_lo
	v_lshlrev_b64 v[6:7], 4, v[10:11]
	v_dual_mov_b32 v8, 0 :: v_dual_add_nc_u32 v15, v13, v12
	v_dual_mov_b32 v9, 0 :: v_dual_add_nc_u32 v14, v12, v20
	s_delay_alu instid0(VALU_DEP_3) | instskip(NEXT) | instid1(VALU_DEP_4)
	v_add_co_u32 v6, vcc_lo, v6, v18
	v_add_co_ci_u32_e32 v7, vcc_lo, v7, v19, vcc_lo
	s_waitcnt lgkmcnt(0)
	v_add_co_u32 v10, vcc_lo, v4, s0
	v_add_co_ci_u32_e32 v11, vcc_lo, s1, v5, vcc_lo
	v_add_co_u32 v4, vcc_lo, s12, v6
	v_add_co_ci_u32_e32 v5, vcc_lo, s13, v7, vcc_lo
	s_delay_alu instid0(VALU_DEP_4) | instskip(NEXT) | instid1(VALU_DEP_4)
	v_add_co_u32 v6, vcc_lo, v10, 8
	v_add_co_ci_u32_e32 v7, vcc_lo, 0, v11, vcc_lo
	v_dual_mov_b32 v11, v9 :: v_dual_mov_b32 v10, v8
	s_lshl_b64 s[0:1], s[2:3], 8
	s_lshl_b64 s[2:3], s[24:25], 8
	s_mov_b64 s[12:13], 0
.LBB1817_2:                             ; =>This Inner Loop Header: Depth=1
	global_load_b128 v[16:19], v[6:7], off offset:-8
	global_load_b128 v[20:23], v[4:5], off
	s_add_u32 s12, s12, 16
	v_add_co_u32 v6, vcc_lo, v6, s0
	s_addc_u32 s13, s13, 0
	v_add_co_ci_u32_e32 v7, vcc_lo, s1, v7, vcc_lo
	v_cmp_lt_i64_e64 s14, s[12:13], s[16:17]
	v_add_co_u32 v4, vcc_lo, v4, s2
	v_add_co_ci_u32_e32 v5, vcc_lo, s3, v5, vcc_lo
	s_delay_alu instid0(VALU_DEP_3)
	s_and_b32 vcc_lo, exec_lo, s14
	s_waitcnt vmcnt(1)
	v_xor_b32_e32 v19, 0x80000000, v19
	s_waitcnt vmcnt(0)
	ds_store_2addr_b64 v14, v[20:21], v[22:23] offset1:1
	ds_store_b128 v15, v[16:19]
	s_waitcnt lgkmcnt(0)
	s_barrier
	buffer_gl0_inv
	ds_load_b128 v[16:19], v12
	ds_load_b128 v[20:23], v13
	ds_load_b128 v[24:27], v13 offset:16
	ds_load_b128 v[28:31], v12 offset:256
	s_waitcnt lgkmcnt(2)
	v_mul_f64 v[32:33], v[22:23], v[18:19]
	v_mul_f64 v[18:19], v[20:21], v[18:19]
	s_waitcnt lgkmcnt(0)
	v_mul_f64 v[38:39], v[26:27], v[30:31]
	v_mul_f64 v[40:41], v[24:25], v[30:31]
	s_delay_alu instid0(VALU_DEP_4) | instskip(NEXT) | instid1(VALU_DEP_4)
	v_fma_f64 v[42:43], v[20:21], v[16:17], -v[32:33]
	v_fma_f64 v[44:45], v[22:23], v[16:17], v[18:19]
	ds_load_b128 v[16:19], v12 offset:512
	ds_load_b128 v[20:23], v13 offset:32
	;; [unrolled: 1-line block ×4, first 2 shown]
	v_fma_f64 v[24:25], v[24:25], v[28:29], -v[38:39]
	v_fma_f64 v[26:27], v[26:27], v[28:29], v[40:41]
	s_waitcnt lgkmcnt(2)
	v_mul_f64 v[46:47], v[22:23], v[18:19]
	v_mul_f64 v[18:19], v[20:21], v[18:19]
	s_waitcnt lgkmcnt(0)
	v_mul_f64 v[28:29], v[32:33], v[36:37]
	v_mul_f64 v[36:37], v[30:31], v[36:37]
	v_add_f64 v[10:11], v[10:11], v[42:43]
	v_add_f64 v[8:9], v[8:9], v[44:45]
	v_fma_f64 v[38:39], v[20:21], v[16:17], -v[46:47]
	v_fma_f64 v[40:41], v[22:23], v[16:17], v[18:19]
	v_fma_f64 v[28:29], v[30:31], v[34:35], -v[28:29]
	v_fma_f64 v[30:31], v[32:33], v[34:35], v[36:37]
	v_add_f64 v[42:43], v[10:11], v[24:25]
	v_add_f64 v[44:45], v[8:9], v[26:27]
	ds_load_b128 v[8:11], v12 offset:1024
	ds_load_b128 v[16:19], v13 offset:64
	;; [unrolled: 1-line block ×4, first 2 shown]
	s_waitcnt lgkmcnt(2)
	v_mul_f64 v[46:47], v[18:19], v[10:11]
	v_mul_f64 v[10:11], v[16:17], v[10:11]
	s_waitcnt lgkmcnt(0)
	v_mul_f64 v[36:37], v[22:23], v[26:27]
	v_add_f64 v[32:33], v[42:43], v[38:39]
	v_add_f64 v[34:35], v[44:45], v[40:41]
	v_mul_f64 v[38:39], v[20:21], v[26:27]
	v_fma_f64 v[40:41], v[16:17], v[8:9], -v[46:47]
	v_fma_f64 v[42:43], v[18:19], v[8:9], v[10:11]
	v_fma_f64 v[20:21], v[20:21], v[24:25], -v[36:37]
	v_add_f64 v[44:45], v[32:33], v[28:29]
	v_add_f64 v[34:35], v[34:35], v[30:31]
	ds_load_b128 v[8:11], v12 offset:1536
	ds_load_b128 v[16:19], v13 offset:96
	;; [unrolled: 1-line block ×4, first 2 shown]
	v_fma_f64 v[22:23], v[22:23], v[24:25], v[38:39]
	s_waitcnt lgkmcnt(2)
	v_mul_f64 v[46:47], v[18:19], v[10:11]
	v_mul_f64 v[10:11], v[16:17], v[10:11]
	s_waitcnt lgkmcnt(0)
	v_mul_f64 v[36:37], v[28:29], v[32:33]
	v_mul_f64 v[38:39], v[26:27], v[32:33]
	v_add_f64 v[24:25], v[44:45], v[40:41]
	v_add_f64 v[34:35], v[34:35], v[42:43]
	v_fma_f64 v[40:41], v[16:17], v[8:9], -v[46:47]
	v_fma_f64 v[42:43], v[18:19], v[8:9], v[10:11]
	v_fma_f64 v[26:27], v[26:27], v[30:31], -v[36:37]
	v_fma_f64 v[28:29], v[28:29], v[30:31], v[38:39]
	v_add_f64 v[24:25], v[24:25], v[20:21]
	v_add_f64 v[44:45], v[34:35], v[22:23]
	ds_load_b128 v[8:11], v12 offset:2048
	ds_load_b128 v[16:19], v13 offset:128
	;; [unrolled: 1-line block ×4, first 2 shown]
	s_waitcnt lgkmcnt(2)
	v_mul_f64 v[46:47], v[18:19], v[10:11]
	v_mul_f64 v[10:11], v[16:17], v[10:11]
	s_waitcnt lgkmcnt(0)
	v_mul_f64 v[36:37], v[22:23], v[34:35]
	v_mul_f64 v[34:35], v[20:21], v[34:35]
	v_add_f64 v[24:25], v[24:25], v[40:41]
	v_add_f64 v[30:31], v[44:45], v[42:43]
	v_fma_f64 v[38:39], v[16:17], v[8:9], -v[46:47]
	v_fma_f64 v[40:41], v[18:19], v[8:9], v[10:11]
	v_fma_f64 v[20:21], v[20:21], v[32:33], -v[36:37]
	v_fma_f64 v[22:23], v[22:23], v[32:33], v[34:35]
	v_add_f64 v[42:43], v[24:25], v[26:27]
	v_add_f64 v[44:45], v[30:31], v[28:29]
	ds_load_b128 v[8:11], v12 offset:2560
	ds_load_b128 v[16:19], v13 offset:160
	;; [unrolled: 1-line block ×4, first 2 shown]
	s_waitcnt lgkmcnt(2)
	v_mul_f64 v[46:47], v[18:19], v[10:11]
	v_mul_f64 v[10:11], v[16:17], v[10:11]
	s_waitcnt lgkmcnt(0)
	v_mul_f64 v[36:37], v[26:27], v[30:31]
	v_add_f64 v[32:33], v[42:43], v[38:39]
	v_add_f64 v[34:35], v[44:45], v[40:41]
	v_mul_f64 v[38:39], v[24:25], v[30:31]
	v_fma_f64 v[40:41], v[16:17], v[8:9], -v[46:47]
	v_fma_f64 v[42:43], v[18:19], v[8:9], v[10:11]
	v_fma_f64 v[24:25], v[24:25], v[28:29], -v[36:37]
	v_add_f64 v[44:45], v[32:33], v[20:21]
	v_add_f64 v[34:35], v[34:35], v[22:23]
	ds_load_b128 v[8:11], v12 offset:3072
	ds_load_b128 v[16:19], v13 offset:192
	;; [unrolled: 1-line block ×4, first 2 shown]
	v_fma_f64 v[26:27], v[26:27], v[28:29], v[38:39]
	s_waitcnt lgkmcnt(2)
	v_mul_f64 v[46:47], v[18:19], v[10:11]
	v_mul_f64 v[10:11], v[16:17], v[10:11]
	s_waitcnt lgkmcnt(0)
	v_mul_f64 v[36:37], v[22:23], v[32:33]
	v_mul_f64 v[38:39], v[20:21], v[32:33]
	v_add_f64 v[28:29], v[44:45], v[40:41]
	v_add_f64 v[34:35], v[34:35], v[42:43]
	v_fma_f64 v[40:41], v[16:17], v[8:9], -v[46:47]
	v_fma_f64 v[42:43], v[18:19], v[8:9], v[10:11]
	v_fma_f64 v[20:21], v[20:21], v[30:31], -v[36:37]
	v_fma_f64 v[22:23], v[22:23], v[30:31], v[38:39]
	v_add_f64 v[28:29], v[28:29], v[24:25]
	v_add_f64 v[44:45], v[34:35], v[26:27]
	ds_load_b128 v[8:11], v12 offset:3584
	ds_load_b128 v[16:19], v13 offset:224
	;; [unrolled: 1-line block ×4, first 2 shown]
	s_waitcnt lgkmcnt(0)
	s_barrier
	buffer_gl0_inv
	v_mul_f64 v[46:47], v[18:19], v[10:11]
	v_mul_f64 v[10:11], v[16:17], v[10:11]
	;; [unrolled: 1-line block ×4, first 2 shown]
	v_add_f64 v[28:29], v[28:29], v[40:41]
	v_add_f64 v[30:31], v[44:45], v[42:43]
	v_fma_f64 v[16:17], v[16:17], v[8:9], -v[46:47]
	v_fma_f64 v[8:9], v[18:19], v[8:9], v[10:11]
	s_delay_alu instid0(VALU_DEP_4) | instskip(NEXT) | instid1(VALU_DEP_4)
	v_add_f64 v[10:11], v[28:29], v[20:21]
	v_add_f64 v[18:19], v[30:31], v[22:23]
	v_fma_f64 v[20:21], v[24:25], v[32:33], -v[36:37]
	v_fma_f64 v[22:23], v[26:27], v[32:33], v[34:35]
	s_delay_alu instid0(VALU_DEP_4) | instskip(NEXT) | instid1(VALU_DEP_4)
	v_add_f64 v[10:11], v[10:11], v[16:17]
	v_add_f64 v[8:9], v[18:19], v[8:9]
	s_delay_alu instid0(VALU_DEP_2) | instskip(NEXT) | instid1(VALU_DEP_2)
	v_add_f64 v[10:11], v[10:11], v[20:21]
	v_add_f64 v[8:9], v[8:9], v[22:23]
	s_cbranch_vccnz .LBB1817_2
.LBB1817_3:
	s_mov_b32 s0, exec_lo
	v_cmpx_le_i32_e64 v2, v0
	s_cbranch_execz .LBB1817_5
; %bb.4:
	v_mul_lo_u32 v5, v2, s11
	v_mul_lo_u32 v6, v3, s10
	v_mad_u64_u32 v[3:4], null, v2, s10, 0
	v_mul_f64 v[14:15], s[18:19], v[8:9]
	v_mul_f64 v[7:8], s[20:21], v[8:9]
	s_delay_alu instid0(VALU_DEP_3) | instskip(SKIP_1) | instid1(VALU_DEP_2)
	v_add3_u32 v4, v4, v5, v6
	v_lshlrev_b64 v[5:6], 4, v[0:1]
	v_lshlrev_b64 v[3:4], 4, v[3:4]
	s_waitcnt lgkmcnt(0)
	s_delay_alu instid0(VALU_DEP_1) | instskip(NEXT) | instid1(VALU_DEP_2)
	v_add_co_u32 v1, vcc_lo, s8, v3
	v_add_co_ci_u32_e32 v3, vcc_lo, s9, v4, vcc_lo
	s_delay_alu instid0(VALU_DEP_2) | instskip(NEXT) | instid1(VALU_DEP_2)
	v_add_co_u32 v12, vcc_lo, v1, v5
	v_add_co_ci_u32_e32 v13, vcc_lo, v3, v6, vcc_lo
	v_cmp_ne_u32_e32 vcc_lo, v0, v2
	global_load_b128 v[3:6], v[12:13], off
	v_fma_f64 v[14:15], s[20:21], v[10:11], v[14:15]
	v_fma_f64 v[7:8], s[18:19], v[10:11], -v[7:8]
	s_waitcnt vmcnt(0)
	v_mul_f64 v[16:17], s[4:5], v[5:6]
	v_mul_f64 v[5:6], s[6:7], v[5:6]
	s_delay_alu instid0(VALU_DEP_2) | instskip(NEXT) | instid1(VALU_DEP_2)
	v_fma_f64 v[16:17], s[6:7], v[3:4], v[16:17]
	v_fma_f64 v[3:4], s[4:5], v[3:4], -v[5:6]
	s_delay_alu instid0(VALU_DEP_2) | instskip(NEXT) | instid1(VALU_DEP_2)
	v_add_f64 v[5:6], v[14:15], v[16:17]
	v_add_f64 v[3:4], v[7:8], v[3:4]
	s_delay_alu instid0(VALU_DEP_2)
	v_dual_cndmask_b32 v6, 0, v6 :: v_dual_cndmask_b32 v5, 0, v5
	global_store_b128 v[12:13], v[3:6], off
.LBB1817_5:
	s_nop 0
	s_sendmsg sendmsg(MSG_DEALLOC_VGPRS)
	s_endpgm
	.section	.rodata,"a",@progbits
	.p2align	6, 0x0
	.amdhsa_kernel _ZL41rocblas_syrkx_herkx_small_restrict_kernelIl19rocblas_complex_numIdELi16ELb0ELb1ELc78ELc76EKPKS1_KPS1_EviT_T0_PT6_S7_lSA_S7_lS8_PT7_S7_li
		.amdhsa_group_segment_fixed_size 8192
		.amdhsa_private_segment_fixed_size 0
		.amdhsa_kernarg_size 124
		.amdhsa_user_sgpr_count 13
		.amdhsa_user_sgpr_dispatch_ptr 0
		.amdhsa_user_sgpr_queue_ptr 0
		.amdhsa_user_sgpr_kernarg_segment_ptr 1
		.amdhsa_user_sgpr_dispatch_id 0
		.amdhsa_user_sgpr_private_segment_size 0
		.amdhsa_wavefront_size32 1
		.amdhsa_uses_dynamic_stack 0
		.amdhsa_enable_private_segment 0
		.amdhsa_system_sgpr_workgroup_id_x 1
		.amdhsa_system_sgpr_workgroup_id_y 1
		.amdhsa_system_sgpr_workgroup_id_z 1
		.amdhsa_system_sgpr_workgroup_info 0
		.amdhsa_system_vgpr_workitem_id 1
		.amdhsa_next_free_vgpr 48
		.amdhsa_next_free_sgpr 28
		.amdhsa_reserve_vcc 1
		.amdhsa_float_round_mode_32 0
		.amdhsa_float_round_mode_16_64 0
		.amdhsa_float_denorm_mode_32 3
		.amdhsa_float_denorm_mode_16_64 3
		.amdhsa_dx10_clamp 1
		.amdhsa_ieee_mode 1
		.amdhsa_fp16_overflow 0
		.amdhsa_workgroup_processor_mode 1
		.amdhsa_memory_ordered 1
		.amdhsa_forward_progress 0
		.amdhsa_shared_vgpr_count 0
		.amdhsa_exception_fp_ieee_invalid_op 0
		.amdhsa_exception_fp_denorm_src 0
		.amdhsa_exception_fp_ieee_div_zero 0
		.amdhsa_exception_fp_ieee_overflow 0
		.amdhsa_exception_fp_ieee_underflow 0
		.amdhsa_exception_fp_ieee_inexact 0
		.amdhsa_exception_int_div_zero 0
	.end_amdhsa_kernel
	.section	.text._ZL41rocblas_syrkx_herkx_small_restrict_kernelIl19rocblas_complex_numIdELi16ELb0ELb1ELc78ELc76EKPKS1_KPS1_EviT_T0_PT6_S7_lSA_S7_lS8_PT7_S7_li,"axG",@progbits,_ZL41rocblas_syrkx_herkx_small_restrict_kernelIl19rocblas_complex_numIdELi16ELb0ELb1ELc78ELc76EKPKS1_KPS1_EviT_T0_PT6_S7_lSA_S7_lS8_PT7_S7_li,comdat
.Lfunc_end1817:
	.size	_ZL41rocblas_syrkx_herkx_small_restrict_kernelIl19rocblas_complex_numIdELi16ELb0ELb1ELc78ELc76EKPKS1_KPS1_EviT_T0_PT6_S7_lSA_S7_lS8_PT7_S7_li, .Lfunc_end1817-_ZL41rocblas_syrkx_herkx_small_restrict_kernelIl19rocblas_complex_numIdELi16ELb0ELb1ELc78ELc76EKPKS1_KPS1_EviT_T0_PT6_S7_lSA_S7_lS8_PT7_S7_li
                                        ; -- End function
	.section	.AMDGPU.csdata,"",@progbits
; Kernel info:
; codeLenInByte = 1880
; NumSgprs: 30
; NumVgprs: 48
; ScratchSize: 0
; MemoryBound: 0
; FloatMode: 240
; IeeeMode: 1
; LDSByteSize: 8192 bytes/workgroup (compile time only)
; SGPRBlocks: 3
; VGPRBlocks: 5
; NumSGPRsForWavesPerEU: 30
; NumVGPRsForWavesPerEU: 48
; Occupancy: 16
; WaveLimiterHint : 1
; COMPUTE_PGM_RSRC2:SCRATCH_EN: 0
; COMPUTE_PGM_RSRC2:USER_SGPR: 13
; COMPUTE_PGM_RSRC2:TRAP_HANDLER: 0
; COMPUTE_PGM_RSRC2:TGID_X_EN: 1
; COMPUTE_PGM_RSRC2:TGID_Y_EN: 1
; COMPUTE_PGM_RSRC2:TGID_Z_EN: 1
; COMPUTE_PGM_RSRC2:TIDIG_COMP_CNT: 1
	.section	.text._ZL41rocblas_syrkx_herkx_small_restrict_kernelIl19rocblas_complex_numIdELi16ELb0ELb1ELc84ELc85EKPKS1_KPS1_EviT_T0_PT6_S7_lSA_S7_lS8_PT7_S7_li,"axG",@progbits,_ZL41rocblas_syrkx_herkx_small_restrict_kernelIl19rocblas_complex_numIdELi16ELb0ELb1ELc84ELc85EKPKS1_KPS1_EviT_T0_PT6_S7_lSA_S7_lS8_PT7_S7_li,comdat
	.globl	_ZL41rocblas_syrkx_herkx_small_restrict_kernelIl19rocblas_complex_numIdELi16ELb0ELb1ELc84ELc85EKPKS1_KPS1_EviT_T0_PT6_S7_lSA_S7_lS8_PT7_S7_li ; -- Begin function _ZL41rocblas_syrkx_herkx_small_restrict_kernelIl19rocblas_complex_numIdELi16ELb0ELb1ELc84ELc85EKPKS1_KPS1_EviT_T0_PT6_S7_lSA_S7_lS8_PT7_S7_li
	.p2align	8
	.type	_ZL41rocblas_syrkx_herkx_small_restrict_kernelIl19rocblas_complex_numIdELi16ELb0ELb1ELc84ELc85EKPKS1_KPS1_EviT_T0_PT6_S7_lSA_S7_lS8_PT7_S7_li,@function
_ZL41rocblas_syrkx_herkx_small_restrict_kernelIl19rocblas_complex_numIdELi16ELb0ELb1ELc84ELc85EKPKS1_KPS1_EviT_T0_PT6_S7_lSA_S7_lS8_PT7_S7_li: ; @_ZL41rocblas_syrkx_herkx_small_restrict_kernelIl19rocblas_complex_numIdELi16ELb0ELb1ELc84ELc85EKPKS1_KPS1_EviT_T0_PT6_S7_lSA_S7_lS8_PT7_S7_li
; %bb.0:
	s_clause 0x1
	s_load_b256 s[4:11], s[0:1], 0x50
	s_load_b256 s[16:23], s[0:1], 0x8
	s_mov_b32 s2, s15
	s_mov_b32 s3, 0
	v_and_b32_e32 v2, 0x3ff, v0
	s_lshl_b64 s[24:25], s[2:3], 3
	v_bfe_u32 v3, v0, 10, 10
	v_mov_b32_e32 v6, 0
	v_mov_b32_e32 v7, 0
	v_lshl_add_u32 v0, s13, 4, v2
	s_delay_alu instid0(VALU_DEP_4) | instskip(NEXT) | instid1(VALU_DEP_3)
	v_lshl_add_u32 v10, s14, 4, v3
	v_dual_mov_b32 v9, v7 :: v_dual_mov_b32 v8, v6
	s_delay_alu instid0(VALU_DEP_3) | instskip(NEXT) | instid1(VALU_DEP_3)
	v_ashrrev_i32_e32 v1, 31, v0
	v_ashrrev_i32_e32 v11, 31, v10
	s_waitcnt lgkmcnt(0)
	s_add_u32 s2, s8, s24
	s_addc_u32 s3, s9, s25
	s_load_b64 s[8:9], s[0:1], 0x28
	s_load_b64 s[2:3], s[2:3], 0x0
	v_cmp_lt_i64_e64 s12, s[16:17], 1
	s_delay_alu instid0(VALU_DEP_1)
	s_and_b32 vcc_lo, exec_lo, s12
	s_cbranch_vccnz .LBB1818_3
; %bb.1:
	s_load_b128 s[12:15], s[0:1], 0x38
	s_waitcnt lgkmcnt(0)
	v_mul_lo_u32 v7, v1, s8
	v_mad_u64_u32 v[4:5], null, v0, s8, 0
	v_mul_lo_u32 v6, v0, s9
	v_lshlrev_b32_e32 v17, 4, v3
	v_lshlrev_b32_e32 v16, 8, v3
	s_delay_alu instid0(VALU_DEP_3) | instskip(SKIP_2) | instid1(VALU_DEP_4)
	v_add3_u32 v5, v5, v6, v7
	v_mov_b32_e32 v6, 0
	v_dual_mov_b32 v7, 0 :: v_dual_lshlrev_b32 v12, 4, v2
	v_add_nc_u32_e32 v13, 0x1000, v16
	s_delay_alu instid0(VALU_DEP_4)
	v_lshlrev_b64 v[4:5], 4, v[4:5]
	s_add_u32 s0, s12, s24
	s_addc_u32 s1, s13, s25
	s_add_u32 s8, s22, s24
	s_load_b64 s[0:1], s[0:1], 0x0
	s_addc_u32 s9, s23, s25
	v_mul_lo_u32 v14, v10, s15
	v_mul_lo_u32 v15, v11, s14
	v_mad_u64_u32 v[8:9], null, v10, s14, 0
	s_load_b64 s[8:9], s[8:9], 0x0
	s_delay_alu instid0(VALU_DEP_1) | instskip(NEXT) | instid1(VALU_DEP_1)
	v_add3_u32 v9, v9, v14, v15
	v_lshlrev_b64 v[2:3], 4, v[8:9]
	s_waitcnt lgkmcnt(0)
	v_add_co_u32 v8, s0, s0, v12
	s_delay_alu instid0(VALU_DEP_1) | instskip(NEXT) | instid1(VALU_DEP_2)
	v_add_co_ci_u32_e64 v9, null, s1, 0, s0
	v_add_co_u32 v2, vcc_lo, v8, v2
	s_delay_alu instid0(VALU_DEP_2) | instskip(SKIP_3) | instid1(VALU_DEP_1)
	v_add_co_ci_u32_e32 v3, vcc_lo, v9, v3, vcc_lo
	v_dual_mov_b32 v9, v7 :: v_dual_mov_b32 v8, v6
	v_add_nc_u32_e32 v14, v12, v16
	v_add_co_u32 v16, s0, s8, v17
	v_add_co_ci_u32_e64 v17, null, s9, 0, s0
	v_add_nc_u32_e32 v15, v13, v12
	s_delay_alu instid0(VALU_DEP_3) | instskip(NEXT) | instid1(VALU_DEP_3)
	v_add_co_u32 v4, vcc_lo, v16, v4
	v_add_co_ci_u32_e32 v5, vcc_lo, v17, v5, vcc_lo
	s_mov_b64 s[0:1], 0
.LBB1818_2:                             ; =>This Inner Loop Header: Depth=1
	global_load_b128 v[16:19], v[4:5], off
	global_load_b128 v[20:23], v[2:3], off
	s_add_u32 s0, s0, 16
	v_add_co_u32 v2, vcc_lo, 0x100, v2
	s_addc_u32 s1, s1, 0
	v_add_co_ci_u32_e32 v3, vcc_lo, 0, v3, vcc_lo
	v_cmp_lt_i64_e64 s8, s[0:1], s[16:17]
	v_add_co_u32 v4, vcc_lo, 0x100, v4
	v_add_co_ci_u32_e32 v5, vcc_lo, 0, v5, vcc_lo
	s_waitcnt vmcnt(1)
	ds_store_2addr_b64 v14, v[16:17], v[18:19] offset1:1
	s_waitcnt vmcnt(0)
	ds_store_2addr_b64 v15, v[20:21], v[22:23] offset1:1
	s_waitcnt lgkmcnt(0)
	s_barrier
	buffer_gl0_inv
	ds_load_b128 v[16:19], v12
	ds_load_b128 v[20:23], v13
	ds_load_b128 v[24:27], v13 offset:16
	ds_load_b128 v[28:31], v12 offset:256
	s_and_b32 vcc_lo, exec_lo, s8
	s_waitcnt lgkmcnt(2)
	v_mul_f64 v[32:33], v[22:23], v[18:19]
	v_mul_f64 v[18:19], v[20:21], v[18:19]
	s_waitcnt lgkmcnt(0)
	v_mul_f64 v[38:39], v[26:27], v[30:31]
	v_mul_f64 v[40:41], v[24:25], v[30:31]
	s_delay_alu instid0(VALU_DEP_4) | instskip(NEXT) | instid1(VALU_DEP_4)
	v_fma_f64 v[42:43], v[20:21], v[16:17], -v[32:33]
	v_fma_f64 v[44:45], v[22:23], v[16:17], v[18:19]
	ds_load_b128 v[16:19], v12 offset:512
	ds_load_b128 v[20:23], v13 offset:32
	;; [unrolled: 1-line block ×4, first 2 shown]
	v_fma_f64 v[24:25], v[24:25], v[28:29], -v[38:39]
	v_fma_f64 v[26:27], v[26:27], v[28:29], v[40:41]
	s_waitcnt lgkmcnt(2)
	v_mul_f64 v[46:47], v[22:23], v[18:19]
	v_mul_f64 v[18:19], v[20:21], v[18:19]
	s_waitcnt lgkmcnt(0)
	v_mul_f64 v[28:29], v[32:33], v[36:37]
	v_mul_f64 v[36:37], v[30:31], v[36:37]
	v_add_f64 v[8:9], v[8:9], v[42:43]
	v_add_f64 v[6:7], v[6:7], v[44:45]
	v_fma_f64 v[38:39], v[20:21], v[16:17], -v[46:47]
	v_fma_f64 v[40:41], v[22:23], v[16:17], v[18:19]
	v_fma_f64 v[28:29], v[30:31], v[34:35], -v[28:29]
	v_fma_f64 v[30:31], v[32:33], v[34:35], v[36:37]
	v_add_f64 v[42:43], v[8:9], v[24:25]
	v_add_f64 v[44:45], v[6:7], v[26:27]
	ds_load_b128 v[6:9], v12 offset:1024
	ds_load_b128 v[16:19], v13 offset:64
	;; [unrolled: 1-line block ×4, first 2 shown]
	s_waitcnt lgkmcnt(2)
	v_mul_f64 v[46:47], v[18:19], v[8:9]
	v_mul_f64 v[8:9], v[16:17], v[8:9]
	s_waitcnt lgkmcnt(0)
	v_mul_f64 v[36:37], v[22:23], v[26:27]
	v_add_f64 v[32:33], v[42:43], v[38:39]
	v_add_f64 v[34:35], v[44:45], v[40:41]
	v_mul_f64 v[38:39], v[20:21], v[26:27]
	v_fma_f64 v[40:41], v[16:17], v[6:7], -v[46:47]
	v_fma_f64 v[42:43], v[18:19], v[6:7], v[8:9]
	v_fma_f64 v[20:21], v[20:21], v[24:25], -v[36:37]
	v_add_f64 v[44:45], v[32:33], v[28:29]
	v_add_f64 v[34:35], v[34:35], v[30:31]
	ds_load_b128 v[6:9], v12 offset:1536
	ds_load_b128 v[16:19], v13 offset:96
	;; [unrolled: 1-line block ×4, first 2 shown]
	v_fma_f64 v[22:23], v[22:23], v[24:25], v[38:39]
	s_waitcnt lgkmcnt(2)
	v_mul_f64 v[46:47], v[18:19], v[8:9]
	v_mul_f64 v[8:9], v[16:17], v[8:9]
	s_waitcnt lgkmcnt(0)
	v_mul_f64 v[36:37], v[28:29], v[32:33]
	v_mul_f64 v[38:39], v[26:27], v[32:33]
	v_add_f64 v[24:25], v[44:45], v[40:41]
	v_add_f64 v[34:35], v[34:35], v[42:43]
	v_fma_f64 v[40:41], v[16:17], v[6:7], -v[46:47]
	v_fma_f64 v[42:43], v[18:19], v[6:7], v[8:9]
	v_fma_f64 v[26:27], v[26:27], v[30:31], -v[36:37]
	v_fma_f64 v[28:29], v[28:29], v[30:31], v[38:39]
	v_add_f64 v[24:25], v[24:25], v[20:21]
	v_add_f64 v[44:45], v[34:35], v[22:23]
	ds_load_b128 v[6:9], v12 offset:2048
	ds_load_b128 v[16:19], v13 offset:128
	;; [unrolled: 1-line block ×4, first 2 shown]
	s_waitcnt lgkmcnt(2)
	v_mul_f64 v[46:47], v[18:19], v[8:9]
	v_mul_f64 v[8:9], v[16:17], v[8:9]
	s_waitcnt lgkmcnt(0)
	v_mul_f64 v[36:37], v[22:23], v[34:35]
	v_mul_f64 v[34:35], v[20:21], v[34:35]
	v_add_f64 v[24:25], v[24:25], v[40:41]
	v_add_f64 v[30:31], v[44:45], v[42:43]
	v_fma_f64 v[38:39], v[16:17], v[6:7], -v[46:47]
	v_fma_f64 v[40:41], v[18:19], v[6:7], v[8:9]
	v_fma_f64 v[20:21], v[20:21], v[32:33], -v[36:37]
	v_fma_f64 v[22:23], v[22:23], v[32:33], v[34:35]
	v_add_f64 v[42:43], v[24:25], v[26:27]
	v_add_f64 v[44:45], v[30:31], v[28:29]
	ds_load_b128 v[6:9], v12 offset:2560
	ds_load_b128 v[16:19], v13 offset:160
	;; [unrolled: 1-line block ×4, first 2 shown]
	s_waitcnt lgkmcnt(2)
	v_mul_f64 v[46:47], v[18:19], v[8:9]
	v_mul_f64 v[8:9], v[16:17], v[8:9]
	s_waitcnt lgkmcnt(0)
	v_mul_f64 v[36:37], v[26:27], v[30:31]
	v_add_f64 v[32:33], v[42:43], v[38:39]
	v_add_f64 v[34:35], v[44:45], v[40:41]
	v_mul_f64 v[38:39], v[24:25], v[30:31]
	v_fma_f64 v[40:41], v[16:17], v[6:7], -v[46:47]
	v_fma_f64 v[42:43], v[18:19], v[6:7], v[8:9]
	v_fma_f64 v[24:25], v[24:25], v[28:29], -v[36:37]
	v_add_f64 v[44:45], v[32:33], v[20:21]
	v_add_f64 v[34:35], v[34:35], v[22:23]
	ds_load_b128 v[6:9], v12 offset:3072
	ds_load_b128 v[16:19], v13 offset:192
	ds_load_b128 v[20:23], v13 offset:208
	ds_load_b128 v[30:33], v12 offset:3328
	v_fma_f64 v[26:27], v[26:27], v[28:29], v[38:39]
	s_waitcnt lgkmcnt(2)
	v_mul_f64 v[46:47], v[18:19], v[8:9]
	v_mul_f64 v[8:9], v[16:17], v[8:9]
	s_waitcnt lgkmcnt(0)
	v_mul_f64 v[36:37], v[22:23], v[32:33]
	v_mul_f64 v[38:39], v[20:21], v[32:33]
	v_add_f64 v[28:29], v[44:45], v[40:41]
	v_add_f64 v[34:35], v[34:35], v[42:43]
	v_fma_f64 v[40:41], v[16:17], v[6:7], -v[46:47]
	v_fma_f64 v[42:43], v[18:19], v[6:7], v[8:9]
	v_fma_f64 v[20:21], v[20:21], v[30:31], -v[36:37]
	v_fma_f64 v[22:23], v[22:23], v[30:31], v[38:39]
	v_add_f64 v[28:29], v[28:29], v[24:25]
	v_add_f64 v[44:45], v[34:35], v[26:27]
	ds_load_b128 v[6:9], v12 offset:3584
	ds_load_b128 v[16:19], v13 offset:224
	;; [unrolled: 1-line block ×4, first 2 shown]
	s_waitcnt lgkmcnt(0)
	s_barrier
	buffer_gl0_inv
	v_mul_f64 v[46:47], v[18:19], v[8:9]
	v_mul_f64 v[8:9], v[16:17], v[8:9]
	;; [unrolled: 1-line block ×4, first 2 shown]
	v_add_f64 v[28:29], v[28:29], v[40:41]
	v_add_f64 v[30:31], v[44:45], v[42:43]
	v_fma_f64 v[16:17], v[16:17], v[6:7], -v[46:47]
	v_fma_f64 v[6:7], v[18:19], v[6:7], v[8:9]
	s_delay_alu instid0(VALU_DEP_4) | instskip(NEXT) | instid1(VALU_DEP_4)
	v_add_f64 v[8:9], v[28:29], v[20:21]
	v_add_f64 v[18:19], v[30:31], v[22:23]
	v_fma_f64 v[20:21], v[24:25], v[32:33], -v[36:37]
	v_fma_f64 v[22:23], v[26:27], v[32:33], v[34:35]
	s_delay_alu instid0(VALU_DEP_4) | instskip(NEXT) | instid1(VALU_DEP_4)
	v_add_f64 v[8:9], v[8:9], v[16:17]
	v_add_f64 v[6:7], v[18:19], v[6:7]
	s_delay_alu instid0(VALU_DEP_2) | instskip(NEXT) | instid1(VALU_DEP_2)
	v_add_f64 v[8:9], v[8:9], v[20:21]
	v_add_f64 v[6:7], v[6:7], v[22:23]
	s_cbranch_vccnz .LBB1818_2
.LBB1818_3:
	s_mov_b32 s0, exec_lo
	v_cmpx_le_i32_e64 v0, v10
	s_cbranch_execz .LBB1818_5
; %bb.4:
	v_mul_lo_u32 v4, v10, s11
	v_mul_lo_u32 v5, v11, s10
	v_mad_u64_u32 v[2:3], null, v10, s10, 0
	v_mul_f64 v[13:14], s[18:19], v[6:7]
	s_delay_alu instid0(VALU_DEP_2) | instskip(SKIP_1) | instid1(VALU_DEP_2)
	v_add3_u32 v3, v3, v4, v5
	v_lshlrev_b64 v[4:5], 4, v[0:1]
	v_lshlrev_b64 v[2:3], 4, v[2:3]
	s_waitcnt lgkmcnt(0)
	s_delay_alu instid0(VALU_DEP_1) | instskip(NEXT) | instid1(VALU_DEP_2)
	v_add_co_u32 v1, vcc_lo, s2, v2
	v_add_co_ci_u32_e32 v2, vcc_lo, s3, v3, vcc_lo
	s_delay_alu instid0(VALU_DEP_2) | instskip(NEXT) | instid1(VALU_DEP_2)
	v_add_co_u32 v11, vcc_lo, v1, v4
	v_add_co_ci_u32_e32 v12, vcc_lo, v2, v5, vcc_lo
	v_mul_f64 v[5:6], s[20:21], v[6:7]
	v_cmp_ne_u32_e32 vcc_lo, v0, v10
	global_load_b128 v[1:4], v[11:12], off
	v_fma_f64 v[13:14], s[20:21], v[8:9], v[13:14]
	v_fma_f64 v[5:6], s[18:19], v[8:9], -v[5:6]
	s_waitcnt vmcnt(0)
	v_mul_f64 v[15:16], s[4:5], v[3:4]
	v_mul_f64 v[3:4], s[6:7], v[3:4]
	s_delay_alu instid0(VALU_DEP_2) | instskip(NEXT) | instid1(VALU_DEP_2)
	v_fma_f64 v[15:16], s[6:7], v[1:2], v[15:16]
	v_fma_f64 v[1:2], s[4:5], v[1:2], -v[3:4]
	s_delay_alu instid0(VALU_DEP_2) | instskip(NEXT) | instid1(VALU_DEP_2)
	v_add_f64 v[3:4], v[13:14], v[15:16]
	v_add_f64 v[1:2], v[5:6], v[1:2]
	s_delay_alu instid0(VALU_DEP_2)
	v_dual_cndmask_b32 v4, 0, v4 :: v_dual_cndmask_b32 v3, 0, v3
	global_store_b128 v[11:12], v[1:4], off
.LBB1818_5:
	s_nop 0
	s_sendmsg sendmsg(MSG_DEALLOC_VGPRS)
	s_endpgm
	.section	.rodata,"a",@progbits
	.p2align	6, 0x0
	.amdhsa_kernel _ZL41rocblas_syrkx_herkx_small_restrict_kernelIl19rocblas_complex_numIdELi16ELb0ELb1ELc84ELc85EKPKS1_KPS1_EviT_T0_PT6_S7_lSA_S7_lS8_PT7_S7_li
		.amdhsa_group_segment_fixed_size 8192
		.amdhsa_private_segment_fixed_size 0
		.amdhsa_kernarg_size 124
		.amdhsa_user_sgpr_count 13
		.amdhsa_user_sgpr_dispatch_ptr 0
		.amdhsa_user_sgpr_queue_ptr 0
		.amdhsa_user_sgpr_kernarg_segment_ptr 1
		.amdhsa_user_sgpr_dispatch_id 0
		.amdhsa_user_sgpr_private_segment_size 0
		.amdhsa_wavefront_size32 1
		.amdhsa_uses_dynamic_stack 0
		.amdhsa_enable_private_segment 0
		.amdhsa_system_sgpr_workgroup_id_x 1
		.amdhsa_system_sgpr_workgroup_id_y 1
		.amdhsa_system_sgpr_workgroup_id_z 1
		.amdhsa_system_sgpr_workgroup_info 0
		.amdhsa_system_vgpr_workitem_id 1
		.amdhsa_next_free_vgpr 48
		.amdhsa_next_free_sgpr 26
		.amdhsa_reserve_vcc 1
		.amdhsa_float_round_mode_32 0
		.amdhsa_float_round_mode_16_64 0
		.amdhsa_float_denorm_mode_32 3
		.amdhsa_float_denorm_mode_16_64 3
		.amdhsa_dx10_clamp 1
		.amdhsa_ieee_mode 1
		.amdhsa_fp16_overflow 0
		.amdhsa_workgroup_processor_mode 1
		.amdhsa_memory_ordered 1
		.amdhsa_forward_progress 0
		.amdhsa_shared_vgpr_count 0
		.amdhsa_exception_fp_ieee_invalid_op 0
		.amdhsa_exception_fp_denorm_src 0
		.amdhsa_exception_fp_ieee_div_zero 0
		.amdhsa_exception_fp_ieee_overflow 0
		.amdhsa_exception_fp_ieee_underflow 0
		.amdhsa_exception_fp_ieee_inexact 0
		.amdhsa_exception_int_div_zero 0
	.end_amdhsa_kernel
	.section	.text._ZL41rocblas_syrkx_herkx_small_restrict_kernelIl19rocblas_complex_numIdELi16ELb0ELb1ELc84ELc85EKPKS1_KPS1_EviT_T0_PT6_S7_lSA_S7_lS8_PT7_S7_li,"axG",@progbits,_ZL41rocblas_syrkx_herkx_small_restrict_kernelIl19rocblas_complex_numIdELi16ELb0ELb1ELc84ELc85EKPKS1_KPS1_EviT_T0_PT6_S7_lSA_S7_lS8_PT7_S7_li,comdat
.Lfunc_end1818:
	.size	_ZL41rocblas_syrkx_herkx_small_restrict_kernelIl19rocblas_complex_numIdELi16ELb0ELb1ELc84ELc85EKPKS1_KPS1_EviT_T0_PT6_S7_lSA_S7_lS8_PT7_S7_li, .Lfunc_end1818-_ZL41rocblas_syrkx_herkx_small_restrict_kernelIl19rocblas_complex_numIdELi16ELb0ELb1ELc84ELc85EKPKS1_KPS1_EviT_T0_PT6_S7_lSA_S7_lS8_PT7_S7_li
                                        ; -- End function
	.section	.AMDGPU.csdata,"",@progbits
; Kernel info:
; codeLenInByte = 1864
; NumSgprs: 28
; NumVgprs: 48
; ScratchSize: 0
; MemoryBound: 0
; FloatMode: 240
; IeeeMode: 1
; LDSByteSize: 8192 bytes/workgroup (compile time only)
; SGPRBlocks: 3
; VGPRBlocks: 5
; NumSGPRsForWavesPerEU: 28
; NumVGPRsForWavesPerEU: 48
; Occupancy: 16
; WaveLimiterHint : 1
; COMPUTE_PGM_RSRC2:SCRATCH_EN: 0
; COMPUTE_PGM_RSRC2:USER_SGPR: 13
; COMPUTE_PGM_RSRC2:TRAP_HANDLER: 0
; COMPUTE_PGM_RSRC2:TGID_X_EN: 1
; COMPUTE_PGM_RSRC2:TGID_Y_EN: 1
; COMPUTE_PGM_RSRC2:TGID_Z_EN: 1
; COMPUTE_PGM_RSRC2:TIDIG_COMP_CNT: 1
	.section	.text._ZL41rocblas_syrkx_herkx_small_restrict_kernelIl19rocblas_complex_numIdELi16ELb0ELb1ELc67ELc85EKPKS1_KPS1_EviT_T0_PT6_S7_lSA_S7_lS8_PT7_S7_li,"axG",@progbits,_ZL41rocblas_syrkx_herkx_small_restrict_kernelIl19rocblas_complex_numIdELi16ELb0ELb1ELc67ELc85EKPKS1_KPS1_EviT_T0_PT6_S7_lSA_S7_lS8_PT7_S7_li,comdat
	.globl	_ZL41rocblas_syrkx_herkx_small_restrict_kernelIl19rocblas_complex_numIdELi16ELb0ELb1ELc67ELc85EKPKS1_KPS1_EviT_T0_PT6_S7_lSA_S7_lS8_PT7_S7_li ; -- Begin function _ZL41rocblas_syrkx_herkx_small_restrict_kernelIl19rocblas_complex_numIdELi16ELb0ELb1ELc67ELc85EKPKS1_KPS1_EviT_T0_PT6_S7_lSA_S7_lS8_PT7_S7_li
	.p2align	8
	.type	_ZL41rocblas_syrkx_herkx_small_restrict_kernelIl19rocblas_complex_numIdELi16ELb0ELb1ELc67ELc85EKPKS1_KPS1_EviT_T0_PT6_S7_lSA_S7_lS8_PT7_S7_li,@function
_ZL41rocblas_syrkx_herkx_small_restrict_kernelIl19rocblas_complex_numIdELi16ELb0ELb1ELc67ELc85EKPKS1_KPS1_EviT_T0_PT6_S7_lSA_S7_lS8_PT7_S7_li: ; @_ZL41rocblas_syrkx_herkx_small_restrict_kernelIl19rocblas_complex_numIdELi16ELb0ELb1ELc67ELc85EKPKS1_KPS1_EviT_T0_PT6_S7_lSA_S7_lS8_PT7_S7_li
; %bb.0:
	s_clause 0x1
	s_load_b256 s[4:11], s[0:1], 0x50
	s_load_b256 s[16:23], s[0:1], 0x8
	s_mov_b32 s2, s15
	s_mov_b32 s3, 0
	v_dual_mov_b32 v6, 0 :: v_dual_and_b32 v3, 0x3ff, v0
	s_lshl_b64 s[24:25], s[2:3], 3
	v_bfe_u32 v2, v0, 10, 10
	v_mov_b32_e32 v7, 0
	s_delay_alu instid0(VALU_DEP_3) | instskip(NEXT) | instid1(VALU_DEP_3)
	v_lshl_add_u32 v0, s13, 4, v3
	v_lshl_add_u32 v10, s14, 4, v2
	s_delay_alu instid0(VALU_DEP_3) | instskip(NEXT) | instid1(VALU_DEP_3)
	v_dual_mov_b32 v9, v7 :: v_dual_mov_b32 v8, v6
	v_ashrrev_i32_e32 v1, 31, v0
	s_delay_alu instid0(VALU_DEP_3)
	v_ashrrev_i32_e32 v11, 31, v10
	s_waitcnt lgkmcnt(0)
	s_add_u32 s2, s8, s24
	s_addc_u32 s3, s9, s25
	s_load_b64 s[8:9], s[0:1], 0x28
	s_load_b64 s[2:3], s[2:3], 0x0
	v_cmp_lt_i64_e64 s12, s[16:17], 1
	s_delay_alu instid0(VALU_DEP_1)
	s_and_b32 vcc_lo, exec_lo, s12
	s_cbranch_vccnz .LBB1819_3
; %bb.1:
	s_load_b128 s[12:15], s[0:1], 0x38
	s_waitcnt lgkmcnt(0)
	v_mul_lo_u32 v6, s9, v0
	v_mul_lo_u32 v7, s8, v1
	v_mad_u64_u32 v[4:5], null, s8, v0, 0
	v_lshlrev_b32_e32 v14, 8, v2
	v_lshlrev_b32_e32 v18, 4, v2
	s_delay_alu instid0(VALU_DEP_3) | instskip(SKIP_3) | instid1(VALU_DEP_4)
	v_add3_u32 v5, v5, v7, v6
	v_mov_b32_e32 v6, 0
	v_dual_mov_b32 v7, 0 :: v_dual_lshlrev_b32 v12, 4, v3
	v_add_nc_u32_e32 v13, 0x1000, v14
	v_lshlrev_b64 v[2:3], 4, v[4:5]
	s_add_u32 s0, s12, s24
	s_addc_u32 s1, s13, s25
	s_add_u32 s8, s22, s24
	s_load_b64 s[0:1], s[0:1], 0x0
	s_addc_u32 s9, s23, s25
	v_mul_lo_u32 v16, v10, s15
	s_load_b64 s[8:9], s[8:9], 0x0
	v_mul_lo_u32 v17, v11, s14
	v_mad_u64_u32 v[8:9], null, v10, s14, 0
	v_add_co_u32 v4, vcc_lo, v2, v18
	v_add_co_ci_u32_e32 v5, vcc_lo, 0, v3, vcc_lo
	s_delay_alu instid0(VALU_DEP_3) | instskip(NEXT) | instid1(VALU_DEP_1)
	v_add3_u32 v9, v9, v16, v17
	v_lshlrev_b64 v[2:3], 4, v[8:9]
	s_waitcnt lgkmcnt(0)
	v_add_co_u32 v8, s0, s0, v12
	s_delay_alu instid0(VALU_DEP_1) | instskip(SKIP_2) | instid1(VALU_DEP_4)
	v_add_co_ci_u32_e64 v9, null, s1, 0, s0
	v_add_co_u32 v4, vcc_lo, v4, s8
	v_add_co_ci_u32_e32 v5, vcc_lo, s9, v5, vcc_lo
	v_add_co_u32 v2, vcc_lo, v8, v2
	s_delay_alu instid0(VALU_DEP_4) | instskip(NEXT) | instid1(VALU_DEP_4)
	v_add_co_ci_u32_e32 v3, vcc_lo, v9, v3, vcc_lo
	v_add_co_u32 v4, vcc_lo, v4, 8
	v_dual_mov_b32 v9, v7 :: v_dual_mov_b32 v8, v6
	v_add_nc_u32_e32 v14, v12, v14
	v_add_nc_u32_e32 v15, v13, v12
	v_add_co_ci_u32_e32 v5, vcc_lo, 0, v5, vcc_lo
	s_mov_b64 s[0:1], 0
.LBB1819_2:                             ; =>This Inner Loop Header: Depth=1
	global_load_b128 v[16:19], v[4:5], off offset:-8
	global_load_b128 v[20:23], v[2:3], off
	s_add_u32 s0, s0, 16
	v_add_co_u32 v2, vcc_lo, 0x100, v2
	s_addc_u32 s1, s1, 0
	v_add_co_ci_u32_e32 v3, vcc_lo, 0, v3, vcc_lo
	v_cmp_lt_i64_e64 s8, s[0:1], s[16:17]
	v_add_co_u32 v4, vcc_lo, 0x100, v4
	v_add_co_ci_u32_e32 v5, vcc_lo, 0, v5, vcc_lo
	s_delay_alu instid0(VALU_DEP_3)
	s_and_b32 vcc_lo, exec_lo, s8
	s_waitcnt vmcnt(1)
	v_xor_b32_e32 v19, 0x80000000, v19
	ds_store_b128 v14, v[16:19]
	s_waitcnt vmcnt(0)
	ds_store_2addr_b64 v15, v[20:21], v[22:23] offset1:1
	s_waitcnt lgkmcnt(0)
	s_barrier
	buffer_gl0_inv
	ds_load_b128 v[16:19], v12
	ds_load_b128 v[20:23], v13
	ds_load_b128 v[24:27], v13 offset:16
	ds_load_b128 v[28:31], v12 offset:256
	s_waitcnt lgkmcnt(2)
	v_mul_f64 v[32:33], v[22:23], v[18:19]
	v_mul_f64 v[18:19], v[20:21], v[18:19]
	s_waitcnt lgkmcnt(0)
	v_mul_f64 v[38:39], v[26:27], v[30:31]
	v_mul_f64 v[40:41], v[24:25], v[30:31]
	s_delay_alu instid0(VALU_DEP_4) | instskip(NEXT) | instid1(VALU_DEP_4)
	v_fma_f64 v[42:43], v[20:21], v[16:17], -v[32:33]
	v_fma_f64 v[44:45], v[22:23], v[16:17], v[18:19]
	ds_load_b128 v[16:19], v12 offset:512
	ds_load_b128 v[20:23], v13 offset:32
	;; [unrolled: 1-line block ×4, first 2 shown]
	v_fma_f64 v[24:25], v[24:25], v[28:29], -v[38:39]
	v_fma_f64 v[26:27], v[26:27], v[28:29], v[40:41]
	s_waitcnt lgkmcnt(2)
	v_mul_f64 v[46:47], v[22:23], v[18:19]
	v_mul_f64 v[18:19], v[20:21], v[18:19]
	s_waitcnt lgkmcnt(0)
	v_mul_f64 v[28:29], v[32:33], v[36:37]
	v_mul_f64 v[36:37], v[30:31], v[36:37]
	v_add_f64 v[8:9], v[8:9], v[42:43]
	v_add_f64 v[6:7], v[6:7], v[44:45]
	v_fma_f64 v[38:39], v[20:21], v[16:17], -v[46:47]
	v_fma_f64 v[40:41], v[22:23], v[16:17], v[18:19]
	v_fma_f64 v[28:29], v[30:31], v[34:35], -v[28:29]
	v_fma_f64 v[30:31], v[32:33], v[34:35], v[36:37]
	v_add_f64 v[42:43], v[8:9], v[24:25]
	v_add_f64 v[44:45], v[6:7], v[26:27]
	ds_load_b128 v[6:9], v12 offset:1024
	ds_load_b128 v[16:19], v13 offset:64
	ds_load_b128 v[20:23], v13 offset:80
	ds_load_b128 v[24:27], v12 offset:1280
	s_waitcnt lgkmcnt(2)
	v_mul_f64 v[46:47], v[18:19], v[8:9]
	v_mul_f64 v[8:9], v[16:17], v[8:9]
	s_waitcnt lgkmcnt(0)
	v_mul_f64 v[36:37], v[22:23], v[26:27]
	v_add_f64 v[32:33], v[42:43], v[38:39]
	v_add_f64 v[34:35], v[44:45], v[40:41]
	v_mul_f64 v[38:39], v[20:21], v[26:27]
	v_fma_f64 v[40:41], v[16:17], v[6:7], -v[46:47]
	v_fma_f64 v[42:43], v[18:19], v[6:7], v[8:9]
	v_fma_f64 v[20:21], v[20:21], v[24:25], -v[36:37]
	v_add_f64 v[44:45], v[32:33], v[28:29]
	v_add_f64 v[34:35], v[34:35], v[30:31]
	ds_load_b128 v[6:9], v12 offset:1536
	ds_load_b128 v[16:19], v13 offset:96
	;; [unrolled: 1-line block ×4, first 2 shown]
	v_fma_f64 v[22:23], v[22:23], v[24:25], v[38:39]
	s_waitcnt lgkmcnt(2)
	v_mul_f64 v[46:47], v[18:19], v[8:9]
	v_mul_f64 v[8:9], v[16:17], v[8:9]
	s_waitcnt lgkmcnt(0)
	v_mul_f64 v[36:37], v[28:29], v[32:33]
	v_mul_f64 v[38:39], v[26:27], v[32:33]
	v_add_f64 v[24:25], v[44:45], v[40:41]
	v_add_f64 v[34:35], v[34:35], v[42:43]
	v_fma_f64 v[40:41], v[16:17], v[6:7], -v[46:47]
	v_fma_f64 v[42:43], v[18:19], v[6:7], v[8:9]
	v_fma_f64 v[26:27], v[26:27], v[30:31], -v[36:37]
	v_fma_f64 v[28:29], v[28:29], v[30:31], v[38:39]
	v_add_f64 v[24:25], v[24:25], v[20:21]
	v_add_f64 v[44:45], v[34:35], v[22:23]
	ds_load_b128 v[6:9], v12 offset:2048
	ds_load_b128 v[16:19], v13 offset:128
	;; [unrolled: 1-line block ×4, first 2 shown]
	s_waitcnt lgkmcnt(2)
	v_mul_f64 v[46:47], v[18:19], v[8:9]
	v_mul_f64 v[8:9], v[16:17], v[8:9]
	s_waitcnt lgkmcnt(0)
	v_mul_f64 v[36:37], v[22:23], v[34:35]
	v_mul_f64 v[34:35], v[20:21], v[34:35]
	v_add_f64 v[24:25], v[24:25], v[40:41]
	v_add_f64 v[30:31], v[44:45], v[42:43]
	v_fma_f64 v[38:39], v[16:17], v[6:7], -v[46:47]
	v_fma_f64 v[40:41], v[18:19], v[6:7], v[8:9]
	v_fma_f64 v[20:21], v[20:21], v[32:33], -v[36:37]
	v_fma_f64 v[22:23], v[22:23], v[32:33], v[34:35]
	v_add_f64 v[42:43], v[24:25], v[26:27]
	v_add_f64 v[44:45], v[30:31], v[28:29]
	ds_load_b128 v[6:9], v12 offset:2560
	ds_load_b128 v[16:19], v13 offset:160
	;; [unrolled: 1-line block ×4, first 2 shown]
	s_waitcnt lgkmcnt(2)
	v_mul_f64 v[46:47], v[18:19], v[8:9]
	v_mul_f64 v[8:9], v[16:17], v[8:9]
	s_waitcnt lgkmcnt(0)
	v_mul_f64 v[36:37], v[26:27], v[30:31]
	v_add_f64 v[32:33], v[42:43], v[38:39]
	v_add_f64 v[34:35], v[44:45], v[40:41]
	v_mul_f64 v[38:39], v[24:25], v[30:31]
	v_fma_f64 v[40:41], v[16:17], v[6:7], -v[46:47]
	v_fma_f64 v[42:43], v[18:19], v[6:7], v[8:9]
	v_fma_f64 v[24:25], v[24:25], v[28:29], -v[36:37]
	v_add_f64 v[44:45], v[32:33], v[20:21]
	v_add_f64 v[34:35], v[34:35], v[22:23]
	ds_load_b128 v[6:9], v12 offset:3072
	ds_load_b128 v[16:19], v13 offset:192
	;; [unrolled: 1-line block ×4, first 2 shown]
	v_fma_f64 v[26:27], v[26:27], v[28:29], v[38:39]
	s_waitcnt lgkmcnt(2)
	v_mul_f64 v[46:47], v[18:19], v[8:9]
	v_mul_f64 v[8:9], v[16:17], v[8:9]
	s_waitcnt lgkmcnt(0)
	v_mul_f64 v[36:37], v[22:23], v[32:33]
	v_mul_f64 v[38:39], v[20:21], v[32:33]
	v_add_f64 v[28:29], v[44:45], v[40:41]
	v_add_f64 v[34:35], v[34:35], v[42:43]
	v_fma_f64 v[40:41], v[16:17], v[6:7], -v[46:47]
	v_fma_f64 v[42:43], v[18:19], v[6:7], v[8:9]
	v_fma_f64 v[20:21], v[20:21], v[30:31], -v[36:37]
	v_fma_f64 v[22:23], v[22:23], v[30:31], v[38:39]
	v_add_f64 v[28:29], v[28:29], v[24:25]
	v_add_f64 v[44:45], v[34:35], v[26:27]
	ds_load_b128 v[6:9], v12 offset:3584
	ds_load_b128 v[16:19], v13 offset:224
	;; [unrolled: 1-line block ×4, first 2 shown]
	s_waitcnt lgkmcnt(0)
	s_barrier
	buffer_gl0_inv
	v_mul_f64 v[46:47], v[18:19], v[8:9]
	v_mul_f64 v[8:9], v[16:17], v[8:9]
	;; [unrolled: 1-line block ×4, first 2 shown]
	v_add_f64 v[28:29], v[28:29], v[40:41]
	v_add_f64 v[30:31], v[44:45], v[42:43]
	v_fma_f64 v[16:17], v[16:17], v[6:7], -v[46:47]
	v_fma_f64 v[6:7], v[18:19], v[6:7], v[8:9]
	s_delay_alu instid0(VALU_DEP_4) | instskip(NEXT) | instid1(VALU_DEP_4)
	v_add_f64 v[8:9], v[28:29], v[20:21]
	v_add_f64 v[18:19], v[30:31], v[22:23]
	v_fma_f64 v[20:21], v[24:25], v[32:33], -v[36:37]
	v_fma_f64 v[22:23], v[26:27], v[32:33], v[34:35]
	s_delay_alu instid0(VALU_DEP_4) | instskip(NEXT) | instid1(VALU_DEP_4)
	v_add_f64 v[8:9], v[8:9], v[16:17]
	v_add_f64 v[6:7], v[18:19], v[6:7]
	s_delay_alu instid0(VALU_DEP_2) | instskip(NEXT) | instid1(VALU_DEP_2)
	v_add_f64 v[8:9], v[8:9], v[20:21]
	v_add_f64 v[6:7], v[6:7], v[22:23]
	s_cbranch_vccnz .LBB1819_2
.LBB1819_3:
	s_mov_b32 s0, exec_lo
	v_cmpx_le_i32_e64 v0, v10
	s_cbranch_execz .LBB1819_5
; %bb.4:
	v_mul_lo_u32 v4, v10, s11
	v_mul_lo_u32 v5, v11, s10
	v_mad_u64_u32 v[2:3], null, v10, s10, 0
	v_mul_f64 v[13:14], s[18:19], v[6:7]
	s_delay_alu instid0(VALU_DEP_2) | instskip(SKIP_1) | instid1(VALU_DEP_2)
	v_add3_u32 v3, v3, v4, v5
	v_lshlrev_b64 v[4:5], 4, v[0:1]
	v_lshlrev_b64 v[2:3], 4, v[2:3]
	s_waitcnt lgkmcnt(0)
	s_delay_alu instid0(VALU_DEP_1) | instskip(NEXT) | instid1(VALU_DEP_2)
	v_add_co_u32 v1, vcc_lo, s2, v2
	v_add_co_ci_u32_e32 v2, vcc_lo, s3, v3, vcc_lo
	s_delay_alu instid0(VALU_DEP_2) | instskip(NEXT) | instid1(VALU_DEP_2)
	v_add_co_u32 v11, vcc_lo, v1, v4
	v_add_co_ci_u32_e32 v12, vcc_lo, v2, v5, vcc_lo
	v_mul_f64 v[5:6], s[20:21], v[6:7]
	v_cmp_ne_u32_e32 vcc_lo, v0, v10
	global_load_b128 v[1:4], v[11:12], off
	v_fma_f64 v[13:14], s[20:21], v[8:9], v[13:14]
	v_fma_f64 v[5:6], s[18:19], v[8:9], -v[5:6]
	s_waitcnt vmcnt(0)
	v_mul_f64 v[15:16], s[4:5], v[3:4]
	v_mul_f64 v[3:4], s[6:7], v[3:4]
	s_delay_alu instid0(VALU_DEP_2) | instskip(NEXT) | instid1(VALU_DEP_2)
	v_fma_f64 v[15:16], s[6:7], v[1:2], v[15:16]
	v_fma_f64 v[1:2], s[4:5], v[1:2], -v[3:4]
	s_delay_alu instid0(VALU_DEP_2) | instskip(NEXT) | instid1(VALU_DEP_2)
	v_add_f64 v[3:4], v[13:14], v[15:16]
	v_add_f64 v[1:2], v[5:6], v[1:2]
	s_delay_alu instid0(VALU_DEP_2)
	v_dual_cndmask_b32 v4, 0, v4 :: v_dual_cndmask_b32 v3, 0, v3
	global_store_b128 v[11:12], v[1:4], off
.LBB1819_5:
	s_nop 0
	s_sendmsg sendmsg(MSG_DEALLOC_VGPRS)
	s_endpgm
	.section	.rodata,"a",@progbits
	.p2align	6, 0x0
	.amdhsa_kernel _ZL41rocblas_syrkx_herkx_small_restrict_kernelIl19rocblas_complex_numIdELi16ELb0ELb1ELc67ELc85EKPKS1_KPS1_EviT_T0_PT6_S7_lSA_S7_lS8_PT7_S7_li
		.amdhsa_group_segment_fixed_size 8192
		.amdhsa_private_segment_fixed_size 0
		.amdhsa_kernarg_size 124
		.amdhsa_user_sgpr_count 13
		.amdhsa_user_sgpr_dispatch_ptr 0
		.amdhsa_user_sgpr_queue_ptr 0
		.amdhsa_user_sgpr_kernarg_segment_ptr 1
		.amdhsa_user_sgpr_dispatch_id 0
		.amdhsa_user_sgpr_private_segment_size 0
		.amdhsa_wavefront_size32 1
		.amdhsa_uses_dynamic_stack 0
		.amdhsa_enable_private_segment 0
		.amdhsa_system_sgpr_workgroup_id_x 1
		.amdhsa_system_sgpr_workgroup_id_y 1
		.amdhsa_system_sgpr_workgroup_id_z 1
		.amdhsa_system_sgpr_workgroup_info 0
		.amdhsa_system_vgpr_workitem_id 1
		.amdhsa_next_free_vgpr 48
		.amdhsa_next_free_sgpr 26
		.amdhsa_reserve_vcc 1
		.amdhsa_float_round_mode_32 0
		.amdhsa_float_round_mode_16_64 0
		.amdhsa_float_denorm_mode_32 3
		.amdhsa_float_denorm_mode_16_64 3
		.amdhsa_dx10_clamp 1
		.amdhsa_ieee_mode 1
		.amdhsa_fp16_overflow 0
		.amdhsa_workgroup_processor_mode 1
		.amdhsa_memory_ordered 1
		.amdhsa_forward_progress 0
		.amdhsa_shared_vgpr_count 0
		.amdhsa_exception_fp_ieee_invalid_op 0
		.amdhsa_exception_fp_denorm_src 0
		.amdhsa_exception_fp_ieee_div_zero 0
		.amdhsa_exception_fp_ieee_overflow 0
		.amdhsa_exception_fp_ieee_underflow 0
		.amdhsa_exception_fp_ieee_inexact 0
		.amdhsa_exception_int_div_zero 0
	.end_amdhsa_kernel
	.section	.text._ZL41rocblas_syrkx_herkx_small_restrict_kernelIl19rocblas_complex_numIdELi16ELb0ELb1ELc67ELc85EKPKS1_KPS1_EviT_T0_PT6_S7_lSA_S7_lS8_PT7_S7_li,"axG",@progbits,_ZL41rocblas_syrkx_herkx_small_restrict_kernelIl19rocblas_complex_numIdELi16ELb0ELb1ELc67ELc85EKPKS1_KPS1_EviT_T0_PT6_S7_lSA_S7_lS8_PT7_S7_li,comdat
.Lfunc_end1819:
	.size	_ZL41rocblas_syrkx_herkx_small_restrict_kernelIl19rocblas_complex_numIdELi16ELb0ELb1ELc67ELc85EKPKS1_KPS1_EviT_T0_PT6_S7_lSA_S7_lS8_PT7_S7_li, .Lfunc_end1819-_ZL41rocblas_syrkx_herkx_small_restrict_kernelIl19rocblas_complex_numIdELi16ELb0ELb1ELc67ELc85EKPKS1_KPS1_EviT_T0_PT6_S7_lSA_S7_lS8_PT7_S7_li
                                        ; -- End function
	.section	.AMDGPU.csdata,"",@progbits
; Kernel info:
; codeLenInByte = 1880
; NumSgprs: 28
; NumVgprs: 48
; ScratchSize: 0
; MemoryBound: 0
; FloatMode: 240
; IeeeMode: 1
; LDSByteSize: 8192 bytes/workgroup (compile time only)
; SGPRBlocks: 3
; VGPRBlocks: 5
; NumSGPRsForWavesPerEU: 28
; NumVGPRsForWavesPerEU: 48
; Occupancy: 16
; WaveLimiterHint : 1
; COMPUTE_PGM_RSRC2:SCRATCH_EN: 0
; COMPUTE_PGM_RSRC2:USER_SGPR: 13
; COMPUTE_PGM_RSRC2:TRAP_HANDLER: 0
; COMPUTE_PGM_RSRC2:TGID_X_EN: 1
; COMPUTE_PGM_RSRC2:TGID_Y_EN: 1
; COMPUTE_PGM_RSRC2:TGID_Z_EN: 1
; COMPUTE_PGM_RSRC2:TIDIG_COMP_CNT: 1
	.section	.text._ZL41rocblas_syrkx_herkx_small_restrict_kernelIl19rocblas_complex_numIdELi16ELb0ELb1ELc78ELc85EKPKS1_KPS1_EviT_T0_PT6_S7_lSA_S7_lS8_PT7_S7_li,"axG",@progbits,_ZL41rocblas_syrkx_herkx_small_restrict_kernelIl19rocblas_complex_numIdELi16ELb0ELb1ELc78ELc85EKPKS1_KPS1_EviT_T0_PT6_S7_lSA_S7_lS8_PT7_S7_li,comdat
	.globl	_ZL41rocblas_syrkx_herkx_small_restrict_kernelIl19rocblas_complex_numIdELi16ELb0ELb1ELc78ELc85EKPKS1_KPS1_EviT_T0_PT6_S7_lSA_S7_lS8_PT7_S7_li ; -- Begin function _ZL41rocblas_syrkx_herkx_small_restrict_kernelIl19rocblas_complex_numIdELi16ELb0ELb1ELc78ELc85EKPKS1_KPS1_EviT_T0_PT6_S7_lSA_S7_lS8_PT7_S7_li
	.p2align	8
	.type	_ZL41rocblas_syrkx_herkx_small_restrict_kernelIl19rocblas_complex_numIdELi16ELb0ELb1ELc78ELc85EKPKS1_KPS1_EviT_T0_PT6_S7_lSA_S7_lS8_PT7_S7_li,@function
_ZL41rocblas_syrkx_herkx_small_restrict_kernelIl19rocblas_complex_numIdELi16ELb0ELb1ELc78ELc85EKPKS1_KPS1_EviT_T0_PT6_S7_lSA_S7_lS8_PT7_S7_li: ; @_ZL41rocblas_syrkx_herkx_small_restrict_kernelIl19rocblas_complex_numIdELi16ELb0ELb1ELc78ELc85EKPKS1_KPS1_EviT_T0_PT6_S7_lSA_S7_lS8_PT7_S7_li
; %bb.0:
	s_clause 0x1
	s_load_b256 s[4:11], s[0:1], 0x50
	s_load_b256 s[16:23], s[0:1], 0x8
	s_mov_b32 s2, s15
	s_mov_b32 s3, 0
	v_dual_mov_b32 v8, 0 :: v_dual_and_b32 v5, 0x3ff, v0
	s_lshl_b64 s[26:27], s[2:3], 3
	v_bfe_u32 v4, v0, 10, 10
	v_mov_b32_e32 v9, 0
	s_delay_alu instid0(VALU_DEP_3) | instskip(NEXT) | instid1(VALU_DEP_3)
	v_lshl_add_u32 v0, s13, 4, v5
	v_lshl_add_u32 v2, s14, 4, v4
	s_delay_alu instid0(VALU_DEP_3) | instskip(NEXT) | instid1(VALU_DEP_3)
	v_dual_mov_b32 v11, v9 :: v_dual_mov_b32 v10, v8
	v_ashrrev_i32_e32 v1, 31, v0
	s_delay_alu instid0(VALU_DEP_3)
	v_ashrrev_i32_e32 v3, 31, v2
	s_waitcnt lgkmcnt(0)
	s_add_u32 s2, s8, s26
	s_addc_u32 s3, s9, s27
	s_load_b64 s[24:25], s[0:1], 0x28
	s_load_b64 s[8:9], s[2:3], 0x0
	v_cmp_lt_i64_e64 s2, s[16:17], 1
	s_delay_alu instid0(VALU_DEP_1)
	s_and_b32 vcc_lo, exec_lo, s2
	s_cbranch_vccnz .LBB1820_3
; %bb.1:
	s_load_b128 s[0:3], s[0:1], 0x38
	s_waitcnt lgkmcnt(0)
	v_mad_u64_u32 v[10:11], null, s24, v4, 0
	v_lshlrev_b64 v[16:17], 4, v[2:3]
	v_lshlrev_b64 v[18:19], 4, v[0:1]
	s_delay_alu instid0(VALU_DEP_3)
	v_mov_b32_e32 v8, v11
	v_mad_u64_u32 v[6:7], null, s2, v5, 0
	s_add_u32 s0, s0, s26
	s_addc_u32 s1, s1, s27
	s_add_u32 s12, s22, s26
	s_load_b64 s[0:1], s[0:1], 0x0
	s_addc_u32 s13, s23, s27
	s_load_b64 s[12:13], s[12:13], 0x0
	s_delay_alu instid0(VALU_DEP_1) | instskip(NEXT) | instid1(VALU_DEP_1)
	v_mad_u64_u32 v[13:14], null, s3, v5, v[7:8]
	v_dual_mov_b32 v7, v13 :: v_dual_lshlrev_b32 v20, 8, v4
	s_delay_alu instid0(VALU_DEP_1) | instskip(SKIP_2) | instid1(VALU_DEP_4)
	v_add_nc_u32_e32 v13, 0x1000, v20
	v_mad_u64_u32 v[14:15], null, s25, v4, v[8:9]
	v_lshlrev_b32_e32 v12, 4, v5
	v_lshlrev_b64 v[4:5], 4, v[6:7]
	s_delay_alu instid0(VALU_DEP_3) | instskip(NEXT) | instid1(VALU_DEP_2)
	v_mov_b32_e32 v11, v14
	v_add_co_u32 v4, vcc_lo, v4, v16
	s_delay_alu instid0(VALU_DEP_3) | instskip(NEXT) | instid1(VALU_DEP_3)
	v_add_co_ci_u32_e32 v5, vcc_lo, v5, v17, vcc_lo
	v_lshlrev_b64 v[6:7], 4, v[10:11]
	v_dual_mov_b32 v8, 0 :: v_dual_add_nc_u32 v15, v13, v12
	v_dual_mov_b32 v9, 0 :: v_dual_add_nc_u32 v14, v12, v20
	s_delay_alu instid0(VALU_DEP_3) | instskip(NEXT) | instid1(VALU_DEP_4)
	v_add_co_u32 v6, vcc_lo, v6, v18
	v_add_co_ci_u32_e32 v7, vcc_lo, v7, v19, vcc_lo
	s_waitcnt lgkmcnt(0)
	v_add_co_u32 v10, vcc_lo, v4, s0
	v_add_co_ci_u32_e32 v11, vcc_lo, s1, v5, vcc_lo
	v_add_co_u32 v4, vcc_lo, s12, v6
	v_add_co_ci_u32_e32 v5, vcc_lo, s13, v7, vcc_lo
	s_delay_alu instid0(VALU_DEP_4) | instskip(NEXT) | instid1(VALU_DEP_4)
	v_add_co_u32 v6, vcc_lo, v10, 8
	v_add_co_ci_u32_e32 v7, vcc_lo, 0, v11, vcc_lo
	v_dual_mov_b32 v11, v9 :: v_dual_mov_b32 v10, v8
	s_lshl_b64 s[0:1], s[2:3], 8
	s_lshl_b64 s[2:3], s[24:25], 8
	s_mov_b64 s[12:13], 0
.LBB1820_2:                             ; =>This Inner Loop Header: Depth=1
	global_load_b128 v[16:19], v[6:7], off offset:-8
	global_load_b128 v[20:23], v[4:5], off
	s_add_u32 s12, s12, 16
	v_add_co_u32 v6, vcc_lo, v6, s0
	s_addc_u32 s13, s13, 0
	v_add_co_ci_u32_e32 v7, vcc_lo, s1, v7, vcc_lo
	v_cmp_lt_i64_e64 s14, s[12:13], s[16:17]
	v_add_co_u32 v4, vcc_lo, v4, s2
	v_add_co_ci_u32_e32 v5, vcc_lo, s3, v5, vcc_lo
	s_delay_alu instid0(VALU_DEP_3)
	s_and_b32 vcc_lo, exec_lo, s14
	s_waitcnt vmcnt(1)
	v_xor_b32_e32 v19, 0x80000000, v19
	s_waitcnt vmcnt(0)
	ds_store_2addr_b64 v14, v[20:21], v[22:23] offset1:1
	ds_store_b128 v15, v[16:19]
	s_waitcnt lgkmcnt(0)
	s_barrier
	buffer_gl0_inv
	ds_load_b128 v[16:19], v12
	ds_load_b128 v[20:23], v13
	ds_load_b128 v[24:27], v13 offset:16
	ds_load_b128 v[28:31], v12 offset:256
	s_waitcnt lgkmcnt(2)
	v_mul_f64 v[32:33], v[22:23], v[18:19]
	v_mul_f64 v[18:19], v[20:21], v[18:19]
	s_waitcnt lgkmcnt(0)
	v_mul_f64 v[38:39], v[26:27], v[30:31]
	v_mul_f64 v[40:41], v[24:25], v[30:31]
	s_delay_alu instid0(VALU_DEP_4) | instskip(NEXT) | instid1(VALU_DEP_4)
	v_fma_f64 v[42:43], v[20:21], v[16:17], -v[32:33]
	v_fma_f64 v[44:45], v[22:23], v[16:17], v[18:19]
	ds_load_b128 v[16:19], v12 offset:512
	ds_load_b128 v[20:23], v13 offset:32
	;; [unrolled: 1-line block ×4, first 2 shown]
	v_fma_f64 v[24:25], v[24:25], v[28:29], -v[38:39]
	v_fma_f64 v[26:27], v[26:27], v[28:29], v[40:41]
	s_waitcnt lgkmcnt(2)
	v_mul_f64 v[46:47], v[22:23], v[18:19]
	v_mul_f64 v[18:19], v[20:21], v[18:19]
	s_waitcnt lgkmcnt(0)
	v_mul_f64 v[28:29], v[32:33], v[36:37]
	v_mul_f64 v[36:37], v[30:31], v[36:37]
	v_add_f64 v[10:11], v[10:11], v[42:43]
	v_add_f64 v[8:9], v[8:9], v[44:45]
	v_fma_f64 v[38:39], v[20:21], v[16:17], -v[46:47]
	v_fma_f64 v[40:41], v[22:23], v[16:17], v[18:19]
	v_fma_f64 v[28:29], v[30:31], v[34:35], -v[28:29]
	v_fma_f64 v[30:31], v[32:33], v[34:35], v[36:37]
	v_add_f64 v[42:43], v[10:11], v[24:25]
	v_add_f64 v[44:45], v[8:9], v[26:27]
	ds_load_b128 v[8:11], v12 offset:1024
	ds_load_b128 v[16:19], v13 offset:64
	;; [unrolled: 1-line block ×4, first 2 shown]
	s_waitcnt lgkmcnt(2)
	v_mul_f64 v[46:47], v[18:19], v[10:11]
	v_mul_f64 v[10:11], v[16:17], v[10:11]
	s_waitcnt lgkmcnt(0)
	v_mul_f64 v[36:37], v[22:23], v[26:27]
	v_add_f64 v[32:33], v[42:43], v[38:39]
	v_add_f64 v[34:35], v[44:45], v[40:41]
	v_mul_f64 v[38:39], v[20:21], v[26:27]
	v_fma_f64 v[40:41], v[16:17], v[8:9], -v[46:47]
	v_fma_f64 v[42:43], v[18:19], v[8:9], v[10:11]
	v_fma_f64 v[20:21], v[20:21], v[24:25], -v[36:37]
	v_add_f64 v[44:45], v[32:33], v[28:29]
	v_add_f64 v[34:35], v[34:35], v[30:31]
	ds_load_b128 v[8:11], v12 offset:1536
	ds_load_b128 v[16:19], v13 offset:96
	;; [unrolled: 1-line block ×4, first 2 shown]
	v_fma_f64 v[22:23], v[22:23], v[24:25], v[38:39]
	s_waitcnt lgkmcnt(2)
	v_mul_f64 v[46:47], v[18:19], v[10:11]
	v_mul_f64 v[10:11], v[16:17], v[10:11]
	s_waitcnt lgkmcnt(0)
	v_mul_f64 v[36:37], v[28:29], v[32:33]
	v_mul_f64 v[38:39], v[26:27], v[32:33]
	v_add_f64 v[24:25], v[44:45], v[40:41]
	v_add_f64 v[34:35], v[34:35], v[42:43]
	v_fma_f64 v[40:41], v[16:17], v[8:9], -v[46:47]
	v_fma_f64 v[42:43], v[18:19], v[8:9], v[10:11]
	v_fma_f64 v[26:27], v[26:27], v[30:31], -v[36:37]
	v_fma_f64 v[28:29], v[28:29], v[30:31], v[38:39]
	v_add_f64 v[24:25], v[24:25], v[20:21]
	v_add_f64 v[44:45], v[34:35], v[22:23]
	ds_load_b128 v[8:11], v12 offset:2048
	ds_load_b128 v[16:19], v13 offset:128
	;; [unrolled: 1-line block ×4, first 2 shown]
	s_waitcnt lgkmcnt(2)
	v_mul_f64 v[46:47], v[18:19], v[10:11]
	v_mul_f64 v[10:11], v[16:17], v[10:11]
	s_waitcnt lgkmcnt(0)
	v_mul_f64 v[36:37], v[22:23], v[34:35]
	v_mul_f64 v[34:35], v[20:21], v[34:35]
	v_add_f64 v[24:25], v[24:25], v[40:41]
	v_add_f64 v[30:31], v[44:45], v[42:43]
	v_fma_f64 v[38:39], v[16:17], v[8:9], -v[46:47]
	v_fma_f64 v[40:41], v[18:19], v[8:9], v[10:11]
	v_fma_f64 v[20:21], v[20:21], v[32:33], -v[36:37]
	v_fma_f64 v[22:23], v[22:23], v[32:33], v[34:35]
	v_add_f64 v[42:43], v[24:25], v[26:27]
	v_add_f64 v[44:45], v[30:31], v[28:29]
	ds_load_b128 v[8:11], v12 offset:2560
	ds_load_b128 v[16:19], v13 offset:160
	;; [unrolled: 1-line block ×4, first 2 shown]
	s_waitcnt lgkmcnt(2)
	v_mul_f64 v[46:47], v[18:19], v[10:11]
	v_mul_f64 v[10:11], v[16:17], v[10:11]
	s_waitcnt lgkmcnt(0)
	v_mul_f64 v[36:37], v[26:27], v[30:31]
	v_add_f64 v[32:33], v[42:43], v[38:39]
	v_add_f64 v[34:35], v[44:45], v[40:41]
	v_mul_f64 v[38:39], v[24:25], v[30:31]
	v_fma_f64 v[40:41], v[16:17], v[8:9], -v[46:47]
	v_fma_f64 v[42:43], v[18:19], v[8:9], v[10:11]
	v_fma_f64 v[24:25], v[24:25], v[28:29], -v[36:37]
	v_add_f64 v[44:45], v[32:33], v[20:21]
	v_add_f64 v[34:35], v[34:35], v[22:23]
	ds_load_b128 v[8:11], v12 offset:3072
	ds_load_b128 v[16:19], v13 offset:192
	;; [unrolled: 1-line block ×4, first 2 shown]
	v_fma_f64 v[26:27], v[26:27], v[28:29], v[38:39]
	s_waitcnt lgkmcnt(2)
	v_mul_f64 v[46:47], v[18:19], v[10:11]
	v_mul_f64 v[10:11], v[16:17], v[10:11]
	s_waitcnt lgkmcnt(0)
	v_mul_f64 v[36:37], v[22:23], v[32:33]
	v_mul_f64 v[38:39], v[20:21], v[32:33]
	v_add_f64 v[28:29], v[44:45], v[40:41]
	v_add_f64 v[34:35], v[34:35], v[42:43]
	v_fma_f64 v[40:41], v[16:17], v[8:9], -v[46:47]
	v_fma_f64 v[42:43], v[18:19], v[8:9], v[10:11]
	v_fma_f64 v[20:21], v[20:21], v[30:31], -v[36:37]
	v_fma_f64 v[22:23], v[22:23], v[30:31], v[38:39]
	v_add_f64 v[28:29], v[28:29], v[24:25]
	v_add_f64 v[44:45], v[34:35], v[26:27]
	ds_load_b128 v[8:11], v12 offset:3584
	ds_load_b128 v[16:19], v13 offset:224
	;; [unrolled: 1-line block ×4, first 2 shown]
	s_waitcnt lgkmcnt(0)
	s_barrier
	buffer_gl0_inv
	v_mul_f64 v[46:47], v[18:19], v[10:11]
	v_mul_f64 v[10:11], v[16:17], v[10:11]
	;; [unrolled: 1-line block ×4, first 2 shown]
	v_add_f64 v[28:29], v[28:29], v[40:41]
	v_add_f64 v[30:31], v[44:45], v[42:43]
	v_fma_f64 v[16:17], v[16:17], v[8:9], -v[46:47]
	v_fma_f64 v[8:9], v[18:19], v[8:9], v[10:11]
	s_delay_alu instid0(VALU_DEP_4) | instskip(NEXT) | instid1(VALU_DEP_4)
	v_add_f64 v[10:11], v[28:29], v[20:21]
	v_add_f64 v[18:19], v[30:31], v[22:23]
	v_fma_f64 v[20:21], v[24:25], v[32:33], -v[36:37]
	v_fma_f64 v[22:23], v[26:27], v[32:33], v[34:35]
	s_delay_alu instid0(VALU_DEP_4) | instskip(NEXT) | instid1(VALU_DEP_4)
	v_add_f64 v[10:11], v[10:11], v[16:17]
	v_add_f64 v[8:9], v[18:19], v[8:9]
	s_delay_alu instid0(VALU_DEP_2) | instskip(NEXT) | instid1(VALU_DEP_2)
	v_add_f64 v[10:11], v[10:11], v[20:21]
	v_add_f64 v[8:9], v[8:9], v[22:23]
	s_cbranch_vccnz .LBB1820_2
.LBB1820_3:
	s_mov_b32 s0, exec_lo
	v_cmpx_le_i32_e64 v0, v2
	s_cbranch_execz .LBB1820_5
; %bb.4:
	v_mul_lo_u32 v5, v2, s11
	v_mul_lo_u32 v6, v3, s10
	v_mad_u64_u32 v[3:4], null, v2, s10, 0
	v_mul_f64 v[14:15], s[18:19], v[8:9]
	v_mul_f64 v[7:8], s[20:21], v[8:9]
	s_delay_alu instid0(VALU_DEP_3) | instskip(SKIP_1) | instid1(VALU_DEP_2)
	v_add3_u32 v4, v4, v5, v6
	v_lshlrev_b64 v[5:6], 4, v[0:1]
	v_lshlrev_b64 v[3:4], 4, v[3:4]
	s_waitcnt lgkmcnt(0)
	s_delay_alu instid0(VALU_DEP_1) | instskip(NEXT) | instid1(VALU_DEP_2)
	v_add_co_u32 v1, vcc_lo, s8, v3
	v_add_co_ci_u32_e32 v3, vcc_lo, s9, v4, vcc_lo
	s_delay_alu instid0(VALU_DEP_2) | instskip(NEXT) | instid1(VALU_DEP_2)
	v_add_co_u32 v12, vcc_lo, v1, v5
	v_add_co_ci_u32_e32 v13, vcc_lo, v3, v6, vcc_lo
	v_cmp_ne_u32_e32 vcc_lo, v0, v2
	global_load_b128 v[3:6], v[12:13], off
	v_fma_f64 v[14:15], s[20:21], v[10:11], v[14:15]
	v_fma_f64 v[7:8], s[18:19], v[10:11], -v[7:8]
	s_waitcnt vmcnt(0)
	v_mul_f64 v[16:17], s[4:5], v[5:6]
	v_mul_f64 v[5:6], s[6:7], v[5:6]
	s_delay_alu instid0(VALU_DEP_2) | instskip(NEXT) | instid1(VALU_DEP_2)
	v_fma_f64 v[16:17], s[6:7], v[3:4], v[16:17]
	v_fma_f64 v[3:4], s[4:5], v[3:4], -v[5:6]
	s_delay_alu instid0(VALU_DEP_2) | instskip(NEXT) | instid1(VALU_DEP_2)
	v_add_f64 v[5:6], v[14:15], v[16:17]
	v_add_f64 v[3:4], v[7:8], v[3:4]
	s_delay_alu instid0(VALU_DEP_2)
	v_dual_cndmask_b32 v6, 0, v6 :: v_dual_cndmask_b32 v5, 0, v5
	global_store_b128 v[12:13], v[3:6], off
.LBB1820_5:
	s_nop 0
	s_sendmsg sendmsg(MSG_DEALLOC_VGPRS)
	s_endpgm
	.section	.rodata,"a",@progbits
	.p2align	6, 0x0
	.amdhsa_kernel _ZL41rocblas_syrkx_herkx_small_restrict_kernelIl19rocblas_complex_numIdELi16ELb0ELb1ELc78ELc85EKPKS1_KPS1_EviT_T0_PT6_S7_lSA_S7_lS8_PT7_S7_li
		.amdhsa_group_segment_fixed_size 8192
		.amdhsa_private_segment_fixed_size 0
		.amdhsa_kernarg_size 124
		.amdhsa_user_sgpr_count 13
		.amdhsa_user_sgpr_dispatch_ptr 0
		.amdhsa_user_sgpr_queue_ptr 0
		.amdhsa_user_sgpr_kernarg_segment_ptr 1
		.amdhsa_user_sgpr_dispatch_id 0
		.amdhsa_user_sgpr_private_segment_size 0
		.amdhsa_wavefront_size32 1
		.amdhsa_uses_dynamic_stack 0
		.amdhsa_enable_private_segment 0
		.amdhsa_system_sgpr_workgroup_id_x 1
		.amdhsa_system_sgpr_workgroup_id_y 1
		.amdhsa_system_sgpr_workgroup_id_z 1
		.amdhsa_system_sgpr_workgroup_info 0
		.amdhsa_system_vgpr_workitem_id 1
		.amdhsa_next_free_vgpr 48
		.amdhsa_next_free_sgpr 28
		.amdhsa_reserve_vcc 1
		.amdhsa_float_round_mode_32 0
		.amdhsa_float_round_mode_16_64 0
		.amdhsa_float_denorm_mode_32 3
		.amdhsa_float_denorm_mode_16_64 3
		.amdhsa_dx10_clamp 1
		.amdhsa_ieee_mode 1
		.amdhsa_fp16_overflow 0
		.amdhsa_workgroup_processor_mode 1
		.amdhsa_memory_ordered 1
		.amdhsa_forward_progress 0
		.amdhsa_shared_vgpr_count 0
		.amdhsa_exception_fp_ieee_invalid_op 0
		.amdhsa_exception_fp_denorm_src 0
		.amdhsa_exception_fp_ieee_div_zero 0
		.amdhsa_exception_fp_ieee_overflow 0
		.amdhsa_exception_fp_ieee_underflow 0
		.amdhsa_exception_fp_ieee_inexact 0
		.amdhsa_exception_int_div_zero 0
	.end_amdhsa_kernel
	.section	.text._ZL41rocblas_syrkx_herkx_small_restrict_kernelIl19rocblas_complex_numIdELi16ELb0ELb1ELc78ELc85EKPKS1_KPS1_EviT_T0_PT6_S7_lSA_S7_lS8_PT7_S7_li,"axG",@progbits,_ZL41rocblas_syrkx_herkx_small_restrict_kernelIl19rocblas_complex_numIdELi16ELb0ELb1ELc78ELc85EKPKS1_KPS1_EviT_T0_PT6_S7_lSA_S7_lS8_PT7_S7_li,comdat
.Lfunc_end1820:
	.size	_ZL41rocblas_syrkx_herkx_small_restrict_kernelIl19rocblas_complex_numIdELi16ELb0ELb1ELc78ELc85EKPKS1_KPS1_EviT_T0_PT6_S7_lSA_S7_lS8_PT7_S7_li, .Lfunc_end1820-_ZL41rocblas_syrkx_herkx_small_restrict_kernelIl19rocblas_complex_numIdELi16ELb0ELb1ELc78ELc85EKPKS1_KPS1_EviT_T0_PT6_S7_lSA_S7_lS8_PT7_S7_li
                                        ; -- End function
	.section	.AMDGPU.csdata,"",@progbits
; Kernel info:
; codeLenInByte = 1880
; NumSgprs: 30
; NumVgprs: 48
; ScratchSize: 0
; MemoryBound: 0
; FloatMode: 240
; IeeeMode: 1
; LDSByteSize: 8192 bytes/workgroup (compile time only)
; SGPRBlocks: 3
; VGPRBlocks: 5
; NumSGPRsForWavesPerEU: 30
; NumVGPRsForWavesPerEU: 48
; Occupancy: 16
; WaveLimiterHint : 1
; COMPUTE_PGM_RSRC2:SCRATCH_EN: 0
; COMPUTE_PGM_RSRC2:USER_SGPR: 13
; COMPUTE_PGM_RSRC2:TRAP_HANDLER: 0
; COMPUTE_PGM_RSRC2:TGID_X_EN: 1
; COMPUTE_PGM_RSRC2:TGID_Y_EN: 1
; COMPUTE_PGM_RSRC2:TGID_Z_EN: 1
; COMPUTE_PGM_RSRC2:TIDIG_COMP_CNT: 1
	.section	.text._ZL32rocblas_syrkx_herkx_small_kernelIl19rocblas_complex_numIdELi16ELb1ELb1ELc84ELc76EKPKS1_KPS1_EviT_T0_PT6_S7_lSA_S7_lS8_PT7_S7_li,"axG",@progbits,_ZL32rocblas_syrkx_herkx_small_kernelIl19rocblas_complex_numIdELi16ELb1ELb1ELc84ELc76EKPKS1_KPS1_EviT_T0_PT6_S7_lSA_S7_lS8_PT7_S7_li,comdat
	.globl	_ZL32rocblas_syrkx_herkx_small_kernelIl19rocblas_complex_numIdELi16ELb1ELb1ELc84ELc76EKPKS1_KPS1_EviT_T0_PT6_S7_lSA_S7_lS8_PT7_S7_li ; -- Begin function _ZL32rocblas_syrkx_herkx_small_kernelIl19rocblas_complex_numIdELi16ELb1ELb1ELc84ELc76EKPKS1_KPS1_EviT_T0_PT6_S7_lSA_S7_lS8_PT7_S7_li
	.p2align	8
	.type	_ZL32rocblas_syrkx_herkx_small_kernelIl19rocblas_complex_numIdELi16ELb1ELb1ELc84ELc76EKPKS1_KPS1_EviT_T0_PT6_S7_lSA_S7_lS8_PT7_S7_li,@function
_ZL32rocblas_syrkx_herkx_small_kernelIl19rocblas_complex_numIdELi16ELb1ELb1ELc84ELc76EKPKS1_KPS1_EviT_T0_PT6_S7_lSA_S7_lS8_PT7_S7_li: ; @_ZL32rocblas_syrkx_herkx_small_kernelIl19rocblas_complex_numIdELi16ELb1ELb1ELc84ELc76EKPKS1_KPS1_EviT_T0_PT6_S7_lSA_S7_lS8_PT7_S7_li
; %bb.0:
	s_clause 0x2
	s_load_b128 s[16:19], s[0:1], 0x60
	s_load_b256 s[4:11], s[0:1], 0x8
	s_load_b32 s3, s[0:1], 0x0
	s_mov_b32 s20, s15
	s_mov_b32 s21, 0
	v_and_b32_e32 v16, 0x3ff, v0
	s_lshl_b64 s[20:21], s[20:21], 3
	v_bfe_u32 v17, v0, 10, 10
	v_mov_b32_e32 v10, 0
	v_mov_b32_e32 v11, 0
	v_lshl_add_u32 v4, s13, 4, v16
	s_delay_alu instid0(VALU_DEP_4) | instskip(NEXT) | instid1(VALU_DEP_3)
	v_lshl_add_u32 v14, s14, 4, v17
	v_dual_mov_b32 v13, v11 :: v_dual_mov_b32 v12, v10
	s_delay_alu instid0(VALU_DEP_3) | instskip(NEXT) | instid1(VALU_DEP_3)
	v_ashrrev_i32_e32 v5, 31, v4
	v_ashrrev_i32_e32 v15, 31, v14
	s_waitcnt lgkmcnt(0)
	s_add_u32 s16, s16, s20
	s_addc_u32 s17, s17, s21
	s_load_b64 s[22:23], s[0:1], 0x28
	s_load_b64 s[16:17], s[16:17], 0x0
	v_cmp_lt_i64_e64 s2, s[4:5], 1
	s_delay_alu instid0(VALU_DEP_1)
	s_and_b32 vcc_lo, exec_lo, s2
	v_cmp_gt_i32_e64 s2, s3, v4
	s_cbranch_vccnz .LBB1821_11
; %bb.1:
	s_load_b128 s[12:15], s[0:1], 0x38
	s_waitcnt lgkmcnt(0)
	v_mul_lo_u32 v8, s23, v4
	v_mul_lo_u32 v9, s22, v5
	v_mad_u64_u32 v[6:7], null, s22, v4, 0
	v_dual_mov_b32 v0, 0 :: v_dual_lshlrev_b32 v3, 8, v17
	v_lshlrev_b32_e32 v18, 4, v16
	v_lshlrev_b32_e32 v12, 4, v17
	v_cmp_gt_i32_e32 vcc_lo, s3, v14
	v_add3_u32 v7, v7, v9, v8
	v_add_nc_u32_e32 v19, 0x1000, v3
	s_delay_alu instid0(VALU_DEP_2)
	v_lshlrev_b64 v[6:7], 4, v[6:7]
	v_mul_lo_u32 v10, s15, v14
	v_mul_lo_u32 v11, s14, v15
	v_mad_u64_u32 v[1:2], null, s14, v14, 0
	s_add_u32 s0, s12, s20
	s_addc_u32 s1, s13, s21
	s_add_u32 s10, s10, s20
	s_load_b64 s[12:13], s[0:1], 0x0
	s_addc_u32 s11, s11, s21
	s_xor_b32 s2, s2, -1
	s_delay_alu instid0(VALU_DEP_1) | instskip(SKIP_3) | instid1(VALU_DEP_3)
	v_add3_u32 v2, v2, v11, v10
	v_mov_b32_e32 v10, 0
	s_load_b64 s[10:11], s[10:11], 0x0
	v_dual_mov_b32 v11, 0 :: v_dual_add_nc_u32 v20, v18, v3
	v_lshlrev_b64 v[1:2], 4, v[1:2]
	v_add_nc_u32_e32 v21, v19, v18
	s_delay_alu instid0(VALU_DEP_2) | instskip(NEXT) | instid1(VALU_DEP_1)
	v_add_co_u32 v1, s0, v1, v18
	v_add_co_ci_u32_e64 v2, s0, 0, v2, s0
	v_add_co_u32 v3, s0, v6, v12
	s_delay_alu instid0(VALU_DEP_1) | instskip(SKIP_2) | instid1(VALU_DEP_1)
	v_add_co_ci_u32_e64 v9, s0, 0, v7, s0
	s_waitcnt lgkmcnt(0)
	v_add_co_u32 v6, s0, s12, v1
	v_add_co_ci_u32_e64 v7, s0, s13, v2, s0
	v_add_co_u32 v8, s0, s10, v3
	v_dual_mov_b32 v13, v11 :: v_dual_mov_b32 v12, v10
	v_add_co_ci_u32_e64 v9, s0, s11, v9, s0
	s_mov_b64 s[0:1], 0
	s_xor_b32 s10, vcc_lo, -1
	s_branch .LBB1821_3
.LBB1821_2:                             ;   in Loop: Header=BB1821_3 Depth=1
	s_or_b32 exec_lo, exec_lo, s11
	s_waitcnt lgkmcnt(0)
	s_barrier
	buffer_gl0_inv
	ds_load_b128 v[22:25], v18
	ds_load_b128 v[26:29], v19
	ds_load_b128 v[30:33], v19 offset:16
	ds_load_b128 v[34:37], v18 offset:256
	s_add_u32 s0, s0, 16
	s_addc_u32 s1, s1, 0
	v_add_co_u32 v6, vcc_lo, 0x100, v6
	v_cmp_ge_i64_e64 s11, s[0:1], s[4:5]
	v_add_co_ci_u32_e32 v7, vcc_lo, 0, v7, vcc_lo
	v_add_co_u32 v8, vcc_lo, 0x100, v8
	v_add_co_ci_u32_e32 v9, vcc_lo, 0, v9, vcc_lo
	s_delay_alu instid0(VALU_DEP_4)
	s_and_b32 vcc_lo, exec_lo, s11
	s_waitcnt lgkmcnt(2)
	v_mul_f64 v[1:2], v[28:29], v[24:25]
	v_mul_f64 v[24:25], v[26:27], v[24:25]
	s_waitcnt lgkmcnt(0)
	v_mul_f64 v[44:45], v[32:33], v[36:37]
	v_mul_f64 v[46:47], v[30:31], v[36:37]
	s_delay_alu instid0(VALU_DEP_4) | instskip(NEXT) | instid1(VALU_DEP_4)
	v_fma_f64 v[1:2], v[26:27], v[22:23], -v[1:2]
	v_fma_f64 v[48:49], v[28:29], v[22:23], v[24:25]
	ds_load_b128 v[22:25], v18 offset:512
	ds_load_b128 v[26:29], v19 offset:32
	;; [unrolled: 1-line block ×4, first 2 shown]
	v_fma_f64 v[30:31], v[30:31], v[34:35], -v[44:45]
	v_fma_f64 v[32:33], v[32:33], v[34:35], v[46:47]
	s_waitcnt lgkmcnt(2)
	v_mul_f64 v[50:51], v[28:29], v[24:25]
	v_mul_f64 v[24:25], v[26:27], v[24:25]
	s_waitcnt lgkmcnt(0)
	v_mul_f64 v[34:35], v[38:39], v[42:43]
	v_mul_f64 v[42:43], v[36:37], v[42:43]
	v_add_f64 v[1:2], v[12:13], v[1:2]
	v_add_f64 v[10:11], v[10:11], v[48:49]
	v_fma_f64 v[44:45], v[26:27], v[22:23], -v[50:51]
	v_fma_f64 v[46:47], v[28:29], v[22:23], v[24:25]
	v_fma_f64 v[34:35], v[36:37], v[40:41], -v[34:35]
	v_fma_f64 v[36:37], v[38:39], v[40:41], v[42:43]
	v_add_f64 v[1:2], v[1:2], v[30:31]
	v_add_f64 v[48:49], v[10:11], v[32:33]
	ds_load_b128 v[10:13], v18 offset:1024
	ds_load_b128 v[22:25], v19 offset:64
	;; [unrolled: 1-line block ×4, first 2 shown]
	s_waitcnt lgkmcnt(2)
	v_mul_f64 v[50:51], v[24:25], v[12:13]
	v_mul_f64 v[12:13], v[22:23], v[12:13]
	s_waitcnt lgkmcnt(0)
	v_mul_f64 v[40:41], v[28:29], v[32:33]
	v_mul_f64 v[42:43], v[26:27], v[32:33]
	v_add_f64 v[1:2], v[1:2], v[44:45]
	v_add_f64 v[38:39], v[48:49], v[46:47]
	v_fma_f64 v[44:45], v[22:23], v[10:11], -v[50:51]
	v_fma_f64 v[46:47], v[24:25], v[10:11], v[12:13]
	v_fma_f64 v[26:27], v[26:27], v[30:31], -v[40:41]
	v_fma_f64 v[28:29], v[28:29], v[30:31], v[42:43]
	v_add_f64 v[1:2], v[1:2], v[34:35]
	v_add_f64 v[48:49], v[38:39], v[36:37]
	ds_load_b128 v[10:13], v18 offset:1536
	ds_load_b128 v[22:25], v19 offset:96
	;; [unrolled: 1-line block ×4, first 2 shown]
	s_waitcnt lgkmcnt(2)
	v_mul_f64 v[50:51], v[24:25], v[12:13]
	v_mul_f64 v[12:13], v[22:23], v[12:13]
	s_waitcnt lgkmcnt(0)
	v_mul_f64 v[42:43], v[34:35], v[38:39]
	v_add_f64 v[1:2], v[1:2], v[44:45]
	v_add_f64 v[30:31], v[48:49], v[46:47]
	v_mul_f64 v[44:45], v[32:33], v[38:39]
	v_fma_f64 v[46:47], v[22:23], v[10:11], -v[50:51]
	v_fma_f64 v[48:49], v[24:25], v[10:11], v[12:13]
	v_fma_f64 v[32:33], v[32:33], v[36:37], -v[42:43]
	v_add_f64 v[1:2], v[1:2], v[26:27]
	v_add_f64 v[30:31], v[30:31], v[28:29]
	ds_load_b128 v[10:13], v18 offset:2048
	ds_load_b128 v[22:25], v19 offset:128
	;; [unrolled: 1-line block ×4, first 2 shown]
	v_fma_f64 v[34:35], v[34:35], v[36:37], v[44:45]
	s_waitcnt lgkmcnt(2)
	v_mul_f64 v[50:51], v[24:25], v[12:13]
	v_mul_f64 v[12:13], v[22:23], v[12:13]
	s_waitcnt lgkmcnt(0)
	v_mul_f64 v[42:43], v[28:29], v[40:41]
	v_mul_f64 v[40:41], v[26:27], v[40:41]
	v_add_f64 v[1:2], v[1:2], v[46:47]
	v_add_f64 v[30:31], v[30:31], v[48:49]
	v_fma_f64 v[44:45], v[22:23], v[10:11], -v[50:51]
	v_fma_f64 v[46:47], v[24:25], v[10:11], v[12:13]
	v_fma_f64 v[26:27], v[26:27], v[38:39], -v[42:43]
	v_fma_f64 v[28:29], v[28:29], v[38:39], v[40:41]
	v_add_f64 v[1:2], v[1:2], v[32:33]
	v_add_f64 v[48:49], v[30:31], v[34:35]
	ds_load_b128 v[10:13], v18 offset:2560
	ds_load_b128 v[22:25], v19 offset:160
	;; [unrolled: 1-line block ×4, first 2 shown]
	s_waitcnt lgkmcnt(2)
	v_mul_f64 v[50:51], v[24:25], v[12:13]
	v_mul_f64 v[12:13], v[22:23], v[12:13]
	s_waitcnt lgkmcnt(0)
	v_mul_f64 v[40:41], v[32:33], v[36:37]
	v_mul_f64 v[42:43], v[30:31], v[36:37]
	v_add_f64 v[1:2], v[1:2], v[44:45]
	v_add_f64 v[38:39], v[48:49], v[46:47]
	v_fma_f64 v[44:45], v[22:23], v[10:11], -v[50:51]
	v_fma_f64 v[46:47], v[24:25], v[10:11], v[12:13]
	v_fma_f64 v[30:31], v[30:31], v[34:35], -v[40:41]
	v_fma_f64 v[32:33], v[32:33], v[34:35], v[42:43]
	v_add_f64 v[1:2], v[1:2], v[26:27]
	v_add_f64 v[48:49], v[38:39], v[28:29]
	ds_load_b128 v[10:13], v18 offset:3072
	ds_load_b128 v[22:25], v19 offset:192
	;; [unrolled: 1-line block ×4, first 2 shown]
	s_waitcnt lgkmcnt(2)
	v_mul_f64 v[50:51], v[24:25], v[12:13]
	v_mul_f64 v[12:13], v[22:23], v[12:13]
	s_waitcnt lgkmcnt(0)
	v_mul_f64 v[42:43], v[28:29], v[38:39]
	v_add_f64 v[1:2], v[1:2], v[44:45]
	v_add_f64 v[34:35], v[48:49], v[46:47]
	v_mul_f64 v[44:45], v[26:27], v[38:39]
	v_fma_f64 v[46:47], v[22:23], v[10:11], -v[50:51]
	v_fma_f64 v[48:49], v[24:25], v[10:11], v[12:13]
	v_fma_f64 v[26:27], v[26:27], v[36:37], -v[42:43]
	v_add_f64 v[1:2], v[1:2], v[30:31]
	v_add_f64 v[34:35], v[34:35], v[32:33]
	ds_load_b128 v[10:13], v18 offset:3584
	ds_load_b128 v[22:25], v19 offset:224
	;; [unrolled: 1-line block ×4, first 2 shown]
	v_fma_f64 v[28:29], v[28:29], v[36:37], v[44:45]
	s_waitcnt lgkmcnt(0)
	s_barrier
	buffer_gl0_inv
	v_mul_f64 v[50:51], v[24:25], v[12:13]
	v_mul_f64 v[12:13], v[22:23], v[12:13]
	;; [unrolled: 1-line block ×4, first 2 shown]
	v_add_f64 v[1:2], v[1:2], v[46:47]
	v_add_f64 v[34:35], v[34:35], v[48:49]
	v_fma_f64 v[22:23], v[22:23], v[10:11], -v[50:51]
	v_fma_f64 v[10:11], v[24:25], v[10:11], v[12:13]
	v_fma_f64 v[24:25], v[30:31], v[38:39], -v[36:37]
	v_add_f64 v[1:2], v[1:2], v[26:27]
	v_add_f64 v[12:13], v[34:35], v[28:29]
	v_fma_f64 v[26:27], v[32:33], v[38:39], v[40:41]
	s_delay_alu instid0(VALU_DEP_3) | instskip(NEXT) | instid1(VALU_DEP_3)
	v_add_f64 v[1:2], v[1:2], v[22:23]
	v_add_f64 v[10:11], v[12:13], v[10:11]
	s_delay_alu instid0(VALU_DEP_2) | instskip(NEXT) | instid1(VALU_DEP_2)
	v_add_f64 v[12:13], v[1:2], v[24:25]
	v_add_f64 v[10:11], v[10:11], v[26:27]
	s_cbranch_vccnz .LBB1821_11
.LBB1821_3:                             ; =>This Inner Loop Header: Depth=1
	v_add_co_u32 v1, s11, v17, s0
	s_delay_alu instid0(VALU_DEP_1) | instskip(NEXT) | instid1(VALU_DEP_1)
	v_add_co_ci_u32_e64 v2, null, 0, s1, s11
	v_cmp_le_i64_e32 vcc_lo, s[4:5], v[1:2]
	s_or_b32 s11, s2, vcc_lo
	s_delay_alu instid0(SALU_CYCLE_1) | instskip(NEXT) | instid1(SALU_CYCLE_1)
	s_and_saveexec_b32 s12, s11
	s_xor_b32 s11, exec_lo, s12
	s_cbranch_execz .LBB1821_5
; %bb.4:                                ;   in Loop: Header=BB1821_3 Depth=1
	v_mov_b32_e32 v1, v0
	v_mov_b32_e32 v2, v0
	;; [unrolled: 1-line block ×3, first 2 shown]
	ds_store_b128 v20, v[0:3]
.LBB1821_5:                             ;   in Loop: Header=BB1821_3 Depth=1
	s_and_not1_saveexec_b32 s11, s11
	s_cbranch_execz .LBB1821_7
; %bb.6:                                ;   in Loop: Header=BB1821_3 Depth=1
	global_load_b128 v[22:25], v[8:9], off
	s_waitcnt vmcnt(0)
	ds_store_2addr_b64 v20, v[22:23], v[24:25] offset1:1
.LBB1821_7:                             ;   in Loop: Header=BB1821_3 Depth=1
	s_or_b32 exec_lo, exec_lo, s11
	v_add_co_u32 v1, s11, v16, s0
	s_delay_alu instid0(VALU_DEP_1) | instskip(NEXT) | instid1(VALU_DEP_1)
	v_add_co_ci_u32_e64 v2, null, 0, s1, s11
	v_cmp_le_i64_e32 vcc_lo, s[4:5], v[1:2]
	s_or_b32 s11, s10, vcc_lo
	s_delay_alu instid0(SALU_CYCLE_1) | instskip(NEXT) | instid1(SALU_CYCLE_1)
	s_and_saveexec_b32 s12, s11
	s_xor_b32 s11, exec_lo, s12
	s_cbranch_execz .LBB1821_9
; %bb.8:                                ;   in Loop: Header=BB1821_3 Depth=1
	v_mov_b32_e32 v1, v0
	v_mov_b32_e32 v2, v0
	;; [unrolled: 1-line block ×3, first 2 shown]
	ds_store_b128 v21, v[0:3]
.LBB1821_9:                             ;   in Loop: Header=BB1821_3 Depth=1
	s_and_not1_saveexec_b32 s11, s11
	s_cbranch_execz .LBB1821_2
; %bb.10:                               ;   in Loop: Header=BB1821_3 Depth=1
	global_load_b128 v[22:25], v[6:7], off
	s_waitcnt vmcnt(0)
	ds_store_2addr_b64 v21, v[22:23], v[24:25] offset1:1
	s_branch .LBB1821_2
.LBB1821_11:
	v_cmp_le_i32_e32 vcc_lo, v14, v4
	v_cmp_gt_i32_e64 s0, s3, v4
	s_delay_alu instid0(VALU_DEP_1) | instskip(NEXT) | instid1(SALU_CYCLE_1)
	s_and_b32 s0, vcc_lo, s0
	s_and_saveexec_b32 s1, s0
	s_cbranch_execz .LBB1821_13
; %bb.12:
	s_delay_alu instid0(VALU_DEP_3) | instskip(SKIP_3) | instid1(VALU_DEP_4)
	v_mul_f64 v[0:1], s[6:7], v[10:11]
	v_mul_f64 v[2:3], s[8:9], v[10:11]
	v_mul_lo_u32 v8, v14, s19
	v_mul_lo_u32 v9, v15, s18
	v_fma_f64 v[6:7], s[8:9], v[12:13], v[0:1]
	s_delay_alu instid0(VALU_DEP_4) | instskip(SKIP_1) | instid1(VALU_DEP_1)
	v_fma_f64 v[0:1], s[6:7], v[12:13], -v[2:3]
	v_mad_u64_u32 v[2:3], null, v14, s18, 0
	v_add3_u32 v3, v3, v8, v9
	v_lshlrev_b64 v[8:9], 4, v[4:5]
	s_delay_alu instid0(VALU_DEP_2) | instskip(SKIP_1) | instid1(VALU_DEP_1)
	v_lshlrev_b64 v[2:3], 4, v[2:3]
	s_waitcnt lgkmcnt(0)
	v_add_co_u32 v2, vcc_lo, s16, v2
	s_delay_alu instid0(VALU_DEP_2) | instskip(SKIP_1) | instid1(VALU_DEP_3)
	v_add_co_ci_u32_e32 v3, vcc_lo, s17, v3, vcc_lo
	v_cmp_ne_u32_e32 vcc_lo, v4, v14
	v_add_co_u32 v4, s0, v2, v8
	s_delay_alu instid0(VALU_DEP_1)
	v_add_co_ci_u32_e64 v5, s0, v3, v9, s0
	v_dual_cndmask_b32 v3, 0, v7 :: v_dual_cndmask_b32 v2, 0, v6
	global_store_b128 v[4:5], v[0:3], off
.LBB1821_13:
	s_nop 0
	s_sendmsg sendmsg(MSG_DEALLOC_VGPRS)
	s_endpgm
	.section	.rodata,"a",@progbits
	.p2align	6, 0x0
	.amdhsa_kernel _ZL32rocblas_syrkx_herkx_small_kernelIl19rocblas_complex_numIdELi16ELb1ELb1ELc84ELc76EKPKS1_KPS1_EviT_T0_PT6_S7_lSA_S7_lS8_PT7_S7_li
		.amdhsa_group_segment_fixed_size 8192
		.amdhsa_private_segment_fixed_size 0
		.amdhsa_kernarg_size 124
		.amdhsa_user_sgpr_count 13
		.amdhsa_user_sgpr_dispatch_ptr 0
		.amdhsa_user_sgpr_queue_ptr 0
		.amdhsa_user_sgpr_kernarg_segment_ptr 1
		.amdhsa_user_sgpr_dispatch_id 0
		.amdhsa_user_sgpr_private_segment_size 0
		.amdhsa_wavefront_size32 1
		.amdhsa_uses_dynamic_stack 0
		.amdhsa_enable_private_segment 0
		.amdhsa_system_sgpr_workgroup_id_x 1
		.amdhsa_system_sgpr_workgroup_id_y 1
		.amdhsa_system_sgpr_workgroup_id_z 1
		.amdhsa_system_sgpr_workgroup_info 0
		.amdhsa_system_vgpr_workitem_id 1
		.amdhsa_next_free_vgpr 52
		.amdhsa_next_free_sgpr 24
		.amdhsa_reserve_vcc 1
		.amdhsa_float_round_mode_32 0
		.amdhsa_float_round_mode_16_64 0
		.amdhsa_float_denorm_mode_32 3
		.amdhsa_float_denorm_mode_16_64 3
		.amdhsa_dx10_clamp 1
		.amdhsa_ieee_mode 1
		.amdhsa_fp16_overflow 0
		.amdhsa_workgroup_processor_mode 1
		.amdhsa_memory_ordered 1
		.amdhsa_forward_progress 0
		.amdhsa_shared_vgpr_count 0
		.amdhsa_exception_fp_ieee_invalid_op 0
		.amdhsa_exception_fp_denorm_src 0
		.amdhsa_exception_fp_ieee_div_zero 0
		.amdhsa_exception_fp_ieee_overflow 0
		.amdhsa_exception_fp_ieee_underflow 0
		.amdhsa_exception_fp_ieee_inexact 0
		.amdhsa_exception_int_div_zero 0
	.end_amdhsa_kernel
	.section	.text._ZL32rocblas_syrkx_herkx_small_kernelIl19rocblas_complex_numIdELi16ELb1ELb1ELc84ELc76EKPKS1_KPS1_EviT_T0_PT6_S7_lSA_S7_lS8_PT7_S7_li,"axG",@progbits,_ZL32rocblas_syrkx_herkx_small_kernelIl19rocblas_complex_numIdELi16ELb1ELb1ELc84ELc76EKPKS1_KPS1_EviT_T0_PT6_S7_lSA_S7_lS8_PT7_S7_li,comdat
.Lfunc_end1821:
	.size	_ZL32rocblas_syrkx_herkx_small_kernelIl19rocblas_complex_numIdELi16ELb1ELb1ELc84ELc76EKPKS1_KPS1_EviT_T0_PT6_S7_lSA_S7_lS8_PT7_S7_li, .Lfunc_end1821-_ZL32rocblas_syrkx_herkx_small_kernelIl19rocblas_complex_numIdELi16ELb1ELb1ELc84ELc76EKPKS1_KPS1_EviT_T0_PT6_S7_lSA_S7_lS8_PT7_S7_li
                                        ; -- End function
	.section	.AMDGPU.csdata,"",@progbits
; Kernel info:
; codeLenInByte = 2008
; NumSgprs: 26
; NumVgprs: 52
; ScratchSize: 0
; MemoryBound: 0
; FloatMode: 240
; IeeeMode: 1
; LDSByteSize: 8192 bytes/workgroup (compile time only)
; SGPRBlocks: 3
; VGPRBlocks: 6
; NumSGPRsForWavesPerEU: 26
; NumVGPRsForWavesPerEU: 52
; Occupancy: 16
; WaveLimiterHint : 1
; COMPUTE_PGM_RSRC2:SCRATCH_EN: 0
; COMPUTE_PGM_RSRC2:USER_SGPR: 13
; COMPUTE_PGM_RSRC2:TRAP_HANDLER: 0
; COMPUTE_PGM_RSRC2:TGID_X_EN: 1
; COMPUTE_PGM_RSRC2:TGID_Y_EN: 1
; COMPUTE_PGM_RSRC2:TGID_Z_EN: 1
; COMPUTE_PGM_RSRC2:TIDIG_COMP_CNT: 1
	.section	.text._ZL32rocblas_syrkx_herkx_small_kernelIl19rocblas_complex_numIdELi16ELb1ELb1ELc67ELc76EKPKS1_KPS1_EviT_T0_PT6_S7_lSA_S7_lS8_PT7_S7_li,"axG",@progbits,_ZL32rocblas_syrkx_herkx_small_kernelIl19rocblas_complex_numIdELi16ELb1ELb1ELc67ELc76EKPKS1_KPS1_EviT_T0_PT6_S7_lSA_S7_lS8_PT7_S7_li,comdat
	.globl	_ZL32rocblas_syrkx_herkx_small_kernelIl19rocblas_complex_numIdELi16ELb1ELb1ELc67ELc76EKPKS1_KPS1_EviT_T0_PT6_S7_lSA_S7_lS8_PT7_S7_li ; -- Begin function _ZL32rocblas_syrkx_herkx_small_kernelIl19rocblas_complex_numIdELi16ELb1ELb1ELc67ELc76EKPKS1_KPS1_EviT_T0_PT6_S7_lSA_S7_lS8_PT7_S7_li
	.p2align	8
	.type	_ZL32rocblas_syrkx_herkx_small_kernelIl19rocblas_complex_numIdELi16ELb1ELb1ELc67ELc76EKPKS1_KPS1_EviT_T0_PT6_S7_lSA_S7_lS8_PT7_S7_li,@function
_ZL32rocblas_syrkx_herkx_small_kernelIl19rocblas_complex_numIdELi16ELb1ELb1ELc67ELc76EKPKS1_KPS1_EviT_T0_PT6_S7_lSA_S7_lS8_PT7_S7_li: ; @_ZL32rocblas_syrkx_herkx_small_kernelIl19rocblas_complex_numIdELi16ELb1ELb1ELc67ELc76EKPKS1_KPS1_EviT_T0_PT6_S7_lSA_S7_lS8_PT7_S7_li
; %bb.0:
	s_clause 0x2
	s_load_b128 s[16:19], s[0:1], 0x60
	s_load_b256 s[4:11], s[0:1], 0x8
	s_load_b32 s3, s[0:1], 0x0
	s_mov_b32 s20, s15
	s_mov_b32 s21, 0
	v_and_b32_e32 v19, 0x3ff, v0
	s_lshl_b64 s[20:21], s[20:21], 3
	v_bfe_u32 v20, v0, 10, 10
	v_mov_b32_e32 v13, 0
	v_mov_b32_e32 v14, 0
	v_lshl_add_u32 v5, s13, 4, v19
	s_delay_alu instid0(VALU_DEP_4) | instskip(NEXT) | instid1(VALU_DEP_3)
	v_lshl_add_u32 v17, s14, 4, v20
	v_dual_mov_b32 v16, v14 :: v_dual_mov_b32 v15, v13
	s_delay_alu instid0(VALU_DEP_3) | instskip(NEXT) | instid1(VALU_DEP_3)
	v_ashrrev_i32_e32 v6, 31, v5
	v_ashrrev_i32_e32 v18, 31, v17
	s_waitcnt lgkmcnt(0)
	s_add_u32 s16, s16, s20
	s_addc_u32 s17, s17, s21
	s_load_b64 s[22:23], s[0:1], 0x28
	s_load_b64 s[16:17], s[16:17], 0x0
	v_cmp_lt_i64_e64 s2, s[4:5], 1
	s_delay_alu instid0(VALU_DEP_1)
	s_and_b32 vcc_lo, exec_lo, s2
	v_cmp_gt_i32_e64 s2, s3, v5
	s_cbranch_vccnz .LBB1822_9
; %bb.1:
	s_load_b128 s[12:15], s[0:1], 0x38
	s_waitcnt lgkmcnt(0)
	v_mul_lo_u32 v7, s23, v5
	v_mul_lo_u32 v8, s22, v6
	v_mad_u64_u32 v[1:2], null, s22, v5, 0
	v_lshlrev_b32_e32 v12, 4, v20
	v_dual_mov_b32 v0, 0 :: v_dual_lshlrev_b32 v21, 4, v19
	v_lshlrev_b32_e32 v9, 8, v20
	v_cmp_gt_i32_e32 vcc_lo, s3, v17
	v_add3_u32 v2, v2, v8, v7
	v_mov_b32_e32 v7, 0
	v_mov_b32_e32 v8, 0
	v_add_nc_u32_e32 v22, 0x1000, v9
	v_add_nc_u32_e32 v23, v21, v9
	v_lshlrev_b64 v[1:2], 4, v[1:2]
	s_delay_alu instid0(VALU_DEP_4)
	v_mov_b32_e32 v14, v8
	v_mov_b32_e32 v16, v8
	s_add_u32 s0, s12, s20
	s_addc_u32 s1, s13, s21
	s_add_u32 s10, s10, s20
	v_mul_lo_u32 v10, s15, v17
	v_mul_lo_u32 v11, s14, v18
	v_mad_u64_u32 v[3:4], null, s14, v17, 0
	s_addc_u32 s11, s11, s21
	s_load_b64 s[12:13], s[0:1], 0x0
	s_load_b64 s[10:11], s[10:11], 0x0
	v_add_co_u32 v1, s0, v1, v12
	s_delay_alu instid0(VALU_DEP_1) | instskip(NEXT) | instid1(VALU_DEP_3)
	v_add_co_ci_u32_e64 v2, s0, 0, v2, s0
	v_add3_u32 v4, v4, v11, v10
	v_dual_mov_b32 v13, v7 :: v_dual_add_nc_u32 v24, v22, v21
	v_mov_b32_e32 v15, v7
	s_delay_alu instid0(VALU_DEP_3) | instskip(NEXT) | instid1(VALU_DEP_1)
	v_lshlrev_b64 v[3:4], 4, v[3:4]
	v_add_co_u32 v3, s0, v3, v21
	s_delay_alu instid0(VALU_DEP_1) | instskip(SKIP_2) | instid1(VALU_DEP_1)
	v_add_co_ci_u32_e64 v4, s0, 0, v4, s0
	s_waitcnt lgkmcnt(0)
	v_add_co_u32 v1, s0, v1, s10
	v_add_co_ci_u32_e64 v2, s0, s11, v2, s0
	v_add_co_u32 v9, s0, s12, v3
	s_delay_alu instid0(VALU_DEP_1) | instskip(NEXT) | instid1(VALU_DEP_4)
	v_add_co_ci_u32_e64 v10, s0, s13, v4, s0
	v_add_co_u32 v11, s0, v1, 8
	s_delay_alu instid0(VALU_DEP_1)
	v_add_co_ci_u32_e64 v12, s0, 0, v2, s0
	s_mov_b64 s[0:1], 0
	s_xor_b32 s10, vcc_lo, -1
	s_branch .LBB1822_3
.LBB1822_2:                             ;   in Loop: Header=BB1822_3 Depth=1
	s_or_b32 exec_lo, exec_lo, s11
	s_waitcnt lgkmcnt(0)
	s_barrier
	buffer_gl0_inv
	ds_load_b128 v[1:4], v21
	ds_load_b128 v[25:28], v22
	ds_load_b128 v[29:32], v22 offset:16
	ds_load_b128 v[33:36], v21 offset:256
	s_add_u32 s0, s0, 16
	s_addc_u32 s1, s1, 0
	v_add_co_u32 v9, vcc_lo, 0x100, v9
	v_cmp_ge_i64_e64 s11, s[0:1], s[4:5]
	v_add_co_ci_u32_e32 v10, vcc_lo, 0, v10, vcc_lo
	v_add_co_u32 v11, vcc_lo, 0x100, v11
	v_add_co_ci_u32_e32 v12, vcc_lo, 0, v12, vcc_lo
	s_delay_alu instid0(VALU_DEP_4)
	s_and_b32 vcc_lo, exec_lo, s11
	s_waitcnt lgkmcnt(2)
	v_mul_f64 v[37:38], v[27:28], v[3:4]
	v_mul_f64 v[3:4], v[25:26], v[3:4]
	s_waitcnt lgkmcnt(0)
	v_mul_f64 v[43:44], v[31:32], v[35:36]
	v_mul_f64 v[45:46], v[29:30], v[35:36]
	s_delay_alu instid0(VALU_DEP_4) | instskip(NEXT) | instid1(VALU_DEP_4)
	v_fma_f64 v[47:48], v[25:26], v[1:2], -v[37:38]
	v_fma_f64 v[49:50], v[27:28], v[1:2], v[3:4]
	ds_load_b128 v[1:4], v21 offset:512
	ds_load_b128 v[25:28], v22 offset:32
	;; [unrolled: 1-line block ×4, first 2 shown]
	v_fma_f64 v[29:30], v[29:30], v[33:34], -v[43:44]
	v_fma_f64 v[31:32], v[31:32], v[33:34], v[45:46]
	s_waitcnt lgkmcnt(2)
	v_mul_f64 v[51:52], v[27:28], v[3:4]
	v_mul_f64 v[3:4], v[25:26], v[3:4]
	s_waitcnt lgkmcnt(0)
	v_mul_f64 v[33:34], v[37:38], v[41:42]
	v_mul_f64 v[41:42], v[35:36], v[41:42]
	v_add_f64 v[15:16], v[15:16], v[47:48]
	v_add_f64 v[13:14], v[13:14], v[49:50]
	v_fma_f64 v[43:44], v[25:26], v[1:2], -v[51:52]
	v_fma_f64 v[45:46], v[27:28], v[1:2], v[3:4]
	v_fma_f64 v[33:34], v[35:36], v[39:40], -v[33:34]
	v_fma_f64 v[35:36], v[37:38], v[39:40], v[41:42]
	v_add_f64 v[47:48], v[15:16], v[29:30]
	v_add_f64 v[49:50], v[13:14], v[31:32]
	ds_load_b128 v[1:4], v21 offset:1024
	ds_load_b128 v[13:16], v22 offset:64
	;; [unrolled: 1-line block ×4, first 2 shown]
	s_waitcnt lgkmcnt(2)
	v_mul_f64 v[51:52], v[15:16], v[3:4]
	v_mul_f64 v[3:4], v[13:14], v[3:4]
	s_waitcnt lgkmcnt(0)
	v_mul_f64 v[41:42], v[27:28], v[31:32]
	v_add_f64 v[37:38], v[47:48], v[43:44]
	v_add_f64 v[39:40], v[49:50], v[45:46]
	v_mul_f64 v[43:44], v[25:26], v[31:32]
	v_fma_f64 v[45:46], v[13:14], v[1:2], -v[51:52]
	v_fma_f64 v[47:48], v[15:16], v[1:2], v[3:4]
	v_fma_f64 v[25:26], v[25:26], v[29:30], -v[41:42]
	v_add_f64 v[49:50], v[37:38], v[33:34]
	v_add_f64 v[39:40], v[39:40], v[35:36]
	ds_load_b128 v[1:4], v21 offset:1536
	ds_load_b128 v[13:16], v22 offset:96
	;; [unrolled: 1-line block ×4, first 2 shown]
	v_fma_f64 v[27:28], v[27:28], v[29:30], v[43:44]
	s_waitcnt lgkmcnt(2)
	v_mul_f64 v[51:52], v[15:16], v[3:4]
	v_mul_f64 v[3:4], v[13:14], v[3:4]
	s_waitcnt lgkmcnt(0)
	v_mul_f64 v[41:42], v[33:34], v[37:38]
	v_mul_f64 v[43:44], v[31:32], v[37:38]
	v_add_f64 v[29:30], v[49:50], v[45:46]
	v_add_f64 v[39:40], v[39:40], v[47:48]
	v_fma_f64 v[45:46], v[13:14], v[1:2], -v[51:52]
	v_fma_f64 v[47:48], v[15:16], v[1:2], v[3:4]
	v_fma_f64 v[31:32], v[31:32], v[35:36], -v[41:42]
	v_fma_f64 v[33:34], v[33:34], v[35:36], v[43:44]
	v_add_f64 v[29:30], v[29:30], v[25:26]
	v_add_f64 v[49:50], v[39:40], v[27:28]
	ds_load_b128 v[1:4], v21 offset:2048
	ds_load_b128 v[13:16], v22 offset:128
	;; [unrolled: 1-line block ×4, first 2 shown]
	s_waitcnt lgkmcnt(2)
	v_mul_f64 v[51:52], v[15:16], v[3:4]
	v_mul_f64 v[3:4], v[13:14], v[3:4]
	s_waitcnt lgkmcnt(0)
	v_mul_f64 v[41:42], v[27:28], v[39:40]
	v_mul_f64 v[39:40], v[25:26], v[39:40]
	v_add_f64 v[29:30], v[29:30], v[45:46]
	v_add_f64 v[35:36], v[49:50], v[47:48]
	v_fma_f64 v[43:44], v[13:14], v[1:2], -v[51:52]
	v_fma_f64 v[45:46], v[15:16], v[1:2], v[3:4]
	v_fma_f64 v[25:26], v[25:26], v[37:38], -v[41:42]
	v_fma_f64 v[27:28], v[27:28], v[37:38], v[39:40]
	v_add_f64 v[47:48], v[29:30], v[31:32]
	v_add_f64 v[49:50], v[35:36], v[33:34]
	ds_load_b128 v[1:4], v21 offset:2560
	ds_load_b128 v[13:16], v22 offset:160
	;; [unrolled: 1-line block ×4, first 2 shown]
	s_waitcnt lgkmcnt(2)
	v_mul_f64 v[51:52], v[15:16], v[3:4]
	v_mul_f64 v[3:4], v[13:14], v[3:4]
	s_waitcnt lgkmcnt(0)
	v_mul_f64 v[41:42], v[31:32], v[35:36]
	v_add_f64 v[37:38], v[47:48], v[43:44]
	v_add_f64 v[39:40], v[49:50], v[45:46]
	v_mul_f64 v[43:44], v[29:30], v[35:36]
	v_fma_f64 v[45:46], v[13:14], v[1:2], -v[51:52]
	v_fma_f64 v[47:48], v[15:16], v[1:2], v[3:4]
	v_fma_f64 v[29:30], v[29:30], v[33:34], -v[41:42]
	v_add_f64 v[49:50], v[37:38], v[25:26]
	v_add_f64 v[39:40], v[39:40], v[27:28]
	ds_load_b128 v[1:4], v21 offset:3072
	ds_load_b128 v[13:16], v22 offset:192
	;; [unrolled: 1-line block ×4, first 2 shown]
	v_fma_f64 v[31:32], v[31:32], v[33:34], v[43:44]
	s_waitcnt lgkmcnt(2)
	v_mul_f64 v[51:52], v[15:16], v[3:4]
	v_mul_f64 v[3:4], v[13:14], v[3:4]
	s_waitcnt lgkmcnt(0)
	v_mul_f64 v[41:42], v[27:28], v[37:38]
	v_mul_f64 v[43:44], v[25:26], v[37:38]
	v_add_f64 v[33:34], v[49:50], v[45:46]
	v_add_f64 v[39:40], v[39:40], v[47:48]
	v_fma_f64 v[45:46], v[13:14], v[1:2], -v[51:52]
	v_fma_f64 v[47:48], v[15:16], v[1:2], v[3:4]
	v_fma_f64 v[25:26], v[25:26], v[35:36], -v[41:42]
	v_fma_f64 v[27:28], v[27:28], v[35:36], v[43:44]
	v_add_f64 v[33:34], v[33:34], v[29:30]
	v_add_f64 v[49:50], v[39:40], v[31:32]
	ds_load_b128 v[1:4], v21 offset:3584
	ds_load_b128 v[13:16], v22 offset:224
	;; [unrolled: 1-line block ×4, first 2 shown]
	s_waitcnt lgkmcnt(0)
	s_barrier
	buffer_gl0_inv
	v_mul_f64 v[51:52], v[15:16], v[3:4]
	v_mul_f64 v[3:4], v[13:14], v[3:4]
	;; [unrolled: 1-line block ×4, first 2 shown]
	v_add_f64 v[33:34], v[33:34], v[45:46]
	v_add_f64 v[35:36], v[49:50], v[47:48]
	v_fma_f64 v[13:14], v[13:14], v[1:2], -v[51:52]
	v_fma_f64 v[1:2], v[15:16], v[1:2], v[3:4]
	s_delay_alu instid0(VALU_DEP_4) | instskip(NEXT) | instid1(VALU_DEP_4)
	v_add_f64 v[3:4], v[33:34], v[25:26]
	v_add_f64 v[15:16], v[35:36], v[27:28]
	v_fma_f64 v[25:26], v[29:30], v[37:38], -v[41:42]
	v_fma_f64 v[27:28], v[31:32], v[37:38], v[39:40]
	s_delay_alu instid0(VALU_DEP_4) | instskip(NEXT) | instid1(VALU_DEP_4)
	v_add_f64 v[3:4], v[3:4], v[13:14]
	v_add_f64 v[1:2], v[15:16], v[1:2]
	s_delay_alu instid0(VALU_DEP_2) | instskip(NEXT) | instid1(VALU_DEP_2)
	v_add_f64 v[15:16], v[3:4], v[25:26]
	v_add_f64 v[13:14], v[1:2], v[27:28]
	s_cbranch_vccnz .LBB1822_9
.LBB1822_3:                             ; =>This Inner Loop Header: Depth=1
	v_add_co_u32 v1, s11, v20, s0
	s_delay_alu instid0(VALU_DEP_1) | instskip(SKIP_1) | instid1(VALU_DEP_2)
	v_add_co_ci_u32_e64 v2, null, 0, s1, s11
	v_dual_mov_b32 v3, v7 :: v_dual_mov_b32 v4, v8
	v_cmp_gt_i64_e32 vcc_lo, s[4:5], v[1:2]
	v_dual_mov_b32 v1, v7 :: v_dual_mov_b32 v2, v8
	s_and_b32 s12, s2, vcc_lo
	s_delay_alu instid0(SALU_CYCLE_1)
	s_and_saveexec_b32 s11, s12
	s_cbranch_execz .LBB1822_5
; %bb.4:                                ;   in Loop: Header=BB1822_3 Depth=1
	global_load_b128 v[1:4], v[11:12], off offset:-8
	s_waitcnt vmcnt(0)
	v_xor_b32_e32 v4, 0x80000000, v4
.LBB1822_5:                             ;   in Loop: Header=BB1822_3 Depth=1
	s_or_b32 exec_lo, exec_lo, s11
	v_add_co_u32 v25, s11, v19, s0
	s_delay_alu instid0(VALU_DEP_1) | instskip(SKIP_3) | instid1(SALU_CYCLE_1)
	v_add_co_ci_u32_e64 v26, null, 0, s1, s11
	ds_store_b128 v23, v[1:4]
	v_cmp_le_i64_e32 vcc_lo, s[4:5], v[25:26]
	s_or_b32 s11, s10, vcc_lo
	s_and_saveexec_b32 s12, s11
	s_delay_alu instid0(SALU_CYCLE_1)
	s_xor_b32 s11, exec_lo, s12
	s_cbranch_execz .LBB1822_7
; %bb.6:                                ;   in Loop: Header=BB1822_3 Depth=1
	v_mov_b32_e32 v1, v0
	v_mov_b32_e32 v2, v0
	;; [unrolled: 1-line block ×3, first 2 shown]
	ds_store_b128 v24, v[0:3]
.LBB1822_7:                             ;   in Loop: Header=BB1822_3 Depth=1
	s_and_not1_saveexec_b32 s11, s11
	s_cbranch_execz .LBB1822_2
; %bb.8:                                ;   in Loop: Header=BB1822_3 Depth=1
	global_load_b128 v[1:4], v[9:10], off
	s_waitcnt vmcnt(0)
	ds_store_2addr_b64 v24, v[1:2], v[3:4] offset1:1
	s_branch .LBB1822_2
.LBB1822_9:
	v_cmp_le_i32_e32 vcc_lo, v17, v5
	v_cmp_gt_i32_e64 s0, s3, v5
	s_delay_alu instid0(VALU_DEP_1) | instskip(NEXT) | instid1(SALU_CYCLE_1)
	s_and_b32 s0, vcc_lo, s0
	s_and_saveexec_b32 s1, s0
	s_cbranch_execz .LBB1822_11
; %bb.10:
	s_delay_alu instid0(VALU_DEP_3) | instskip(SKIP_3) | instid1(VALU_DEP_4)
	v_mul_f64 v[0:1], s[6:7], v[13:14]
	v_mul_f64 v[2:3], s[8:9], v[13:14]
	v_mul_lo_u32 v4, v17, s19
	v_mul_lo_u32 v9, v18, s18
	v_fma_f64 v[7:8], s[8:9], v[15:16], v[0:1]
	s_delay_alu instid0(VALU_DEP_4) | instskip(SKIP_1) | instid1(VALU_DEP_1)
	v_fma_f64 v[0:1], s[6:7], v[15:16], -v[2:3]
	v_mad_u64_u32 v[2:3], null, v17, s18, 0
	v_add3_u32 v3, v3, v4, v9
	v_lshlrev_b64 v[9:10], 4, v[5:6]
	s_delay_alu instid0(VALU_DEP_2) | instskip(SKIP_1) | instid1(VALU_DEP_1)
	v_lshlrev_b64 v[2:3], 4, v[2:3]
	s_waitcnt lgkmcnt(0)
	v_add_co_u32 v2, vcc_lo, s16, v2
	s_delay_alu instid0(VALU_DEP_2) | instskip(SKIP_1) | instid1(VALU_DEP_3)
	v_add_co_ci_u32_e32 v3, vcc_lo, s17, v3, vcc_lo
	v_cmp_ne_u32_e32 vcc_lo, v5, v17
	v_add_co_u32 v4, s0, v2, v9
	s_delay_alu instid0(VALU_DEP_1)
	v_add_co_ci_u32_e64 v5, s0, v3, v10, s0
	v_dual_cndmask_b32 v3, 0, v8 :: v_dual_cndmask_b32 v2, 0, v7
	global_store_b128 v[4:5], v[0:3], off
.LBB1822_11:
	s_nop 0
	s_sendmsg sendmsg(MSG_DEALLOC_VGPRS)
	s_endpgm
	.section	.rodata,"a",@progbits
	.p2align	6, 0x0
	.amdhsa_kernel _ZL32rocblas_syrkx_herkx_small_kernelIl19rocblas_complex_numIdELi16ELb1ELb1ELc67ELc76EKPKS1_KPS1_EviT_T0_PT6_S7_lSA_S7_lS8_PT7_S7_li
		.amdhsa_group_segment_fixed_size 8192
		.amdhsa_private_segment_fixed_size 0
		.amdhsa_kernarg_size 124
		.amdhsa_user_sgpr_count 13
		.amdhsa_user_sgpr_dispatch_ptr 0
		.amdhsa_user_sgpr_queue_ptr 0
		.amdhsa_user_sgpr_kernarg_segment_ptr 1
		.amdhsa_user_sgpr_dispatch_id 0
		.amdhsa_user_sgpr_private_segment_size 0
		.amdhsa_wavefront_size32 1
		.amdhsa_uses_dynamic_stack 0
		.amdhsa_enable_private_segment 0
		.amdhsa_system_sgpr_workgroup_id_x 1
		.amdhsa_system_sgpr_workgroup_id_y 1
		.amdhsa_system_sgpr_workgroup_id_z 1
		.amdhsa_system_sgpr_workgroup_info 0
		.amdhsa_system_vgpr_workitem_id 1
		.amdhsa_next_free_vgpr 53
		.amdhsa_next_free_sgpr 24
		.amdhsa_reserve_vcc 1
		.amdhsa_float_round_mode_32 0
		.amdhsa_float_round_mode_16_64 0
		.amdhsa_float_denorm_mode_32 3
		.amdhsa_float_denorm_mode_16_64 3
		.amdhsa_dx10_clamp 1
		.amdhsa_ieee_mode 1
		.amdhsa_fp16_overflow 0
		.amdhsa_workgroup_processor_mode 1
		.amdhsa_memory_ordered 1
		.amdhsa_forward_progress 0
		.amdhsa_shared_vgpr_count 0
		.amdhsa_exception_fp_ieee_invalid_op 0
		.amdhsa_exception_fp_denorm_src 0
		.amdhsa_exception_fp_ieee_div_zero 0
		.amdhsa_exception_fp_ieee_overflow 0
		.amdhsa_exception_fp_ieee_underflow 0
		.amdhsa_exception_fp_ieee_inexact 0
		.amdhsa_exception_int_div_zero 0
	.end_amdhsa_kernel
	.section	.text._ZL32rocblas_syrkx_herkx_small_kernelIl19rocblas_complex_numIdELi16ELb1ELb1ELc67ELc76EKPKS1_KPS1_EviT_T0_PT6_S7_lSA_S7_lS8_PT7_S7_li,"axG",@progbits,_ZL32rocblas_syrkx_herkx_small_kernelIl19rocblas_complex_numIdELi16ELb1ELb1ELc67ELc76EKPKS1_KPS1_EviT_T0_PT6_S7_lSA_S7_lS8_PT7_S7_li,comdat
.Lfunc_end1822:
	.size	_ZL32rocblas_syrkx_herkx_small_kernelIl19rocblas_complex_numIdELi16ELb1ELb1ELc67ELc76EKPKS1_KPS1_EviT_T0_PT6_S7_lSA_S7_lS8_PT7_S7_li, .Lfunc_end1822-_ZL32rocblas_syrkx_herkx_small_kernelIl19rocblas_complex_numIdELi16ELb1ELb1ELc67ELc76EKPKS1_KPS1_EviT_T0_PT6_S7_lSA_S7_lS8_PT7_S7_li
                                        ; -- End function
	.section	.AMDGPU.csdata,"",@progbits
; Kernel info:
; codeLenInByte = 2032
; NumSgprs: 26
; NumVgprs: 53
; ScratchSize: 0
; MemoryBound: 1
; FloatMode: 240
; IeeeMode: 1
; LDSByteSize: 8192 bytes/workgroup (compile time only)
; SGPRBlocks: 3
; VGPRBlocks: 6
; NumSGPRsForWavesPerEU: 26
; NumVGPRsForWavesPerEU: 53
; Occupancy: 16
; WaveLimiterHint : 1
; COMPUTE_PGM_RSRC2:SCRATCH_EN: 0
; COMPUTE_PGM_RSRC2:USER_SGPR: 13
; COMPUTE_PGM_RSRC2:TRAP_HANDLER: 0
; COMPUTE_PGM_RSRC2:TGID_X_EN: 1
; COMPUTE_PGM_RSRC2:TGID_Y_EN: 1
; COMPUTE_PGM_RSRC2:TGID_Z_EN: 1
; COMPUTE_PGM_RSRC2:TIDIG_COMP_CNT: 1
	.section	.text._ZL32rocblas_syrkx_herkx_small_kernelIl19rocblas_complex_numIdELi16ELb1ELb1ELc78ELc76EKPKS1_KPS1_EviT_T0_PT6_S7_lSA_S7_lS8_PT7_S7_li,"axG",@progbits,_ZL32rocblas_syrkx_herkx_small_kernelIl19rocblas_complex_numIdELi16ELb1ELb1ELc78ELc76EKPKS1_KPS1_EviT_T0_PT6_S7_lSA_S7_lS8_PT7_S7_li,comdat
	.globl	_ZL32rocblas_syrkx_herkx_small_kernelIl19rocblas_complex_numIdELi16ELb1ELb1ELc78ELc76EKPKS1_KPS1_EviT_T0_PT6_S7_lSA_S7_lS8_PT7_S7_li ; -- Begin function _ZL32rocblas_syrkx_herkx_small_kernelIl19rocblas_complex_numIdELi16ELb1ELb1ELc78ELc76EKPKS1_KPS1_EviT_T0_PT6_S7_lSA_S7_lS8_PT7_S7_li
	.p2align	8
	.type	_ZL32rocblas_syrkx_herkx_small_kernelIl19rocblas_complex_numIdELi16ELb1ELb1ELc78ELc76EKPKS1_KPS1_EviT_T0_PT6_S7_lSA_S7_lS8_PT7_S7_li,@function
_ZL32rocblas_syrkx_herkx_small_kernelIl19rocblas_complex_numIdELi16ELb1ELb1ELc78ELc76EKPKS1_KPS1_EviT_T0_PT6_S7_lSA_S7_lS8_PT7_S7_li: ; @_ZL32rocblas_syrkx_herkx_small_kernelIl19rocblas_complex_numIdELi16ELb1ELb1ELc78ELc76EKPKS1_KPS1_EviT_T0_PT6_S7_lSA_S7_lS8_PT7_S7_li
; %bb.0:
	s_clause 0x2
	s_load_b128 s[16:19], s[0:1], 0x60
	s_load_b256 s[4:11], s[0:1], 0x8
	s_load_b32 s3, s[0:1], 0x0
	s_mov_b32 s20, s15
	s_mov_b32 s21, 0
	v_and_b32_e32 v17, 0x3ff, v0
	s_lshl_b64 s[22:23], s[20:21], 3
	v_bfe_u32 v18, v0, 10, 10
	v_mov_b32_e32 v13, 0
	v_mov_b32_e32 v14, 0
	v_lshl_add_u32 v5, s13, 4, v17
	s_delay_alu instid0(VALU_DEP_4) | instskip(NEXT) | instid1(VALU_DEP_3)
	v_lshl_add_u32 v7, s14, 4, v18
	v_dual_mov_b32 v16, v14 :: v_dual_mov_b32 v15, v13
	s_delay_alu instid0(VALU_DEP_3) | instskip(NEXT) | instid1(VALU_DEP_3)
	v_ashrrev_i32_e32 v6, 31, v5
	v_ashrrev_i32_e32 v8, 31, v7
	s_waitcnt lgkmcnt(0)
	s_add_u32 s16, s16, s22
	s_addc_u32 s17, s17, s23
	s_load_b64 s[20:21], s[0:1], 0x28
	s_load_b64 s[16:17], s[16:17], 0x0
	v_cmp_lt_i64_e64 s2, s[4:5], 1
	s_delay_alu instid0(VALU_DEP_1)
	s_and_b32 vcc_lo, exec_lo, s2
	v_cmp_gt_i32_e64 s2, s3, v5
	s_cbranch_vccnz .LBB1823_9
; %bb.1:
	s_load_b128 s[12:15], s[0:1], 0x38
	s_waitcnt lgkmcnt(0)
	v_mad_u64_u32 v[3:4], null, s20, v18, 0
	v_dual_mov_b32 v0, 0 :: v_dual_lshlrev_b32 v23, 8, v18
	v_lshlrev_b32_e32 v19, 4, v17
	v_lshlrev_b64 v[9:10], 4, v[7:8]
	v_lshlrev_b64 v[11:12], 4, v[5:6]
	v_cmp_gt_i32_e64 s0, s3, v7
	v_mad_u64_u32 v[21:22], null, s21, v18, v[4:5]
	v_mad_u64_u32 v[1:2], null, s14, v17, 0
	s_add_u32 s12, s12, s22
	s_addc_u32 s13, s13, s23
	s_add_u32 s10, s10, s22
	s_load_b64 s[12:13], s[12:13], 0x0
	s_addc_u32 s11, s11, s23
	s_xor_b32 s1, s2, -1
	s_delay_alu instid0(VALU_DEP_1)
	v_mad_u64_u32 v[15:16], null, s15, v17, v[2:3]
	v_mov_b32_e32 v13, 0
	s_load_b64 s[22:23], s[10:11], 0x0
	v_mov_b32_e32 v14, 0
	v_dual_mov_b32 v4, v21 :: v_dual_add_nc_u32 v21, v19, v23
	v_add_nc_u32_e32 v20, 0x1000, v23
	v_mov_b32_e32 v2, v15
	s_delay_alu instid0(VALU_DEP_4) | instskip(NEXT) | instid1(VALU_DEP_4)
	v_dual_mov_b32 v16, v14 :: v_dual_mov_b32 v15, v13
	v_lshlrev_b64 v[3:4], 4, v[3:4]
	s_delay_alu instid0(VALU_DEP_4) | instskip(NEXT) | instid1(VALU_DEP_4)
	v_add_nc_u32_e32 v22, v20, v19
	v_lshlrev_b64 v[1:2], 4, v[1:2]
	s_lshl_b64 s[10:11], s[14:15], 8
	s_mov_b64 s[14:15], 0
	s_delay_alu instid0(VALU_DEP_1) | instskip(NEXT) | instid1(VALU_DEP_2)
	v_add_co_u32 v1, vcc_lo, v1, v9
	v_add_co_ci_u32_e32 v2, vcc_lo, v2, v10, vcc_lo
	v_add_co_u32 v3, vcc_lo, v3, v11
	v_add_co_ci_u32_e32 v4, vcc_lo, v4, v12, vcc_lo
	s_waitcnt lgkmcnt(0)
	v_add_co_u32 v1, vcc_lo, v1, s12
	v_add_co_ci_u32_e32 v2, vcc_lo, s13, v2, vcc_lo
	v_add_co_u32 v9, vcc_lo, s22, v3
	v_add_co_ci_u32_e32 v10, vcc_lo, s23, v4, vcc_lo
	s_delay_alu instid0(VALU_DEP_4) | instskip(NEXT) | instid1(VALU_DEP_4)
	v_add_co_u32 v11, vcc_lo, v1, 8
	v_add_co_ci_u32_e32 v12, vcc_lo, 0, v2, vcc_lo
	s_lshl_b64 s[12:13], s[20:21], 8
	s_branch .LBB1823_3
.LBB1823_2:                             ;   in Loop: Header=BB1823_3 Depth=1
	s_or_b32 exec_lo, exec_lo, s2
	ds_store_b128 v22, v[1:4]
	s_waitcnt lgkmcnt(0)
	s_barrier
	buffer_gl0_inv
	ds_load_b128 v[1:4], v19
	ds_load_b128 v[23:26], v20
	ds_load_b128 v[27:30], v20 offset:16
	ds_load_b128 v[31:34], v19 offset:256
	s_add_u32 s14, s14, 16
	s_addc_u32 s15, s15, 0
	v_add_co_u32 v11, vcc_lo, v11, s10
	v_cmp_ge_i64_e64 s2, s[14:15], s[4:5]
	v_add_co_ci_u32_e32 v12, vcc_lo, s11, v12, vcc_lo
	v_add_co_u32 v9, vcc_lo, v9, s12
	v_add_co_ci_u32_e32 v10, vcc_lo, s13, v10, vcc_lo
	s_delay_alu instid0(VALU_DEP_4)
	s_and_b32 vcc_lo, exec_lo, s2
	s_waitcnt lgkmcnt(2)
	v_mul_f64 v[35:36], v[25:26], v[3:4]
	v_mul_f64 v[3:4], v[23:24], v[3:4]
	s_waitcnt lgkmcnt(0)
	v_mul_f64 v[41:42], v[29:30], v[33:34]
	v_mul_f64 v[43:44], v[27:28], v[33:34]
	s_delay_alu instid0(VALU_DEP_4) | instskip(NEXT) | instid1(VALU_DEP_4)
	v_fma_f64 v[45:46], v[23:24], v[1:2], -v[35:36]
	v_fma_f64 v[47:48], v[25:26], v[1:2], v[3:4]
	ds_load_b128 v[1:4], v19 offset:512
	ds_load_b128 v[23:26], v20 offset:32
	;; [unrolled: 1-line block ×4, first 2 shown]
	v_fma_f64 v[27:28], v[27:28], v[31:32], -v[41:42]
	v_fma_f64 v[29:30], v[29:30], v[31:32], v[43:44]
	s_waitcnt lgkmcnt(2)
	v_mul_f64 v[49:50], v[25:26], v[3:4]
	v_mul_f64 v[3:4], v[23:24], v[3:4]
	s_waitcnt lgkmcnt(0)
	v_mul_f64 v[31:32], v[35:36], v[39:40]
	v_mul_f64 v[39:40], v[33:34], v[39:40]
	v_add_f64 v[15:16], v[15:16], v[45:46]
	v_add_f64 v[13:14], v[13:14], v[47:48]
	v_fma_f64 v[41:42], v[23:24], v[1:2], -v[49:50]
	v_fma_f64 v[43:44], v[25:26], v[1:2], v[3:4]
	v_fma_f64 v[31:32], v[33:34], v[37:38], -v[31:32]
	v_fma_f64 v[33:34], v[35:36], v[37:38], v[39:40]
	v_add_f64 v[45:46], v[15:16], v[27:28]
	v_add_f64 v[47:48], v[13:14], v[29:30]
	ds_load_b128 v[1:4], v19 offset:1024
	ds_load_b128 v[13:16], v20 offset:64
	;; [unrolled: 1-line block ×4, first 2 shown]
	s_waitcnt lgkmcnt(2)
	v_mul_f64 v[49:50], v[15:16], v[3:4]
	v_mul_f64 v[3:4], v[13:14], v[3:4]
	s_waitcnt lgkmcnt(0)
	v_mul_f64 v[39:40], v[25:26], v[29:30]
	v_add_f64 v[35:36], v[45:46], v[41:42]
	v_add_f64 v[37:38], v[47:48], v[43:44]
	v_mul_f64 v[41:42], v[23:24], v[29:30]
	v_fma_f64 v[43:44], v[13:14], v[1:2], -v[49:50]
	v_fma_f64 v[45:46], v[15:16], v[1:2], v[3:4]
	v_fma_f64 v[23:24], v[23:24], v[27:28], -v[39:40]
	v_add_f64 v[47:48], v[35:36], v[31:32]
	v_add_f64 v[37:38], v[37:38], v[33:34]
	ds_load_b128 v[1:4], v19 offset:1536
	ds_load_b128 v[13:16], v20 offset:96
	;; [unrolled: 1-line block ×4, first 2 shown]
	v_fma_f64 v[25:26], v[25:26], v[27:28], v[41:42]
	s_waitcnt lgkmcnt(2)
	v_mul_f64 v[49:50], v[15:16], v[3:4]
	v_mul_f64 v[3:4], v[13:14], v[3:4]
	s_waitcnt lgkmcnt(0)
	v_mul_f64 v[39:40], v[31:32], v[35:36]
	v_mul_f64 v[41:42], v[29:30], v[35:36]
	v_add_f64 v[27:28], v[47:48], v[43:44]
	v_add_f64 v[37:38], v[37:38], v[45:46]
	v_fma_f64 v[43:44], v[13:14], v[1:2], -v[49:50]
	v_fma_f64 v[45:46], v[15:16], v[1:2], v[3:4]
	v_fma_f64 v[29:30], v[29:30], v[33:34], -v[39:40]
	v_fma_f64 v[31:32], v[31:32], v[33:34], v[41:42]
	v_add_f64 v[27:28], v[27:28], v[23:24]
	v_add_f64 v[47:48], v[37:38], v[25:26]
	ds_load_b128 v[1:4], v19 offset:2048
	ds_load_b128 v[13:16], v20 offset:128
	;; [unrolled: 1-line block ×4, first 2 shown]
	s_waitcnt lgkmcnt(2)
	v_mul_f64 v[49:50], v[15:16], v[3:4]
	v_mul_f64 v[3:4], v[13:14], v[3:4]
	s_waitcnt lgkmcnt(0)
	v_mul_f64 v[39:40], v[25:26], v[37:38]
	v_mul_f64 v[37:38], v[23:24], v[37:38]
	v_add_f64 v[27:28], v[27:28], v[43:44]
	v_add_f64 v[33:34], v[47:48], v[45:46]
	v_fma_f64 v[41:42], v[13:14], v[1:2], -v[49:50]
	v_fma_f64 v[43:44], v[15:16], v[1:2], v[3:4]
	v_fma_f64 v[23:24], v[23:24], v[35:36], -v[39:40]
	v_fma_f64 v[25:26], v[25:26], v[35:36], v[37:38]
	v_add_f64 v[45:46], v[27:28], v[29:30]
	v_add_f64 v[47:48], v[33:34], v[31:32]
	ds_load_b128 v[1:4], v19 offset:2560
	ds_load_b128 v[13:16], v20 offset:160
	;; [unrolled: 1-line block ×4, first 2 shown]
	s_waitcnt lgkmcnt(2)
	v_mul_f64 v[49:50], v[15:16], v[3:4]
	v_mul_f64 v[3:4], v[13:14], v[3:4]
	s_waitcnt lgkmcnt(0)
	v_mul_f64 v[39:40], v[29:30], v[33:34]
	v_add_f64 v[35:36], v[45:46], v[41:42]
	v_add_f64 v[37:38], v[47:48], v[43:44]
	v_mul_f64 v[41:42], v[27:28], v[33:34]
	v_fma_f64 v[43:44], v[13:14], v[1:2], -v[49:50]
	v_fma_f64 v[45:46], v[15:16], v[1:2], v[3:4]
	v_fma_f64 v[27:28], v[27:28], v[31:32], -v[39:40]
	v_add_f64 v[47:48], v[35:36], v[23:24]
	v_add_f64 v[37:38], v[37:38], v[25:26]
	ds_load_b128 v[1:4], v19 offset:3072
	ds_load_b128 v[13:16], v20 offset:192
	;; [unrolled: 1-line block ×4, first 2 shown]
	v_fma_f64 v[29:30], v[29:30], v[31:32], v[41:42]
	s_waitcnt lgkmcnt(2)
	v_mul_f64 v[49:50], v[15:16], v[3:4]
	v_mul_f64 v[3:4], v[13:14], v[3:4]
	s_waitcnt lgkmcnt(0)
	v_mul_f64 v[39:40], v[25:26], v[35:36]
	v_mul_f64 v[41:42], v[23:24], v[35:36]
	v_add_f64 v[31:32], v[47:48], v[43:44]
	v_add_f64 v[37:38], v[37:38], v[45:46]
	v_fma_f64 v[43:44], v[13:14], v[1:2], -v[49:50]
	v_fma_f64 v[45:46], v[15:16], v[1:2], v[3:4]
	v_fma_f64 v[23:24], v[23:24], v[33:34], -v[39:40]
	v_fma_f64 v[25:26], v[25:26], v[33:34], v[41:42]
	v_add_f64 v[31:32], v[31:32], v[27:28]
	v_add_f64 v[47:48], v[37:38], v[29:30]
	ds_load_b128 v[1:4], v19 offset:3584
	ds_load_b128 v[13:16], v20 offset:224
	;; [unrolled: 1-line block ×4, first 2 shown]
	s_waitcnt lgkmcnt(0)
	s_barrier
	buffer_gl0_inv
	v_mul_f64 v[49:50], v[15:16], v[3:4]
	v_mul_f64 v[3:4], v[13:14], v[3:4]
	;; [unrolled: 1-line block ×4, first 2 shown]
	v_add_f64 v[31:32], v[31:32], v[43:44]
	v_add_f64 v[33:34], v[47:48], v[45:46]
	v_fma_f64 v[13:14], v[13:14], v[1:2], -v[49:50]
	v_fma_f64 v[1:2], v[15:16], v[1:2], v[3:4]
	s_delay_alu instid0(VALU_DEP_4) | instskip(NEXT) | instid1(VALU_DEP_4)
	v_add_f64 v[3:4], v[31:32], v[23:24]
	v_add_f64 v[15:16], v[33:34], v[25:26]
	v_fma_f64 v[23:24], v[27:28], v[35:36], -v[39:40]
	v_fma_f64 v[25:26], v[29:30], v[35:36], v[37:38]
	s_delay_alu instid0(VALU_DEP_4) | instskip(NEXT) | instid1(VALU_DEP_4)
	v_add_f64 v[3:4], v[3:4], v[13:14]
	v_add_f64 v[1:2], v[15:16], v[1:2]
	s_delay_alu instid0(VALU_DEP_2) | instskip(NEXT) | instid1(VALU_DEP_2)
	v_add_f64 v[15:16], v[3:4], v[23:24]
	v_add_f64 v[13:14], v[1:2], v[25:26]
	s_cbranch_vccnz .LBB1823_9
.LBB1823_3:                             ; =>This Inner Loop Header: Depth=1
	v_add_co_u32 v1, s2, v18, s14
	s_delay_alu instid0(VALU_DEP_1) | instskip(NEXT) | instid1(VALU_DEP_1)
	v_add_co_ci_u32_e64 v2, null, 0, s15, s2
	v_cmp_le_i64_e32 vcc_lo, s[4:5], v[1:2]
	s_or_b32 s2, s1, vcc_lo
	s_delay_alu instid0(SALU_CYCLE_1) | instskip(NEXT) | instid1(SALU_CYCLE_1)
	s_and_saveexec_b32 s20, s2
	s_xor_b32 s2, exec_lo, s20
	s_cbranch_execz .LBB1823_5
; %bb.4:                                ;   in Loop: Header=BB1823_3 Depth=1
	v_mov_b32_e32 v1, v0
	v_mov_b32_e32 v2, v0
	;; [unrolled: 1-line block ×3, first 2 shown]
	ds_store_b128 v21, v[0:3]
.LBB1823_5:                             ;   in Loop: Header=BB1823_3 Depth=1
	s_and_not1_saveexec_b32 s2, s2
	s_cbranch_execz .LBB1823_7
; %bb.6:                                ;   in Loop: Header=BB1823_3 Depth=1
	global_load_b128 v[1:4], v[9:10], off
	s_waitcnt vmcnt(0)
	ds_store_2addr_b64 v21, v[1:2], v[3:4] offset1:1
.LBB1823_7:                             ;   in Loop: Header=BB1823_3 Depth=1
	s_or_b32 exec_lo, exec_lo, s2
	v_add_co_u32 v3, s2, v17, s14
	s_delay_alu instid0(VALU_DEP_1) | instskip(SKIP_2) | instid1(VALU_DEP_3)
	v_add_co_ci_u32_e64 v4, null, 0, s15, s2
	v_mov_b32_e32 v1, 0
	v_mov_b32_e32 v2, 0
	v_cmp_gt_i64_e32 vcc_lo, s[4:5], v[3:4]
	s_delay_alu instid0(VALU_DEP_2) | instskip(SKIP_1) | instid1(SALU_CYCLE_1)
	v_dual_mov_b32 v4, v2 :: v_dual_mov_b32 v3, v1
	s_and_b32 s20, s0, vcc_lo
	s_and_saveexec_b32 s2, s20
	s_cbranch_execz .LBB1823_2
; %bb.8:                                ;   in Loop: Header=BB1823_3 Depth=1
	global_load_b128 v[1:4], v[11:12], off offset:-8
	s_waitcnt vmcnt(0)
	v_xor_b32_e32 v4, 0x80000000, v4
	s_branch .LBB1823_2
.LBB1823_9:
	v_cmp_le_i32_e32 vcc_lo, v7, v5
	v_cmp_gt_i32_e64 s0, s3, v5
	s_delay_alu instid0(VALU_DEP_1) | instskip(NEXT) | instid1(SALU_CYCLE_1)
	s_and_b32 s0, vcc_lo, s0
	s_and_saveexec_b32 s1, s0
	s_cbranch_execz .LBB1823_11
; %bb.10:
	s_delay_alu instid0(VALU_DEP_3)
	v_mul_f64 v[0:1], s[6:7], v[13:14]
	v_mul_f64 v[2:3], s[8:9], v[13:14]
	v_mul_lo_u32 v4, v7, s19
	v_mul_lo_u32 v8, v8, s18
	v_lshlrev_b64 v[11:12], 4, v[5:6]
	v_fma_f64 v[9:10], s[8:9], v[15:16], v[0:1]
	v_fma_f64 v[0:1], s[6:7], v[15:16], -v[2:3]
	v_mad_u64_u32 v[2:3], null, v7, s18, 0
	s_delay_alu instid0(VALU_DEP_1) | instskip(NEXT) | instid1(VALU_DEP_1)
	v_add3_u32 v3, v3, v4, v8
	v_lshlrev_b64 v[2:3], 4, v[2:3]
	s_waitcnt lgkmcnt(0)
	s_delay_alu instid0(VALU_DEP_1) | instskip(NEXT) | instid1(VALU_DEP_2)
	v_add_co_u32 v2, vcc_lo, s16, v2
	v_add_co_ci_u32_e32 v3, vcc_lo, s17, v3, vcc_lo
	v_cmp_ne_u32_e32 vcc_lo, v5, v7
	s_delay_alu instid0(VALU_DEP_3) | instskip(NEXT) | instid1(VALU_DEP_1)
	v_add_co_u32 v4, s0, v2, v11
	v_add_co_ci_u32_e64 v5, s0, v3, v12, s0
	v_dual_cndmask_b32 v3, 0, v10 :: v_dual_cndmask_b32 v2, 0, v9
	global_store_b128 v[4:5], v[0:3], off
.LBB1823_11:
	s_nop 0
	s_sendmsg sendmsg(MSG_DEALLOC_VGPRS)
	s_endpgm
	.section	.rodata,"a",@progbits
	.p2align	6, 0x0
	.amdhsa_kernel _ZL32rocblas_syrkx_herkx_small_kernelIl19rocblas_complex_numIdELi16ELb1ELb1ELc78ELc76EKPKS1_KPS1_EviT_T0_PT6_S7_lSA_S7_lS8_PT7_S7_li
		.amdhsa_group_segment_fixed_size 8192
		.amdhsa_private_segment_fixed_size 0
		.amdhsa_kernarg_size 124
		.amdhsa_user_sgpr_count 13
		.amdhsa_user_sgpr_dispatch_ptr 0
		.amdhsa_user_sgpr_queue_ptr 0
		.amdhsa_user_sgpr_kernarg_segment_ptr 1
		.amdhsa_user_sgpr_dispatch_id 0
		.amdhsa_user_sgpr_private_segment_size 0
		.amdhsa_wavefront_size32 1
		.amdhsa_uses_dynamic_stack 0
		.amdhsa_enable_private_segment 0
		.amdhsa_system_sgpr_workgroup_id_x 1
		.amdhsa_system_sgpr_workgroup_id_y 1
		.amdhsa_system_sgpr_workgroup_id_z 1
		.amdhsa_system_sgpr_workgroup_info 0
		.amdhsa_system_vgpr_workitem_id 1
		.amdhsa_next_free_vgpr 51
		.amdhsa_next_free_sgpr 24
		.amdhsa_reserve_vcc 1
		.amdhsa_float_round_mode_32 0
		.amdhsa_float_round_mode_16_64 0
		.amdhsa_float_denorm_mode_32 3
		.amdhsa_float_denorm_mode_16_64 3
		.amdhsa_dx10_clamp 1
		.amdhsa_ieee_mode 1
		.amdhsa_fp16_overflow 0
		.amdhsa_workgroup_processor_mode 1
		.amdhsa_memory_ordered 1
		.amdhsa_forward_progress 0
		.amdhsa_shared_vgpr_count 0
		.amdhsa_exception_fp_ieee_invalid_op 0
		.amdhsa_exception_fp_denorm_src 0
		.amdhsa_exception_fp_ieee_div_zero 0
		.amdhsa_exception_fp_ieee_overflow 0
		.amdhsa_exception_fp_ieee_underflow 0
		.amdhsa_exception_fp_ieee_inexact 0
		.amdhsa_exception_int_div_zero 0
	.end_amdhsa_kernel
	.section	.text._ZL32rocblas_syrkx_herkx_small_kernelIl19rocblas_complex_numIdELi16ELb1ELb1ELc78ELc76EKPKS1_KPS1_EviT_T0_PT6_S7_lSA_S7_lS8_PT7_S7_li,"axG",@progbits,_ZL32rocblas_syrkx_herkx_small_kernelIl19rocblas_complex_numIdELi16ELb1ELb1ELc78ELc76EKPKS1_KPS1_EviT_T0_PT6_S7_lSA_S7_lS8_PT7_S7_li,comdat
.Lfunc_end1823:
	.size	_ZL32rocblas_syrkx_herkx_small_kernelIl19rocblas_complex_numIdELi16ELb1ELb1ELc78ELc76EKPKS1_KPS1_EviT_T0_PT6_S7_lSA_S7_lS8_PT7_S7_li, .Lfunc_end1823-_ZL32rocblas_syrkx_herkx_small_kernelIl19rocblas_complex_numIdELi16ELb1ELb1ELc78ELc76EKPKS1_KPS1_EviT_T0_PT6_S7_lSA_S7_lS8_PT7_S7_li
                                        ; -- End function
	.section	.AMDGPU.csdata,"",@progbits
; Kernel info:
; codeLenInByte = 1988
; NumSgprs: 26
; NumVgprs: 51
; ScratchSize: 0
; MemoryBound: 1
; FloatMode: 240
; IeeeMode: 1
; LDSByteSize: 8192 bytes/workgroup (compile time only)
; SGPRBlocks: 3
; VGPRBlocks: 6
; NumSGPRsForWavesPerEU: 26
; NumVGPRsForWavesPerEU: 51
; Occupancy: 16
; WaveLimiterHint : 1
; COMPUTE_PGM_RSRC2:SCRATCH_EN: 0
; COMPUTE_PGM_RSRC2:USER_SGPR: 13
; COMPUTE_PGM_RSRC2:TRAP_HANDLER: 0
; COMPUTE_PGM_RSRC2:TGID_X_EN: 1
; COMPUTE_PGM_RSRC2:TGID_Y_EN: 1
; COMPUTE_PGM_RSRC2:TGID_Z_EN: 1
; COMPUTE_PGM_RSRC2:TIDIG_COMP_CNT: 1
	.section	.text._ZL32rocblas_syrkx_herkx_small_kernelIl19rocblas_complex_numIdELi16ELb1ELb1ELc84ELc85EKPKS1_KPS1_EviT_T0_PT6_S7_lSA_S7_lS8_PT7_S7_li,"axG",@progbits,_ZL32rocblas_syrkx_herkx_small_kernelIl19rocblas_complex_numIdELi16ELb1ELb1ELc84ELc85EKPKS1_KPS1_EviT_T0_PT6_S7_lSA_S7_lS8_PT7_S7_li,comdat
	.globl	_ZL32rocblas_syrkx_herkx_small_kernelIl19rocblas_complex_numIdELi16ELb1ELb1ELc84ELc85EKPKS1_KPS1_EviT_T0_PT6_S7_lSA_S7_lS8_PT7_S7_li ; -- Begin function _ZL32rocblas_syrkx_herkx_small_kernelIl19rocblas_complex_numIdELi16ELb1ELb1ELc84ELc85EKPKS1_KPS1_EviT_T0_PT6_S7_lSA_S7_lS8_PT7_S7_li
	.p2align	8
	.type	_ZL32rocblas_syrkx_herkx_small_kernelIl19rocblas_complex_numIdELi16ELb1ELb1ELc84ELc85EKPKS1_KPS1_EviT_T0_PT6_S7_lSA_S7_lS8_PT7_S7_li,@function
_ZL32rocblas_syrkx_herkx_small_kernelIl19rocblas_complex_numIdELi16ELb1ELb1ELc84ELc85EKPKS1_KPS1_EviT_T0_PT6_S7_lSA_S7_lS8_PT7_S7_li: ; @_ZL32rocblas_syrkx_herkx_small_kernelIl19rocblas_complex_numIdELi16ELb1ELb1ELc84ELc85EKPKS1_KPS1_EviT_T0_PT6_S7_lSA_S7_lS8_PT7_S7_li
; %bb.0:
	s_clause 0x2
	s_load_b128 s[16:19], s[0:1], 0x60
	s_load_b256 s[4:11], s[0:1], 0x8
	s_load_b32 s3, s[0:1], 0x0
	s_mov_b32 s20, s15
	s_mov_b32 s21, 0
	v_and_b32_e32 v16, 0x3ff, v0
	s_lshl_b64 s[20:21], s[20:21], 3
	v_bfe_u32 v17, v0, 10, 10
	v_mov_b32_e32 v10, 0
	v_mov_b32_e32 v11, 0
	v_lshl_add_u32 v4, s13, 4, v16
	s_delay_alu instid0(VALU_DEP_4) | instskip(NEXT) | instid1(VALU_DEP_3)
	v_lshl_add_u32 v14, s14, 4, v17
	v_dual_mov_b32 v13, v11 :: v_dual_mov_b32 v12, v10
	s_delay_alu instid0(VALU_DEP_3) | instskip(NEXT) | instid1(VALU_DEP_3)
	v_ashrrev_i32_e32 v5, 31, v4
	v_ashrrev_i32_e32 v15, 31, v14
	s_waitcnt lgkmcnt(0)
	s_add_u32 s16, s16, s20
	s_addc_u32 s17, s17, s21
	s_load_b64 s[22:23], s[0:1], 0x28
	s_load_b64 s[16:17], s[16:17], 0x0
	v_cmp_lt_i64_e64 s2, s[4:5], 1
	s_delay_alu instid0(VALU_DEP_1)
	s_and_b32 vcc_lo, exec_lo, s2
	v_cmp_gt_i32_e64 s2, s3, v14
	s_cbranch_vccnz .LBB1824_11
; %bb.1:
	s_load_b128 s[12:15], s[0:1], 0x38
	s_waitcnt lgkmcnt(0)
	v_mul_lo_u32 v8, s23, v4
	v_mul_lo_u32 v9, s22, v5
	v_mad_u64_u32 v[6:7], null, s22, v4, 0
	v_dual_mov_b32 v0, 0 :: v_dual_lshlrev_b32 v3, 8, v17
	v_lshlrev_b32_e32 v18, 4, v16
	v_lshlrev_b32_e32 v12, 4, v17
	v_cmp_gt_i32_e32 vcc_lo, s3, v4
	v_add3_u32 v7, v7, v9, v8
	v_add_nc_u32_e32 v19, 0x1000, v3
	s_delay_alu instid0(VALU_DEP_2)
	v_lshlrev_b64 v[6:7], 4, v[6:7]
	v_mul_lo_u32 v10, s15, v14
	v_mul_lo_u32 v11, s14, v15
	v_mad_u64_u32 v[1:2], null, s14, v14, 0
	s_add_u32 s0, s12, s20
	s_addc_u32 s1, s13, s21
	s_add_u32 s10, s10, s20
	s_load_b64 s[12:13], s[0:1], 0x0
	s_addc_u32 s11, s11, s21
	s_xor_b32 s2, s2, -1
	s_delay_alu instid0(VALU_DEP_1) | instskip(SKIP_3) | instid1(VALU_DEP_3)
	v_add3_u32 v2, v2, v11, v10
	v_mov_b32_e32 v10, 0
	s_load_b64 s[10:11], s[10:11], 0x0
	v_dual_mov_b32 v11, 0 :: v_dual_add_nc_u32 v20, v18, v3
	v_lshlrev_b64 v[1:2], 4, v[1:2]
	v_add_nc_u32_e32 v21, v19, v18
	s_delay_alu instid0(VALU_DEP_2) | instskip(NEXT) | instid1(VALU_DEP_1)
	v_add_co_u32 v1, s0, v1, v18
	v_add_co_ci_u32_e64 v2, s0, 0, v2, s0
	v_add_co_u32 v3, s0, v6, v12
	s_delay_alu instid0(VALU_DEP_1) | instskip(SKIP_2) | instid1(VALU_DEP_1)
	v_add_co_ci_u32_e64 v9, s0, 0, v7, s0
	s_waitcnt lgkmcnt(0)
	v_add_co_u32 v6, s0, s12, v1
	v_add_co_ci_u32_e64 v7, s0, s13, v2, s0
	v_add_co_u32 v8, s0, s10, v3
	v_dual_mov_b32 v13, v11 :: v_dual_mov_b32 v12, v10
	v_add_co_ci_u32_e64 v9, s0, s11, v9, s0
	s_mov_b64 s[0:1], 0
	s_xor_b32 s10, vcc_lo, -1
	s_branch .LBB1824_3
.LBB1824_2:                             ;   in Loop: Header=BB1824_3 Depth=1
	s_or_b32 exec_lo, exec_lo, s11
	s_waitcnt lgkmcnt(0)
	s_barrier
	buffer_gl0_inv
	ds_load_b128 v[22:25], v18
	ds_load_b128 v[26:29], v19
	ds_load_b128 v[30:33], v19 offset:16
	ds_load_b128 v[34:37], v18 offset:256
	s_add_u32 s0, s0, 16
	s_addc_u32 s1, s1, 0
	v_add_co_u32 v6, vcc_lo, 0x100, v6
	v_cmp_ge_i64_e64 s11, s[0:1], s[4:5]
	v_add_co_ci_u32_e32 v7, vcc_lo, 0, v7, vcc_lo
	v_add_co_u32 v8, vcc_lo, 0x100, v8
	v_add_co_ci_u32_e32 v9, vcc_lo, 0, v9, vcc_lo
	s_delay_alu instid0(VALU_DEP_4)
	s_and_b32 vcc_lo, exec_lo, s11
	s_waitcnt lgkmcnt(2)
	v_mul_f64 v[1:2], v[28:29], v[24:25]
	v_mul_f64 v[24:25], v[26:27], v[24:25]
	s_waitcnt lgkmcnt(0)
	v_mul_f64 v[44:45], v[32:33], v[36:37]
	v_mul_f64 v[46:47], v[30:31], v[36:37]
	s_delay_alu instid0(VALU_DEP_4) | instskip(NEXT) | instid1(VALU_DEP_4)
	v_fma_f64 v[1:2], v[26:27], v[22:23], -v[1:2]
	v_fma_f64 v[48:49], v[28:29], v[22:23], v[24:25]
	ds_load_b128 v[22:25], v18 offset:512
	ds_load_b128 v[26:29], v19 offset:32
	;; [unrolled: 1-line block ×4, first 2 shown]
	v_fma_f64 v[30:31], v[30:31], v[34:35], -v[44:45]
	v_fma_f64 v[32:33], v[32:33], v[34:35], v[46:47]
	s_waitcnt lgkmcnt(2)
	v_mul_f64 v[50:51], v[28:29], v[24:25]
	v_mul_f64 v[24:25], v[26:27], v[24:25]
	s_waitcnt lgkmcnt(0)
	v_mul_f64 v[34:35], v[38:39], v[42:43]
	v_mul_f64 v[42:43], v[36:37], v[42:43]
	v_add_f64 v[1:2], v[12:13], v[1:2]
	v_add_f64 v[10:11], v[10:11], v[48:49]
	v_fma_f64 v[44:45], v[26:27], v[22:23], -v[50:51]
	v_fma_f64 v[46:47], v[28:29], v[22:23], v[24:25]
	v_fma_f64 v[34:35], v[36:37], v[40:41], -v[34:35]
	v_fma_f64 v[36:37], v[38:39], v[40:41], v[42:43]
	v_add_f64 v[1:2], v[1:2], v[30:31]
	v_add_f64 v[48:49], v[10:11], v[32:33]
	ds_load_b128 v[10:13], v18 offset:1024
	ds_load_b128 v[22:25], v19 offset:64
	;; [unrolled: 1-line block ×4, first 2 shown]
	s_waitcnt lgkmcnt(2)
	v_mul_f64 v[50:51], v[24:25], v[12:13]
	v_mul_f64 v[12:13], v[22:23], v[12:13]
	s_waitcnt lgkmcnt(0)
	v_mul_f64 v[40:41], v[28:29], v[32:33]
	v_mul_f64 v[42:43], v[26:27], v[32:33]
	v_add_f64 v[1:2], v[1:2], v[44:45]
	v_add_f64 v[38:39], v[48:49], v[46:47]
	v_fma_f64 v[44:45], v[22:23], v[10:11], -v[50:51]
	v_fma_f64 v[46:47], v[24:25], v[10:11], v[12:13]
	v_fma_f64 v[26:27], v[26:27], v[30:31], -v[40:41]
	v_fma_f64 v[28:29], v[28:29], v[30:31], v[42:43]
	v_add_f64 v[1:2], v[1:2], v[34:35]
	v_add_f64 v[48:49], v[38:39], v[36:37]
	ds_load_b128 v[10:13], v18 offset:1536
	ds_load_b128 v[22:25], v19 offset:96
	;; [unrolled: 1-line block ×4, first 2 shown]
	s_waitcnt lgkmcnt(2)
	v_mul_f64 v[50:51], v[24:25], v[12:13]
	v_mul_f64 v[12:13], v[22:23], v[12:13]
	s_waitcnt lgkmcnt(0)
	v_mul_f64 v[42:43], v[34:35], v[38:39]
	v_add_f64 v[1:2], v[1:2], v[44:45]
	v_add_f64 v[30:31], v[48:49], v[46:47]
	v_mul_f64 v[44:45], v[32:33], v[38:39]
	v_fma_f64 v[46:47], v[22:23], v[10:11], -v[50:51]
	v_fma_f64 v[48:49], v[24:25], v[10:11], v[12:13]
	v_fma_f64 v[32:33], v[32:33], v[36:37], -v[42:43]
	v_add_f64 v[1:2], v[1:2], v[26:27]
	v_add_f64 v[30:31], v[30:31], v[28:29]
	ds_load_b128 v[10:13], v18 offset:2048
	ds_load_b128 v[22:25], v19 offset:128
	ds_load_b128 v[26:29], v19 offset:144
	ds_load_b128 v[38:41], v18 offset:2304
	v_fma_f64 v[34:35], v[34:35], v[36:37], v[44:45]
	s_waitcnt lgkmcnt(2)
	v_mul_f64 v[50:51], v[24:25], v[12:13]
	v_mul_f64 v[12:13], v[22:23], v[12:13]
	s_waitcnt lgkmcnt(0)
	v_mul_f64 v[42:43], v[28:29], v[40:41]
	v_mul_f64 v[40:41], v[26:27], v[40:41]
	v_add_f64 v[1:2], v[1:2], v[46:47]
	v_add_f64 v[30:31], v[30:31], v[48:49]
	v_fma_f64 v[44:45], v[22:23], v[10:11], -v[50:51]
	v_fma_f64 v[46:47], v[24:25], v[10:11], v[12:13]
	v_fma_f64 v[26:27], v[26:27], v[38:39], -v[42:43]
	v_fma_f64 v[28:29], v[28:29], v[38:39], v[40:41]
	v_add_f64 v[1:2], v[1:2], v[32:33]
	v_add_f64 v[48:49], v[30:31], v[34:35]
	ds_load_b128 v[10:13], v18 offset:2560
	ds_load_b128 v[22:25], v19 offset:160
	;; [unrolled: 1-line block ×4, first 2 shown]
	s_waitcnt lgkmcnt(2)
	v_mul_f64 v[50:51], v[24:25], v[12:13]
	v_mul_f64 v[12:13], v[22:23], v[12:13]
	s_waitcnt lgkmcnt(0)
	v_mul_f64 v[40:41], v[32:33], v[36:37]
	v_mul_f64 v[42:43], v[30:31], v[36:37]
	v_add_f64 v[1:2], v[1:2], v[44:45]
	v_add_f64 v[38:39], v[48:49], v[46:47]
	v_fma_f64 v[44:45], v[22:23], v[10:11], -v[50:51]
	v_fma_f64 v[46:47], v[24:25], v[10:11], v[12:13]
	v_fma_f64 v[30:31], v[30:31], v[34:35], -v[40:41]
	v_fma_f64 v[32:33], v[32:33], v[34:35], v[42:43]
	v_add_f64 v[1:2], v[1:2], v[26:27]
	v_add_f64 v[48:49], v[38:39], v[28:29]
	ds_load_b128 v[10:13], v18 offset:3072
	ds_load_b128 v[22:25], v19 offset:192
	;; [unrolled: 1-line block ×4, first 2 shown]
	s_waitcnt lgkmcnt(2)
	v_mul_f64 v[50:51], v[24:25], v[12:13]
	v_mul_f64 v[12:13], v[22:23], v[12:13]
	s_waitcnt lgkmcnt(0)
	v_mul_f64 v[42:43], v[28:29], v[38:39]
	v_add_f64 v[1:2], v[1:2], v[44:45]
	v_add_f64 v[34:35], v[48:49], v[46:47]
	v_mul_f64 v[44:45], v[26:27], v[38:39]
	v_fma_f64 v[46:47], v[22:23], v[10:11], -v[50:51]
	v_fma_f64 v[48:49], v[24:25], v[10:11], v[12:13]
	v_fma_f64 v[26:27], v[26:27], v[36:37], -v[42:43]
	v_add_f64 v[1:2], v[1:2], v[30:31]
	v_add_f64 v[34:35], v[34:35], v[32:33]
	ds_load_b128 v[10:13], v18 offset:3584
	ds_load_b128 v[22:25], v19 offset:224
	;; [unrolled: 1-line block ×4, first 2 shown]
	v_fma_f64 v[28:29], v[28:29], v[36:37], v[44:45]
	s_waitcnt lgkmcnt(0)
	s_barrier
	buffer_gl0_inv
	v_mul_f64 v[50:51], v[24:25], v[12:13]
	v_mul_f64 v[12:13], v[22:23], v[12:13]
	;; [unrolled: 1-line block ×4, first 2 shown]
	v_add_f64 v[1:2], v[1:2], v[46:47]
	v_add_f64 v[34:35], v[34:35], v[48:49]
	v_fma_f64 v[22:23], v[22:23], v[10:11], -v[50:51]
	v_fma_f64 v[10:11], v[24:25], v[10:11], v[12:13]
	v_fma_f64 v[24:25], v[30:31], v[38:39], -v[36:37]
	v_add_f64 v[1:2], v[1:2], v[26:27]
	v_add_f64 v[12:13], v[34:35], v[28:29]
	v_fma_f64 v[26:27], v[32:33], v[38:39], v[40:41]
	s_delay_alu instid0(VALU_DEP_3) | instskip(NEXT) | instid1(VALU_DEP_3)
	v_add_f64 v[1:2], v[1:2], v[22:23]
	v_add_f64 v[10:11], v[12:13], v[10:11]
	s_delay_alu instid0(VALU_DEP_2) | instskip(NEXT) | instid1(VALU_DEP_2)
	v_add_f64 v[12:13], v[1:2], v[24:25]
	v_add_f64 v[10:11], v[10:11], v[26:27]
	s_cbranch_vccnz .LBB1824_11
.LBB1824_3:                             ; =>This Inner Loop Header: Depth=1
	v_add_co_u32 v1, s11, v17, s0
	s_delay_alu instid0(VALU_DEP_1) | instskip(NEXT) | instid1(VALU_DEP_1)
	v_add_co_ci_u32_e64 v2, null, 0, s1, s11
	v_cmp_le_i64_e32 vcc_lo, s[4:5], v[1:2]
	s_or_b32 s11, s10, vcc_lo
	s_delay_alu instid0(SALU_CYCLE_1) | instskip(NEXT) | instid1(SALU_CYCLE_1)
	s_and_saveexec_b32 s12, s11
	s_xor_b32 s11, exec_lo, s12
	s_cbranch_execz .LBB1824_5
; %bb.4:                                ;   in Loop: Header=BB1824_3 Depth=1
	v_mov_b32_e32 v1, v0
	v_mov_b32_e32 v2, v0
	;; [unrolled: 1-line block ×3, first 2 shown]
	ds_store_b128 v20, v[0:3]
.LBB1824_5:                             ;   in Loop: Header=BB1824_3 Depth=1
	s_and_not1_saveexec_b32 s11, s11
	s_cbranch_execz .LBB1824_7
; %bb.6:                                ;   in Loop: Header=BB1824_3 Depth=1
	global_load_b128 v[22:25], v[8:9], off
	s_waitcnt vmcnt(0)
	ds_store_2addr_b64 v20, v[22:23], v[24:25] offset1:1
.LBB1824_7:                             ;   in Loop: Header=BB1824_3 Depth=1
	s_or_b32 exec_lo, exec_lo, s11
	v_add_co_u32 v1, s11, v16, s0
	s_delay_alu instid0(VALU_DEP_1) | instskip(NEXT) | instid1(VALU_DEP_1)
	v_add_co_ci_u32_e64 v2, null, 0, s1, s11
	v_cmp_le_i64_e32 vcc_lo, s[4:5], v[1:2]
	s_or_b32 s11, s2, vcc_lo
	s_delay_alu instid0(SALU_CYCLE_1) | instskip(NEXT) | instid1(SALU_CYCLE_1)
	s_and_saveexec_b32 s12, s11
	s_xor_b32 s11, exec_lo, s12
	s_cbranch_execz .LBB1824_9
; %bb.8:                                ;   in Loop: Header=BB1824_3 Depth=1
	v_mov_b32_e32 v1, v0
	v_mov_b32_e32 v2, v0
	;; [unrolled: 1-line block ×3, first 2 shown]
	ds_store_b128 v21, v[0:3]
.LBB1824_9:                             ;   in Loop: Header=BB1824_3 Depth=1
	s_and_not1_saveexec_b32 s11, s11
	s_cbranch_execz .LBB1824_2
; %bb.10:                               ;   in Loop: Header=BB1824_3 Depth=1
	global_load_b128 v[22:25], v[6:7], off
	s_waitcnt vmcnt(0)
	ds_store_2addr_b64 v21, v[22:23], v[24:25] offset1:1
	s_branch .LBB1824_2
.LBB1824_11:
	v_cmp_le_i32_e32 vcc_lo, v4, v14
	v_cmp_gt_i32_e64 s0, s3, v14
	s_delay_alu instid0(VALU_DEP_1) | instskip(NEXT) | instid1(SALU_CYCLE_1)
	s_and_b32 s0, vcc_lo, s0
	s_and_saveexec_b32 s1, s0
	s_cbranch_execz .LBB1824_13
; %bb.12:
	s_delay_alu instid0(VALU_DEP_3) | instskip(SKIP_3) | instid1(VALU_DEP_4)
	v_mul_f64 v[0:1], s[6:7], v[10:11]
	v_mul_f64 v[2:3], s[8:9], v[10:11]
	v_mul_lo_u32 v8, v14, s19
	v_mul_lo_u32 v9, v15, s18
	v_fma_f64 v[6:7], s[8:9], v[12:13], v[0:1]
	s_delay_alu instid0(VALU_DEP_4) | instskip(SKIP_1) | instid1(VALU_DEP_1)
	v_fma_f64 v[0:1], s[6:7], v[12:13], -v[2:3]
	v_mad_u64_u32 v[2:3], null, v14, s18, 0
	v_add3_u32 v3, v3, v8, v9
	v_lshlrev_b64 v[8:9], 4, v[4:5]
	s_delay_alu instid0(VALU_DEP_2) | instskip(SKIP_1) | instid1(VALU_DEP_1)
	v_lshlrev_b64 v[2:3], 4, v[2:3]
	s_waitcnt lgkmcnt(0)
	v_add_co_u32 v2, vcc_lo, s16, v2
	s_delay_alu instid0(VALU_DEP_2) | instskip(SKIP_1) | instid1(VALU_DEP_3)
	v_add_co_ci_u32_e32 v3, vcc_lo, s17, v3, vcc_lo
	v_cmp_ne_u32_e32 vcc_lo, v4, v14
	v_add_co_u32 v4, s0, v2, v8
	s_delay_alu instid0(VALU_DEP_1)
	v_add_co_ci_u32_e64 v5, s0, v3, v9, s0
	v_dual_cndmask_b32 v3, 0, v7 :: v_dual_cndmask_b32 v2, 0, v6
	global_store_b128 v[4:5], v[0:3], off
.LBB1824_13:
	s_nop 0
	s_sendmsg sendmsg(MSG_DEALLOC_VGPRS)
	s_endpgm
	.section	.rodata,"a",@progbits
	.p2align	6, 0x0
	.amdhsa_kernel _ZL32rocblas_syrkx_herkx_small_kernelIl19rocblas_complex_numIdELi16ELb1ELb1ELc84ELc85EKPKS1_KPS1_EviT_T0_PT6_S7_lSA_S7_lS8_PT7_S7_li
		.amdhsa_group_segment_fixed_size 8192
		.amdhsa_private_segment_fixed_size 0
		.amdhsa_kernarg_size 124
		.amdhsa_user_sgpr_count 13
		.amdhsa_user_sgpr_dispatch_ptr 0
		.amdhsa_user_sgpr_queue_ptr 0
		.amdhsa_user_sgpr_kernarg_segment_ptr 1
		.amdhsa_user_sgpr_dispatch_id 0
		.amdhsa_user_sgpr_private_segment_size 0
		.amdhsa_wavefront_size32 1
		.amdhsa_uses_dynamic_stack 0
		.amdhsa_enable_private_segment 0
		.amdhsa_system_sgpr_workgroup_id_x 1
		.amdhsa_system_sgpr_workgroup_id_y 1
		.amdhsa_system_sgpr_workgroup_id_z 1
		.amdhsa_system_sgpr_workgroup_info 0
		.amdhsa_system_vgpr_workitem_id 1
		.amdhsa_next_free_vgpr 52
		.amdhsa_next_free_sgpr 24
		.amdhsa_reserve_vcc 1
		.amdhsa_float_round_mode_32 0
		.amdhsa_float_round_mode_16_64 0
		.amdhsa_float_denorm_mode_32 3
		.amdhsa_float_denorm_mode_16_64 3
		.amdhsa_dx10_clamp 1
		.amdhsa_ieee_mode 1
		.amdhsa_fp16_overflow 0
		.amdhsa_workgroup_processor_mode 1
		.amdhsa_memory_ordered 1
		.amdhsa_forward_progress 0
		.amdhsa_shared_vgpr_count 0
		.amdhsa_exception_fp_ieee_invalid_op 0
		.amdhsa_exception_fp_denorm_src 0
		.amdhsa_exception_fp_ieee_div_zero 0
		.amdhsa_exception_fp_ieee_overflow 0
		.amdhsa_exception_fp_ieee_underflow 0
		.amdhsa_exception_fp_ieee_inexact 0
		.amdhsa_exception_int_div_zero 0
	.end_amdhsa_kernel
	.section	.text._ZL32rocblas_syrkx_herkx_small_kernelIl19rocblas_complex_numIdELi16ELb1ELb1ELc84ELc85EKPKS1_KPS1_EviT_T0_PT6_S7_lSA_S7_lS8_PT7_S7_li,"axG",@progbits,_ZL32rocblas_syrkx_herkx_small_kernelIl19rocblas_complex_numIdELi16ELb1ELb1ELc84ELc85EKPKS1_KPS1_EviT_T0_PT6_S7_lSA_S7_lS8_PT7_S7_li,comdat
.Lfunc_end1824:
	.size	_ZL32rocblas_syrkx_herkx_small_kernelIl19rocblas_complex_numIdELi16ELb1ELb1ELc84ELc85EKPKS1_KPS1_EviT_T0_PT6_S7_lSA_S7_lS8_PT7_S7_li, .Lfunc_end1824-_ZL32rocblas_syrkx_herkx_small_kernelIl19rocblas_complex_numIdELi16ELb1ELb1ELc84ELc85EKPKS1_KPS1_EviT_T0_PT6_S7_lSA_S7_lS8_PT7_S7_li
                                        ; -- End function
	.section	.AMDGPU.csdata,"",@progbits
; Kernel info:
; codeLenInByte = 2008
; NumSgprs: 26
; NumVgprs: 52
; ScratchSize: 0
; MemoryBound: 0
; FloatMode: 240
; IeeeMode: 1
; LDSByteSize: 8192 bytes/workgroup (compile time only)
; SGPRBlocks: 3
; VGPRBlocks: 6
; NumSGPRsForWavesPerEU: 26
; NumVGPRsForWavesPerEU: 52
; Occupancy: 16
; WaveLimiterHint : 1
; COMPUTE_PGM_RSRC2:SCRATCH_EN: 0
; COMPUTE_PGM_RSRC2:USER_SGPR: 13
; COMPUTE_PGM_RSRC2:TRAP_HANDLER: 0
; COMPUTE_PGM_RSRC2:TGID_X_EN: 1
; COMPUTE_PGM_RSRC2:TGID_Y_EN: 1
; COMPUTE_PGM_RSRC2:TGID_Z_EN: 1
; COMPUTE_PGM_RSRC2:TIDIG_COMP_CNT: 1
	.section	.text._ZL32rocblas_syrkx_herkx_small_kernelIl19rocblas_complex_numIdELi16ELb1ELb1ELc67ELc85EKPKS1_KPS1_EviT_T0_PT6_S7_lSA_S7_lS8_PT7_S7_li,"axG",@progbits,_ZL32rocblas_syrkx_herkx_small_kernelIl19rocblas_complex_numIdELi16ELb1ELb1ELc67ELc85EKPKS1_KPS1_EviT_T0_PT6_S7_lSA_S7_lS8_PT7_S7_li,comdat
	.globl	_ZL32rocblas_syrkx_herkx_small_kernelIl19rocblas_complex_numIdELi16ELb1ELb1ELc67ELc85EKPKS1_KPS1_EviT_T0_PT6_S7_lSA_S7_lS8_PT7_S7_li ; -- Begin function _ZL32rocblas_syrkx_herkx_small_kernelIl19rocblas_complex_numIdELi16ELb1ELb1ELc67ELc85EKPKS1_KPS1_EviT_T0_PT6_S7_lSA_S7_lS8_PT7_S7_li
	.p2align	8
	.type	_ZL32rocblas_syrkx_herkx_small_kernelIl19rocblas_complex_numIdELi16ELb1ELb1ELc67ELc85EKPKS1_KPS1_EviT_T0_PT6_S7_lSA_S7_lS8_PT7_S7_li,@function
_ZL32rocblas_syrkx_herkx_small_kernelIl19rocblas_complex_numIdELi16ELb1ELb1ELc67ELc85EKPKS1_KPS1_EviT_T0_PT6_S7_lSA_S7_lS8_PT7_S7_li: ; @_ZL32rocblas_syrkx_herkx_small_kernelIl19rocblas_complex_numIdELi16ELb1ELb1ELc67ELc85EKPKS1_KPS1_EviT_T0_PT6_S7_lSA_S7_lS8_PT7_S7_li
; %bb.0:
	s_clause 0x2
	s_load_b128 s[16:19], s[0:1], 0x60
	s_load_b256 s[4:11], s[0:1], 0x8
	s_load_b32 s3, s[0:1], 0x0
	s_mov_b32 s20, s15
	s_mov_b32 s21, 0
	v_and_b32_e32 v19, 0x3ff, v0
	s_lshl_b64 s[20:21], s[20:21], 3
	v_bfe_u32 v20, v0, 10, 10
	v_mov_b32_e32 v13, 0
	v_mov_b32_e32 v14, 0
	v_lshl_add_u32 v5, s13, 4, v19
	s_delay_alu instid0(VALU_DEP_4) | instskip(NEXT) | instid1(VALU_DEP_3)
	v_lshl_add_u32 v17, s14, 4, v20
	v_dual_mov_b32 v16, v14 :: v_dual_mov_b32 v15, v13
	s_delay_alu instid0(VALU_DEP_3) | instskip(NEXT) | instid1(VALU_DEP_3)
	v_ashrrev_i32_e32 v6, 31, v5
	v_ashrrev_i32_e32 v18, 31, v17
	s_waitcnt lgkmcnt(0)
	s_add_u32 s16, s16, s20
	s_addc_u32 s17, s17, s21
	s_load_b64 s[22:23], s[0:1], 0x28
	s_load_b64 s[16:17], s[16:17], 0x0
	v_cmp_lt_i64_e64 s2, s[4:5], 1
	s_delay_alu instid0(VALU_DEP_1)
	s_and_b32 vcc_lo, exec_lo, s2
	v_cmp_gt_i32_e64 s2, s3, v17
	s_cbranch_vccnz .LBB1825_9
; %bb.1:
	s_load_b128 s[12:15], s[0:1], 0x38
	s_waitcnt lgkmcnt(0)
	v_mul_lo_u32 v7, s23, v5
	v_mul_lo_u32 v8, s22, v6
	v_mad_u64_u32 v[1:2], null, s22, v5, 0
	v_lshlrev_b32_e32 v12, 4, v20
	v_dual_mov_b32 v0, 0 :: v_dual_lshlrev_b32 v21, 4, v19
	v_lshlrev_b32_e32 v9, 8, v20
	v_cmp_gt_i32_e64 s0, s3, v5
	v_add3_u32 v2, v2, v8, v7
	v_mov_b32_e32 v7, 0
	v_mov_b32_e32 v8, 0
	v_add_nc_u32_e32 v22, 0x1000, v9
	v_add_nc_u32_e32 v23, v21, v9
	v_lshlrev_b64 v[1:2], 4, v[1:2]
	s_delay_alu instid0(VALU_DEP_4)
	v_mov_b32_e32 v14, v8
	v_mov_b32_e32 v16, v8
	s_add_u32 s12, s12, s20
	s_addc_u32 s13, s13, s21
	s_add_u32 s10, s10, s20
	v_mul_lo_u32 v10, s15, v17
	v_mul_lo_u32 v11, s14, v18
	v_mad_u64_u32 v[3:4], null, s14, v17, 0
	s_addc_u32 s11, s11, s21
	s_load_b64 s[12:13], s[12:13], 0x0
	s_load_b64 s[10:11], s[10:11], 0x0
	v_add_co_u32 v1, vcc_lo, v1, v12
	v_add_co_ci_u32_e32 v2, vcc_lo, 0, v2, vcc_lo
	s_delay_alu instid0(VALU_DEP_3) | instskip(SKIP_3) | instid1(VALU_DEP_3)
	v_add3_u32 v4, v4, v11, v10
	v_dual_mov_b32 v13, v7 :: v_dual_add_nc_u32 v24, v22, v21
	v_mov_b32_e32 v15, v7
	s_xor_b32 s1, s2, -1
	v_lshlrev_b64 v[3:4], 4, v[3:4]
	s_delay_alu instid0(VALU_DEP_1) | instskip(NEXT) | instid1(VALU_DEP_2)
	v_add_co_u32 v3, vcc_lo, v3, v21
	v_add_co_ci_u32_e32 v4, vcc_lo, 0, v4, vcc_lo
	s_waitcnt lgkmcnt(0)
	v_add_co_u32 v1, vcc_lo, v1, s10
	v_add_co_ci_u32_e32 v2, vcc_lo, s11, v2, vcc_lo
	v_add_co_u32 v9, vcc_lo, s12, v3
	v_add_co_ci_u32_e32 v10, vcc_lo, s13, v4, vcc_lo
	s_delay_alu instid0(VALU_DEP_4) | instskip(NEXT) | instid1(VALU_DEP_4)
	v_add_co_u32 v11, vcc_lo, v1, 8
	v_add_co_ci_u32_e32 v12, vcc_lo, 0, v2, vcc_lo
	s_mov_b64 s[10:11], 0
	s_branch .LBB1825_3
.LBB1825_2:                             ;   in Loop: Header=BB1825_3 Depth=1
	s_or_b32 exec_lo, exec_lo, s2
	s_waitcnt lgkmcnt(0)
	s_barrier
	buffer_gl0_inv
	ds_load_b128 v[1:4], v21
	ds_load_b128 v[25:28], v22
	ds_load_b128 v[29:32], v22 offset:16
	ds_load_b128 v[33:36], v21 offset:256
	s_add_u32 s10, s10, 16
	s_addc_u32 s11, s11, 0
	v_add_co_u32 v9, vcc_lo, 0x100, v9
	v_cmp_ge_i64_e64 s2, s[10:11], s[4:5]
	v_add_co_ci_u32_e32 v10, vcc_lo, 0, v10, vcc_lo
	v_add_co_u32 v11, vcc_lo, 0x100, v11
	v_add_co_ci_u32_e32 v12, vcc_lo, 0, v12, vcc_lo
	s_delay_alu instid0(VALU_DEP_4)
	s_and_b32 vcc_lo, exec_lo, s2
	s_waitcnt lgkmcnt(2)
	v_mul_f64 v[37:38], v[27:28], v[3:4]
	v_mul_f64 v[3:4], v[25:26], v[3:4]
	s_waitcnt lgkmcnt(0)
	v_mul_f64 v[43:44], v[31:32], v[35:36]
	v_mul_f64 v[45:46], v[29:30], v[35:36]
	s_delay_alu instid0(VALU_DEP_4) | instskip(NEXT) | instid1(VALU_DEP_4)
	v_fma_f64 v[47:48], v[25:26], v[1:2], -v[37:38]
	v_fma_f64 v[49:50], v[27:28], v[1:2], v[3:4]
	ds_load_b128 v[1:4], v21 offset:512
	ds_load_b128 v[25:28], v22 offset:32
	;; [unrolled: 1-line block ×4, first 2 shown]
	v_fma_f64 v[29:30], v[29:30], v[33:34], -v[43:44]
	v_fma_f64 v[31:32], v[31:32], v[33:34], v[45:46]
	s_waitcnt lgkmcnt(2)
	v_mul_f64 v[51:52], v[27:28], v[3:4]
	v_mul_f64 v[3:4], v[25:26], v[3:4]
	s_waitcnt lgkmcnt(0)
	v_mul_f64 v[33:34], v[37:38], v[41:42]
	v_mul_f64 v[41:42], v[35:36], v[41:42]
	v_add_f64 v[15:16], v[15:16], v[47:48]
	v_add_f64 v[13:14], v[13:14], v[49:50]
	v_fma_f64 v[43:44], v[25:26], v[1:2], -v[51:52]
	v_fma_f64 v[45:46], v[27:28], v[1:2], v[3:4]
	v_fma_f64 v[33:34], v[35:36], v[39:40], -v[33:34]
	v_fma_f64 v[35:36], v[37:38], v[39:40], v[41:42]
	v_add_f64 v[47:48], v[15:16], v[29:30]
	v_add_f64 v[49:50], v[13:14], v[31:32]
	ds_load_b128 v[1:4], v21 offset:1024
	ds_load_b128 v[13:16], v22 offset:64
	;; [unrolled: 1-line block ×4, first 2 shown]
	s_waitcnt lgkmcnt(2)
	v_mul_f64 v[51:52], v[15:16], v[3:4]
	v_mul_f64 v[3:4], v[13:14], v[3:4]
	s_waitcnt lgkmcnt(0)
	v_mul_f64 v[41:42], v[27:28], v[31:32]
	v_add_f64 v[37:38], v[47:48], v[43:44]
	v_add_f64 v[39:40], v[49:50], v[45:46]
	v_mul_f64 v[43:44], v[25:26], v[31:32]
	v_fma_f64 v[45:46], v[13:14], v[1:2], -v[51:52]
	v_fma_f64 v[47:48], v[15:16], v[1:2], v[3:4]
	v_fma_f64 v[25:26], v[25:26], v[29:30], -v[41:42]
	v_add_f64 v[49:50], v[37:38], v[33:34]
	v_add_f64 v[39:40], v[39:40], v[35:36]
	ds_load_b128 v[1:4], v21 offset:1536
	ds_load_b128 v[13:16], v22 offset:96
	;; [unrolled: 1-line block ×4, first 2 shown]
	v_fma_f64 v[27:28], v[27:28], v[29:30], v[43:44]
	s_waitcnt lgkmcnt(2)
	v_mul_f64 v[51:52], v[15:16], v[3:4]
	v_mul_f64 v[3:4], v[13:14], v[3:4]
	s_waitcnt lgkmcnt(0)
	v_mul_f64 v[41:42], v[33:34], v[37:38]
	v_mul_f64 v[43:44], v[31:32], v[37:38]
	v_add_f64 v[29:30], v[49:50], v[45:46]
	v_add_f64 v[39:40], v[39:40], v[47:48]
	v_fma_f64 v[45:46], v[13:14], v[1:2], -v[51:52]
	v_fma_f64 v[47:48], v[15:16], v[1:2], v[3:4]
	v_fma_f64 v[31:32], v[31:32], v[35:36], -v[41:42]
	v_fma_f64 v[33:34], v[33:34], v[35:36], v[43:44]
	v_add_f64 v[29:30], v[29:30], v[25:26]
	v_add_f64 v[49:50], v[39:40], v[27:28]
	ds_load_b128 v[1:4], v21 offset:2048
	ds_load_b128 v[13:16], v22 offset:128
	;; [unrolled: 1-line block ×4, first 2 shown]
	s_waitcnt lgkmcnt(2)
	v_mul_f64 v[51:52], v[15:16], v[3:4]
	v_mul_f64 v[3:4], v[13:14], v[3:4]
	s_waitcnt lgkmcnt(0)
	v_mul_f64 v[41:42], v[27:28], v[39:40]
	v_mul_f64 v[39:40], v[25:26], v[39:40]
	v_add_f64 v[29:30], v[29:30], v[45:46]
	v_add_f64 v[35:36], v[49:50], v[47:48]
	v_fma_f64 v[43:44], v[13:14], v[1:2], -v[51:52]
	v_fma_f64 v[45:46], v[15:16], v[1:2], v[3:4]
	v_fma_f64 v[25:26], v[25:26], v[37:38], -v[41:42]
	v_fma_f64 v[27:28], v[27:28], v[37:38], v[39:40]
	v_add_f64 v[47:48], v[29:30], v[31:32]
	v_add_f64 v[49:50], v[35:36], v[33:34]
	ds_load_b128 v[1:4], v21 offset:2560
	ds_load_b128 v[13:16], v22 offset:160
	;; [unrolled: 1-line block ×4, first 2 shown]
	s_waitcnt lgkmcnt(2)
	v_mul_f64 v[51:52], v[15:16], v[3:4]
	v_mul_f64 v[3:4], v[13:14], v[3:4]
	s_waitcnt lgkmcnt(0)
	v_mul_f64 v[41:42], v[31:32], v[35:36]
	v_add_f64 v[37:38], v[47:48], v[43:44]
	v_add_f64 v[39:40], v[49:50], v[45:46]
	v_mul_f64 v[43:44], v[29:30], v[35:36]
	v_fma_f64 v[45:46], v[13:14], v[1:2], -v[51:52]
	v_fma_f64 v[47:48], v[15:16], v[1:2], v[3:4]
	v_fma_f64 v[29:30], v[29:30], v[33:34], -v[41:42]
	v_add_f64 v[49:50], v[37:38], v[25:26]
	v_add_f64 v[39:40], v[39:40], v[27:28]
	ds_load_b128 v[1:4], v21 offset:3072
	ds_load_b128 v[13:16], v22 offset:192
	ds_load_b128 v[25:28], v22 offset:208
	ds_load_b128 v[35:38], v21 offset:3328
	v_fma_f64 v[31:32], v[31:32], v[33:34], v[43:44]
	s_waitcnt lgkmcnt(2)
	v_mul_f64 v[51:52], v[15:16], v[3:4]
	v_mul_f64 v[3:4], v[13:14], v[3:4]
	s_waitcnt lgkmcnt(0)
	v_mul_f64 v[41:42], v[27:28], v[37:38]
	v_mul_f64 v[43:44], v[25:26], v[37:38]
	v_add_f64 v[33:34], v[49:50], v[45:46]
	v_add_f64 v[39:40], v[39:40], v[47:48]
	v_fma_f64 v[45:46], v[13:14], v[1:2], -v[51:52]
	v_fma_f64 v[47:48], v[15:16], v[1:2], v[3:4]
	v_fma_f64 v[25:26], v[25:26], v[35:36], -v[41:42]
	v_fma_f64 v[27:28], v[27:28], v[35:36], v[43:44]
	v_add_f64 v[33:34], v[33:34], v[29:30]
	v_add_f64 v[49:50], v[39:40], v[31:32]
	ds_load_b128 v[1:4], v21 offset:3584
	ds_load_b128 v[13:16], v22 offset:224
	;; [unrolled: 1-line block ×4, first 2 shown]
	s_waitcnt lgkmcnt(0)
	s_barrier
	buffer_gl0_inv
	v_mul_f64 v[51:52], v[15:16], v[3:4]
	v_mul_f64 v[3:4], v[13:14], v[3:4]
	;; [unrolled: 1-line block ×4, first 2 shown]
	v_add_f64 v[33:34], v[33:34], v[45:46]
	v_add_f64 v[35:36], v[49:50], v[47:48]
	v_fma_f64 v[13:14], v[13:14], v[1:2], -v[51:52]
	v_fma_f64 v[1:2], v[15:16], v[1:2], v[3:4]
	s_delay_alu instid0(VALU_DEP_4) | instskip(NEXT) | instid1(VALU_DEP_4)
	v_add_f64 v[3:4], v[33:34], v[25:26]
	v_add_f64 v[15:16], v[35:36], v[27:28]
	v_fma_f64 v[25:26], v[29:30], v[37:38], -v[41:42]
	v_fma_f64 v[27:28], v[31:32], v[37:38], v[39:40]
	s_delay_alu instid0(VALU_DEP_4) | instskip(NEXT) | instid1(VALU_DEP_4)
	v_add_f64 v[3:4], v[3:4], v[13:14]
	v_add_f64 v[1:2], v[15:16], v[1:2]
	s_delay_alu instid0(VALU_DEP_2) | instskip(NEXT) | instid1(VALU_DEP_2)
	v_add_f64 v[15:16], v[3:4], v[25:26]
	v_add_f64 v[13:14], v[1:2], v[27:28]
	s_cbranch_vccnz .LBB1825_9
.LBB1825_3:                             ; =>This Inner Loop Header: Depth=1
	v_add_co_u32 v1, s2, v20, s10
	s_delay_alu instid0(VALU_DEP_1) | instskip(SKIP_1) | instid1(VALU_DEP_2)
	v_add_co_ci_u32_e64 v2, null, 0, s11, s2
	v_dual_mov_b32 v3, v7 :: v_dual_mov_b32 v4, v8
	v_cmp_gt_i64_e32 vcc_lo, s[4:5], v[1:2]
	v_dual_mov_b32 v1, v7 :: v_dual_mov_b32 v2, v8
	s_and_b32 s12, s0, vcc_lo
	s_delay_alu instid0(SALU_CYCLE_1)
	s_and_saveexec_b32 s2, s12
	s_cbranch_execz .LBB1825_5
; %bb.4:                                ;   in Loop: Header=BB1825_3 Depth=1
	global_load_b128 v[1:4], v[11:12], off offset:-8
	s_waitcnt vmcnt(0)
	v_xor_b32_e32 v4, 0x80000000, v4
.LBB1825_5:                             ;   in Loop: Header=BB1825_3 Depth=1
	s_or_b32 exec_lo, exec_lo, s2
	v_add_co_u32 v25, s2, v19, s10
	s_delay_alu instid0(VALU_DEP_1) | instskip(SKIP_3) | instid1(SALU_CYCLE_1)
	v_add_co_ci_u32_e64 v26, null, 0, s11, s2
	ds_store_b128 v23, v[1:4]
	v_cmp_le_i64_e32 vcc_lo, s[4:5], v[25:26]
	s_or_b32 s2, s1, vcc_lo
	s_and_saveexec_b32 s12, s2
	s_delay_alu instid0(SALU_CYCLE_1)
	s_xor_b32 s2, exec_lo, s12
	s_cbranch_execz .LBB1825_7
; %bb.6:                                ;   in Loop: Header=BB1825_3 Depth=1
	v_mov_b32_e32 v1, v0
	v_mov_b32_e32 v2, v0
	;; [unrolled: 1-line block ×3, first 2 shown]
	ds_store_b128 v24, v[0:3]
.LBB1825_7:                             ;   in Loop: Header=BB1825_3 Depth=1
	s_and_not1_saveexec_b32 s2, s2
	s_cbranch_execz .LBB1825_2
; %bb.8:                                ;   in Loop: Header=BB1825_3 Depth=1
	global_load_b128 v[1:4], v[9:10], off
	s_waitcnt vmcnt(0)
	ds_store_2addr_b64 v24, v[1:2], v[3:4] offset1:1
	s_branch .LBB1825_2
.LBB1825_9:
	v_cmp_le_i32_e32 vcc_lo, v5, v17
	v_cmp_gt_i32_e64 s0, s3, v17
	s_delay_alu instid0(VALU_DEP_1) | instskip(NEXT) | instid1(SALU_CYCLE_1)
	s_and_b32 s0, vcc_lo, s0
	s_and_saveexec_b32 s1, s0
	s_cbranch_execz .LBB1825_11
; %bb.10:
	s_delay_alu instid0(VALU_DEP_3) | instskip(SKIP_3) | instid1(VALU_DEP_4)
	v_mul_f64 v[0:1], s[6:7], v[13:14]
	v_mul_f64 v[2:3], s[8:9], v[13:14]
	v_mul_lo_u32 v4, v17, s19
	v_mul_lo_u32 v9, v18, s18
	v_fma_f64 v[7:8], s[8:9], v[15:16], v[0:1]
	s_delay_alu instid0(VALU_DEP_4) | instskip(SKIP_1) | instid1(VALU_DEP_1)
	v_fma_f64 v[0:1], s[6:7], v[15:16], -v[2:3]
	v_mad_u64_u32 v[2:3], null, v17, s18, 0
	v_add3_u32 v3, v3, v4, v9
	v_lshlrev_b64 v[9:10], 4, v[5:6]
	s_delay_alu instid0(VALU_DEP_2) | instskip(SKIP_1) | instid1(VALU_DEP_1)
	v_lshlrev_b64 v[2:3], 4, v[2:3]
	s_waitcnt lgkmcnt(0)
	v_add_co_u32 v2, vcc_lo, s16, v2
	s_delay_alu instid0(VALU_DEP_2) | instskip(SKIP_1) | instid1(VALU_DEP_3)
	v_add_co_ci_u32_e32 v3, vcc_lo, s17, v3, vcc_lo
	v_cmp_ne_u32_e32 vcc_lo, v5, v17
	v_add_co_u32 v4, s0, v2, v9
	s_delay_alu instid0(VALU_DEP_1)
	v_add_co_ci_u32_e64 v5, s0, v3, v10, s0
	v_dual_cndmask_b32 v3, 0, v8 :: v_dual_cndmask_b32 v2, 0, v7
	global_store_b128 v[4:5], v[0:3], off
.LBB1825_11:
	s_nop 0
	s_sendmsg sendmsg(MSG_DEALLOC_VGPRS)
	s_endpgm
	.section	.rodata,"a",@progbits
	.p2align	6, 0x0
	.amdhsa_kernel _ZL32rocblas_syrkx_herkx_small_kernelIl19rocblas_complex_numIdELi16ELb1ELb1ELc67ELc85EKPKS1_KPS1_EviT_T0_PT6_S7_lSA_S7_lS8_PT7_S7_li
		.amdhsa_group_segment_fixed_size 8192
		.amdhsa_private_segment_fixed_size 0
		.amdhsa_kernarg_size 124
		.amdhsa_user_sgpr_count 13
		.amdhsa_user_sgpr_dispatch_ptr 0
		.amdhsa_user_sgpr_queue_ptr 0
		.amdhsa_user_sgpr_kernarg_segment_ptr 1
		.amdhsa_user_sgpr_dispatch_id 0
		.amdhsa_user_sgpr_private_segment_size 0
		.amdhsa_wavefront_size32 1
		.amdhsa_uses_dynamic_stack 0
		.amdhsa_enable_private_segment 0
		.amdhsa_system_sgpr_workgroup_id_x 1
		.amdhsa_system_sgpr_workgroup_id_y 1
		.amdhsa_system_sgpr_workgroup_id_z 1
		.amdhsa_system_sgpr_workgroup_info 0
		.amdhsa_system_vgpr_workitem_id 1
		.amdhsa_next_free_vgpr 53
		.amdhsa_next_free_sgpr 24
		.amdhsa_reserve_vcc 1
		.amdhsa_float_round_mode_32 0
		.amdhsa_float_round_mode_16_64 0
		.amdhsa_float_denorm_mode_32 3
		.amdhsa_float_denorm_mode_16_64 3
		.amdhsa_dx10_clamp 1
		.amdhsa_ieee_mode 1
		.amdhsa_fp16_overflow 0
		.amdhsa_workgroup_processor_mode 1
		.amdhsa_memory_ordered 1
		.amdhsa_forward_progress 0
		.amdhsa_shared_vgpr_count 0
		.amdhsa_exception_fp_ieee_invalid_op 0
		.amdhsa_exception_fp_denorm_src 0
		.amdhsa_exception_fp_ieee_div_zero 0
		.amdhsa_exception_fp_ieee_overflow 0
		.amdhsa_exception_fp_ieee_underflow 0
		.amdhsa_exception_fp_ieee_inexact 0
		.amdhsa_exception_int_div_zero 0
	.end_amdhsa_kernel
	.section	.text._ZL32rocblas_syrkx_herkx_small_kernelIl19rocblas_complex_numIdELi16ELb1ELb1ELc67ELc85EKPKS1_KPS1_EviT_T0_PT6_S7_lSA_S7_lS8_PT7_S7_li,"axG",@progbits,_ZL32rocblas_syrkx_herkx_small_kernelIl19rocblas_complex_numIdELi16ELb1ELb1ELc67ELc85EKPKS1_KPS1_EviT_T0_PT6_S7_lSA_S7_lS8_PT7_S7_li,comdat
.Lfunc_end1825:
	.size	_ZL32rocblas_syrkx_herkx_small_kernelIl19rocblas_complex_numIdELi16ELb1ELb1ELc67ELc85EKPKS1_KPS1_EviT_T0_PT6_S7_lSA_S7_lS8_PT7_S7_li, .Lfunc_end1825-_ZL32rocblas_syrkx_herkx_small_kernelIl19rocblas_complex_numIdELi16ELb1ELb1ELc67ELc85EKPKS1_KPS1_EviT_T0_PT6_S7_lSA_S7_lS8_PT7_S7_li
                                        ; -- End function
	.section	.AMDGPU.csdata,"",@progbits
; Kernel info:
; codeLenInByte = 2008
; NumSgprs: 26
; NumVgprs: 53
; ScratchSize: 0
; MemoryBound: 1
; FloatMode: 240
; IeeeMode: 1
; LDSByteSize: 8192 bytes/workgroup (compile time only)
; SGPRBlocks: 3
; VGPRBlocks: 6
; NumSGPRsForWavesPerEU: 26
; NumVGPRsForWavesPerEU: 53
; Occupancy: 16
; WaveLimiterHint : 1
; COMPUTE_PGM_RSRC2:SCRATCH_EN: 0
; COMPUTE_PGM_RSRC2:USER_SGPR: 13
; COMPUTE_PGM_RSRC2:TRAP_HANDLER: 0
; COMPUTE_PGM_RSRC2:TGID_X_EN: 1
; COMPUTE_PGM_RSRC2:TGID_Y_EN: 1
; COMPUTE_PGM_RSRC2:TGID_Z_EN: 1
; COMPUTE_PGM_RSRC2:TIDIG_COMP_CNT: 1
	.section	.text._ZL32rocblas_syrkx_herkx_small_kernelIl19rocblas_complex_numIdELi16ELb1ELb1ELc78ELc85EKPKS1_KPS1_EviT_T0_PT6_S7_lSA_S7_lS8_PT7_S7_li,"axG",@progbits,_ZL32rocblas_syrkx_herkx_small_kernelIl19rocblas_complex_numIdELi16ELb1ELb1ELc78ELc85EKPKS1_KPS1_EviT_T0_PT6_S7_lSA_S7_lS8_PT7_S7_li,comdat
	.globl	_ZL32rocblas_syrkx_herkx_small_kernelIl19rocblas_complex_numIdELi16ELb1ELb1ELc78ELc85EKPKS1_KPS1_EviT_T0_PT6_S7_lSA_S7_lS8_PT7_S7_li ; -- Begin function _ZL32rocblas_syrkx_herkx_small_kernelIl19rocblas_complex_numIdELi16ELb1ELb1ELc78ELc85EKPKS1_KPS1_EviT_T0_PT6_S7_lSA_S7_lS8_PT7_S7_li
	.p2align	8
	.type	_ZL32rocblas_syrkx_herkx_small_kernelIl19rocblas_complex_numIdELi16ELb1ELb1ELc78ELc85EKPKS1_KPS1_EviT_T0_PT6_S7_lSA_S7_lS8_PT7_S7_li,@function
_ZL32rocblas_syrkx_herkx_small_kernelIl19rocblas_complex_numIdELi16ELb1ELb1ELc78ELc85EKPKS1_KPS1_EviT_T0_PT6_S7_lSA_S7_lS8_PT7_S7_li: ; @_ZL32rocblas_syrkx_herkx_small_kernelIl19rocblas_complex_numIdELi16ELb1ELb1ELc78ELc85EKPKS1_KPS1_EviT_T0_PT6_S7_lSA_S7_lS8_PT7_S7_li
; %bb.0:
	s_clause 0x2
	s_load_b128 s[16:19], s[0:1], 0x60
	s_load_b256 s[4:11], s[0:1], 0x8
	s_load_b32 s3, s[0:1], 0x0
	s_mov_b32 s20, s15
	s_mov_b32 s21, 0
	v_and_b32_e32 v17, 0x3ff, v0
	s_lshl_b64 s[22:23], s[20:21], 3
	v_bfe_u32 v18, v0, 10, 10
	v_mov_b32_e32 v13, 0
	v_mov_b32_e32 v14, 0
	v_lshl_add_u32 v5, s13, 4, v17
	s_delay_alu instid0(VALU_DEP_4) | instskip(NEXT) | instid1(VALU_DEP_3)
	v_lshl_add_u32 v7, s14, 4, v18
	v_dual_mov_b32 v16, v14 :: v_dual_mov_b32 v15, v13
	s_delay_alu instid0(VALU_DEP_3) | instskip(NEXT) | instid1(VALU_DEP_3)
	v_ashrrev_i32_e32 v6, 31, v5
	v_ashrrev_i32_e32 v8, 31, v7
	s_waitcnt lgkmcnt(0)
	s_add_u32 s16, s16, s22
	s_addc_u32 s17, s17, s23
	s_load_b64 s[20:21], s[0:1], 0x28
	s_load_b64 s[16:17], s[16:17], 0x0
	v_cmp_lt_i64_e64 s2, s[4:5], 1
	s_delay_alu instid0(VALU_DEP_1)
	s_and_b32 vcc_lo, exec_lo, s2
	v_cmp_gt_i32_e64 s2, s3, v7
	s_cbranch_vccnz .LBB1826_9
; %bb.1:
	s_load_b128 s[12:15], s[0:1], 0x38
	s_waitcnt lgkmcnt(0)
	v_mad_u64_u32 v[3:4], null, s20, v18, 0
	v_dual_mov_b32 v0, 0 :: v_dual_lshlrev_b32 v23, 8, v18
	v_lshlrev_b32_e32 v19, 4, v17
	v_lshlrev_b64 v[9:10], 4, v[7:8]
	v_lshlrev_b64 v[11:12], 4, v[5:6]
	v_cmp_gt_i32_e32 vcc_lo, s3, v5
	v_mad_u64_u32 v[21:22], null, s21, v18, v[4:5]
	v_mad_u64_u32 v[1:2], null, s14, v17, 0
	s_add_u32 s0, s12, s22
	s_addc_u32 s1, s13, s23
	s_add_u32 s10, s10, s22
	s_load_b64 s[12:13], s[0:1], 0x0
	s_addc_u32 s11, s11, s23
	s_load_b64 s[22:23], s[10:11], 0x0
	s_delay_alu instid0(VALU_DEP_1)
	v_mad_u64_u32 v[15:16], null, s15, v17, v[2:3]
	v_mov_b32_e32 v13, 0
	v_mov_b32_e32 v14, 0
	v_dual_mov_b32 v4, v21 :: v_dual_add_nc_u32 v21, v19, v23
	v_add_nc_u32_e32 v20, 0x1000, v23
	s_lshl_b64 s[10:11], s[14:15], 8
	v_mov_b32_e32 v2, v15
	s_delay_alu instid0(VALU_DEP_3) | instskip(SKIP_2) | instid1(VALU_DEP_4)
	v_lshlrev_b64 v[3:4], 4, v[3:4]
	v_dual_mov_b32 v16, v14 :: v_dual_mov_b32 v15, v13
	v_add_nc_u32_e32 v22, v20, v19
	v_lshlrev_b64 v[1:2], 4, v[1:2]
	s_xor_b32 s14, vcc_lo, -1
	s_delay_alu instid0(VALU_DEP_1) | instskip(NEXT) | instid1(VALU_DEP_1)
	v_add_co_u32 v1, s0, v1, v9
	v_add_co_ci_u32_e64 v2, s0, v2, v10, s0
	v_add_co_u32 v3, s0, v3, v11
	s_delay_alu instid0(VALU_DEP_1) | instskip(SKIP_2) | instid1(VALU_DEP_1)
	v_add_co_ci_u32_e64 v4, s0, v4, v12, s0
	s_waitcnt lgkmcnt(0)
	v_add_co_u32 v1, s0, v1, s12
	v_add_co_ci_u32_e64 v2, s0, s13, v2, s0
	v_add_co_u32 v9, s0, s22, v3
	s_delay_alu instid0(VALU_DEP_1) | instskip(NEXT) | instid1(VALU_DEP_4)
	v_add_co_ci_u32_e64 v10, s0, s23, v4, s0
	v_add_co_u32 v11, s0, v1, 8
	s_delay_alu instid0(VALU_DEP_1)
	v_add_co_ci_u32_e64 v12, s0, 0, v2, s0
	s_lshl_b64 s[0:1], s[20:21], 8
	s_mov_b64 s[12:13], 0
	s_branch .LBB1826_3
.LBB1826_2:                             ;   in Loop: Header=BB1826_3 Depth=1
	s_or_b32 exec_lo, exec_lo, s15
	ds_store_b128 v22, v[1:4]
	s_waitcnt lgkmcnt(0)
	s_barrier
	buffer_gl0_inv
	ds_load_b128 v[1:4], v19
	ds_load_b128 v[23:26], v20
	ds_load_b128 v[27:30], v20 offset:16
	ds_load_b128 v[31:34], v19 offset:256
	s_add_u32 s12, s12, 16
	s_addc_u32 s13, s13, 0
	v_add_co_u32 v11, vcc_lo, v11, s10
	v_cmp_ge_i64_e64 s15, s[12:13], s[4:5]
	v_add_co_ci_u32_e32 v12, vcc_lo, s11, v12, vcc_lo
	v_add_co_u32 v9, vcc_lo, v9, s0
	v_add_co_ci_u32_e32 v10, vcc_lo, s1, v10, vcc_lo
	s_delay_alu instid0(VALU_DEP_4)
	s_and_b32 vcc_lo, exec_lo, s15
	s_waitcnt lgkmcnt(2)
	v_mul_f64 v[35:36], v[25:26], v[3:4]
	v_mul_f64 v[3:4], v[23:24], v[3:4]
	s_waitcnt lgkmcnt(0)
	v_mul_f64 v[41:42], v[29:30], v[33:34]
	v_mul_f64 v[43:44], v[27:28], v[33:34]
	s_delay_alu instid0(VALU_DEP_4) | instskip(NEXT) | instid1(VALU_DEP_4)
	v_fma_f64 v[45:46], v[23:24], v[1:2], -v[35:36]
	v_fma_f64 v[47:48], v[25:26], v[1:2], v[3:4]
	ds_load_b128 v[1:4], v19 offset:512
	ds_load_b128 v[23:26], v20 offset:32
	;; [unrolled: 1-line block ×4, first 2 shown]
	v_fma_f64 v[27:28], v[27:28], v[31:32], -v[41:42]
	v_fma_f64 v[29:30], v[29:30], v[31:32], v[43:44]
	s_waitcnt lgkmcnt(2)
	v_mul_f64 v[49:50], v[25:26], v[3:4]
	v_mul_f64 v[3:4], v[23:24], v[3:4]
	s_waitcnt lgkmcnt(0)
	v_mul_f64 v[31:32], v[35:36], v[39:40]
	v_mul_f64 v[39:40], v[33:34], v[39:40]
	v_add_f64 v[15:16], v[15:16], v[45:46]
	v_add_f64 v[13:14], v[13:14], v[47:48]
	v_fma_f64 v[41:42], v[23:24], v[1:2], -v[49:50]
	v_fma_f64 v[43:44], v[25:26], v[1:2], v[3:4]
	v_fma_f64 v[31:32], v[33:34], v[37:38], -v[31:32]
	v_fma_f64 v[33:34], v[35:36], v[37:38], v[39:40]
	v_add_f64 v[45:46], v[15:16], v[27:28]
	v_add_f64 v[47:48], v[13:14], v[29:30]
	ds_load_b128 v[1:4], v19 offset:1024
	ds_load_b128 v[13:16], v20 offset:64
	;; [unrolled: 1-line block ×4, first 2 shown]
	s_waitcnt lgkmcnt(2)
	v_mul_f64 v[49:50], v[15:16], v[3:4]
	v_mul_f64 v[3:4], v[13:14], v[3:4]
	s_waitcnt lgkmcnt(0)
	v_mul_f64 v[39:40], v[25:26], v[29:30]
	v_add_f64 v[35:36], v[45:46], v[41:42]
	v_add_f64 v[37:38], v[47:48], v[43:44]
	v_mul_f64 v[41:42], v[23:24], v[29:30]
	v_fma_f64 v[43:44], v[13:14], v[1:2], -v[49:50]
	v_fma_f64 v[45:46], v[15:16], v[1:2], v[3:4]
	v_fma_f64 v[23:24], v[23:24], v[27:28], -v[39:40]
	v_add_f64 v[47:48], v[35:36], v[31:32]
	v_add_f64 v[37:38], v[37:38], v[33:34]
	ds_load_b128 v[1:4], v19 offset:1536
	ds_load_b128 v[13:16], v20 offset:96
	;; [unrolled: 1-line block ×4, first 2 shown]
	v_fma_f64 v[25:26], v[25:26], v[27:28], v[41:42]
	s_waitcnt lgkmcnt(2)
	v_mul_f64 v[49:50], v[15:16], v[3:4]
	v_mul_f64 v[3:4], v[13:14], v[3:4]
	s_waitcnt lgkmcnt(0)
	v_mul_f64 v[39:40], v[31:32], v[35:36]
	v_mul_f64 v[41:42], v[29:30], v[35:36]
	v_add_f64 v[27:28], v[47:48], v[43:44]
	v_add_f64 v[37:38], v[37:38], v[45:46]
	v_fma_f64 v[43:44], v[13:14], v[1:2], -v[49:50]
	v_fma_f64 v[45:46], v[15:16], v[1:2], v[3:4]
	v_fma_f64 v[29:30], v[29:30], v[33:34], -v[39:40]
	v_fma_f64 v[31:32], v[31:32], v[33:34], v[41:42]
	v_add_f64 v[27:28], v[27:28], v[23:24]
	v_add_f64 v[47:48], v[37:38], v[25:26]
	ds_load_b128 v[1:4], v19 offset:2048
	ds_load_b128 v[13:16], v20 offset:128
	;; [unrolled: 1-line block ×4, first 2 shown]
	s_waitcnt lgkmcnt(2)
	v_mul_f64 v[49:50], v[15:16], v[3:4]
	v_mul_f64 v[3:4], v[13:14], v[3:4]
	s_waitcnt lgkmcnt(0)
	v_mul_f64 v[39:40], v[25:26], v[37:38]
	v_mul_f64 v[37:38], v[23:24], v[37:38]
	v_add_f64 v[27:28], v[27:28], v[43:44]
	v_add_f64 v[33:34], v[47:48], v[45:46]
	v_fma_f64 v[41:42], v[13:14], v[1:2], -v[49:50]
	v_fma_f64 v[43:44], v[15:16], v[1:2], v[3:4]
	v_fma_f64 v[23:24], v[23:24], v[35:36], -v[39:40]
	v_fma_f64 v[25:26], v[25:26], v[35:36], v[37:38]
	v_add_f64 v[45:46], v[27:28], v[29:30]
	v_add_f64 v[47:48], v[33:34], v[31:32]
	ds_load_b128 v[1:4], v19 offset:2560
	ds_load_b128 v[13:16], v20 offset:160
	ds_load_b128 v[27:30], v20 offset:176
	ds_load_b128 v[31:34], v19 offset:2816
	s_waitcnt lgkmcnt(2)
	v_mul_f64 v[49:50], v[15:16], v[3:4]
	v_mul_f64 v[3:4], v[13:14], v[3:4]
	s_waitcnt lgkmcnt(0)
	v_mul_f64 v[39:40], v[29:30], v[33:34]
	v_add_f64 v[35:36], v[45:46], v[41:42]
	v_add_f64 v[37:38], v[47:48], v[43:44]
	v_mul_f64 v[41:42], v[27:28], v[33:34]
	v_fma_f64 v[43:44], v[13:14], v[1:2], -v[49:50]
	v_fma_f64 v[45:46], v[15:16], v[1:2], v[3:4]
	v_fma_f64 v[27:28], v[27:28], v[31:32], -v[39:40]
	v_add_f64 v[47:48], v[35:36], v[23:24]
	v_add_f64 v[37:38], v[37:38], v[25:26]
	ds_load_b128 v[1:4], v19 offset:3072
	ds_load_b128 v[13:16], v20 offset:192
	;; [unrolled: 1-line block ×4, first 2 shown]
	v_fma_f64 v[29:30], v[29:30], v[31:32], v[41:42]
	s_waitcnt lgkmcnt(2)
	v_mul_f64 v[49:50], v[15:16], v[3:4]
	v_mul_f64 v[3:4], v[13:14], v[3:4]
	s_waitcnt lgkmcnt(0)
	v_mul_f64 v[39:40], v[25:26], v[35:36]
	v_mul_f64 v[41:42], v[23:24], v[35:36]
	v_add_f64 v[31:32], v[47:48], v[43:44]
	v_add_f64 v[37:38], v[37:38], v[45:46]
	v_fma_f64 v[43:44], v[13:14], v[1:2], -v[49:50]
	v_fma_f64 v[45:46], v[15:16], v[1:2], v[3:4]
	v_fma_f64 v[23:24], v[23:24], v[33:34], -v[39:40]
	v_fma_f64 v[25:26], v[25:26], v[33:34], v[41:42]
	v_add_f64 v[31:32], v[31:32], v[27:28]
	v_add_f64 v[47:48], v[37:38], v[29:30]
	ds_load_b128 v[1:4], v19 offset:3584
	ds_load_b128 v[13:16], v20 offset:224
	;; [unrolled: 1-line block ×4, first 2 shown]
	s_waitcnt lgkmcnt(0)
	s_barrier
	buffer_gl0_inv
	v_mul_f64 v[49:50], v[15:16], v[3:4]
	v_mul_f64 v[3:4], v[13:14], v[3:4]
	;; [unrolled: 1-line block ×4, first 2 shown]
	v_add_f64 v[31:32], v[31:32], v[43:44]
	v_add_f64 v[33:34], v[47:48], v[45:46]
	v_fma_f64 v[13:14], v[13:14], v[1:2], -v[49:50]
	v_fma_f64 v[1:2], v[15:16], v[1:2], v[3:4]
	s_delay_alu instid0(VALU_DEP_4) | instskip(NEXT) | instid1(VALU_DEP_4)
	v_add_f64 v[3:4], v[31:32], v[23:24]
	v_add_f64 v[15:16], v[33:34], v[25:26]
	v_fma_f64 v[23:24], v[27:28], v[35:36], -v[39:40]
	v_fma_f64 v[25:26], v[29:30], v[35:36], v[37:38]
	s_delay_alu instid0(VALU_DEP_4) | instskip(NEXT) | instid1(VALU_DEP_4)
	v_add_f64 v[3:4], v[3:4], v[13:14]
	v_add_f64 v[1:2], v[15:16], v[1:2]
	s_delay_alu instid0(VALU_DEP_2) | instskip(NEXT) | instid1(VALU_DEP_2)
	v_add_f64 v[15:16], v[3:4], v[23:24]
	v_add_f64 v[13:14], v[1:2], v[25:26]
	s_cbranch_vccnz .LBB1826_9
.LBB1826_3:                             ; =>This Inner Loop Header: Depth=1
	v_add_co_u32 v1, s15, v18, s12
	s_delay_alu instid0(VALU_DEP_1) | instskip(NEXT) | instid1(VALU_DEP_1)
	v_add_co_ci_u32_e64 v2, null, 0, s13, s15
	v_cmp_le_i64_e32 vcc_lo, s[4:5], v[1:2]
	s_or_b32 s15, s14, vcc_lo
	s_delay_alu instid0(SALU_CYCLE_1) | instskip(NEXT) | instid1(SALU_CYCLE_1)
	s_and_saveexec_b32 s20, s15
	s_xor_b32 s15, exec_lo, s20
	s_cbranch_execz .LBB1826_5
; %bb.4:                                ;   in Loop: Header=BB1826_3 Depth=1
	v_mov_b32_e32 v1, v0
	v_mov_b32_e32 v2, v0
	;; [unrolled: 1-line block ×3, first 2 shown]
	ds_store_b128 v21, v[0:3]
.LBB1826_5:                             ;   in Loop: Header=BB1826_3 Depth=1
	s_and_not1_saveexec_b32 s15, s15
	s_cbranch_execz .LBB1826_7
; %bb.6:                                ;   in Loop: Header=BB1826_3 Depth=1
	global_load_b128 v[1:4], v[9:10], off
	s_waitcnt vmcnt(0)
	ds_store_2addr_b64 v21, v[1:2], v[3:4] offset1:1
.LBB1826_7:                             ;   in Loop: Header=BB1826_3 Depth=1
	s_or_b32 exec_lo, exec_lo, s15
	v_add_co_u32 v3, s15, v17, s12
	s_delay_alu instid0(VALU_DEP_1) | instskip(SKIP_2) | instid1(VALU_DEP_3)
	v_add_co_ci_u32_e64 v4, null, 0, s13, s15
	v_mov_b32_e32 v1, 0
	v_mov_b32_e32 v2, 0
	v_cmp_gt_i64_e32 vcc_lo, s[4:5], v[3:4]
	s_delay_alu instid0(VALU_DEP_2) | instskip(SKIP_1) | instid1(SALU_CYCLE_1)
	v_dual_mov_b32 v4, v2 :: v_dual_mov_b32 v3, v1
	s_and_b32 s20, s2, vcc_lo
	s_and_saveexec_b32 s15, s20
	s_cbranch_execz .LBB1826_2
; %bb.8:                                ;   in Loop: Header=BB1826_3 Depth=1
	global_load_b128 v[1:4], v[11:12], off offset:-8
	s_waitcnt vmcnt(0)
	v_xor_b32_e32 v4, 0x80000000, v4
	s_branch .LBB1826_2
.LBB1826_9:
	v_cmp_le_i32_e32 vcc_lo, v5, v7
	v_cmp_gt_i32_e64 s0, s3, v7
	s_delay_alu instid0(VALU_DEP_1) | instskip(NEXT) | instid1(SALU_CYCLE_1)
	s_and_b32 s0, vcc_lo, s0
	s_and_saveexec_b32 s1, s0
	s_cbranch_execz .LBB1826_11
; %bb.10:
	s_delay_alu instid0(VALU_DEP_3)
	v_mul_f64 v[0:1], s[6:7], v[13:14]
	v_mul_f64 v[2:3], s[8:9], v[13:14]
	v_mul_lo_u32 v4, v7, s19
	v_mul_lo_u32 v8, v8, s18
	v_lshlrev_b64 v[11:12], 4, v[5:6]
	v_fma_f64 v[9:10], s[8:9], v[15:16], v[0:1]
	v_fma_f64 v[0:1], s[6:7], v[15:16], -v[2:3]
	v_mad_u64_u32 v[2:3], null, v7, s18, 0
	s_delay_alu instid0(VALU_DEP_1) | instskip(NEXT) | instid1(VALU_DEP_1)
	v_add3_u32 v3, v3, v4, v8
	v_lshlrev_b64 v[2:3], 4, v[2:3]
	s_waitcnt lgkmcnt(0)
	s_delay_alu instid0(VALU_DEP_1) | instskip(NEXT) | instid1(VALU_DEP_2)
	v_add_co_u32 v2, vcc_lo, s16, v2
	v_add_co_ci_u32_e32 v3, vcc_lo, s17, v3, vcc_lo
	v_cmp_ne_u32_e32 vcc_lo, v5, v7
	s_delay_alu instid0(VALU_DEP_3) | instskip(NEXT) | instid1(VALU_DEP_1)
	v_add_co_u32 v4, s0, v2, v11
	v_add_co_ci_u32_e64 v5, s0, v3, v12, s0
	v_dual_cndmask_b32 v3, 0, v10 :: v_dual_cndmask_b32 v2, 0, v9
	global_store_b128 v[4:5], v[0:3], off
.LBB1826_11:
	s_nop 0
	s_sendmsg sendmsg(MSG_DEALLOC_VGPRS)
	s_endpgm
	.section	.rodata,"a",@progbits
	.p2align	6, 0x0
	.amdhsa_kernel _ZL32rocblas_syrkx_herkx_small_kernelIl19rocblas_complex_numIdELi16ELb1ELb1ELc78ELc85EKPKS1_KPS1_EviT_T0_PT6_S7_lSA_S7_lS8_PT7_S7_li
		.amdhsa_group_segment_fixed_size 8192
		.amdhsa_private_segment_fixed_size 0
		.amdhsa_kernarg_size 124
		.amdhsa_user_sgpr_count 13
		.amdhsa_user_sgpr_dispatch_ptr 0
		.amdhsa_user_sgpr_queue_ptr 0
		.amdhsa_user_sgpr_kernarg_segment_ptr 1
		.amdhsa_user_sgpr_dispatch_id 0
		.amdhsa_user_sgpr_private_segment_size 0
		.amdhsa_wavefront_size32 1
		.amdhsa_uses_dynamic_stack 0
		.amdhsa_enable_private_segment 0
		.amdhsa_system_sgpr_workgroup_id_x 1
		.amdhsa_system_sgpr_workgroup_id_y 1
		.amdhsa_system_sgpr_workgroup_id_z 1
		.amdhsa_system_sgpr_workgroup_info 0
		.amdhsa_system_vgpr_workitem_id 1
		.amdhsa_next_free_vgpr 51
		.amdhsa_next_free_sgpr 24
		.amdhsa_reserve_vcc 1
		.amdhsa_float_round_mode_32 0
		.amdhsa_float_round_mode_16_64 0
		.amdhsa_float_denorm_mode_32 3
		.amdhsa_float_denorm_mode_16_64 3
		.amdhsa_dx10_clamp 1
		.amdhsa_ieee_mode 1
		.amdhsa_fp16_overflow 0
		.amdhsa_workgroup_processor_mode 1
		.amdhsa_memory_ordered 1
		.amdhsa_forward_progress 0
		.amdhsa_shared_vgpr_count 0
		.amdhsa_exception_fp_ieee_invalid_op 0
		.amdhsa_exception_fp_denorm_src 0
		.amdhsa_exception_fp_ieee_div_zero 0
		.amdhsa_exception_fp_ieee_overflow 0
		.amdhsa_exception_fp_ieee_underflow 0
		.amdhsa_exception_fp_ieee_inexact 0
		.amdhsa_exception_int_div_zero 0
	.end_amdhsa_kernel
	.section	.text._ZL32rocblas_syrkx_herkx_small_kernelIl19rocblas_complex_numIdELi16ELb1ELb1ELc78ELc85EKPKS1_KPS1_EviT_T0_PT6_S7_lSA_S7_lS8_PT7_S7_li,"axG",@progbits,_ZL32rocblas_syrkx_herkx_small_kernelIl19rocblas_complex_numIdELi16ELb1ELb1ELc78ELc85EKPKS1_KPS1_EviT_T0_PT6_S7_lSA_S7_lS8_PT7_S7_li,comdat
.Lfunc_end1826:
	.size	_ZL32rocblas_syrkx_herkx_small_kernelIl19rocblas_complex_numIdELi16ELb1ELb1ELc78ELc85EKPKS1_KPS1_EviT_T0_PT6_S7_lSA_S7_lS8_PT7_S7_li, .Lfunc_end1826-_ZL32rocblas_syrkx_herkx_small_kernelIl19rocblas_complex_numIdELi16ELb1ELb1ELc78ELc85EKPKS1_KPS1_EviT_T0_PT6_S7_lSA_S7_lS8_PT7_S7_li
                                        ; -- End function
	.section	.AMDGPU.csdata,"",@progbits
; Kernel info:
; codeLenInByte = 2008
; NumSgprs: 26
; NumVgprs: 51
; ScratchSize: 0
; MemoryBound: 1
; FloatMode: 240
; IeeeMode: 1
; LDSByteSize: 8192 bytes/workgroup (compile time only)
; SGPRBlocks: 3
; VGPRBlocks: 6
; NumSGPRsForWavesPerEU: 26
; NumVGPRsForWavesPerEU: 51
; Occupancy: 16
; WaveLimiterHint : 1
; COMPUTE_PGM_RSRC2:SCRATCH_EN: 0
; COMPUTE_PGM_RSRC2:USER_SGPR: 13
; COMPUTE_PGM_RSRC2:TRAP_HANDLER: 0
; COMPUTE_PGM_RSRC2:TGID_X_EN: 1
; COMPUTE_PGM_RSRC2:TGID_Y_EN: 1
; COMPUTE_PGM_RSRC2:TGID_Z_EN: 1
; COMPUTE_PGM_RSRC2:TIDIG_COMP_CNT: 1
	.section	.text._ZL32rocblas_syrkx_herkx_small_kernelIl19rocblas_complex_numIdELi16ELb0ELb1ELc84ELc76EKPKS1_KPS1_EviT_T0_PT6_S7_lSA_S7_lS8_PT7_S7_li,"axG",@progbits,_ZL32rocblas_syrkx_herkx_small_kernelIl19rocblas_complex_numIdELi16ELb0ELb1ELc84ELc76EKPKS1_KPS1_EviT_T0_PT6_S7_lSA_S7_lS8_PT7_S7_li,comdat
	.globl	_ZL32rocblas_syrkx_herkx_small_kernelIl19rocblas_complex_numIdELi16ELb0ELb1ELc84ELc76EKPKS1_KPS1_EviT_T0_PT6_S7_lSA_S7_lS8_PT7_S7_li ; -- Begin function _ZL32rocblas_syrkx_herkx_small_kernelIl19rocblas_complex_numIdELi16ELb0ELb1ELc84ELc76EKPKS1_KPS1_EviT_T0_PT6_S7_lSA_S7_lS8_PT7_S7_li
	.p2align	8
	.type	_ZL32rocblas_syrkx_herkx_small_kernelIl19rocblas_complex_numIdELi16ELb0ELb1ELc84ELc76EKPKS1_KPS1_EviT_T0_PT6_S7_lSA_S7_lS8_PT7_S7_li,@function
_ZL32rocblas_syrkx_herkx_small_kernelIl19rocblas_complex_numIdELi16ELb0ELb1ELc84ELc76EKPKS1_KPS1_EviT_T0_PT6_S7_lSA_S7_lS8_PT7_S7_li: ; @_ZL32rocblas_syrkx_herkx_small_kernelIl19rocblas_complex_numIdELi16ELb0ELb1ELc84ELc76EKPKS1_KPS1_EviT_T0_PT6_S7_lSA_S7_lS8_PT7_S7_li
; %bb.0:
	s_clause 0x2
	s_load_b256 s[4:11], s[0:1], 0x50
	s_load_b256 s[16:23], s[0:1], 0x8
	s_load_b32 s3, s[0:1], 0x0
	s_mov_b32 s24, s15
	s_mov_b32 s25, 0
	v_and_b32_e32 v16, 0x3ff, v0
	s_lshl_b64 s[24:25], s[24:25], 3
	v_bfe_u32 v17, v0, 10, 10
	v_mov_b32_e32 v10, 0
	v_mov_b32_e32 v11, 0
	v_lshl_add_u32 v4, s13, 4, v16
	s_delay_alu instid0(VALU_DEP_4) | instskip(NEXT) | instid1(VALU_DEP_3)
	v_lshl_add_u32 v14, s14, 4, v17
	v_dual_mov_b32 v13, v11 :: v_dual_mov_b32 v12, v10
	s_delay_alu instid0(VALU_DEP_3) | instskip(NEXT) | instid1(VALU_DEP_3)
	v_ashrrev_i32_e32 v5, 31, v4
	v_ashrrev_i32_e32 v15, 31, v14
	s_waitcnt lgkmcnt(0)
	s_add_u32 s8, s8, s24
	s_addc_u32 s9, s9, s25
	s_load_b64 s[26:27], s[0:1], 0x28
	s_load_b64 s[8:9], s[8:9], 0x0
	v_cmp_lt_i64_e64 s2, s[16:17], 1
	s_delay_alu instid0(VALU_DEP_1)
	s_and_b32 vcc_lo, exec_lo, s2
	v_cmp_gt_i32_e64 s2, s3, v4
	s_cbranch_vccnz .LBB1827_11
; %bb.1:
	s_load_b128 s[12:15], s[0:1], 0x38
	s_waitcnt lgkmcnt(0)
	v_mul_lo_u32 v8, s27, v4
	v_mul_lo_u32 v9, s26, v5
	v_mad_u64_u32 v[6:7], null, s26, v4, 0
	v_dual_mov_b32 v0, 0 :: v_dual_lshlrev_b32 v3, 8, v17
	v_lshlrev_b32_e32 v18, 4, v16
	v_lshlrev_b32_e32 v12, 4, v17
	v_cmp_gt_i32_e32 vcc_lo, s3, v14
	v_add3_u32 v7, v7, v9, v8
	v_add_nc_u32_e32 v19, 0x1000, v3
	s_delay_alu instid0(VALU_DEP_2)
	v_lshlrev_b64 v[6:7], 4, v[6:7]
	v_mul_lo_u32 v10, s15, v14
	v_mul_lo_u32 v11, s14, v15
	v_mad_u64_u32 v[1:2], null, s14, v14, 0
	s_add_u32 s0, s12, s24
	s_addc_u32 s1, s13, s25
	s_add_u32 s12, s22, s24
	s_load_b64 s[14:15], s[0:1], 0x0
	s_addc_u32 s13, s23, s25
	s_xor_b32 s2, s2, -1
	s_delay_alu instid0(VALU_DEP_1) | instskip(SKIP_3) | instid1(VALU_DEP_3)
	v_add3_u32 v2, v2, v11, v10
	v_mov_b32_e32 v10, 0
	s_load_b64 s[12:13], s[12:13], 0x0
	v_dual_mov_b32 v11, 0 :: v_dual_add_nc_u32 v20, v18, v3
	v_lshlrev_b64 v[1:2], 4, v[1:2]
	v_add_nc_u32_e32 v21, v19, v18
	s_delay_alu instid0(VALU_DEP_2) | instskip(NEXT) | instid1(VALU_DEP_1)
	v_add_co_u32 v1, s0, v1, v18
	v_add_co_ci_u32_e64 v2, s0, 0, v2, s0
	v_add_co_u32 v3, s0, v6, v12
	s_delay_alu instid0(VALU_DEP_1) | instskip(SKIP_2) | instid1(VALU_DEP_1)
	v_add_co_ci_u32_e64 v9, s0, 0, v7, s0
	s_waitcnt lgkmcnt(0)
	v_add_co_u32 v6, s0, s14, v1
	v_add_co_ci_u32_e64 v7, s0, s15, v2, s0
	v_add_co_u32 v8, s0, s12, v3
	v_dual_mov_b32 v13, v11 :: v_dual_mov_b32 v12, v10
	v_add_co_ci_u32_e64 v9, s0, s13, v9, s0
	s_mov_b64 s[0:1], 0
	s_xor_b32 s12, vcc_lo, -1
	s_branch .LBB1827_3
.LBB1827_2:                             ;   in Loop: Header=BB1827_3 Depth=1
	s_or_b32 exec_lo, exec_lo, s13
	s_waitcnt lgkmcnt(0)
	s_barrier
	buffer_gl0_inv
	ds_load_b128 v[22:25], v18
	ds_load_b128 v[26:29], v19
	ds_load_b128 v[30:33], v19 offset:16
	ds_load_b128 v[34:37], v18 offset:256
	s_add_u32 s0, s0, 16
	s_addc_u32 s1, s1, 0
	v_add_co_u32 v6, vcc_lo, 0x100, v6
	v_cmp_ge_i64_e64 s13, s[0:1], s[16:17]
	v_add_co_ci_u32_e32 v7, vcc_lo, 0, v7, vcc_lo
	v_add_co_u32 v8, vcc_lo, 0x100, v8
	v_add_co_ci_u32_e32 v9, vcc_lo, 0, v9, vcc_lo
	s_delay_alu instid0(VALU_DEP_4)
	s_and_b32 vcc_lo, exec_lo, s13
	s_waitcnt lgkmcnt(2)
	v_mul_f64 v[1:2], v[28:29], v[24:25]
	v_mul_f64 v[24:25], v[26:27], v[24:25]
	s_waitcnt lgkmcnt(0)
	v_mul_f64 v[44:45], v[32:33], v[36:37]
	v_mul_f64 v[46:47], v[30:31], v[36:37]
	s_delay_alu instid0(VALU_DEP_4) | instskip(NEXT) | instid1(VALU_DEP_4)
	v_fma_f64 v[1:2], v[26:27], v[22:23], -v[1:2]
	v_fma_f64 v[48:49], v[28:29], v[22:23], v[24:25]
	ds_load_b128 v[22:25], v18 offset:512
	ds_load_b128 v[26:29], v19 offset:32
	;; [unrolled: 1-line block ×4, first 2 shown]
	v_fma_f64 v[30:31], v[30:31], v[34:35], -v[44:45]
	v_fma_f64 v[32:33], v[32:33], v[34:35], v[46:47]
	s_waitcnt lgkmcnt(2)
	v_mul_f64 v[50:51], v[28:29], v[24:25]
	v_mul_f64 v[24:25], v[26:27], v[24:25]
	s_waitcnt lgkmcnt(0)
	v_mul_f64 v[34:35], v[38:39], v[42:43]
	v_mul_f64 v[42:43], v[36:37], v[42:43]
	v_add_f64 v[1:2], v[12:13], v[1:2]
	v_add_f64 v[10:11], v[10:11], v[48:49]
	v_fma_f64 v[44:45], v[26:27], v[22:23], -v[50:51]
	v_fma_f64 v[46:47], v[28:29], v[22:23], v[24:25]
	v_fma_f64 v[34:35], v[36:37], v[40:41], -v[34:35]
	v_fma_f64 v[36:37], v[38:39], v[40:41], v[42:43]
	v_add_f64 v[1:2], v[1:2], v[30:31]
	v_add_f64 v[48:49], v[10:11], v[32:33]
	ds_load_b128 v[10:13], v18 offset:1024
	ds_load_b128 v[22:25], v19 offset:64
	;; [unrolled: 1-line block ×4, first 2 shown]
	s_waitcnt lgkmcnt(2)
	v_mul_f64 v[50:51], v[24:25], v[12:13]
	v_mul_f64 v[12:13], v[22:23], v[12:13]
	s_waitcnt lgkmcnt(0)
	v_mul_f64 v[40:41], v[28:29], v[32:33]
	v_mul_f64 v[42:43], v[26:27], v[32:33]
	v_add_f64 v[1:2], v[1:2], v[44:45]
	v_add_f64 v[38:39], v[48:49], v[46:47]
	v_fma_f64 v[44:45], v[22:23], v[10:11], -v[50:51]
	v_fma_f64 v[46:47], v[24:25], v[10:11], v[12:13]
	v_fma_f64 v[26:27], v[26:27], v[30:31], -v[40:41]
	v_fma_f64 v[28:29], v[28:29], v[30:31], v[42:43]
	v_add_f64 v[1:2], v[1:2], v[34:35]
	v_add_f64 v[48:49], v[38:39], v[36:37]
	ds_load_b128 v[10:13], v18 offset:1536
	ds_load_b128 v[22:25], v19 offset:96
	;; [unrolled: 1-line block ×4, first 2 shown]
	s_waitcnt lgkmcnt(2)
	v_mul_f64 v[50:51], v[24:25], v[12:13]
	v_mul_f64 v[12:13], v[22:23], v[12:13]
	s_waitcnt lgkmcnt(0)
	v_mul_f64 v[42:43], v[34:35], v[38:39]
	v_add_f64 v[1:2], v[1:2], v[44:45]
	v_add_f64 v[30:31], v[48:49], v[46:47]
	v_mul_f64 v[44:45], v[32:33], v[38:39]
	v_fma_f64 v[46:47], v[22:23], v[10:11], -v[50:51]
	v_fma_f64 v[48:49], v[24:25], v[10:11], v[12:13]
	v_fma_f64 v[32:33], v[32:33], v[36:37], -v[42:43]
	v_add_f64 v[1:2], v[1:2], v[26:27]
	v_add_f64 v[30:31], v[30:31], v[28:29]
	ds_load_b128 v[10:13], v18 offset:2048
	ds_load_b128 v[22:25], v19 offset:128
	;; [unrolled: 1-line block ×4, first 2 shown]
	v_fma_f64 v[34:35], v[34:35], v[36:37], v[44:45]
	s_waitcnt lgkmcnt(2)
	v_mul_f64 v[50:51], v[24:25], v[12:13]
	v_mul_f64 v[12:13], v[22:23], v[12:13]
	s_waitcnt lgkmcnt(0)
	v_mul_f64 v[42:43], v[28:29], v[40:41]
	v_mul_f64 v[40:41], v[26:27], v[40:41]
	v_add_f64 v[1:2], v[1:2], v[46:47]
	v_add_f64 v[30:31], v[30:31], v[48:49]
	v_fma_f64 v[44:45], v[22:23], v[10:11], -v[50:51]
	v_fma_f64 v[46:47], v[24:25], v[10:11], v[12:13]
	v_fma_f64 v[26:27], v[26:27], v[38:39], -v[42:43]
	v_fma_f64 v[28:29], v[28:29], v[38:39], v[40:41]
	v_add_f64 v[1:2], v[1:2], v[32:33]
	v_add_f64 v[48:49], v[30:31], v[34:35]
	ds_load_b128 v[10:13], v18 offset:2560
	ds_load_b128 v[22:25], v19 offset:160
	;; [unrolled: 1-line block ×4, first 2 shown]
	s_waitcnt lgkmcnt(2)
	v_mul_f64 v[50:51], v[24:25], v[12:13]
	v_mul_f64 v[12:13], v[22:23], v[12:13]
	s_waitcnt lgkmcnt(0)
	v_mul_f64 v[40:41], v[32:33], v[36:37]
	v_mul_f64 v[42:43], v[30:31], v[36:37]
	v_add_f64 v[1:2], v[1:2], v[44:45]
	v_add_f64 v[38:39], v[48:49], v[46:47]
	v_fma_f64 v[44:45], v[22:23], v[10:11], -v[50:51]
	v_fma_f64 v[46:47], v[24:25], v[10:11], v[12:13]
	v_fma_f64 v[30:31], v[30:31], v[34:35], -v[40:41]
	v_fma_f64 v[32:33], v[32:33], v[34:35], v[42:43]
	v_add_f64 v[1:2], v[1:2], v[26:27]
	v_add_f64 v[48:49], v[38:39], v[28:29]
	ds_load_b128 v[10:13], v18 offset:3072
	ds_load_b128 v[22:25], v19 offset:192
	;; [unrolled: 1-line block ×4, first 2 shown]
	s_waitcnt lgkmcnt(2)
	v_mul_f64 v[50:51], v[24:25], v[12:13]
	v_mul_f64 v[12:13], v[22:23], v[12:13]
	s_waitcnt lgkmcnt(0)
	v_mul_f64 v[42:43], v[28:29], v[38:39]
	v_add_f64 v[1:2], v[1:2], v[44:45]
	v_add_f64 v[34:35], v[48:49], v[46:47]
	v_mul_f64 v[44:45], v[26:27], v[38:39]
	v_fma_f64 v[46:47], v[22:23], v[10:11], -v[50:51]
	v_fma_f64 v[48:49], v[24:25], v[10:11], v[12:13]
	v_fma_f64 v[26:27], v[26:27], v[36:37], -v[42:43]
	v_add_f64 v[1:2], v[1:2], v[30:31]
	v_add_f64 v[34:35], v[34:35], v[32:33]
	ds_load_b128 v[10:13], v18 offset:3584
	ds_load_b128 v[22:25], v19 offset:224
	;; [unrolled: 1-line block ×4, first 2 shown]
	v_fma_f64 v[28:29], v[28:29], v[36:37], v[44:45]
	s_waitcnt lgkmcnt(0)
	s_barrier
	buffer_gl0_inv
	v_mul_f64 v[50:51], v[24:25], v[12:13]
	v_mul_f64 v[12:13], v[22:23], v[12:13]
	;; [unrolled: 1-line block ×4, first 2 shown]
	v_add_f64 v[1:2], v[1:2], v[46:47]
	v_add_f64 v[34:35], v[34:35], v[48:49]
	v_fma_f64 v[22:23], v[22:23], v[10:11], -v[50:51]
	v_fma_f64 v[10:11], v[24:25], v[10:11], v[12:13]
	v_fma_f64 v[24:25], v[30:31], v[38:39], -v[36:37]
	v_add_f64 v[1:2], v[1:2], v[26:27]
	v_add_f64 v[12:13], v[34:35], v[28:29]
	v_fma_f64 v[26:27], v[32:33], v[38:39], v[40:41]
	s_delay_alu instid0(VALU_DEP_3) | instskip(NEXT) | instid1(VALU_DEP_3)
	v_add_f64 v[1:2], v[1:2], v[22:23]
	v_add_f64 v[10:11], v[12:13], v[10:11]
	s_delay_alu instid0(VALU_DEP_2) | instskip(NEXT) | instid1(VALU_DEP_2)
	v_add_f64 v[12:13], v[1:2], v[24:25]
	v_add_f64 v[10:11], v[10:11], v[26:27]
	s_cbranch_vccnz .LBB1827_11
.LBB1827_3:                             ; =>This Inner Loop Header: Depth=1
	v_add_co_u32 v1, s13, v17, s0
	s_delay_alu instid0(VALU_DEP_1) | instskip(NEXT) | instid1(VALU_DEP_1)
	v_add_co_ci_u32_e64 v2, null, 0, s1, s13
	v_cmp_le_i64_e32 vcc_lo, s[16:17], v[1:2]
	s_or_b32 s13, s2, vcc_lo
	s_delay_alu instid0(SALU_CYCLE_1) | instskip(NEXT) | instid1(SALU_CYCLE_1)
	s_and_saveexec_b32 s14, s13
	s_xor_b32 s13, exec_lo, s14
	s_cbranch_execz .LBB1827_5
; %bb.4:                                ;   in Loop: Header=BB1827_3 Depth=1
	v_mov_b32_e32 v1, v0
	v_mov_b32_e32 v2, v0
	;; [unrolled: 1-line block ×3, first 2 shown]
	ds_store_b128 v20, v[0:3]
.LBB1827_5:                             ;   in Loop: Header=BB1827_3 Depth=1
	s_and_not1_saveexec_b32 s13, s13
	s_cbranch_execz .LBB1827_7
; %bb.6:                                ;   in Loop: Header=BB1827_3 Depth=1
	global_load_b128 v[22:25], v[8:9], off
	s_waitcnt vmcnt(0)
	ds_store_2addr_b64 v20, v[22:23], v[24:25] offset1:1
.LBB1827_7:                             ;   in Loop: Header=BB1827_3 Depth=1
	s_or_b32 exec_lo, exec_lo, s13
	v_add_co_u32 v1, s13, v16, s0
	s_delay_alu instid0(VALU_DEP_1) | instskip(NEXT) | instid1(VALU_DEP_1)
	v_add_co_ci_u32_e64 v2, null, 0, s1, s13
	v_cmp_le_i64_e32 vcc_lo, s[16:17], v[1:2]
	s_or_b32 s13, s12, vcc_lo
	s_delay_alu instid0(SALU_CYCLE_1) | instskip(NEXT) | instid1(SALU_CYCLE_1)
	s_and_saveexec_b32 s14, s13
	s_xor_b32 s13, exec_lo, s14
	s_cbranch_execz .LBB1827_9
; %bb.8:                                ;   in Loop: Header=BB1827_3 Depth=1
	v_mov_b32_e32 v1, v0
	v_mov_b32_e32 v2, v0
	;; [unrolled: 1-line block ×3, first 2 shown]
	ds_store_b128 v21, v[0:3]
.LBB1827_9:                             ;   in Loop: Header=BB1827_3 Depth=1
	s_and_not1_saveexec_b32 s13, s13
	s_cbranch_execz .LBB1827_2
; %bb.10:                               ;   in Loop: Header=BB1827_3 Depth=1
	global_load_b128 v[22:25], v[6:7], off
	s_waitcnt vmcnt(0)
	ds_store_2addr_b64 v21, v[22:23], v[24:25] offset1:1
	s_branch .LBB1827_2
.LBB1827_11:
	v_cmp_le_i32_e32 vcc_lo, v14, v4
	v_cmp_gt_i32_e64 s0, s3, v4
	s_delay_alu instid0(VALU_DEP_1) | instskip(NEXT) | instid1(SALU_CYCLE_1)
	s_and_b32 s0, vcc_lo, s0
	s_and_saveexec_b32 s1, s0
	s_cbranch_execz .LBB1827_13
; %bb.12:
	v_mul_lo_u32 v2, v14, s11
	v_mul_lo_u32 v3, v15, s10
	v_mad_u64_u32 v[0:1], null, v14, s10, 0
	v_mul_f64 v[7:8], s[18:19], v[10:11]
	v_mul_f64 v[9:10], s[20:21], v[10:11]
	s_delay_alu instid0(VALU_DEP_3) | instskip(SKIP_1) | instid1(VALU_DEP_2)
	v_add3_u32 v1, v1, v2, v3
	v_lshlrev_b64 v[2:3], 4, v[4:5]
	v_lshlrev_b64 v[0:1], 4, v[0:1]
	s_waitcnt lgkmcnt(0)
	s_delay_alu instid0(VALU_DEP_1) | instskip(NEXT) | instid1(VALU_DEP_2)
	v_add_co_u32 v0, vcc_lo, s8, v0
	v_add_co_ci_u32_e32 v1, vcc_lo, s9, v1, vcc_lo
	s_delay_alu instid0(VALU_DEP_2) | instskip(NEXT) | instid1(VALU_DEP_2)
	v_add_co_u32 v5, vcc_lo, v0, v2
	v_add_co_ci_u32_e32 v6, vcc_lo, v1, v3, vcc_lo
	v_cmp_ne_u32_e32 vcc_lo, v4, v14
	global_load_b128 v[0:3], v[5:6], off
	v_fma_f64 v[7:8], s[20:21], v[12:13], v[7:8]
	v_fma_f64 v[9:10], s[18:19], v[12:13], -v[9:10]
	s_waitcnt vmcnt(0)
	v_mul_f64 v[15:16], s[4:5], v[2:3]
	v_mul_f64 v[2:3], s[6:7], v[2:3]
	s_delay_alu instid0(VALU_DEP_2) | instskip(NEXT) | instid1(VALU_DEP_2)
	v_fma_f64 v[15:16], s[6:7], v[0:1], v[15:16]
	v_fma_f64 v[0:1], s[4:5], v[0:1], -v[2:3]
	s_delay_alu instid0(VALU_DEP_2) | instskip(NEXT) | instid1(VALU_DEP_2)
	v_add_f64 v[2:3], v[7:8], v[15:16]
	v_add_f64 v[0:1], v[9:10], v[0:1]
	s_delay_alu instid0(VALU_DEP_2)
	v_dual_cndmask_b32 v3, 0, v3 :: v_dual_cndmask_b32 v2, 0, v2
	global_store_b128 v[5:6], v[0:3], off
.LBB1827_13:
	s_nop 0
	s_sendmsg sendmsg(MSG_DEALLOC_VGPRS)
	s_endpgm
	.section	.rodata,"a",@progbits
	.p2align	6, 0x0
	.amdhsa_kernel _ZL32rocblas_syrkx_herkx_small_kernelIl19rocblas_complex_numIdELi16ELb0ELb1ELc84ELc76EKPKS1_KPS1_EviT_T0_PT6_S7_lSA_S7_lS8_PT7_S7_li
		.amdhsa_group_segment_fixed_size 8192
		.amdhsa_private_segment_fixed_size 0
		.amdhsa_kernarg_size 124
		.amdhsa_user_sgpr_count 13
		.amdhsa_user_sgpr_dispatch_ptr 0
		.amdhsa_user_sgpr_queue_ptr 0
		.amdhsa_user_sgpr_kernarg_segment_ptr 1
		.amdhsa_user_sgpr_dispatch_id 0
		.amdhsa_user_sgpr_private_segment_size 0
		.amdhsa_wavefront_size32 1
		.amdhsa_uses_dynamic_stack 0
		.amdhsa_enable_private_segment 0
		.amdhsa_system_sgpr_workgroup_id_x 1
		.amdhsa_system_sgpr_workgroup_id_y 1
		.amdhsa_system_sgpr_workgroup_id_z 1
		.amdhsa_system_sgpr_workgroup_info 0
		.amdhsa_system_vgpr_workitem_id 1
		.amdhsa_next_free_vgpr 52
		.amdhsa_next_free_sgpr 28
		.amdhsa_reserve_vcc 1
		.amdhsa_float_round_mode_32 0
		.amdhsa_float_round_mode_16_64 0
		.amdhsa_float_denorm_mode_32 3
		.amdhsa_float_denorm_mode_16_64 3
		.amdhsa_dx10_clamp 1
		.amdhsa_ieee_mode 1
		.amdhsa_fp16_overflow 0
		.amdhsa_workgroup_processor_mode 1
		.amdhsa_memory_ordered 1
		.amdhsa_forward_progress 0
		.amdhsa_shared_vgpr_count 0
		.amdhsa_exception_fp_ieee_invalid_op 0
		.amdhsa_exception_fp_denorm_src 0
		.amdhsa_exception_fp_ieee_div_zero 0
		.amdhsa_exception_fp_ieee_overflow 0
		.amdhsa_exception_fp_ieee_underflow 0
		.amdhsa_exception_fp_ieee_inexact 0
		.amdhsa_exception_int_div_zero 0
	.end_amdhsa_kernel
	.section	.text._ZL32rocblas_syrkx_herkx_small_kernelIl19rocblas_complex_numIdELi16ELb0ELb1ELc84ELc76EKPKS1_KPS1_EviT_T0_PT6_S7_lSA_S7_lS8_PT7_S7_li,"axG",@progbits,_ZL32rocblas_syrkx_herkx_small_kernelIl19rocblas_complex_numIdELi16ELb0ELb1ELc84ELc76EKPKS1_KPS1_EviT_T0_PT6_S7_lSA_S7_lS8_PT7_S7_li,comdat
.Lfunc_end1827:
	.size	_ZL32rocblas_syrkx_herkx_small_kernelIl19rocblas_complex_numIdELi16ELb0ELb1ELc84ELc76EKPKS1_KPS1_EviT_T0_PT6_S7_lSA_S7_lS8_PT7_S7_li, .Lfunc_end1827-_ZL32rocblas_syrkx_herkx_small_kernelIl19rocblas_complex_numIdELi16ELb0ELb1ELc84ELc76EKPKS1_KPS1_EviT_T0_PT6_S7_lSA_S7_lS8_PT7_S7_li
                                        ; -- End function
	.section	.AMDGPU.csdata,"",@progbits
; Kernel info:
; codeLenInByte = 2068
; NumSgprs: 30
; NumVgprs: 52
; ScratchSize: 0
; MemoryBound: 0
; FloatMode: 240
; IeeeMode: 1
; LDSByteSize: 8192 bytes/workgroup (compile time only)
; SGPRBlocks: 3
; VGPRBlocks: 6
; NumSGPRsForWavesPerEU: 30
; NumVGPRsForWavesPerEU: 52
; Occupancy: 16
; WaveLimiterHint : 1
; COMPUTE_PGM_RSRC2:SCRATCH_EN: 0
; COMPUTE_PGM_RSRC2:USER_SGPR: 13
; COMPUTE_PGM_RSRC2:TRAP_HANDLER: 0
; COMPUTE_PGM_RSRC2:TGID_X_EN: 1
; COMPUTE_PGM_RSRC2:TGID_Y_EN: 1
; COMPUTE_PGM_RSRC2:TGID_Z_EN: 1
; COMPUTE_PGM_RSRC2:TIDIG_COMP_CNT: 1
	.section	.text._ZL32rocblas_syrkx_herkx_small_kernelIl19rocblas_complex_numIdELi16ELb0ELb1ELc67ELc76EKPKS1_KPS1_EviT_T0_PT6_S7_lSA_S7_lS8_PT7_S7_li,"axG",@progbits,_ZL32rocblas_syrkx_herkx_small_kernelIl19rocblas_complex_numIdELi16ELb0ELb1ELc67ELc76EKPKS1_KPS1_EviT_T0_PT6_S7_lSA_S7_lS8_PT7_S7_li,comdat
	.globl	_ZL32rocblas_syrkx_herkx_small_kernelIl19rocblas_complex_numIdELi16ELb0ELb1ELc67ELc76EKPKS1_KPS1_EviT_T0_PT6_S7_lSA_S7_lS8_PT7_S7_li ; -- Begin function _ZL32rocblas_syrkx_herkx_small_kernelIl19rocblas_complex_numIdELi16ELb0ELb1ELc67ELc76EKPKS1_KPS1_EviT_T0_PT6_S7_lSA_S7_lS8_PT7_S7_li
	.p2align	8
	.type	_ZL32rocblas_syrkx_herkx_small_kernelIl19rocblas_complex_numIdELi16ELb0ELb1ELc67ELc76EKPKS1_KPS1_EviT_T0_PT6_S7_lSA_S7_lS8_PT7_S7_li,@function
_ZL32rocblas_syrkx_herkx_small_kernelIl19rocblas_complex_numIdELi16ELb0ELb1ELc67ELc76EKPKS1_KPS1_EviT_T0_PT6_S7_lSA_S7_lS8_PT7_S7_li: ; @_ZL32rocblas_syrkx_herkx_small_kernelIl19rocblas_complex_numIdELi16ELb0ELb1ELc67ELc76EKPKS1_KPS1_EviT_T0_PT6_S7_lSA_S7_lS8_PT7_S7_li
; %bb.0:
	s_clause 0x2
	s_load_b256 s[4:11], s[0:1], 0x50
	s_load_b256 s[16:23], s[0:1], 0x8
	s_load_b32 s3, s[0:1], 0x0
	s_mov_b32 s24, s15
	s_mov_b32 s25, 0
	v_and_b32_e32 v19, 0x3ff, v0
	s_lshl_b64 s[24:25], s[24:25], 3
	v_bfe_u32 v20, v0, 10, 10
	v_mov_b32_e32 v13, 0
	v_mov_b32_e32 v14, 0
	v_lshl_add_u32 v5, s13, 4, v19
	s_delay_alu instid0(VALU_DEP_4) | instskip(NEXT) | instid1(VALU_DEP_3)
	v_lshl_add_u32 v17, s14, 4, v20
	v_dual_mov_b32 v16, v14 :: v_dual_mov_b32 v15, v13
	s_delay_alu instid0(VALU_DEP_3) | instskip(NEXT) | instid1(VALU_DEP_3)
	v_ashrrev_i32_e32 v6, 31, v5
	v_ashrrev_i32_e32 v18, 31, v17
	s_waitcnt lgkmcnt(0)
	s_add_u32 s8, s8, s24
	s_addc_u32 s9, s9, s25
	s_load_b64 s[26:27], s[0:1], 0x28
	s_load_b64 s[8:9], s[8:9], 0x0
	v_cmp_lt_i64_e64 s2, s[16:17], 1
	s_delay_alu instid0(VALU_DEP_1)
	s_and_b32 vcc_lo, exec_lo, s2
	v_cmp_gt_i32_e64 s2, s3, v5
	s_cbranch_vccnz .LBB1828_9
; %bb.1:
	s_load_b128 s[12:15], s[0:1], 0x38
	s_waitcnt lgkmcnt(0)
	v_mul_lo_u32 v7, s27, v5
	v_mul_lo_u32 v8, s26, v6
	v_mad_u64_u32 v[1:2], null, s26, v5, 0
	v_lshlrev_b32_e32 v12, 4, v20
	v_dual_mov_b32 v0, 0 :: v_dual_lshlrev_b32 v21, 4, v19
	v_lshlrev_b32_e32 v9, 8, v20
	v_cmp_gt_i32_e32 vcc_lo, s3, v17
	v_add3_u32 v2, v2, v8, v7
	v_mov_b32_e32 v7, 0
	v_mov_b32_e32 v8, 0
	v_add_nc_u32_e32 v22, 0x1000, v9
	v_add_nc_u32_e32 v23, v21, v9
	v_lshlrev_b64 v[1:2], 4, v[1:2]
	s_delay_alu instid0(VALU_DEP_4)
	v_mov_b32_e32 v14, v8
	v_mov_b32_e32 v16, v8
	s_add_u32 s0, s12, s24
	s_addc_u32 s1, s13, s25
	s_add_u32 s12, s22, s24
	v_mul_lo_u32 v10, s15, v17
	v_mul_lo_u32 v11, s14, v18
	v_mad_u64_u32 v[3:4], null, s14, v17, 0
	s_addc_u32 s13, s23, s25
	s_load_b64 s[14:15], s[0:1], 0x0
	s_load_b64 s[12:13], s[12:13], 0x0
	v_add_co_u32 v1, s0, v1, v12
	s_delay_alu instid0(VALU_DEP_1) | instskip(NEXT) | instid1(VALU_DEP_3)
	v_add_co_ci_u32_e64 v2, s0, 0, v2, s0
	v_add3_u32 v4, v4, v11, v10
	v_dual_mov_b32 v13, v7 :: v_dual_add_nc_u32 v24, v22, v21
	v_mov_b32_e32 v15, v7
	s_delay_alu instid0(VALU_DEP_3) | instskip(NEXT) | instid1(VALU_DEP_1)
	v_lshlrev_b64 v[3:4], 4, v[3:4]
	v_add_co_u32 v3, s0, v3, v21
	s_delay_alu instid0(VALU_DEP_1) | instskip(SKIP_2) | instid1(VALU_DEP_1)
	v_add_co_ci_u32_e64 v4, s0, 0, v4, s0
	s_waitcnt lgkmcnt(0)
	v_add_co_u32 v1, s0, v1, s12
	v_add_co_ci_u32_e64 v2, s0, s13, v2, s0
	v_add_co_u32 v9, s0, s14, v3
	s_delay_alu instid0(VALU_DEP_1) | instskip(NEXT) | instid1(VALU_DEP_4)
	v_add_co_ci_u32_e64 v10, s0, s15, v4, s0
	v_add_co_u32 v11, s0, v1, 8
	s_delay_alu instid0(VALU_DEP_1)
	v_add_co_ci_u32_e64 v12, s0, 0, v2, s0
	s_mov_b64 s[0:1], 0
	s_xor_b32 s12, vcc_lo, -1
	s_branch .LBB1828_3
.LBB1828_2:                             ;   in Loop: Header=BB1828_3 Depth=1
	s_or_b32 exec_lo, exec_lo, s13
	s_waitcnt lgkmcnt(0)
	s_barrier
	buffer_gl0_inv
	ds_load_b128 v[1:4], v21
	ds_load_b128 v[25:28], v22
	ds_load_b128 v[29:32], v22 offset:16
	ds_load_b128 v[33:36], v21 offset:256
	s_add_u32 s0, s0, 16
	s_addc_u32 s1, s1, 0
	v_add_co_u32 v9, vcc_lo, 0x100, v9
	v_cmp_ge_i64_e64 s13, s[0:1], s[16:17]
	v_add_co_ci_u32_e32 v10, vcc_lo, 0, v10, vcc_lo
	v_add_co_u32 v11, vcc_lo, 0x100, v11
	v_add_co_ci_u32_e32 v12, vcc_lo, 0, v12, vcc_lo
	s_delay_alu instid0(VALU_DEP_4)
	s_and_b32 vcc_lo, exec_lo, s13
	s_waitcnt lgkmcnt(2)
	v_mul_f64 v[37:38], v[27:28], v[3:4]
	v_mul_f64 v[3:4], v[25:26], v[3:4]
	s_waitcnt lgkmcnt(0)
	v_mul_f64 v[43:44], v[31:32], v[35:36]
	v_mul_f64 v[45:46], v[29:30], v[35:36]
	s_delay_alu instid0(VALU_DEP_4) | instskip(NEXT) | instid1(VALU_DEP_4)
	v_fma_f64 v[47:48], v[25:26], v[1:2], -v[37:38]
	v_fma_f64 v[49:50], v[27:28], v[1:2], v[3:4]
	ds_load_b128 v[1:4], v21 offset:512
	ds_load_b128 v[25:28], v22 offset:32
	;; [unrolled: 1-line block ×4, first 2 shown]
	v_fma_f64 v[29:30], v[29:30], v[33:34], -v[43:44]
	v_fma_f64 v[31:32], v[31:32], v[33:34], v[45:46]
	s_waitcnt lgkmcnt(2)
	v_mul_f64 v[51:52], v[27:28], v[3:4]
	v_mul_f64 v[3:4], v[25:26], v[3:4]
	s_waitcnt lgkmcnt(0)
	v_mul_f64 v[33:34], v[37:38], v[41:42]
	v_mul_f64 v[41:42], v[35:36], v[41:42]
	v_add_f64 v[15:16], v[15:16], v[47:48]
	v_add_f64 v[13:14], v[13:14], v[49:50]
	v_fma_f64 v[43:44], v[25:26], v[1:2], -v[51:52]
	v_fma_f64 v[45:46], v[27:28], v[1:2], v[3:4]
	v_fma_f64 v[33:34], v[35:36], v[39:40], -v[33:34]
	v_fma_f64 v[35:36], v[37:38], v[39:40], v[41:42]
	v_add_f64 v[47:48], v[15:16], v[29:30]
	v_add_f64 v[49:50], v[13:14], v[31:32]
	ds_load_b128 v[1:4], v21 offset:1024
	ds_load_b128 v[13:16], v22 offset:64
	;; [unrolled: 1-line block ×4, first 2 shown]
	s_waitcnt lgkmcnt(2)
	v_mul_f64 v[51:52], v[15:16], v[3:4]
	v_mul_f64 v[3:4], v[13:14], v[3:4]
	s_waitcnt lgkmcnt(0)
	v_mul_f64 v[41:42], v[27:28], v[31:32]
	v_add_f64 v[37:38], v[47:48], v[43:44]
	v_add_f64 v[39:40], v[49:50], v[45:46]
	v_mul_f64 v[43:44], v[25:26], v[31:32]
	v_fma_f64 v[45:46], v[13:14], v[1:2], -v[51:52]
	v_fma_f64 v[47:48], v[15:16], v[1:2], v[3:4]
	v_fma_f64 v[25:26], v[25:26], v[29:30], -v[41:42]
	v_add_f64 v[49:50], v[37:38], v[33:34]
	v_add_f64 v[39:40], v[39:40], v[35:36]
	ds_load_b128 v[1:4], v21 offset:1536
	ds_load_b128 v[13:16], v22 offset:96
	;; [unrolled: 1-line block ×4, first 2 shown]
	v_fma_f64 v[27:28], v[27:28], v[29:30], v[43:44]
	s_waitcnt lgkmcnt(2)
	v_mul_f64 v[51:52], v[15:16], v[3:4]
	v_mul_f64 v[3:4], v[13:14], v[3:4]
	s_waitcnt lgkmcnt(0)
	v_mul_f64 v[41:42], v[33:34], v[37:38]
	v_mul_f64 v[43:44], v[31:32], v[37:38]
	v_add_f64 v[29:30], v[49:50], v[45:46]
	v_add_f64 v[39:40], v[39:40], v[47:48]
	v_fma_f64 v[45:46], v[13:14], v[1:2], -v[51:52]
	v_fma_f64 v[47:48], v[15:16], v[1:2], v[3:4]
	v_fma_f64 v[31:32], v[31:32], v[35:36], -v[41:42]
	v_fma_f64 v[33:34], v[33:34], v[35:36], v[43:44]
	v_add_f64 v[29:30], v[29:30], v[25:26]
	v_add_f64 v[49:50], v[39:40], v[27:28]
	ds_load_b128 v[1:4], v21 offset:2048
	ds_load_b128 v[13:16], v22 offset:128
	;; [unrolled: 1-line block ×4, first 2 shown]
	s_waitcnt lgkmcnt(2)
	v_mul_f64 v[51:52], v[15:16], v[3:4]
	v_mul_f64 v[3:4], v[13:14], v[3:4]
	s_waitcnt lgkmcnt(0)
	v_mul_f64 v[41:42], v[27:28], v[39:40]
	v_mul_f64 v[39:40], v[25:26], v[39:40]
	v_add_f64 v[29:30], v[29:30], v[45:46]
	v_add_f64 v[35:36], v[49:50], v[47:48]
	v_fma_f64 v[43:44], v[13:14], v[1:2], -v[51:52]
	v_fma_f64 v[45:46], v[15:16], v[1:2], v[3:4]
	v_fma_f64 v[25:26], v[25:26], v[37:38], -v[41:42]
	v_fma_f64 v[27:28], v[27:28], v[37:38], v[39:40]
	v_add_f64 v[47:48], v[29:30], v[31:32]
	v_add_f64 v[49:50], v[35:36], v[33:34]
	ds_load_b128 v[1:4], v21 offset:2560
	ds_load_b128 v[13:16], v22 offset:160
	;; [unrolled: 1-line block ×4, first 2 shown]
	s_waitcnt lgkmcnt(2)
	v_mul_f64 v[51:52], v[15:16], v[3:4]
	v_mul_f64 v[3:4], v[13:14], v[3:4]
	s_waitcnt lgkmcnt(0)
	v_mul_f64 v[41:42], v[31:32], v[35:36]
	v_add_f64 v[37:38], v[47:48], v[43:44]
	v_add_f64 v[39:40], v[49:50], v[45:46]
	v_mul_f64 v[43:44], v[29:30], v[35:36]
	v_fma_f64 v[45:46], v[13:14], v[1:2], -v[51:52]
	v_fma_f64 v[47:48], v[15:16], v[1:2], v[3:4]
	v_fma_f64 v[29:30], v[29:30], v[33:34], -v[41:42]
	v_add_f64 v[49:50], v[37:38], v[25:26]
	v_add_f64 v[39:40], v[39:40], v[27:28]
	ds_load_b128 v[1:4], v21 offset:3072
	ds_load_b128 v[13:16], v22 offset:192
	;; [unrolled: 1-line block ×4, first 2 shown]
	v_fma_f64 v[31:32], v[31:32], v[33:34], v[43:44]
	s_waitcnt lgkmcnt(2)
	v_mul_f64 v[51:52], v[15:16], v[3:4]
	v_mul_f64 v[3:4], v[13:14], v[3:4]
	s_waitcnt lgkmcnt(0)
	v_mul_f64 v[41:42], v[27:28], v[37:38]
	v_mul_f64 v[43:44], v[25:26], v[37:38]
	v_add_f64 v[33:34], v[49:50], v[45:46]
	v_add_f64 v[39:40], v[39:40], v[47:48]
	v_fma_f64 v[45:46], v[13:14], v[1:2], -v[51:52]
	v_fma_f64 v[47:48], v[15:16], v[1:2], v[3:4]
	v_fma_f64 v[25:26], v[25:26], v[35:36], -v[41:42]
	v_fma_f64 v[27:28], v[27:28], v[35:36], v[43:44]
	v_add_f64 v[33:34], v[33:34], v[29:30]
	v_add_f64 v[49:50], v[39:40], v[31:32]
	ds_load_b128 v[1:4], v21 offset:3584
	ds_load_b128 v[13:16], v22 offset:224
	;; [unrolled: 1-line block ×4, first 2 shown]
	s_waitcnt lgkmcnt(0)
	s_barrier
	buffer_gl0_inv
	v_mul_f64 v[51:52], v[15:16], v[3:4]
	v_mul_f64 v[3:4], v[13:14], v[3:4]
	;; [unrolled: 1-line block ×4, first 2 shown]
	v_add_f64 v[33:34], v[33:34], v[45:46]
	v_add_f64 v[35:36], v[49:50], v[47:48]
	v_fma_f64 v[13:14], v[13:14], v[1:2], -v[51:52]
	v_fma_f64 v[1:2], v[15:16], v[1:2], v[3:4]
	s_delay_alu instid0(VALU_DEP_4) | instskip(NEXT) | instid1(VALU_DEP_4)
	v_add_f64 v[3:4], v[33:34], v[25:26]
	v_add_f64 v[15:16], v[35:36], v[27:28]
	v_fma_f64 v[25:26], v[29:30], v[37:38], -v[41:42]
	v_fma_f64 v[27:28], v[31:32], v[37:38], v[39:40]
	s_delay_alu instid0(VALU_DEP_4) | instskip(NEXT) | instid1(VALU_DEP_4)
	v_add_f64 v[3:4], v[3:4], v[13:14]
	v_add_f64 v[1:2], v[15:16], v[1:2]
	s_delay_alu instid0(VALU_DEP_2) | instskip(NEXT) | instid1(VALU_DEP_2)
	v_add_f64 v[15:16], v[3:4], v[25:26]
	v_add_f64 v[13:14], v[1:2], v[27:28]
	s_cbranch_vccnz .LBB1828_9
.LBB1828_3:                             ; =>This Inner Loop Header: Depth=1
	v_add_co_u32 v1, s13, v20, s0
	s_delay_alu instid0(VALU_DEP_1) | instskip(SKIP_1) | instid1(VALU_DEP_2)
	v_add_co_ci_u32_e64 v2, null, 0, s1, s13
	v_dual_mov_b32 v3, v7 :: v_dual_mov_b32 v4, v8
	v_cmp_gt_i64_e32 vcc_lo, s[16:17], v[1:2]
	v_dual_mov_b32 v1, v7 :: v_dual_mov_b32 v2, v8
	s_and_b32 s14, s2, vcc_lo
	s_delay_alu instid0(SALU_CYCLE_1)
	s_and_saveexec_b32 s13, s14
	s_cbranch_execz .LBB1828_5
; %bb.4:                                ;   in Loop: Header=BB1828_3 Depth=1
	global_load_b128 v[1:4], v[11:12], off offset:-8
	s_waitcnt vmcnt(0)
	v_xor_b32_e32 v4, 0x80000000, v4
.LBB1828_5:                             ;   in Loop: Header=BB1828_3 Depth=1
	s_or_b32 exec_lo, exec_lo, s13
	v_add_co_u32 v25, s13, v19, s0
	s_delay_alu instid0(VALU_DEP_1) | instskip(SKIP_3) | instid1(SALU_CYCLE_1)
	v_add_co_ci_u32_e64 v26, null, 0, s1, s13
	ds_store_b128 v23, v[1:4]
	v_cmp_le_i64_e32 vcc_lo, s[16:17], v[25:26]
	s_or_b32 s13, s12, vcc_lo
	s_and_saveexec_b32 s14, s13
	s_delay_alu instid0(SALU_CYCLE_1)
	s_xor_b32 s13, exec_lo, s14
	s_cbranch_execz .LBB1828_7
; %bb.6:                                ;   in Loop: Header=BB1828_3 Depth=1
	v_mov_b32_e32 v1, v0
	v_mov_b32_e32 v2, v0
	;; [unrolled: 1-line block ×3, first 2 shown]
	ds_store_b128 v24, v[0:3]
.LBB1828_7:                             ;   in Loop: Header=BB1828_3 Depth=1
	s_and_not1_saveexec_b32 s13, s13
	s_cbranch_execz .LBB1828_2
; %bb.8:                                ;   in Loop: Header=BB1828_3 Depth=1
	global_load_b128 v[1:4], v[9:10], off
	s_waitcnt vmcnt(0)
	ds_store_2addr_b64 v24, v[1:2], v[3:4] offset1:1
	s_branch .LBB1828_2
.LBB1828_9:
	v_cmp_le_i32_e32 vcc_lo, v17, v5
	v_cmp_gt_i32_e64 s0, s3, v5
	s_delay_alu instid0(VALU_DEP_1) | instskip(NEXT) | instid1(SALU_CYCLE_1)
	s_and_b32 s0, vcc_lo, s0
	s_and_saveexec_b32 s1, s0
	s_cbranch_execz .LBB1828_11
; %bb.10:
	v_mul_lo_u32 v2, v17, s11
	v_mul_lo_u32 v3, v18, s10
	v_mad_u64_u32 v[0:1], null, v17, s10, 0
	v_mul_f64 v[8:9], s[18:19], v[13:14]
	v_mul_f64 v[12:13], s[20:21], v[13:14]
	s_delay_alu instid0(VALU_DEP_3) | instskip(SKIP_1) | instid1(VALU_DEP_2)
	v_add3_u32 v1, v1, v2, v3
	v_lshlrev_b64 v[2:3], 4, v[5:6]
	v_lshlrev_b64 v[0:1], 4, v[0:1]
	s_waitcnt lgkmcnt(0)
	s_delay_alu instid0(VALU_DEP_1) | instskip(NEXT) | instid1(VALU_DEP_2)
	v_add_co_u32 v0, vcc_lo, s8, v0
	v_add_co_ci_u32_e32 v1, vcc_lo, s9, v1, vcc_lo
	s_delay_alu instid0(VALU_DEP_2) | instskip(NEXT) | instid1(VALU_DEP_2)
	v_add_co_u32 v6, vcc_lo, v0, v2
	v_add_co_ci_u32_e32 v7, vcc_lo, v1, v3, vcc_lo
	v_cmp_ne_u32_e32 vcc_lo, v5, v17
	global_load_b128 v[0:3], v[6:7], off
	v_fma_f64 v[8:9], s[20:21], v[15:16], v[8:9]
	v_fma_f64 v[12:13], s[18:19], v[15:16], -v[12:13]
	s_waitcnt vmcnt(0)
	v_mul_f64 v[10:11], s[4:5], v[2:3]
	v_mul_f64 v[2:3], s[6:7], v[2:3]
	s_delay_alu instid0(VALU_DEP_2) | instskip(NEXT) | instid1(VALU_DEP_2)
	v_fma_f64 v[10:11], s[6:7], v[0:1], v[10:11]
	v_fma_f64 v[0:1], s[4:5], v[0:1], -v[2:3]
	s_delay_alu instid0(VALU_DEP_2) | instskip(NEXT) | instid1(VALU_DEP_2)
	v_add_f64 v[2:3], v[8:9], v[10:11]
	v_add_f64 v[0:1], v[12:13], v[0:1]
	s_delay_alu instid0(VALU_DEP_2)
	v_dual_cndmask_b32 v3, 0, v3 :: v_dual_cndmask_b32 v2, 0, v2
	global_store_b128 v[6:7], v[0:3], off
.LBB1828_11:
	s_nop 0
	s_sendmsg sendmsg(MSG_DEALLOC_VGPRS)
	s_endpgm
	.section	.rodata,"a",@progbits
	.p2align	6, 0x0
	.amdhsa_kernel _ZL32rocblas_syrkx_herkx_small_kernelIl19rocblas_complex_numIdELi16ELb0ELb1ELc67ELc76EKPKS1_KPS1_EviT_T0_PT6_S7_lSA_S7_lS8_PT7_S7_li
		.amdhsa_group_segment_fixed_size 8192
		.amdhsa_private_segment_fixed_size 0
		.amdhsa_kernarg_size 124
		.amdhsa_user_sgpr_count 13
		.amdhsa_user_sgpr_dispatch_ptr 0
		.amdhsa_user_sgpr_queue_ptr 0
		.amdhsa_user_sgpr_kernarg_segment_ptr 1
		.amdhsa_user_sgpr_dispatch_id 0
		.amdhsa_user_sgpr_private_segment_size 0
		.amdhsa_wavefront_size32 1
		.amdhsa_uses_dynamic_stack 0
		.amdhsa_enable_private_segment 0
		.amdhsa_system_sgpr_workgroup_id_x 1
		.amdhsa_system_sgpr_workgroup_id_y 1
		.amdhsa_system_sgpr_workgroup_id_z 1
		.amdhsa_system_sgpr_workgroup_info 0
		.amdhsa_system_vgpr_workitem_id 1
		.amdhsa_next_free_vgpr 53
		.amdhsa_next_free_sgpr 28
		.amdhsa_reserve_vcc 1
		.amdhsa_float_round_mode_32 0
		.amdhsa_float_round_mode_16_64 0
		.amdhsa_float_denorm_mode_32 3
		.amdhsa_float_denorm_mode_16_64 3
		.amdhsa_dx10_clamp 1
		.amdhsa_ieee_mode 1
		.amdhsa_fp16_overflow 0
		.amdhsa_workgroup_processor_mode 1
		.amdhsa_memory_ordered 1
		.amdhsa_forward_progress 0
		.amdhsa_shared_vgpr_count 0
		.amdhsa_exception_fp_ieee_invalid_op 0
		.amdhsa_exception_fp_denorm_src 0
		.amdhsa_exception_fp_ieee_div_zero 0
		.amdhsa_exception_fp_ieee_overflow 0
		.amdhsa_exception_fp_ieee_underflow 0
		.amdhsa_exception_fp_ieee_inexact 0
		.amdhsa_exception_int_div_zero 0
	.end_amdhsa_kernel
	.section	.text._ZL32rocblas_syrkx_herkx_small_kernelIl19rocblas_complex_numIdELi16ELb0ELb1ELc67ELc76EKPKS1_KPS1_EviT_T0_PT6_S7_lSA_S7_lS8_PT7_S7_li,"axG",@progbits,_ZL32rocblas_syrkx_herkx_small_kernelIl19rocblas_complex_numIdELi16ELb0ELb1ELc67ELc76EKPKS1_KPS1_EviT_T0_PT6_S7_lSA_S7_lS8_PT7_S7_li,comdat
.Lfunc_end1828:
	.size	_ZL32rocblas_syrkx_herkx_small_kernelIl19rocblas_complex_numIdELi16ELb0ELb1ELc67ELc76EKPKS1_KPS1_EviT_T0_PT6_S7_lSA_S7_lS8_PT7_S7_li, .Lfunc_end1828-_ZL32rocblas_syrkx_herkx_small_kernelIl19rocblas_complex_numIdELi16ELb0ELb1ELc67ELc76EKPKS1_KPS1_EviT_T0_PT6_S7_lSA_S7_lS8_PT7_S7_li
                                        ; -- End function
	.section	.AMDGPU.csdata,"",@progbits
; Kernel info:
; codeLenInByte = 2092
; NumSgprs: 30
; NumVgprs: 53
; ScratchSize: 0
; MemoryBound: 1
; FloatMode: 240
; IeeeMode: 1
; LDSByteSize: 8192 bytes/workgroup (compile time only)
; SGPRBlocks: 3
; VGPRBlocks: 6
; NumSGPRsForWavesPerEU: 30
; NumVGPRsForWavesPerEU: 53
; Occupancy: 16
; WaveLimiterHint : 1
; COMPUTE_PGM_RSRC2:SCRATCH_EN: 0
; COMPUTE_PGM_RSRC2:USER_SGPR: 13
; COMPUTE_PGM_RSRC2:TRAP_HANDLER: 0
; COMPUTE_PGM_RSRC2:TGID_X_EN: 1
; COMPUTE_PGM_RSRC2:TGID_Y_EN: 1
; COMPUTE_PGM_RSRC2:TGID_Z_EN: 1
; COMPUTE_PGM_RSRC2:TIDIG_COMP_CNT: 1
	.section	.text._ZL32rocblas_syrkx_herkx_small_kernelIl19rocblas_complex_numIdELi16ELb0ELb1ELc78ELc76EKPKS1_KPS1_EviT_T0_PT6_S7_lSA_S7_lS8_PT7_S7_li,"axG",@progbits,_ZL32rocblas_syrkx_herkx_small_kernelIl19rocblas_complex_numIdELi16ELb0ELb1ELc78ELc76EKPKS1_KPS1_EviT_T0_PT6_S7_lSA_S7_lS8_PT7_S7_li,comdat
	.globl	_ZL32rocblas_syrkx_herkx_small_kernelIl19rocblas_complex_numIdELi16ELb0ELb1ELc78ELc76EKPKS1_KPS1_EviT_T0_PT6_S7_lSA_S7_lS8_PT7_S7_li ; -- Begin function _ZL32rocblas_syrkx_herkx_small_kernelIl19rocblas_complex_numIdELi16ELb0ELb1ELc78ELc76EKPKS1_KPS1_EviT_T0_PT6_S7_lSA_S7_lS8_PT7_S7_li
	.p2align	8
	.type	_ZL32rocblas_syrkx_herkx_small_kernelIl19rocblas_complex_numIdELi16ELb0ELb1ELc78ELc76EKPKS1_KPS1_EviT_T0_PT6_S7_lSA_S7_lS8_PT7_S7_li,@function
_ZL32rocblas_syrkx_herkx_small_kernelIl19rocblas_complex_numIdELi16ELb0ELb1ELc78ELc76EKPKS1_KPS1_EviT_T0_PT6_S7_lSA_S7_lS8_PT7_S7_li: ; @_ZL32rocblas_syrkx_herkx_small_kernelIl19rocblas_complex_numIdELi16ELb0ELb1ELc78ELc76EKPKS1_KPS1_EviT_T0_PT6_S7_lSA_S7_lS8_PT7_S7_li
; %bb.0:
	s_clause 0x2
	s_load_b256 s[4:11], s[0:1], 0x50
	s_load_b256 s[16:23], s[0:1], 0x8
	s_load_b32 s3, s[0:1], 0x0
	s_mov_b32 s24, s15
	s_mov_b32 s25, 0
	v_and_b32_e32 v17, 0x3ff, v0
	s_lshl_b64 s[26:27], s[24:25], 3
	v_bfe_u32 v18, v0, 10, 10
	v_mov_b32_e32 v13, 0
	v_mov_b32_e32 v14, 0
	v_lshl_add_u32 v5, s13, 4, v17
	s_delay_alu instid0(VALU_DEP_4) | instskip(NEXT) | instid1(VALU_DEP_3)
	v_lshl_add_u32 v7, s14, 4, v18
	v_dual_mov_b32 v16, v14 :: v_dual_mov_b32 v15, v13
	s_delay_alu instid0(VALU_DEP_3) | instskip(NEXT) | instid1(VALU_DEP_3)
	v_ashrrev_i32_e32 v6, 31, v5
	v_ashrrev_i32_e32 v8, 31, v7
	s_waitcnt lgkmcnt(0)
	s_add_u32 s8, s8, s26
	s_addc_u32 s9, s9, s27
	s_load_b64 s[24:25], s[0:1], 0x28
	s_load_b64 s[8:9], s[8:9], 0x0
	v_cmp_lt_i64_e64 s2, s[16:17], 1
	s_delay_alu instid0(VALU_DEP_1)
	s_and_b32 vcc_lo, exec_lo, s2
	v_cmp_gt_i32_e64 s2, s3, v5
	s_cbranch_vccnz .LBB1829_9
; %bb.1:
	s_load_b128 s[12:15], s[0:1], 0x38
	s_waitcnt lgkmcnt(0)
	v_mad_u64_u32 v[3:4], null, s24, v18, 0
	v_dual_mov_b32 v0, 0 :: v_dual_lshlrev_b32 v23, 8, v18
	v_lshlrev_b32_e32 v19, 4, v17
	v_lshlrev_b64 v[9:10], 4, v[7:8]
	v_lshlrev_b64 v[11:12], 4, v[5:6]
	v_cmp_gt_i32_e64 s0, s3, v7
	v_mad_u64_u32 v[21:22], null, s25, v18, v[4:5]
	v_mad_u64_u32 v[1:2], null, s14, v17, 0
	s_add_u32 s12, s12, s26
	s_addc_u32 s13, s13, s27
	s_add_u32 s22, s22, s26
	s_load_b64 s[28:29], s[12:13], 0x0
	s_addc_u32 s23, s23, s27
	s_lshl_b64 s[12:13], s[14:15], 8
	s_delay_alu instid0(VALU_DEP_1)
	v_mad_u64_u32 v[15:16], null, s15, v17, v[2:3]
	v_mov_b32_e32 v13, 0
	s_load_b64 s[22:23], s[22:23], 0x0
	v_mov_b32_e32 v14, 0
	v_dual_mov_b32 v4, v21 :: v_dual_add_nc_u32 v21, v19, v23
	v_add_nc_u32_e32 v20, 0x1000, v23
	v_mov_b32_e32 v2, v15
	s_delay_alu instid0(VALU_DEP_4) | instskip(NEXT) | instid1(VALU_DEP_4)
	v_dual_mov_b32 v16, v14 :: v_dual_mov_b32 v15, v13
	v_lshlrev_b64 v[3:4], 4, v[3:4]
	s_delay_alu instid0(VALU_DEP_4) | instskip(NEXT) | instid1(VALU_DEP_4)
	v_add_nc_u32_e32 v22, v20, v19
	v_lshlrev_b64 v[1:2], 4, v[1:2]
	s_lshl_b64 s[14:15], s[24:25], 8
	s_xor_b32 s1, s2, -1
	s_delay_alu instid0(VALU_DEP_1) | instskip(NEXT) | instid1(VALU_DEP_2)
	v_add_co_u32 v1, vcc_lo, v1, v9
	v_add_co_ci_u32_e32 v2, vcc_lo, v2, v10, vcc_lo
	v_add_co_u32 v3, vcc_lo, v3, v11
	v_add_co_ci_u32_e32 v4, vcc_lo, v4, v12, vcc_lo
	s_waitcnt lgkmcnt(0)
	v_add_co_u32 v1, vcc_lo, v1, s28
	v_add_co_ci_u32_e32 v2, vcc_lo, s29, v2, vcc_lo
	v_add_co_u32 v9, vcc_lo, s22, v3
	v_add_co_ci_u32_e32 v10, vcc_lo, s23, v4, vcc_lo
	s_delay_alu instid0(VALU_DEP_4) | instskip(NEXT) | instid1(VALU_DEP_4)
	v_add_co_u32 v11, vcc_lo, v1, 8
	v_add_co_ci_u32_e32 v12, vcc_lo, 0, v2, vcc_lo
	s_mov_b64 s[22:23], 0
	s_branch .LBB1829_3
.LBB1829_2:                             ;   in Loop: Header=BB1829_3 Depth=1
	s_or_b32 exec_lo, exec_lo, s2
	ds_store_b128 v22, v[1:4]
	s_waitcnt lgkmcnt(0)
	s_barrier
	buffer_gl0_inv
	ds_load_b128 v[1:4], v19
	ds_load_b128 v[23:26], v20
	ds_load_b128 v[27:30], v20 offset:16
	ds_load_b128 v[31:34], v19 offset:256
	s_add_u32 s22, s22, 16
	s_addc_u32 s23, s23, 0
	v_add_co_u32 v11, vcc_lo, v11, s12
	v_cmp_ge_i64_e64 s2, s[22:23], s[16:17]
	v_add_co_ci_u32_e32 v12, vcc_lo, s13, v12, vcc_lo
	v_add_co_u32 v9, vcc_lo, v9, s14
	v_add_co_ci_u32_e32 v10, vcc_lo, s15, v10, vcc_lo
	s_delay_alu instid0(VALU_DEP_4)
	s_and_b32 vcc_lo, exec_lo, s2
	s_waitcnt lgkmcnt(2)
	v_mul_f64 v[35:36], v[25:26], v[3:4]
	v_mul_f64 v[3:4], v[23:24], v[3:4]
	s_waitcnt lgkmcnt(0)
	v_mul_f64 v[41:42], v[29:30], v[33:34]
	v_mul_f64 v[43:44], v[27:28], v[33:34]
	s_delay_alu instid0(VALU_DEP_4) | instskip(NEXT) | instid1(VALU_DEP_4)
	v_fma_f64 v[45:46], v[23:24], v[1:2], -v[35:36]
	v_fma_f64 v[47:48], v[25:26], v[1:2], v[3:4]
	ds_load_b128 v[1:4], v19 offset:512
	ds_load_b128 v[23:26], v20 offset:32
	;; [unrolled: 1-line block ×4, first 2 shown]
	v_fma_f64 v[27:28], v[27:28], v[31:32], -v[41:42]
	v_fma_f64 v[29:30], v[29:30], v[31:32], v[43:44]
	s_waitcnt lgkmcnt(2)
	v_mul_f64 v[49:50], v[25:26], v[3:4]
	v_mul_f64 v[3:4], v[23:24], v[3:4]
	s_waitcnt lgkmcnt(0)
	v_mul_f64 v[31:32], v[35:36], v[39:40]
	v_mul_f64 v[39:40], v[33:34], v[39:40]
	v_add_f64 v[15:16], v[15:16], v[45:46]
	v_add_f64 v[13:14], v[13:14], v[47:48]
	v_fma_f64 v[41:42], v[23:24], v[1:2], -v[49:50]
	v_fma_f64 v[43:44], v[25:26], v[1:2], v[3:4]
	v_fma_f64 v[31:32], v[33:34], v[37:38], -v[31:32]
	v_fma_f64 v[33:34], v[35:36], v[37:38], v[39:40]
	v_add_f64 v[45:46], v[15:16], v[27:28]
	v_add_f64 v[47:48], v[13:14], v[29:30]
	ds_load_b128 v[1:4], v19 offset:1024
	ds_load_b128 v[13:16], v20 offset:64
	;; [unrolled: 1-line block ×4, first 2 shown]
	s_waitcnt lgkmcnt(2)
	v_mul_f64 v[49:50], v[15:16], v[3:4]
	v_mul_f64 v[3:4], v[13:14], v[3:4]
	s_waitcnt lgkmcnt(0)
	v_mul_f64 v[39:40], v[25:26], v[29:30]
	v_add_f64 v[35:36], v[45:46], v[41:42]
	v_add_f64 v[37:38], v[47:48], v[43:44]
	v_mul_f64 v[41:42], v[23:24], v[29:30]
	v_fma_f64 v[43:44], v[13:14], v[1:2], -v[49:50]
	v_fma_f64 v[45:46], v[15:16], v[1:2], v[3:4]
	v_fma_f64 v[23:24], v[23:24], v[27:28], -v[39:40]
	v_add_f64 v[47:48], v[35:36], v[31:32]
	v_add_f64 v[37:38], v[37:38], v[33:34]
	ds_load_b128 v[1:4], v19 offset:1536
	ds_load_b128 v[13:16], v20 offset:96
	;; [unrolled: 1-line block ×4, first 2 shown]
	v_fma_f64 v[25:26], v[25:26], v[27:28], v[41:42]
	s_waitcnt lgkmcnt(2)
	v_mul_f64 v[49:50], v[15:16], v[3:4]
	v_mul_f64 v[3:4], v[13:14], v[3:4]
	s_waitcnt lgkmcnt(0)
	v_mul_f64 v[39:40], v[31:32], v[35:36]
	v_mul_f64 v[41:42], v[29:30], v[35:36]
	v_add_f64 v[27:28], v[47:48], v[43:44]
	v_add_f64 v[37:38], v[37:38], v[45:46]
	v_fma_f64 v[43:44], v[13:14], v[1:2], -v[49:50]
	v_fma_f64 v[45:46], v[15:16], v[1:2], v[3:4]
	v_fma_f64 v[29:30], v[29:30], v[33:34], -v[39:40]
	v_fma_f64 v[31:32], v[31:32], v[33:34], v[41:42]
	v_add_f64 v[27:28], v[27:28], v[23:24]
	v_add_f64 v[47:48], v[37:38], v[25:26]
	ds_load_b128 v[1:4], v19 offset:2048
	ds_load_b128 v[13:16], v20 offset:128
	;; [unrolled: 1-line block ×4, first 2 shown]
	s_waitcnt lgkmcnt(2)
	v_mul_f64 v[49:50], v[15:16], v[3:4]
	v_mul_f64 v[3:4], v[13:14], v[3:4]
	s_waitcnt lgkmcnt(0)
	v_mul_f64 v[39:40], v[25:26], v[37:38]
	v_mul_f64 v[37:38], v[23:24], v[37:38]
	v_add_f64 v[27:28], v[27:28], v[43:44]
	v_add_f64 v[33:34], v[47:48], v[45:46]
	v_fma_f64 v[41:42], v[13:14], v[1:2], -v[49:50]
	v_fma_f64 v[43:44], v[15:16], v[1:2], v[3:4]
	v_fma_f64 v[23:24], v[23:24], v[35:36], -v[39:40]
	v_fma_f64 v[25:26], v[25:26], v[35:36], v[37:38]
	v_add_f64 v[45:46], v[27:28], v[29:30]
	v_add_f64 v[47:48], v[33:34], v[31:32]
	ds_load_b128 v[1:4], v19 offset:2560
	ds_load_b128 v[13:16], v20 offset:160
	;; [unrolled: 1-line block ×4, first 2 shown]
	s_waitcnt lgkmcnt(2)
	v_mul_f64 v[49:50], v[15:16], v[3:4]
	v_mul_f64 v[3:4], v[13:14], v[3:4]
	s_waitcnt lgkmcnt(0)
	v_mul_f64 v[39:40], v[29:30], v[33:34]
	v_add_f64 v[35:36], v[45:46], v[41:42]
	v_add_f64 v[37:38], v[47:48], v[43:44]
	v_mul_f64 v[41:42], v[27:28], v[33:34]
	v_fma_f64 v[43:44], v[13:14], v[1:2], -v[49:50]
	v_fma_f64 v[45:46], v[15:16], v[1:2], v[3:4]
	v_fma_f64 v[27:28], v[27:28], v[31:32], -v[39:40]
	v_add_f64 v[47:48], v[35:36], v[23:24]
	v_add_f64 v[37:38], v[37:38], v[25:26]
	ds_load_b128 v[1:4], v19 offset:3072
	ds_load_b128 v[13:16], v20 offset:192
	ds_load_b128 v[23:26], v20 offset:208
	ds_load_b128 v[33:36], v19 offset:3328
	v_fma_f64 v[29:30], v[29:30], v[31:32], v[41:42]
	s_waitcnt lgkmcnt(2)
	v_mul_f64 v[49:50], v[15:16], v[3:4]
	v_mul_f64 v[3:4], v[13:14], v[3:4]
	s_waitcnt lgkmcnt(0)
	v_mul_f64 v[39:40], v[25:26], v[35:36]
	v_mul_f64 v[41:42], v[23:24], v[35:36]
	v_add_f64 v[31:32], v[47:48], v[43:44]
	v_add_f64 v[37:38], v[37:38], v[45:46]
	v_fma_f64 v[43:44], v[13:14], v[1:2], -v[49:50]
	v_fma_f64 v[45:46], v[15:16], v[1:2], v[3:4]
	v_fma_f64 v[23:24], v[23:24], v[33:34], -v[39:40]
	v_fma_f64 v[25:26], v[25:26], v[33:34], v[41:42]
	v_add_f64 v[31:32], v[31:32], v[27:28]
	v_add_f64 v[47:48], v[37:38], v[29:30]
	ds_load_b128 v[1:4], v19 offset:3584
	ds_load_b128 v[13:16], v20 offset:224
	;; [unrolled: 1-line block ×4, first 2 shown]
	s_waitcnt lgkmcnt(0)
	s_barrier
	buffer_gl0_inv
	v_mul_f64 v[49:50], v[15:16], v[3:4]
	v_mul_f64 v[3:4], v[13:14], v[3:4]
	;; [unrolled: 1-line block ×4, first 2 shown]
	v_add_f64 v[31:32], v[31:32], v[43:44]
	v_add_f64 v[33:34], v[47:48], v[45:46]
	v_fma_f64 v[13:14], v[13:14], v[1:2], -v[49:50]
	v_fma_f64 v[1:2], v[15:16], v[1:2], v[3:4]
	s_delay_alu instid0(VALU_DEP_4) | instskip(NEXT) | instid1(VALU_DEP_4)
	v_add_f64 v[3:4], v[31:32], v[23:24]
	v_add_f64 v[15:16], v[33:34], v[25:26]
	v_fma_f64 v[23:24], v[27:28], v[35:36], -v[39:40]
	v_fma_f64 v[25:26], v[29:30], v[35:36], v[37:38]
	s_delay_alu instid0(VALU_DEP_4) | instskip(NEXT) | instid1(VALU_DEP_4)
	v_add_f64 v[3:4], v[3:4], v[13:14]
	v_add_f64 v[1:2], v[15:16], v[1:2]
	s_delay_alu instid0(VALU_DEP_2) | instskip(NEXT) | instid1(VALU_DEP_2)
	v_add_f64 v[15:16], v[3:4], v[23:24]
	v_add_f64 v[13:14], v[1:2], v[25:26]
	s_cbranch_vccnz .LBB1829_9
.LBB1829_3:                             ; =>This Inner Loop Header: Depth=1
	v_add_co_u32 v1, s2, v18, s22
	s_delay_alu instid0(VALU_DEP_1) | instskip(NEXT) | instid1(VALU_DEP_1)
	v_add_co_ci_u32_e64 v2, null, 0, s23, s2
	v_cmp_le_i64_e32 vcc_lo, s[16:17], v[1:2]
	s_or_b32 s2, s1, vcc_lo
	s_delay_alu instid0(SALU_CYCLE_1) | instskip(NEXT) | instid1(SALU_CYCLE_1)
	s_and_saveexec_b32 s24, s2
	s_xor_b32 s2, exec_lo, s24
	s_cbranch_execz .LBB1829_5
; %bb.4:                                ;   in Loop: Header=BB1829_3 Depth=1
	v_mov_b32_e32 v1, v0
	v_mov_b32_e32 v2, v0
	;; [unrolled: 1-line block ×3, first 2 shown]
	ds_store_b128 v21, v[0:3]
.LBB1829_5:                             ;   in Loop: Header=BB1829_3 Depth=1
	s_and_not1_saveexec_b32 s2, s2
	s_cbranch_execz .LBB1829_7
; %bb.6:                                ;   in Loop: Header=BB1829_3 Depth=1
	global_load_b128 v[1:4], v[9:10], off
	s_waitcnt vmcnt(0)
	ds_store_2addr_b64 v21, v[1:2], v[3:4] offset1:1
.LBB1829_7:                             ;   in Loop: Header=BB1829_3 Depth=1
	s_or_b32 exec_lo, exec_lo, s2
	v_add_co_u32 v3, s2, v17, s22
	s_delay_alu instid0(VALU_DEP_1) | instskip(SKIP_2) | instid1(VALU_DEP_3)
	v_add_co_ci_u32_e64 v4, null, 0, s23, s2
	v_mov_b32_e32 v1, 0
	v_mov_b32_e32 v2, 0
	v_cmp_gt_i64_e32 vcc_lo, s[16:17], v[3:4]
	s_delay_alu instid0(VALU_DEP_2) | instskip(SKIP_1) | instid1(SALU_CYCLE_1)
	v_dual_mov_b32 v4, v2 :: v_dual_mov_b32 v3, v1
	s_and_b32 s24, s0, vcc_lo
	s_and_saveexec_b32 s2, s24
	s_cbranch_execz .LBB1829_2
; %bb.8:                                ;   in Loop: Header=BB1829_3 Depth=1
	global_load_b128 v[1:4], v[11:12], off offset:-8
	s_waitcnt vmcnt(0)
	v_xor_b32_e32 v4, 0x80000000, v4
	s_branch .LBB1829_2
.LBB1829_9:
	v_cmp_le_i32_e32 vcc_lo, v7, v5
	v_cmp_gt_i32_e64 s0, s3, v5
	s_delay_alu instid0(VALU_DEP_1) | instskip(NEXT) | instid1(SALU_CYCLE_1)
	s_and_b32 s0, vcc_lo, s0
	s_and_saveexec_b32 s1, s0
	s_cbranch_execz .LBB1829_11
; %bb.10:
	v_mul_lo_u32 v2, v7, s11
	v_mul_lo_u32 v3, v8, s10
	v_mad_u64_u32 v[0:1], null, v7, s10, 0
	v_mul_f64 v[10:11], s[18:19], v[13:14]
	v_mul_f64 v[12:13], s[20:21], v[13:14]
	s_delay_alu instid0(VALU_DEP_3) | instskip(SKIP_1) | instid1(VALU_DEP_2)
	v_add3_u32 v1, v1, v2, v3
	v_lshlrev_b64 v[2:3], 4, v[5:6]
	v_lshlrev_b64 v[0:1], 4, v[0:1]
	s_waitcnt lgkmcnt(0)
	s_delay_alu instid0(VALU_DEP_1) | instskip(NEXT) | instid1(VALU_DEP_2)
	v_add_co_u32 v0, vcc_lo, s8, v0
	v_add_co_ci_u32_e32 v1, vcc_lo, s9, v1, vcc_lo
	s_delay_alu instid0(VALU_DEP_2) | instskip(NEXT) | instid1(VALU_DEP_2)
	v_add_co_u32 v8, vcc_lo, v0, v2
	v_add_co_ci_u32_e32 v9, vcc_lo, v1, v3, vcc_lo
	v_cmp_ne_u32_e32 vcc_lo, v5, v7
	global_load_b128 v[0:3], v[8:9], off
	v_fma_f64 v[10:11], s[20:21], v[15:16], v[10:11]
	v_fma_f64 v[12:13], s[18:19], v[15:16], -v[12:13]
	s_waitcnt vmcnt(0)
	v_mul_f64 v[17:18], s[4:5], v[2:3]
	v_mul_f64 v[2:3], s[6:7], v[2:3]
	s_delay_alu instid0(VALU_DEP_2) | instskip(NEXT) | instid1(VALU_DEP_2)
	v_fma_f64 v[17:18], s[6:7], v[0:1], v[17:18]
	v_fma_f64 v[0:1], s[4:5], v[0:1], -v[2:3]
	s_delay_alu instid0(VALU_DEP_2) | instskip(NEXT) | instid1(VALU_DEP_2)
	v_add_f64 v[2:3], v[10:11], v[17:18]
	v_add_f64 v[0:1], v[12:13], v[0:1]
	s_delay_alu instid0(VALU_DEP_2)
	v_dual_cndmask_b32 v3, 0, v3 :: v_dual_cndmask_b32 v2, 0, v2
	global_store_b128 v[8:9], v[0:3], off
.LBB1829_11:
	s_nop 0
	s_sendmsg sendmsg(MSG_DEALLOC_VGPRS)
	s_endpgm
	.section	.rodata,"a",@progbits
	.p2align	6, 0x0
	.amdhsa_kernel _ZL32rocblas_syrkx_herkx_small_kernelIl19rocblas_complex_numIdELi16ELb0ELb1ELc78ELc76EKPKS1_KPS1_EviT_T0_PT6_S7_lSA_S7_lS8_PT7_S7_li
		.amdhsa_group_segment_fixed_size 8192
		.amdhsa_private_segment_fixed_size 0
		.amdhsa_kernarg_size 124
		.amdhsa_user_sgpr_count 13
		.amdhsa_user_sgpr_dispatch_ptr 0
		.amdhsa_user_sgpr_queue_ptr 0
		.amdhsa_user_sgpr_kernarg_segment_ptr 1
		.amdhsa_user_sgpr_dispatch_id 0
		.amdhsa_user_sgpr_private_segment_size 0
		.amdhsa_wavefront_size32 1
		.amdhsa_uses_dynamic_stack 0
		.amdhsa_enable_private_segment 0
		.amdhsa_system_sgpr_workgroup_id_x 1
		.amdhsa_system_sgpr_workgroup_id_y 1
		.amdhsa_system_sgpr_workgroup_id_z 1
		.amdhsa_system_sgpr_workgroup_info 0
		.amdhsa_system_vgpr_workitem_id 1
		.amdhsa_next_free_vgpr 51
		.amdhsa_next_free_sgpr 30
		.amdhsa_reserve_vcc 1
		.amdhsa_float_round_mode_32 0
		.amdhsa_float_round_mode_16_64 0
		.amdhsa_float_denorm_mode_32 3
		.amdhsa_float_denorm_mode_16_64 3
		.amdhsa_dx10_clamp 1
		.amdhsa_ieee_mode 1
		.amdhsa_fp16_overflow 0
		.amdhsa_workgroup_processor_mode 1
		.amdhsa_memory_ordered 1
		.amdhsa_forward_progress 0
		.amdhsa_shared_vgpr_count 0
		.amdhsa_exception_fp_ieee_invalid_op 0
		.amdhsa_exception_fp_denorm_src 0
		.amdhsa_exception_fp_ieee_div_zero 0
		.amdhsa_exception_fp_ieee_overflow 0
		.amdhsa_exception_fp_ieee_underflow 0
		.amdhsa_exception_fp_ieee_inexact 0
		.amdhsa_exception_int_div_zero 0
	.end_amdhsa_kernel
	.section	.text._ZL32rocblas_syrkx_herkx_small_kernelIl19rocblas_complex_numIdELi16ELb0ELb1ELc78ELc76EKPKS1_KPS1_EviT_T0_PT6_S7_lSA_S7_lS8_PT7_S7_li,"axG",@progbits,_ZL32rocblas_syrkx_herkx_small_kernelIl19rocblas_complex_numIdELi16ELb0ELb1ELc78ELc76EKPKS1_KPS1_EviT_T0_PT6_S7_lSA_S7_lS8_PT7_S7_li,comdat
.Lfunc_end1829:
	.size	_ZL32rocblas_syrkx_herkx_small_kernelIl19rocblas_complex_numIdELi16ELb0ELb1ELc78ELc76EKPKS1_KPS1_EviT_T0_PT6_S7_lSA_S7_lS8_PT7_S7_li, .Lfunc_end1829-_ZL32rocblas_syrkx_herkx_small_kernelIl19rocblas_complex_numIdELi16ELb0ELb1ELc78ELc76EKPKS1_KPS1_EviT_T0_PT6_S7_lSA_S7_lS8_PT7_S7_li
                                        ; -- End function
	.section	.AMDGPU.csdata,"",@progbits
; Kernel info:
; codeLenInByte = 2052
; NumSgprs: 32
; NumVgprs: 51
; ScratchSize: 0
; MemoryBound: 1
; FloatMode: 240
; IeeeMode: 1
; LDSByteSize: 8192 bytes/workgroup (compile time only)
; SGPRBlocks: 3
; VGPRBlocks: 6
; NumSGPRsForWavesPerEU: 32
; NumVGPRsForWavesPerEU: 51
; Occupancy: 16
; WaveLimiterHint : 1
; COMPUTE_PGM_RSRC2:SCRATCH_EN: 0
; COMPUTE_PGM_RSRC2:USER_SGPR: 13
; COMPUTE_PGM_RSRC2:TRAP_HANDLER: 0
; COMPUTE_PGM_RSRC2:TGID_X_EN: 1
; COMPUTE_PGM_RSRC2:TGID_Y_EN: 1
; COMPUTE_PGM_RSRC2:TGID_Z_EN: 1
; COMPUTE_PGM_RSRC2:TIDIG_COMP_CNT: 1
	.section	.text._ZL32rocblas_syrkx_herkx_small_kernelIl19rocblas_complex_numIdELi16ELb0ELb1ELc84ELc85EKPKS1_KPS1_EviT_T0_PT6_S7_lSA_S7_lS8_PT7_S7_li,"axG",@progbits,_ZL32rocblas_syrkx_herkx_small_kernelIl19rocblas_complex_numIdELi16ELb0ELb1ELc84ELc85EKPKS1_KPS1_EviT_T0_PT6_S7_lSA_S7_lS8_PT7_S7_li,comdat
	.globl	_ZL32rocblas_syrkx_herkx_small_kernelIl19rocblas_complex_numIdELi16ELb0ELb1ELc84ELc85EKPKS1_KPS1_EviT_T0_PT6_S7_lSA_S7_lS8_PT7_S7_li ; -- Begin function _ZL32rocblas_syrkx_herkx_small_kernelIl19rocblas_complex_numIdELi16ELb0ELb1ELc84ELc85EKPKS1_KPS1_EviT_T0_PT6_S7_lSA_S7_lS8_PT7_S7_li
	.p2align	8
	.type	_ZL32rocblas_syrkx_herkx_small_kernelIl19rocblas_complex_numIdELi16ELb0ELb1ELc84ELc85EKPKS1_KPS1_EviT_T0_PT6_S7_lSA_S7_lS8_PT7_S7_li,@function
_ZL32rocblas_syrkx_herkx_small_kernelIl19rocblas_complex_numIdELi16ELb0ELb1ELc84ELc85EKPKS1_KPS1_EviT_T0_PT6_S7_lSA_S7_lS8_PT7_S7_li: ; @_ZL32rocblas_syrkx_herkx_small_kernelIl19rocblas_complex_numIdELi16ELb0ELb1ELc84ELc85EKPKS1_KPS1_EviT_T0_PT6_S7_lSA_S7_lS8_PT7_S7_li
; %bb.0:
	s_clause 0x2
	s_load_b256 s[4:11], s[0:1], 0x50
	s_load_b256 s[16:23], s[0:1], 0x8
	s_load_b32 s3, s[0:1], 0x0
	s_mov_b32 s24, s15
	s_mov_b32 s25, 0
	v_and_b32_e32 v16, 0x3ff, v0
	s_lshl_b64 s[24:25], s[24:25], 3
	v_bfe_u32 v17, v0, 10, 10
	v_mov_b32_e32 v10, 0
	v_mov_b32_e32 v11, 0
	v_lshl_add_u32 v4, s13, 4, v16
	s_delay_alu instid0(VALU_DEP_4) | instskip(NEXT) | instid1(VALU_DEP_3)
	v_lshl_add_u32 v14, s14, 4, v17
	v_dual_mov_b32 v13, v11 :: v_dual_mov_b32 v12, v10
	s_delay_alu instid0(VALU_DEP_3) | instskip(NEXT) | instid1(VALU_DEP_3)
	v_ashrrev_i32_e32 v5, 31, v4
	v_ashrrev_i32_e32 v15, 31, v14
	s_waitcnt lgkmcnt(0)
	s_add_u32 s8, s8, s24
	s_addc_u32 s9, s9, s25
	s_load_b64 s[26:27], s[0:1], 0x28
	s_load_b64 s[8:9], s[8:9], 0x0
	v_cmp_lt_i64_e64 s2, s[16:17], 1
	s_delay_alu instid0(VALU_DEP_1)
	s_and_b32 vcc_lo, exec_lo, s2
	v_cmp_gt_i32_e64 s2, s3, v14
	s_cbranch_vccnz .LBB1830_11
; %bb.1:
	s_load_b128 s[12:15], s[0:1], 0x38
	s_waitcnt lgkmcnt(0)
	v_mul_lo_u32 v8, s27, v4
	v_mul_lo_u32 v9, s26, v5
	v_mad_u64_u32 v[6:7], null, s26, v4, 0
	v_dual_mov_b32 v0, 0 :: v_dual_lshlrev_b32 v3, 8, v17
	v_lshlrev_b32_e32 v18, 4, v16
	v_lshlrev_b32_e32 v12, 4, v17
	v_cmp_gt_i32_e32 vcc_lo, s3, v4
	v_add3_u32 v7, v7, v9, v8
	v_add_nc_u32_e32 v19, 0x1000, v3
	s_delay_alu instid0(VALU_DEP_2)
	v_lshlrev_b64 v[6:7], 4, v[6:7]
	v_mul_lo_u32 v10, s15, v14
	v_mul_lo_u32 v11, s14, v15
	v_mad_u64_u32 v[1:2], null, s14, v14, 0
	s_add_u32 s0, s12, s24
	s_addc_u32 s1, s13, s25
	s_add_u32 s12, s22, s24
	s_load_b64 s[14:15], s[0:1], 0x0
	s_addc_u32 s13, s23, s25
	s_xor_b32 s2, s2, -1
	s_delay_alu instid0(VALU_DEP_1) | instskip(SKIP_3) | instid1(VALU_DEP_3)
	v_add3_u32 v2, v2, v11, v10
	v_mov_b32_e32 v10, 0
	s_load_b64 s[12:13], s[12:13], 0x0
	v_dual_mov_b32 v11, 0 :: v_dual_add_nc_u32 v20, v18, v3
	v_lshlrev_b64 v[1:2], 4, v[1:2]
	v_add_nc_u32_e32 v21, v19, v18
	s_delay_alu instid0(VALU_DEP_2) | instskip(NEXT) | instid1(VALU_DEP_1)
	v_add_co_u32 v1, s0, v1, v18
	v_add_co_ci_u32_e64 v2, s0, 0, v2, s0
	v_add_co_u32 v3, s0, v6, v12
	s_delay_alu instid0(VALU_DEP_1) | instskip(SKIP_2) | instid1(VALU_DEP_1)
	v_add_co_ci_u32_e64 v9, s0, 0, v7, s0
	s_waitcnt lgkmcnt(0)
	v_add_co_u32 v6, s0, s14, v1
	v_add_co_ci_u32_e64 v7, s0, s15, v2, s0
	v_add_co_u32 v8, s0, s12, v3
	v_dual_mov_b32 v13, v11 :: v_dual_mov_b32 v12, v10
	v_add_co_ci_u32_e64 v9, s0, s13, v9, s0
	s_mov_b64 s[0:1], 0
	s_xor_b32 s12, vcc_lo, -1
	s_branch .LBB1830_3
.LBB1830_2:                             ;   in Loop: Header=BB1830_3 Depth=1
	s_or_b32 exec_lo, exec_lo, s13
	s_waitcnt lgkmcnt(0)
	s_barrier
	buffer_gl0_inv
	ds_load_b128 v[22:25], v18
	ds_load_b128 v[26:29], v19
	ds_load_b128 v[30:33], v19 offset:16
	ds_load_b128 v[34:37], v18 offset:256
	s_add_u32 s0, s0, 16
	s_addc_u32 s1, s1, 0
	v_add_co_u32 v6, vcc_lo, 0x100, v6
	v_cmp_ge_i64_e64 s13, s[0:1], s[16:17]
	v_add_co_ci_u32_e32 v7, vcc_lo, 0, v7, vcc_lo
	v_add_co_u32 v8, vcc_lo, 0x100, v8
	v_add_co_ci_u32_e32 v9, vcc_lo, 0, v9, vcc_lo
	s_delay_alu instid0(VALU_DEP_4)
	s_and_b32 vcc_lo, exec_lo, s13
	s_waitcnt lgkmcnt(2)
	v_mul_f64 v[1:2], v[28:29], v[24:25]
	v_mul_f64 v[24:25], v[26:27], v[24:25]
	s_waitcnt lgkmcnt(0)
	v_mul_f64 v[44:45], v[32:33], v[36:37]
	v_mul_f64 v[46:47], v[30:31], v[36:37]
	s_delay_alu instid0(VALU_DEP_4) | instskip(NEXT) | instid1(VALU_DEP_4)
	v_fma_f64 v[1:2], v[26:27], v[22:23], -v[1:2]
	v_fma_f64 v[48:49], v[28:29], v[22:23], v[24:25]
	ds_load_b128 v[22:25], v18 offset:512
	ds_load_b128 v[26:29], v19 offset:32
	;; [unrolled: 1-line block ×4, first 2 shown]
	v_fma_f64 v[30:31], v[30:31], v[34:35], -v[44:45]
	v_fma_f64 v[32:33], v[32:33], v[34:35], v[46:47]
	s_waitcnt lgkmcnt(2)
	v_mul_f64 v[50:51], v[28:29], v[24:25]
	v_mul_f64 v[24:25], v[26:27], v[24:25]
	s_waitcnt lgkmcnt(0)
	v_mul_f64 v[34:35], v[38:39], v[42:43]
	v_mul_f64 v[42:43], v[36:37], v[42:43]
	v_add_f64 v[1:2], v[12:13], v[1:2]
	v_add_f64 v[10:11], v[10:11], v[48:49]
	v_fma_f64 v[44:45], v[26:27], v[22:23], -v[50:51]
	v_fma_f64 v[46:47], v[28:29], v[22:23], v[24:25]
	v_fma_f64 v[34:35], v[36:37], v[40:41], -v[34:35]
	v_fma_f64 v[36:37], v[38:39], v[40:41], v[42:43]
	v_add_f64 v[1:2], v[1:2], v[30:31]
	v_add_f64 v[48:49], v[10:11], v[32:33]
	ds_load_b128 v[10:13], v18 offset:1024
	ds_load_b128 v[22:25], v19 offset:64
	ds_load_b128 v[26:29], v19 offset:80
	ds_load_b128 v[30:33], v18 offset:1280
	s_waitcnt lgkmcnt(2)
	v_mul_f64 v[50:51], v[24:25], v[12:13]
	v_mul_f64 v[12:13], v[22:23], v[12:13]
	s_waitcnt lgkmcnt(0)
	v_mul_f64 v[40:41], v[28:29], v[32:33]
	v_mul_f64 v[42:43], v[26:27], v[32:33]
	v_add_f64 v[1:2], v[1:2], v[44:45]
	v_add_f64 v[38:39], v[48:49], v[46:47]
	v_fma_f64 v[44:45], v[22:23], v[10:11], -v[50:51]
	v_fma_f64 v[46:47], v[24:25], v[10:11], v[12:13]
	v_fma_f64 v[26:27], v[26:27], v[30:31], -v[40:41]
	v_fma_f64 v[28:29], v[28:29], v[30:31], v[42:43]
	v_add_f64 v[1:2], v[1:2], v[34:35]
	v_add_f64 v[48:49], v[38:39], v[36:37]
	ds_load_b128 v[10:13], v18 offset:1536
	ds_load_b128 v[22:25], v19 offset:96
	;; [unrolled: 1-line block ×4, first 2 shown]
	s_waitcnt lgkmcnt(2)
	v_mul_f64 v[50:51], v[24:25], v[12:13]
	v_mul_f64 v[12:13], v[22:23], v[12:13]
	s_waitcnt lgkmcnt(0)
	v_mul_f64 v[42:43], v[34:35], v[38:39]
	v_add_f64 v[1:2], v[1:2], v[44:45]
	v_add_f64 v[30:31], v[48:49], v[46:47]
	v_mul_f64 v[44:45], v[32:33], v[38:39]
	v_fma_f64 v[46:47], v[22:23], v[10:11], -v[50:51]
	v_fma_f64 v[48:49], v[24:25], v[10:11], v[12:13]
	v_fma_f64 v[32:33], v[32:33], v[36:37], -v[42:43]
	v_add_f64 v[1:2], v[1:2], v[26:27]
	v_add_f64 v[30:31], v[30:31], v[28:29]
	ds_load_b128 v[10:13], v18 offset:2048
	ds_load_b128 v[22:25], v19 offset:128
	ds_load_b128 v[26:29], v19 offset:144
	ds_load_b128 v[38:41], v18 offset:2304
	v_fma_f64 v[34:35], v[34:35], v[36:37], v[44:45]
	s_waitcnt lgkmcnt(2)
	v_mul_f64 v[50:51], v[24:25], v[12:13]
	v_mul_f64 v[12:13], v[22:23], v[12:13]
	s_waitcnt lgkmcnt(0)
	v_mul_f64 v[42:43], v[28:29], v[40:41]
	v_mul_f64 v[40:41], v[26:27], v[40:41]
	v_add_f64 v[1:2], v[1:2], v[46:47]
	v_add_f64 v[30:31], v[30:31], v[48:49]
	v_fma_f64 v[44:45], v[22:23], v[10:11], -v[50:51]
	v_fma_f64 v[46:47], v[24:25], v[10:11], v[12:13]
	v_fma_f64 v[26:27], v[26:27], v[38:39], -v[42:43]
	v_fma_f64 v[28:29], v[28:29], v[38:39], v[40:41]
	v_add_f64 v[1:2], v[1:2], v[32:33]
	v_add_f64 v[48:49], v[30:31], v[34:35]
	ds_load_b128 v[10:13], v18 offset:2560
	ds_load_b128 v[22:25], v19 offset:160
	;; [unrolled: 1-line block ×4, first 2 shown]
	s_waitcnt lgkmcnt(2)
	v_mul_f64 v[50:51], v[24:25], v[12:13]
	v_mul_f64 v[12:13], v[22:23], v[12:13]
	s_waitcnt lgkmcnt(0)
	v_mul_f64 v[40:41], v[32:33], v[36:37]
	v_mul_f64 v[42:43], v[30:31], v[36:37]
	v_add_f64 v[1:2], v[1:2], v[44:45]
	v_add_f64 v[38:39], v[48:49], v[46:47]
	v_fma_f64 v[44:45], v[22:23], v[10:11], -v[50:51]
	v_fma_f64 v[46:47], v[24:25], v[10:11], v[12:13]
	v_fma_f64 v[30:31], v[30:31], v[34:35], -v[40:41]
	v_fma_f64 v[32:33], v[32:33], v[34:35], v[42:43]
	v_add_f64 v[1:2], v[1:2], v[26:27]
	v_add_f64 v[48:49], v[38:39], v[28:29]
	ds_load_b128 v[10:13], v18 offset:3072
	ds_load_b128 v[22:25], v19 offset:192
	;; [unrolled: 1-line block ×4, first 2 shown]
	s_waitcnt lgkmcnt(2)
	v_mul_f64 v[50:51], v[24:25], v[12:13]
	v_mul_f64 v[12:13], v[22:23], v[12:13]
	s_waitcnt lgkmcnt(0)
	v_mul_f64 v[42:43], v[28:29], v[38:39]
	v_add_f64 v[1:2], v[1:2], v[44:45]
	v_add_f64 v[34:35], v[48:49], v[46:47]
	v_mul_f64 v[44:45], v[26:27], v[38:39]
	v_fma_f64 v[46:47], v[22:23], v[10:11], -v[50:51]
	v_fma_f64 v[48:49], v[24:25], v[10:11], v[12:13]
	v_fma_f64 v[26:27], v[26:27], v[36:37], -v[42:43]
	v_add_f64 v[1:2], v[1:2], v[30:31]
	v_add_f64 v[34:35], v[34:35], v[32:33]
	ds_load_b128 v[10:13], v18 offset:3584
	ds_load_b128 v[22:25], v19 offset:224
	;; [unrolled: 1-line block ×4, first 2 shown]
	v_fma_f64 v[28:29], v[28:29], v[36:37], v[44:45]
	s_waitcnt lgkmcnt(0)
	s_barrier
	buffer_gl0_inv
	v_mul_f64 v[50:51], v[24:25], v[12:13]
	v_mul_f64 v[12:13], v[22:23], v[12:13]
	;; [unrolled: 1-line block ×4, first 2 shown]
	v_add_f64 v[1:2], v[1:2], v[46:47]
	v_add_f64 v[34:35], v[34:35], v[48:49]
	v_fma_f64 v[22:23], v[22:23], v[10:11], -v[50:51]
	v_fma_f64 v[10:11], v[24:25], v[10:11], v[12:13]
	v_fma_f64 v[24:25], v[30:31], v[38:39], -v[36:37]
	v_add_f64 v[1:2], v[1:2], v[26:27]
	v_add_f64 v[12:13], v[34:35], v[28:29]
	v_fma_f64 v[26:27], v[32:33], v[38:39], v[40:41]
	s_delay_alu instid0(VALU_DEP_3) | instskip(NEXT) | instid1(VALU_DEP_3)
	v_add_f64 v[1:2], v[1:2], v[22:23]
	v_add_f64 v[10:11], v[12:13], v[10:11]
	s_delay_alu instid0(VALU_DEP_2) | instskip(NEXT) | instid1(VALU_DEP_2)
	v_add_f64 v[12:13], v[1:2], v[24:25]
	v_add_f64 v[10:11], v[10:11], v[26:27]
	s_cbranch_vccnz .LBB1830_11
.LBB1830_3:                             ; =>This Inner Loop Header: Depth=1
	v_add_co_u32 v1, s13, v17, s0
	s_delay_alu instid0(VALU_DEP_1) | instskip(NEXT) | instid1(VALU_DEP_1)
	v_add_co_ci_u32_e64 v2, null, 0, s1, s13
	v_cmp_le_i64_e32 vcc_lo, s[16:17], v[1:2]
	s_or_b32 s13, s12, vcc_lo
	s_delay_alu instid0(SALU_CYCLE_1) | instskip(NEXT) | instid1(SALU_CYCLE_1)
	s_and_saveexec_b32 s14, s13
	s_xor_b32 s13, exec_lo, s14
	s_cbranch_execz .LBB1830_5
; %bb.4:                                ;   in Loop: Header=BB1830_3 Depth=1
	v_mov_b32_e32 v1, v0
	v_mov_b32_e32 v2, v0
	;; [unrolled: 1-line block ×3, first 2 shown]
	ds_store_b128 v20, v[0:3]
.LBB1830_5:                             ;   in Loop: Header=BB1830_3 Depth=1
	s_and_not1_saveexec_b32 s13, s13
	s_cbranch_execz .LBB1830_7
; %bb.6:                                ;   in Loop: Header=BB1830_3 Depth=1
	global_load_b128 v[22:25], v[8:9], off
	s_waitcnt vmcnt(0)
	ds_store_2addr_b64 v20, v[22:23], v[24:25] offset1:1
.LBB1830_7:                             ;   in Loop: Header=BB1830_3 Depth=1
	s_or_b32 exec_lo, exec_lo, s13
	v_add_co_u32 v1, s13, v16, s0
	s_delay_alu instid0(VALU_DEP_1) | instskip(NEXT) | instid1(VALU_DEP_1)
	v_add_co_ci_u32_e64 v2, null, 0, s1, s13
	v_cmp_le_i64_e32 vcc_lo, s[16:17], v[1:2]
	s_or_b32 s13, s2, vcc_lo
	s_delay_alu instid0(SALU_CYCLE_1) | instskip(NEXT) | instid1(SALU_CYCLE_1)
	s_and_saveexec_b32 s14, s13
	s_xor_b32 s13, exec_lo, s14
	s_cbranch_execz .LBB1830_9
; %bb.8:                                ;   in Loop: Header=BB1830_3 Depth=1
	v_mov_b32_e32 v1, v0
	v_mov_b32_e32 v2, v0
	;; [unrolled: 1-line block ×3, first 2 shown]
	ds_store_b128 v21, v[0:3]
.LBB1830_9:                             ;   in Loop: Header=BB1830_3 Depth=1
	s_and_not1_saveexec_b32 s13, s13
	s_cbranch_execz .LBB1830_2
; %bb.10:                               ;   in Loop: Header=BB1830_3 Depth=1
	global_load_b128 v[22:25], v[6:7], off
	s_waitcnt vmcnt(0)
	ds_store_2addr_b64 v21, v[22:23], v[24:25] offset1:1
	s_branch .LBB1830_2
.LBB1830_11:
	v_cmp_le_i32_e32 vcc_lo, v4, v14
	v_cmp_gt_i32_e64 s0, s3, v14
	s_delay_alu instid0(VALU_DEP_1) | instskip(NEXT) | instid1(SALU_CYCLE_1)
	s_and_b32 s0, vcc_lo, s0
	s_and_saveexec_b32 s1, s0
	s_cbranch_execz .LBB1830_13
; %bb.12:
	v_mul_lo_u32 v2, v14, s11
	v_mul_lo_u32 v3, v15, s10
	v_mad_u64_u32 v[0:1], null, v14, s10, 0
	v_mul_f64 v[7:8], s[18:19], v[10:11]
	v_mul_f64 v[9:10], s[20:21], v[10:11]
	s_delay_alu instid0(VALU_DEP_3) | instskip(SKIP_1) | instid1(VALU_DEP_2)
	v_add3_u32 v1, v1, v2, v3
	v_lshlrev_b64 v[2:3], 4, v[4:5]
	v_lshlrev_b64 v[0:1], 4, v[0:1]
	s_waitcnt lgkmcnt(0)
	s_delay_alu instid0(VALU_DEP_1) | instskip(NEXT) | instid1(VALU_DEP_2)
	v_add_co_u32 v0, vcc_lo, s8, v0
	v_add_co_ci_u32_e32 v1, vcc_lo, s9, v1, vcc_lo
	s_delay_alu instid0(VALU_DEP_2) | instskip(NEXT) | instid1(VALU_DEP_2)
	v_add_co_u32 v5, vcc_lo, v0, v2
	v_add_co_ci_u32_e32 v6, vcc_lo, v1, v3, vcc_lo
	v_cmp_ne_u32_e32 vcc_lo, v4, v14
	global_load_b128 v[0:3], v[5:6], off
	v_fma_f64 v[7:8], s[20:21], v[12:13], v[7:8]
	v_fma_f64 v[9:10], s[18:19], v[12:13], -v[9:10]
	s_waitcnt vmcnt(0)
	v_mul_f64 v[15:16], s[4:5], v[2:3]
	v_mul_f64 v[2:3], s[6:7], v[2:3]
	s_delay_alu instid0(VALU_DEP_2) | instskip(NEXT) | instid1(VALU_DEP_2)
	v_fma_f64 v[15:16], s[6:7], v[0:1], v[15:16]
	v_fma_f64 v[0:1], s[4:5], v[0:1], -v[2:3]
	s_delay_alu instid0(VALU_DEP_2) | instskip(NEXT) | instid1(VALU_DEP_2)
	v_add_f64 v[2:3], v[7:8], v[15:16]
	v_add_f64 v[0:1], v[9:10], v[0:1]
	s_delay_alu instid0(VALU_DEP_2)
	v_dual_cndmask_b32 v3, 0, v3 :: v_dual_cndmask_b32 v2, 0, v2
	global_store_b128 v[5:6], v[0:3], off
.LBB1830_13:
	s_nop 0
	s_sendmsg sendmsg(MSG_DEALLOC_VGPRS)
	s_endpgm
	.section	.rodata,"a",@progbits
	.p2align	6, 0x0
	.amdhsa_kernel _ZL32rocblas_syrkx_herkx_small_kernelIl19rocblas_complex_numIdELi16ELb0ELb1ELc84ELc85EKPKS1_KPS1_EviT_T0_PT6_S7_lSA_S7_lS8_PT7_S7_li
		.amdhsa_group_segment_fixed_size 8192
		.amdhsa_private_segment_fixed_size 0
		.amdhsa_kernarg_size 124
		.amdhsa_user_sgpr_count 13
		.amdhsa_user_sgpr_dispatch_ptr 0
		.amdhsa_user_sgpr_queue_ptr 0
		.amdhsa_user_sgpr_kernarg_segment_ptr 1
		.amdhsa_user_sgpr_dispatch_id 0
		.amdhsa_user_sgpr_private_segment_size 0
		.amdhsa_wavefront_size32 1
		.amdhsa_uses_dynamic_stack 0
		.amdhsa_enable_private_segment 0
		.amdhsa_system_sgpr_workgroup_id_x 1
		.amdhsa_system_sgpr_workgroup_id_y 1
		.amdhsa_system_sgpr_workgroup_id_z 1
		.amdhsa_system_sgpr_workgroup_info 0
		.amdhsa_system_vgpr_workitem_id 1
		.amdhsa_next_free_vgpr 52
		.amdhsa_next_free_sgpr 28
		.amdhsa_reserve_vcc 1
		.amdhsa_float_round_mode_32 0
		.amdhsa_float_round_mode_16_64 0
		.amdhsa_float_denorm_mode_32 3
		.amdhsa_float_denorm_mode_16_64 3
		.amdhsa_dx10_clamp 1
		.amdhsa_ieee_mode 1
		.amdhsa_fp16_overflow 0
		.amdhsa_workgroup_processor_mode 1
		.amdhsa_memory_ordered 1
		.amdhsa_forward_progress 0
		.amdhsa_shared_vgpr_count 0
		.amdhsa_exception_fp_ieee_invalid_op 0
		.amdhsa_exception_fp_denorm_src 0
		.amdhsa_exception_fp_ieee_div_zero 0
		.amdhsa_exception_fp_ieee_overflow 0
		.amdhsa_exception_fp_ieee_underflow 0
		.amdhsa_exception_fp_ieee_inexact 0
		.amdhsa_exception_int_div_zero 0
	.end_amdhsa_kernel
	.section	.text._ZL32rocblas_syrkx_herkx_small_kernelIl19rocblas_complex_numIdELi16ELb0ELb1ELc84ELc85EKPKS1_KPS1_EviT_T0_PT6_S7_lSA_S7_lS8_PT7_S7_li,"axG",@progbits,_ZL32rocblas_syrkx_herkx_small_kernelIl19rocblas_complex_numIdELi16ELb0ELb1ELc84ELc85EKPKS1_KPS1_EviT_T0_PT6_S7_lSA_S7_lS8_PT7_S7_li,comdat
.Lfunc_end1830:
	.size	_ZL32rocblas_syrkx_herkx_small_kernelIl19rocblas_complex_numIdELi16ELb0ELb1ELc84ELc85EKPKS1_KPS1_EviT_T0_PT6_S7_lSA_S7_lS8_PT7_S7_li, .Lfunc_end1830-_ZL32rocblas_syrkx_herkx_small_kernelIl19rocblas_complex_numIdELi16ELb0ELb1ELc84ELc85EKPKS1_KPS1_EviT_T0_PT6_S7_lSA_S7_lS8_PT7_S7_li
                                        ; -- End function
	.section	.AMDGPU.csdata,"",@progbits
; Kernel info:
; codeLenInByte = 2068
; NumSgprs: 30
; NumVgprs: 52
; ScratchSize: 0
; MemoryBound: 0
; FloatMode: 240
; IeeeMode: 1
; LDSByteSize: 8192 bytes/workgroup (compile time only)
; SGPRBlocks: 3
; VGPRBlocks: 6
; NumSGPRsForWavesPerEU: 30
; NumVGPRsForWavesPerEU: 52
; Occupancy: 16
; WaveLimiterHint : 1
; COMPUTE_PGM_RSRC2:SCRATCH_EN: 0
; COMPUTE_PGM_RSRC2:USER_SGPR: 13
; COMPUTE_PGM_RSRC2:TRAP_HANDLER: 0
; COMPUTE_PGM_RSRC2:TGID_X_EN: 1
; COMPUTE_PGM_RSRC2:TGID_Y_EN: 1
; COMPUTE_PGM_RSRC2:TGID_Z_EN: 1
; COMPUTE_PGM_RSRC2:TIDIG_COMP_CNT: 1
	.section	.text._ZL32rocblas_syrkx_herkx_small_kernelIl19rocblas_complex_numIdELi16ELb0ELb1ELc67ELc85EKPKS1_KPS1_EviT_T0_PT6_S7_lSA_S7_lS8_PT7_S7_li,"axG",@progbits,_ZL32rocblas_syrkx_herkx_small_kernelIl19rocblas_complex_numIdELi16ELb0ELb1ELc67ELc85EKPKS1_KPS1_EviT_T0_PT6_S7_lSA_S7_lS8_PT7_S7_li,comdat
	.globl	_ZL32rocblas_syrkx_herkx_small_kernelIl19rocblas_complex_numIdELi16ELb0ELb1ELc67ELc85EKPKS1_KPS1_EviT_T0_PT6_S7_lSA_S7_lS8_PT7_S7_li ; -- Begin function _ZL32rocblas_syrkx_herkx_small_kernelIl19rocblas_complex_numIdELi16ELb0ELb1ELc67ELc85EKPKS1_KPS1_EviT_T0_PT6_S7_lSA_S7_lS8_PT7_S7_li
	.p2align	8
	.type	_ZL32rocblas_syrkx_herkx_small_kernelIl19rocblas_complex_numIdELi16ELb0ELb1ELc67ELc85EKPKS1_KPS1_EviT_T0_PT6_S7_lSA_S7_lS8_PT7_S7_li,@function
_ZL32rocblas_syrkx_herkx_small_kernelIl19rocblas_complex_numIdELi16ELb0ELb1ELc67ELc85EKPKS1_KPS1_EviT_T0_PT6_S7_lSA_S7_lS8_PT7_S7_li: ; @_ZL32rocblas_syrkx_herkx_small_kernelIl19rocblas_complex_numIdELi16ELb0ELb1ELc67ELc85EKPKS1_KPS1_EviT_T0_PT6_S7_lSA_S7_lS8_PT7_S7_li
; %bb.0:
	s_clause 0x2
	s_load_b256 s[4:11], s[0:1], 0x50
	s_load_b256 s[16:23], s[0:1], 0x8
	s_load_b32 s3, s[0:1], 0x0
	s_mov_b32 s24, s15
	s_mov_b32 s25, 0
	v_and_b32_e32 v19, 0x3ff, v0
	s_lshl_b64 s[24:25], s[24:25], 3
	v_bfe_u32 v20, v0, 10, 10
	v_mov_b32_e32 v13, 0
	v_mov_b32_e32 v14, 0
	v_lshl_add_u32 v5, s13, 4, v19
	s_delay_alu instid0(VALU_DEP_4) | instskip(NEXT) | instid1(VALU_DEP_3)
	v_lshl_add_u32 v17, s14, 4, v20
	v_dual_mov_b32 v16, v14 :: v_dual_mov_b32 v15, v13
	s_delay_alu instid0(VALU_DEP_3) | instskip(NEXT) | instid1(VALU_DEP_3)
	v_ashrrev_i32_e32 v6, 31, v5
	v_ashrrev_i32_e32 v18, 31, v17
	s_waitcnt lgkmcnt(0)
	s_add_u32 s8, s8, s24
	s_addc_u32 s9, s9, s25
	s_load_b64 s[26:27], s[0:1], 0x28
	s_load_b64 s[8:9], s[8:9], 0x0
	v_cmp_lt_i64_e64 s2, s[16:17], 1
	s_delay_alu instid0(VALU_DEP_1)
	s_and_b32 vcc_lo, exec_lo, s2
	v_cmp_gt_i32_e64 s2, s3, v17
	s_cbranch_vccnz .LBB1831_9
; %bb.1:
	s_load_b128 s[12:15], s[0:1], 0x38
	s_waitcnt lgkmcnt(0)
	v_mul_lo_u32 v7, s27, v5
	v_mul_lo_u32 v8, s26, v6
	v_mad_u64_u32 v[1:2], null, s26, v5, 0
	v_lshlrev_b32_e32 v12, 4, v20
	v_dual_mov_b32 v0, 0 :: v_dual_lshlrev_b32 v21, 4, v19
	v_lshlrev_b32_e32 v9, 8, v20
	v_cmp_gt_i32_e64 s0, s3, v5
	v_add3_u32 v2, v2, v8, v7
	v_mov_b32_e32 v7, 0
	v_mov_b32_e32 v8, 0
	v_add_nc_u32_e32 v22, 0x1000, v9
	v_add_nc_u32_e32 v23, v21, v9
	v_lshlrev_b64 v[1:2], 4, v[1:2]
	s_delay_alu instid0(VALU_DEP_4)
	v_mov_b32_e32 v14, v8
	v_mov_b32_e32 v16, v8
	s_add_u32 s12, s12, s24
	s_addc_u32 s13, s13, s25
	v_mul_lo_u32 v11, s14, v18
	v_mad_u64_u32 v[3:4], null, s14, v17, 0
	s_add_u32 s14, s22, s24
	v_mul_lo_u32 v10, s15, v17
	s_addc_u32 s15, s23, s25
	s_load_b64 s[12:13], s[12:13], 0x0
	s_load_b64 s[14:15], s[14:15], 0x0
	v_add_co_u32 v1, vcc_lo, v1, v12
	v_add_co_ci_u32_e32 v2, vcc_lo, 0, v2, vcc_lo
	s_delay_alu instid0(VALU_DEP_3) | instskip(SKIP_3) | instid1(VALU_DEP_3)
	v_add3_u32 v4, v4, v11, v10
	v_dual_mov_b32 v13, v7 :: v_dual_add_nc_u32 v24, v22, v21
	v_mov_b32_e32 v15, v7
	s_xor_b32 s1, s2, -1
	v_lshlrev_b64 v[3:4], 4, v[3:4]
	s_delay_alu instid0(VALU_DEP_1) | instskip(NEXT) | instid1(VALU_DEP_2)
	v_add_co_u32 v3, vcc_lo, v3, v21
	v_add_co_ci_u32_e32 v4, vcc_lo, 0, v4, vcc_lo
	s_waitcnt lgkmcnt(0)
	v_add_co_u32 v1, vcc_lo, v1, s14
	v_add_co_ci_u32_e32 v2, vcc_lo, s15, v2, vcc_lo
	v_add_co_u32 v9, vcc_lo, s12, v3
	v_add_co_ci_u32_e32 v10, vcc_lo, s13, v4, vcc_lo
	s_delay_alu instid0(VALU_DEP_4) | instskip(NEXT) | instid1(VALU_DEP_4)
	v_add_co_u32 v11, vcc_lo, v1, 8
	v_add_co_ci_u32_e32 v12, vcc_lo, 0, v2, vcc_lo
	s_mov_b64 s[12:13], 0
	s_branch .LBB1831_3
.LBB1831_2:                             ;   in Loop: Header=BB1831_3 Depth=1
	s_or_b32 exec_lo, exec_lo, s2
	s_waitcnt lgkmcnt(0)
	s_barrier
	buffer_gl0_inv
	ds_load_b128 v[1:4], v21
	ds_load_b128 v[25:28], v22
	ds_load_b128 v[29:32], v22 offset:16
	ds_load_b128 v[33:36], v21 offset:256
	s_add_u32 s12, s12, 16
	s_addc_u32 s13, s13, 0
	v_add_co_u32 v9, vcc_lo, 0x100, v9
	v_cmp_ge_i64_e64 s2, s[12:13], s[16:17]
	v_add_co_ci_u32_e32 v10, vcc_lo, 0, v10, vcc_lo
	v_add_co_u32 v11, vcc_lo, 0x100, v11
	v_add_co_ci_u32_e32 v12, vcc_lo, 0, v12, vcc_lo
	s_delay_alu instid0(VALU_DEP_4)
	s_and_b32 vcc_lo, exec_lo, s2
	s_waitcnt lgkmcnt(2)
	v_mul_f64 v[37:38], v[27:28], v[3:4]
	v_mul_f64 v[3:4], v[25:26], v[3:4]
	s_waitcnt lgkmcnt(0)
	v_mul_f64 v[43:44], v[31:32], v[35:36]
	v_mul_f64 v[45:46], v[29:30], v[35:36]
	s_delay_alu instid0(VALU_DEP_4) | instskip(NEXT) | instid1(VALU_DEP_4)
	v_fma_f64 v[47:48], v[25:26], v[1:2], -v[37:38]
	v_fma_f64 v[49:50], v[27:28], v[1:2], v[3:4]
	ds_load_b128 v[1:4], v21 offset:512
	ds_load_b128 v[25:28], v22 offset:32
	;; [unrolled: 1-line block ×4, first 2 shown]
	v_fma_f64 v[29:30], v[29:30], v[33:34], -v[43:44]
	v_fma_f64 v[31:32], v[31:32], v[33:34], v[45:46]
	s_waitcnt lgkmcnt(2)
	v_mul_f64 v[51:52], v[27:28], v[3:4]
	v_mul_f64 v[3:4], v[25:26], v[3:4]
	s_waitcnt lgkmcnt(0)
	v_mul_f64 v[33:34], v[37:38], v[41:42]
	v_mul_f64 v[41:42], v[35:36], v[41:42]
	v_add_f64 v[15:16], v[15:16], v[47:48]
	v_add_f64 v[13:14], v[13:14], v[49:50]
	v_fma_f64 v[43:44], v[25:26], v[1:2], -v[51:52]
	v_fma_f64 v[45:46], v[27:28], v[1:2], v[3:4]
	v_fma_f64 v[33:34], v[35:36], v[39:40], -v[33:34]
	v_fma_f64 v[35:36], v[37:38], v[39:40], v[41:42]
	v_add_f64 v[47:48], v[15:16], v[29:30]
	v_add_f64 v[49:50], v[13:14], v[31:32]
	ds_load_b128 v[1:4], v21 offset:1024
	ds_load_b128 v[13:16], v22 offset:64
	;; [unrolled: 1-line block ×4, first 2 shown]
	s_waitcnt lgkmcnt(2)
	v_mul_f64 v[51:52], v[15:16], v[3:4]
	v_mul_f64 v[3:4], v[13:14], v[3:4]
	s_waitcnt lgkmcnt(0)
	v_mul_f64 v[41:42], v[27:28], v[31:32]
	v_add_f64 v[37:38], v[47:48], v[43:44]
	v_add_f64 v[39:40], v[49:50], v[45:46]
	v_mul_f64 v[43:44], v[25:26], v[31:32]
	v_fma_f64 v[45:46], v[13:14], v[1:2], -v[51:52]
	v_fma_f64 v[47:48], v[15:16], v[1:2], v[3:4]
	v_fma_f64 v[25:26], v[25:26], v[29:30], -v[41:42]
	v_add_f64 v[49:50], v[37:38], v[33:34]
	v_add_f64 v[39:40], v[39:40], v[35:36]
	ds_load_b128 v[1:4], v21 offset:1536
	ds_load_b128 v[13:16], v22 offset:96
	;; [unrolled: 1-line block ×4, first 2 shown]
	v_fma_f64 v[27:28], v[27:28], v[29:30], v[43:44]
	s_waitcnt lgkmcnt(2)
	v_mul_f64 v[51:52], v[15:16], v[3:4]
	v_mul_f64 v[3:4], v[13:14], v[3:4]
	s_waitcnt lgkmcnt(0)
	v_mul_f64 v[41:42], v[33:34], v[37:38]
	v_mul_f64 v[43:44], v[31:32], v[37:38]
	v_add_f64 v[29:30], v[49:50], v[45:46]
	v_add_f64 v[39:40], v[39:40], v[47:48]
	v_fma_f64 v[45:46], v[13:14], v[1:2], -v[51:52]
	v_fma_f64 v[47:48], v[15:16], v[1:2], v[3:4]
	v_fma_f64 v[31:32], v[31:32], v[35:36], -v[41:42]
	v_fma_f64 v[33:34], v[33:34], v[35:36], v[43:44]
	v_add_f64 v[29:30], v[29:30], v[25:26]
	v_add_f64 v[49:50], v[39:40], v[27:28]
	ds_load_b128 v[1:4], v21 offset:2048
	ds_load_b128 v[13:16], v22 offset:128
	;; [unrolled: 1-line block ×4, first 2 shown]
	s_waitcnt lgkmcnt(2)
	v_mul_f64 v[51:52], v[15:16], v[3:4]
	v_mul_f64 v[3:4], v[13:14], v[3:4]
	s_waitcnt lgkmcnt(0)
	v_mul_f64 v[41:42], v[27:28], v[39:40]
	v_mul_f64 v[39:40], v[25:26], v[39:40]
	v_add_f64 v[29:30], v[29:30], v[45:46]
	v_add_f64 v[35:36], v[49:50], v[47:48]
	v_fma_f64 v[43:44], v[13:14], v[1:2], -v[51:52]
	v_fma_f64 v[45:46], v[15:16], v[1:2], v[3:4]
	v_fma_f64 v[25:26], v[25:26], v[37:38], -v[41:42]
	v_fma_f64 v[27:28], v[27:28], v[37:38], v[39:40]
	v_add_f64 v[47:48], v[29:30], v[31:32]
	v_add_f64 v[49:50], v[35:36], v[33:34]
	ds_load_b128 v[1:4], v21 offset:2560
	ds_load_b128 v[13:16], v22 offset:160
	;; [unrolled: 1-line block ×4, first 2 shown]
	s_waitcnt lgkmcnt(2)
	v_mul_f64 v[51:52], v[15:16], v[3:4]
	v_mul_f64 v[3:4], v[13:14], v[3:4]
	s_waitcnt lgkmcnt(0)
	v_mul_f64 v[41:42], v[31:32], v[35:36]
	v_add_f64 v[37:38], v[47:48], v[43:44]
	v_add_f64 v[39:40], v[49:50], v[45:46]
	v_mul_f64 v[43:44], v[29:30], v[35:36]
	v_fma_f64 v[45:46], v[13:14], v[1:2], -v[51:52]
	v_fma_f64 v[47:48], v[15:16], v[1:2], v[3:4]
	v_fma_f64 v[29:30], v[29:30], v[33:34], -v[41:42]
	v_add_f64 v[49:50], v[37:38], v[25:26]
	v_add_f64 v[39:40], v[39:40], v[27:28]
	ds_load_b128 v[1:4], v21 offset:3072
	ds_load_b128 v[13:16], v22 offset:192
	;; [unrolled: 1-line block ×4, first 2 shown]
	v_fma_f64 v[31:32], v[31:32], v[33:34], v[43:44]
	s_waitcnt lgkmcnt(2)
	v_mul_f64 v[51:52], v[15:16], v[3:4]
	v_mul_f64 v[3:4], v[13:14], v[3:4]
	s_waitcnt lgkmcnt(0)
	v_mul_f64 v[41:42], v[27:28], v[37:38]
	v_mul_f64 v[43:44], v[25:26], v[37:38]
	v_add_f64 v[33:34], v[49:50], v[45:46]
	v_add_f64 v[39:40], v[39:40], v[47:48]
	v_fma_f64 v[45:46], v[13:14], v[1:2], -v[51:52]
	v_fma_f64 v[47:48], v[15:16], v[1:2], v[3:4]
	v_fma_f64 v[25:26], v[25:26], v[35:36], -v[41:42]
	v_fma_f64 v[27:28], v[27:28], v[35:36], v[43:44]
	v_add_f64 v[33:34], v[33:34], v[29:30]
	v_add_f64 v[49:50], v[39:40], v[31:32]
	ds_load_b128 v[1:4], v21 offset:3584
	ds_load_b128 v[13:16], v22 offset:224
	;; [unrolled: 1-line block ×4, first 2 shown]
	s_waitcnt lgkmcnt(0)
	s_barrier
	buffer_gl0_inv
	v_mul_f64 v[51:52], v[15:16], v[3:4]
	v_mul_f64 v[3:4], v[13:14], v[3:4]
	;; [unrolled: 1-line block ×4, first 2 shown]
	v_add_f64 v[33:34], v[33:34], v[45:46]
	v_add_f64 v[35:36], v[49:50], v[47:48]
	v_fma_f64 v[13:14], v[13:14], v[1:2], -v[51:52]
	v_fma_f64 v[1:2], v[15:16], v[1:2], v[3:4]
	s_delay_alu instid0(VALU_DEP_4) | instskip(NEXT) | instid1(VALU_DEP_4)
	v_add_f64 v[3:4], v[33:34], v[25:26]
	v_add_f64 v[15:16], v[35:36], v[27:28]
	v_fma_f64 v[25:26], v[29:30], v[37:38], -v[41:42]
	v_fma_f64 v[27:28], v[31:32], v[37:38], v[39:40]
	s_delay_alu instid0(VALU_DEP_4) | instskip(NEXT) | instid1(VALU_DEP_4)
	v_add_f64 v[3:4], v[3:4], v[13:14]
	v_add_f64 v[1:2], v[15:16], v[1:2]
	s_delay_alu instid0(VALU_DEP_2) | instskip(NEXT) | instid1(VALU_DEP_2)
	v_add_f64 v[15:16], v[3:4], v[25:26]
	v_add_f64 v[13:14], v[1:2], v[27:28]
	s_cbranch_vccnz .LBB1831_9
.LBB1831_3:                             ; =>This Inner Loop Header: Depth=1
	v_add_co_u32 v1, s2, v20, s12
	s_delay_alu instid0(VALU_DEP_1) | instskip(SKIP_1) | instid1(VALU_DEP_2)
	v_add_co_ci_u32_e64 v2, null, 0, s13, s2
	v_dual_mov_b32 v3, v7 :: v_dual_mov_b32 v4, v8
	v_cmp_gt_i64_e32 vcc_lo, s[16:17], v[1:2]
	v_dual_mov_b32 v1, v7 :: v_dual_mov_b32 v2, v8
	s_and_b32 s14, s0, vcc_lo
	s_delay_alu instid0(SALU_CYCLE_1)
	s_and_saveexec_b32 s2, s14
	s_cbranch_execz .LBB1831_5
; %bb.4:                                ;   in Loop: Header=BB1831_3 Depth=1
	global_load_b128 v[1:4], v[11:12], off offset:-8
	s_waitcnt vmcnt(0)
	v_xor_b32_e32 v4, 0x80000000, v4
.LBB1831_5:                             ;   in Loop: Header=BB1831_3 Depth=1
	s_or_b32 exec_lo, exec_lo, s2
	v_add_co_u32 v25, s2, v19, s12
	s_delay_alu instid0(VALU_DEP_1) | instskip(SKIP_3) | instid1(SALU_CYCLE_1)
	v_add_co_ci_u32_e64 v26, null, 0, s13, s2
	ds_store_b128 v23, v[1:4]
	v_cmp_le_i64_e32 vcc_lo, s[16:17], v[25:26]
	s_or_b32 s2, s1, vcc_lo
	s_and_saveexec_b32 s14, s2
	s_delay_alu instid0(SALU_CYCLE_1)
	s_xor_b32 s2, exec_lo, s14
	s_cbranch_execz .LBB1831_7
; %bb.6:                                ;   in Loop: Header=BB1831_3 Depth=1
	v_mov_b32_e32 v1, v0
	v_mov_b32_e32 v2, v0
	;; [unrolled: 1-line block ×3, first 2 shown]
	ds_store_b128 v24, v[0:3]
.LBB1831_7:                             ;   in Loop: Header=BB1831_3 Depth=1
	s_and_not1_saveexec_b32 s2, s2
	s_cbranch_execz .LBB1831_2
; %bb.8:                                ;   in Loop: Header=BB1831_3 Depth=1
	global_load_b128 v[1:4], v[9:10], off
	s_waitcnt vmcnt(0)
	ds_store_2addr_b64 v24, v[1:2], v[3:4] offset1:1
	s_branch .LBB1831_2
.LBB1831_9:
	v_cmp_le_i32_e32 vcc_lo, v5, v17
	v_cmp_gt_i32_e64 s0, s3, v17
	s_delay_alu instid0(VALU_DEP_1) | instskip(NEXT) | instid1(SALU_CYCLE_1)
	s_and_b32 s0, vcc_lo, s0
	s_and_saveexec_b32 s1, s0
	s_cbranch_execz .LBB1831_11
; %bb.10:
	v_mul_lo_u32 v2, v17, s11
	v_mul_lo_u32 v3, v18, s10
	v_mad_u64_u32 v[0:1], null, v17, s10, 0
	v_mul_f64 v[8:9], s[18:19], v[13:14]
	v_mul_f64 v[12:13], s[20:21], v[13:14]
	s_delay_alu instid0(VALU_DEP_3) | instskip(SKIP_1) | instid1(VALU_DEP_2)
	v_add3_u32 v1, v1, v2, v3
	v_lshlrev_b64 v[2:3], 4, v[5:6]
	v_lshlrev_b64 v[0:1], 4, v[0:1]
	s_waitcnt lgkmcnt(0)
	s_delay_alu instid0(VALU_DEP_1) | instskip(NEXT) | instid1(VALU_DEP_2)
	v_add_co_u32 v0, vcc_lo, s8, v0
	v_add_co_ci_u32_e32 v1, vcc_lo, s9, v1, vcc_lo
	s_delay_alu instid0(VALU_DEP_2) | instskip(NEXT) | instid1(VALU_DEP_2)
	v_add_co_u32 v6, vcc_lo, v0, v2
	v_add_co_ci_u32_e32 v7, vcc_lo, v1, v3, vcc_lo
	v_cmp_ne_u32_e32 vcc_lo, v5, v17
	global_load_b128 v[0:3], v[6:7], off
	v_fma_f64 v[8:9], s[20:21], v[15:16], v[8:9]
	v_fma_f64 v[12:13], s[18:19], v[15:16], -v[12:13]
	s_waitcnt vmcnt(0)
	v_mul_f64 v[10:11], s[4:5], v[2:3]
	v_mul_f64 v[2:3], s[6:7], v[2:3]
	s_delay_alu instid0(VALU_DEP_2) | instskip(NEXT) | instid1(VALU_DEP_2)
	v_fma_f64 v[10:11], s[6:7], v[0:1], v[10:11]
	v_fma_f64 v[0:1], s[4:5], v[0:1], -v[2:3]
	s_delay_alu instid0(VALU_DEP_2) | instskip(NEXT) | instid1(VALU_DEP_2)
	v_add_f64 v[2:3], v[8:9], v[10:11]
	v_add_f64 v[0:1], v[12:13], v[0:1]
	s_delay_alu instid0(VALU_DEP_2)
	v_dual_cndmask_b32 v3, 0, v3 :: v_dual_cndmask_b32 v2, 0, v2
	global_store_b128 v[6:7], v[0:3], off
.LBB1831_11:
	s_nop 0
	s_sendmsg sendmsg(MSG_DEALLOC_VGPRS)
	s_endpgm
	.section	.rodata,"a",@progbits
	.p2align	6, 0x0
	.amdhsa_kernel _ZL32rocblas_syrkx_herkx_small_kernelIl19rocblas_complex_numIdELi16ELb0ELb1ELc67ELc85EKPKS1_KPS1_EviT_T0_PT6_S7_lSA_S7_lS8_PT7_S7_li
		.amdhsa_group_segment_fixed_size 8192
		.amdhsa_private_segment_fixed_size 0
		.amdhsa_kernarg_size 124
		.amdhsa_user_sgpr_count 13
		.amdhsa_user_sgpr_dispatch_ptr 0
		.amdhsa_user_sgpr_queue_ptr 0
		.amdhsa_user_sgpr_kernarg_segment_ptr 1
		.amdhsa_user_sgpr_dispatch_id 0
		.amdhsa_user_sgpr_private_segment_size 0
		.amdhsa_wavefront_size32 1
		.amdhsa_uses_dynamic_stack 0
		.amdhsa_enable_private_segment 0
		.amdhsa_system_sgpr_workgroup_id_x 1
		.amdhsa_system_sgpr_workgroup_id_y 1
		.amdhsa_system_sgpr_workgroup_id_z 1
		.amdhsa_system_sgpr_workgroup_info 0
		.amdhsa_system_vgpr_workitem_id 1
		.amdhsa_next_free_vgpr 53
		.amdhsa_next_free_sgpr 28
		.amdhsa_reserve_vcc 1
		.amdhsa_float_round_mode_32 0
		.amdhsa_float_round_mode_16_64 0
		.amdhsa_float_denorm_mode_32 3
		.amdhsa_float_denorm_mode_16_64 3
		.amdhsa_dx10_clamp 1
		.amdhsa_ieee_mode 1
		.amdhsa_fp16_overflow 0
		.amdhsa_workgroup_processor_mode 1
		.amdhsa_memory_ordered 1
		.amdhsa_forward_progress 0
		.amdhsa_shared_vgpr_count 0
		.amdhsa_exception_fp_ieee_invalid_op 0
		.amdhsa_exception_fp_denorm_src 0
		.amdhsa_exception_fp_ieee_div_zero 0
		.amdhsa_exception_fp_ieee_overflow 0
		.amdhsa_exception_fp_ieee_underflow 0
		.amdhsa_exception_fp_ieee_inexact 0
		.amdhsa_exception_int_div_zero 0
	.end_amdhsa_kernel
	.section	.text._ZL32rocblas_syrkx_herkx_small_kernelIl19rocblas_complex_numIdELi16ELb0ELb1ELc67ELc85EKPKS1_KPS1_EviT_T0_PT6_S7_lSA_S7_lS8_PT7_S7_li,"axG",@progbits,_ZL32rocblas_syrkx_herkx_small_kernelIl19rocblas_complex_numIdELi16ELb0ELb1ELc67ELc85EKPKS1_KPS1_EviT_T0_PT6_S7_lSA_S7_lS8_PT7_S7_li,comdat
.Lfunc_end1831:
	.size	_ZL32rocblas_syrkx_herkx_small_kernelIl19rocblas_complex_numIdELi16ELb0ELb1ELc67ELc85EKPKS1_KPS1_EviT_T0_PT6_S7_lSA_S7_lS8_PT7_S7_li, .Lfunc_end1831-_ZL32rocblas_syrkx_herkx_small_kernelIl19rocblas_complex_numIdELi16ELb0ELb1ELc67ELc85EKPKS1_KPS1_EviT_T0_PT6_S7_lSA_S7_lS8_PT7_S7_li
                                        ; -- End function
	.section	.AMDGPU.csdata,"",@progbits
; Kernel info:
; codeLenInByte = 2068
; NumSgprs: 30
; NumVgprs: 53
; ScratchSize: 0
; MemoryBound: 1
; FloatMode: 240
; IeeeMode: 1
; LDSByteSize: 8192 bytes/workgroup (compile time only)
; SGPRBlocks: 3
; VGPRBlocks: 6
; NumSGPRsForWavesPerEU: 30
; NumVGPRsForWavesPerEU: 53
; Occupancy: 16
; WaveLimiterHint : 1
; COMPUTE_PGM_RSRC2:SCRATCH_EN: 0
; COMPUTE_PGM_RSRC2:USER_SGPR: 13
; COMPUTE_PGM_RSRC2:TRAP_HANDLER: 0
; COMPUTE_PGM_RSRC2:TGID_X_EN: 1
; COMPUTE_PGM_RSRC2:TGID_Y_EN: 1
; COMPUTE_PGM_RSRC2:TGID_Z_EN: 1
; COMPUTE_PGM_RSRC2:TIDIG_COMP_CNT: 1
	.section	.text._ZL32rocblas_syrkx_herkx_small_kernelIl19rocblas_complex_numIdELi16ELb0ELb1ELc78ELc85EKPKS1_KPS1_EviT_T0_PT6_S7_lSA_S7_lS8_PT7_S7_li,"axG",@progbits,_ZL32rocblas_syrkx_herkx_small_kernelIl19rocblas_complex_numIdELi16ELb0ELb1ELc78ELc85EKPKS1_KPS1_EviT_T0_PT6_S7_lSA_S7_lS8_PT7_S7_li,comdat
	.globl	_ZL32rocblas_syrkx_herkx_small_kernelIl19rocblas_complex_numIdELi16ELb0ELb1ELc78ELc85EKPKS1_KPS1_EviT_T0_PT6_S7_lSA_S7_lS8_PT7_S7_li ; -- Begin function _ZL32rocblas_syrkx_herkx_small_kernelIl19rocblas_complex_numIdELi16ELb0ELb1ELc78ELc85EKPKS1_KPS1_EviT_T0_PT6_S7_lSA_S7_lS8_PT7_S7_li
	.p2align	8
	.type	_ZL32rocblas_syrkx_herkx_small_kernelIl19rocblas_complex_numIdELi16ELb0ELb1ELc78ELc85EKPKS1_KPS1_EviT_T0_PT6_S7_lSA_S7_lS8_PT7_S7_li,@function
_ZL32rocblas_syrkx_herkx_small_kernelIl19rocblas_complex_numIdELi16ELb0ELb1ELc78ELc85EKPKS1_KPS1_EviT_T0_PT6_S7_lSA_S7_lS8_PT7_S7_li: ; @_ZL32rocblas_syrkx_herkx_small_kernelIl19rocblas_complex_numIdELi16ELb0ELb1ELc78ELc85EKPKS1_KPS1_EviT_T0_PT6_S7_lSA_S7_lS8_PT7_S7_li
; %bb.0:
	s_clause 0x2
	s_load_b256 s[4:11], s[0:1], 0x50
	s_load_b256 s[16:23], s[0:1], 0x8
	s_load_b32 s3, s[0:1], 0x0
	s_mov_b32 s24, s15
	s_mov_b32 s25, 0
	v_and_b32_e32 v17, 0x3ff, v0
	s_lshl_b64 s[26:27], s[24:25], 3
	v_bfe_u32 v18, v0, 10, 10
	v_mov_b32_e32 v13, 0
	v_mov_b32_e32 v14, 0
	v_lshl_add_u32 v5, s13, 4, v17
	s_delay_alu instid0(VALU_DEP_4) | instskip(NEXT) | instid1(VALU_DEP_3)
	v_lshl_add_u32 v7, s14, 4, v18
	v_dual_mov_b32 v16, v14 :: v_dual_mov_b32 v15, v13
	s_delay_alu instid0(VALU_DEP_3) | instskip(NEXT) | instid1(VALU_DEP_3)
	v_ashrrev_i32_e32 v6, 31, v5
	v_ashrrev_i32_e32 v8, 31, v7
	s_waitcnt lgkmcnt(0)
	s_add_u32 s8, s8, s26
	s_addc_u32 s9, s9, s27
	s_load_b64 s[24:25], s[0:1], 0x28
	s_load_b64 s[8:9], s[8:9], 0x0
	v_cmp_lt_i64_e64 s2, s[16:17], 1
	s_delay_alu instid0(VALU_DEP_1)
	s_and_b32 vcc_lo, exec_lo, s2
	v_cmp_gt_i32_e64 s2, s3, v7
	s_cbranch_vccnz .LBB1832_9
; %bb.1:
	s_load_b128 s[12:15], s[0:1], 0x38
	s_waitcnt lgkmcnt(0)
	v_mad_u64_u32 v[3:4], null, s24, v18, 0
	v_dual_mov_b32 v0, 0 :: v_dual_lshlrev_b32 v23, 8, v18
	v_lshlrev_b32_e32 v19, 4, v17
	v_lshlrev_b64 v[9:10], 4, v[7:8]
	v_lshlrev_b64 v[11:12], 4, v[5:6]
	v_cmp_gt_i32_e32 vcc_lo, s3, v5
	v_mad_u64_u32 v[21:22], null, s25, v18, v[4:5]
	v_mad_u64_u32 v[1:2], null, s14, v17, 0
	s_add_u32 s0, s12, s26
	s_addc_u32 s1, s13, s27
	s_add_u32 s12, s22, s26
	s_load_b64 s[28:29], s[0:1], 0x0
	s_addc_u32 s13, s23, s27
	s_load_b64 s[22:23], s[12:13], 0x0
	s_delay_alu instid0(VALU_DEP_1)
	v_mad_u64_u32 v[15:16], null, s15, v17, v[2:3]
	v_mov_b32_e32 v13, 0
	v_mov_b32_e32 v14, 0
	v_dual_mov_b32 v4, v21 :: v_dual_add_nc_u32 v21, v19, v23
	v_add_nc_u32_e32 v20, 0x1000, v23
	s_lshl_b64 s[12:13], s[14:15], 8
	v_mov_b32_e32 v2, v15
	s_delay_alu instid0(VALU_DEP_3) | instskip(SKIP_2) | instid1(VALU_DEP_4)
	v_lshlrev_b64 v[3:4], 4, v[3:4]
	v_dual_mov_b32 v16, v14 :: v_dual_mov_b32 v15, v13
	v_add_nc_u32_e32 v22, v20, v19
	v_lshlrev_b64 v[1:2], 4, v[1:2]
	s_mov_b64 s[14:15], 0
	s_delay_alu instid0(VALU_DEP_1) | instskip(NEXT) | instid1(VALU_DEP_1)
	v_add_co_u32 v1, s0, v1, v9
	v_add_co_ci_u32_e64 v2, s0, v2, v10, s0
	v_add_co_u32 v3, s0, v3, v11
	s_delay_alu instid0(VALU_DEP_1) | instskip(SKIP_2) | instid1(VALU_DEP_1)
	v_add_co_ci_u32_e64 v4, s0, v4, v12, s0
	s_waitcnt lgkmcnt(0)
	v_add_co_u32 v1, s0, v1, s28
	v_add_co_ci_u32_e64 v2, s0, s29, v2, s0
	v_add_co_u32 v9, s0, s22, v3
	s_delay_alu instid0(VALU_DEP_1) | instskip(NEXT) | instid1(VALU_DEP_4)
	v_add_co_ci_u32_e64 v10, s0, s23, v4, s0
	v_add_co_u32 v11, s0, v1, 8
	s_delay_alu instid0(VALU_DEP_1)
	v_add_co_ci_u32_e64 v12, s0, 0, v2, s0
	s_lshl_b64 s[0:1], s[24:25], 8
	s_xor_b32 s22, vcc_lo, -1
	s_branch .LBB1832_3
.LBB1832_2:                             ;   in Loop: Header=BB1832_3 Depth=1
	s_or_b32 exec_lo, exec_lo, s23
	ds_store_b128 v22, v[1:4]
	s_waitcnt lgkmcnt(0)
	s_barrier
	buffer_gl0_inv
	ds_load_b128 v[1:4], v19
	ds_load_b128 v[23:26], v20
	ds_load_b128 v[27:30], v20 offset:16
	ds_load_b128 v[31:34], v19 offset:256
	s_add_u32 s14, s14, 16
	s_addc_u32 s15, s15, 0
	v_add_co_u32 v11, vcc_lo, v11, s12
	v_cmp_ge_i64_e64 s23, s[14:15], s[16:17]
	v_add_co_ci_u32_e32 v12, vcc_lo, s13, v12, vcc_lo
	v_add_co_u32 v9, vcc_lo, v9, s0
	v_add_co_ci_u32_e32 v10, vcc_lo, s1, v10, vcc_lo
	s_delay_alu instid0(VALU_DEP_4)
	s_and_b32 vcc_lo, exec_lo, s23
	s_waitcnt lgkmcnt(2)
	v_mul_f64 v[35:36], v[25:26], v[3:4]
	v_mul_f64 v[3:4], v[23:24], v[3:4]
	s_waitcnt lgkmcnt(0)
	v_mul_f64 v[41:42], v[29:30], v[33:34]
	v_mul_f64 v[43:44], v[27:28], v[33:34]
	s_delay_alu instid0(VALU_DEP_4) | instskip(NEXT) | instid1(VALU_DEP_4)
	v_fma_f64 v[45:46], v[23:24], v[1:2], -v[35:36]
	v_fma_f64 v[47:48], v[25:26], v[1:2], v[3:4]
	ds_load_b128 v[1:4], v19 offset:512
	ds_load_b128 v[23:26], v20 offset:32
	;; [unrolled: 1-line block ×4, first 2 shown]
	v_fma_f64 v[27:28], v[27:28], v[31:32], -v[41:42]
	v_fma_f64 v[29:30], v[29:30], v[31:32], v[43:44]
	s_waitcnt lgkmcnt(2)
	v_mul_f64 v[49:50], v[25:26], v[3:4]
	v_mul_f64 v[3:4], v[23:24], v[3:4]
	s_waitcnt lgkmcnt(0)
	v_mul_f64 v[31:32], v[35:36], v[39:40]
	v_mul_f64 v[39:40], v[33:34], v[39:40]
	v_add_f64 v[15:16], v[15:16], v[45:46]
	v_add_f64 v[13:14], v[13:14], v[47:48]
	v_fma_f64 v[41:42], v[23:24], v[1:2], -v[49:50]
	v_fma_f64 v[43:44], v[25:26], v[1:2], v[3:4]
	v_fma_f64 v[31:32], v[33:34], v[37:38], -v[31:32]
	v_fma_f64 v[33:34], v[35:36], v[37:38], v[39:40]
	v_add_f64 v[45:46], v[15:16], v[27:28]
	v_add_f64 v[47:48], v[13:14], v[29:30]
	ds_load_b128 v[1:4], v19 offset:1024
	ds_load_b128 v[13:16], v20 offset:64
	;; [unrolled: 1-line block ×4, first 2 shown]
	s_waitcnt lgkmcnt(2)
	v_mul_f64 v[49:50], v[15:16], v[3:4]
	v_mul_f64 v[3:4], v[13:14], v[3:4]
	s_waitcnt lgkmcnt(0)
	v_mul_f64 v[39:40], v[25:26], v[29:30]
	v_add_f64 v[35:36], v[45:46], v[41:42]
	v_add_f64 v[37:38], v[47:48], v[43:44]
	v_mul_f64 v[41:42], v[23:24], v[29:30]
	v_fma_f64 v[43:44], v[13:14], v[1:2], -v[49:50]
	v_fma_f64 v[45:46], v[15:16], v[1:2], v[3:4]
	v_fma_f64 v[23:24], v[23:24], v[27:28], -v[39:40]
	v_add_f64 v[47:48], v[35:36], v[31:32]
	v_add_f64 v[37:38], v[37:38], v[33:34]
	ds_load_b128 v[1:4], v19 offset:1536
	ds_load_b128 v[13:16], v20 offset:96
	;; [unrolled: 1-line block ×4, first 2 shown]
	v_fma_f64 v[25:26], v[25:26], v[27:28], v[41:42]
	s_waitcnt lgkmcnt(2)
	v_mul_f64 v[49:50], v[15:16], v[3:4]
	v_mul_f64 v[3:4], v[13:14], v[3:4]
	s_waitcnt lgkmcnt(0)
	v_mul_f64 v[39:40], v[31:32], v[35:36]
	v_mul_f64 v[41:42], v[29:30], v[35:36]
	v_add_f64 v[27:28], v[47:48], v[43:44]
	v_add_f64 v[37:38], v[37:38], v[45:46]
	v_fma_f64 v[43:44], v[13:14], v[1:2], -v[49:50]
	v_fma_f64 v[45:46], v[15:16], v[1:2], v[3:4]
	v_fma_f64 v[29:30], v[29:30], v[33:34], -v[39:40]
	v_fma_f64 v[31:32], v[31:32], v[33:34], v[41:42]
	v_add_f64 v[27:28], v[27:28], v[23:24]
	v_add_f64 v[47:48], v[37:38], v[25:26]
	ds_load_b128 v[1:4], v19 offset:2048
	ds_load_b128 v[13:16], v20 offset:128
	;; [unrolled: 1-line block ×4, first 2 shown]
	s_waitcnt lgkmcnt(2)
	v_mul_f64 v[49:50], v[15:16], v[3:4]
	v_mul_f64 v[3:4], v[13:14], v[3:4]
	s_waitcnt lgkmcnt(0)
	v_mul_f64 v[39:40], v[25:26], v[37:38]
	v_mul_f64 v[37:38], v[23:24], v[37:38]
	v_add_f64 v[27:28], v[27:28], v[43:44]
	v_add_f64 v[33:34], v[47:48], v[45:46]
	v_fma_f64 v[41:42], v[13:14], v[1:2], -v[49:50]
	v_fma_f64 v[43:44], v[15:16], v[1:2], v[3:4]
	v_fma_f64 v[23:24], v[23:24], v[35:36], -v[39:40]
	v_fma_f64 v[25:26], v[25:26], v[35:36], v[37:38]
	v_add_f64 v[45:46], v[27:28], v[29:30]
	v_add_f64 v[47:48], v[33:34], v[31:32]
	ds_load_b128 v[1:4], v19 offset:2560
	ds_load_b128 v[13:16], v20 offset:160
	;; [unrolled: 1-line block ×4, first 2 shown]
	s_waitcnt lgkmcnt(2)
	v_mul_f64 v[49:50], v[15:16], v[3:4]
	v_mul_f64 v[3:4], v[13:14], v[3:4]
	s_waitcnt lgkmcnt(0)
	v_mul_f64 v[39:40], v[29:30], v[33:34]
	v_add_f64 v[35:36], v[45:46], v[41:42]
	v_add_f64 v[37:38], v[47:48], v[43:44]
	v_mul_f64 v[41:42], v[27:28], v[33:34]
	v_fma_f64 v[43:44], v[13:14], v[1:2], -v[49:50]
	v_fma_f64 v[45:46], v[15:16], v[1:2], v[3:4]
	v_fma_f64 v[27:28], v[27:28], v[31:32], -v[39:40]
	v_add_f64 v[47:48], v[35:36], v[23:24]
	v_add_f64 v[37:38], v[37:38], v[25:26]
	ds_load_b128 v[1:4], v19 offset:3072
	ds_load_b128 v[13:16], v20 offset:192
	;; [unrolled: 1-line block ×4, first 2 shown]
	v_fma_f64 v[29:30], v[29:30], v[31:32], v[41:42]
	s_waitcnt lgkmcnt(2)
	v_mul_f64 v[49:50], v[15:16], v[3:4]
	v_mul_f64 v[3:4], v[13:14], v[3:4]
	s_waitcnt lgkmcnt(0)
	v_mul_f64 v[39:40], v[25:26], v[35:36]
	v_mul_f64 v[41:42], v[23:24], v[35:36]
	v_add_f64 v[31:32], v[47:48], v[43:44]
	v_add_f64 v[37:38], v[37:38], v[45:46]
	v_fma_f64 v[43:44], v[13:14], v[1:2], -v[49:50]
	v_fma_f64 v[45:46], v[15:16], v[1:2], v[3:4]
	v_fma_f64 v[23:24], v[23:24], v[33:34], -v[39:40]
	v_fma_f64 v[25:26], v[25:26], v[33:34], v[41:42]
	v_add_f64 v[31:32], v[31:32], v[27:28]
	v_add_f64 v[47:48], v[37:38], v[29:30]
	ds_load_b128 v[1:4], v19 offset:3584
	ds_load_b128 v[13:16], v20 offset:224
	;; [unrolled: 1-line block ×4, first 2 shown]
	s_waitcnt lgkmcnt(0)
	s_barrier
	buffer_gl0_inv
	v_mul_f64 v[49:50], v[15:16], v[3:4]
	v_mul_f64 v[3:4], v[13:14], v[3:4]
	v_mul_f64 v[39:40], v[29:30], v[37:38]
	v_mul_f64 v[37:38], v[27:28], v[37:38]
	v_add_f64 v[31:32], v[31:32], v[43:44]
	v_add_f64 v[33:34], v[47:48], v[45:46]
	v_fma_f64 v[13:14], v[13:14], v[1:2], -v[49:50]
	v_fma_f64 v[1:2], v[15:16], v[1:2], v[3:4]
	s_delay_alu instid0(VALU_DEP_4) | instskip(NEXT) | instid1(VALU_DEP_4)
	v_add_f64 v[3:4], v[31:32], v[23:24]
	v_add_f64 v[15:16], v[33:34], v[25:26]
	v_fma_f64 v[23:24], v[27:28], v[35:36], -v[39:40]
	v_fma_f64 v[25:26], v[29:30], v[35:36], v[37:38]
	s_delay_alu instid0(VALU_DEP_4) | instskip(NEXT) | instid1(VALU_DEP_4)
	v_add_f64 v[3:4], v[3:4], v[13:14]
	v_add_f64 v[1:2], v[15:16], v[1:2]
	s_delay_alu instid0(VALU_DEP_2) | instskip(NEXT) | instid1(VALU_DEP_2)
	v_add_f64 v[15:16], v[3:4], v[23:24]
	v_add_f64 v[13:14], v[1:2], v[25:26]
	s_cbranch_vccnz .LBB1832_9
.LBB1832_3:                             ; =>This Inner Loop Header: Depth=1
	v_add_co_u32 v1, s23, v18, s14
	s_delay_alu instid0(VALU_DEP_1) | instskip(NEXT) | instid1(VALU_DEP_1)
	v_add_co_ci_u32_e64 v2, null, 0, s15, s23
	v_cmp_le_i64_e32 vcc_lo, s[16:17], v[1:2]
	s_or_b32 s23, s22, vcc_lo
	s_delay_alu instid0(SALU_CYCLE_1) | instskip(NEXT) | instid1(SALU_CYCLE_1)
	s_and_saveexec_b32 s24, s23
	s_xor_b32 s23, exec_lo, s24
	s_cbranch_execz .LBB1832_5
; %bb.4:                                ;   in Loop: Header=BB1832_3 Depth=1
	v_mov_b32_e32 v1, v0
	v_mov_b32_e32 v2, v0
	;; [unrolled: 1-line block ×3, first 2 shown]
	ds_store_b128 v21, v[0:3]
.LBB1832_5:                             ;   in Loop: Header=BB1832_3 Depth=1
	s_and_not1_saveexec_b32 s23, s23
	s_cbranch_execz .LBB1832_7
; %bb.6:                                ;   in Loop: Header=BB1832_3 Depth=1
	global_load_b128 v[1:4], v[9:10], off
	s_waitcnt vmcnt(0)
	ds_store_2addr_b64 v21, v[1:2], v[3:4] offset1:1
.LBB1832_7:                             ;   in Loop: Header=BB1832_3 Depth=1
	s_or_b32 exec_lo, exec_lo, s23
	v_add_co_u32 v3, s23, v17, s14
	s_delay_alu instid0(VALU_DEP_1) | instskip(SKIP_2) | instid1(VALU_DEP_3)
	v_add_co_ci_u32_e64 v4, null, 0, s15, s23
	v_mov_b32_e32 v1, 0
	v_mov_b32_e32 v2, 0
	v_cmp_gt_i64_e32 vcc_lo, s[16:17], v[3:4]
	s_delay_alu instid0(VALU_DEP_2) | instskip(SKIP_1) | instid1(SALU_CYCLE_1)
	v_dual_mov_b32 v4, v2 :: v_dual_mov_b32 v3, v1
	s_and_b32 s24, s2, vcc_lo
	s_and_saveexec_b32 s23, s24
	s_cbranch_execz .LBB1832_2
; %bb.8:                                ;   in Loop: Header=BB1832_3 Depth=1
	global_load_b128 v[1:4], v[11:12], off offset:-8
	s_waitcnt vmcnt(0)
	v_xor_b32_e32 v4, 0x80000000, v4
	s_branch .LBB1832_2
.LBB1832_9:
	v_cmp_le_i32_e32 vcc_lo, v5, v7
	v_cmp_gt_i32_e64 s0, s3, v7
	s_delay_alu instid0(VALU_DEP_1) | instskip(NEXT) | instid1(SALU_CYCLE_1)
	s_and_b32 s0, vcc_lo, s0
	s_and_saveexec_b32 s1, s0
	s_cbranch_execz .LBB1832_11
; %bb.10:
	v_mul_lo_u32 v2, v7, s11
	v_mul_lo_u32 v3, v8, s10
	v_mad_u64_u32 v[0:1], null, v7, s10, 0
	v_mul_f64 v[10:11], s[18:19], v[13:14]
	v_mul_f64 v[12:13], s[20:21], v[13:14]
	s_delay_alu instid0(VALU_DEP_3) | instskip(SKIP_1) | instid1(VALU_DEP_2)
	v_add3_u32 v1, v1, v2, v3
	v_lshlrev_b64 v[2:3], 4, v[5:6]
	v_lshlrev_b64 v[0:1], 4, v[0:1]
	s_waitcnt lgkmcnt(0)
	s_delay_alu instid0(VALU_DEP_1) | instskip(NEXT) | instid1(VALU_DEP_2)
	v_add_co_u32 v0, vcc_lo, s8, v0
	v_add_co_ci_u32_e32 v1, vcc_lo, s9, v1, vcc_lo
	s_delay_alu instid0(VALU_DEP_2) | instskip(NEXT) | instid1(VALU_DEP_2)
	v_add_co_u32 v8, vcc_lo, v0, v2
	v_add_co_ci_u32_e32 v9, vcc_lo, v1, v3, vcc_lo
	v_cmp_ne_u32_e32 vcc_lo, v5, v7
	global_load_b128 v[0:3], v[8:9], off
	v_fma_f64 v[10:11], s[20:21], v[15:16], v[10:11]
	v_fma_f64 v[12:13], s[18:19], v[15:16], -v[12:13]
	s_waitcnt vmcnt(0)
	v_mul_f64 v[17:18], s[4:5], v[2:3]
	v_mul_f64 v[2:3], s[6:7], v[2:3]
	s_delay_alu instid0(VALU_DEP_2) | instskip(NEXT) | instid1(VALU_DEP_2)
	v_fma_f64 v[17:18], s[6:7], v[0:1], v[17:18]
	v_fma_f64 v[0:1], s[4:5], v[0:1], -v[2:3]
	s_delay_alu instid0(VALU_DEP_2) | instskip(NEXT) | instid1(VALU_DEP_2)
	v_add_f64 v[2:3], v[10:11], v[17:18]
	v_add_f64 v[0:1], v[12:13], v[0:1]
	s_delay_alu instid0(VALU_DEP_2)
	v_dual_cndmask_b32 v3, 0, v3 :: v_dual_cndmask_b32 v2, 0, v2
	global_store_b128 v[8:9], v[0:3], off
.LBB1832_11:
	s_nop 0
	s_sendmsg sendmsg(MSG_DEALLOC_VGPRS)
	s_endpgm
	.section	.rodata,"a",@progbits
	.p2align	6, 0x0
	.amdhsa_kernel _ZL32rocblas_syrkx_herkx_small_kernelIl19rocblas_complex_numIdELi16ELb0ELb1ELc78ELc85EKPKS1_KPS1_EviT_T0_PT6_S7_lSA_S7_lS8_PT7_S7_li
		.amdhsa_group_segment_fixed_size 8192
		.amdhsa_private_segment_fixed_size 0
		.amdhsa_kernarg_size 124
		.amdhsa_user_sgpr_count 13
		.amdhsa_user_sgpr_dispatch_ptr 0
		.amdhsa_user_sgpr_queue_ptr 0
		.amdhsa_user_sgpr_kernarg_segment_ptr 1
		.amdhsa_user_sgpr_dispatch_id 0
		.amdhsa_user_sgpr_private_segment_size 0
		.amdhsa_wavefront_size32 1
		.amdhsa_uses_dynamic_stack 0
		.amdhsa_enable_private_segment 0
		.amdhsa_system_sgpr_workgroup_id_x 1
		.amdhsa_system_sgpr_workgroup_id_y 1
		.amdhsa_system_sgpr_workgroup_id_z 1
		.amdhsa_system_sgpr_workgroup_info 0
		.amdhsa_system_vgpr_workitem_id 1
		.amdhsa_next_free_vgpr 51
		.amdhsa_next_free_sgpr 30
		.amdhsa_reserve_vcc 1
		.amdhsa_float_round_mode_32 0
		.amdhsa_float_round_mode_16_64 0
		.amdhsa_float_denorm_mode_32 3
		.amdhsa_float_denorm_mode_16_64 3
		.amdhsa_dx10_clamp 1
		.amdhsa_ieee_mode 1
		.amdhsa_fp16_overflow 0
		.amdhsa_workgroup_processor_mode 1
		.amdhsa_memory_ordered 1
		.amdhsa_forward_progress 0
		.amdhsa_shared_vgpr_count 0
		.amdhsa_exception_fp_ieee_invalid_op 0
		.amdhsa_exception_fp_denorm_src 0
		.amdhsa_exception_fp_ieee_div_zero 0
		.amdhsa_exception_fp_ieee_overflow 0
		.amdhsa_exception_fp_ieee_underflow 0
		.amdhsa_exception_fp_ieee_inexact 0
		.amdhsa_exception_int_div_zero 0
	.end_amdhsa_kernel
	.section	.text._ZL32rocblas_syrkx_herkx_small_kernelIl19rocblas_complex_numIdELi16ELb0ELb1ELc78ELc85EKPKS1_KPS1_EviT_T0_PT6_S7_lSA_S7_lS8_PT7_S7_li,"axG",@progbits,_ZL32rocblas_syrkx_herkx_small_kernelIl19rocblas_complex_numIdELi16ELb0ELb1ELc78ELc85EKPKS1_KPS1_EviT_T0_PT6_S7_lSA_S7_lS8_PT7_S7_li,comdat
.Lfunc_end1832:
	.size	_ZL32rocblas_syrkx_herkx_small_kernelIl19rocblas_complex_numIdELi16ELb0ELb1ELc78ELc85EKPKS1_KPS1_EviT_T0_PT6_S7_lSA_S7_lS8_PT7_S7_li, .Lfunc_end1832-_ZL32rocblas_syrkx_herkx_small_kernelIl19rocblas_complex_numIdELi16ELb0ELb1ELc78ELc85EKPKS1_KPS1_EviT_T0_PT6_S7_lSA_S7_lS8_PT7_S7_li
                                        ; -- End function
	.section	.AMDGPU.csdata,"",@progbits
; Kernel info:
; codeLenInByte = 2072
; NumSgprs: 32
; NumVgprs: 51
; ScratchSize: 0
; MemoryBound: 1
; FloatMode: 240
; IeeeMode: 1
; LDSByteSize: 8192 bytes/workgroup (compile time only)
; SGPRBlocks: 3
; VGPRBlocks: 6
; NumSGPRsForWavesPerEU: 32
; NumVGPRsForWavesPerEU: 51
; Occupancy: 16
; WaveLimiterHint : 1
; COMPUTE_PGM_RSRC2:SCRATCH_EN: 0
; COMPUTE_PGM_RSRC2:USER_SGPR: 13
; COMPUTE_PGM_RSRC2:TRAP_HANDLER: 0
; COMPUTE_PGM_RSRC2:TGID_X_EN: 1
; COMPUTE_PGM_RSRC2:TGID_Y_EN: 1
; COMPUTE_PGM_RSRC2:TGID_Z_EN: 1
; COMPUTE_PGM_RSRC2:TIDIG_COMP_CNT: 1
	.section	.text._ZL34rocblas_syrkx_herkx_general_kernelIl19rocblas_complex_numIdELi16ELi32ELi8ELb1ELb1ELc84ELc76EKPKS1_KPS1_EviT_T0_PT8_S7_lSA_S7_lS8_PT9_S7_li,"axG",@progbits,_ZL34rocblas_syrkx_herkx_general_kernelIl19rocblas_complex_numIdELi16ELi32ELi8ELb1ELb1ELc84ELc76EKPKS1_KPS1_EviT_T0_PT8_S7_lSA_S7_lS8_PT9_S7_li,comdat
	.globl	_ZL34rocblas_syrkx_herkx_general_kernelIl19rocblas_complex_numIdELi16ELi32ELi8ELb1ELb1ELc84ELc76EKPKS1_KPS1_EviT_T0_PT8_S7_lSA_S7_lS8_PT9_S7_li ; -- Begin function _ZL34rocblas_syrkx_herkx_general_kernelIl19rocblas_complex_numIdELi16ELi32ELi8ELb1ELb1ELc84ELc76EKPKS1_KPS1_EviT_T0_PT8_S7_lSA_S7_lS8_PT9_S7_li
	.p2align	8
	.type	_ZL34rocblas_syrkx_herkx_general_kernelIl19rocblas_complex_numIdELi16ELi32ELi8ELb1ELb1ELc84ELc76EKPKS1_KPS1_EviT_T0_PT8_S7_lSA_S7_lS8_PT9_S7_li,@function
_ZL34rocblas_syrkx_herkx_general_kernelIl19rocblas_complex_numIdELi16ELi32ELi8ELb1ELb1ELc84ELc76EKPKS1_KPS1_EviT_T0_PT8_S7_lSA_S7_lS8_PT9_S7_li: ; @_ZL34rocblas_syrkx_herkx_general_kernelIl19rocblas_complex_numIdELi16ELi32ELi8ELb1ELb1ELc84ELc76EKPKS1_KPS1_EviT_T0_PT8_S7_lSA_S7_lS8_PT9_S7_li
; %bb.0:
	s_clause 0x1
	s_load_b128 s[16:19], s[0:1], 0x60
	s_load_b256 s[4:11], s[0:1], 0x8
	s_mov_b32 s2, s15
	s_mov_b32 s3, 0
	s_load_b64 s[22:23], s[0:1], 0x28
	s_lshl_b64 s[20:21], s[2:3], 3
	v_mov_b32_e32 v20, 0
	v_dual_mov_b32 v21, 0 :: v_dual_and_b32 v24, 0x3ff, v0
	v_bfe_u32 v25, v0, 10, 10
	s_delay_alu instid0(VALU_DEP_3) | instskip(NEXT) | instid1(VALU_DEP_3)
	v_mov_b32_e32 v16, v20
	v_dual_mov_b32 v18, v20 :: v_dual_mov_b32 v19, v21
	v_dual_mov_b32 v23, v21 :: v_dual_mov_b32 v22, v20
	;; [unrolled: 1-line block ×4, first 2 shown]
	v_mov_b32_e32 v15, v21
	s_waitcnt lgkmcnt(0)
	s_add_u32 s2, s16, s20
	s_addc_u32 s3, s17, s21
	s_load_b32 s15, s[0:1], 0x0
	s_load_b64 s[16:17], s[2:3], 0x0
	v_cmp_lt_i64_e64 s2, s[4:5], 1
	v_dual_mov_b32 v10, v20 :: v_dual_mov_b32 v11, v21
	v_dual_mov_b32 v8, v20 :: v_dual_mov_b32 v9, v21
	s_lshl_b32 s24, s13, 5
	s_lshl_b32 s14, s14, 5
	s_delay_alu instid0(VALU_DEP_3)
	s_and_b32 vcc_lo, exec_lo, s2
	s_mov_b64 s[12:13], 0
	s_cbranch_vccnz .LBB1833_11
; %bb.1:
	v_lshl_add_u32 v0, v25, 4, v24
	v_and_b32_e32 v26, 7, v24
	s_load_b128 s[0:3], s[0:1], 0x38
	v_lshl_add_u32 v31, v25, 7, 0x1000
	s_delay_alu instid0(VALU_DEP_3) | instskip(SKIP_2) | instid1(VALU_DEP_3)
	v_and_b32_e32 v1, 31, v0
	v_lshrrev_b32_e32 v27, 5, v0
	v_lshrrev_b32_e32 v5, 3, v0
	v_or_b32_e32 v8, s24, v1
	v_lshlrev_b32_e32 v9, 4, v1
	s_waitcnt lgkmcnt(0)
	s_delay_alu instid0(VALU_DEP_2) | instskip(NEXT) | instid1(VALU_DEP_2)
	v_cmp_gt_i32_e32 vcc_lo, s15, v8
	v_lshl_or_b32 v28, v27, 9, v9
	v_mov_b32_e32 v8, 0
	v_dual_mov_b32 v9, 0 :: v_dual_add_nc_u32 v0, s24, v1
	v_add_nc_u32_e32 v6, s14, v5
	v_lshlrev_b32_e32 v7, 4, v26
	s_add_u32 s0, s0, s20
	s_delay_alu instid0(VALU_DEP_3) | instskip(SKIP_4) | instid1(VALU_DEP_3)
	v_mov_b32_e32 v15, v9
	v_ashrrev_i32_e32 v4, 31, v0
	v_mul_lo_u32 v10, s23, v0
	v_mad_u64_u32 v[1:2], null, s22, v0, 0
	s_addc_u32 s1, s1, s21
	v_mul_lo_u32 v11, s22, v4
	s_add_u32 s10, s10, s20
	s_addc_u32 s11, s11, s21
	s_load_b64 s[20:21], s[0:1], 0x0
	s_load_b64 s[10:11], s[10:11], 0x0
	v_lshlrev_b32_e32 v30, 4, v24
	v_dual_mov_b32 v0, 0 :: v_dual_mov_b32 v19, v9
	v_mov_b32_e32 v18, v8
	v_add3_u32 v2, v2, v11, v10
	v_mov_b32_e32 v11, v9
	v_ashrrev_i32_e32 v3, 31, v6
	v_mul_lo_u32 v13, s3, v6
	v_mov_b32_e32 v10, v8
	v_lshl_or_b32 v5, v5, 7, v7
	v_lshlrev_b64 v[1:2], 4, v[1:2]
	v_mul_lo_u32 v12, s2, v3
	v_mad_u64_u32 v[3:4], null, s2, v6, 0
	s_delay_alu instid0(VALU_DEP_4)
	v_dual_mov_b32 v14, v8 :: v_dual_add_nc_u32 v29, 0x1000, v5
	v_lshlrev_b32_e32 v5, 4, v27
	v_cmp_gt_i32_e64 s0, s15, v6
	v_dual_mov_b32 v17, v9 :: v_dual_mov_b32 v16, v8
	v_add3_u32 v4, v4, v12, v13
	v_dual_mov_b32 v13, v9 :: v_dual_mov_b32 v12, v8
	v_add_co_u32 v1, s1, v1, v5
	s_delay_alu instid0(VALU_DEP_3) | instskip(SKIP_3) | instid1(VALU_DEP_4)
	v_lshlrev_b64 v[3:4], 4, v[3:4]
	v_add_co_ci_u32_e64 v2, s1, 0, v2, s1
	v_dual_mov_b32 v23, v9 :: v_dual_mov_b32 v22, v8
	v_dual_mov_b32 v21, v9 :: v_dual_mov_b32 v20, v8
	v_add_co_u32 v3, s1, v3, v7
	s_delay_alu instid0(VALU_DEP_1) | instskip(SKIP_2) | instid1(VALU_DEP_1)
	v_add_co_ci_u32_e64 v7, s1, 0, v4, s1
	s_waitcnt lgkmcnt(0)
	v_add_co_u32 v4, s1, s10, v1
	v_add_co_ci_u32_e64 v5, s1, s11, v2, s1
	v_add_co_u32 v6, s1, s20, v3
	s_delay_alu instid0(VALU_DEP_1)
	v_add_co_ci_u32_e64 v7, s1, s21, v7, s1
	s_xor_b32 s1, vcc_lo, -1
	s_xor_b32 s0, s0, -1
	s_branch .LBB1833_3
.LBB1833_2:                             ;   in Loop: Header=BB1833_3 Depth=1
	s_or_b32 exec_lo, exec_lo, s2
	s_waitcnt lgkmcnt(0)
	s_barrier
	buffer_gl0_inv
	ds_load_b128 v[32:35], v31
	ds_load_b128 v[36:39], v30
	ds_load_b128 v[40:43], v30 offset:256
	ds_load_b128 v[44:47], v31 offset:2048
	;; [unrolled: 1-line block ×9, first 2 shown]
	s_add_u32 s12, s12, 8
	s_addc_u32 s13, s13, 0
	v_add_co_u32 v4, vcc_lo, 0x80, v4
	v_cmp_ge_i64_e64 s2, s[12:13], s[4:5]
	v_add_co_ci_u32_e32 v5, vcc_lo, 0, v5, vcc_lo
	v_add_co_u32 v6, vcc_lo, 0x80, v6
	v_add_co_ci_u32_e32 v7, vcc_lo, 0, v7, vcc_lo
	s_delay_alu instid0(VALU_DEP_4)
	s_and_b32 vcc_lo, exec_lo, s2
	s_waitcnt lgkmcnt(9)
	v_mul_f64 v[1:2], v[34:35], v[38:39]
	v_mul_f64 v[76:77], v[32:33], v[38:39]
	s_waitcnt lgkmcnt(8)
	v_mul_f64 v[78:79], v[34:35], v[42:43]
	v_mul_f64 v[80:81], v[32:33], v[42:43]
	;; [unrolled: 3-line block ×3, first 2 shown]
	v_mul_f64 v[84:85], v[46:47], v[42:43]
	v_mul_f64 v[42:43], v[44:45], v[42:43]
	s_waitcnt lgkmcnt(4)
	v_mul_f64 v[86:87], v[50:51], v[58:59]
	v_mul_f64 v[88:89], v[48:49], v[58:59]
	s_waitcnt lgkmcnt(3)
	v_mul_f64 v[90:91], v[50:51], v[62:63]
	v_mul_f64 v[92:93], v[48:49], v[62:63]
	;; [unrolled: 1-line block ×6, first 2 shown]
	s_waitcnt lgkmcnt(0)
	v_mul_f64 v[114:115], v[74:75], v[66:67]
	v_mul_f64 v[116:117], v[74:75], v[70:71]
	v_fma_f64 v[1:2], v[32:33], v[36:37], -v[1:2]
	v_fma_f64 v[98:99], v[34:35], v[36:37], v[76:77]
	v_fma_f64 v[100:101], v[32:33], v[40:41], -v[78:79]
	v_fma_f64 v[80:81], v[34:35], v[40:41], v[80:81]
	;; [unrolled: 2-line block ×4, first 2 shown]
	ds_load_b128 v[76:79], v31 offset:32
	v_fma_f64 v[86:87], v[48:49], v[56:57], -v[86:87]
	v_fma_f64 v[88:89], v[50:51], v[56:57], v[88:89]
	v_fma_f64 v[48:49], v[48:49], v[60:61], -v[90:91]
	v_fma_f64 v[50:51], v[50:51], v[60:61], v[92:93]
	;; [unrolled: 2-line block ×4, first 2 shown]
	ds_load_b128 v[32:35], v31 offset:48
	ds_load_b128 v[36:39], v31 offset:2096
	;; [unrolled: 1-line block ×4, first 2 shown]
	s_waitcnt lgkmcnt(4)
	v_mul_f64 v[106:107], v[78:79], v[66:67]
	v_mul_f64 v[108:109], v[76:77], v[66:67]
	v_mul_f64 v[110:111], v[78:79], v[70:71]
	v_mul_f64 v[112:113], v[76:77], v[70:71]
	v_mul_f64 v[66:67], v[72:73], v[66:67]
	v_mul_f64 v[70:71], v[72:73], v[70:71]
	s_waitcnt lgkmcnt(1)
	v_mul_f64 v[92:93], v[32:33], v[42:43]
	s_waitcnt lgkmcnt(0)
	v_mul_f64 v[94:95], v[34:35], v[46:47]
	v_add_f64 v[1:2], v[20:21], v[1:2]
	v_add_f64 v[20:21], v[22:23], v[98:99]
	;; [unrolled: 1-line block ×8, first 2 shown]
	v_mul_f64 v[84:85], v[34:35], v[42:43]
	v_mul_f64 v[96:97], v[32:33], v[46:47]
	;; [unrolled: 1-line block ×6, first 2 shown]
	ds_load_b128 v[8:11], v30 offset:2048
	ds_load_b128 v[12:15], v30 offset:2304
	;; [unrolled: 1-line block ×3, first 2 shown]
	v_fma_f64 v[104:105], v[76:77], v[64:65], -v[106:107]
	v_fma_f64 v[106:107], v[78:79], v[64:65], v[108:109]
	v_fma_f64 v[76:77], v[76:77], v[68:69], -v[110:111]
	v_fma_f64 v[78:79], v[78:79], v[68:69], v[112:113]
	;; [unrolled: 2-line block ×4, first 2 shown]
	s_waitcnt lgkmcnt(0)
	v_mul_f64 v[114:115], v[18:19], v[10:11]
	v_mul_f64 v[116:117], v[18:19], v[14:15]
	v_add_f64 v[1:2], v[1:2], v[86:87]
	v_add_f64 v[70:71], v[20:21], v[88:89]
	;; [unrolled: 1-line block ×8, first 2 shown]
	ds_load_b128 v[20:23], v31 offset:64
	v_fma_f64 v[84:85], v[32:33], v[40:41], -v[84:85]
	v_fma_f64 v[92:93], v[34:35], v[40:41], v[92:93]
	v_fma_f64 v[94:95], v[32:33], v[44:45], -v[94:95]
	v_fma_f64 v[96:97], v[34:35], v[44:45], v[96:97]
	;; [unrolled: 2-line block ×4, first 2 shown]
	ds_load_b128 v[46:49], v31 offset:80
	ds_load_b128 v[50:53], v31 offset:2128
	;; [unrolled: 1-line block ×7, first 2 shown]
	s_waitcnt lgkmcnt(7)
	v_mul_f64 v[88:89], v[22:23], v[10:11]
	v_mul_f64 v[90:91], v[20:21], v[10:11]
	;; [unrolled: 1-line block ×6, first 2 shown]
	s_waitcnt lgkmcnt(3)
	v_mul_f64 v[102:103], v[52:53], v[60:61]
	v_add_f64 v[1:2], v[1:2], v[104:105]
	v_add_f64 v[70:71], v[70:71], v[106:107]
	;; [unrolled: 1-line block ×8, first 2 shown]
	v_mul_f64 v[68:69], v[48:49], v[56:57]
	v_mul_f64 v[78:79], v[46:47], v[56:57]
	;; [unrolled: 1-line block ×7, first 2 shown]
	v_fma_f64 v[88:89], v[20:21], v[8:9], -v[88:89]
	v_fma_f64 v[90:91], v[22:23], v[8:9], v[90:91]
	v_fma_f64 v[106:107], v[20:21], v[12:13], -v[110:111]
	v_fma_f64 v[108:109], v[22:23], v[12:13], v[112:113]
	v_fma_f64 v[110:111], v[16:17], v[8:9], -v[114:115]
	v_fma_f64 v[112:113], v[18:19], v[8:9], v[10:11]
	v_fma_f64 v[114:115], v[16:17], v[12:13], -v[116:117]
	v_fma_f64 v[116:117], v[18:19], v[12:13], v[14:15]
	ds_load_b128 v[8:11], v31 offset:96
	v_add_f64 v[1:2], v[1:2], v[84:85]
	v_add_f64 v[70:71], v[70:71], v[92:93]
	;; [unrolled: 1-line block ×8, first 2 shown]
	s_waitcnt lgkmcnt(1)
	v_mul_f64 v[98:99], v[42:43], v[34:35]
	v_mul_f64 v[100:101], v[42:43], v[38:39]
	v_fma_f64 v[68:69], v[46:47], v[54:55], -v[68:69]
	v_fma_f64 v[78:79], v[48:49], v[54:55], v[78:79]
	v_fma_f64 v[46:47], v[46:47], v[58:59], -v[80:81]
	v_fma_f64 v[48:49], v[48:49], v[58:59], v[82:83]
	;; [unrolled: 2-line block ×4, first 2 shown]
	s_waitcnt lgkmcnt(0)
	v_mul_f64 v[66:67], v[10:11], v[34:35]
	v_mul_f64 v[92:93], v[8:9], v[34:35]
	;; [unrolled: 1-line block ×6, first 2 shown]
	ds_load_b128 v[12:15], v31 offset:112
	ds_load_b128 v[16:19], v31 offset:2160
	;; [unrolled: 1-line block ×4, first 2 shown]
	s_waitcnt lgkmcnt(0)
	s_barrier
	buffer_gl0_inv
	v_add_f64 v[1:2], v[1:2], v[88:89]
	v_add_f64 v[56:57], v[70:71], v[90:91]
	;; [unrolled: 1-line block ×8, first 2 shown]
	v_mul_f64 v[76:77], v[14:15], v[22:23]
	v_mul_f64 v[82:83], v[12:13], v[22:23]
	;; [unrolled: 1-line block ×8, first 2 shown]
	v_fma_f64 v[66:67], v[8:9], v[32:33], -v[66:67]
	v_fma_f64 v[92:93], v[10:11], v[32:33], v[92:93]
	v_fma_f64 v[8:9], v[8:9], v[36:37], -v[94:95]
	v_fma_f64 v[10:11], v[10:11], v[36:37], v[96:97]
	;; [unrolled: 2-line block ×4, first 2 shown]
	v_add_f64 v[1:2], v[1:2], v[68:69]
	v_add_f64 v[38:39], v[56:57], v[78:79]
	;; [unrolled: 1-line block ×8, first 2 shown]
	v_fma_f64 v[52:53], v[12:13], v[20:21], -v[76:77]
	v_fma_f64 v[54:55], v[14:15], v[20:21], v[82:83]
	v_fma_f64 v[12:13], v[12:13], v[60:61], -v[84:85]
	v_fma_f64 v[14:15], v[14:15], v[60:61], v[86:87]
	;; [unrolled: 2-line block ×4, first 2 shown]
	v_add_f64 v[1:2], v[1:2], v[66:67]
	v_add_f64 v[16:17], v[38:39], v[92:93]
	;; [unrolled: 1-line block ×16, first 2 shown]
	s_cbranch_vccnz .LBB1833_11
.LBB1833_3:                             ; =>This Inner Loop Header: Depth=1
	v_add_co_u32 v1, s2, v27, s12
	s_delay_alu instid0(VALU_DEP_1) | instskip(NEXT) | instid1(VALU_DEP_1)
	v_add_co_ci_u32_e64 v2, null, 0, s13, s2
	v_cmp_le_i64_e32 vcc_lo, s[4:5], v[1:2]
	s_or_b32 s2, s1, vcc_lo
	s_delay_alu instid0(SALU_CYCLE_1) | instskip(NEXT) | instid1(SALU_CYCLE_1)
	s_and_saveexec_b32 s3, s2
	s_xor_b32 s2, exec_lo, s3
	s_cbranch_execz .LBB1833_5
; %bb.4:                                ;   in Loop: Header=BB1833_3 Depth=1
	v_mov_b32_e32 v1, v0
	v_mov_b32_e32 v2, v0
	;; [unrolled: 1-line block ×3, first 2 shown]
	ds_store_b128 v28, v[0:3]
.LBB1833_5:                             ;   in Loop: Header=BB1833_3 Depth=1
	s_and_not1_saveexec_b32 s2, s2
	s_cbranch_execz .LBB1833_7
; %bb.6:                                ;   in Loop: Header=BB1833_3 Depth=1
	global_load_b128 v[32:35], v[4:5], off
	s_waitcnt vmcnt(0)
	ds_store_2addr_b64 v28, v[32:33], v[34:35] offset1:1
.LBB1833_7:                             ;   in Loop: Header=BB1833_3 Depth=1
	s_or_b32 exec_lo, exec_lo, s2
	v_add_co_u32 v1, s2, v26, s12
	s_delay_alu instid0(VALU_DEP_1) | instskip(NEXT) | instid1(VALU_DEP_1)
	v_add_co_ci_u32_e64 v2, null, 0, s13, s2
	v_cmp_le_i64_e32 vcc_lo, s[4:5], v[1:2]
	s_or_b32 s2, vcc_lo, s0
	s_delay_alu instid0(SALU_CYCLE_1) | instskip(NEXT) | instid1(SALU_CYCLE_1)
	s_and_saveexec_b32 s3, s2
	s_xor_b32 s2, exec_lo, s3
	s_cbranch_execz .LBB1833_9
; %bb.8:                                ;   in Loop: Header=BB1833_3 Depth=1
	v_mov_b32_e32 v1, v0
	v_mov_b32_e32 v2, v0
	;; [unrolled: 1-line block ×3, first 2 shown]
	ds_store_b128 v29, v[0:3]
.LBB1833_9:                             ;   in Loop: Header=BB1833_3 Depth=1
	s_and_not1_saveexec_b32 s2, s2
	s_cbranch_execz .LBB1833_2
; %bb.10:                               ;   in Loop: Header=BB1833_3 Depth=1
	global_load_b128 v[32:35], v[6:7], off
	s_waitcnt vmcnt(0)
	ds_store_2addr_b64 v29, v[32:33], v[34:35] offset1:1
	s_branch .LBB1833_2
.LBB1833_11:
	v_add_nc_u32_e32 v4, s14, v25
	s_delay_alu instid0(VALU_DEP_1) | instskip(SKIP_2) | instid1(VALU_DEP_3)
	v_ashrrev_i32_e32 v0, 31, v4
	v_mul_lo_u32 v3, v4, s19
	v_mad_u64_u32 v[1:2], null, v4, s18, 0
	v_mul_lo_u32 v0, v0, s18
	s_delay_alu instid0(VALU_DEP_1) | instskip(SKIP_1) | instid1(VALU_DEP_2)
	v_add3_u32 v2, v2, v3, v0
	v_add_nc_u32_e32 v0, s24, v24
	v_lshlrev_b64 v[1:2], 4, v[1:2]
	s_delay_alu instid0(VALU_DEP_2) | instskip(SKIP_2) | instid1(VALU_DEP_3)
	v_cmp_le_i32_e64 s0, v4, v0
	s_waitcnt lgkmcnt(0)
	v_cmp_gt_i32_e32 vcc_lo, s15, v0
	v_add_co_u32 v5, s1, s16, v1
	s_delay_alu instid0(VALU_DEP_1) | instskip(SKIP_1) | instid1(SALU_CYCLE_1)
	v_add_co_ci_u32_e64 v6, s1, s17, v2, s1
	s_and_b32 s0, s0, vcc_lo
	s_and_saveexec_b32 s2, s0
	s_cbranch_execz .LBB1833_13
; %bb.12:
	v_mul_f64 v[1:2], s[6:7], v[22:23]
	v_mul_f64 v[22:23], s[8:9], v[22:23]
	v_cmp_ne_u32_e64 s0, v4, v0
	s_delay_alu instid0(VALU_DEP_3) | instskip(NEXT) | instid1(VALU_DEP_3)
	v_fma_f64 v[2:3], s[8:9], v[20:21], v[1:2]
	v_fma_f64 v[20:21], s[6:7], v[20:21], -v[22:23]
	v_ashrrev_i32_e32 v1, 31, v0
	s_delay_alu instid0(VALU_DEP_1) | instskip(NEXT) | instid1(VALU_DEP_1)
	v_lshlrev_b64 v[22:23], 4, v[0:1]
	v_add_co_u32 v24, s1, v5, v22
	s_delay_alu instid0(VALU_DEP_1)
	v_add_co_ci_u32_e64 v25, s1, v6, v23, s1
	v_cndmask_b32_e64 v23, 0, v3, s0
	v_cndmask_b32_e64 v22, 0, v2, s0
	global_store_b128 v[24:25], v[20:23], off
.LBB1833_13:
	s_or_b32 exec_lo, exec_lo, s2
	v_add_nc_u32_e32 v2, 16, v0
	s_delay_alu instid0(VALU_DEP_1) | instskip(SKIP_1) | instid1(VALU_DEP_1)
	v_cmp_le_i32_e64 s1, v4, v2
	v_cmp_gt_i32_e64 s0, s15, v2
	s_and_b32 s1, s1, s0
	s_delay_alu instid0(SALU_CYCLE_1)
	s_and_saveexec_b32 s3, s1
	s_cbranch_execz .LBB1833_15
; %bb.14:
	v_mul_f64 v[20:21], s[6:7], v[18:19]
	v_mul_f64 v[18:19], s[8:9], v[18:19]
	v_ashrrev_i32_e32 v3, 31, v2
	v_cmp_ne_u32_e64 s1, v4, v2
	s_delay_alu instid0(VALU_DEP_4) | instskip(NEXT) | instid1(VALU_DEP_4)
	v_fma_f64 v[20:21], s[8:9], v[16:17], v[20:21]
	v_fma_f64 v[16:17], s[6:7], v[16:17], -v[18:19]
	s_delay_alu instid0(VALU_DEP_4) | instskip(NEXT) | instid1(VALU_DEP_1)
	v_lshlrev_b64 v[18:19], 4, v[2:3]
	v_add_co_u32 v5, s2, v5, v18
	s_delay_alu instid0(VALU_DEP_1)
	v_add_co_ci_u32_e64 v6, s2, v6, v19, s2
	v_cndmask_b32_e64 v19, 0, v21, s1
	v_cndmask_b32_e64 v18, 0, v20, s1
	global_store_b128 v[5:6], v[16:19], off
.LBB1833_15:
	s_or_b32 exec_lo, exec_lo, s3
	v_add_nc_u32_e32 v3, 16, v4
	s_delay_alu instid0(VALU_DEP_1) | instskip(SKIP_3) | instid1(VALU_DEP_4)
	v_ashrrev_i32_e32 v1, 31, v3
	v_mul_lo_u32 v7, v3, s19
	v_mad_u64_u32 v[5:6], null, v3, s18, 0
	v_cmp_le_i32_e64 s1, v3, v0
	v_mul_lo_u32 v1, v1, s18
	s_delay_alu instid0(VALU_DEP_2) | instskip(NEXT) | instid1(VALU_DEP_1)
	s_and_b32 s1, s1, vcc_lo
	v_add3_u32 v6, v6, v7, v1
	s_delay_alu instid0(VALU_DEP_1) | instskip(NEXT) | instid1(VALU_DEP_1)
	v_lshlrev_b64 v[5:6], 4, v[5:6]
	v_add_co_u32 v5, s2, s16, v5
	s_delay_alu instid0(VALU_DEP_1)
	v_add_co_ci_u32_e64 v6, s2, s17, v6, s2
	s_and_saveexec_b32 s2, s1
	s_cbranch_execz .LBB1833_17
; %bb.16:
	v_mul_f64 v[16:17], s[6:7], v[14:15]
	v_mul_f64 v[14:15], s[8:9], v[14:15]
	v_ashrrev_i32_e32 v1, 31, v0
	v_cmp_ne_u32_e32 vcc_lo, v3, v0
	s_delay_alu instid0(VALU_DEP_4) | instskip(NEXT) | instid1(VALU_DEP_4)
	v_fma_f64 v[16:17], s[8:9], v[12:13], v[16:17]
	v_fma_f64 v[12:13], s[6:7], v[12:13], -v[14:15]
	s_delay_alu instid0(VALU_DEP_4) | instskip(NEXT) | instid1(VALU_DEP_1)
	v_lshlrev_b64 v[14:15], 4, v[0:1]
	v_add_co_u32 v18, s1, v5, v14
	s_delay_alu instid0(VALU_DEP_1)
	v_add_co_ci_u32_e64 v19, s1, v6, v15, s1
	v_dual_cndmask_b32 v15, 0, v17 :: v_dual_cndmask_b32 v14, 0, v16
	global_store_b128 v[18:19], v[12:15], off
.LBB1833_17:
	s_or_b32 exec_lo, exec_lo, s2
	v_cmp_le_i32_e32 vcc_lo, v3, v2
	s_and_b32 s0, vcc_lo, s0
	s_delay_alu instid0(SALU_CYCLE_1)
	s_and_saveexec_b32 s1, s0
	s_cbranch_execz .LBB1833_19
; %bb.18:
	v_mul_f64 v[12:13], s[6:7], v[8:9]
	v_mul_f64 v[7:8], s[8:9], v[8:9]
	v_ashrrev_i32_e32 v3, 31, v2
	v_cmp_ne_u32_e32 vcc_lo, v4, v0
	s_delay_alu instid0(VALU_DEP_2) | instskip(NEXT) | instid1(VALU_DEP_1)
	v_lshlrev_b64 v[1:2], 4, v[2:3]
	v_add_co_u32 v0, s0, v5, v1
	s_delay_alu instid0(VALU_DEP_1) | instskip(SKIP_2) | instid1(VALU_DEP_2)
	v_add_co_ci_u32_e64 v1, s0, v6, v2, s0
	v_fma_f64 v[12:13], s[8:9], v[10:11], v[12:13]
	v_fma_f64 v[7:8], s[6:7], v[10:11], -v[7:8]
	v_dual_cndmask_b32 v10, 0, v13 :: v_dual_cndmask_b32 v9, 0, v12
	global_store_b128 v[0:1], v[7:10], off
.LBB1833_19:
	s_nop 0
	s_sendmsg sendmsg(MSG_DEALLOC_VGPRS)
	s_endpgm
	.section	.rodata,"a",@progbits
	.p2align	6, 0x0
	.amdhsa_kernel _ZL34rocblas_syrkx_herkx_general_kernelIl19rocblas_complex_numIdELi16ELi32ELi8ELb1ELb1ELc84ELc76EKPKS1_KPS1_EviT_T0_PT8_S7_lSA_S7_lS8_PT9_S7_li
		.amdhsa_group_segment_fixed_size 8192
		.amdhsa_private_segment_fixed_size 0
		.amdhsa_kernarg_size 124
		.amdhsa_user_sgpr_count 13
		.amdhsa_user_sgpr_dispatch_ptr 0
		.amdhsa_user_sgpr_queue_ptr 0
		.amdhsa_user_sgpr_kernarg_segment_ptr 1
		.amdhsa_user_sgpr_dispatch_id 0
		.amdhsa_user_sgpr_private_segment_size 0
		.amdhsa_wavefront_size32 1
		.amdhsa_uses_dynamic_stack 0
		.amdhsa_enable_private_segment 0
		.amdhsa_system_sgpr_workgroup_id_x 1
		.amdhsa_system_sgpr_workgroup_id_y 1
		.amdhsa_system_sgpr_workgroup_id_z 1
		.amdhsa_system_sgpr_workgroup_info 0
		.amdhsa_system_vgpr_workitem_id 1
		.amdhsa_next_free_vgpr 120
		.amdhsa_next_free_sgpr 25
		.amdhsa_reserve_vcc 1
		.amdhsa_float_round_mode_32 0
		.amdhsa_float_round_mode_16_64 0
		.amdhsa_float_denorm_mode_32 3
		.amdhsa_float_denorm_mode_16_64 3
		.amdhsa_dx10_clamp 1
		.amdhsa_ieee_mode 1
		.amdhsa_fp16_overflow 0
		.amdhsa_workgroup_processor_mode 1
		.amdhsa_memory_ordered 1
		.amdhsa_forward_progress 0
		.amdhsa_shared_vgpr_count 0
		.amdhsa_exception_fp_ieee_invalid_op 0
		.amdhsa_exception_fp_denorm_src 0
		.amdhsa_exception_fp_ieee_div_zero 0
		.amdhsa_exception_fp_ieee_overflow 0
		.amdhsa_exception_fp_ieee_underflow 0
		.amdhsa_exception_fp_ieee_inexact 0
		.amdhsa_exception_int_div_zero 0
	.end_amdhsa_kernel
	.section	.text._ZL34rocblas_syrkx_herkx_general_kernelIl19rocblas_complex_numIdELi16ELi32ELi8ELb1ELb1ELc84ELc76EKPKS1_KPS1_EviT_T0_PT8_S7_lSA_S7_lS8_PT9_S7_li,"axG",@progbits,_ZL34rocblas_syrkx_herkx_general_kernelIl19rocblas_complex_numIdELi16ELi32ELi8ELb1ELb1ELc84ELc76EKPKS1_KPS1_EviT_T0_PT8_S7_lSA_S7_lS8_PT9_S7_li,comdat
.Lfunc_end1833:
	.size	_ZL34rocblas_syrkx_herkx_general_kernelIl19rocblas_complex_numIdELi16ELi32ELi8ELb1ELb1ELc84ELc76EKPKS1_KPS1_EviT_T0_PT8_S7_lSA_S7_lS8_PT9_S7_li, .Lfunc_end1833-_ZL34rocblas_syrkx_herkx_general_kernelIl19rocblas_complex_numIdELi16ELi32ELi8ELb1ELb1ELc84ELc76EKPKS1_KPS1_EviT_T0_PT8_S7_lSA_S7_lS8_PT9_S7_li
                                        ; -- End function
	.section	.AMDGPU.csdata,"",@progbits
; Kernel info:
; codeLenInByte = 3412
; NumSgprs: 27
; NumVgprs: 120
; ScratchSize: 0
; MemoryBound: 0
; FloatMode: 240
; IeeeMode: 1
; LDSByteSize: 8192 bytes/workgroup (compile time only)
; SGPRBlocks: 3
; VGPRBlocks: 14
; NumSGPRsForWavesPerEU: 27
; NumVGPRsForWavesPerEU: 120
; Occupancy: 12
; WaveLimiterHint : 1
; COMPUTE_PGM_RSRC2:SCRATCH_EN: 0
; COMPUTE_PGM_RSRC2:USER_SGPR: 13
; COMPUTE_PGM_RSRC2:TRAP_HANDLER: 0
; COMPUTE_PGM_RSRC2:TGID_X_EN: 1
; COMPUTE_PGM_RSRC2:TGID_Y_EN: 1
; COMPUTE_PGM_RSRC2:TGID_Z_EN: 1
; COMPUTE_PGM_RSRC2:TIDIG_COMP_CNT: 1
	.section	.text._ZL34rocblas_syrkx_herkx_general_kernelIl19rocblas_complex_numIdELi16ELi32ELi8ELb1ELb1ELc67ELc76EKPKS1_KPS1_EviT_T0_PT8_S7_lSA_S7_lS8_PT9_S7_li,"axG",@progbits,_ZL34rocblas_syrkx_herkx_general_kernelIl19rocblas_complex_numIdELi16ELi32ELi8ELb1ELb1ELc67ELc76EKPKS1_KPS1_EviT_T0_PT8_S7_lSA_S7_lS8_PT9_S7_li,comdat
	.globl	_ZL34rocblas_syrkx_herkx_general_kernelIl19rocblas_complex_numIdELi16ELi32ELi8ELb1ELb1ELc67ELc76EKPKS1_KPS1_EviT_T0_PT8_S7_lSA_S7_lS8_PT9_S7_li ; -- Begin function _ZL34rocblas_syrkx_herkx_general_kernelIl19rocblas_complex_numIdELi16ELi32ELi8ELb1ELb1ELc67ELc76EKPKS1_KPS1_EviT_T0_PT8_S7_lSA_S7_lS8_PT9_S7_li
	.p2align	8
	.type	_ZL34rocblas_syrkx_herkx_general_kernelIl19rocblas_complex_numIdELi16ELi32ELi8ELb1ELb1ELc67ELc76EKPKS1_KPS1_EviT_T0_PT8_S7_lSA_S7_lS8_PT9_S7_li,@function
_ZL34rocblas_syrkx_herkx_general_kernelIl19rocblas_complex_numIdELi16ELi32ELi8ELb1ELb1ELc67ELc76EKPKS1_KPS1_EviT_T0_PT8_S7_lSA_S7_lS8_PT9_S7_li: ; @_ZL34rocblas_syrkx_herkx_general_kernelIl19rocblas_complex_numIdELi16ELi32ELi8ELb1ELb1ELc67ELc76EKPKS1_KPS1_EviT_T0_PT8_S7_lSA_S7_lS8_PT9_S7_li
; %bb.0:
	s_clause 0x1
	s_load_b128 s[16:19], s[0:1], 0x60
	s_load_b256 s[4:11], s[0:1], 0x8
	s_mov_b32 s2, s15
	s_mov_b32 s3, 0
	s_load_b64 s[22:23], s[0:1], 0x28
	s_lshl_b64 s[20:21], s[2:3], 3
	v_mov_b32_e32 v23, 0
	v_dual_mov_b32 v24, 0 :: v_dual_and_b32 v27, 0x3ff, v0
	v_bfe_u32 v28, v0, 10, 10
	s_delay_alu instid0(VALU_DEP_3) | instskip(NEXT) | instid1(VALU_DEP_3)
	v_mov_b32_e32 v19, v23
	v_dual_mov_b32 v21, v23 :: v_dual_mov_b32 v22, v24
	v_dual_mov_b32 v26, v24 :: v_dual_mov_b32 v25, v23
	;; [unrolled: 1-line block ×4, first 2 shown]
	v_mov_b32_e32 v18, v24
	s_waitcnt lgkmcnt(0)
	s_add_u32 s2, s16, s20
	s_addc_u32 s3, s17, s21
	s_load_b32 s15, s[0:1], 0x0
	s_load_b64 s[16:17], s[2:3], 0x0
	v_cmp_lt_i64_e64 s2, s[4:5], 1
	v_dual_mov_b32 v11, v23 :: v_dual_mov_b32 v12, v24
	v_dual_mov_b32 v13, v23 :: v_dual_mov_b32 v14, v24
	s_lshl_b32 s24, s13, 5
	s_lshl_b32 s14, s14, 5
	s_delay_alu instid0(VALU_DEP_3)
	s_and_b32 vcc_lo, exec_lo, s2
	s_mov_b64 s[12:13], 0
	s_cbranch_vccnz .LBB1834_9
; %bb.1:
	s_load_b128 s[0:3], s[0:1], 0x38
	v_lshl_add_u32 v1, v28, 4, v27
	v_dual_mov_b32 v0, 0 :: v_dual_and_b32 v29, 7, v27
	v_lshl_add_u32 v31, v28, 7, 0x1000
	s_delay_alu instid0(VALU_DEP_3) | instskip(SKIP_3) | instid1(VALU_DEP_4)
	v_and_b32_e32 v2, 31, v1
	v_lshrrev_b32_e32 v3, 3, v1
	v_lshrrev_b32_e32 v32, 5, v1
	v_lshlrev_b32_e32 v6, 4, v29
	v_add_nc_u32_e32 v4, s24, v2
	s_delay_alu instid0(VALU_DEP_4) | instskip(SKIP_2) | instid1(VALU_DEP_4)
	v_add_nc_u32_e32 v5, s14, v3
	v_or_b32_e32 v7, s24, v2
	v_lshlrev_b32_e32 v8, 4, v2
	v_ashrrev_i32_e32 v10, 31, v4
	v_mul_lo_u32 v11, s23, v4
	v_mad_u64_u32 v[1:2], null, s22, v4, 0
	s_waitcnt lgkmcnt(0)
	s_add_u32 s26, s0, s20
	v_mul_lo_u32 v4, s22, v10
	s_addc_u32 s27, s1, s21
	s_add_u32 s0, s10, s20
	s_addc_u32 s1, s11, s21
	v_ashrrev_i32_e32 v9, 31, v5
	s_load_b64 s[10:11], s[0:1], 0x0
	v_lshl_or_b32 v10, v3, 7, v6
	v_mul_lo_u32 v12, s3, v5
	v_add3_u32 v2, v2, v4, v11
	v_mul_lo_u32 v9, s2, v9
	v_mad_u64_u32 v[3:4], null, s2, v5, 0
	v_lshlrev_b32_e32 v11, 4, v32
	s_delay_alu instid0(VALU_DEP_4) | instskip(SKIP_4) | instid1(VALU_DEP_4)
	v_lshlrev_b64 v[1:2], 4, v[1:2]
	s_load_b64 s[2:3], s[26:27], 0x0
	v_cmp_gt_i32_e32 vcc_lo, s15, v5
	v_cmp_gt_i32_e64 s0, s15, v7
	v_add3_u32 v4, v4, v9, v12
	v_add_co_u32 v5, s1, v1, v11
	s_delay_alu instid0(VALU_DEP_1) | instskip(NEXT) | instid1(VALU_DEP_3)
	v_add_co_ci_u32_e64 v7, s1, 0, v2, s1
	v_lshlrev_b64 v[1:2], 4, v[3:4]
	s_waitcnt lgkmcnt(0)
	s_delay_alu instid0(VALU_DEP_3) | instskip(NEXT) | instid1(VALU_DEP_1)
	v_add_co_u32 v3, s1, v5, s10
	v_add_co_ci_u32_e64 v4, s1, s11, v7, s1
	s_delay_alu instid0(VALU_DEP_3) | instskip(SKIP_4) | instid1(VALU_DEP_3)
	v_add_co_u32 v1, s1, v1, v6
	v_mov_b32_e32 v5, 0
	v_mov_b32_e32 v6, 0
	v_add_co_ci_u32_e64 v2, s1, 0, v2, s1
	v_add_co_u32 v7, s1, v3, 8
	v_dual_mov_b32 v18, v6 :: v_dual_mov_b32 v17, v5
	v_lshl_or_b32 v33, v32, 9, v8
	v_add_co_ci_u32_e64 v8, s1, 0, v4, s1
	v_add_co_u32 v9, s1, s2, v1
	v_mov_b32_e32 v14, v6
	v_mov_b32_e32 v12, v6
	;; [unrolled: 1-line block ×6, first 2 shown]
	v_dual_mov_b32 v24, v6 :: v_dual_mov_b32 v23, v5
	v_dual_mov_b32 v13, v5 :: v_dual_lshlrev_b32 v30, 4, v27
	v_dual_mov_b32 v15, v5 :: v_dual_add_nc_u32 v34, 0x1000, v10
	v_add_co_ci_u32_e64 v10, s1, s3, v2, s1
	v_mov_b32_e32 v11, v5
	v_mov_b32_e32 v21, v5
	;; [unrolled: 1-line block ×4, first 2 shown]
	s_xor_b32 s1, vcc_lo, -1
	s_branch .LBB1834_3
.LBB1834_2:                             ;   in Loop: Header=BB1834_3 Depth=1
	s_or_b32 exec_lo, exec_lo, s2
	s_waitcnt lgkmcnt(0)
	s_barrier
	buffer_gl0_inv
	ds_load_b128 v[1:4], v31
	ds_load_b128 v[35:38], v30
	ds_load_b128 v[39:42], v30 offset:256
	ds_load_b128 v[43:46], v31 offset:2048
	;; [unrolled: 1-line block ×9, first 2 shown]
	s_add_u32 s12, s12, 8
	s_addc_u32 s13, s13, 0
	v_add_co_u32 v7, vcc_lo, 0x80, v7
	v_cmp_ge_i64_e64 s2, s[12:13], s[4:5]
	v_add_co_ci_u32_e32 v8, vcc_lo, 0, v8, vcc_lo
	v_add_co_u32 v9, vcc_lo, 0x80, v9
	v_add_co_ci_u32_e32 v10, vcc_lo, 0, v10, vcc_lo
	s_delay_alu instid0(VALU_DEP_4)
	s_and_b32 vcc_lo, exec_lo, s2
	s_waitcnt lgkmcnt(9)
	v_mul_f64 v[75:76], v[3:4], v[37:38]
	v_mul_f64 v[77:78], v[1:2], v[37:38]
	s_waitcnt lgkmcnt(8)
	v_mul_f64 v[79:80], v[3:4], v[41:42]
	v_mul_f64 v[81:82], v[1:2], v[41:42]
	;; [unrolled: 3-line block ×3, first 2 shown]
	v_mul_f64 v[85:86], v[45:46], v[41:42]
	v_mul_f64 v[41:42], v[43:44], v[41:42]
	s_waitcnt lgkmcnt(4)
	v_mul_f64 v[87:88], v[49:50], v[57:58]
	v_mul_f64 v[89:90], v[47:48], v[57:58]
	s_waitcnt lgkmcnt(3)
	v_mul_f64 v[91:92], v[49:50], v[61:62]
	v_mul_f64 v[93:94], v[47:48], v[61:62]
	;; [unrolled: 1-line block ×6, first 2 shown]
	s_waitcnt lgkmcnt(0)
	v_mul_f64 v[115:116], v[73:74], v[65:66]
	v_mul_f64 v[117:118], v[73:74], v[69:70]
	v_fma_f64 v[99:100], v[1:2], v[35:36], -v[75:76]
	v_fma_f64 v[101:102], v[3:4], v[35:36], v[77:78]
	v_fma_f64 v[79:80], v[1:2], v[39:40], -v[79:80]
	v_fma_f64 v[81:82], v[3:4], v[39:40], v[81:82]
	;; [unrolled: 2-line block ×4, first 2 shown]
	ds_load_b128 v[75:78], v31 offset:32
	v_fma_f64 v[87:88], v[47:48], v[55:56], -v[87:88]
	v_fma_f64 v[89:90], v[49:50], v[55:56], v[89:90]
	v_fma_f64 v[47:48], v[47:48], v[59:60], -v[91:92]
	v_fma_f64 v[49:50], v[49:50], v[59:60], v[93:94]
	;; [unrolled: 2-line block ×4, first 2 shown]
	ds_load_b128 v[1:4], v31 offset:48
	ds_load_b128 v[35:38], v31 offset:2096
	;; [unrolled: 1-line block ×4, first 2 shown]
	s_waitcnt lgkmcnt(4)
	v_mul_f64 v[107:108], v[77:78], v[65:66]
	v_mul_f64 v[109:110], v[75:76], v[65:66]
	;; [unrolled: 1-line block ×6, first 2 shown]
	s_waitcnt lgkmcnt(1)
	v_mul_f64 v[93:94], v[1:2], v[41:42]
	s_waitcnt lgkmcnt(0)
	v_mul_f64 v[95:96], v[3:4], v[45:46]
	v_add_f64 v[23:24], v[23:24], v[99:100]
	v_add_f64 v[25:26], v[25:26], v[101:102]
	;; [unrolled: 1-line block ×8, first 2 shown]
	v_mul_f64 v[85:86], v[3:4], v[41:42]
	v_mul_f64 v[97:98], v[1:2], v[45:46]
	;; [unrolled: 1-line block ×6, first 2 shown]
	ds_load_b128 v[11:14], v30 offset:2048
	ds_load_b128 v[15:18], v30 offset:2304
	;; [unrolled: 1-line block ×3, first 2 shown]
	v_fma_f64 v[105:106], v[75:76], v[63:64], -v[107:108]
	v_fma_f64 v[107:108], v[77:78], v[63:64], v[109:110]
	v_fma_f64 v[75:76], v[75:76], v[67:68], -v[111:112]
	v_fma_f64 v[77:78], v[77:78], v[67:68], v[113:114]
	;; [unrolled: 2-line block ×4, first 2 shown]
	s_waitcnt lgkmcnt(0)
	v_mul_f64 v[115:116], v[21:22], v[13:14]
	v_mul_f64 v[117:118], v[21:22], v[17:18]
	v_add_f64 v[69:70], v[23:24], v[87:88]
	v_add_f64 v[71:72], v[25:26], v[89:90]
	;; [unrolled: 1-line block ×8, first 2 shown]
	ds_load_b128 v[23:26], v31 offset:64
	v_fma_f64 v[85:86], v[1:2], v[39:40], -v[85:86]
	v_fma_f64 v[93:94], v[3:4], v[39:40], v[93:94]
	v_fma_f64 v[95:96], v[1:2], v[43:44], -v[95:96]
	v_fma_f64 v[97:98], v[3:4], v[43:44], v[97:98]
	;; [unrolled: 2-line block ×4, first 2 shown]
	ds_load_b128 v[45:48], v31 offset:80
	ds_load_b128 v[49:52], v31 offset:2128
	ds_load_b128 v[53:56], v30 offset:2560
	ds_load_b128 v[57:60], v30 offset:2816
	ds_load_b128 v[1:4], v30 offset:3072
	ds_load_b128 v[35:38], v30 offset:3328
	ds_load_b128 v[39:42], v31 offset:2144
	s_waitcnt lgkmcnt(7)
	v_mul_f64 v[89:90], v[25:26], v[13:14]
	v_mul_f64 v[91:92], v[23:24], v[13:14]
	;; [unrolled: 1-line block ×6, first 2 shown]
	s_waitcnt lgkmcnt(3)
	v_mul_f64 v[103:104], v[51:52], v[59:60]
	v_add_f64 v[69:70], v[69:70], v[105:106]
	v_add_f64 v[71:72], v[71:72], v[107:108]
	;; [unrolled: 1-line block ×8, first 2 shown]
	v_mul_f64 v[77:78], v[47:48], v[55:56]
	v_mul_f64 v[79:80], v[45:46], v[55:56]
	;; [unrolled: 1-line block ×7, first 2 shown]
	v_fma_f64 v[89:90], v[23:24], v[11:12], -v[89:90]
	v_fma_f64 v[91:92], v[25:26], v[11:12], v[91:92]
	v_fma_f64 v[107:108], v[23:24], v[15:16], -v[111:112]
	v_fma_f64 v[109:110], v[25:26], v[15:16], v[113:114]
	;; [unrolled: 2-line block ×4, first 2 shown]
	ds_load_b128 v[11:14], v31 offset:96
	v_add_f64 v[69:70], v[69:70], v[85:86]
	v_add_f64 v[71:72], v[71:72], v[93:94]
	;; [unrolled: 1-line block ×8, first 2 shown]
	s_waitcnt lgkmcnt(1)
	v_mul_f64 v[99:100], v[41:42], v[3:4]
	v_mul_f64 v[101:102], v[41:42], v[37:38]
	v_fma_f64 v[77:78], v[45:46], v[53:54], -v[77:78]
	v_fma_f64 v[79:80], v[47:48], v[53:54], v[79:80]
	v_fma_f64 v[45:46], v[45:46], v[57:58], -v[81:82]
	v_fma_f64 v[47:48], v[47:48], v[57:58], v[83:84]
	;; [unrolled: 2-line block ×4, first 2 shown]
	s_waitcnt lgkmcnt(0)
	v_mul_f64 v[67:68], v[13:14], v[3:4]
	v_mul_f64 v[93:94], v[11:12], v[3:4]
	;; [unrolled: 1-line block ×6, first 2 shown]
	ds_load_b128 v[15:18], v31 offset:112
	ds_load_b128 v[19:22], v31 offset:2160
	;; [unrolled: 1-line block ×4, first 2 shown]
	s_waitcnt lgkmcnt(0)
	s_barrier
	buffer_gl0_inv
	v_add_f64 v[55:56], v[69:70], v[89:90]
	v_add_f64 v[57:58], v[71:72], v[91:92]
	;; [unrolled: 1-line block ×8, first 2 shown]
	v_mul_f64 v[75:76], v[17:18], v[25:26]
	v_mul_f64 v[83:84], v[15:16], v[25:26]
	;; [unrolled: 1-line block ×8, first 2 shown]
	v_fma_f64 v[67:68], v[11:12], v[1:2], -v[67:68]
	v_fma_f64 v[93:94], v[13:14], v[1:2], v[93:94]
	v_fma_f64 v[11:12], v[11:12], v[35:36], -v[95:96]
	v_fma_f64 v[13:14], v[13:14], v[35:36], v[97:98]
	;; [unrolled: 2-line block ×4, first 2 shown]
	v_add_f64 v[37:38], v[55:56], v[77:78]
	v_add_f64 v[39:40], v[57:58], v[79:80]
	v_add_f64 v[41:42], v[69:70], v[45:46]
	v_add_f64 v[45:46], v[71:72], v[47:48]
	v_add_f64 v[47:48], v[73:74], v[81:82]
	v_add_f64 v[53:54], v[63:64], v[53:54]
	v_add_f64 v[49:50], v[65:66], v[49:50]
	v_add_f64 v[43:44], v[43:44], v[51:52]
	v_fma_f64 v[51:52], v[15:16], v[23:24], -v[75:76]
	v_fma_f64 v[55:56], v[17:18], v[23:24], v[83:84]
	v_fma_f64 v[15:16], v[15:16], v[59:60], -v[85:86]
	v_fma_f64 v[17:18], v[17:18], v[59:60], v[87:88]
	;; [unrolled: 2-line block ×4, first 2 shown]
	v_add_f64 v[19:20], v[37:38], v[67:68]
	v_add_f64 v[21:22], v[39:40], v[93:94]
	;; [unrolled: 1-line block ×16, first 2 shown]
	s_cbranch_vccnz .LBB1834_9
.LBB1834_3:                             ; =>This Inner Loop Header: Depth=1
	v_add_co_u32 v1, s2, v32, s12
	s_delay_alu instid0(VALU_DEP_1) | instskip(SKIP_1) | instid1(VALU_DEP_2)
	v_add_co_ci_u32_e64 v2, null, 0, s13, s2
	v_dual_mov_b32 v3, v5 :: v_dual_mov_b32 v4, v6
	v_cmp_gt_i64_e32 vcc_lo, s[4:5], v[1:2]
	v_dual_mov_b32 v1, v5 :: v_dual_mov_b32 v2, v6
	s_and_b32 s3, s0, vcc_lo
	s_delay_alu instid0(SALU_CYCLE_1)
	s_and_saveexec_b32 s2, s3
	s_cbranch_execz .LBB1834_5
; %bb.4:                                ;   in Loop: Header=BB1834_3 Depth=1
	global_load_b128 v[1:4], v[7:8], off offset:-8
	s_waitcnt vmcnt(0)
	v_xor_b32_e32 v4, 0x80000000, v4
.LBB1834_5:                             ;   in Loop: Header=BB1834_3 Depth=1
	s_or_b32 exec_lo, exec_lo, s2
	v_add_co_u32 v35, s2, v29, s12
	s_delay_alu instid0(VALU_DEP_1) | instskip(SKIP_3) | instid1(SALU_CYCLE_1)
	v_add_co_ci_u32_e64 v36, null, 0, s13, s2
	ds_store_b128 v33, v[1:4]
	v_cmp_le_i64_e32 vcc_lo, s[4:5], v[35:36]
	s_or_b32 s2, vcc_lo, s1
	s_and_saveexec_b32 s3, s2
	s_delay_alu instid0(SALU_CYCLE_1)
	s_xor_b32 s2, exec_lo, s3
	s_cbranch_execz .LBB1834_7
; %bb.6:                                ;   in Loop: Header=BB1834_3 Depth=1
	v_mov_b32_e32 v1, v0
	v_mov_b32_e32 v2, v0
	;; [unrolled: 1-line block ×3, first 2 shown]
	ds_store_b128 v34, v[0:3]
.LBB1834_7:                             ;   in Loop: Header=BB1834_3 Depth=1
	s_and_not1_saveexec_b32 s2, s2
	s_cbranch_execz .LBB1834_2
; %bb.8:                                ;   in Loop: Header=BB1834_3 Depth=1
	global_load_b128 v[1:4], v[9:10], off
	s_waitcnt vmcnt(0)
	ds_store_2addr_b64 v34, v[1:2], v[3:4] offset1:1
	s_branch .LBB1834_2
.LBB1834_9:
	v_add_nc_u32_e32 v4, s14, v28
	s_delay_alu instid0(VALU_DEP_1) | instskip(SKIP_2) | instid1(VALU_DEP_3)
	v_ashrrev_i32_e32 v0, 31, v4
	v_mul_lo_u32 v3, v4, s19
	v_mad_u64_u32 v[1:2], null, v4, s18, 0
	v_mul_lo_u32 v0, v0, s18
	s_delay_alu instid0(VALU_DEP_1) | instskip(SKIP_1) | instid1(VALU_DEP_2)
	v_add3_u32 v2, v2, v3, v0
	v_add_nc_u32_e32 v0, s24, v27
	v_lshlrev_b64 v[1:2], 4, v[1:2]
	s_delay_alu instid0(VALU_DEP_2) | instskip(SKIP_2) | instid1(VALU_DEP_3)
	v_cmp_le_i32_e64 s0, v4, v0
	s_waitcnt lgkmcnt(0)
	v_cmp_gt_i32_e32 vcc_lo, s15, v0
	v_add_co_u32 v5, s1, s16, v1
	s_delay_alu instid0(VALU_DEP_1) | instskip(SKIP_1) | instid1(SALU_CYCLE_1)
	v_add_co_ci_u32_e64 v6, s1, s17, v2, s1
	s_and_b32 s0, s0, vcc_lo
	s_and_saveexec_b32 s2, s0
	s_cbranch_execz .LBB1834_11
; %bb.10:
	v_mul_f64 v[1:2], s[6:7], v[25:26]
	v_mul_f64 v[7:8], s[8:9], v[25:26]
	v_cmp_ne_u32_e64 s0, v4, v0
	s_delay_alu instid0(VALU_DEP_3) | instskip(NEXT) | instid1(VALU_DEP_3)
	v_fma_f64 v[2:3], s[8:9], v[23:24], v[1:2]
	v_fma_f64 v[7:8], s[6:7], v[23:24], -v[7:8]
	v_ashrrev_i32_e32 v1, 31, v0
	s_delay_alu instid0(VALU_DEP_1) | instskip(NEXT) | instid1(VALU_DEP_1)
	v_lshlrev_b64 v[9:10], 4, v[0:1]
	v_add_co_u32 v23, s1, v5, v9
	s_delay_alu instid0(VALU_DEP_1)
	v_add_co_ci_u32_e64 v24, s1, v6, v10, s1
	v_cndmask_b32_e64 v10, 0, v3, s0
	v_cndmask_b32_e64 v9, 0, v2, s0
	global_store_b128 v[23:24], v[7:10], off
.LBB1834_11:
	s_or_b32 exec_lo, exec_lo, s2
	v_add_nc_u32_e32 v2, 16, v0
	s_delay_alu instid0(VALU_DEP_1) | instskip(SKIP_1) | instid1(VALU_DEP_1)
	v_cmp_le_i32_e64 s1, v4, v2
	v_cmp_gt_i32_e64 s0, s15, v2
	s_and_b32 s1, s1, s0
	s_delay_alu instid0(SALU_CYCLE_1)
	s_and_saveexec_b32 s3, s1
	s_cbranch_execz .LBB1834_13
; %bb.12:
	v_mul_f64 v[7:8], s[6:7], v[21:22]
	v_mul_f64 v[9:10], s[8:9], v[21:22]
	v_ashrrev_i32_e32 v3, 31, v2
	v_cmp_ne_u32_e64 s1, v4, v2
	s_delay_alu instid0(VALU_DEP_4) | instskip(NEXT) | instid1(VALU_DEP_4)
	v_fma_f64 v[21:22], s[8:9], v[19:20], v[7:8]
	v_fma_f64 v[7:8], s[6:7], v[19:20], -v[9:10]
	s_delay_alu instid0(VALU_DEP_4) | instskip(NEXT) | instid1(VALU_DEP_1)
	v_lshlrev_b64 v[9:10], 4, v[2:3]
	v_add_co_u32 v5, s2, v5, v9
	s_delay_alu instid0(VALU_DEP_1)
	v_add_co_ci_u32_e64 v6, s2, v6, v10, s2
	v_cndmask_b32_e64 v10, 0, v22, s1
	v_cndmask_b32_e64 v9, 0, v21, s1
	global_store_b128 v[5:6], v[7:10], off
.LBB1834_13:
	s_or_b32 exec_lo, exec_lo, s3
	v_add_nc_u32_e32 v3, 16, v4
	s_delay_alu instid0(VALU_DEP_1) | instskip(SKIP_3) | instid1(VALU_DEP_4)
	v_ashrrev_i32_e32 v1, 31, v3
	v_mul_lo_u32 v7, v3, s19
	v_mad_u64_u32 v[5:6], null, v3, s18, 0
	v_cmp_le_i32_e64 s1, v3, v0
	v_mul_lo_u32 v1, v1, s18
	s_delay_alu instid0(VALU_DEP_2) | instskip(NEXT) | instid1(VALU_DEP_1)
	s_and_b32 s1, s1, vcc_lo
	v_add3_u32 v6, v6, v7, v1
	s_delay_alu instid0(VALU_DEP_1) | instskip(NEXT) | instid1(VALU_DEP_1)
	v_lshlrev_b64 v[5:6], 4, v[5:6]
	v_add_co_u32 v5, s2, s16, v5
	s_delay_alu instid0(VALU_DEP_1)
	v_add_co_ci_u32_e64 v6, s2, s17, v6, s2
	s_and_saveexec_b32 s2, s1
	s_cbranch_execz .LBB1834_15
; %bb.14:
	v_mul_f64 v[7:8], s[6:7], v[17:18]
	v_mul_f64 v[9:10], s[8:9], v[17:18]
	v_ashrrev_i32_e32 v1, 31, v0
	v_cmp_ne_u32_e32 vcc_lo, v3, v0
	s_delay_alu instid0(VALU_DEP_4) | instskip(NEXT) | instid1(VALU_DEP_4)
	v_fma_f64 v[17:18], s[8:9], v[15:16], v[7:8]
	v_fma_f64 v[7:8], s[6:7], v[15:16], -v[9:10]
	s_delay_alu instid0(VALU_DEP_4) | instskip(NEXT) | instid1(VALU_DEP_1)
	v_lshlrev_b64 v[9:10], 4, v[0:1]
	v_add_co_u32 v15, s1, v5, v9
	s_delay_alu instid0(VALU_DEP_1)
	v_add_co_ci_u32_e64 v16, s1, v6, v10, s1
	v_dual_cndmask_b32 v10, 0, v18 :: v_dual_cndmask_b32 v9, 0, v17
	global_store_b128 v[15:16], v[7:10], off
.LBB1834_15:
	s_or_b32 exec_lo, exec_lo, s2
	v_cmp_le_i32_e32 vcc_lo, v3, v2
	s_and_b32 s0, vcc_lo, s0
	s_delay_alu instid0(SALU_CYCLE_1)
	s_and_saveexec_b32 s1, s0
	s_cbranch_execz .LBB1834_17
; %bb.16:
	v_mul_f64 v[7:8], s[6:7], v[13:14]
	v_mul_f64 v[9:10], s[8:9], v[13:14]
	v_ashrrev_i32_e32 v3, 31, v2
	v_cmp_ne_u32_e32 vcc_lo, v4, v0
	s_delay_alu instid0(VALU_DEP_2) | instskip(NEXT) | instid1(VALU_DEP_1)
	v_lshlrev_b64 v[1:2], 4, v[2:3]
	v_add_co_u32 v0, s0, v5, v1
	s_delay_alu instid0(VALU_DEP_1) | instskip(SKIP_2) | instid1(VALU_DEP_2)
	v_add_co_ci_u32_e64 v1, s0, v6, v2, s0
	v_fma_f64 v[13:14], s[8:9], v[11:12], v[7:8]
	v_fma_f64 v[7:8], s[6:7], v[11:12], -v[9:10]
	v_dual_cndmask_b32 v10, 0, v14 :: v_dual_cndmask_b32 v9, 0, v13
	global_store_b128 v[0:1], v[7:10], off
.LBB1834_17:
	s_nop 0
	s_sendmsg sendmsg(MSG_DEALLOC_VGPRS)
	s_endpgm
	.section	.rodata,"a",@progbits
	.p2align	6, 0x0
	.amdhsa_kernel _ZL34rocblas_syrkx_herkx_general_kernelIl19rocblas_complex_numIdELi16ELi32ELi8ELb1ELb1ELc67ELc76EKPKS1_KPS1_EviT_T0_PT8_S7_lSA_S7_lS8_PT9_S7_li
		.amdhsa_group_segment_fixed_size 8192
		.amdhsa_private_segment_fixed_size 0
		.amdhsa_kernarg_size 124
		.amdhsa_user_sgpr_count 13
		.amdhsa_user_sgpr_dispatch_ptr 0
		.amdhsa_user_sgpr_queue_ptr 0
		.amdhsa_user_sgpr_kernarg_segment_ptr 1
		.amdhsa_user_sgpr_dispatch_id 0
		.amdhsa_user_sgpr_private_segment_size 0
		.amdhsa_wavefront_size32 1
		.amdhsa_uses_dynamic_stack 0
		.amdhsa_enable_private_segment 0
		.amdhsa_system_sgpr_workgroup_id_x 1
		.amdhsa_system_sgpr_workgroup_id_y 1
		.amdhsa_system_sgpr_workgroup_id_z 1
		.amdhsa_system_sgpr_workgroup_info 0
		.amdhsa_system_vgpr_workitem_id 1
		.amdhsa_next_free_vgpr 121
		.amdhsa_next_free_sgpr 28
		.amdhsa_reserve_vcc 1
		.amdhsa_float_round_mode_32 0
		.amdhsa_float_round_mode_16_64 0
		.amdhsa_float_denorm_mode_32 3
		.amdhsa_float_denorm_mode_16_64 3
		.amdhsa_dx10_clamp 1
		.amdhsa_ieee_mode 1
		.amdhsa_fp16_overflow 0
		.amdhsa_workgroup_processor_mode 1
		.amdhsa_memory_ordered 1
		.amdhsa_forward_progress 0
		.amdhsa_shared_vgpr_count 0
		.amdhsa_exception_fp_ieee_invalid_op 0
		.amdhsa_exception_fp_denorm_src 0
		.amdhsa_exception_fp_ieee_div_zero 0
		.amdhsa_exception_fp_ieee_overflow 0
		.amdhsa_exception_fp_ieee_underflow 0
		.amdhsa_exception_fp_ieee_inexact 0
		.amdhsa_exception_int_div_zero 0
	.end_amdhsa_kernel
	.section	.text._ZL34rocblas_syrkx_herkx_general_kernelIl19rocblas_complex_numIdELi16ELi32ELi8ELb1ELb1ELc67ELc76EKPKS1_KPS1_EviT_T0_PT8_S7_lSA_S7_lS8_PT9_S7_li,"axG",@progbits,_ZL34rocblas_syrkx_herkx_general_kernelIl19rocblas_complex_numIdELi16ELi32ELi8ELb1ELb1ELc67ELc76EKPKS1_KPS1_EviT_T0_PT8_S7_lSA_S7_lS8_PT9_S7_li,comdat
.Lfunc_end1834:
	.size	_ZL34rocblas_syrkx_herkx_general_kernelIl19rocblas_complex_numIdELi16ELi32ELi8ELb1ELb1ELc67ELc76EKPKS1_KPS1_EviT_T0_PT8_S7_lSA_S7_lS8_PT9_S7_li, .Lfunc_end1834-_ZL34rocblas_syrkx_herkx_general_kernelIl19rocblas_complex_numIdELi16ELi32ELi8ELb1ELb1ELc67ELc76EKPKS1_KPS1_EviT_T0_PT8_S7_lSA_S7_lS8_PT9_S7_li
                                        ; -- End function
	.section	.AMDGPU.csdata,"",@progbits
; Kernel info:
; codeLenInByte = 3420
; NumSgprs: 30
; NumVgprs: 121
; ScratchSize: 0
; MemoryBound: 1
; FloatMode: 240
; IeeeMode: 1
; LDSByteSize: 8192 bytes/workgroup (compile time only)
; SGPRBlocks: 3
; VGPRBlocks: 15
; NumSGPRsForWavesPerEU: 30
; NumVGPRsForWavesPerEU: 121
; Occupancy: 10
; WaveLimiterHint : 1
; COMPUTE_PGM_RSRC2:SCRATCH_EN: 0
; COMPUTE_PGM_RSRC2:USER_SGPR: 13
; COMPUTE_PGM_RSRC2:TRAP_HANDLER: 0
; COMPUTE_PGM_RSRC2:TGID_X_EN: 1
; COMPUTE_PGM_RSRC2:TGID_Y_EN: 1
; COMPUTE_PGM_RSRC2:TGID_Z_EN: 1
; COMPUTE_PGM_RSRC2:TIDIG_COMP_CNT: 1
	.section	.text._ZL34rocblas_syrkx_herkx_general_kernelIl19rocblas_complex_numIdELi16ELi32ELi8ELb1ELb1ELc78ELc76EKPKS1_KPS1_EviT_T0_PT8_S7_lSA_S7_lS8_PT9_S7_li,"axG",@progbits,_ZL34rocblas_syrkx_herkx_general_kernelIl19rocblas_complex_numIdELi16ELi32ELi8ELb1ELb1ELc78ELc76EKPKS1_KPS1_EviT_T0_PT8_S7_lSA_S7_lS8_PT9_S7_li,comdat
	.globl	_ZL34rocblas_syrkx_herkx_general_kernelIl19rocblas_complex_numIdELi16ELi32ELi8ELb1ELb1ELc78ELc76EKPKS1_KPS1_EviT_T0_PT8_S7_lSA_S7_lS8_PT9_S7_li ; -- Begin function _ZL34rocblas_syrkx_herkx_general_kernelIl19rocblas_complex_numIdELi16ELi32ELi8ELb1ELb1ELc78ELc76EKPKS1_KPS1_EviT_T0_PT8_S7_lSA_S7_lS8_PT9_S7_li
	.p2align	8
	.type	_ZL34rocblas_syrkx_herkx_general_kernelIl19rocblas_complex_numIdELi16ELi32ELi8ELb1ELb1ELc78ELc76EKPKS1_KPS1_EviT_T0_PT8_S7_lSA_S7_lS8_PT9_S7_li,@function
_ZL34rocblas_syrkx_herkx_general_kernelIl19rocblas_complex_numIdELi16ELi32ELi8ELb1ELb1ELc78ELc76EKPKS1_KPS1_EviT_T0_PT8_S7_lSA_S7_lS8_PT9_S7_li: ; @_ZL34rocblas_syrkx_herkx_general_kernelIl19rocblas_complex_numIdELi16ELi32ELi8ELb1ELb1ELc78ELc76EKPKS1_KPS1_EviT_T0_PT8_S7_lSA_S7_lS8_PT9_S7_li
; %bb.0:
	s_clause 0x1
	s_load_b128 s[16:19], s[0:1], 0x60
	s_load_b256 s[4:11], s[0:1], 0x8
	s_mov_b32 s2, s15
	s_mov_b32 s3, 0
	s_load_b64 s[20:21], s[0:1], 0x28
	s_lshl_b64 s[22:23], s[2:3], 3
	v_mov_b32_e32 v21, 0
	v_dual_mov_b32 v22, 0 :: v_dual_and_b32 v25, 0x3ff, v0
	v_bfe_u32 v26, v0, 10, 10
	s_delay_alu instid0(VALU_DEP_3) | instskip(NEXT) | instid1(VALU_DEP_3)
	v_mov_b32_e32 v17, v21
	v_dual_mov_b32 v19, v21 :: v_dual_mov_b32 v20, v22
	v_dual_mov_b32 v24, v22 :: v_dual_mov_b32 v23, v21
	;; [unrolled: 1-line block ×4, first 2 shown]
	v_mov_b32_e32 v16, v22
	s_waitcnt lgkmcnt(0)
	s_add_u32 s2, s16, s22
	s_addc_u32 s3, s17, s23
	s_load_b32 s15, s[0:1], 0x0
	s_load_b64 s[16:17], s[2:3], 0x0
	v_cmp_lt_i64_e64 s2, s[4:5], 1
	v_dual_mov_b32 v11, v21 :: v_dual_mov_b32 v12, v22
	v_dual_mov_b32 v9, v21 :: v_dual_mov_b32 v10, v22
	s_lshl_b32 s24, s13, 5
	s_lshl_b32 s14, s14, 5
	s_delay_alu instid0(VALU_DEP_3)
	s_and_b32 vcc_lo, exec_lo, s2
	s_mov_b64 s[12:13], 0
	s_cbranch_vccnz .LBB1835_9
; %bb.1:
	s_load_b128 s[0:3], s[0:1], 0x38
	v_lshl_add_u32 v1, v26, 4, v25
	v_dual_mov_b32 v0, 0 :: v_dual_and_b32 v27, 7, v25
	v_dual_mov_b32 v9, 0 :: v_dual_lshlrev_b32 v28, 4, v25
	s_delay_alu instid0(VALU_DEP_3) | instskip(SKIP_3) | instid1(VALU_DEP_4)
	v_lshrrev_b32_e32 v30, 5, v1
	v_dual_mov_b32 v10, 0 :: v_dual_and_b32 v7, 31, v1
	v_lshrrev_b32_e32 v2, 3, v1
	v_lshlrev_b32_e32 v8, 4, v27
	v_mad_u64_u32 v[5:6], null, s20, v30, 0
	s_delay_alu instid0(VALU_DEP_4)
	v_or_b32_e32 v11, s24, v7
	v_lshlrev_b32_e32 v12, 4, v7
	v_dual_mov_b32 v20, v10 :: v_dual_add_nc_u32 v7, s24, v7
	v_mov_b32_e32 v18, v10
	s_waitcnt lgkmcnt(0)
	v_cmp_gt_i32_e32 vcc_lo, s15, v11
	v_lshl_or_b32 v31, v30, 9, v12
	v_mad_u64_u32 v[3:4], null, s2, v27, 0
	s_add_u32 s0, s0, s22
	s_addc_u32 s1, s1, s23
	s_add_u32 s10, s10, s22
	s_load_b64 s[26:27], s[0:1], 0x0
	s_addc_u32 s11, s11, s23
	v_mov_b32_e32 v24, v10
	s_delay_alu instid0(VALU_DEP_2)
	v_mad_u64_u32 v[11:12], null, s3, v27, v[4:5]
	v_mad_u64_u32 v[12:13], null, s21, v30, v[6:7]
	v_add_nc_u32_e32 v1, s14, v2
	s_load_b64 s[10:11], s[10:11], 0x0
	v_mov_b32_e32 v22, v10
	v_lshl_add_u32 v29, v26, 7, 0x1000
	v_mov_b32_e32 v4, v11
	v_cmp_gt_i32_e64 s0, s15, v1
	v_mov_b32_e32 v6, v12
	v_dual_mov_b32 v12, v10 :: v_dual_mov_b32 v19, v9
	v_mov_b32_e32 v11, v9
	v_lshl_or_b32 v15, v2, 7, v8
	v_ashrrev_i32_e32 v2, 31, v1
	v_ashrrev_i32_e32 v8, 31, v7
	v_mov_b32_e32 v17, v9
	s_delay_alu instid0(VALU_DEP_4) | instskip(NEXT) | instid1(VALU_DEP_4)
	v_dual_mov_b32 v21, v9 :: v_dual_add_nc_u32 v32, 0x1000, v15
	v_lshlrev_b64 v[13:14], 4, v[1:2]
	v_lshlrev_b64 v[2:3], 4, v[3:4]
	;; [unrolled: 1-line block ×4, first 2 shown]
	v_dual_mov_b32 v16, v10 :: v_dual_mov_b32 v15, v9
	v_mov_b32_e32 v23, v9
	v_add_co_u32 v1, s1, v2, v13
	s_delay_alu instid0(VALU_DEP_1) | instskip(SKIP_1) | instid1(VALU_DEP_1)
	v_add_co_ci_u32_e64 v2, s1, v3, v14, s1
	v_add_co_u32 v3, s1, v4, v7
	v_add_co_ci_u32_e64 v4, s1, v5, v8, s1
	s_waitcnt lgkmcnt(0)
	v_add_co_u32 v1, s1, v1, s26
	s_delay_alu instid0(VALU_DEP_1) | instskip(SKIP_1) | instid1(VALU_DEP_1)
	v_add_co_ci_u32_e64 v2, s1, s27, v2, s1
	v_add_co_u32 v5, s1, s10, v3
	v_add_co_ci_u32_e64 v6, s1, s11, v4, s1
	s_delay_alu instid0(VALU_DEP_4)
	v_add_co_u32 v7, s1, v1, 8
	v_mov_b32_e32 v14, v10
	v_add_co_ci_u32_e64 v8, s1, 0, v2, s1
	v_mov_b32_e32 v13, v9
	s_lshl_b64 s[10:11], s[20:21], 7
	s_lshl_b64 s[2:3], s[2:3], 7
	s_xor_b32 s1, vcc_lo, -1
	s_branch .LBB1835_3
.LBB1835_2:                             ;   in Loop: Header=BB1835_3 Depth=1
	s_or_b32 exec_lo, exec_lo, s20
	ds_store_b128 v32, v[1:4]
	s_waitcnt lgkmcnt(0)
	s_barrier
	buffer_gl0_inv
	ds_load_b128 v[1:4], v29
	ds_load_b128 v[33:36], v28
	ds_load_b128 v[37:40], v28 offset:256
	ds_load_b128 v[41:44], v29 offset:2048
	;; [unrolled: 1-line block ×9, first 2 shown]
	s_add_u32 s12, s12, 8
	s_addc_u32 s13, s13, 0
	v_add_co_u32 v5, vcc_lo, v5, s10
	v_cmp_ge_i64_e64 s20, s[12:13], s[4:5]
	v_add_co_ci_u32_e32 v6, vcc_lo, s11, v6, vcc_lo
	v_add_co_u32 v7, vcc_lo, v7, s2
	v_add_co_ci_u32_e32 v8, vcc_lo, s3, v8, vcc_lo
	s_delay_alu instid0(VALU_DEP_4)
	s_and_b32 vcc_lo, exec_lo, s20
	s_waitcnt lgkmcnt(9)
	v_mul_f64 v[73:74], v[3:4], v[35:36]
	v_mul_f64 v[75:76], v[1:2], v[35:36]
	s_waitcnt lgkmcnt(8)
	v_mul_f64 v[77:78], v[3:4], v[39:40]
	v_mul_f64 v[79:80], v[1:2], v[39:40]
	;; [unrolled: 3-line block ×3, first 2 shown]
	v_mul_f64 v[83:84], v[43:44], v[39:40]
	v_mul_f64 v[39:40], v[41:42], v[39:40]
	s_waitcnt lgkmcnt(4)
	v_mul_f64 v[85:86], v[47:48], v[55:56]
	v_mul_f64 v[87:88], v[45:46], v[55:56]
	s_waitcnt lgkmcnt(3)
	v_mul_f64 v[89:90], v[47:48], v[59:60]
	v_mul_f64 v[91:92], v[45:46], v[59:60]
	;; [unrolled: 1-line block ×6, first 2 shown]
	v_fma_f64 v[97:98], v[1:2], v[33:34], -v[73:74]
	v_fma_f64 v[99:100], v[3:4], v[33:34], v[75:76]
	ds_load_b128 v[73:76], v29 offset:32
	v_fma_f64 v[77:78], v[1:2], v[37:38], -v[77:78]
	v_fma_f64 v[79:80], v[3:4], v[37:38], v[79:80]
	v_fma_f64 v[81:82], v[41:42], v[33:34], -v[81:82]
	v_fma_f64 v[101:102], v[43:44], v[33:34], v[35:36]
	;; [unrolled: 2-line block ×3, first 2 shown]
	s_waitcnt lgkmcnt(1)
	v_mul_f64 v[113:114], v[71:72], v[63:64]
	v_fma_f64 v[85:86], v[45:46], v[53:54], -v[85:86]
	v_fma_f64 v[87:88], v[47:48], v[53:54], v[87:88]
	v_fma_f64 v[45:46], v[45:46], v[57:58], -v[89:90]
	v_fma_f64 v[47:48], v[47:48], v[57:58], v[91:92]
	v_mul_f64 v[89:90], v[71:72], v[67:68]
	v_fma_f64 v[91:92], v[49:50], v[53:54], -v[93:94]
	v_fma_f64 v[53:54], v[51:52], v[53:54], v[55:56]
	v_fma_f64 v[49:50], v[49:50], v[57:58], -v[95:96]
	v_fma_f64 v[51:52], v[51:52], v[57:58], v[59:60]
	ds_load_b128 v[1:4], v29 offset:48
	ds_load_b128 v[33:36], v29 offset:2096
	;; [unrolled: 1-line block ×4, first 2 shown]
	s_waitcnt lgkmcnt(4)
	v_mul_f64 v[105:106], v[75:76], v[63:64]
	v_mul_f64 v[107:108], v[73:74], v[63:64]
	;; [unrolled: 1-line block ×6, first 2 shown]
	s_waitcnt lgkmcnt(1)
	v_mul_f64 v[93:94], v[1:2], v[39:40]
	v_add_f64 v[21:22], v[21:22], v[97:98]
	v_add_f64 v[23:24], v[23:24], v[99:100]
	v_add_f64 v[55:56], v[17:18], v[77:78]
	v_add_f64 v[57:58], v[19:20], v[79:80]
	v_add_f64 v[59:60], v[13:14], v[81:82]
	v_add_f64 v[77:78], v[15:16], v[101:102]
	v_add_f64 v[79:80], v[11:12], v[83:84]
	v_add_f64 v[81:82], v[9:10], v[103:104]
	v_mul_f64 v[83:84], v[3:4], v[39:40]
	s_waitcnt lgkmcnt(0)
	v_mul_f64 v[95:96], v[3:4], v[43:44]
	v_mul_f64 v[97:98], v[1:2], v[43:44]
	;; [unrolled: 1-line block ×6, first 2 shown]
	ds_load_b128 v[9:12], v28 offset:2048
	ds_load_b128 v[13:16], v28 offset:2304
	;; [unrolled: 1-line block ×3, first 2 shown]
	v_fma_f64 v[105:106], v[73:74], v[61:62], -v[105:106]
	v_fma_f64 v[107:108], v[75:76], v[61:62], v[107:108]
	v_fma_f64 v[73:74], v[73:74], v[65:66], -v[109:110]
	v_fma_f64 v[75:76], v[75:76], v[65:66], v[111:112]
	;; [unrolled: 2-line block ×4, first 2 shown]
	s_waitcnt lgkmcnt(0)
	v_mul_f64 v[113:114], v[19:20], v[11:12]
	v_mul_f64 v[115:116], v[19:20], v[15:16]
	v_fma_f64 v[93:94], v[3:4], v[37:38], v[93:94]
	v_add_f64 v[67:68], v[21:22], v[85:86]
	v_add_f64 v[69:70], v[23:24], v[87:88]
	;; [unrolled: 1-line block ×8, first 2 shown]
	ds_load_b128 v[21:24], v29 offset:64
	v_fma_f64 v[83:84], v[1:2], v[37:38], -v[83:84]
	v_fma_f64 v[95:96], v[1:2], v[41:42], -v[95:96]
	v_fma_f64 v[97:98], v[3:4], v[41:42], v[97:98]
	v_fma_f64 v[99:100], v[33:34], v[37:38], -v[99:100]
	v_fma_f64 v[117:118], v[35:36], v[37:38], v[39:40]
	;; [unrolled: 2-line block ×3, first 2 shown]
	ds_load_b128 v[43:46], v29 offset:80
	ds_load_b128 v[47:50], v29 offset:2128
	;; [unrolled: 1-line block ×7, first 2 shown]
	s_waitcnt lgkmcnt(7)
	v_mul_f64 v[87:88], v[23:24], v[11:12]
	v_mul_f64 v[89:90], v[21:22], v[11:12]
	;; [unrolled: 1-line block ×6, first 2 shown]
	s_waitcnt lgkmcnt(3)
	v_mul_f64 v[103:104], v[49:50], v[57:58]
	v_add_f64 v[67:68], v[67:68], v[105:106]
	v_add_f64 v[69:70], v[69:70], v[107:108]
	;; [unrolled: 1-line block ×8, first 2 shown]
	v_mul_f64 v[75:76], v[45:46], v[53:54]
	v_mul_f64 v[77:78], v[43:44], v[53:54]
	;; [unrolled: 1-line block ×7, first 2 shown]
	v_fma_f64 v[109:110], v[17:18], v[9:10], -v[113:114]
	v_fma_f64 v[113:114], v[17:18], v[13:14], -v[115:116]
	;; [unrolled: 1-line block ×3, first 2 shown]
	v_fma_f64 v[89:90], v[23:24], v[9:10], v[89:90]
	v_fma_f64 v[91:92], v[21:22], v[13:14], -v[91:92]
	v_fma_f64 v[107:108], v[23:24], v[13:14], v[111:112]
	v_fma_f64 v[111:112], v[19:20], v[9:10], v[11:12]
	;; [unrolled: 1-line block ×3, first 2 shown]
	ds_load_b128 v[9:12], v29 offset:96
	v_add_f64 v[67:68], v[67:68], v[83:84]
	v_add_f64 v[69:70], v[69:70], v[93:94]
	;; [unrolled: 1-line block ×8, first 2 shown]
	s_waitcnt lgkmcnt(1)
	v_mul_f64 v[99:100], v[39:40], v[3:4]
	v_fma_f64 v[75:76], v[43:44], v[51:52], -v[75:76]
	v_fma_f64 v[77:78], v[45:46], v[51:52], v[77:78]
	v_fma_f64 v[43:44], v[43:44], v[55:56], -v[79:80]
	v_fma_f64 v[45:46], v[45:46], v[55:56], v[81:82]
	v_mul_f64 v[79:80], v[39:40], v[35:36]
	v_fma_f64 v[81:82], v[47:48], v[51:52], -v[85:86]
	v_fma_f64 v[51:52], v[49:50], v[51:52], v[53:54]
	s_waitcnt lgkmcnt(0)
	v_mul_f64 v[65:66], v[11:12], v[3:4]
	v_mul_f64 v[93:94], v[9:10], v[3:4]
	;; [unrolled: 1-line block ×6, first 2 shown]
	v_fma_f64 v[47:48], v[47:48], v[55:56], -v[103:104]
	v_fma_f64 v[49:50], v[49:50], v[55:56], v[105:106]
	ds_load_b128 v[13:16], v29 offset:112
	ds_load_b128 v[17:20], v29 offset:2160
	;; [unrolled: 1-line block ×4, first 2 shown]
	s_waitcnt lgkmcnt(0)
	s_barrier
	buffer_gl0_inv
	v_add_f64 v[53:54], v[67:68], v[87:88]
	v_add_f64 v[55:56], v[69:70], v[89:90]
	;; [unrolled: 1-line block ×8, first 2 shown]
	v_mul_f64 v[73:74], v[15:16], v[23:24]
	v_mul_f64 v[83:84], v[13:14], v[23:24]
	;; [unrolled: 1-line block ×8, first 2 shown]
	v_fma_f64 v[65:66], v[9:10], v[1:2], -v[65:66]
	v_fma_f64 v[93:94], v[11:12], v[1:2], v[93:94]
	v_fma_f64 v[9:10], v[9:10], v[33:34], -v[95:96]
	v_fma_f64 v[11:12], v[11:12], v[33:34], v[97:98]
	;; [unrolled: 2-line block ×4, first 2 shown]
	v_add_f64 v[35:36], v[53:54], v[75:76]
	v_add_f64 v[37:38], v[55:56], v[77:78]
	;; [unrolled: 1-line block ×8, first 2 shown]
	v_fma_f64 v[49:50], v[13:14], v[21:22], -v[73:74]
	v_fma_f64 v[53:54], v[15:16], v[21:22], v[83:84]
	v_fma_f64 v[13:14], v[13:14], v[57:58], -v[85:86]
	v_fma_f64 v[15:16], v[15:16], v[57:58], v[87:88]
	;; [unrolled: 2-line block ×4, first 2 shown]
	v_add_f64 v[17:18], v[35:36], v[65:66]
	v_add_f64 v[19:20], v[37:38], v[93:94]
	v_add_f64 v[9:10], v[39:40], v[9:10]
	v_add_f64 v[11:12], v[43:44], v[11:12]
	v_add_f64 v[35:36], v[45:46], v[95:96]
	v_add_f64 v[1:2], v[51:52], v[1:2]
	v_add_f64 v[3:4], v[47:48], v[3:4]
	v_add_f64 v[33:34], v[41:42], v[33:34]
	v_add_f64 v[21:22], v[17:18], v[49:50]
	v_add_f64 v[23:24], v[19:20], v[53:54]
	v_add_f64 v[17:18], v[9:10], v[13:14]
	v_add_f64 v[19:20], v[11:12], v[15:16]
	v_add_f64 v[13:14], v[35:36], v[55:56]
	v_add_f64 v[15:16], v[1:2], v[61:62]
	v_add_f64 v[11:12], v[3:4], v[63:64]
	v_add_f64 v[9:10], v[33:34], v[57:58]
	s_cbranch_vccnz .LBB1835_9
.LBB1835_3:                             ; =>This Inner Loop Header: Depth=1
	v_add_co_u32 v1, s20, v30, s12
	s_delay_alu instid0(VALU_DEP_1) | instskip(NEXT) | instid1(VALU_DEP_1)
	v_add_co_ci_u32_e64 v2, null, 0, s13, s20
	v_cmp_le_i64_e32 vcc_lo, s[4:5], v[1:2]
	s_or_b32 s20, s1, vcc_lo
	s_delay_alu instid0(SALU_CYCLE_1) | instskip(NEXT) | instid1(SALU_CYCLE_1)
	s_and_saveexec_b32 s21, s20
	s_xor_b32 s20, exec_lo, s21
	s_cbranch_execz .LBB1835_5
; %bb.4:                                ;   in Loop: Header=BB1835_3 Depth=1
	v_mov_b32_e32 v1, v0
	v_mov_b32_e32 v2, v0
	;; [unrolled: 1-line block ×3, first 2 shown]
	ds_store_b128 v31, v[0:3]
.LBB1835_5:                             ;   in Loop: Header=BB1835_3 Depth=1
	s_and_not1_saveexec_b32 s20, s20
	s_cbranch_execz .LBB1835_7
; %bb.6:                                ;   in Loop: Header=BB1835_3 Depth=1
	global_load_b128 v[1:4], v[5:6], off
	s_waitcnt vmcnt(0)
	ds_store_2addr_b64 v31, v[1:2], v[3:4] offset1:1
.LBB1835_7:                             ;   in Loop: Header=BB1835_3 Depth=1
	s_or_b32 exec_lo, exec_lo, s20
	v_add_co_u32 v3, s20, v27, s12
	s_delay_alu instid0(VALU_DEP_1) | instskip(SKIP_2) | instid1(VALU_DEP_3)
	v_add_co_ci_u32_e64 v4, null, 0, s13, s20
	v_mov_b32_e32 v1, 0
	v_mov_b32_e32 v2, 0
	v_cmp_gt_i64_e32 vcc_lo, s[4:5], v[3:4]
	s_delay_alu instid0(VALU_DEP_2) | instskip(SKIP_1) | instid1(SALU_CYCLE_1)
	v_dual_mov_b32 v4, v2 :: v_dual_mov_b32 v3, v1
	s_and_b32 s21, vcc_lo, s0
	s_and_saveexec_b32 s20, s21
	s_cbranch_execz .LBB1835_2
; %bb.8:                                ;   in Loop: Header=BB1835_3 Depth=1
	global_load_b128 v[1:4], v[7:8], off offset:-8
	s_waitcnt vmcnt(0)
	v_xor_b32_e32 v4, 0x80000000, v4
	s_branch .LBB1835_2
.LBB1835_9:
	v_add_nc_u32_e32 v4, s14, v26
	s_delay_alu instid0(VALU_DEP_1) | instskip(SKIP_2) | instid1(VALU_DEP_3)
	v_ashrrev_i32_e32 v0, 31, v4
	v_mul_lo_u32 v3, v4, s19
	v_mad_u64_u32 v[1:2], null, v4, s18, 0
	v_mul_lo_u32 v0, v0, s18
	s_delay_alu instid0(VALU_DEP_1) | instskip(SKIP_1) | instid1(VALU_DEP_2)
	v_add3_u32 v2, v2, v3, v0
	v_add_nc_u32_e32 v0, s24, v25
	v_lshlrev_b64 v[1:2], 4, v[1:2]
	s_delay_alu instid0(VALU_DEP_2) | instskip(SKIP_2) | instid1(VALU_DEP_3)
	v_cmp_le_i32_e64 s0, v4, v0
	s_waitcnt lgkmcnt(0)
	v_cmp_gt_i32_e32 vcc_lo, s15, v0
	v_add_co_u32 v5, s1, s16, v1
	s_delay_alu instid0(VALU_DEP_1) | instskip(SKIP_1) | instid1(SALU_CYCLE_1)
	v_add_co_ci_u32_e64 v6, s1, s17, v2, s1
	s_and_b32 s0, s0, vcc_lo
	s_and_saveexec_b32 s2, s0
	s_cbranch_execz .LBB1835_11
; %bb.10:
	v_mul_f64 v[1:2], s[6:7], v[23:24]
	v_mul_f64 v[7:8], s[8:9], v[23:24]
	v_cmp_ne_u32_e64 s0, v4, v0
	s_delay_alu instid0(VALU_DEP_3) | instskip(NEXT) | instid1(VALU_DEP_3)
	v_fma_f64 v[2:3], s[8:9], v[21:22], v[1:2]
	v_fma_f64 v[21:22], s[6:7], v[21:22], -v[7:8]
	v_ashrrev_i32_e32 v1, 31, v0
	s_delay_alu instid0(VALU_DEP_1) | instskip(NEXT) | instid1(VALU_DEP_1)
	v_lshlrev_b64 v[7:8], 4, v[0:1]
	v_add_co_u32 v7, s1, v5, v7
	s_delay_alu instid0(VALU_DEP_1)
	v_add_co_ci_u32_e64 v8, s1, v6, v8, s1
	v_cndmask_b32_e64 v24, 0, v3, s0
	v_cndmask_b32_e64 v23, 0, v2, s0
	global_store_b128 v[7:8], v[21:24], off
.LBB1835_11:
	s_or_b32 exec_lo, exec_lo, s2
	v_add_nc_u32_e32 v2, 16, v0
	s_delay_alu instid0(VALU_DEP_1) | instskip(SKIP_1) | instid1(VALU_DEP_1)
	v_cmp_le_i32_e64 s1, v4, v2
	v_cmp_gt_i32_e64 s0, s15, v2
	s_and_b32 s1, s1, s0
	s_delay_alu instid0(SALU_CYCLE_1)
	s_and_saveexec_b32 s3, s1
	s_cbranch_execz .LBB1835_13
; %bb.12:
	v_mul_f64 v[7:8], s[6:7], v[19:20]
	v_mul_f64 v[19:20], s[8:9], v[19:20]
	v_ashrrev_i32_e32 v3, 31, v2
	v_cmp_ne_u32_e64 s1, v4, v2
	s_delay_alu instid0(VALU_DEP_4) | instskip(NEXT) | instid1(VALU_DEP_4)
	v_fma_f64 v[7:8], s[8:9], v[17:18], v[7:8]
	v_fma_f64 v[17:18], s[6:7], v[17:18], -v[19:20]
	s_delay_alu instid0(VALU_DEP_4) | instskip(NEXT) | instid1(VALU_DEP_1)
	v_lshlrev_b64 v[19:20], 4, v[2:3]
	v_add_co_u32 v5, s2, v5, v19
	s_delay_alu instid0(VALU_DEP_1)
	v_add_co_ci_u32_e64 v6, s2, v6, v20, s2
	v_cndmask_b32_e64 v20, 0, v8, s1
	v_cndmask_b32_e64 v19, 0, v7, s1
	global_store_b128 v[5:6], v[17:20], off
.LBB1835_13:
	s_or_b32 exec_lo, exec_lo, s3
	v_add_nc_u32_e32 v3, 16, v4
	s_delay_alu instid0(VALU_DEP_1) | instskip(SKIP_3) | instid1(VALU_DEP_4)
	v_ashrrev_i32_e32 v1, 31, v3
	v_mul_lo_u32 v7, v3, s19
	v_mad_u64_u32 v[5:6], null, v3, s18, 0
	v_cmp_le_i32_e64 s1, v3, v0
	v_mul_lo_u32 v1, v1, s18
	s_delay_alu instid0(VALU_DEP_2) | instskip(NEXT) | instid1(VALU_DEP_1)
	s_and_b32 s1, s1, vcc_lo
	v_add3_u32 v6, v6, v7, v1
	s_delay_alu instid0(VALU_DEP_1) | instskip(NEXT) | instid1(VALU_DEP_1)
	v_lshlrev_b64 v[5:6], 4, v[5:6]
	v_add_co_u32 v5, s2, s16, v5
	s_delay_alu instid0(VALU_DEP_1)
	v_add_co_ci_u32_e64 v6, s2, s17, v6, s2
	s_and_saveexec_b32 s2, s1
	s_cbranch_execz .LBB1835_15
; %bb.14:
	v_mul_f64 v[7:8], s[6:7], v[15:16]
	v_mul_f64 v[15:16], s[8:9], v[15:16]
	v_ashrrev_i32_e32 v1, 31, v0
	v_cmp_ne_u32_e32 vcc_lo, v3, v0
	s_delay_alu instid0(VALU_DEP_4) | instskip(NEXT) | instid1(VALU_DEP_4)
	v_fma_f64 v[7:8], s[8:9], v[13:14], v[7:8]
	v_fma_f64 v[13:14], s[6:7], v[13:14], -v[15:16]
	s_delay_alu instid0(VALU_DEP_4) | instskip(NEXT) | instid1(VALU_DEP_1)
	v_lshlrev_b64 v[15:16], 4, v[0:1]
	v_add_co_u32 v17, s1, v5, v15
	s_delay_alu instid0(VALU_DEP_1)
	v_add_co_ci_u32_e64 v18, s1, v6, v16, s1
	v_dual_cndmask_b32 v16, 0, v8 :: v_dual_cndmask_b32 v15, 0, v7
	global_store_b128 v[17:18], v[13:16], off
.LBB1835_15:
	s_or_b32 exec_lo, exec_lo, s2
	v_cmp_le_i32_e32 vcc_lo, v3, v2
	s_and_b32 s0, vcc_lo, s0
	s_delay_alu instid0(SALU_CYCLE_1)
	s_and_saveexec_b32 s1, s0
	s_cbranch_execz .LBB1835_17
; %bb.16:
	v_mul_f64 v[7:8], s[6:7], v[9:10]
	v_mul_f64 v[9:10], s[8:9], v[9:10]
	v_ashrrev_i32_e32 v3, 31, v2
	v_cmp_ne_u32_e32 vcc_lo, v4, v0
	s_delay_alu instid0(VALU_DEP_2) | instskip(NEXT) | instid1(VALU_DEP_1)
	v_lshlrev_b64 v[1:2], 4, v[2:3]
	v_add_co_u32 v0, s0, v5, v1
	s_delay_alu instid0(VALU_DEP_1) | instskip(SKIP_2) | instid1(VALU_DEP_2)
	v_add_co_ci_u32_e64 v1, s0, v6, v2, s0
	v_fma_f64 v[13:14], s[8:9], v[11:12], v[7:8]
	v_fma_f64 v[7:8], s[6:7], v[11:12], -v[9:10]
	v_dual_cndmask_b32 v10, 0, v14 :: v_dual_cndmask_b32 v9, 0, v13
	global_store_b128 v[0:1], v[7:10], off
.LBB1835_17:
	s_nop 0
	s_sendmsg sendmsg(MSG_DEALLOC_VGPRS)
	s_endpgm
	.section	.rodata,"a",@progbits
	.p2align	6, 0x0
	.amdhsa_kernel _ZL34rocblas_syrkx_herkx_general_kernelIl19rocblas_complex_numIdELi16ELi32ELi8ELb1ELb1ELc78ELc76EKPKS1_KPS1_EviT_T0_PT8_S7_lSA_S7_lS8_PT9_S7_li
		.amdhsa_group_segment_fixed_size 8192
		.amdhsa_private_segment_fixed_size 0
		.amdhsa_kernarg_size 124
		.amdhsa_user_sgpr_count 13
		.amdhsa_user_sgpr_dispatch_ptr 0
		.amdhsa_user_sgpr_queue_ptr 0
		.amdhsa_user_sgpr_kernarg_segment_ptr 1
		.amdhsa_user_sgpr_dispatch_id 0
		.amdhsa_user_sgpr_private_segment_size 0
		.amdhsa_wavefront_size32 1
		.amdhsa_uses_dynamic_stack 0
		.amdhsa_enable_private_segment 0
		.amdhsa_system_sgpr_workgroup_id_x 1
		.amdhsa_system_sgpr_workgroup_id_y 1
		.amdhsa_system_sgpr_workgroup_id_z 1
		.amdhsa_system_sgpr_workgroup_info 0
		.amdhsa_system_vgpr_workitem_id 1
		.amdhsa_next_free_vgpr 119
		.amdhsa_next_free_sgpr 28
		.amdhsa_reserve_vcc 1
		.amdhsa_float_round_mode_32 0
		.amdhsa_float_round_mode_16_64 0
		.amdhsa_float_denorm_mode_32 3
		.amdhsa_float_denorm_mode_16_64 3
		.amdhsa_dx10_clamp 1
		.amdhsa_ieee_mode 1
		.amdhsa_fp16_overflow 0
		.amdhsa_workgroup_processor_mode 1
		.amdhsa_memory_ordered 1
		.amdhsa_forward_progress 0
		.amdhsa_shared_vgpr_count 0
		.amdhsa_exception_fp_ieee_invalid_op 0
		.amdhsa_exception_fp_denorm_src 0
		.amdhsa_exception_fp_ieee_div_zero 0
		.amdhsa_exception_fp_ieee_overflow 0
		.amdhsa_exception_fp_ieee_underflow 0
		.amdhsa_exception_fp_ieee_inexact 0
		.amdhsa_exception_int_div_zero 0
	.end_amdhsa_kernel
	.section	.text._ZL34rocblas_syrkx_herkx_general_kernelIl19rocblas_complex_numIdELi16ELi32ELi8ELb1ELb1ELc78ELc76EKPKS1_KPS1_EviT_T0_PT8_S7_lSA_S7_lS8_PT9_S7_li,"axG",@progbits,_ZL34rocblas_syrkx_herkx_general_kernelIl19rocblas_complex_numIdELi16ELi32ELi8ELb1ELb1ELc78ELc76EKPKS1_KPS1_EviT_T0_PT8_S7_lSA_S7_lS8_PT9_S7_li,comdat
.Lfunc_end1835:
	.size	_ZL34rocblas_syrkx_herkx_general_kernelIl19rocblas_complex_numIdELi16ELi32ELi8ELb1ELb1ELc78ELc76EKPKS1_KPS1_EviT_T0_PT8_S7_lSA_S7_lS8_PT9_S7_li, .Lfunc_end1835-_ZL34rocblas_syrkx_herkx_general_kernelIl19rocblas_complex_numIdELi16ELi32ELi8ELb1ELb1ELc78ELc76EKPKS1_KPS1_EviT_T0_PT8_S7_lSA_S7_lS8_PT9_S7_li
                                        ; -- End function
	.section	.AMDGPU.csdata,"",@progbits
; Kernel info:
; codeLenInByte = 3404
; NumSgprs: 30
; NumVgprs: 119
; ScratchSize: 0
; MemoryBound: 1
; FloatMode: 240
; IeeeMode: 1
; LDSByteSize: 8192 bytes/workgroup (compile time only)
; SGPRBlocks: 3
; VGPRBlocks: 14
; NumSGPRsForWavesPerEU: 30
; NumVGPRsForWavesPerEU: 119
; Occupancy: 12
; WaveLimiterHint : 1
; COMPUTE_PGM_RSRC2:SCRATCH_EN: 0
; COMPUTE_PGM_RSRC2:USER_SGPR: 13
; COMPUTE_PGM_RSRC2:TRAP_HANDLER: 0
; COMPUTE_PGM_RSRC2:TGID_X_EN: 1
; COMPUTE_PGM_RSRC2:TGID_Y_EN: 1
; COMPUTE_PGM_RSRC2:TGID_Z_EN: 1
; COMPUTE_PGM_RSRC2:TIDIG_COMP_CNT: 1
	.section	.text._ZL34rocblas_syrkx_herkx_general_kernelIl19rocblas_complex_numIdELi16ELi32ELi8ELb1ELb1ELc84ELc85EKPKS1_KPS1_EviT_T0_PT8_S7_lSA_S7_lS8_PT9_S7_li,"axG",@progbits,_ZL34rocblas_syrkx_herkx_general_kernelIl19rocblas_complex_numIdELi16ELi32ELi8ELb1ELb1ELc84ELc85EKPKS1_KPS1_EviT_T0_PT8_S7_lSA_S7_lS8_PT9_S7_li,comdat
	.globl	_ZL34rocblas_syrkx_herkx_general_kernelIl19rocblas_complex_numIdELi16ELi32ELi8ELb1ELb1ELc84ELc85EKPKS1_KPS1_EviT_T0_PT8_S7_lSA_S7_lS8_PT9_S7_li ; -- Begin function _ZL34rocblas_syrkx_herkx_general_kernelIl19rocblas_complex_numIdELi16ELi32ELi8ELb1ELb1ELc84ELc85EKPKS1_KPS1_EviT_T0_PT8_S7_lSA_S7_lS8_PT9_S7_li
	.p2align	8
	.type	_ZL34rocblas_syrkx_herkx_general_kernelIl19rocblas_complex_numIdELi16ELi32ELi8ELb1ELb1ELc84ELc85EKPKS1_KPS1_EviT_T0_PT8_S7_lSA_S7_lS8_PT9_S7_li,@function
_ZL34rocblas_syrkx_herkx_general_kernelIl19rocblas_complex_numIdELi16ELi32ELi8ELb1ELb1ELc84ELc85EKPKS1_KPS1_EviT_T0_PT8_S7_lSA_S7_lS8_PT9_S7_li: ; @_ZL34rocblas_syrkx_herkx_general_kernelIl19rocblas_complex_numIdELi16ELi32ELi8ELb1ELb1ELc84ELc85EKPKS1_KPS1_EviT_T0_PT8_S7_lSA_S7_lS8_PT9_S7_li
; %bb.0:
	s_clause 0x1
	s_load_b128 s[16:19], s[0:1], 0x60
	s_load_b256 s[4:11], s[0:1], 0x8
	s_mov_b32 s2, s15
	s_mov_b32 s3, 0
	s_load_b64 s[22:23], s[0:1], 0x28
	s_lshl_b64 s[20:21], s[2:3], 3
	v_mov_b32_e32 v20, 0
	v_dual_mov_b32 v21, 0 :: v_dual_and_b32 v24, 0x3ff, v0
	v_bfe_u32 v25, v0, 10, 10
	s_delay_alu instid0(VALU_DEP_3) | instskip(NEXT) | instid1(VALU_DEP_3)
	v_mov_b32_e32 v16, v20
	v_dual_mov_b32 v18, v20 :: v_dual_mov_b32 v19, v21
	v_dual_mov_b32 v23, v21 :: v_dual_mov_b32 v22, v20
	;; [unrolled: 1-line block ×4, first 2 shown]
	v_mov_b32_e32 v15, v21
	s_waitcnt lgkmcnt(0)
	s_add_u32 s2, s16, s20
	s_addc_u32 s3, s17, s21
	s_load_b32 s15, s[0:1], 0x0
	s_load_b64 s[16:17], s[2:3], 0x0
	v_cmp_lt_i64_e64 s2, s[4:5], 1
	v_dual_mov_b32 v10, v20 :: v_dual_mov_b32 v11, v21
	v_dual_mov_b32 v8, v20 :: v_dual_mov_b32 v9, v21
	s_lshl_b32 s24, s13, 5
	s_lshl_b32 s14, s14, 5
	s_delay_alu instid0(VALU_DEP_3)
	s_and_b32 vcc_lo, exec_lo, s2
	s_mov_b64 s[12:13], 0
	s_cbranch_vccnz .LBB1836_11
; %bb.1:
	v_lshl_add_u32 v0, v25, 4, v24
	v_and_b32_e32 v26, 7, v24
	s_load_b128 s[0:3], s[0:1], 0x38
	v_lshl_add_u32 v31, v25, 7, 0x1000
	s_delay_alu instid0(VALU_DEP_3) | instskip(SKIP_2) | instid1(VALU_DEP_3)
	v_and_b32_e32 v1, 31, v0
	v_lshrrev_b32_e32 v27, 5, v0
	v_lshrrev_b32_e32 v5, 3, v0
	v_or_b32_e32 v8, s24, v1
	v_lshlrev_b32_e32 v9, 4, v1
	s_waitcnt lgkmcnt(0)
	s_delay_alu instid0(VALU_DEP_2) | instskip(NEXT) | instid1(VALU_DEP_2)
	v_cmp_gt_i32_e32 vcc_lo, s15, v8
	v_lshl_or_b32 v28, v27, 9, v9
	v_mov_b32_e32 v8, 0
	v_dual_mov_b32 v9, 0 :: v_dual_add_nc_u32 v0, s24, v1
	v_add_nc_u32_e32 v6, s14, v5
	v_lshlrev_b32_e32 v7, 4, v26
	s_add_u32 s0, s0, s20
	s_delay_alu instid0(VALU_DEP_3) | instskip(SKIP_4) | instid1(VALU_DEP_3)
	v_mov_b32_e32 v15, v9
	v_ashrrev_i32_e32 v4, 31, v0
	v_mul_lo_u32 v10, s23, v0
	v_mad_u64_u32 v[1:2], null, s22, v0, 0
	s_addc_u32 s1, s1, s21
	v_mul_lo_u32 v11, s22, v4
	s_add_u32 s10, s10, s20
	s_addc_u32 s11, s11, s21
	s_load_b64 s[20:21], s[0:1], 0x0
	s_load_b64 s[10:11], s[10:11], 0x0
	v_lshlrev_b32_e32 v30, 4, v24
	v_dual_mov_b32 v0, 0 :: v_dual_mov_b32 v19, v9
	v_mov_b32_e32 v18, v8
	v_add3_u32 v2, v2, v11, v10
	v_mov_b32_e32 v11, v9
	v_ashrrev_i32_e32 v3, 31, v6
	v_mul_lo_u32 v13, s3, v6
	v_mov_b32_e32 v10, v8
	v_lshl_or_b32 v5, v5, 7, v7
	v_lshlrev_b64 v[1:2], 4, v[1:2]
	v_mul_lo_u32 v12, s2, v3
	v_mad_u64_u32 v[3:4], null, s2, v6, 0
	s_delay_alu instid0(VALU_DEP_4)
	v_dual_mov_b32 v14, v8 :: v_dual_add_nc_u32 v29, 0x1000, v5
	v_lshlrev_b32_e32 v5, 4, v27
	v_cmp_gt_i32_e64 s0, s15, v6
	v_dual_mov_b32 v17, v9 :: v_dual_mov_b32 v16, v8
	v_add3_u32 v4, v4, v12, v13
	v_dual_mov_b32 v13, v9 :: v_dual_mov_b32 v12, v8
	v_add_co_u32 v1, s1, v1, v5
	s_delay_alu instid0(VALU_DEP_3) | instskip(SKIP_3) | instid1(VALU_DEP_4)
	v_lshlrev_b64 v[3:4], 4, v[3:4]
	v_add_co_ci_u32_e64 v2, s1, 0, v2, s1
	v_dual_mov_b32 v23, v9 :: v_dual_mov_b32 v22, v8
	v_dual_mov_b32 v21, v9 :: v_dual_mov_b32 v20, v8
	v_add_co_u32 v3, s1, v3, v7
	s_delay_alu instid0(VALU_DEP_1) | instskip(SKIP_2) | instid1(VALU_DEP_1)
	v_add_co_ci_u32_e64 v7, s1, 0, v4, s1
	s_waitcnt lgkmcnt(0)
	v_add_co_u32 v4, s1, s10, v1
	v_add_co_ci_u32_e64 v5, s1, s11, v2, s1
	v_add_co_u32 v6, s1, s20, v3
	s_delay_alu instid0(VALU_DEP_1)
	v_add_co_ci_u32_e64 v7, s1, s21, v7, s1
	s_xor_b32 s1, vcc_lo, -1
	s_xor_b32 s0, s0, -1
	s_branch .LBB1836_3
.LBB1836_2:                             ;   in Loop: Header=BB1836_3 Depth=1
	s_or_b32 exec_lo, exec_lo, s2
	s_waitcnt lgkmcnt(0)
	s_barrier
	buffer_gl0_inv
	ds_load_b128 v[32:35], v31
	ds_load_b128 v[36:39], v30
	ds_load_b128 v[40:43], v30 offset:256
	ds_load_b128 v[44:47], v31 offset:2048
	;; [unrolled: 1-line block ×9, first 2 shown]
	s_add_u32 s12, s12, 8
	s_addc_u32 s13, s13, 0
	v_add_co_u32 v4, vcc_lo, 0x80, v4
	v_cmp_ge_i64_e64 s2, s[12:13], s[4:5]
	v_add_co_ci_u32_e32 v5, vcc_lo, 0, v5, vcc_lo
	v_add_co_u32 v6, vcc_lo, 0x80, v6
	v_add_co_ci_u32_e32 v7, vcc_lo, 0, v7, vcc_lo
	s_delay_alu instid0(VALU_DEP_4)
	s_and_b32 vcc_lo, exec_lo, s2
	s_waitcnt lgkmcnt(9)
	v_mul_f64 v[1:2], v[34:35], v[38:39]
	v_mul_f64 v[76:77], v[32:33], v[38:39]
	s_waitcnt lgkmcnt(8)
	v_mul_f64 v[78:79], v[34:35], v[42:43]
	v_mul_f64 v[80:81], v[32:33], v[42:43]
	;; [unrolled: 3-line block ×3, first 2 shown]
	v_mul_f64 v[84:85], v[46:47], v[42:43]
	v_mul_f64 v[42:43], v[44:45], v[42:43]
	s_waitcnt lgkmcnt(4)
	v_mul_f64 v[86:87], v[50:51], v[58:59]
	v_mul_f64 v[88:89], v[48:49], v[58:59]
	s_waitcnt lgkmcnt(3)
	v_mul_f64 v[90:91], v[50:51], v[62:63]
	v_mul_f64 v[92:93], v[48:49], v[62:63]
	;; [unrolled: 1-line block ×6, first 2 shown]
	s_waitcnt lgkmcnt(0)
	v_mul_f64 v[114:115], v[74:75], v[66:67]
	v_mul_f64 v[116:117], v[74:75], v[70:71]
	v_fma_f64 v[1:2], v[32:33], v[36:37], -v[1:2]
	v_fma_f64 v[98:99], v[34:35], v[36:37], v[76:77]
	v_fma_f64 v[100:101], v[32:33], v[40:41], -v[78:79]
	v_fma_f64 v[80:81], v[34:35], v[40:41], v[80:81]
	;; [unrolled: 2-line block ×4, first 2 shown]
	ds_load_b128 v[76:79], v31 offset:32
	v_fma_f64 v[86:87], v[48:49], v[56:57], -v[86:87]
	v_fma_f64 v[88:89], v[50:51], v[56:57], v[88:89]
	v_fma_f64 v[48:49], v[48:49], v[60:61], -v[90:91]
	v_fma_f64 v[50:51], v[50:51], v[60:61], v[92:93]
	;; [unrolled: 2-line block ×4, first 2 shown]
	ds_load_b128 v[32:35], v31 offset:48
	ds_load_b128 v[36:39], v31 offset:2096
	;; [unrolled: 1-line block ×4, first 2 shown]
	s_waitcnt lgkmcnt(4)
	v_mul_f64 v[106:107], v[78:79], v[66:67]
	v_mul_f64 v[108:109], v[76:77], v[66:67]
	;; [unrolled: 1-line block ×6, first 2 shown]
	s_waitcnt lgkmcnt(1)
	v_mul_f64 v[92:93], v[32:33], v[42:43]
	s_waitcnt lgkmcnt(0)
	v_mul_f64 v[94:95], v[34:35], v[46:47]
	v_add_f64 v[1:2], v[20:21], v[1:2]
	v_add_f64 v[20:21], v[22:23], v[98:99]
	v_add_f64 v[22:23], v[16:17], v[100:101]
	v_add_f64 v[58:59], v[18:19], v[80:81]
	v_add_f64 v[60:61], v[12:13], v[82:83]
	v_add_f64 v[62:63], v[14:15], v[102:103]
	v_add_f64 v[80:81], v[10:11], v[84:85]
	v_add_f64 v[82:83], v[8:9], v[104:105]
	v_mul_f64 v[84:85], v[34:35], v[42:43]
	v_mul_f64 v[96:97], v[32:33], v[46:47]
	;; [unrolled: 1-line block ×6, first 2 shown]
	ds_load_b128 v[8:11], v30 offset:2048
	ds_load_b128 v[12:15], v30 offset:2304
	;; [unrolled: 1-line block ×3, first 2 shown]
	v_fma_f64 v[104:105], v[76:77], v[64:65], -v[106:107]
	v_fma_f64 v[106:107], v[78:79], v[64:65], v[108:109]
	v_fma_f64 v[76:77], v[76:77], v[68:69], -v[110:111]
	v_fma_f64 v[78:79], v[78:79], v[68:69], v[112:113]
	;; [unrolled: 2-line block ×4, first 2 shown]
	s_waitcnt lgkmcnt(0)
	v_mul_f64 v[114:115], v[18:19], v[10:11]
	v_mul_f64 v[116:117], v[18:19], v[14:15]
	v_add_f64 v[1:2], v[1:2], v[86:87]
	v_add_f64 v[70:71], v[20:21], v[88:89]
	;; [unrolled: 1-line block ×8, first 2 shown]
	ds_load_b128 v[20:23], v31 offset:64
	v_fma_f64 v[84:85], v[32:33], v[40:41], -v[84:85]
	v_fma_f64 v[92:93], v[34:35], v[40:41], v[92:93]
	v_fma_f64 v[94:95], v[32:33], v[44:45], -v[94:95]
	v_fma_f64 v[96:97], v[34:35], v[44:45], v[96:97]
	;; [unrolled: 2-line block ×4, first 2 shown]
	ds_load_b128 v[46:49], v31 offset:80
	ds_load_b128 v[50:53], v31 offset:2128
	;; [unrolled: 1-line block ×7, first 2 shown]
	s_waitcnt lgkmcnt(7)
	v_mul_f64 v[88:89], v[22:23], v[10:11]
	v_mul_f64 v[90:91], v[20:21], v[10:11]
	;; [unrolled: 1-line block ×6, first 2 shown]
	s_waitcnt lgkmcnt(3)
	v_mul_f64 v[102:103], v[52:53], v[60:61]
	v_add_f64 v[1:2], v[1:2], v[104:105]
	v_add_f64 v[70:71], v[70:71], v[106:107]
	;; [unrolled: 1-line block ×8, first 2 shown]
	v_mul_f64 v[68:69], v[48:49], v[56:57]
	v_mul_f64 v[78:79], v[46:47], v[56:57]
	;; [unrolled: 1-line block ×7, first 2 shown]
	v_fma_f64 v[88:89], v[20:21], v[8:9], -v[88:89]
	v_fma_f64 v[90:91], v[22:23], v[8:9], v[90:91]
	v_fma_f64 v[106:107], v[20:21], v[12:13], -v[110:111]
	v_fma_f64 v[108:109], v[22:23], v[12:13], v[112:113]
	;; [unrolled: 2-line block ×4, first 2 shown]
	ds_load_b128 v[8:11], v31 offset:96
	v_add_f64 v[1:2], v[1:2], v[84:85]
	v_add_f64 v[70:71], v[70:71], v[92:93]
	v_add_f64 v[72:73], v[72:73], v[94:95]
	v_add_f64 v[74:75], v[74:75], v[96:97]
	v_add_f64 v[76:77], v[76:77], v[98:99]
	v_add_f64 v[84:85], v[62:63], v[118:119]
	v_add_f64 v[64:65], v[64:65], v[100:101]
	v_add_f64 v[44:45], v[66:67], v[44:45]
	s_waitcnt lgkmcnt(1)
	v_mul_f64 v[98:99], v[42:43], v[34:35]
	v_mul_f64 v[100:101], v[42:43], v[38:39]
	v_fma_f64 v[68:69], v[46:47], v[54:55], -v[68:69]
	v_fma_f64 v[78:79], v[48:49], v[54:55], v[78:79]
	v_fma_f64 v[46:47], v[46:47], v[58:59], -v[80:81]
	v_fma_f64 v[48:49], v[48:49], v[58:59], v[82:83]
	;; [unrolled: 2-line block ×4, first 2 shown]
	s_waitcnt lgkmcnt(0)
	v_mul_f64 v[66:67], v[10:11], v[34:35]
	v_mul_f64 v[92:93], v[8:9], v[34:35]
	;; [unrolled: 1-line block ×6, first 2 shown]
	ds_load_b128 v[12:15], v31 offset:112
	ds_load_b128 v[16:19], v31 offset:2160
	;; [unrolled: 1-line block ×4, first 2 shown]
	s_waitcnt lgkmcnt(0)
	s_barrier
	buffer_gl0_inv
	v_add_f64 v[1:2], v[1:2], v[88:89]
	v_add_f64 v[56:57], v[70:71], v[90:91]
	;; [unrolled: 1-line block ×8, first 2 shown]
	v_mul_f64 v[76:77], v[14:15], v[22:23]
	v_mul_f64 v[82:83], v[12:13], v[22:23]
	;; [unrolled: 1-line block ×8, first 2 shown]
	v_fma_f64 v[66:67], v[8:9], v[32:33], -v[66:67]
	v_fma_f64 v[92:93], v[10:11], v[32:33], v[92:93]
	v_fma_f64 v[8:9], v[8:9], v[36:37], -v[94:95]
	v_fma_f64 v[10:11], v[10:11], v[36:37], v[96:97]
	;; [unrolled: 2-line block ×4, first 2 shown]
	v_add_f64 v[1:2], v[1:2], v[68:69]
	v_add_f64 v[38:39], v[56:57], v[78:79]
	v_add_f64 v[40:41], v[58:59], v[46:47]
	v_add_f64 v[42:43], v[70:71], v[48:49]
	v_add_f64 v[46:47], v[72:73], v[80:81]
	v_add_f64 v[48:49], v[74:75], v[54:55]
	v_add_f64 v[50:51], v[64:65], v[50:51]
	v_add_f64 v[44:45], v[44:45], v[52:53]
	v_fma_f64 v[52:53], v[12:13], v[20:21], -v[76:77]
	v_fma_f64 v[54:55], v[14:15], v[20:21], v[82:83]
	v_fma_f64 v[12:13], v[12:13], v[60:61], -v[84:85]
	v_fma_f64 v[14:15], v[14:15], v[60:61], v[86:87]
	;; [unrolled: 2-line block ×4, first 2 shown]
	v_add_f64 v[1:2], v[1:2], v[66:67]
	v_add_f64 v[16:17], v[38:39], v[92:93]
	;; [unrolled: 1-line block ×16, first 2 shown]
	s_cbranch_vccnz .LBB1836_11
.LBB1836_3:                             ; =>This Inner Loop Header: Depth=1
	v_add_co_u32 v1, s2, v27, s12
	s_delay_alu instid0(VALU_DEP_1) | instskip(NEXT) | instid1(VALU_DEP_1)
	v_add_co_ci_u32_e64 v2, null, 0, s13, s2
	v_cmp_le_i64_e32 vcc_lo, s[4:5], v[1:2]
	s_or_b32 s2, s1, vcc_lo
	s_delay_alu instid0(SALU_CYCLE_1) | instskip(NEXT) | instid1(SALU_CYCLE_1)
	s_and_saveexec_b32 s3, s2
	s_xor_b32 s2, exec_lo, s3
	s_cbranch_execz .LBB1836_5
; %bb.4:                                ;   in Loop: Header=BB1836_3 Depth=1
	v_mov_b32_e32 v1, v0
	v_mov_b32_e32 v2, v0
	;; [unrolled: 1-line block ×3, first 2 shown]
	ds_store_b128 v28, v[0:3]
.LBB1836_5:                             ;   in Loop: Header=BB1836_3 Depth=1
	s_and_not1_saveexec_b32 s2, s2
	s_cbranch_execz .LBB1836_7
; %bb.6:                                ;   in Loop: Header=BB1836_3 Depth=1
	global_load_b128 v[32:35], v[4:5], off
	s_waitcnt vmcnt(0)
	ds_store_2addr_b64 v28, v[32:33], v[34:35] offset1:1
.LBB1836_7:                             ;   in Loop: Header=BB1836_3 Depth=1
	s_or_b32 exec_lo, exec_lo, s2
	v_add_co_u32 v1, s2, v26, s12
	s_delay_alu instid0(VALU_DEP_1) | instskip(NEXT) | instid1(VALU_DEP_1)
	v_add_co_ci_u32_e64 v2, null, 0, s13, s2
	v_cmp_le_i64_e32 vcc_lo, s[4:5], v[1:2]
	s_or_b32 s2, vcc_lo, s0
	s_delay_alu instid0(SALU_CYCLE_1) | instskip(NEXT) | instid1(SALU_CYCLE_1)
	s_and_saveexec_b32 s3, s2
	s_xor_b32 s2, exec_lo, s3
	s_cbranch_execz .LBB1836_9
; %bb.8:                                ;   in Loop: Header=BB1836_3 Depth=1
	v_mov_b32_e32 v1, v0
	v_mov_b32_e32 v2, v0
	;; [unrolled: 1-line block ×3, first 2 shown]
	ds_store_b128 v29, v[0:3]
.LBB1836_9:                             ;   in Loop: Header=BB1836_3 Depth=1
	s_and_not1_saveexec_b32 s2, s2
	s_cbranch_execz .LBB1836_2
; %bb.10:                               ;   in Loop: Header=BB1836_3 Depth=1
	global_load_b128 v[32:35], v[6:7], off
	s_waitcnt vmcnt(0)
	ds_store_2addr_b64 v29, v[32:33], v[34:35] offset1:1
	s_branch .LBB1836_2
.LBB1836_11:
	v_add_nc_u32_e32 v4, s14, v25
	s_delay_alu instid0(VALU_DEP_1)
	v_ashrrev_i32_e32 v0, 31, v4
	v_mul_lo_u32 v3, v4, s19
	v_mad_u64_u32 v[1:2], null, v4, s18, 0
	s_waitcnt lgkmcnt(0)
	v_cmp_gt_i32_e32 vcc_lo, s15, v4
	v_mul_lo_u32 v0, v0, s18
	s_delay_alu instid0(VALU_DEP_1) | instskip(SKIP_1) | instid1(VALU_DEP_2)
	v_add3_u32 v2, v2, v3, v0
	v_add_nc_u32_e32 v0, s24, v24
	v_lshlrev_b64 v[1:2], 4, v[1:2]
	s_delay_alu instid0(VALU_DEP_2) | instskip(NEXT) | instid1(VALU_DEP_1)
	v_cmp_le_i32_e64 s0, v0, v4
	s_and_b32 s0, vcc_lo, s0
	s_delay_alu instid0(VALU_DEP_2) | instskip(NEXT) | instid1(VALU_DEP_1)
	v_add_co_u32 v5, s1, s16, v1
	v_add_co_ci_u32_e64 v6, s1, s17, v2, s1
	s_and_saveexec_b32 s2, s0
	s_cbranch_execz .LBB1836_13
; %bb.12:
	v_mul_f64 v[1:2], s[6:7], v[22:23]
	v_mul_f64 v[22:23], s[8:9], v[22:23]
	v_cmp_ne_u32_e64 s0, v4, v0
	s_delay_alu instid0(VALU_DEP_3) | instskip(NEXT) | instid1(VALU_DEP_3)
	v_fma_f64 v[2:3], s[8:9], v[20:21], v[1:2]
	v_fma_f64 v[20:21], s[6:7], v[20:21], -v[22:23]
	v_ashrrev_i32_e32 v1, 31, v0
	s_delay_alu instid0(VALU_DEP_1) | instskip(NEXT) | instid1(VALU_DEP_1)
	v_lshlrev_b64 v[22:23], 4, v[0:1]
	v_add_co_u32 v24, s1, v5, v22
	s_delay_alu instid0(VALU_DEP_1)
	v_add_co_ci_u32_e64 v25, s1, v6, v23, s1
	v_cndmask_b32_e64 v23, 0, v3, s0
	v_cndmask_b32_e64 v22, 0, v2, s0
	global_store_b128 v[24:25], v[20:23], off
.LBB1836_13:
	s_or_b32 exec_lo, exec_lo, s2
	v_add_nc_u32_e32 v2, 16, v0
	s_delay_alu instid0(VALU_DEP_1) | instskip(NEXT) | instid1(VALU_DEP_1)
	v_cmp_le_i32_e64 s0, v2, v4
	s_and_b32 s0, vcc_lo, s0
	s_delay_alu instid0(SALU_CYCLE_1)
	s_and_saveexec_b32 s1, s0
	s_cbranch_execz .LBB1836_15
; %bb.14:
	v_mul_f64 v[20:21], s[6:7], v[18:19]
	v_mul_f64 v[18:19], s[8:9], v[18:19]
	v_ashrrev_i32_e32 v3, 31, v2
	v_cmp_ne_u32_e32 vcc_lo, v4, v2
	s_delay_alu instid0(VALU_DEP_4) | instskip(NEXT) | instid1(VALU_DEP_4)
	v_fma_f64 v[20:21], s[8:9], v[16:17], v[20:21]
	v_fma_f64 v[16:17], s[6:7], v[16:17], -v[18:19]
	s_delay_alu instid0(VALU_DEP_4) | instskip(NEXT) | instid1(VALU_DEP_1)
	v_lshlrev_b64 v[18:19], 4, v[2:3]
	v_add_co_u32 v5, s0, v5, v18
	s_delay_alu instid0(VALU_DEP_1)
	v_add_co_ci_u32_e64 v6, s0, v6, v19, s0
	v_dual_cndmask_b32 v19, 0, v21 :: v_dual_cndmask_b32 v18, 0, v20
	global_store_b128 v[5:6], v[16:19], off
.LBB1836_15:
	s_or_b32 exec_lo, exec_lo, s1
	v_add_nc_u32_e32 v3, 16, v4
	s_delay_alu instid0(VALU_DEP_1) | instskip(SKIP_3) | instid1(VALU_DEP_4)
	v_ashrrev_i32_e32 v1, 31, v3
	v_mul_lo_u32 v7, v3, s19
	v_mad_u64_u32 v[5:6], null, v3, s18, 0
	v_cmp_gt_i32_e32 vcc_lo, s15, v3
	v_mul_lo_u32 v1, v1, s18
	v_cmp_le_i32_e64 s0, v0, v3
	s_delay_alu instid0(VALU_DEP_1) | instskip(NEXT) | instid1(VALU_DEP_2)
	s_and_b32 s0, vcc_lo, s0
	v_add3_u32 v6, v6, v7, v1
	s_delay_alu instid0(VALU_DEP_1) | instskip(NEXT) | instid1(VALU_DEP_1)
	v_lshlrev_b64 v[5:6], 4, v[5:6]
	v_add_co_u32 v5, s1, s16, v5
	s_delay_alu instid0(VALU_DEP_1)
	v_add_co_ci_u32_e64 v6, s1, s17, v6, s1
	s_and_saveexec_b32 s2, s0
	s_cbranch_execz .LBB1836_17
; %bb.16:
	v_mul_f64 v[16:17], s[6:7], v[14:15]
	v_mul_f64 v[14:15], s[8:9], v[14:15]
	v_ashrrev_i32_e32 v1, 31, v0
	v_cmp_ne_u32_e64 s0, v3, v0
	s_delay_alu instid0(VALU_DEP_4) | instskip(NEXT) | instid1(VALU_DEP_4)
	v_fma_f64 v[16:17], s[8:9], v[12:13], v[16:17]
	v_fma_f64 v[12:13], s[6:7], v[12:13], -v[14:15]
	s_delay_alu instid0(VALU_DEP_4) | instskip(NEXT) | instid1(VALU_DEP_1)
	v_lshlrev_b64 v[14:15], 4, v[0:1]
	v_add_co_u32 v18, s1, v5, v14
	s_delay_alu instid0(VALU_DEP_1)
	v_add_co_ci_u32_e64 v19, s1, v6, v15, s1
	v_cndmask_b32_e64 v15, 0, v17, s0
	v_cndmask_b32_e64 v14, 0, v16, s0
	global_store_b128 v[18:19], v[12:15], off
.LBB1836_17:
	s_or_b32 exec_lo, exec_lo, s2
	v_cmp_le_i32_e64 s0, v2, v3
	s_delay_alu instid0(VALU_DEP_1) | instskip(NEXT) | instid1(SALU_CYCLE_1)
	s_and_b32 s0, vcc_lo, s0
	s_and_saveexec_b32 s1, s0
	s_cbranch_execz .LBB1836_19
; %bb.18:
	v_mul_f64 v[12:13], s[6:7], v[8:9]
	v_mul_f64 v[7:8], s[8:9], v[8:9]
	v_ashrrev_i32_e32 v3, 31, v2
	v_cmp_ne_u32_e32 vcc_lo, v4, v0
	s_delay_alu instid0(VALU_DEP_2) | instskip(NEXT) | instid1(VALU_DEP_1)
	v_lshlrev_b64 v[1:2], 4, v[2:3]
	v_add_co_u32 v0, s0, v5, v1
	s_delay_alu instid0(VALU_DEP_1) | instskip(SKIP_2) | instid1(VALU_DEP_2)
	v_add_co_ci_u32_e64 v1, s0, v6, v2, s0
	v_fma_f64 v[12:13], s[8:9], v[10:11], v[12:13]
	v_fma_f64 v[7:8], s[6:7], v[10:11], -v[7:8]
	v_dual_cndmask_b32 v10, 0, v13 :: v_dual_cndmask_b32 v9, 0, v12
	global_store_b128 v[0:1], v[7:10], off
.LBB1836_19:
	s_nop 0
	s_sendmsg sendmsg(MSG_DEALLOC_VGPRS)
	s_endpgm
	.section	.rodata,"a",@progbits
	.p2align	6, 0x0
	.amdhsa_kernel _ZL34rocblas_syrkx_herkx_general_kernelIl19rocblas_complex_numIdELi16ELi32ELi8ELb1ELb1ELc84ELc85EKPKS1_KPS1_EviT_T0_PT8_S7_lSA_S7_lS8_PT9_S7_li
		.amdhsa_group_segment_fixed_size 8192
		.amdhsa_private_segment_fixed_size 0
		.amdhsa_kernarg_size 124
		.amdhsa_user_sgpr_count 13
		.amdhsa_user_sgpr_dispatch_ptr 0
		.amdhsa_user_sgpr_queue_ptr 0
		.amdhsa_user_sgpr_kernarg_segment_ptr 1
		.amdhsa_user_sgpr_dispatch_id 0
		.amdhsa_user_sgpr_private_segment_size 0
		.amdhsa_wavefront_size32 1
		.amdhsa_uses_dynamic_stack 0
		.amdhsa_enable_private_segment 0
		.amdhsa_system_sgpr_workgroup_id_x 1
		.amdhsa_system_sgpr_workgroup_id_y 1
		.amdhsa_system_sgpr_workgroup_id_z 1
		.amdhsa_system_sgpr_workgroup_info 0
		.amdhsa_system_vgpr_workitem_id 1
		.amdhsa_next_free_vgpr 120
		.amdhsa_next_free_sgpr 25
		.amdhsa_reserve_vcc 1
		.amdhsa_float_round_mode_32 0
		.amdhsa_float_round_mode_16_64 0
		.amdhsa_float_denorm_mode_32 3
		.amdhsa_float_denorm_mode_16_64 3
		.amdhsa_dx10_clamp 1
		.amdhsa_ieee_mode 1
		.amdhsa_fp16_overflow 0
		.amdhsa_workgroup_processor_mode 1
		.amdhsa_memory_ordered 1
		.amdhsa_forward_progress 0
		.amdhsa_shared_vgpr_count 0
		.amdhsa_exception_fp_ieee_invalid_op 0
		.amdhsa_exception_fp_denorm_src 0
		.amdhsa_exception_fp_ieee_div_zero 0
		.amdhsa_exception_fp_ieee_overflow 0
		.amdhsa_exception_fp_ieee_underflow 0
		.amdhsa_exception_fp_ieee_inexact 0
		.amdhsa_exception_int_div_zero 0
	.end_amdhsa_kernel
	.section	.text._ZL34rocblas_syrkx_herkx_general_kernelIl19rocblas_complex_numIdELi16ELi32ELi8ELb1ELb1ELc84ELc85EKPKS1_KPS1_EviT_T0_PT8_S7_lSA_S7_lS8_PT9_S7_li,"axG",@progbits,_ZL34rocblas_syrkx_herkx_general_kernelIl19rocblas_complex_numIdELi16ELi32ELi8ELb1ELb1ELc84ELc85EKPKS1_KPS1_EviT_T0_PT8_S7_lSA_S7_lS8_PT9_S7_li,comdat
.Lfunc_end1836:
	.size	_ZL34rocblas_syrkx_herkx_general_kernelIl19rocblas_complex_numIdELi16ELi32ELi8ELb1ELb1ELc84ELc85EKPKS1_KPS1_EviT_T0_PT8_S7_lSA_S7_lS8_PT9_S7_li, .Lfunc_end1836-_ZL34rocblas_syrkx_herkx_general_kernelIl19rocblas_complex_numIdELi16ELi32ELi8ELb1ELb1ELc84ELc85EKPKS1_KPS1_EviT_T0_PT8_S7_lSA_S7_lS8_PT9_S7_li
                                        ; -- End function
	.section	.AMDGPU.csdata,"",@progbits
; Kernel info:
; codeLenInByte = 3412
; NumSgprs: 27
; NumVgprs: 120
; ScratchSize: 0
; MemoryBound: 0
; FloatMode: 240
; IeeeMode: 1
; LDSByteSize: 8192 bytes/workgroup (compile time only)
; SGPRBlocks: 3
; VGPRBlocks: 14
; NumSGPRsForWavesPerEU: 27
; NumVGPRsForWavesPerEU: 120
; Occupancy: 12
; WaveLimiterHint : 1
; COMPUTE_PGM_RSRC2:SCRATCH_EN: 0
; COMPUTE_PGM_RSRC2:USER_SGPR: 13
; COMPUTE_PGM_RSRC2:TRAP_HANDLER: 0
; COMPUTE_PGM_RSRC2:TGID_X_EN: 1
; COMPUTE_PGM_RSRC2:TGID_Y_EN: 1
; COMPUTE_PGM_RSRC2:TGID_Z_EN: 1
; COMPUTE_PGM_RSRC2:TIDIG_COMP_CNT: 1
	.section	.text._ZL34rocblas_syrkx_herkx_general_kernelIl19rocblas_complex_numIdELi16ELi32ELi8ELb1ELb1ELc67ELc85EKPKS1_KPS1_EviT_T0_PT8_S7_lSA_S7_lS8_PT9_S7_li,"axG",@progbits,_ZL34rocblas_syrkx_herkx_general_kernelIl19rocblas_complex_numIdELi16ELi32ELi8ELb1ELb1ELc67ELc85EKPKS1_KPS1_EviT_T0_PT8_S7_lSA_S7_lS8_PT9_S7_li,comdat
	.globl	_ZL34rocblas_syrkx_herkx_general_kernelIl19rocblas_complex_numIdELi16ELi32ELi8ELb1ELb1ELc67ELc85EKPKS1_KPS1_EviT_T0_PT8_S7_lSA_S7_lS8_PT9_S7_li ; -- Begin function _ZL34rocblas_syrkx_herkx_general_kernelIl19rocblas_complex_numIdELi16ELi32ELi8ELb1ELb1ELc67ELc85EKPKS1_KPS1_EviT_T0_PT8_S7_lSA_S7_lS8_PT9_S7_li
	.p2align	8
	.type	_ZL34rocblas_syrkx_herkx_general_kernelIl19rocblas_complex_numIdELi16ELi32ELi8ELb1ELb1ELc67ELc85EKPKS1_KPS1_EviT_T0_PT8_S7_lSA_S7_lS8_PT9_S7_li,@function
_ZL34rocblas_syrkx_herkx_general_kernelIl19rocblas_complex_numIdELi16ELi32ELi8ELb1ELb1ELc67ELc85EKPKS1_KPS1_EviT_T0_PT8_S7_lSA_S7_lS8_PT9_S7_li: ; @_ZL34rocblas_syrkx_herkx_general_kernelIl19rocblas_complex_numIdELi16ELi32ELi8ELb1ELb1ELc67ELc85EKPKS1_KPS1_EviT_T0_PT8_S7_lSA_S7_lS8_PT9_S7_li
; %bb.0:
	s_clause 0x1
	s_load_b128 s[16:19], s[0:1], 0x60
	s_load_b256 s[4:11], s[0:1], 0x8
	s_mov_b32 s2, s15
	s_mov_b32 s3, 0
	s_load_b64 s[22:23], s[0:1], 0x28
	s_lshl_b64 s[20:21], s[2:3], 3
	v_mov_b32_e32 v23, 0
	v_dual_mov_b32 v24, 0 :: v_dual_and_b32 v27, 0x3ff, v0
	v_bfe_u32 v28, v0, 10, 10
	s_delay_alu instid0(VALU_DEP_3) | instskip(NEXT) | instid1(VALU_DEP_3)
	v_mov_b32_e32 v19, v23
	v_dual_mov_b32 v21, v23 :: v_dual_mov_b32 v22, v24
	v_dual_mov_b32 v26, v24 :: v_dual_mov_b32 v25, v23
	;; [unrolled: 1-line block ×4, first 2 shown]
	v_mov_b32_e32 v18, v24
	s_waitcnt lgkmcnt(0)
	s_add_u32 s2, s16, s20
	s_addc_u32 s3, s17, s21
	s_load_b32 s15, s[0:1], 0x0
	s_load_b64 s[16:17], s[2:3], 0x0
	v_cmp_lt_i64_e64 s2, s[4:5], 1
	v_dual_mov_b32 v11, v23 :: v_dual_mov_b32 v12, v24
	v_dual_mov_b32 v13, v23 :: v_dual_mov_b32 v14, v24
	s_lshl_b32 s24, s13, 5
	s_lshl_b32 s14, s14, 5
	s_delay_alu instid0(VALU_DEP_3)
	s_and_b32 vcc_lo, exec_lo, s2
	s_mov_b64 s[12:13], 0
	s_cbranch_vccnz .LBB1837_9
; %bb.1:
	s_load_b128 s[0:3], s[0:1], 0x38
	v_lshl_add_u32 v1, v28, 4, v27
	v_dual_mov_b32 v0, 0 :: v_dual_and_b32 v29, 7, v27
	v_lshl_add_u32 v31, v28, 7, 0x1000
	s_delay_alu instid0(VALU_DEP_3) | instskip(SKIP_3) | instid1(VALU_DEP_4)
	v_and_b32_e32 v2, 31, v1
	v_lshrrev_b32_e32 v3, 3, v1
	v_lshrrev_b32_e32 v32, 5, v1
	v_lshlrev_b32_e32 v6, 4, v29
	v_add_nc_u32_e32 v4, s24, v2
	s_delay_alu instid0(VALU_DEP_4) | instskip(SKIP_2) | instid1(VALU_DEP_4)
	v_add_nc_u32_e32 v5, s14, v3
	v_or_b32_e32 v7, s24, v2
	v_lshlrev_b32_e32 v8, 4, v2
	v_ashrrev_i32_e32 v10, 31, v4
	v_mul_lo_u32 v11, s23, v4
	v_mad_u64_u32 v[1:2], null, s22, v4, 0
	s_waitcnt lgkmcnt(0)
	s_add_u32 s26, s0, s20
	v_mul_lo_u32 v4, s22, v10
	s_addc_u32 s27, s1, s21
	s_add_u32 s0, s10, s20
	s_addc_u32 s1, s11, s21
	v_ashrrev_i32_e32 v9, 31, v5
	s_load_b64 s[10:11], s[0:1], 0x0
	v_lshl_or_b32 v10, v3, 7, v6
	v_mul_lo_u32 v12, s3, v5
	v_add3_u32 v2, v2, v4, v11
	v_mul_lo_u32 v9, s2, v9
	v_mad_u64_u32 v[3:4], null, s2, v5, 0
	v_lshlrev_b32_e32 v11, 4, v32
	s_delay_alu instid0(VALU_DEP_4) | instskip(SKIP_4) | instid1(VALU_DEP_4)
	v_lshlrev_b64 v[1:2], 4, v[1:2]
	s_load_b64 s[2:3], s[26:27], 0x0
	v_cmp_gt_i32_e32 vcc_lo, s15, v5
	v_cmp_gt_i32_e64 s0, s15, v7
	v_add3_u32 v4, v4, v9, v12
	v_add_co_u32 v5, s1, v1, v11
	s_delay_alu instid0(VALU_DEP_1) | instskip(NEXT) | instid1(VALU_DEP_3)
	v_add_co_ci_u32_e64 v7, s1, 0, v2, s1
	v_lshlrev_b64 v[1:2], 4, v[3:4]
	s_waitcnt lgkmcnt(0)
	s_delay_alu instid0(VALU_DEP_3) | instskip(NEXT) | instid1(VALU_DEP_1)
	v_add_co_u32 v3, s1, v5, s10
	v_add_co_ci_u32_e64 v4, s1, s11, v7, s1
	s_delay_alu instid0(VALU_DEP_3) | instskip(SKIP_4) | instid1(VALU_DEP_3)
	v_add_co_u32 v1, s1, v1, v6
	v_mov_b32_e32 v5, 0
	v_mov_b32_e32 v6, 0
	v_add_co_ci_u32_e64 v2, s1, 0, v2, s1
	v_add_co_u32 v7, s1, v3, 8
	v_dual_mov_b32 v18, v6 :: v_dual_mov_b32 v17, v5
	v_lshl_or_b32 v33, v32, 9, v8
	v_add_co_ci_u32_e64 v8, s1, 0, v4, s1
	v_add_co_u32 v9, s1, s2, v1
	v_mov_b32_e32 v14, v6
	v_mov_b32_e32 v12, v6
	;; [unrolled: 1-line block ×6, first 2 shown]
	v_dual_mov_b32 v24, v6 :: v_dual_mov_b32 v23, v5
	v_dual_mov_b32 v13, v5 :: v_dual_lshlrev_b32 v30, 4, v27
	v_dual_mov_b32 v15, v5 :: v_dual_add_nc_u32 v34, 0x1000, v10
	v_add_co_ci_u32_e64 v10, s1, s3, v2, s1
	v_mov_b32_e32 v11, v5
	v_mov_b32_e32 v21, v5
	;; [unrolled: 1-line block ×4, first 2 shown]
	s_xor_b32 s1, vcc_lo, -1
	s_branch .LBB1837_3
.LBB1837_2:                             ;   in Loop: Header=BB1837_3 Depth=1
	s_or_b32 exec_lo, exec_lo, s2
	s_waitcnt lgkmcnt(0)
	s_barrier
	buffer_gl0_inv
	ds_load_b128 v[1:4], v31
	ds_load_b128 v[35:38], v30
	ds_load_b128 v[39:42], v30 offset:256
	ds_load_b128 v[43:46], v31 offset:2048
	;; [unrolled: 1-line block ×9, first 2 shown]
	s_add_u32 s12, s12, 8
	s_addc_u32 s13, s13, 0
	v_add_co_u32 v7, vcc_lo, 0x80, v7
	v_cmp_ge_i64_e64 s2, s[12:13], s[4:5]
	v_add_co_ci_u32_e32 v8, vcc_lo, 0, v8, vcc_lo
	v_add_co_u32 v9, vcc_lo, 0x80, v9
	v_add_co_ci_u32_e32 v10, vcc_lo, 0, v10, vcc_lo
	s_delay_alu instid0(VALU_DEP_4)
	s_and_b32 vcc_lo, exec_lo, s2
	s_waitcnt lgkmcnt(9)
	v_mul_f64 v[75:76], v[3:4], v[37:38]
	v_mul_f64 v[77:78], v[1:2], v[37:38]
	s_waitcnt lgkmcnt(8)
	v_mul_f64 v[79:80], v[3:4], v[41:42]
	v_mul_f64 v[81:82], v[1:2], v[41:42]
	;; [unrolled: 3-line block ×3, first 2 shown]
	v_mul_f64 v[85:86], v[45:46], v[41:42]
	v_mul_f64 v[41:42], v[43:44], v[41:42]
	s_waitcnt lgkmcnt(4)
	v_mul_f64 v[87:88], v[49:50], v[57:58]
	v_mul_f64 v[89:90], v[47:48], v[57:58]
	s_waitcnt lgkmcnt(3)
	v_mul_f64 v[91:92], v[49:50], v[61:62]
	v_mul_f64 v[93:94], v[47:48], v[61:62]
	;; [unrolled: 1-line block ×6, first 2 shown]
	s_waitcnt lgkmcnt(0)
	v_mul_f64 v[115:116], v[73:74], v[65:66]
	v_mul_f64 v[117:118], v[73:74], v[69:70]
	v_fma_f64 v[99:100], v[1:2], v[35:36], -v[75:76]
	v_fma_f64 v[101:102], v[3:4], v[35:36], v[77:78]
	v_fma_f64 v[79:80], v[1:2], v[39:40], -v[79:80]
	v_fma_f64 v[81:82], v[3:4], v[39:40], v[81:82]
	;; [unrolled: 2-line block ×4, first 2 shown]
	ds_load_b128 v[75:78], v31 offset:32
	v_fma_f64 v[87:88], v[47:48], v[55:56], -v[87:88]
	v_fma_f64 v[89:90], v[49:50], v[55:56], v[89:90]
	v_fma_f64 v[47:48], v[47:48], v[59:60], -v[91:92]
	v_fma_f64 v[49:50], v[49:50], v[59:60], v[93:94]
	;; [unrolled: 2-line block ×4, first 2 shown]
	ds_load_b128 v[1:4], v31 offset:48
	ds_load_b128 v[35:38], v31 offset:2096
	;; [unrolled: 1-line block ×4, first 2 shown]
	s_waitcnt lgkmcnt(4)
	v_mul_f64 v[107:108], v[77:78], v[65:66]
	v_mul_f64 v[109:110], v[75:76], v[65:66]
	;; [unrolled: 1-line block ×6, first 2 shown]
	s_waitcnt lgkmcnt(1)
	v_mul_f64 v[93:94], v[1:2], v[41:42]
	s_waitcnt lgkmcnt(0)
	v_mul_f64 v[95:96], v[3:4], v[45:46]
	v_add_f64 v[23:24], v[23:24], v[99:100]
	v_add_f64 v[25:26], v[25:26], v[101:102]
	;; [unrolled: 1-line block ×8, first 2 shown]
	v_mul_f64 v[85:86], v[3:4], v[41:42]
	v_mul_f64 v[97:98], v[1:2], v[45:46]
	;; [unrolled: 1-line block ×6, first 2 shown]
	ds_load_b128 v[11:14], v30 offset:2048
	ds_load_b128 v[15:18], v30 offset:2304
	;; [unrolled: 1-line block ×3, first 2 shown]
	v_fma_f64 v[105:106], v[75:76], v[63:64], -v[107:108]
	v_fma_f64 v[107:108], v[77:78], v[63:64], v[109:110]
	v_fma_f64 v[75:76], v[75:76], v[67:68], -v[111:112]
	v_fma_f64 v[77:78], v[77:78], v[67:68], v[113:114]
	;; [unrolled: 2-line block ×4, first 2 shown]
	s_waitcnt lgkmcnt(0)
	v_mul_f64 v[115:116], v[21:22], v[13:14]
	v_mul_f64 v[117:118], v[21:22], v[17:18]
	v_add_f64 v[69:70], v[23:24], v[87:88]
	v_add_f64 v[71:72], v[25:26], v[89:90]
	;; [unrolled: 1-line block ×8, first 2 shown]
	ds_load_b128 v[23:26], v31 offset:64
	v_fma_f64 v[85:86], v[1:2], v[39:40], -v[85:86]
	v_fma_f64 v[93:94], v[3:4], v[39:40], v[93:94]
	v_fma_f64 v[95:96], v[1:2], v[43:44], -v[95:96]
	v_fma_f64 v[97:98], v[3:4], v[43:44], v[97:98]
	;; [unrolled: 2-line block ×4, first 2 shown]
	ds_load_b128 v[45:48], v31 offset:80
	ds_load_b128 v[49:52], v31 offset:2128
	;; [unrolled: 1-line block ×7, first 2 shown]
	s_waitcnt lgkmcnt(7)
	v_mul_f64 v[89:90], v[25:26], v[13:14]
	v_mul_f64 v[91:92], v[23:24], v[13:14]
	;; [unrolled: 1-line block ×6, first 2 shown]
	s_waitcnt lgkmcnt(3)
	v_mul_f64 v[103:104], v[51:52], v[59:60]
	v_add_f64 v[69:70], v[69:70], v[105:106]
	v_add_f64 v[71:72], v[71:72], v[107:108]
	;; [unrolled: 1-line block ×8, first 2 shown]
	v_mul_f64 v[77:78], v[47:48], v[55:56]
	v_mul_f64 v[79:80], v[45:46], v[55:56]
	;; [unrolled: 1-line block ×7, first 2 shown]
	v_fma_f64 v[89:90], v[23:24], v[11:12], -v[89:90]
	v_fma_f64 v[91:92], v[25:26], v[11:12], v[91:92]
	v_fma_f64 v[107:108], v[23:24], v[15:16], -v[111:112]
	v_fma_f64 v[109:110], v[25:26], v[15:16], v[113:114]
	v_fma_f64 v[111:112], v[19:20], v[11:12], -v[115:116]
	v_fma_f64 v[113:114], v[21:22], v[11:12], v[13:14]
	v_fma_f64 v[115:116], v[19:20], v[15:16], -v[117:118]
	v_fma_f64 v[117:118], v[21:22], v[15:16], v[17:18]
	ds_load_b128 v[11:14], v31 offset:96
	v_add_f64 v[69:70], v[69:70], v[85:86]
	v_add_f64 v[71:72], v[71:72], v[93:94]
	;; [unrolled: 1-line block ×8, first 2 shown]
	s_waitcnt lgkmcnt(1)
	v_mul_f64 v[99:100], v[41:42], v[3:4]
	v_mul_f64 v[101:102], v[41:42], v[37:38]
	v_fma_f64 v[77:78], v[45:46], v[53:54], -v[77:78]
	v_fma_f64 v[79:80], v[47:48], v[53:54], v[79:80]
	v_fma_f64 v[45:46], v[45:46], v[57:58], -v[81:82]
	v_fma_f64 v[47:48], v[47:48], v[57:58], v[83:84]
	;; [unrolled: 2-line block ×4, first 2 shown]
	s_waitcnt lgkmcnt(0)
	v_mul_f64 v[67:68], v[13:14], v[3:4]
	v_mul_f64 v[93:94], v[11:12], v[3:4]
	;; [unrolled: 1-line block ×6, first 2 shown]
	ds_load_b128 v[15:18], v31 offset:112
	ds_load_b128 v[19:22], v31 offset:2160
	;; [unrolled: 1-line block ×4, first 2 shown]
	s_waitcnt lgkmcnt(0)
	s_barrier
	buffer_gl0_inv
	v_add_f64 v[55:56], v[69:70], v[89:90]
	v_add_f64 v[57:58], v[71:72], v[91:92]
	;; [unrolled: 1-line block ×8, first 2 shown]
	v_mul_f64 v[75:76], v[17:18], v[25:26]
	v_mul_f64 v[83:84], v[15:16], v[25:26]
	;; [unrolled: 1-line block ×8, first 2 shown]
	v_fma_f64 v[67:68], v[11:12], v[1:2], -v[67:68]
	v_fma_f64 v[93:94], v[13:14], v[1:2], v[93:94]
	v_fma_f64 v[11:12], v[11:12], v[35:36], -v[95:96]
	v_fma_f64 v[13:14], v[13:14], v[35:36], v[97:98]
	;; [unrolled: 2-line block ×4, first 2 shown]
	v_add_f64 v[37:38], v[55:56], v[77:78]
	v_add_f64 v[39:40], v[57:58], v[79:80]
	;; [unrolled: 1-line block ×8, first 2 shown]
	v_fma_f64 v[51:52], v[15:16], v[23:24], -v[75:76]
	v_fma_f64 v[55:56], v[17:18], v[23:24], v[83:84]
	v_fma_f64 v[15:16], v[15:16], v[59:60], -v[85:86]
	v_fma_f64 v[17:18], v[17:18], v[59:60], v[87:88]
	;; [unrolled: 2-line block ×4, first 2 shown]
	v_add_f64 v[19:20], v[37:38], v[67:68]
	v_add_f64 v[21:22], v[39:40], v[93:94]
	;; [unrolled: 1-line block ×16, first 2 shown]
	s_cbranch_vccnz .LBB1837_9
.LBB1837_3:                             ; =>This Inner Loop Header: Depth=1
	v_add_co_u32 v1, s2, v32, s12
	s_delay_alu instid0(VALU_DEP_1) | instskip(SKIP_1) | instid1(VALU_DEP_2)
	v_add_co_ci_u32_e64 v2, null, 0, s13, s2
	v_dual_mov_b32 v3, v5 :: v_dual_mov_b32 v4, v6
	v_cmp_gt_i64_e32 vcc_lo, s[4:5], v[1:2]
	v_dual_mov_b32 v1, v5 :: v_dual_mov_b32 v2, v6
	s_and_b32 s3, s0, vcc_lo
	s_delay_alu instid0(SALU_CYCLE_1)
	s_and_saveexec_b32 s2, s3
	s_cbranch_execz .LBB1837_5
; %bb.4:                                ;   in Loop: Header=BB1837_3 Depth=1
	global_load_b128 v[1:4], v[7:8], off offset:-8
	s_waitcnt vmcnt(0)
	v_xor_b32_e32 v4, 0x80000000, v4
.LBB1837_5:                             ;   in Loop: Header=BB1837_3 Depth=1
	s_or_b32 exec_lo, exec_lo, s2
	v_add_co_u32 v35, s2, v29, s12
	s_delay_alu instid0(VALU_DEP_1) | instskip(SKIP_3) | instid1(SALU_CYCLE_1)
	v_add_co_ci_u32_e64 v36, null, 0, s13, s2
	ds_store_b128 v33, v[1:4]
	v_cmp_le_i64_e32 vcc_lo, s[4:5], v[35:36]
	s_or_b32 s2, vcc_lo, s1
	s_and_saveexec_b32 s3, s2
	s_delay_alu instid0(SALU_CYCLE_1)
	s_xor_b32 s2, exec_lo, s3
	s_cbranch_execz .LBB1837_7
; %bb.6:                                ;   in Loop: Header=BB1837_3 Depth=1
	v_mov_b32_e32 v1, v0
	v_mov_b32_e32 v2, v0
	;; [unrolled: 1-line block ×3, first 2 shown]
	ds_store_b128 v34, v[0:3]
.LBB1837_7:                             ;   in Loop: Header=BB1837_3 Depth=1
	s_and_not1_saveexec_b32 s2, s2
	s_cbranch_execz .LBB1837_2
; %bb.8:                                ;   in Loop: Header=BB1837_3 Depth=1
	global_load_b128 v[1:4], v[9:10], off
	s_waitcnt vmcnt(0)
	ds_store_2addr_b64 v34, v[1:2], v[3:4] offset1:1
	s_branch .LBB1837_2
.LBB1837_9:
	v_add_nc_u32_e32 v4, s14, v28
	s_delay_alu instid0(VALU_DEP_1)
	v_ashrrev_i32_e32 v0, 31, v4
	v_mul_lo_u32 v3, v4, s19
	v_mad_u64_u32 v[1:2], null, v4, s18, 0
	s_waitcnt lgkmcnt(0)
	v_cmp_gt_i32_e32 vcc_lo, s15, v4
	v_mul_lo_u32 v0, v0, s18
	s_delay_alu instid0(VALU_DEP_1) | instskip(SKIP_1) | instid1(VALU_DEP_2)
	v_add3_u32 v2, v2, v3, v0
	v_add_nc_u32_e32 v0, s24, v27
	v_lshlrev_b64 v[1:2], 4, v[1:2]
	s_delay_alu instid0(VALU_DEP_2) | instskip(NEXT) | instid1(VALU_DEP_1)
	v_cmp_le_i32_e64 s0, v0, v4
	s_and_b32 s0, vcc_lo, s0
	s_delay_alu instid0(VALU_DEP_2) | instskip(NEXT) | instid1(VALU_DEP_1)
	v_add_co_u32 v5, s1, s16, v1
	v_add_co_ci_u32_e64 v6, s1, s17, v2, s1
	s_and_saveexec_b32 s2, s0
	s_cbranch_execz .LBB1837_11
; %bb.10:
	v_mul_f64 v[1:2], s[6:7], v[25:26]
	v_mul_f64 v[7:8], s[8:9], v[25:26]
	v_cmp_ne_u32_e64 s0, v4, v0
	s_delay_alu instid0(VALU_DEP_3) | instskip(NEXT) | instid1(VALU_DEP_3)
	v_fma_f64 v[2:3], s[8:9], v[23:24], v[1:2]
	v_fma_f64 v[7:8], s[6:7], v[23:24], -v[7:8]
	v_ashrrev_i32_e32 v1, 31, v0
	s_delay_alu instid0(VALU_DEP_1) | instskip(NEXT) | instid1(VALU_DEP_1)
	v_lshlrev_b64 v[9:10], 4, v[0:1]
	v_add_co_u32 v23, s1, v5, v9
	s_delay_alu instid0(VALU_DEP_1)
	v_add_co_ci_u32_e64 v24, s1, v6, v10, s1
	v_cndmask_b32_e64 v10, 0, v3, s0
	v_cndmask_b32_e64 v9, 0, v2, s0
	global_store_b128 v[23:24], v[7:10], off
.LBB1837_11:
	s_or_b32 exec_lo, exec_lo, s2
	v_add_nc_u32_e32 v2, 16, v0
	s_delay_alu instid0(VALU_DEP_1) | instskip(NEXT) | instid1(VALU_DEP_1)
	v_cmp_le_i32_e64 s0, v2, v4
	s_and_b32 s0, vcc_lo, s0
	s_delay_alu instid0(SALU_CYCLE_1)
	s_and_saveexec_b32 s1, s0
	s_cbranch_execz .LBB1837_13
; %bb.12:
	v_mul_f64 v[7:8], s[6:7], v[21:22]
	v_mul_f64 v[9:10], s[8:9], v[21:22]
	v_ashrrev_i32_e32 v3, 31, v2
	v_cmp_ne_u32_e32 vcc_lo, v4, v2
	s_delay_alu instid0(VALU_DEP_4) | instskip(NEXT) | instid1(VALU_DEP_4)
	v_fma_f64 v[21:22], s[8:9], v[19:20], v[7:8]
	v_fma_f64 v[7:8], s[6:7], v[19:20], -v[9:10]
	s_delay_alu instid0(VALU_DEP_4) | instskip(NEXT) | instid1(VALU_DEP_1)
	v_lshlrev_b64 v[9:10], 4, v[2:3]
	v_add_co_u32 v5, s0, v5, v9
	s_delay_alu instid0(VALU_DEP_1)
	v_add_co_ci_u32_e64 v6, s0, v6, v10, s0
	v_dual_cndmask_b32 v10, 0, v22 :: v_dual_cndmask_b32 v9, 0, v21
	global_store_b128 v[5:6], v[7:10], off
.LBB1837_13:
	s_or_b32 exec_lo, exec_lo, s1
	v_add_nc_u32_e32 v3, 16, v4
	s_delay_alu instid0(VALU_DEP_1) | instskip(SKIP_3) | instid1(VALU_DEP_4)
	v_ashrrev_i32_e32 v1, 31, v3
	v_mul_lo_u32 v7, v3, s19
	v_mad_u64_u32 v[5:6], null, v3, s18, 0
	v_cmp_gt_i32_e32 vcc_lo, s15, v3
	v_mul_lo_u32 v1, v1, s18
	v_cmp_le_i32_e64 s0, v0, v3
	s_delay_alu instid0(VALU_DEP_1) | instskip(NEXT) | instid1(VALU_DEP_2)
	s_and_b32 s0, vcc_lo, s0
	v_add3_u32 v6, v6, v7, v1
	s_delay_alu instid0(VALU_DEP_1) | instskip(NEXT) | instid1(VALU_DEP_1)
	v_lshlrev_b64 v[5:6], 4, v[5:6]
	v_add_co_u32 v5, s1, s16, v5
	s_delay_alu instid0(VALU_DEP_1)
	v_add_co_ci_u32_e64 v6, s1, s17, v6, s1
	s_and_saveexec_b32 s2, s0
	s_cbranch_execz .LBB1837_15
; %bb.14:
	v_mul_f64 v[7:8], s[6:7], v[17:18]
	v_mul_f64 v[9:10], s[8:9], v[17:18]
	v_ashrrev_i32_e32 v1, 31, v0
	v_cmp_ne_u32_e64 s0, v3, v0
	s_delay_alu instid0(VALU_DEP_4) | instskip(NEXT) | instid1(VALU_DEP_4)
	v_fma_f64 v[17:18], s[8:9], v[15:16], v[7:8]
	v_fma_f64 v[7:8], s[6:7], v[15:16], -v[9:10]
	s_delay_alu instid0(VALU_DEP_4) | instskip(NEXT) | instid1(VALU_DEP_1)
	v_lshlrev_b64 v[9:10], 4, v[0:1]
	v_add_co_u32 v15, s1, v5, v9
	s_delay_alu instid0(VALU_DEP_1)
	v_add_co_ci_u32_e64 v16, s1, v6, v10, s1
	v_cndmask_b32_e64 v10, 0, v18, s0
	v_cndmask_b32_e64 v9, 0, v17, s0
	global_store_b128 v[15:16], v[7:10], off
.LBB1837_15:
	s_or_b32 exec_lo, exec_lo, s2
	v_cmp_le_i32_e64 s0, v2, v3
	s_delay_alu instid0(VALU_DEP_1) | instskip(NEXT) | instid1(SALU_CYCLE_1)
	s_and_b32 s0, vcc_lo, s0
	s_and_saveexec_b32 s1, s0
	s_cbranch_execz .LBB1837_17
; %bb.16:
	v_mul_f64 v[7:8], s[6:7], v[13:14]
	v_mul_f64 v[9:10], s[8:9], v[13:14]
	v_ashrrev_i32_e32 v3, 31, v2
	v_cmp_ne_u32_e32 vcc_lo, v4, v0
	s_delay_alu instid0(VALU_DEP_2) | instskip(NEXT) | instid1(VALU_DEP_1)
	v_lshlrev_b64 v[1:2], 4, v[2:3]
	v_add_co_u32 v0, s0, v5, v1
	s_delay_alu instid0(VALU_DEP_1) | instskip(SKIP_2) | instid1(VALU_DEP_2)
	v_add_co_ci_u32_e64 v1, s0, v6, v2, s0
	v_fma_f64 v[13:14], s[8:9], v[11:12], v[7:8]
	v_fma_f64 v[7:8], s[6:7], v[11:12], -v[9:10]
	v_dual_cndmask_b32 v10, 0, v14 :: v_dual_cndmask_b32 v9, 0, v13
	global_store_b128 v[0:1], v[7:10], off
.LBB1837_17:
	s_nop 0
	s_sendmsg sendmsg(MSG_DEALLOC_VGPRS)
	s_endpgm
	.section	.rodata,"a",@progbits
	.p2align	6, 0x0
	.amdhsa_kernel _ZL34rocblas_syrkx_herkx_general_kernelIl19rocblas_complex_numIdELi16ELi32ELi8ELb1ELb1ELc67ELc85EKPKS1_KPS1_EviT_T0_PT8_S7_lSA_S7_lS8_PT9_S7_li
		.amdhsa_group_segment_fixed_size 8192
		.amdhsa_private_segment_fixed_size 0
		.amdhsa_kernarg_size 124
		.amdhsa_user_sgpr_count 13
		.amdhsa_user_sgpr_dispatch_ptr 0
		.amdhsa_user_sgpr_queue_ptr 0
		.amdhsa_user_sgpr_kernarg_segment_ptr 1
		.amdhsa_user_sgpr_dispatch_id 0
		.amdhsa_user_sgpr_private_segment_size 0
		.amdhsa_wavefront_size32 1
		.amdhsa_uses_dynamic_stack 0
		.amdhsa_enable_private_segment 0
		.amdhsa_system_sgpr_workgroup_id_x 1
		.amdhsa_system_sgpr_workgroup_id_y 1
		.amdhsa_system_sgpr_workgroup_id_z 1
		.amdhsa_system_sgpr_workgroup_info 0
		.amdhsa_system_vgpr_workitem_id 1
		.amdhsa_next_free_vgpr 121
		.amdhsa_next_free_sgpr 28
		.amdhsa_reserve_vcc 1
		.amdhsa_float_round_mode_32 0
		.amdhsa_float_round_mode_16_64 0
		.amdhsa_float_denorm_mode_32 3
		.amdhsa_float_denorm_mode_16_64 3
		.amdhsa_dx10_clamp 1
		.amdhsa_ieee_mode 1
		.amdhsa_fp16_overflow 0
		.amdhsa_workgroup_processor_mode 1
		.amdhsa_memory_ordered 1
		.amdhsa_forward_progress 0
		.amdhsa_shared_vgpr_count 0
		.amdhsa_exception_fp_ieee_invalid_op 0
		.amdhsa_exception_fp_denorm_src 0
		.amdhsa_exception_fp_ieee_div_zero 0
		.amdhsa_exception_fp_ieee_overflow 0
		.amdhsa_exception_fp_ieee_underflow 0
		.amdhsa_exception_fp_ieee_inexact 0
		.amdhsa_exception_int_div_zero 0
	.end_amdhsa_kernel
	.section	.text._ZL34rocblas_syrkx_herkx_general_kernelIl19rocblas_complex_numIdELi16ELi32ELi8ELb1ELb1ELc67ELc85EKPKS1_KPS1_EviT_T0_PT8_S7_lSA_S7_lS8_PT9_S7_li,"axG",@progbits,_ZL34rocblas_syrkx_herkx_general_kernelIl19rocblas_complex_numIdELi16ELi32ELi8ELb1ELb1ELc67ELc85EKPKS1_KPS1_EviT_T0_PT8_S7_lSA_S7_lS8_PT9_S7_li,comdat
.Lfunc_end1837:
	.size	_ZL34rocblas_syrkx_herkx_general_kernelIl19rocblas_complex_numIdELi16ELi32ELi8ELb1ELb1ELc67ELc85EKPKS1_KPS1_EviT_T0_PT8_S7_lSA_S7_lS8_PT9_S7_li, .Lfunc_end1837-_ZL34rocblas_syrkx_herkx_general_kernelIl19rocblas_complex_numIdELi16ELi32ELi8ELb1ELb1ELc67ELc85EKPKS1_KPS1_EviT_T0_PT8_S7_lSA_S7_lS8_PT9_S7_li
                                        ; -- End function
	.section	.AMDGPU.csdata,"",@progbits
; Kernel info:
; codeLenInByte = 3420
; NumSgprs: 30
; NumVgprs: 121
; ScratchSize: 0
; MemoryBound: 1
; FloatMode: 240
; IeeeMode: 1
; LDSByteSize: 8192 bytes/workgroup (compile time only)
; SGPRBlocks: 3
; VGPRBlocks: 15
; NumSGPRsForWavesPerEU: 30
; NumVGPRsForWavesPerEU: 121
; Occupancy: 10
; WaveLimiterHint : 1
; COMPUTE_PGM_RSRC2:SCRATCH_EN: 0
; COMPUTE_PGM_RSRC2:USER_SGPR: 13
; COMPUTE_PGM_RSRC2:TRAP_HANDLER: 0
; COMPUTE_PGM_RSRC2:TGID_X_EN: 1
; COMPUTE_PGM_RSRC2:TGID_Y_EN: 1
; COMPUTE_PGM_RSRC2:TGID_Z_EN: 1
; COMPUTE_PGM_RSRC2:TIDIG_COMP_CNT: 1
	.section	.text._ZL34rocblas_syrkx_herkx_general_kernelIl19rocblas_complex_numIdELi16ELi32ELi8ELb1ELb1ELc78ELc85EKPKS1_KPS1_EviT_T0_PT8_S7_lSA_S7_lS8_PT9_S7_li,"axG",@progbits,_ZL34rocblas_syrkx_herkx_general_kernelIl19rocblas_complex_numIdELi16ELi32ELi8ELb1ELb1ELc78ELc85EKPKS1_KPS1_EviT_T0_PT8_S7_lSA_S7_lS8_PT9_S7_li,comdat
	.globl	_ZL34rocblas_syrkx_herkx_general_kernelIl19rocblas_complex_numIdELi16ELi32ELi8ELb1ELb1ELc78ELc85EKPKS1_KPS1_EviT_T0_PT8_S7_lSA_S7_lS8_PT9_S7_li ; -- Begin function _ZL34rocblas_syrkx_herkx_general_kernelIl19rocblas_complex_numIdELi16ELi32ELi8ELb1ELb1ELc78ELc85EKPKS1_KPS1_EviT_T0_PT8_S7_lSA_S7_lS8_PT9_S7_li
	.p2align	8
	.type	_ZL34rocblas_syrkx_herkx_general_kernelIl19rocblas_complex_numIdELi16ELi32ELi8ELb1ELb1ELc78ELc85EKPKS1_KPS1_EviT_T0_PT8_S7_lSA_S7_lS8_PT9_S7_li,@function
_ZL34rocblas_syrkx_herkx_general_kernelIl19rocblas_complex_numIdELi16ELi32ELi8ELb1ELb1ELc78ELc85EKPKS1_KPS1_EviT_T0_PT8_S7_lSA_S7_lS8_PT9_S7_li: ; @_ZL34rocblas_syrkx_herkx_general_kernelIl19rocblas_complex_numIdELi16ELi32ELi8ELb1ELb1ELc78ELc85EKPKS1_KPS1_EviT_T0_PT8_S7_lSA_S7_lS8_PT9_S7_li
; %bb.0:
	s_clause 0x1
	s_load_b128 s[16:19], s[0:1], 0x60
	s_load_b256 s[4:11], s[0:1], 0x8
	s_mov_b32 s2, s15
	s_mov_b32 s3, 0
	s_load_b64 s[20:21], s[0:1], 0x28
	s_lshl_b64 s[22:23], s[2:3], 3
	v_mov_b32_e32 v21, 0
	v_dual_mov_b32 v22, 0 :: v_dual_and_b32 v25, 0x3ff, v0
	v_bfe_u32 v26, v0, 10, 10
	s_delay_alu instid0(VALU_DEP_3) | instskip(NEXT) | instid1(VALU_DEP_3)
	v_mov_b32_e32 v17, v21
	v_dual_mov_b32 v19, v21 :: v_dual_mov_b32 v20, v22
	v_dual_mov_b32 v24, v22 :: v_dual_mov_b32 v23, v21
	;; [unrolled: 1-line block ×4, first 2 shown]
	v_mov_b32_e32 v16, v22
	s_waitcnt lgkmcnt(0)
	s_add_u32 s2, s16, s22
	s_addc_u32 s3, s17, s23
	s_load_b32 s15, s[0:1], 0x0
	s_load_b64 s[16:17], s[2:3], 0x0
	v_cmp_lt_i64_e64 s2, s[4:5], 1
	v_dual_mov_b32 v11, v21 :: v_dual_mov_b32 v12, v22
	v_dual_mov_b32 v9, v21 :: v_dual_mov_b32 v10, v22
	s_lshl_b32 s24, s13, 5
	s_lshl_b32 s14, s14, 5
	s_delay_alu instid0(VALU_DEP_3)
	s_and_b32 vcc_lo, exec_lo, s2
	s_mov_b64 s[12:13], 0
	s_cbranch_vccnz .LBB1838_9
; %bb.1:
	s_load_b128 s[0:3], s[0:1], 0x38
	v_lshl_add_u32 v1, v26, 4, v25
	v_dual_mov_b32 v0, 0 :: v_dual_and_b32 v27, 7, v25
	v_dual_mov_b32 v9, 0 :: v_dual_lshlrev_b32 v28, 4, v25
	s_delay_alu instid0(VALU_DEP_3) | instskip(SKIP_3) | instid1(VALU_DEP_4)
	v_lshrrev_b32_e32 v30, 5, v1
	v_dual_mov_b32 v10, 0 :: v_dual_and_b32 v7, 31, v1
	v_lshrrev_b32_e32 v2, 3, v1
	v_lshlrev_b32_e32 v8, 4, v27
	v_mad_u64_u32 v[5:6], null, s20, v30, 0
	s_delay_alu instid0(VALU_DEP_4)
	v_or_b32_e32 v11, s24, v7
	v_lshlrev_b32_e32 v12, 4, v7
	v_dual_mov_b32 v20, v10 :: v_dual_add_nc_u32 v7, s24, v7
	v_mov_b32_e32 v18, v10
	s_waitcnt lgkmcnt(0)
	v_cmp_gt_i32_e32 vcc_lo, s15, v11
	v_lshl_or_b32 v31, v30, 9, v12
	v_mad_u64_u32 v[3:4], null, s2, v27, 0
	s_add_u32 s0, s0, s22
	s_addc_u32 s1, s1, s23
	s_add_u32 s10, s10, s22
	s_load_b64 s[26:27], s[0:1], 0x0
	s_addc_u32 s11, s11, s23
	v_mov_b32_e32 v24, v10
	s_delay_alu instid0(VALU_DEP_2)
	v_mad_u64_u32 v[11:12], null, s3, v27, v[4:5]
	v_mad_u64_u32 v[12:13], null, s21, v30, v[6:7]
	v_add_nc_u32_e32 v1, s14, v2
	s_load_b64 s[10:11], s[10:11], 0x0
	v_mov_b32_e32 v22, v10
	v_lshl_add_u32 v29, v26, 7, 0x1000
	v_mov_b32_e32 v4, v11
	v_cmp_gt_i32_e64 s0, s15, v1
	v_mov_b32_e32 v6, v12
	v_dual_mov_b32 v12, v10 :: v_dual_mov_b32 v19, v9
	v_mov_b32_e32 v11, v9
	v_lshl_or_b32 v15, v2, 7, v8
	v_ashrrev_i32_e32 v2, 31, v1
	v_ashrrev_i32_e32 v8, 31, v7
	v_mov_b32_e32 v17, v9
	s_delay_alu instid0(VALU_DEP_4) | instskip(NEXT) | instid1(VALU_DEP_4)
	v_dual_mov_b32 v21, v9 :: v_dual_add_nc_u32 v32, 0x1000, v15
	v_lshlrev_b64 v[13:14], 4, v[1:2]
	v_lshlrev_b64 v[2:3], 4, v[3:4]
	;; [unrolled: 1-line block ×4, first 2 shown]
	v_dual_mov_b32 v16, v10 :: v_dual_mov_b32 v15, v9
	v_mov_b32_e32 v23, v9
	v_add_co_u32 v1, s1, v2, v13
	s_delay_alu instid0(VALU_DEP_1) | instskip(SKIP_1) | instid1(VALU_DEP_1)
	v_add_co_ci_u32_e64 v2, s1, v3, v14, s1
	v_add_co_u32 v3, s1, v4, v7
	v_add_co_ci_u32_e64 v4, s1, v5, v8, s1
	s_waitcnt lgkmcnt(0)
	v_add_co_u32 v1, s1, v1, s26
	s_delay_alu instid0(VALU_DEP_1) | instskip(SKIP_1) | instid1(VALU_DEP_1)
	v_add_co_ci_u32_e64 v2, s1, s27, v2, s1
	v_add_co_u32 v5, s1, s10, v3
	v_add_co_ci_u32_e64 v6, s1, s11, v4, s1
	s_delay_alu instid0(VALU_DEP_4)
	v_add_co_u32 v7, s1, v1, 8
	v_mov_b32_e32 v14, v10
	v_add_co_ci_u32_e64 v8, s1, 0, v2, s1
	v_mov_b32_e32 v13, v9
	s_lshl_b64 s[10:11], s[20:21], 7
	s_lshl_b64 s[2:3], s[2:3], 7
	s_xor_b32 s1, vcc_lo, -1
	s_branch .LBB1838_3
.LBB1838_2:                             ;   in Loop: Header=BB1838_3 Depth=1
	s_or_b32 exec_lo, exec_lo, s20
	ds_store_b128 v32, v[1:4]
	s_waitcnt lgkmcnt(0)
	s_barrier
	buffer_gl0_inv
	ds_load_b128 v[1:4], v29
	ds_load_b128 v[33:36], v28
	ds_load_b128 v[37:40], v28 offset:256
	ds_load_b128 v[41:44], v29 offset:2048
	;; [unrolled: 1-line block ×9, first 2 shown]
	s_add_u32 s12, s12, 8
	s_addc_u32 s13, s13, 0
	v_add_co_u32 v5, vcc_lo, v5, s10
	v_cmp_ge_i64_e64 s20, s[12:13], s[4:5]
	v_add_co_ci_u32_e32 v6, vcc_lo, s11, v6, vcc_lo
	v_add_co_u32 v7, vcc_lo, v7, s2
	v_add_co_ci_u32_e32 v8, vcc_lo, s3, v8, vcc_lo
	s_delay_alu instid0(VALU_DEP_4)
	s_and_b32 vcc_lo, exec_lo, s20
	s_waitcnt lgkmcnt(9)
	v_mul_f64 v[73:74], v[3:4], v[35:36]
	v_mul_f64 v[75:76], v[1:2], v[35:36]
	s_waitcnt lgkmcnt(8)
	v_mul_f64 v[77:78], v[3:4], v[39:40]
	v_mul_f64 v[79:80], v[1:2], v[39:40]
	;; [unrolled: 3-line block ×3, first 2 shown]
	v_mul_f64 v[83:84], v[43:44], v[39:40]
	v_mul_f64 v[39:40], v[41:42], v[39:40]
	s_waitcnt lgkmcnt(4)
	v_mul_f64 v[85:86], v[47:48], v[55:56]
	v_mul_f64 v[87:88], v[45:46], v[55:56]
	s_waitcnt lgkmcnt(3)
	v_mul_f64 v[89:90], v[47:48], v[59:60]
	v_mul_f64 v[91:92], v[45:46], v[59:60]
	;; [unrolled: 1-line block ×6, first 2 shown]
	v_fma_f64 v[97:98], v[1:2], v[33:34], -v[73:74]
	v_fma_f64 v[99:100], v[3:4], v[33:34], v[75:76]
	ds_load_b128 v[73:76], v29 offset:32
	v_fma_f64 v[77:78], v[1:2], v[37:38], -v[77:78]
	v_fma_f64 v[79:80], v[3:4], v[37:38], v[79:80]
	v_fma_f64 v[81:82], v[41:42], v[33:34], -v[81:82]
	v_fma_f64 v[101:102], v[43:44], v[33:34], v[35:36]
	;; [unrolled: 2-line block ×3, first 2 shown]
	s_waitcnt lgkmcnt(1)
	v_mul_f64 v[113:114], v[71:72], v[63:64]
	v_fma_f64 v[85:86], v[45:46], v[53:54], -v[85:86]
	v_fma_f64 v[87:88], v[47:48], v[53:54], v[87:88]
	v_fma_f64 v[45:46], v[45:46], v[57:58], -v[89:90]
	v_fma_f64 v[47:48], v[47:48], v[57:58], v[91:92]
	v_mul_f64 v[89:90], v[71:72], v[67:68]
	v_fma_f64 v[91:92], v[49:50], v[53:54], -v[93:94]
	v_fma_f64 v[53:54], v[51:52], v[53:54], v[55:56]
	v_fma_f64 v[49:50], v[49:50], v[57:58], -v[95:96]
	v_fma_f64 v[51:52], v[51:52], v[57:58], v[59:60]
	ds_load_b128 v[1:4], v29 offset:48
	ds_load_b128 v[33:36], v29 offset:2096
	;; [unrolled: 1-line block ×4, first 2 shown]
	s_waitcnt lgkmcnt(4)
	v_mul_f64 v[105:106], v[75:76], v[63:64]
	v_mul_f64 v[107:108], v[73:74], v[63:64]
	;; [unrolled: 1-line block ×6, first 2 shown]
	s_waitcnt lgkmcnt(1)
	v_mul_f64 v[93:94], v[1:2], v[39:40]
	v_add_f64 v[21:22], v[21:22], v[97:98]
	v_add_f64 v[23:24], v[23:24], v[99:100]
	v_add_f64 v[55:56], v[17:18], v[77:78]
	v_add_f64 v[57:58], v[19:20], v[79:80]
	v_add_f64 v[59:60], v[13:14], v[81:82]
	v_add_f64 v[77:78], v[15:16], v[101:102]
	v_add_f64 v[79:80], v[11:12], v[83:84]
	v_add_f64 v[81:82], v[9:10], v[103:104]
	v_mul_f64 v[83:84], v[3:4], v[39:40]
	s_waitcnt lgkmcnt(0)
	v_mul_f64 v[95:96], v[3:4], v[43:44]
	v_mul_f64 v[97:98], v[1:2], v[43:44]
	;; [unrolled: 1-line block ×6, first 2 shown]
	ds_load_b128 v[9:12], v28 offset:2048
	ds_load_b128 v[13:16], v28 offset:2304
	;; [unrolled: 1-line block ×3, first 2 shown]
	v_fma_f64 v[105:106], v[73:74], v[61:62], -v[105:106]
	v_fma_f64 v[107:108], v[75:76], v[61:62], v[107:108]
	v_fma_f64 v[73:74], v[73:74], v[65:66], -v[109:110]
	v_fma_f64 v[75:76], v[75:76], v[65:66], v[111:112]
	;; [unrolled: 2-line block ×4, first 2 shown]
	s_waitcnt lgkmcnt(0)
	v_mul_f64 v[113:114], v[19:20], v[11:12]
	v_mul_f64 v[115:116], v[19:20], v[15:16]
	v_fma_f64 v[93:94], v[3:4], v[37:38], v[93:94]
	v_add_f64 v[67:68], v[21:22], v[85:86]
	v_add_f64 v[69:70], v[23:24], v[87:88]
	;; [unrolled: 1-line block ×8, first 2 shown]
	ds_load_b128 v[21:24], v29 offset:64
	v_fma_f64 v[83:84], v[1:2], v[37:38], -v[83:84]
	v_fma_f64 v[95:96], v[1:2], v[41:42], -v[95:96]
	v_fma_f64 v[97:98], v[3:4], v[41:42], v[97:98]
	v_fma_f64 v[99:100], v[33:34], v[37:38], -v[99:100]
	v_fma_f64 v[117:118], v[35:36], v[37:38], v[39:40]
	;; [unrolled: 2-line block ×3, first 2 shown]
	ds_load_b128 v[43:46], v29 offset:80
	ds_load_b128 v[47:50], v29 offset:2128
	;; [unrolled: 1-line block ×7, first 2 shown]
	s_waitcnt lgkmcnt(7)
	v_mul_f64 v[87:88], v[23:24], v[11:12]
	v_mul_f64 v[89:90], v[21:22], v[11:12]
	;; [unrolled: 1-line block ×6, first 2 shown]
	s_waitcnt lgkmcnt(3)
	v_mul_f64 v[103:104], v[49:50], v[57:58]
	v_add_f64 v[67:68], v[67:68], v[105:106]
	v_add_f64 v[69:70], v[69:70], v[107:108]
	;; [unrolled: 1-line block ×8, first 2 shown]
	v_mul_f64 v[75:76], v[45:46], v[53:54]
	v_mul_f64 v[77:78], v[43:44], v[53:54]
	;; [unrolled: 1-line block ×7, first 2 shown]
	v_fma_f64 v[109:110], v[17:18], v[9:10], -v[113:114]
	v_fma_f64 v[113:114], v[17:18], v[13:14], -v[115:116]
	;; [unrolled: 1-line block ×3, first 2 shown]
	v_fma_f64 v[89:90], v[23:24], v[9:10], v[89:90]
	v_fma_f64 v[91:92], v[21:22], v[13:14], -v[91:92]
	v_fma_f64 v[107:108], v[23:24], v[13:14], v[111:112]
	v_fma_f64 v[111:112], v[19:20], v[9:10], v[11:12]
	;; [unrolled: 1-line block ×3, first 2 shown]
	ds_load_b128 v[9:12], v29 offset:96
	v_add_f64 v[67:68], v[67:68], v[83:84]
	v_add_f64 v[69:70], v[69:70], v[93:94]
	;; [unrolled: 1-line block ×8, first 2 shown]
	s_waitcnt lgkmcnt(1)
	v_mul_f64 v[99:100], v[39:40], v[3:4]
	v_fma_f64 v[75:76], v[43:44], v[51:52], -v[75:76]
	v_fma_f64 v[77:78], v[45:46], v[51:52], v[77:78]
	v_fma_f64 v[43:44], v[43:44], v[55:56], -v[79:80]
	v_fma_f64 v[45:46], v[45:46], v[55:56], v[81:82]
	v_mul_f64 v[79:80], v[39:40], v[35:36]
	v_fma_f64 v[81:82], v[47:48], v[51:52], -v[85:86]
	v_fma_f64 v[51:52], v[49:50], v[51:52], v[53:54]
	s_waitcnt lgkmcnt(0)
	v_mul_f64 v[65:66], v[11:12], v[3:4]
	v_mul_f64 v[93:94], v[9:10], v[3:4]
	;; [unrolled: 1-line block ×6, first 2 shown]
	v_fma_f64 v[47:48], v[47:48], v[55:56], -v[103:104]
	v_fma_f64 v[49:50], v[49:50], v[55:56], v[105:106]
	ds_load_b128 v[13:16], v29 offset:112
	ds_load_b128 v[17:20], v29 offset:2160
	;; [unrolled: 1-line block ×4, first 2 shown]
	s_waitcnt lgkmcnt(0)
	s_barrier
	buffer_gl0_inv
	v_add_f64 v[53:54], v[67:68], v[87:88]
	v_add_f64 v[55:56], v[69:70], v[89:90]
	;; [unrolled: 1-line block ×8, first 2 shown]
	v_mul_f64 v[73:74], v[15:16], v[23:24]
	v_mul_f64 v[83:84], v[13:14], v[23:24]
	;; [unrolled: 1-line block ×8, first 2 shown]
	v_fma_f64 v[65:66], v[9:10], v[1:2], -v[65:66]
	v_fma_f64 v[93:94], v[11:12], v[1:2], v[93:94]
	v_fma_f64 v[9:10], v[9:10], v[33:34], -v[95:96]
	v_fma_f64 v[11:12], v[11:12], v[33:34], v[97:98]
	;; [unrolled: 2-line block ×4, first 2 shown]
	v_add_f64 v[35:36], v[53:54], v[75:76]
	v_add_f64 v[37:38], v[55:56], v[77:78]
	;; [unrolled: 1-line block ×8, first 2 shown]
	v_fma_f64 v[49:50], v[13:14], v[21:22], -v[73:74]
	v_fma_f64 v[53:54], v[15:16], v[21:22], v[83:84]
	v_fma_f64 v[13:14], v[13:14], v[57:58], -v[85:86]
	v_fma_f64 v[15:16], v[15:16], v[57:58], v[87:88]
	;; [unrolled: 2-line block ×4, first 2 shown]
	v_add_f64 v[17:18], v[35:36], v[65:66]
	v_add_f64 v[19:20], v[37:38], v[93:94]
	;; [unrolled: 1-line block ×16, first 2 shown]
	s_cbranch_vccnz .LBB1838_9
.LBB1838_3:                             ; =>This Inner Loop Header: Depth=1
	v_add_co_u32 v1, s20, v30, s12
	s_delay_alu instid0(VALU_DEP_1) | instskip(NEXT) | instid1(VALU_DEP_1)
	v_add_co_ci_u32_e64 v2, null, 0, s13, s20
	v_cmp_le_i64_e32 vcc_lo, s[4:5], v[1:2]
	s_or_b32 s20, s1, vcc_lo
	s_delay_alu instid0(SALU_CYCLE_1) | instskip(NEXT) | instid1(SALU_CYCLE_1)
	s_and_saveexec_b32 s21, s20
	s_xor_b32 s20, exec_lo, s21
	s_cbranch_execz .LBB1838_5
; %bb.4:                                ;   in Loop: Header=BB1838_3 Depth=1
	v_mov_b32_e32 v1, v0
	v_mov_b32_e32 v2, v0
	v_mov_b32_e32 v3, v0
	ds_store_b128 v31, v[0:3]
.LBB1838_5:                             ;   in Loop: Header=BB1838_3 Depth=1
	s_and_not1_saveexec_b32 s20, s20
	s_cbranch_execz .LBB1838_7
; %bb.6:                                ;   in Loop: Header=BB1838_3 Depth=1
	global_load_b128 v[1:4], v[5:6], off
	s_waitcnt vmcnt(0)
	ds_store_2addr_b64 v31, v[1:2], v[3:4] offset1:1
.LBB1838_7:                             ;   in Loop: Header=BB1838_3 Depth=1
	s_or_b32 exec_lo, exec_lo, s20
	v_add_co_u32 v3, s20, v27, s12
	s_delay_alu instid0(VALU_DEP_1) | instskip(SKIP_2) | instid1(VALU_DEP_3)
	v_add_co_ci_u32_e64 v4, null, 0, s13, s20
	v_mov_b32_e32 v1, 0
	v_mov_b32_e32 v2, 0
	v_cmp_gt_i64_e32 vcc_lo, s[4:5], v[3:4]
	s_delay_alu instid0(VALU_DEP_2) | instskip(SKIP_1) | instid1(SALU_CYCLE_1)
	v_dual_mov_b32 v4, v2 :: v_dual_mov_b32 v3, v1
	s_and_b32 s21, vcc_lo, s0
	s_and_saveexec_b32 s20, s21
	s_cbranch_execz .LBB1838_2
; %bb.8:                                ;   in Loop: Header=BB1838_3 Depth=1
	global_load_b128 v[1:4], v[7:8], off offset:-8
	s_waitcnt vmcnt(0)
	v_xor_b32_e32 v4, 0x80000000, v4
	s_branch .LBB1838_2
.LBB1838_9:
	v_add_nc_u32_e32 v4, s14, v26
	s_delay_alu instid0(VALU_DEP_1)
	v_ashrrev_i32_e32 v0, 31, v4
	v_mul_lo_u32 v3, v4, s19
	v_mad_u64_u32 v[1:2], null, v4, s18, 0
	s_waitcnt lgkmcnt(0)
	v_cmp_gt_i32_e32 vcc_lo, s15, v4
	v_mul_lo_u32 v0, v0, s18
	s_delay_alu instid0(VALU_DEP_1) | instskip(SKIP_1) | instid1(VALU_DEP_2)
	v_add3_u32 v2, v2, v3, v0
	v_add_nc_u32_e32 v0, s24, v25
	v_lshlrev_b64 v[1:2], 4, v[1:2]
	s_delay_alu instid0(VALU_DEP_2) | instskip(NEXT) | instid1(VALU_DEP_1)
	v_cmp_le_i32_e64 s0, v0, v4
	s_and_b32 s0, vcc_lo, s0
	s_delay_alu instid0(VALU_DEP_2) | instskip(NEXT) | instid1(VALU_DEP_1)
	v_add_co_u32 v5, s1, s16, v1
	v_add_co_ci_u32_e64 v6, s1, s17, v2, s1
	s_and_saveexec_b32 s2, s0
	s_cbranch_execz .LBB1838_11
; %bb.10:
	v_mul_f64 v[1:2], s[6:7], v[23:24]
	v_mul_f64 v[7:8], s[8:9], v[23:24]
	v_cmp_ne_u32_e64 s0, v4, v0
	s_delay_alu instid0(VALU_DEP_3) | instskip(NEXT) | instid1(VALU_DEP_3)
	v_fma_f64 v[2:3], s[8:9], v[21:22], v[1:2]
	v_fma_f64 v[21:22], s[6:7], v[21:22], -v[7:8]
	v_ashrrev_i32_e32 v1, 31, v0
	s_delay_alu instid0(VALU_DEP_1) | instskip(NEXT) | instid1(VALU_DEP_1)
	v_lshlrev_b64 v[7:8], 4, v[0:1]
	v_add_co_u32 v7, s1, v5, v7
	s_delay_alu instid0(VALU_DEP_1)
	v_add_co_ci_u32_e64 v8, s1, v6, v8, s1
	v_cndmask_b32_e64 v24, 0, v3, s0
	v_cndmask_b32_e64 v23, 0, v2, s0
	global_store_b128 v[7:8], v[21:24], off
.LBB1838_11:
	s_or_b32 exec_lo, exec_lo, s2
	v_add_nc_u32_e32 v2, 16, v0
	s_delay_alu instid0(VALU_DEP_1) | instskip(NEXT) | instid1(VALU_DEP_1)
	v_cmp_le_i32_e64 s0, v2, v4
	s_and_b32 s0, vcc_lo, s0
	s_delay_alu instid0(SALU_CYCLE_1)
	s_and_saveexec_b32 s1, s0
	s_cbranch_execz .LBB1838_13
; %bb.12:
	v_mul_f64 v[7:8], s[6:7], v[19:20]
	v_mul_f64 v[19:20], s[8:9], v[19:20]
	v_ashrrev_i32_e32 v3, 31, v2
	v_cmp_ne_u32_e32 vcc_lo, v4, v2
	s_delay_alu instid0(VALU_DEP_4) | instskip(NEXT) | instid1(VALU_DEP_4)
	v_fma_f64 v[7:8], s[8:9], v[17:18], v[7:8]
	v_fma_f64 v[17:18], s[6:7], v[17:18], -v[19:20]
	s_delay_alu instid0(VALU_DEP_4) | instskip(NEXT) | instid1(VALU_DEP_1)
	v_lshlrev_b64 v[19:20], 4, v[2:3]
	v_add_co_u32 v5, s0, v5, v19
	s_delay_alu instid0(VALU_DEP_1)
	v_add_co_ci_u32_e64 v6, s0, v6, v20, s0
	v_dual_cndmask_b32 v20, 0, v8 :: v_dual_cndmask_b32 v19, 0, v7
	global_store_b128 v[5:6], v[17:20], off
.LBB1838_13:
	s_or_b32 exec_lo, exec_lo, s1
	v_add_nc_u32_e32 v3, 16, v4
	s_delay_alu instid0(VALU_DEP_1) | instskip(SKIP_3) | instid1(VALU_DEP_4)
	v_ashrrev_i32_e32 v1, 31, v3
	v_mul_lo_u32 v7, v3, s19
	v_mad_u64_u32 v[5:6], null, v3, s18, 0
	v_cmp_gt_i32_e32 vcc_lo, s15, v3
	v_mul_lo_u32 v1, v1, s18
	v_cmp_le_i32_e64 s0, v0, v3
	s_delay_alu instid0(VALU_DEP_1) | instskip(NEXT) | instid1(VALU_DEP_2)
	s_and_b32 s0, vcc_lo, s0
	v_add3_u32 v6, v6, v7, v1
	s_delay_alu instid0(VALU_DEP_1) | instskip(NEXT) | instid1(VALU_DEP_1)
	v_lshlrev_b64 v[5:6], 4, v[5:6]
	v_add_co_u32 v5, s1, s16, v5
	s_delay_alu instid0(VALU_DEP_1)
	v_add_co_ci_u32_e64 v6, s1, s17, v6, s1
	s_and_saveexec_b32 s2, s0
	s_cbranch_execz .LBB1838_15
; %bb.14:
	v_mul_f64 v[7:8], s[6:7], v[15:16]
	v_mul_f64 v[15:16], s[8:9], v[15:16]
	v_ashrrev_i32_e32 v1, 31, v0
	v_cmp_ne_u32_e64 s0, v3, v0
	s_delay_alu instid0(VALU_DEP_4) | instskip(NEXT) | instid1(VALU_DEP_4)
	v_fma_f64 v[7:8], s[8:9], v[13:14], v[7:8]
	v_fma_f64 v[13:14], s[6:7], v[13:14], -v[15:16]
	s_delay_alu instid0(VALU_DEP_4) | instskip(NEXT) | instid1(VALU_DEP_1)
	v_lshlrev_b64 v[15:16], 4, v[0:1]
	v_add_co_u32 v17, s1, v5, v15
	s_delay_alu instid0(VALU_DEP_1)
	v_add_co_ci_u32_e64 v18, s1, v6, v16, s1
	v_cndmask_b32_e64 v16, 0, v8, s0
	v_cndmask_b32_e64 v15, 0, v7, s0
	global_store_b128 v[17:18], v[13:16], off
.LBB1838_15:
	s_or_b32 exec_lo, exec_lo, s2
	v_cmp_le_i32_e64 s0, v2, v3
	s_delay_alu instid0(VALU_DEP_1) | instskip(NEXT) | instid1(SALU_CYCLE_1)
	s_and_b32 s0, vcc_lo, s0
	s_and_saveexec_b32 s1, s0
	s_cbranch_execz .LBB1838_17
; %bb.16:
	v_mul_f64 v[7:8], s[6:7], v[9:10]
	v_mul_f64 v[9:10], s[8:9], v[9:10]
	v_ashrrev_i32_e32 v3, 31, v2
	v_cmp_ne_u32_e32 vcc_lo, v4, v0
	s_delay_alu instid0(VALU_DEP_2) | instskip(NEXT) | instid1(VALU_DEP_1)
	v_lshlrev_b64 v[1:2], 4, v[2:3]
	v_add_co_u32 v0, s0, v5, v1
	s_delay_alu instid0(VALU_DEP_1) | instskip(SKIP_2) | instid1(VALU_DEP_2)
	v_add_co_ci_u32_e64 v1, s0, v6, v2, s0
	v_fma_f64 v[13:14], s[8:9], v[11:12], v[7:8]
	v_fma_f64 v[7:8], s[6:7], v[11:12], -v[9:10]
	v_dual_cndmask_b32 v10, 0, v14 :: v_dual_cndmask_b32 v9, 0, v13
	global_store_b128 v[0:1], v[7:10], off
.LBB1838_17:
	s_nop 0
	s_sendmsg sendmsg(MSG_DEALLOC_VGPRS)
	s_endpgm
	.section	.rodata,"a",@progbits
	.p2align	6, 0x0
	.amdhsa_kernel _ZL34rocblas_syrkx_herkx_general_kernelIl19rocblas_complex_numIdELi16ELi32ELi8ELb1ELb1ELc78ELc85EKPKS1_KPS1_EviT_T0_PT8_S7_lSA_S7_lS8_PT9_S7_li
		.amdhsa_group_segment_fixed_size 8192
		.amdhsa_private_segment_fixed_size 0
		.amdhsa_kernarg_size 124
		.amdhsa_user_sgpr_count 13
		.amdhsa_user_sgpr_dispatch_ptr 0
		.amdhsa_user_sgpr_queue_ptr 0
		.amdhsa_user_sgpr_kernarg_segment_ptr 1
		.amdhsa_user_sgpr_dispatch_id 0
		.amdhsa_user_sgpr_private_segment_size 0
		.amdhsa_wavefront_size32 1
		.amdhsa_uses_dynamic_stack 0
		.amdhsa_enable_private_segment 0
		.amdhsa_system_sgpr_workgroup_id_x 1
		.amdhsa_system_sgpr_workgroup_id_y 1
		.amdhsa_system_sgpr_workgroup_id_z 1
		.amdhsa_system_sgpr_workgroup_info 0
		.amdhsa_system_vgpr_workitem_id 1
		.amdhsa_next_free_vgpr 119
		.amdhsa_next_free_sgpr 28
		.amdhsa_reserve_vcc 1
		.amdhsa_float_round_mode_32 0
		.amdhsa_float_round_mode_16_64 0
		.amdhsa_float_denorm_mode_32 3
		.amdhsa_float_denorm_mode_16_64 3
		.amdhsa_dx10_clamp 1
		.amdhsa_ieee_mode 1
		.amdhsa_fp16_overflow 0
		.amdhsa_workgroup_processor_mode 1
		.amdhsa_memory_ordered 1
		.amdhsa_forward_progress 0
		.amdhsa_shared_vgpr_count 0
		.amdhsa_exception_fp_ieee_invalid_op 0
		.amdhsa_exception_fp_denorm_src 0
		.amdhsa_exception_fp_ieee_div_zero 0
		.amdhsa_exception_fp_ieee_overflow 0
		.amdhsa_exception_fp_ieee_underflow 0
		.amdhsa_exception_fp_ieee_inexact 0
		.amdhsa_exception_int_div_zero 0
	.end_amdhsa_kernel
	.section	.text._ZL34rocblas_syrkx_herkx_general_kernelIl19rocblas_complex_numIdELi16ELi32ELi8ELb1ELb1ELc78ELc85EKPKS1_KPS1_EviT_T0_PT8_S7_lSA_S7_lS8_PT9_S7_li,"axG",@progbits,_ZL34rocblas_syrkx_herkx_general_kernelIl19rocblas_complex_numIdELi16ELi32ELi8ELb1ELb1ELc78ELc85EKPKS1_KPS1_EviT_T0_PT8_S7_lSA_S7_lS8_PT9_S7_li,comdat
.Lfunc_end1838:
	.size	_ZL34rocblas_syrkx_herkx_general_kernelIl19rocblas_complex_numIdELi16ELi32ELi8ELb1ELb1ELc78ELc85EKPKS1_KPS1_EviT_T0_PT8_S7_lSA_S7_lS8_PT9_S7_li, .Lfunc_end1838-_ZL34rocblas_syrkx_herkx_general_kernelIl19rocblas_complex_numIdELi16ELi32ELi8ELb1ELb1ELc78ELc85EKPKS1_KPS1_EviT_T0_PT8_S7_lSA_S7_lS8_PT9_S7_li
                                        ; -- End function
	.section	.AMDGPU.csdata,"",@progbits
; Kernel info:
; codeLenInByte = 3404
; NumSgprs: 30
; NumVgprs: 119
; ScratchSize: 0
; MemoryBound: 1
; FloatMode: 240
; IeeeMode: 1
; LDSByteSize: 8192 bytes/workgroup (compile time only)
; SGPRBlocks: 3
; VGPRBlocks: 14
; NumSGPRsForWavesPerEU: 30
; NumVGPRsForWavesPerEU: 119
; Occupancy: 12
; WaveLimiterHint : 1
; COMPUTE_PGM_RSRC2:SCRATCH_EN: 0
; COMPUTE_PGM_RSRC2:USER_SGPR: 13
; COMPUTE_PGM_RSRC2:TRAP_HANDLER: 0
; COMPUTE_PGM_RSRC2:TGID_X_EN: 1
; COMPUTE_PGM_RSRC2:TGID_Y_EN: 1
; COMPUTE_PGM_RSRC2:TGID_Z_EN: 1
; COMPUTE_PGM_RSRC2:TIDIG_COMP_CNT: 1
	.section	.text._ZL34rocblas_syrkx_herkx_general_kernelIl19rocblas_complex_numIdELi16ELi32ELi8ELb0ELb1ELc84ELc76EKPKS1_KPS1_EviT_T0_PT8_S7_lSA_S7_lS8_PT9_S7_li,"axG",@progbits,_ZL34rocblas_syrkx_herkx_general_kernelIl19rocblas_complex_numIdELi16ELi32ELi8ELb0ELb1ELc84ELc76EKPKS1_KPS1_EviT_T0_PT8_S7_lSA_S7_lS8_PT9_S7_li,comdat
	.globl	_ZL34rocblas_syrkx_herkx_general_kernelIl19rocblas_complex_numIdELi16ELi32ELi8ELb0ELb1ELc84ELc76EKPKS1_KPS1_EviT_T0_PT8_S7_lSA_S7_lS8_PT9_S7_li ; -- Begin function _ZL34rocblas_syrkx_herkx_general_kernelIl19rocblas_complex_numIdELi16ELi32ELi8ELb0ELb1ELc84ELc76EKPKS1_KPS1_EviT_T0_PT8_S7_lSA_S7_lS8_PT9_S7_li
	.p2align	8
	.type	_ZL34rocblas_syrkx_herkx_general_kernelIl19rocblas_complex_numIdELi16ELi32ELi8ELb0ELb1ELc84ELc76EKPKS1_KPS1_EviT_T0_PT8_S7_lSA_S7_lS8_PT9_S7_li,@function
_ZL34rocblas_syrkx_herkx_general_kernelIl19rocblas_complex_numIdELi16ELi32ELi8ELb0ELb1ELc84ELc76EKPKS1_KPS1_EviT_T0_PT8_S7_lSA_S7_lS8_PT9_S7_li: ; @_ZL34rocblas_syrkx_herkx_general_kernelIl19rocblas_complex_numIdELi16ELi32ELi8ELb0ELb1ELc84ELc76EKPKS1_KPS1_EviT_T0_PT8_S7_lSA_S7_lS8_PT9_S7_li
; %bb.0:
	s_clause 0x1
	s_load_b256 s[4:11], s[0:1], 0x50
	s_load_b256 s[16:23], s[0:1], 0x8
	s_mov_b32 s2, s15
	s_mov_b32 s3, 0
	s_load_b32 s15, s[0:1], 0x0
	s_lshl_b64 s[24:25], s[2:3], 3
	v_mov_b32_e32 v20, 0
	v_dual_mov_b32 v21, 0 :: v_dual_and_b32 v24, 0x3ff, v0
	v_bfe_u32 v25, v0, 10, 10
	s_delay_alu instid0(VALU_DEP_3) | instskip(NEXT) | instid1(VALU_DEP_3)
	v_mov_b32_e32 v16, v20
	v_dual_mov_b32 v18, v20 :: v_dual_mov_b32 v19, v21
	v_dual_mov_b32 v23, v21 :: v_dual_mov_b32 v22, v20
	;; [unrolled: 1-line block ×4, first 2 shown]
	v_mov_b32_e32 v15, v21
	s_waitcnt lgkmcnt(0)
	s_add_u32 s2, s8, s24
	s_addc_u32 s3, s9, s25
	s_load_b64 s[26:27], s[0:1], 0x28
	s_load_b64 s[8:9], s[2:3], 0x0
	v_cmp_lt_i64_e64 s2, s[16:17], 1
	v_dual_mov_b32 v10, v20 :: v_dual_mov_b32 v11, v21
	v_dual_mov_b32 v8, v20 :: v_dual_mov_b32 v9, v21
	s_lshl_b32 s28, s13, 5
	s_lshl_b32 s14, s14, 5
	s_delay_alu instid0(VALU_DEP_3)
	s_and_b32 vcc_lo, exec_lo, s2
	s_mov_b64 s[12:13], 0
	s_cbranch_vccnz .LBB1839_11
; %bb.1:
	v_lshl_add_u32 v0, v25, 4, v24
	v_and_b32_e32 v26, 7, v24
	s_load_b128 s[0:3], s[0:1], 0x38
	v_lshl_add_u32 v31, v25, 7, 0x1000
	s_delay_alu instid0(VALU_DEP_3) | instskip(SKIP_2) | instid1(VALU_DEP_3)
	v_and_b32_e32 v1, 31, v0
	v_lshrrev_b32_e32 v27, 5, v0
	v_lshrrev_b32_e32 v5, 3, v0
	v_or_b32_e32 v8, s28, v1
	v_lshlrev_b32_e32 v9, 4, v1
	s_delay_alu instid0(VALU_DEP_2) | instskip(NEXT) | instid1(VALU_DEP_2)
	v_cmp_gt_i32_e32 vcc_lo, s15, v8
	v_lshl_or_b32 v28, v27, 9, v9
	v_mov_b32_e32 v8, 0
	v_dual_mov_b32 v9, 0 :: v_dual_add_nc_u32 v0, s28, v1
	v_add_nc_u32_e32 v6, s14, v5
	v_lshlrev_b32_e32 v7, 4, v26
	s_waitcnt lgkmcnt(0)
	s_add_u32 s0, s0, s24
	v_mov_b32_e32 v15, v9
	v_ashrrev_i32_e32 v4, 31, v0
	v_mul_lo_u32 v10, s27, v0
	v_mad_u64_u32 v[1:2], null, s26, v0, 0
	s_addc_u32 s1, s1, s25
	s_delay_alu instid0(VALU_DEP_3)
	v_mul_lo_u32 v11, s26, v4
	s_add_u32 s22, s22, s24
	s_addc_u32 s23, s23, s25
	s_load_b64 s[24:25], s[0:1], 0x0
	s_load_b64 s[22:23], s[22:23], 0x0
	v_lshlrev_b32_e32 v30, 4, v24
	v_dual_mov_b32 v0, 0 :: v_dual_mov_b32 v19, v9
	v_mov_b32_e32 v18, v8
	v_add3_u32 v2, v2, v11, v10
	v_mov_b32_e32 v11, v9
	v_ashrrev_i32_e32 v3, 31, v6
	v_mul_lo_u32 v13, s3, v6
	v_mov_b32_e32 v10, v8
	v_lshl_or_b32 v5, v5, 7, v7
	v_lshlrev_b64 v[1:2], 4, v[1:2]
	v_mul_lo_u32 v12, s2, v3
	v_mad_u64_u32 v[3:4], null, s2, v6, 0
	s_delay_alu instid0(VALU_DEP_4)
	v_dual_mov_b32 v14, v8 :: v_dual_add_nc_u32 v29, 0x1000, v5
	v_lshlrev_b32_e32 v5, 4, v27
	v_cmp_gt_i32_e64 s0, s15, v6
	v_dual_mov_b32 v17, v9 :: v_dual_mov_b32 v16, v8
	v_add3_u32 v4, v4, v12, v13
	v_dual_mov_b32 v13, v9 :: v_dual_mov_b32 v12, v8
	v_add_co_u32 v1, s1, v1, v5
	s_delay_alu instid0(VALU_DEP_3) | instskip(SKIP_3) | instid1(VALU_DEP_4)
	v_lshlrev_b64 v[3:4], 4, v[3:4]
	v_add_co_ci_u32_e64 v2, s1, 0, v2, s1
	v_dual_mov_b32 v23, v9 :: v_dual_mov_b32 v22, v8
	v_dual_mov_b32 v21, v9 :: v_dual_mov_b32 v20, v8
	v_add_co_u32 v3, s1, v3, v7
	s_delay_alu instid0(VALU_DEP_1) | instskip(SKIP_2) | instid1(VALU_DEP_1)
	v_add_co_ci_u32_e64 v7, s1, 0, v4, s1
	s_waitcnt lgkmcnt(0)
	v_add_co_u32 v4, s1, s22, v1
	v_add_co_ci_u32_e64 v5, s1, s23, v2, s1
	v_add_co_u32 v6, s1, s24, v3
	s_delay_alu instid0(VALU_DEP_1)
	v_add_co_ci_u32_e64 v7, s1, s25, v7, s1
	s_xor_b32 s1, vcc_lo, -1
	s_xor_b32 s0, s0, -1
	s_branch .LBB1839_3
.LBB1839_2:                             ;   in Loop: Header=BB1839_3 Depth=1
	s_or_b32 exec_lo, exec_lo, s2
	s_waitcnt lgkmcnt(0)
	s_barrier
	buffer_gl0_inv
	ds_load_b128 v[32:35], v31
	ds_load_b128 v[36:39], v30
	ds_load_b128 v[40:43], v30 offset:256
	ds_load_b128 v[44:47], v31 offset:2048
	;; [unrolled: 1-line block ×9, first 2 shown]
	s_add_u32 s12, s12, 8
	s_addc_u32 s13, s13, 0
	v_add_co_u32 v4, vcc_lo, 0x80, v4
	v_cmp_ge_i64_e64 s2, s[12:13], s[16:17]
	v_add_co_ci_u32_e32 v5, vcc_lo, 0, v5, vcc_lo
	v_add_co_u32 v6, vcc_lo, 0x80, v6
	v_add_co_ci_u32_e32 v7, vcc_lo, 0, v7, vcc_lo
	s_delay_alu instid0(VALU_DEP_4)
	s_and_b32 vcc_lo, exec_lo, s2
	s_waitcnt lgkmcnt(9)
	v_mul_f64 v[1:2], v[34:35], v[38:39]
	v_mul_f64 v[76:77], v[32:33], v[38:39]
	s_waitcnt lgkmcnt(8)
	v_mul_f64 v[78:79], v[34:35], v[42:43]
	v_mul_f64 v[80:81], v[32:33], v[42:43]
	;; [unrolled: 3-line block ×3, first 2 shown]
	v_mul_f64 v[84:85], v[46:47], v[42:43]
	v_mul_f64 v[42:43], v[44:45], v[42:43]
	s_waitcnt lgkmcnt(4)
	v_mul_f64 v[86:87], v[50:51], v[58:59]
	v_mul_f64 v[88:89], v[48:49], v[58:59]
	s_waitcnt lgkmcnt(3)
	v_mul_f64 v[90:91], v[50:51], v[62:63]
	v_mul_f64 v[92:93], v[48:49], v[62:63]
	;; [unrolled: 1-line block ×6, first 2 shown]
	s_waitcnt lgkmcnt(0)
	v_mul_f64 v[114:115], v[74:75], v[66:67]
	v_mul_f64 v[116:117], v[74:75], v[70:71]
	v_fma_f64 v[1:2], v[32:33], v[36:37], -v[1:2]
	v_fma_f64 v[98:99], v[34:35], v[36:37], v[76:77]
	v_fma_f64 v[100:101], v[32:33], v[40:41], -v[78:79]
	v_fma_f64 v[80:81], v[34:35], v[40:41], v[80:81]
	;; [unrolled: 2-line block ×4, first 2 shown]
	ds_load_b128 v[76:79], v31 offset:32
	v_fma_f64 v[86:87], v[48:49], v[56:57], -v[86:87]
	v_fma_f64 v[88:89], v[50:51], v[56:57], v[88:89]
	v_fma_f64 v[48:49], v[48:49], v[60:61], -v[90:91]
	v_fma_f64 v[50:51], v[50:51], v[60:61], v[92:93]
	;; [unrolled: 2-line block ×4, first 2 shown]
	ds_load_b128 v[32:35], v31 offset:48
	ds_load_b128 v[36:39], v31 offset:2096
	;; [unrolled: 1-line block ×4, first 2 shown]
	s_waitcnt lgkmcnt(4)
	v_mul_f64 v[106:107], v[78:79], v[66:67]
	v_mul_f64 v[108:109], v[76:77], v[66:67]
	;; [unrolled: 1-line block ×6, first 2 shown]
	s_waitcnt lgkmcnt(1)
	v_mul_f64 v[92:93], v[32:33], v[42:43]
	s_waitcnt lgkmcnt(0)
	v_mul_f64 v[94:95], v[34:35], v[46:47]
	v_add_f64 v[1:2], v[20:21], v[1:2]
	v_add_f64 v[20:21], v[22:23], v[98:99]
	;; [unrolled: 1-line block ×8, first 2 shown]
	v_mul_f64 v[84:85], v[34:35], v[42:43]
	v_mul_f64 v[96:97], v[32:33], v[46:47]
	;; [unrolled: 1-line block ×6, first 2 shown]
	ds_load_b128 v[8:11], v30 offset:2048
	ds_load_b128 v[12:15], v30 offset:2304
	;; [unrolled: 1-line block ×3, first 2 shown]
	v_fma_f64 v[104:105], v[76:77], v[64:65], -v[106:107]
	v_fma_f64 v[106:107], v[78:79], v[64:65], v[108:109]
	v_fma_f64 v[76:77], v[76:77], v[68:69], -v[110:111]
	v_fma_f64 v[78:79], v[78:79], v[68:69], v[112:113]
	v_fma_f64 v[108:109], v[72:73], v[64:65], -v[114:115]
	v_fma_f64 v[64:65], v[74:75], v[64:65], v[66:67]
	v_fma_f64 v[66:67], v[72:73], v[68:69], -v[116:117]
	v_fma_f64 v[68:69], v[74:75], v[68:69], v[70:71]
	s_waitcnt lgkmcnt(0)
	v_mul_f64 v[114:115], v[18:19], v[10:11]
	v_mul_f64 v[116:117], v[18:19], v[14:15]
	v_add_f64 v[1:2], v[1:2], v[86:87]
	v_add_f64 v[70:71], v[20:21], v[88:89]
	;; [unrolled: 1-line block ×8, first 2 shown]
	ds_load_b128 v[20:23], v31 offset:64
	v_fma_f64 v[84:85], v[32:33], v[40:41], -v[84:85]
	v_fma_f64 v[92:93], v[34:35], v[40:41], v[92:93]
	v_fma_f64 v[94:95], v[32:33], v[44:45], -v[94:95]
	v_fma_f64 v[96:97], v[34:35], v[44:45], v[96:97]
	;; [unrolled: 2-line block ×4, first 2 shown]
	ds_load_b128 v[46:49], v31 offset:80
	ds_load_b128 v[50:53], v31 offset:2128
	;; [unrolled: 1-line block ×7, first 2 shown]
	s_waitcnt lgkmcnt(7)
	v_mul_f64 v[88:89], v[22:23], v[10:11]
	v_mul_f64 v[90:91], v[20:21], v[10:11]
	v_mul_f64 v[110:111], v[22:23], v[14:15]
	v_mul_f64 v[112:113], v[20:21], v[14:15]
	v_mul_f64 v[10:11], v[16:17], v[10:11]
	v_mul_f64 v[14:15], v[16:17], v[14:15]
	s_waitcnt lgkmcnt(3)
	v_mul_f64 v[102:103], v[52:53], v[60:61]
	v_add_f64 v[1:2], v[1:2], v[104:105]
	v_add_f64 v[70:71], v[70:71], v[106:107]
	;; [unrolled: 1-line block ×8, first 2 shown]
	v_mul_f64 v[68:69], v[48:49], v[56:57]
	v_mul_f64 v[78:79], v[46:47], v[56:57]
	;; [unrolled: 1-line block ×7, first 2 shown]
	v_fma_f64 v[88:89], v[20:21], v[8:9], -v[88:89]
	v_fma_f64 v[90:91], v[22:23], v[8:9], v[90:91]
	v_fma_f64 v[106:107], v[20:21], v[12:13], -v[110:111]
	v_fma_f64 v[108:109], v[22:23], v[12:13], v[112:113]
	;; [unrolled: 2-line block ×4, first 2 shown]
	ds_load_b128 v[8:11], v31 offset:96
	v_add_f64 v[1:2], v[1:2], v[84:85]
	v_add_f64 v[70:71], v[70:71], v[92:93]
	;; [unrolled: 1-line block ×8, first 2 shown]
	s_waitcnt lgkmcnt(1)
	v_mul_f64 v[98:99], v[42:43], v[34:35]
	v_mul_f64 v[100:101], v[42:43], v[38:39]
	v_fma_f64 v[68:69], v[46:47], v[54:55], -v[68:69]
	v_fma_f64 v[78:79], v[48:49], v[54:55], v[78:79]
	v_fma_f64 v[46:47], v[46:47], v[58:59], -v[80:81]
	v_fma_f64 v[48:49], v[48:49], v[58:59], v[82:83]
	v_fma_f64 v[80:81], v[50:51], v[54:55], -v[86:87]
	v_fma_f64 v[54:55], v[52:53], v[54:55], v[56:57]
	v_fma_f64 v[50:51], v[50:51], v[58:59], -v[102:103]
	v_fma_f64 v[52:53], v[52:53], v[58:59], v[104:105]
	s_waitcnt lgkmcnt(0)
	v_mul_f64 v[66:67], v[10:11], v[34:35]
	v_mul_f64 v[92:93], v[8:9], v[34:35]
	;; [unrolled: 1-line block ×6, first 2 shown]
	ds_load_b128 v[12:15], v31 offset:112
	ds_load_b128 v[16:19], v31 offset:2160
	;; [unrolled: 1-line block ×4, first 2 shown]
	s_waitcnt lgkmcnt(0)
	s_barrier
	buffer_gl0_inv
	v_add_f64 v[1:2], v[1:2], v[88:89]
	v_add_f64 v[56:57], v[70:71], v[90:91]
	;; [unrolled: 1-line block ×8, first 2 shown]
	v_mul_f64 v[76:77], v[14:15], v[22:23]
	v_mul_f64 v[82:83], v[12:13], v[22:23]
	;; [unrolled: 1-line block ×8, first 2 shown]
	v_fma_f64 v[66:67], v[8:9], v[32:33], -v[66:67]
	v_fma_f64 v[92:93], v[10:11], v[32:33], v[92:93]
	v_fma_f64 v[8:9], v[8:9], v[36:37], -v[94:95]
	v_fma_f64 v[10:11], v[10:11], v[36:37], v[96:97]
	;; [unrolled: 2-line block ×4, first 2 shown]
	v_add_f64 v[1:2], v[1:2], v[68:69]
	v_add_f64 v[38:39], v[56:57], v[78:79]
	;; [unrolled: 1-line block ×8, first 2 shown]
	v_fma_f64 v[52:53], v[12:13], v[20:21], -v[76:77]
	v_fma_f64 v[54:55], v[14:15], v[20:21], v[82:83]
	v_fma_f64 v[12:13], v[12:13], v[60:61], -v[84:85]
	v_fma_f64 v[14:15], v[14:15], v[60:61], v[86:87]
	;; [unrolled: 2-line block ×4, first 2 shown]
	v_add_f64 v[1:2], v[1:2], v[66:67]
	v_add_f64 v[16:17], v[38:39], v[92:93]
	;; [unrolled: 1-line block ×16, first 2 shown]
	s_cbranch_vccnz .LBB1839_11
.LBB1839_3:                             ; =>This Inner Loop Header: Depth=1
	v_add_co_u32 v1, s2, v27, s12
	s_delay_alu instid0(VALU_DEP_1) | instskip(NEXT) | instid1(VALU_DEP_1)
	v_add_co_ci_u32_e64 v2, null, 0, s13, s2
	v_cmp_le_i64_e32 vcc_lo, s[16:17], v[1:2]
	s_or_b32 s2, s1, vcc_lo
	s_delay_alu instid0(SALU_CYCLE_1) | instskip(NEXT) | instid1(SALU_CYCLE_1)
	s_and_saveexec_b32 s3, s2
	s_xor_b32 s2, exec_lo, s3
	s_cbranch_execz .LBB1839_5
; %bb.4:                                ;   in Loop: Header=BB1839_3 Depth=1
	v_mov_b32_e32 v1, v0
	v_mov_b32_e32 v2, v0
	;; [unrolled: 1-line block ×3, first 2 shown]
	ds_store_b128 v28, v[0:3]
.LBB1839_5:                             ;   in Loop: Header=BB1839_3 Depth=1
	s_and_not1_saveexec_b32 s2, s2
	s_cbranch_execz .LBB1839_7
; %bb.6:                                ;   in Loop: Header=BB1839_3 Depth=1
	global_load_b128 v[32:35], v[4:5], off
	s_waitcnt vmcnt(0)
	ds_store_2addr_b64 v28, v[32:33], v[34:35] offset1:1
.LBB1839_7:                             ;   in Loop: Header=BB1839_3 Depth=1
	s_or_b32 exec_lo, exec_lo, s2
	v_add_co_u32 v1, s2, v26, s12
	s_delay_alu instid0(VALU_DEP_1) | instskip(NEXT) | instid1(VALU_DEP_1)
	v_add_co_ci_u32_e64 v2, null, 0, s13, s2
	v_cmp_le_i64_e32 vcc_lo, s[16:17], v[1:2]
	s_or_b32 s2, vcc_lo, s0
	s_delay_alu instid0(SALU_CYCLE_1) | instskip(NEXT) | instid1(SALU_CYCLE_1)
	s_and_saveexec_b32 s3, s2
	s_xor_b32 s2, exec_lo, s3
	s_cbranch_execz .LBB1839_9
; %bb.8:                                ;   in Loop: Header=BB1839_3 Depth=1
	v_mov_b32_e32 v1, v0
	v_mov_b32_e32 v2, v0
	;; [unrolled: 1-line block ×3, first 2 shown]
	ds_store_b128 v29, v[0:3]
.LBB1839_9:                             ;   in Loop: Header=BB1839_3 Depth=1
	s_and_not1_saveexec_b32 s2, s2
	s_cbranch_execz .LBB1839_2
; %bb.10:                               ;   in Loop: Header=BB1839_3 Depth=1
	global_load_b128 v[32:35], v[6:7], off
	s_waitcnt vmcnt(0)
	ds_store_2addr_b64 v29, v[32:33], v[34:35] offset1:1
	s_branch .LBB1839_2
.LBB1839_11:
	v_add_nc_u32_e32 v4, s14, v25
	s_delay_alu instid0(VALU_DEP_1) | instskip(SKIP_2) | instid1(VALU_DEP_3)
	v_ashrrev_i32_e32 v0, 31, v4
	v_mul_lo_u32 v3, v4, s11
	v_mad_u64_u32 v[1:2], null, v4, s10, 0
	v_mul_lo_u32 v0, v0, s10
	s_delay_alu instid0(VALU_DEP_1) | instskip(SKIP_1) | instid1(VALU_DEP_2)
	v_add3_u32 v2, v2, v3, v0
	v_add_nc_u32_e32 v0, s28, v24
	v_lshlrev_b64 v[1:2], 4, v[1:2]
	s_delay_alu instid0(VALU_DEP_2) | instskip(SKIP_2) | instid1(VALU_DEP_3)
	v_cmp_le_i32_e64 s0, v4, v0
	v_cmp_gt_i32_e32 vcc_lo, s15, v0
	s_waitcnt lgkmcnt(0)
	v_add_co_u32 v5, s1, s8, v1
	s_delay_alu instid0(VALU_DEP_1) | instskip(SKIP_1) | instid1(SALU_CYCLE_1)
	v_add_co_ci_u32_e64 v6, s1, s9, v2, s1
	s_and_b32 s0, s0, vcc_lo
	s_and_saveexec_b32 s1, s0
	s_cbranch_execz .LBB1839_13
; %bb.12:
	v_ashrrev_i32_e32 v1, 31, v0
	v_mul_f64 v[28:29], s[18:19], v[22:23]
	v_mul_f64 v[22:23], s[20:21], v[22:23]
	s_delay_alu instid0(VALU_DEP_3) | instskip(NEXT) | instid1(VALU_DEP_1)
	v_lshlrev_b64 v[1:2], 4, v[0:1]
	v_add_co_u32 v1, s0, v5, v1
	s_delay_alu instid0(VALU_DEP_1)
	v_add_co_ci_u32_e64 v2, s0, v6, v2, s0
	v_cmp_ne_u32_e64 s0, v4, v0
	global_load_b128 v[24:27], v[1:2], off
	v_fma_f64 v[28:29], s[20:21], v[20:21], v[28:29]
	v_fma_f64 v[20:21], s[18:19], v[20:21], -v[22:23]
	s_waitcnt vmcnt(0)
	v_mul_f64 v[30:31], s[4:5], v[26:27]
	v_mul_f64 v[26:27], s[6:7], v[26:27]
	s_delay_alu instid0(VALU_DEP_2) | instskip(NEXT) | instid1(VALU_DEP_2)
	v_fma_f64 v[30:31], s[6:7], v[24:25], v[30:31]
	v_fma_f64 v[22:23], s[4:5], v[24:25], -v[26:27]
	s_delay_alu instid0(VALU_DEP_2) | instskip(NEXT) | instid1(VALU_DEP_2)
	v_add_f64 v[24:25], v[28:29], v[30:31]
	v_add_f64 v[20:21], v[20:21], v[22:23]
	s_delay_alu instid0(VALU_DEP_2) | instskip(NEXT) | instid1(VALU_DEP_3)
	v_cndmask_b32_e64 v23, 0, v25, s0
	v_cndmask_b32_e64 v22, 0, v24, s0
	global_store_b128 v[1:2], v[20:23], off
.LBB1839_13:
	s_or_b32 exec_lo, exec_lo, s1
	v_add_nc_u32_e32 v2, 16, v0
	s_delay_alu instid0(VALU_DEP_1) | instskip(SKIP_1) | instid1(VALU_DEP_1)
	v_cmp_le_i32_e64 s1, v4, v2
	v_cmp_gt_i32_e64 s0, s15, v2
	s_and_b32 s1, s1, s0
	s_delay_alu instid0(SALU_CYCLE_1)
	s_and_saveexec_b32 s2, s1
	s_cbranch_execz .LBB1839_15
; %bb.14:
	v_ashrrev_i32_e32 v3, 31, v2
	v_mul_f64 v[24:25], s[18:19], v[18:19]
	v_mul_f64 v[18:19], s[20:21], v[18:19]
	s_delay_alu instid0(VALU_DEP_3) | instskip(NEXT) | instid1(VALU_DEP_1)
	v_lshlrev_b64 v[20:21], 4, v[2:3]
	v_add_co_u32 v5, s1, v5, v20
	s_delay_alu instid0(VALU_DEP_1)
	v_add_co_ci_u32_e64 v6, s1, v6, v21, s1
	v_cmp_ne_u32_e64 s1, v4, v2
	global_load_b128 v[20:23], v[5:6], off
	v_fma_f64 v[24:25], s[20:21], v[16:17], v[24:25]
	v_fma_f64 v[16:17], s[18:19], v[16:17], -v[18:19]
	s_waitcnt vmcnt(0)
	v_mul_f64 v[26:27], s[4:5], v[22:23]
	v_mul_f64 v[22:23], s[6:7], v[22:23]
	s_delay_alu instid0(VALU_DEP_2) | instskip(NEXT) | instid1(VALU_DEP_2)
	v_fma_f64 v[26:27], s[6:7], v[20:21], v[26:27]
	v_fma_f64 v[18:19], s[4:5], v[20:21], -v[22:23]
	s_delay_alu instid0(VALU_DEP_2) | instskip(NEXT) | instid1(VALU_DEP_2)
	v_add_f64 v[20:21], v[24:25], v[26:27]
	v_add_f64 v[16:17], v[16:17], v[18:19]
	s_delay_alu instid0(VALU_DEP_2) | instskip(NEXT) | instid1(VALU_DEP_3)
	v_cndmask_b32_e64 v19, 0, v21, s1
	v_cndmask_b32_e64 v18, 0, v20, s1
	global_store_b128 v[5:6], v[16:19], off
.LBB1839_15:
	s_or_b32 exec_lo, exec_lo, s2
	v_add_nc_u32_e32 v3, 16, v4
	s_delay_alu instid0(VALU_DEP_1) | instskip(SKIP_3) | instid1(VALU_DEP_4)
	v_ashrrev_i32_e32 v1, 31, v3
	v_mul_lo_u32 v7, v3, s11
	v_mad_u64_u32 v[5:6], null, v3, s10, 0
	v_cmp_le_i32_e64 s1, v3, v0
	v_mul_lo_u32 v1, v1, s10
	s_delay_alu instid0(VALU_DEP_1) | instskip(NEXT) | instid1(VALU_DEP_1)
	v_add3_u32 v6, v6, v7, v1
	v_lshlrev_b64 v[5:6], 4, v[5:6]
	s_delay_alu instid0(VALU_DEP_1) | instskip(NEXT) | instid1(VALU_DEP_1)
	v_add_co_u32 v5, s2, s8, v5
	v_add_co_ci_u32_e64 v6, s2, s9, v6, s2
	s_and_b32 s2, s1, vcc_lo
	s_delay_alu instid0(SALU_CYCLE_1)
	s_and_saveexec_b32 s1, s2
	s_cbranch_execz .LBB1839_17
; %bb.16:
	v_ashrrev_i32_e32 v1, 31, v0
	v_mul_f64 v[22:23], s[18:19], v[14:15]
	v_mul_f64 v[14:15], s[20:21], v[14:15]
	s_delay_alu instid0(VALU_DEP_3) | instskip(NEXT) | instid1(VALU_DEP_1)
	v_lshlrev_b64 v[16:17], 4, v[0:1]
	v_add_co_u32 v20, vcc_lo, v5, v16
	s_delay_alu instid0(VALU_DEP_2)
	v_add_co_ci_u32_e32 v21, vcc_lo, v6, v17, vcc_lo
	v_cmp_ne_u32_e32 vcc_lo, v3, v0
	global_load_b128 v[16:19], v[20:21], off
	v_fma_f64 v[22:23], s[20:21], v[12:13], v[22:23]
	v_fma_f64 v[12:13], s[18:19], v[12:13], -v[14:15]
	s_waitcnt vmcnt(0)
	v_mul_f64 v[24:25], s[4:5], v[18:19]
	v_mul_f64 v[18:19], s[6:7], v[18:19]
	s_delay_alu instid0(VALU_DEP_2) | instskip(NEXT) | instid1(VALU_DEP_2)
	v_fma_f64 v[24:25], s[6:7], v[16:17], v[24:25]
	v_fma_f64 v[14:15], s[4:5], v[16:17], -v[18:19]
	s_delay_alu instid0(VALU_DEP_2) | instskip(NEXT) | instid1(VALU_DEP_2)
	v_add_f64 v[16:17], v[22:23], v[24:25]
	v_add_f64 v[12:13], v[12:13], v[14:15]
	s_delay_alu instid0(VALU_DEP_2)
	v_dual_cndmask_b32 v15, 0, v17 :: v_dual_cndmask_b32 v14, 0, v16
	global_store_b128 v[20:21], v[12:15], off
.LBB1839_17:
	s_or_b32 exec_lo, exec_lo, s1
	v_cmp_le_i32_e32 vcc_lo, v3, v2
	s_and_b32 s0, vcc_lo, s0
	s_delay_alu instid0(SALU_CYCLE_1)
	s_and_saveexec_b32 s1, s0
	s_cbranch_execz .LBB1839_19
; %bb.18:
	v_ashrrev_i32_e32 v3, 31, v2
	s_delay_alu instid0(VALU_DEP_1) | instskip(NEXT) | instid1(VALU_DEP_1)
	v_lshlrev_b64 v[1:2], 4, v[2:3]
	v_add_co_u32 v5, vcc_lo, v5, v1
	s_delay_alu instid0(VALU_DEP_2)
	v_add_co_ci_u32_e32 v6, vcc_lo, v6, v2, vcc_lo
	v_mul_f64 v[1:2], s[18:19], v[8:9]
	v_mul_f64 v[7:8], s[20:21], v[8:9]
	v_cmp_ne_u32_e32 vcc_lo, v4, v0
	global_load_b128 v[12:15], v[5:6], off
	v_fma_f64 v[1:2], s[20:21], v[10:11], v[1:2]
	v_fma_f64 v[7:8], s[18:19], v[10:11], -v[7:8]
	s_waitcnt vmcnt(0)
	v_mul_f64 v[16:17], s[4:5], v[14:15]
	v_mul_f64 v[14:15], s[6:7], v[14:15]
	s_delay_alu instid0(VALU_DEP_2) | instskip(NEXT) | instid1(VALU_DEP_2)
	v_fma_f64 v[16:17], s[6:7], v[12:13], v[16:17]
	v_fma_f64 v[9:10], s[4:5], v[12:13], -v[14:15]
	s_delay_alu instid0(VALU_DEP_2) | instskip(NEXT) | instid1(VALU_DEP_2)
	v_add_f64 v[11:12], v[1:2], v[16:17]
	v_add_f64 v[1:2], v[7:8], v[9:10]
	s_delay_alu instid0(VALU_DEP_2)
	v_dual_cndmask_b32 v4, 0, v12 :: v_dual_cndmask_b32 v3, 0, v11
	global_store_b128 v[5:6], v[1:4], off
.LBB1839_19:
	s_nop 0
	s_sendmsg sendmsg(MSG_DEALLOC_VGPRS)
	s_endpgm
	.section	.rodata,"a",@progbits
	.p2align	6, 0x0
	.amdhsa_kernel _ZL34rocblas_syrkx_herkx_general_kernelIl19rocblas_complex_numIdELi16ELi32ELi8ELb0ELb1ELc84ELc76EKPKS1_KPS1_EviT_T0_PT8_S7_lSA_S7_lS8_PT9_S7_li
		.amdhsa_group_segment_fixed_size 8192
		.amdhsa_private_segment_fixed_size 0
		.amdhsa_kernarg_size 124
		.amdhsa_user_sgpr_count 13
		.amdhsa_user_sgpr_dispatch_ptr 0
		.amdhsa_user_sgpr_queue_ptr 0
		.amdhsa_user_sgpr_kernarg_segment_ptr 1
		.amdhsa_user_sgpr_dispatch_id 0
		.amdhsa_user_sgpr_private_segment_size 0
		.amdhsa_wavefront_size32 1
		.amdhsa_uses_dynamic_stack 0
		.amdhsa_enable_private_segment 0
		.amdhsa_system_sgpr_workgroup_id_x 1
		.amdhsa_system_sgpr_workgroup_id_y 1
		.amdhsa_system_sgpr_workgroup_id_z 1
		.amdhsa_system_sgpr_workgroup_info 0
		.amdhsa_system_vgpr_workitem_id 1
		.amdhsa_next_free_vgpr 120
		.amdhsa_next_free_sgpr 29
		.amdhsa_reserve_vcc 1
		.amdhsa_float_round_mode_32 0
		.amdhsa_float_round_mode_16_64 0
		.amdhsa_float_denorm_mode_32 3
		.amdhsa_float_denorm_mode_16_64 3
		.amdhsa_dx10_clamp 1
		.amdhsa_ieee_mode 1
		.amdhsa_fp16_overflow 0
		.amdhsa_workgroup_processor_mode 1
		.amdhsa_memory_ordered 1
		.amdhsa_forward_progress 0
		.amdhsa_shared_vgpr_count 0
		.amdhsa_exception_fp_ieee_invalid_op 0
		.amdhsa_exception_fp_denorm_src 0
		.amdhsa_exception_fp_ieee_div_zero 0
		.amdhsa_exception_fp_ieee_overflow 0
		.amdhsa_exception_fp_ieee_underflow 0
		.amdhsa_exception_fp_ieee_inexact 0
		.amdhsa_exception_int_div_zero 0
	.end_amdhsa_kernel
	.section	.text._ZL34rocblas_syrkx_herkx_general_kernelIl19rocblas_complex_numIdELi16ELi32ELi8ELb0ELb1ELc84ELc76EKPKS1_KPS1_EviT_T0_PT8_S7_lSA_S7_lS8_PT9_S7_li,"axG",@progbits,_ZL34rocblas_syrkx_herkx_general_kernelIl19rocblas_complex_numIdELi16ELi32ELi8ELb0ELb1ELc84ELc76EKPKS1_KPS1_EviT_T0_PT8_S7_lSA_S7_lS8_PT9_S7_li,comdat
.Lfunc_end1839:
	.size	_ZL34rocblas_syrkx_herkx_general_kernelIl19rocblas_complex_numIdELi16ELi32ELi8ELb0ELb1ELc84ELc76EKPKS1_KPS1_EviT_T0_PT8_S7_lSA_S7_lS8_PT9_S7_li, .Lfunc_end1839-_ZL34rocblas_syrkx_herkx_general_kernelIl19rocblas_complex_numIdELi16ELi32ELi8ELb0ELb1ELc84ELc76EKPKS1_KPS1_EviT_T0_PT8_S7_lSA_S7_lS8_PT9_S7_li
                                        ; -- End function
	.section	.AMDGPU.csdata,"",@progbits
; Kernel info:
; codeLenInByte = 3680
; NumSgprs: 31
; NumVgprs: 120
; ScratchSize: 0
; MemoryBound: 0
; FloatMode: 240
; IeeeMode: 1
; LDSByteSize: 8192 bytes/workgroup (compile time only)
; SGPRBlocks: 3
; VGPRBlocks: 14
; NumSGPRsForWavesPerEU: 31
; NumVGPRsForWavesPerEU: 120
; Occupancy: 12
; WaveLimiterHint : 1
; COMPUTE_PGM_RSRC2:SCRATCH_EN: 0
; COMPUTE_PGM_RSRC2:USER_SGPR: 13
; COMPUTE_PGM_RSRC2:TRAP_HANDLER: 0
; COMPUTE_PGM_RSRC2:TGID_X_EN: 1
; COMPUTE_PGM_RSRC2:TGID_Y_EN: 1
; COMPUTE_PGM_RSRC2:TGID_Z_EN: 1
; COMPUTE_PGM_RSRC2:TIDIG_COMP_CNT: 1
	.section	.text._ZL34rocblas_syrkx_herkx_general_kernelIl19rocblas_complex_numIdELi16ELi32ELi8ELb0ELb1ELc67ELc76EKPKS1_KPS1_EviT_T0_PT8_S7_lSA_S7_lS8_PT9_S7_li,"axG",@progbits,_ZL34rocblas_syrkx_herkx_general_kernelIl19rocblas_complex_numIdELi16ELi32ELi8ELb0ELb1ELc67ELc76EKPKS1_KPS1_EviT_T0_PT8_S7_lSA_S7_lS8_PT9_S7_li,comdat
	.globl	_ZL34rocblas_syrkx_herkx_general_kernelIl19rocblas_complex_numIdELi16ELi32ELi8ELb0ELb1ELc67ELc76EKPKS1_KPS1_EviT_T0_PT8_S7_lSA_S7_lS8_PT9_S7_li ; -- Begin function _ZL34rocblas_syrkx_herkx_general_kernelIl19rocblas_complex_numIdELi16ELi32ELi8ELb0ELb1ELc67ELc76EKPKS1_KPS1_EviT_T0_PT8_S7_lSA_S7_lS8_PT9_S7_li
	.p2align	8
	.type	_ZL34rocblas_syrkx_herkx_general_kernelIl19rocblas_complex_numIdELi16ELi32ELi8ELb0ELb1ELc67ELc76EKPKS1_KPS1_EviT_T0_PT8_S7_lSA_S7_lS8_PT9_S7_li,@function
_ZL34rocblas_syrkx_herkx_general_kernelIl19rocblas_complex_numIdELi16ELi32ELi8ELb0ELb1ELc67ELc76EKPKS1_KPS1_EviT_T0_PT8_S7_lSA_S7_lS8_PT9_S7_li: ; @_ZL34rocblas_syrkx_herkx_general_kernelIl19rocblas_complex_numIdELi16ELi32ELi8ELb0ELb1ELc67ELc76EKPKS1_KPS1_EviT_T0_PT8_S7_lSA_S7_lS8_PT9_S7_li
; %bb.0:
	s_clause 0x1
	s_load_b256 s[4:11], s[0:1], 0x50
	s_load_b256 s[16:23], s[0:1], 0x8
	s_mov_b32 s2, s15
	s_mov_b32 s3, 0
	s_load_b32 s15, s[0:1], 0x0
	s_lshl_b64 s[24:25], s[2:3], 3
	v_mov_b32_e32 v23, 0
	v_dual_mov_b32 v24, 0 :: v_dual_and_b32 v27, 0x3ff, v0
	v_bfe_u32 v28, v0, 10, 10
	s_delay_alu instid0(VALU_DEP_3) | instskip(NEXT) | instid1(VALU_DEP_3)
	v_mov_b32_e32 v19, v23
	v_dual_mov_b32 v21, v23 :: v_dual_mov_b32 v22, v24
	v_dual_mov_b32 v26, v24 :: v_dual_mov_b32 v25, v23
	;; [unrolled: 1-line block ×4, first 2 shown]
	v_mov_b32_e32 v18, v24
	s_waitcnt lgkmcnt(0)
	s_add_u32 s2, s8, s24
	s_addc_u32 s3, s9, s25
	s_load_b64 s[26:27], s[0:1], 0x28
	s_load_b64 s[8:9], s[2:3], 0x0
	v_cmp_lt_i64_e64 s2, s[16:17], 1
	v_dual_mov_b32 v11, v23 :: v_dual_mov_b32 v12, v24
	v_dual_mov_b32 v13, v23 :: v_dual_mov_b32 v14, v24
	s_lshl_b32 s28, s13, 5
	s_lshl_b32 s14, s14, 5
	s_delay_alu instid0(VALU_DEP_3)
	s_and_b32 vcc_lo, exec_lo, s2
	s_mov_b64 s[12:13], 0
	s_cbranch_vccnz .LBB1840_9
; %bb.1:
	s_load_b128 s[0:3], s[0:1], 0x38
	v_lshl_add_u32 v1, v28, 4, v27
	v_dual_mov_b32 v0, 0 :: v_dual_and_b32 v29, 7, v27
	v_lshl_add_u32 v31, v28, 7, 0x1000
	s_delay_alu instid0(VALU_DEP_3) | instskip(SKIP_3) | instid1(VALU_DEP_4)
	v_and_b32_e32 v2, 31, v1
	v_lshrrev_b32_e32 v3, 3, v1
	v_lshrrev_b32_e32 v32, 5, v1
	v_lshlrev_b32_e32 v6, 4, v29
	v_add_nc_u32_e32 v4, s28, v2
	s_delay_alu instid0(VALU_DEP_4) | instskip(SKIP_2) | instid1(VALU_DEP_4)
	v_add_nc_u32_e32 v5, s14, v3
	v_or_b32_e32 v7, s28, v2
	v_lshlrev_b32_e32 v8, 4, v2
	v_ashrrev_i32_e32 v10, 31, v4
	s_waitcnt lgkmcnt(0)
	v_mul_lo_u32 v11, s27, v4
	v_mad_u64_u32 v[1:2], null, s26, v4, 0
	s_add_u32 s30, s0, s24
	v_mul_lo_u32 v4, s26, v10
	s_addc_u32 s31, s1, s25
	s_add_u32 s0, s22, s24
	s_addc_u32 s1, s23, s25
	v_ashrrev_i32_e32 v9, 31, v5
	s_load_b64 s[22:23], s[0:1], 0x0
	v_lshl_or_b32 v10, v3, 7, v6
	v_mul_lo_u32 v12, s3, v5
	v_add3_u32 v2, v2, v4, v11
	v_mul_lo_u32 v9, s2, v9
	v_mad_u64_u32 v[3:4], null, s2, v5, 0
	v_lshlrev_b32_e32 v11, 4, v32
	s_delay_alu instid0(VALU_DEP_4) | instskip(SKIP_4) | instid1(VALU_DEP_4)
	v_lshlrev_b64 v[1:2], 4, v[1:2]
	s_load_b64 s[2:3], s[30:31], 0x0
	v_cmp_gt_i32_e32 vcc_lo, s15, v5
	v_cmp_gt_i32_e64 s0, s15, v7
	v_add3_u32 v4, v4, v9, v12
	v_add_co_u32 v5, s1, v1, v11
	s_delay_alu instid0(VALU_DEP_1) | instskip(NEXT) | instid1(VALU_DEP_3)
	v_add_co_ci_u32_e64 v7, s1, 0, v2, s1
	v_lshlrev_b64 v[1:2], 4, v[3:4]
	s_waitcnt lgkmcnt(0)
	s_delay_alu instid0(VALU_DEP_3) | instskip(NEXT) | instid1(VALU_DEP_1)
	v_add_co_u32 v3, s1, v5, s22
	v_add_co_ci_u32_e64 v4, s1, s23, v7, s1
	s_delay_alu instid0(VALU_DEP_3) | instskip(SKIP_4) | instid1(VALU_DEP_3)
	v_add_co_u32 v1, s1, v1, v6
	v_mov_b32_e32 v5, 0
	v_mov_b32_e32 v6, 0
	v_add_co_ci_u32_e64 v2, s1, 0, v2, s1
	v_add_co_u32 v7, s1, v3, 8
	v_dual_mov_b32 v18, v6 :: v_dual_mov_b32 v17, v5
	v_lshl_or_b32 v33, v32, 9, v8
	v_add_co_ci_u32_e64 v8, s1, 0, v4, s1
	v_add_co_u32 v9, s1, s2, v1
	v_mov_b32_e32 v14, v6
	v_mov_b32_e32 v12, v6
	;; [unrolled: 1-line block ×6, first 2 shown]
	v_dual_mov_b32 v24, v6 :: v_dual_mov_b32 v23, v5
	v_dual_mov_b32 v13, v5 :: v_dual_lshlrev_b32 v30, 4, v27
	v_dual_mov_b32 v15, v5 :: v_dual_add_nc_u32 v34, 0x1000, v10
	v_add_co_ci_u32_e64 v10, s1, s3, v2, s1
	v_mov_b32_e32 v11, v5
	v_mov_b32_e32 v21, v5
	;; [unrolled: 1-line block ×4, first 2 shown]
	s_xor_b32 s1, vcc_lo, -1
	s_branch .LBB1840_3
.LBB1840_2:                             ;   in Loop: Header=BB1840_3 Depth=1
	s_or_b32 exec_lo, exec_lo, s2
	s_waitcnt lgkmcnt(0)
	s_barrier
	buffer_gl0_inv
	ds_load_b128 v[1:4], v31
	ds_load_b128 v[35:38], v30
	ds_load_b128 v[39:42], v30 offset:256
	ds_load_b128 v[43:46], v31 offset:2048
	;; [unrolled: 1-line block ×9, first 2 shown]
	s_add_u32 s12, s12, 8
	s_addc_u32 s13, s13, 0
	v_add_co_u32 v7, vcc_lo, 0x80, v7
	v_cmp_ge_i64_e64 s2, s[12:13], s[16:17]
	v_add_co_ci_u32_e32 v8, vcc_lo, 0, v8, vcc_lo
	v_add_co_u32 v9, vcc_lo, 0x80, v9
	v_add_co_ci_u32_e32 v10, vcc_lo, 0, v10, vcc_lo
	s_delay_alu instid0(VALU_DEP_4)
	s_and_b32 vcc_lo, exec_lo, s2
	s_waitcnt lgkmcnt(9)
	v_mul_f64 v[75:76], v[3:4], v[37:38]
	v_mul_f64 v[77:78], v[1:2], v[37:38]
	s_waitcnt lgkmcnt(8)
	v_mul_f64 v[79:80], v[3:4], v[41:42]
	v_mul_f64 v[81:82], v[1:2], v[41:42]
	;; [unrolled: 3-line block ×3, first 2 shown]
	v_mul_f64 v[85:86], v[45:46], v[41:42]
	v_mul_f64 v[41:42], v[43:44], v[41:42]
	s_waitcnt lgkmcnt(4)
	v_mul_f64 v[87:88], v[49:50], v[57:58]
	v_mul_f64 v[89:90], v[47:48], v[57:58]
	s_waitcnt lgkmcnt(3)
	v_mul_f64 v[91:92], v[49:50], v[61:62]
	v_mul_f64 v[93:94], v[47:48], v[61:62]
	;; [unrolled: 1-line block ×6, first 2 shown]
	s_waitcnt lgkmcnt(0)
	v_mul_f64 v[115:116], v[73:74], v[65:66]
	v_mul_f64 v[117:118], v[73:74], v[69:70]
	v_fma_f64 v[99:100], v[1:2], v[35:36], -v[75:76]
	v_fma_f64 v[101:102], v[3:4], v[35:36], v[77:78]
	v_fma_f64 v[79:80], v[1:2], v[39:40], -v[79:80]
	v_fma_f64 v[81:82], v[3:4], v[39:40], v[81:82]
	;; [unrolled: 2-line block ×4, first 2 shown]
	ds_load_b128 v[75:78], v31 offset:32
	v_fma_f64 v[87:88], v[47:48], v[55:56], -v[87:88]
	v_fma_f64 v[89:90], v[49:50], v[55:56], v[89:90]
	v_fma_f64 v[47:48], v[47:48], v[59:60], -v[91:92]
	v_fma_f64 v[49:50], v[49:50], v[59:60], v[93:94]
	;; [unrolled: 2-line block ×4, first 2 shown]
	ds_load_b128 v[1:4], v31 offset:48
	ds_load_b128 v[35:38], v31 offset:2096
	;; [unrolled: 1-line block ×4, first 2 shown]
	s_waitcnt lgkmcnt(4)
	v_mul_f64 v[107:108], v[77:78], v[65:66]
	v_mul_f64 v[109:110], v[75:76], v[65:66]
	;; [unrolled: 1-line block ×6, first 2 shown]
	s_waitcnt lgkmcnt(1)
	v_mul_f64 v[93:94], v[1:2], v[41:42]
	s_waitcnt lgkmcnt(0)
	v_mul_f64 v[95:96], v[3:4], v[45:46]
	v_add_f64 v[23:24], v[23:24], v[99:100]
	v_add_f64 v[25:26], v[25:26], v[101:102]
	;; [unrolled: 1-line block ×8, first 2 shown]
	v_mul_f64 v[85:86], v[3:4], v[41:42]
	v_mul_f64 v[97:98], v[1:2], v[45:46]
	;; [unrolled: 1-line block ×6, first 2 shown]
	ds_load_b128 v[11:14], v30 offset:2048
	ds_load_b128 v[15:18], v30 offset:2304
	ds_load_b128 v[19:22], v31 offset:2112
	v_fma_f64 v[105:106], v[75:76], v[63:64], -v[107:108]
	v_fma_f64 v[107:108], v[77:78], v[63:64], v[109:110]
	v_fma_f64 v[75:76], v[75:76], v[67:68], -v[111:112]
	v_fma_f64 v[77:78], v[77:78], v[67:68], v[113:114]
	;; [unrolled: 2-line block ×4, first 2 shown]
	s_waitcnt lgkmcnt(0)
	v_mul_f64 v[115:116], v[21:22], v[13:14]
	v_mul_f64 v[117:118], v[21:22], v[17:18]
	v_add_f64 v[69:70], v[23:24], v[87:88]
	v_add_f64 v[71:72], v[25:26], v[89:90]
	;; [unrolled: 1-line block ×8, first 2 shown]
	ds_load_b128 v[23:26], v31 offset:64
	v_fma_f64 v[85:86], v[1:2], v[39:40], -v[85:86]
	v_fma_f64 v[93:94], v[3:4], v[39:40], v[93:94]
	v_fma_f64 v[95:96], v[1:2], v[43:44], -v[95:96]
	v_fma_f64 v[97:98], v[3:4], v[43:44], v[97:98]
	;; [unrolled: 2-line block ×4, first 2 shown]
	ds_load_b128 v[45:48], v31 offset:80
	ds_load_b128 v[49:52], v31 offset:2128
	;; [unrolled: 1-line block ×7, first 2 shown]
	s_waitcnt lgkmcnt(7)
	v_mul_f64 v[89:90], v[25:26], v[13:14]
	v_mul_f64 v[91:92], v[23:24], v[13:14]
	;; [unrolled: 1-line block ×6, first 2 shown]
	s_waitcnt lgkmcnt(3)
	v_mul_f64 v[103:104], v[51:52], v[59:60]
	v_add_f64 v[69:70], v[69:70], v[105:106]
	v_add_f64 v[71:72], v[71:72], v[107:108]
	;; [unrolled: 1-line block ×8, first 2 shown]
	v_mul_f64 v[77:78], v[47:48], v[55:56]
	v_mul_f64 v[79:80], v[45:46], v[55:56]
	;; [unrolled: 1-line block ×7, first 2 shown]
	v_fma_f64 v[89:90], v[23:24], v[11:12], -v[89:90]
	v_fma_f64 v[91:92], v[25:26], v[11:12], v[91:92]
	v_fma_f64 v[107:108], v[23:24], v[15:16], -v[111:112]
	v_fma_f64 v[109:110], v[25:26], v[15:16], v[113:114]
	;; [unrolled: 2-line block ×4, first 2 shown]
	ds_load_b128 v[11:14], v31 offset:96
	v_add_f64 v[69:70], v[69:70], v[85:86]
	v_add_f64 v[71:72], v[71:72], v[93:94]
	;; [unrolled: 1-line block ×8, first 2 shown]
	s_waitcnt lgkmcnt(1)
	v_mul_f64 v[99:100], v[41:42], v[3:4]
	v_mul_f64 v[101:102], v[41:42], v[37:38]
	v_fma_f64 v[77:78], v[45:46], v[53:54], -v[77:78]
	v_fma_f64 v[79:80], v[47:48], v[53:54], v[79:80]
	v_fma_f64 v[45:46], v[45:46], v[57:58], -v[81:82]
	v_fma_f64 v[47:48], v[47:48], v[57:58], v[83:84]
	;; [unrolled: 2-line block ×4, first 2 shown]
	s_waitcnt lgkmcnt(0)
	v_mul_f64 v[67:68], v[13:14], v[3:4]
	v_mul_f64 v[93:94], v[11:12], v[3:4]
	;; [unrolled: 1-line block ×6, first 2 shown]
	ds_load_b128 v[15:18], v31 offset:112
	ds_load_b128 v[19:22], v31 offset:2160
	;; [unrolled: 1-line block ×4, first 2 shown]
	s_waitcnt lgkmcnt(0)
	s_barrier
	buffer_gl0_inv
	v_add_f64 v[55:56], v[69:70], v[89:90]
	v_add_f64 v[57:58], v[71:72], v[91:92]
	;; [unrolled: 1-line block ×8, first 2 shown]
	v_mul_f64 v[75:76], v[17:18], v[25:26]
	v_mul_f64 v[83:84], v[15:16], v[25:26]
	;; [unrolled: 1-line block ×8, first 2 shown]
	v_fma_f64 v[67:68], v[11:12], v[1:2], -v[67:68]
	v_fma_f64 v[93:94], v[13:14], v[1:2], v[93:94]
	v_fma_f64 v[11:12], v[11:12], v[35:36], -v[95:96]
	v_fma_f64 v[13:14], v[13:14], v[35:36], v[97:98]
	;; [unrolled: 2-line block ×4, first 2 shown]
	v_add_f64 v[37:38], v[55:56], v[77:78]
	v_add_f64 v[39:40], v[57:58], v[79:80]
	;; [unrolled: 1-line block ×8, first 2 shown]
	v_fma_f64 v[51:52], v[15:16], v[23:24], -v[75:76]
	v_fma_f64 v[55:56], v[17:18], v[23:24], v[83:84]
	v_fma_f64 v[15:16], v[15:16], v[59:60], -v[85:86]
	v_fma_f64 v[17:18], v[17:18], v[59:60], v[87:88]
	;; [unrolled: 2-line block ×4, first 2 shown]
	v_add_f64 v[19:20], v[37:38], v[67:68]
	v_add_f64 v[21:22], v[39:40], v[93:94]
	;; [unrolled: 1-line block ×16, first 2 shown]
	s_cbranch_vccnz .LBB1840_9
.LBB1840_3:                             ; =>This Inner Loop Header: Depth=1
	v_add_co_u32 v1, s2, v32, s12
	s_delay_alu instid0(VALU_DEP_1) | instskip(SKIP_1) | instid1(VALU_DEP_2)
	v_add_co_ci_u32_e64 v2, null, 0, s13, s2
	v_dual_mov_b32 v3, v5 :: v_dual_mov_b32 v4, v6
	v_cmp_gt_i64_e32 vcc_lo, s[16:17], v[1:2]
	v_dual_mov_b32 v1, v5 :: v_dual_mov_b32 v2, v6
	s_and_b32 s3, s0, vcc_lo
	s_delay_alu instid0(SALU_CYCLE_1)
	s_and_saveexec_b32 s2, s3
	s_cbranch_execz .LBB1840_5
; %bb.4:                                ;   in Loop: Header=BB1840_3 Depth=1
	global_load_b128 v[1:4], v[7:8], off offset:-8
	s_waitcnt vmcnt(0)
	v_xor_b32_e32 v4, 0x80000000, v4
.LBB1840_5:                             ;   in Loop: Header=BB1840_3 Depth=1
	s_or_b32 exec_lo, exec_lo, s2
	v_add_co_u32 v35, s2, v29, s12
	s_delay_alu instid0(VALU_DEP_1) | instskip(SKIP_3) | instid1(SALU_CYCLE_1)
	v_add_co_ci_u32_e64 v36, null, 0, s13, s2
	ds_store_b128 v33, v[1:4]
	v_cmp_le_i64_e32 vcc_lo, s[16:17], v[35:36]
	s_or_b32 s2, vcc_lo, s1
	s_and_saveexec_b32 s3, s2
	s_delay_alu instid0(SALU_CYCLE_1)
	s_xor_b32 s2, exec_lo, s3
	s_cbranch_execz .LBB1840_7
; %bb.6:                                ;   in Loop: Header=BB1840_3 Depth=1
	v_mov_b32_e32 v1, v0
	v_mov_b32_e32 v2, v0
	;; [unrolled: 1-line block ×3, first 2 shown]
	ds_store_b128 v34, v[0:3]
.LBB1840_7:                             ;   in Loop: Header=BB1840_3 Depth=1
	s_and_not1_saveexec_b32 s2, s2
	s_cbranch_execz .LBB1840_2
; %bb.8:                                ;   in Loop: Header=BB1840_3 Depth=1
	global_load_b128 v[1:4], v[9:10], off
	s_waitcnt vmcnt(0)
	ds_store_2addr_b64 v34, v[1:2], v[3:4] offset1:1
	s_branch .LBB1840_2
.LBB1840_9:
	v_add_nc_u32_e32 v4, s14, v28
	s_delay_alu instid0(VALU_DEP_1) | instskip(SKIP_2) | instid1(VALU_DEP_3)
	v_ashrrev_i32_e32 v0, 31, v4
	v_mul_lo_u32 v3, v4, s11
	v_mad_u64_u32 v[1:2], null, v4, s10, 0
	v_mul_lo_u32 v0, v0, s10
	s_delay_alu instid0(VALU_DEP_1) | instskip(SKIP_1) | instid1(VALU_DEP_2)
	v_add3_u32 v2, v2, v3, v0
	v_add_nc_u32_e32 v0, s28, v27
	v_lshlrev_b64 v[1:2], 4, v[1:2]
	s_delay_alu instid0(VALU_DEP_2) | instskip(SKIP_2) | instid1(VALU_DEP_3)
	v_cmp_le_i32_e64 s0, v4, v0
	v_cmp_gt_i32_e32 vcc_lo, s15, v0
	s_waitcnt lgkmcnt(0)
	v_add_co_u32 v5, s1, s8, v1
	s_delay_alu instid0(VALU_DEP_1) | instskip(SKIP_1) | instid1(SALU_CYCLE_1)
	v_add_co_ci_u32_e64 v6, s1, s9, v2, s1
	s_and_b32 s0, s0, vcc_lo
	s_and_saveexec_b32 s1, s0
	s_cbranch_execz .LBB1840_11
; %bb.10:
	v_ashrrev_i32_e32 v1, 31, v0
	v_mul_f64 v[27:28], s[18:19], v[25:26]
	v_mul_f64 v[25:26], s[20:21], v[25:26]
	s_delay_alu instid0(VALU_DEP_3) | instskip(NEXT) | instid1(VALU_DEP_1)
	v_lshlrev_b64 v[1:2], 4, v[0:1]
	v_add_co_u32 v1, s0, v5, v1
	s_delay_alu instid0(VALU_DEP_1)
	v_add_co_ci_u32_e64 v2, s0, v6, v2, s0
	v_cmp_ne_u32_e64 s0, v4, v0
	global_load_b128 v[7:10], v[1:2], off
	v_fma_f64 v[27:28], s[20:21], v[23:24], v[27:28]
	v_fma_f64 v[23:24], s[18:19], v[23:24], -v[25:26]
	s_waitcnt vmcnt(0)
	v_mul_f64 v[29:30], s[4:5], v[9:10]
	v_mul_f64 v[9:10], s[6:7], v[9:10]
	s_delay_alu instid0(VALU_DEP_2) | instskip(NEXT) | instid1(VALU_DEP_2)
	v_fma_f64 v[29:30], s[6:7], v[7:8], v[29:30]
	v_fma_f64 v[7:8], s[4:5], v[7:8], -v[9:10]
	s_delay_alu instid0(VALU_DEP_2) | instskip(NEXT) | instid1(VALU_DEP_2)
	v_add_f64 v[9:10], v[27:28], v[29:30]
	v_add_f64 v[7:8], v[23:24], v[7:8]
	s_delay_alu instid0(VALU_DEP_2) | instskip(NEXT) | instid1(VALU_DEP_3)
	v_cndmask_b32_e64 v10, 0, v10, s0
	v_cndmask_b32_e64 v9, 0, v9, s0
	global_store_b128 v[1:2], v[7:10], off
.LBB1840_11:
	s_or_b32 exec_lo, exec_lo, s1
	v_add_nc_u32_e32 v2, 16, v0
	s_delay_alu instid0(VALU_DEP_1) | instskip(SKIP_1) | instid1(VALU_DEP_1)
	v_cmp_le_i32_e64 s1, v4, v2
	v_cmp_gt_i32_e64 s0, s15, v2
	s_and_b32 s1, s1, s0
	s_delay_alu instid0(SALU_CYCLE_1)
	s_and_saveexec_b32 s2, s1
	s_cbranch_execz .LBB1840_13
; %bb.12:
	v_ashrrev_i32_e32 v3, 31, v2
	v_mul_f64 v[23:24], s[18:19], v[21:22]
	v_mul_f64 v[21:22], s[20:21], v[21:22]
	s_delay_alu instid0(VALU_DEP_3) | instskip(NEXT) | instid1(VALU_DEP_1)
	v_lshlrev_b64 v[7:8], 4, v[2:3]
	v_add_co_u32 v9, s1, v5, v7
	s_delay_alu instid0(VALU_DEP_1)
	v_add_co_ci_u32_e64 v10, s1, v6, v8, s1
	v_cmp_ne_u32_e64 s1, v4, v2
	global_load_b128 v[5:8], v[9:10], off
	v_fma_f64 v[23:24], s[20:21], v[19:20], v[23:24]
	v_fma_f64 v[19:20], s[18:19], v[19:20], -v[21:22]
	s_waitcnt vmcnt(0)
	v_mul_f64 v[25:26], s[4:5], v[7:8]
	v_mul_f64 v[7:8], s[6:7], v[7:8]
	s_delay_alu instid0(VALU_DEP_2) | instskip(NEXT) | instid1(VALU_DEP_2)
	v_fma_f64 v[25:26], s[6:7], v[5:6], v[25:26]
	v_fma_f64 v[5:6], s[4:5], v[5:6], -v[7:8]
	s_delay_alu instid0(VALU_DEP_2) | instskip(NEXT) | instid1(VALU_DEP_2)
	v_add_f64 v[7:8], v[23:24], v[25:26]
	v_add_f64 v[5:6], v[19:20], v[5:6]
	s_delay_alu instid0(VALU_DEP_2) | instskip(NEXT) | instid1(VALU_DEP_3)
	v_cndmask_b32_e64 v8, 0, v8, s1
	v_cndmask_b32_e64 v7, 0, v7, s1
	global_store_b128 v[9:10], v[5:8], off
.LBB1840_13:
	s_or_b32 exec_lo, exec_lo, s2
	v_add_nc_u32_e32 v3, 16, v4
	s_delay_alu instid0(VALU_DEP_1) | instskip(SKIP_3) | instid1(VALU_DEP_4)
	v_ashrrev_i32_e32 v1, 31, v3
	v_mul_lo_u32 v7, v3, s11
	v_mad_u64_u32 v[5:6], null, v3, s10, 0
	v_cmp_le_i32_e64 s1, v3, v0
	v_mul_lo_u32 v1, v1, s10
	s_delay_alu instid0(VALU_DEP_1) | instskip(NEXT) | instid1(VALU_DEP_1)
	v_add3_u32 v6, v6, v7, v1
	v_lshlrev_b64 v[5:6], 4, v[5:6]
	s_delay_alu instid0(VALU_DEP_1) | instskip(NEXT) | instid1(VALU_DEP_1)
	v_add_co_u32 v5, s2, s8, v5
	v_add_co_ci_u32_e64 v6, s2, s9, v6, s2
	s_and_b32 s2, s1, vcc_lo
	s_delay_alu instid0(SALU_CYCLE_1)
	s_and_saveexec_b32 s1, s2
	s_cbranch_execz .LBB1840_15
; %bb.14:
	v_ashrrev_i32_e32 v1, 31, v0
	v_mul_f64 v[21:22], s[18:19], v[17:18]
	v_mul_f64 v[17:18], s[20:21], v[17:18]
	s_delay_alu instid0(VALU_DEP_3) | instskip(NEXT) | instid1(VALU_DEP_1)
	v_lshlrev_b64 v[7:8], 4, v[0:1]
	v_add_co_u32 v19, vcc_lo, v5, v7
	s_delay_alu instid0(VALU_DEP_2)
	v_add_co_ci_u32_e32 v20, vcc_lo, v6, v8, vcc_lo
	v_cmp_ne_u32_e32 vcc_lo, v3, v0
	global_load_b128 v[7:10], v[19:20], off
	v_fma_f64 v[21:22], s[20:21], v[15:16], v[21:22]
	v_fma_f64 v[15:16], s[18:19], v[15:16], -v[17:18]
	s_waitcnt vmcnt(0)
	v_mul_f64 v[23:24], s[4:5], v[9:10]
	v_mul_f64 v[9:10], s[6:7], v[9:10]
	s_delay_alu instid0(VALU_DEP_2) | instskip(NEXT) | instid1(VALU_DEP_2)
	v_fma_f64 v[23:24], s[6:7], v[7:8], v[23:24]
	v_fma_f64 v[7:8], s[4:5], v[7:8], -v[9:10]
	s_delay_alu instid0(VALU_DEP_2) | instskip(NEXT) | instid1(VALU_DEP_2)
	v_add_f64 v[9:10], v[21:22], v[23:24]
	v_add_f64 v[7:8], v[15:16], v[7:8]
	s_delay_alu instid0(VALU_DEP_2)
	v_dual_cndmask_b32 v10, 0, v10 :: v_dual_cndmask_b32 v9, 0, v9
	global_store_b128 v[19:20], v[7:10], off
.LBB1840_15:
	s_or_b32 exec_lo, exec_lo, s1
	v_cmp_le_i32_e32 vcc_lo, v3, v2
	s_and_b32 s0, vcc_lo, s0
	s_delay_alu instid0(SALU_CYCLE_1)
	s_and_saveexec_b32 s1, s0
	s_cbranch_execz .LBB1840_17
; %bb.16:
	v_ashrrev_i32_e32 v3, 31, v2
	s_delay_alu instid0(VALU_DEP_1) | instskip(NEXT) | instid1(VALU_DEP_1)
	v_lshlrev_b64 v[1:2], 4, v[2:3]
	v_add_co_u32 v9, vcc_lo, v5, v1
	s_delay_alu instid0(VALU_DEP_2)
	v_add_co_ci_u32_e32 v10, vcc_lo, v6, v2, vcc_lo
	v_mul_f64 v[1:2], s[18:19], v[13:14]
	v_mul_f64 v[13:14], s[20:21], v[13:14]
	v_cmp_ne_u32_e32 vcc_lo, v4, v0
	global_load_b128 v[5:8], v[9:10], off
	v_fma_f64 v[1:2], s[20:21], v[11:12], v[1:2]
	v_fma_f64 v[11:12], s[18:19], v[11:12], -v[13:14]
	s_waitcnt vmcnt(0)
	v_mul_f64 v[15:16], s[4:5], v[7:8]
	v_mul_f64 v[7:8], s[6:7], v[7:8]
	s_delay_alu instid0(VALU_DEP_2) | instskip(NEXT) | instid1(VALU_DEP_2)
	v_fma_f64 v[15:16], s[6:7], v[5:6], v[15:16]
	v_fma_f64 v[5:6], s[4:5], v[5:6], -v[7:8]
	s_delay_alu instid0(VALU_DEP_2) | instskip(NEXT) | instid1(VALU_DEP_2)
	v_add_f64 v[7:8], v[1:2], v[15:16]
	v_add_f64 v[1:2], v[11:12], v[5:6]
	s_delay_alu instid0(VALU_DEP_2)
	v_dual_cndmask_b32 v4, 0, v8 :: v_dual_cndmask_b32 v3, 0, v7
	global_store_b128 v[9:10], v[1:4], off
.LBB1840_17:
	s_nop 0
	s_sendmsg sendmsg(MSG_DEALLOC_VGPRS)
	s_endpgm
	.section	.rodata,"a",@progbits
	.p2align	6, 0x0
	.amdhsa_kernel _ZL34rocblas_syrkx_herkx_general_kernelIl19rocblas_complex_numIdELi16ELi32ELi8ELb0ELb1ELc67ELc76EKPKS1_KPS1_EviT_T0_PT8_S7_lSA_S7_lS8_PT9_S7_li
		.amdhsa_group_segment_fixed_size 8192
		.amdhsa_private_segment_fixed_size 0
		.amdhsa_kernarg_size 124
		.amdhsa_user_sgpr_count 13
		.amdhsa_user_sgpr_dispatch_ptr 0
		.amdhsa_user_sgpr_queue_ptr 0
		.amdhsa_user_sgpr_kernarg_segment_ptr 1
		.amdhsa_user_sgpr_dispatch_id 0
		.amdhsa_user_sgpr_private_segment_size 0
		.amdhsa_wavefront_size32 1
		.amdhsa_uses_dynamic_stack 0
		.amdhsa_enable_private_segment 0
		.amdhsa_system_sgpr_workgroup_id_x 1
		.amdhsa_system_sgpr_workgroup_id_y 1
		.amdhsa_system_sgpr_workgroup_id_z 1
		.amdhsa_system_sgpr_workgroup_info 0
		.amdhsa_system_vgpr_workitem_id 1
		.amdhsa_next_free_vgpr 121
		.amdhsa_next_free_sgpr 32
		.amdhsa_reserve_vcc 1
		.amdhsa_float_round_mode_32 0
		.amdhsa_float_round_mode_16_64 0
		.amdhsa_float_denorm_mode_32 3
		.amdhsa_float_denorm_mode_16_64 3
		.amdhsa_dx10_clamp 1
		.amdhsa_ieee_mode 1
		.amdhsa_fp16_overflow 0
		.amdhsa_workgroup_processor_mode 1
		.amdhsa_memory_ordered 1
		.amdhsa_forward_progress 0
		.amdhsa_shared_vgpr_count 0
		.amdhsa_exception_fp_ieee_invalid_op 0
		.amdhsa_exception_fp_denorm_src 0
		.amdhsa_exception_fp_ieee_div_zero 0
		.amdhsa_exception_fp_ieee_overflow 0
		.amdhsa_exception_fp_ieee_underflow 0
		.amdhsa_exception_fp_ieee_inexact 0
		.amdhsa_exception_int_div_zero 0
	.end_amdhsa_kernel
	.section	.text._ZL34rocblas_syrkx_herkx_general_kernelIl19rocblas_complex_numIdELi16ELi32ELi8ELb0ELb1ELc67ELc76EKPKS1_KPS1_EviT_T0_PT8_S7_lSA_S7_lS8_PT9_S7_li,"axG",@progbits,_ZL34rocblas_syrkx_herkx_general_kernelIl19rocblas_complex_numIdELi16ELi32ELi8ELb0ELb1ELc67ELc76EKPKS1_KPS1_EviT_T0_PT8_S7_lSA_S7_lS8_PT9_S7_li,comdat
.Lfunc_end1840:
	.size	_ZL34rocblas_syrkx_herkx_general_kernelIl19rocblas_complex_numIdELi16ELi32ELi8ELb0ELb1ELc67ELc76EKPKS1_KPS1_EviT_T0_PT8_S7_lSA_S7_lS8_PT9_S7_li, .Lfunc_end1840-_ZL34rocblas_syrkx_herkx_general_kernelIl19rocblas_complex_numIdELi16ELi32ELi8ELb0ELb1ELc67ELc76EKPKS1_KPS1_EviT_T0_PT8_S7_lSA_S7_lS8_PT9_S7_li
                                        ; -- End function
	.section	.AMDGPU.csdata,"",@progbits
; Kernel info:
; codeLenInByte = 3688
; NumSgprs: 34
; NumVgprs: 121
; ScratchSize: 0
; MemoryBound: 1
; FloatMode: 240
; IeeeMode: 1
; LDSByteSize: 8192 bytes/workgroup (compile time only)
; SGPRBlocks: 4
; VGPRBlocks: 15
; NumSGPRsForWavesPerEU: 34
; NumVGPRsForWavesPerEU: 121
; Occupancy: 10
; WaveLimiterHint : 1
; COMPUTE_PGM_RSRC2:SCRATCH_EN: 0
; COMPUTE_PGM_RSRC2:USER_SGPR: 13
; COMPUTE_PGM_RSRC2:TRAP_HANDLER: 0
; COMPUTE_PGM_RSRC2:TGID_X_EN: 1
; COMPUTE_PGM_RSRC2:TGID_Y_EN: 1
; COMPUTE_PGM_RSRC2:TGID_Z_EN: 1
; COMPUTE_PGM_RSRC2:TIDIG_COMP_CNT: 1
	.section	.text._ZL34rocblas_syrkx_herkx_general_kernelIl19rocblas_complex_numIdELi16ELi32ELi8ELb0ELb1ELc78ELc76EKPKS1_KPS1_EviT_T0_PT8_S7_lSA_S7_lS8_PT9_S7_li,"axG",@progbits,_ZL34rocblas_syrkx_herkx_general_kernelIl19rocblas_complex_numIdELi16ELi32ELi8ELb0ELb1ELc78ELc76EKPKS1_KPS1_EviT_T0_PT8_S7_lSA_S7_lS8_PT9_S7_li,comdat
	.globl	_ZL34rocblas_syrkx_herkx_general_kernelIl19rocblas_complex_numIdELi16ELi32ELi8ELb0ELb1ELc78ELc76EKPKS1_KPS1_EviT_T0_PT8_S7_lSA_S7_lS8_PT9_S7_li ; -- Begin function _ZL34rocblas_syrkx_herkx_general_kernelIl19rocblas_complex_numIdELi16ELi32ELi8ELb0ELb1ELc78ELc76EKPKS1_KPS1_EviT_T0_PT8_S7_lSA_S7_lS8_PT9_S7_li
	.p2align	8
	.type	_ZL34rocblas_syrkx_herkx_general_kernelIl19rocblas_complex_numIdELi16ELi32ELi8ELb0ELb1ELc78ELc76EKPKS1_KPS1_EviT_T0_PT8_S7_lSA_S7_lS8_PT9_S7_li,@function
_ZL34rocblas_syrkx_herkx_general_kernelIl19rocblas_complex_numIdELi16ELi32ELi8ELb0ELb1ELc78ELc76EKPKS1_KPS1_EviT_T0_PT8_S7_lSA_S7_lS8_PT9_S7_li: ; @_ZL34rocblas_syrkx_herkx_general_kernelIl19rocblas_complex_numIdELi16ELi32ELi8ELb0ELb1ELc78ELc76EKPKS1_KPS1_EviT_T0_PT8_S7_lSA_S7_lS8_PT9_S7_li
; %bb.0:
	s_clause 0x1
	s_load_b256 s[4:11], s[0:1], 0x50
	s_load_b256 s[16:23], s[0:1], 0x8
	s_mov_b32 s2, s15
	s_mov_b32 s3, 0
	s_load_b32 s28, s[0:1], 0x0
	s_lshl_b64 s[26:27], s[2:3], 3
	v_mov_b32_e32 v21, 0
	v_dual_mov_b32 v22, 0 :: v_dual_and_b32 v25, 0x3ff, v0
	v_bfe_u32 v26, v0, 10, 10
	s_delay_alu instid0(VALU_DEP_3) | instskip(NEXT) | instid1(VALU_DEP_3)
	v_mov_b32_e32 v17, v21
	v_dual_mov_b32 v19, v21 :: v_dual_mov_b32 v20, v22
	v_dual_mov_b32 v24, v22 :: v_dual_mov_b32 v23, v21
	;; [unrolled: 1-line block ×4, first 2 shown]
	v_mov_b32_e32 v16, v22
	s_waitcnt lgkmcnt(0)
	s_add_u32 s2, s8, s26
	s_addc_u32 s3, s9, s27
	s_load_b64 s[24:25], s[0:1], 0x28
	s_load_b64 s[8:9], s[2:3], 0x0
	v_cmp_lt_i64_e64 s2, s[16:17], 1
	v_dual_mov_b32 v11, v21 :: v_dual_mov_b32 v12, v22
	v_dual_mov_b32 v9, v21 :: v_dual_mov_b32 v10, v22
	s_lshl_b32 s29, s13, 5
	s_lshl_b32 s30, s14, 5
	s_delay_alu instid0(VALU_DEP_3)
	s_and_b32 vcc_lo, exec_lo, s2
	s_mov_b64 s[12:13], 0
	s_cbranch_vccnz .LBB1841_9
; %bb.1:
	s_load_b128 s[0:3], s[0:1], 0x38
	v_lshl_add_u32 v1, v26, 4, v25
	v_dual_mov_b32 v0, 0 :: v_dual_and_b32 v27, 7, v25
	v_dual_mov_b32 v9, 0 :: v_dual_lshlrev_b32 v28, 4, v25
	s_delay_alu instid0(VALU_DEP_3)
	v_lshrrev_b32_e32 v30, 5, v1
	v_dual_mov_b32 v10, 0 :: v_dual_and_b32 v7, 31, v1
	v_lshrrev_b32_e32 v2, 3, v1
	v_lshlrev_b32_e32 v8, 4, v27
	s_waitcnt lgkmcnt(0)
	v_mad_u64_u32 v[5:6], null, s24, v30, 0
	v_or_b32_e32 v11, s29, v7
	v_lshlrev_b32_e32 v12, 4, v7
	v_dual_mov_b32 v20, v10 :: v_dual_add_nc_u32 v7, s29, v7
	v_mov_b32_e32 v18, v10
	s_delay_alu instid0(VALU_DEP_4) | instskip(NEXT) | instid1(VALU_DEP_4)
	v_cmp_gt_i32_e32 vcc_lo, s28, v11
	v_lshl_or_b32 v31, v30, 9, v12
	v_mad_u64_u32 v[3:4], null, s2, v27, 0
	s_add_u32 s0, s0, s26
	s_addc_u32 s1, s1, s27
	s_add_u32 s14, s22, s26
	s_load_b64 s[34:35], s[0:1], 0x0
	s_addc_u32 s15, s23, s27
	v_mov_b32_e32 v24, v10
	s_delay_alu instid0(VALU_DEP_2)
	v_mad_u64_u32 v[11:12], null, s3, v27, v[4:5]
	v_mad_u64_u32 v[12:13], null, s25, v30, v[6:7]
	v_add_nc_u32_e32 v1, s30, v2
	s_load_b64 s[14:15], s[14:15], 0x0
	v_mov_b32_e32 v22, v10
	v_lshl_add_u32 v29, v26, 7, 0x1000
	v_mov_b32_e32 v4, v11
	v_cmp_gt_i32_e64 s0, s28, v1
	v_mov_b32_e32 v6, v12
	v_dual_mov_b32 v12, v10 :: v_dual_mov_b32 v19, v9
	v_mov_b32_e32 v11, v9
	v_lshl_or_b32 v15, v2, 7, v8
	v_ashrrev_i32_e32 v2, 31, v1
	v_ashrrev_i32_e32 v8, 31, v7
	v_mov_b32_e32 v17, v9
	s_delay_alu instid0(VALU_DEP_4) | instskip(NEXT) | instid1(VALU_DEP_4)
	v_dual_mov_b32 v21, v9 :: v_dual_add_nc_u32 v32, 0x1000, v15
	v_lshlrev_b64 v[13:14], 4, v[1:2]
	v_lshlrev_b64 v[2:3], 4, v[3:4]
	;; [unrolled: 1-line block ×4, first 2 shown]
	v_dual_mov_b32 v16, v10 :: v_dual_mov_b32 v15, v9
	v_mov_b32_e32 v23, v9
	v_add_co_u32 v1, s1, v2, v13
	s_delay_alu instid0(VALU_DEP_1) | instskip(SKIP_1) | instid1(VALU_DEP_1)
	v_add_co_ci_u32_e64 v2, s1, v3, v14, s1
	v_add_co_u32 v3, s1, v4, v7
	v_add_co_ci_u32_e64 v4, s1, v5, v8, s1
	s_waitcnt lgkmcnt(0)
	v_add_co_u32 v1, s1, v1, s34
	s_delay_alu instid0(VALU_DEP_1) | instskip(SKIP_1) | instid1(VALU_DEP_1)
	v_add_co_ci_u32_e64 v2, s1, s35, v2, s1
	v_add_co_u32 v5, s1, s14, v3
	v_add_co_ci_u32_e64 v6, s1, s15, v4, s1
	s_delay_alu instid0(VALU_DEP_4)
	v_add_co_u32 v7, s1, v1, 8
	v_mov_b32_e32 v14, v10
	v_add_co_ci_u32_e64 v8, s1, 0, v2, s1
	v_mov_b32_e32 v13, v9
	s_lshl_b64 s[14:15], s[24:25], 7
	s_lshl_b64 s[2:3], s[2:3], 7
	s_xor_b32 s1, vcc_lo, -1
	s_branch .LBB1841_3
.LBB1841_2:                             ;   in Loop: Header=BB1841_3 Depth=1
	s_or_b32 exec_lo, exec_lo, s22
	ds_store_b128 v32, v[1:4]
	s_waitcnt lgkmcnt(0)
	s_barrier
	buffer_gl0_inv
	ds_load_b128 v[1:4], v29
	ds_load_b128 v[33:36], v28
	ds_load_b128 v[37:40], v28 offset:256
	ds_load_b128 v[41:44], v29 offset:2048
	;; [unrolled: 1-line block ×9, first 2 shown]
	s_add_u32 s12, s12, 8
	s_addc_u32 s13, s13, 0
	v_add_co_u32 v5, vcc_lo, v5, s14
	v_cmp_ge_i64_e64 s22, s[12:13], s[16:17]
	v_add_co_ci_u32_e32 v6, vcc_lo, s15, v6, vcc_lo
	v_add_co_u32 v7, vcc_lo, v7, s2
	v_add_co_ci_u32_e32 v8, vcc_lo, s3, v8, vcc_lo
	s_delay_alu instid0(VALU_DEP_4)
	s_and_b32 vcc_lo, exec_lo, s22
	s_waitcnt lgkmcnt(9)
	v_mul_f64 v[73:74], v[3:4], v[35:36]
	v_mul_f64 v[75:76], v[1:2], v[35:36]
	s_waitcnt lgkmcnt(8)
	v_mul_f64 v[77:78], v[3:4], v[39:40]
	v_mul_f64 v[79:80], v[1:2], v[39:40]
	;; [unrolled: 3-line block ×3, first 2 shown]
	v_mul_f64 v[83:84], v[43:44], v[39:40]
	v_mul_f64 v[39:40], v[41:42], v[39:40]
	s_waitcnt lgkmcnt(4)
	v_mul_f64 v[85:86], v[47:48], v[55:56]
	v_mul_f64 v[87:88], v[45:46], v[55:56]
	s_waitcnt lgkmcnt(3)
	v_mul_f64 v[89:90], v[47:48], v[59:60]
	v_mul_f64 v[91:92], v[45:46], v[59:60]
	;; [unrolled: 1-line block ×6, first 2 shown]
	v_fma_f64 v[97:98], v[1:2], v[33:34], -v[73:74]
	v_fma_f64 v[99:100], v[3:4], v[33:34], v[75:76]
	ds_load_b128 v[73:76], v29 offset:32
	v_fma_f64 v[77:78], v[1:2], v[37:38], -v[77:78]
	v_fma_f64 v[79:80], v[3:4], v[37:38], v[79:80]
	v_fma_f64 v[81:82], v[41:42], v[33:34], -v[81:82]
	v_fma_f64 v[101:102], v[43:44], v[33:34], v[35:36]
	v_fma_f64 v[83:84], v[41:42], v[37:38], -v[83:84]
	v_fma_f64 v[103:104], v[43:44], v[37:38], v[39:40]
	s_waitcnt lgkmcnt(1)
	v_mul_f64 v[113:114], v[71:72], v[63:64]
	v_fma_f64 v[85:86], v[45:46], v[53:54], -v[85:86]
	v_fma_f64 v[87:88], v[47:48], v[53:54], v[87:88]
	v_fma_f64 v[45:46], v[45:46], v[57:58], -v[89:90]
	v_fma_f64 v[47:48], v[47:48], v[57:58], v[91:92]
	v_mul_f64 v[89:90], v[71:72], v[67:68]
	v_fma_f64 v[91:92], v[49:50], v[53:54], -v[93:94]
	v_fma_f64 v[53:54], v[51:52], v[53:54], v[55:56]
	v_fma_f64 v[49:50], v[49:50], v[57:58], -v[95:96]
	v_fma_f64 v[51:52], v[51:52], v[57:58], v[59:60]
	ds_load_b128 v[1:4], v29 offset:48
	ds_load_b128 v[33:36], v29 offset:2096
	;; [unrolled: 1-line block ×4, first 2 shown]
	s_waitcnt lgkmcnt(4)
	v_mul_f64 v[105:106], v[75:76], v[63:64]
	v_mul_f64 v[107:108], v[73:74], v[63:64]
	;; [unrolled: 1-line block ×6, first 2 shown]
	s_waitcnt lgkmcnt(1)
	v_mul_f64 v[93:94], v[1:2], v[39:40]
	v_add_f64 v[21:22], v[21:22], v[97:98]
	v_add_f64 v[23:24], v[23:24], v[99:100]
	;; [unrolled: 1-line block ×8, first 2 shown]
	v_mul_f64 v[83:84], v[3:4], v[39:40]
	s_waitcnt lgkmcnt(0)
	v_mul_f64 v[95:96], v[3:4], v[43:44]
	v_mul_f64 v[97:98], v[1:2], v[43:44]
	;; [unrolled: 1-line block ×6, first 2 shown]
	ds_load_b128 v[9:12], v28 offset:2048
	ds_load_b128 v[13:16], v28 offset:2304
	;; [unrolled: 1-line block ×3, first 2 shown]
	v_fma_f64 v[105:106], v[73:74], v[61:62], -v[105:106]
	v_fma_f64 v[107:108], v[75:76], v[61:62], v[107:108]
	v_fma_f64 v[73:74], v[73:74], v[65:66], -v[109:110]
	v_fma_f64 v[75:76], v[75:76], v[65:66], v[111:112]
	;; [unrolled: 2-line block ×4, first 2 shown]
	s_waitcnt lgkmcnt(0)
	v_mul_f64 v[113:114], v[19:20], v[11:12]
	v_mul_f64 v[115:116], v[19:20], v[15:16]
	v_fma_f64 v[93:94], v[3:4], v[37:38], v[93:94]
	v_add_f64 v[67:68], v[21:22], v[85:86]
	v_add_f64 v[69:70], v[23:24], v[87:88]
	v_add_f64 v[71:72], v[55:56], v[45:46]
	v_add_f64 v[85:86], v[57:58], v[47:48]
	v_add_f64 v[59:60], v[59:60], v[91:92]
	v_add_f64 v[77:78], v[77:78], v[53:54]
	v_add_f64 v[79:80], v[79:80], v[49:50]
	v_add_f64 v[81:82], v[81:82], v[51:52]
	ds_load_b128 v[21:24], v29 offset:64
	v_fma_f64 v[83:84], v[1:2], v[37:38], -v[83:84]
	v_fma_f64 v[95:96], v[1:2], v[41:42], -v[95:96]
	v_fma_f64 v[97:98], v[3:4], v[41:42], v[97:98]
	v_fma_f64 v[99:100], v[33:34], v[37:38], -v[99:100]
	v_fma_f64 v[117:118], v[35:36], v[37:38], v[39:40]
	;; [unrolled: 2-line block ×3, first 2 shown]
	ds_load_b128 v[43:46], v29 offset:80
	ds_load_b128 v[47:50], v29 offset:2128
	;; [unrolled: 1-line block ×7, first 2 shown]
	s_waitcnt lgkmcnt(7)
	v_mul_f64 v[87:88], v[23:24], v[11:12]
	v_mul_f64 v[89:90], v[21:22], v[11:12]
	;; [unrolled: 1-line block ×6, first 2 shown]
	s_waitcnt lgkmcnt(3)
	v_mul_f64 v[103:104], v[49:50], v[57:58]
	v_add_f64 v[67:68], v[67:68], v[105:106]
	v_add_f64 v[69:70], v[69:70], v[107:108]
	v_add_f64 v[71:72], v[71:72], v[73:74]
	v_add_f64 v[73:74], v[85:86], v[75:76]
	v_add_f64 v[59:60], v[59:60], v[109:110]
	v_add_f64 v[61:62], v[77:78], v[61:62]
	v_add_f64 v[63:64], v[79:80], v[63:64]
	v_add_f64 v[65:66], v[81:82], v[65:66]
	v_mul_f64 v[75:76], v[45:46], v[53:54]
	v_mul_f64 v[77:78], v[43:44], v[53:54]
	;; [unrolled: 1-line block ×7, first 2 shown]
	v_fma_f64 v[109:110], v[17:18], v[9:10], -v[113:114]
	v_fma_f64 v[113:114], v[17:18], v[13:14], -v[115:116]
	;; [unrolled: 1-line block ×3, first 2 shown]
	v_fma_f64 v[89:90], v[23:24], v[9:10], v[89:90]
	v_fma_f64 v[91:92], v[21:22], v[13:14], -v[91:92]
	v_fma_f64 v[107:108], v[23:24], v[13:14], v[111:112]
	v_fma_f64 v[111:112], v[19:20], v[9:10], v[11:12]
	;; [unrolled: 1-line block ×3, first 2 shown]
	ds_load_b128 v[9:12], v29 offset:96
	v_add_f64 v[67:68], v[67:68], v[83:84]
	v_add_f64 v[69:70], v[69:70], v[93:94]
	;; [unrolled: 1-line block ×8, first 2 shown]
	s_waitcnt lgkmcnt(1)
	v_mul_f64 v[99:100], v[39:40], v[3:4]
	v_fma_f64 v[75:76], v[43:44], v[51:52], -v[75:76]
	v_fma_f64 v[77:78], v[45:46], v[51:52], v[77:78]
	v_fma_f64 v[43:44], v[43:44], v[55:56], -v[79:80]
	v_fma_f64 v[45:46], v[45:46], v[55:56], v[81:82]
	v_mul_f64 v[79:80], v[39:40], v[35:36]
	v_fma_f64 v[81:82], v[47:48], v[51:52], -v[85:86]
	v_fma_f64 v[51:52], v[49:50], v[51:52], v[53:54]
	s_waitcnt lgkmcnt(0)
	v_mul_f64 v[65:66], v[11:12], v[3:4]
	v_mul_f64 v[93:94], v[9:10], v[3:4]
	;; [unrolled: 1-line block ×6, first 2 shown]
	v_fma_f64 v[47:48], v[47:48], v[55:56], -v[103:104]
	v_fma_f64 v[49:50], v[49:50], v[55:56], v[105:106]
	ds_load_b128 v[13:16], v29 offset:112
	ds_load_b128 v[17:20], v29 offset:2160
	;; [unrolled: 1-line block ×4, first 2 shown]
	s_waitcnt lgkmcnt(0)
	s_barrier
	buffer_gl0_inv
	v_add_f64 v[53:54], v[67:68], v[87:88]
	v_add_f64 v[55:56], v[69:70], v[89:90]
	;; [unrolled: 1-line block ×8, first 2 shown]
	v_mul_f64 v[73:74], v[15:16], v[23:24]
	v_mul_f64 v[83:84], v[13:14], v[23:24]
	v_mul_f64 v[85:86], v[15:16], v[59:60]
	v_mul_f64 v[87:88], v[13:14], v[59:60]
	v_mul_f64 v[89:90], v[19:20], v[23:24]
	v_mul_f64 v[23:24], v[17:18], v[23:24]
	v_mul_f64 v[91:92], v[19:20], v[59:60]
	v_mul_f64 v[59:60], v[17:18], v[59:60]
	v_fma_f64 v[65:66], v[9:10], v[1:2], -v[65:66]
	v_fma_f64 v[93:94], v[11:12], v[1:2], v[93:94]
	v_fma_f64 v[9:10], v[9:10], v[33:34], -v[95:96]
	v_fma_f64 v[11:12], v[11:12], v[33:34], v[97:98]
	;; [unrolled: 2-line block ×4, first 2 shown]
	v_add_f64 v[35:36], v[53:54], v[75:76]
	v_add_f64 v[37:38], v[55:56], v[77:78]
	v_add_f64 v[39:40], v[67:68], v[43:44]
	v_add_f64 v[43:44], v[69:70], v[45:46]
	v_add_f64 v[45:46], v[71:72], v[81:82]
	v_add_f64 v[51:52], v[61:62], v[51:52]
	v_add_f64 v[47:48], v[63:64], v[47:48]
	v_add_f64 v[41:42], v[41:42], v[49:50]
	v_fma_f64 v[49:50], v[13:14], v[21:22], -v[73:74]
	v_fma_f64 v[53:54], v[15:16], v[21:22], v[83:84]
	v_fma_f64 v[13:14], v[13:14], v[57:58], -v[85:86]
	v_fma_f64 v[15:16], v[15:16], v[57:58], v[87:88]
	;; [unrolled: 2-line block ×4, first 2 shown]
	v_add_f64 v[17:18], v[35:36], v[65:66]
	v_add_f64 v[19:20], v[37:38], v[93:94]
	;; [unrolled: 1-line block ×16, first 2 shown]
	s_cbranch_vccnz .LBB1841_9
.LBB1841_3:                             ; =>This Inner Loop Header: Depth=1
	v_add_co_u32 v1, s22, v30, s12
	s_delay_alu instid0(VALU_DEP_1) | instskip(NEXT) | instid1(VALU_DEP_1)
	v_add_co_ci_u32_e64 v2, null, 0, s13, s22
	v_cmp_le_i64_e32 vcc_lo, s[16:17], v[1:2]
	s_or_b32 s22, s1, vcc_lo
	s_delay_alu instid0(SALU_CYCLE_1) | instskip(NEXT) | instid1(SALU_CYCLE_1)
	s_and_saveexec_b32 s23, s22
	s_xor_b32 s22, exec_lo, s23
	s_cbranch_execz .LBB1841_5
; %bb.4:                                ;   in Loop: Header=BB1841_3 Depth=1
	v_mov_b32_e32 v1, v0
	v_mov_b32_e32 v2, v0
	;; [unrolled: 1-line block ×3, first 2 shown]
	ds_store_b128 v31, v[0:3]
.LBB1841_5:                             ;   in Loop: Header=BB1841_3 Depth=1
	s_and_not1_saveexec_b32 s22, s22
	s_cbranch_execz .LBB1841_7
; %bb.6:                                ;   in Loop: Header=BB1841_3 Depth=1
	global_load_b128 v[1:4], v[5:6], off
	s_waitcnt vmcnt(0)
	ds_store_2addr_b64 v31, v[1:2], v[3:4] offset1:1
.LBB1841_7:                             ;   in Loop: Header=BB1841_3 Depth=1
	s_or_b32 exec_lo, exec_lo, s22
	v_add_co_u32 v3, s22, v27, s12
	s_delay_alu instid0(VALU_DEP_1) | instskip(SKIP_2) | instid1(VALU_DEP_3)
	v_add_co_ci_u32_e64 v4, null, 0, s13, s22
	v_mov_b32_e32 v1, 0
	v_mov_b32_e32 v2, 0
	v_cmp_gt_i64_e32 vcc_lo, s[16:17], v[3:4]
	s_delay_alu instid0(VALU_DEP_2) | instskip(SKIP_1) | instid1(SALU_CYCLE_1)
	v_dual_mov_b32 v4, v2 :: v_dual_mov_b32 v3, v1
	s_and_b32 s23, vcc_lo, s0
	s_and_saveexec_b32 s22, s23
	s_cbranch_execz .LBB1841_2
; %bb.8:                                ;   in Loop: Header=BB1841_3 Depth=1
	global_load_b128 v[1:4], v[7:8], off offset:-8
	s_waitcnt vmcnt(0)
	v_xor_b32_e32 v4, 0x80000000, v4
	s_branch .LBB1841_2
.LBB1841_9:
	v_add_nc_u32_e32 v4, s30, v26
	s_delay_alu instid0(VALU_DEP_1) | instskip(SKIP_2) | instid1(VALU_DEP_3)
	v_ashrrev_i32_e32 v0, 31, v4
	v_mul_lo_u32 v3, v4, s11
	v_mad_u64_u32 v[1:2], null, v4, s10, 0
	v_mul_lo_u32 v0, v0, s10
	s_delay_alu instid0(VALU_DEP_1) | instskip(SKIP_1) | instid1(VALU_DEP_2)
	v_add3_u32 v2, v2, v3, v0
	v_add_nc_u32_e32 v0, s29, v25
	v_lshlrev_b64 v[1:2], 4, v[1:2]
	s_delay_alu instid0(VALU_DEP_2) | instskip(SKIP_2) | instid1(VALU_DEP_3)
	v_cmp_le_i32_e64 s0, v4, v0
	v_cmp_gt_i32_e32 vcc_lo, s28, v0
	s_waitcnt lgkmcnt(0)
	v_add_co_u32 v5, s1, s8, v1
	s_delay_alu instid0(VALU_DEP_1) | instskip(SKIP_1) | instid1(SALU_CYCLE_1)
	v_add_co_ci_u32_e64 v6, s1, s9, v2, s1
	s_and_b32 s0, s0, vcc_lo
	s_and_saveexec_b32 s1, s0
	s_cbranch_execz .LBB1841_11
; %bb.10:
	v_ashrrev_i32_e32 v1, 31, v0
	v_mul_f64 v[7:8], s[18:19], v[23:24]
	v_mul_f64 v[23:24], s[20:21], v[23:24]
	s_delay_alu instid0(VALU_DEP_3) | instskip(NEXT) | instid1(VALU_DEP_1)
	v_lshlrev_b64 v[1:2], 4, v[0:1]
	v_add_co_u32 v1, s0, v5, v1
	s_delay_alu instid0(VALU_DEP_1)
	v_add_co_ci_u32_e64 v2, s0, v6, v2, s0
	v_cmp_ne_u32_e64 s0, v4, v0
	global_load_b128 v[25:28], v[1:2], off
	v_fma_f64 v[7:8], s[20:21], v[21:22], v[7:8]
	v_fma_f64 v[21:22], s[18:19], v[21:22], -v[23:24]
	s_waitcnt vmcnt(0)
	v_mul_f64 v[29:30], s[4:5], v[27:28]
	v_mul_f64 v[27:28], s[6:7], v[27:28]
	s_delay_alu instid0(VALU_DEP_2) | instskip(NEXT) | instid1(VALU_DEP_2)
	v_fma_f64 v[29:30], s[6:7], v[25:26], v[29:30]
	v_fma_f64 v[23:24], s[4:5], v[25:26], -v[27:28]
	s_delay_alu instid0(VALU_DEP_2) | instskip(NEXT) | instid1(VALU_DEP_2)
	v_add_f64 v[7:8], v[7:8], v[29:30]
	v_add_f64 v[21:22], v[21:22], v[23:24]
	s_delay_alu instid0(VALU_DEP_2) | instskip(NEXT) | instid1(VALU_DEP_3)
	v_cndmask_b32_e64 v24, 0, v8, s0
	v_cndmask_b32_e64 v23, 0, v7, s0
	global_store_b128 v[1:2], v[21:24], off
.LBB1841_11:
	s_or_b32 exec_lo, exec_lo, s1
	v_add_nc_u32_e32 v2, 16, v0
	s_delay_alu instid0(VALU_DEP_1) | instskip(SKIP_1) | instid1(VALU_DEP_1)
	v_cmp_le_i32_e64 s1, v4, v2
	v_cmp_gt_i32_e64 s0, s28, v2
	s_and_b32 s1, s1, s0
	s_delay_alu instid0(SALU_CYCLE_1)
	s_and_saveexec_b32 s2, s1
	s_cbranch_execz .LBB1841_13
; %bb.12:
	v_ashrrev_i32_e32 v3, 31, v2
	v_mul_f64 v[23:24], s[18:19], v[19:20]
	v_mul_f64 v[19:20], s[20:21], v[19:20]
	s_delay_alu instid0(VALU_DEP_3) | instskip(NEXT) | instid1(VALU_DEP_1)
	v_lshlrev_b64 v[7:8], 4, v[2:3]
	v_add_co_u32 v21, s1, v5, v7
	s_delay_alu instid0(VALU_DEP_1)
	v_add_co_ci_u32_e64 v22, s1, v6, v8, s1
	v_cmp_ne_u32_e64 s1, v4, v2
	global_load_b128 v[5:8], v[21:22], off
	v_fma_f64 v[23:24], s[20:21], v[17:18], v[23:24]
	v_fma_f64 v[17:18], s[18:19], v[17:18], -v[19:20]
	s_waitcnt vmcnt(0)
	v_mul_f64 v[25:26], s[4:5], v[7:8]
	v_mul_f64 v[7:8], s[6:7], v[7:8]
	s_delay_alu instid0(VALU_DEP_2) | instskip(NEXT) | instid1(VALU_DEP_2)
	v_fma_f64 v[25:26], s[6:7], v[5:6], v[25:26]
	v_fma_f64 v[5:6], s[4:5], v[5:6], -v[7:8]
	s_delay_alu instid0(VALU_DEP_2) | instskip(NEXT) | instid1(VALU_DEP_2)
	v_add_f64 v[7:8], v[23:24], v[25:26]
	v_add_f64 v[5:6], v[17:18], v[5:6]
	s_delay_alu instid0(VALU_DEP_2) | instskip(NEXT) | instid1(VALU_DEP_3)
	v_cndmask_b32_e64 v8, 0, v8, s1
	v_cndmask_b32_e64 v7, 0, v7, s1
	global_store_b128 v[21:22], v[5:8], off
.LBB1841_13:
	s_or_b32 exec_lo, exec_lo, s2
	v_add_nc_u32_e32 v3, 16, v4
	s_delay_alu instid0(VALU_DEP_1) | instskip(SKIP_3) | instid1(VALU_DEP_4)
	v_ashrrev_i32_e32 v1, 31, v3
	v_mul_lo_u32 v7, v3, s11
	v_mad_u64_u32 v[5:6], null, v3, s10, 0
	v_cmp_le_i32_e64 s1, v3, v0
	v_mul_lo_u32 v1, v1, s10
	s_delay_alu instid0(VALU_DEP_1) | instskip(NEXT) | instid1(VALU_DEP_1)
	v_add3_u32 v6, v6, v7, v1
	v_lshlrev_b64 v[5:6], 4, v[5:6]
	s_delay_alu instid0(VALU_DEP_1) | instskip(NEXT) | instid1(VALU_DEP_1)
	v_add_co_u32 v5, s2, s8, v5
	v_add_co_ci_u32_e64 v6, s2, s9, v6, s2
	s_and_b32 s2, s1, vcc_lo
	s_delay_alu instid0(SALU_CYCLE_1)
	s_and_saveexec_b32 s1, s2
	s_cbranch_execz .LBB1841_15
; %bb.14:
	v_ashrrev_i32_e32 v1, 31, v0
	v_mul_f64 v[21:22], s[18:19], v[15:16]
	v_mul_f64 v[15:16], s[20:21], v[15:16]
	s_delay_alu instid0(VALU_DEP_3) | instskip(NEXT) | instid1(VALU_DEP_1)
	v_lshlrev_b64 v[7:8], 4, v[0:1]
	v_add_co_u32 v7, vcc_lo, v5, v7
	s_delay_alu instid0(VALU_DEP_2)
	v_add_co_ci_u32_e32 v8, vcc_lo, v6, v8, vcc_lo
	v_cmp_ne_u32_e32 vcc_lo, v3, v0
	global_load_b128 v[17:20], v[7:8], off
	v_fma_f64 v[21:22], s[20:21], v[13:14], v[21:22]
	v_fma_f64 v[13:14], s[18:19], v[13:14], -v[15:16]
	s_waitcnt vmcnt(0)
	v_mul_f64 v[23:24], s[4:5], v[19:20]
	v_mul_f64 v[19:20], s[6:7], v[19:20]
	s_delay_alu instid0(VALU_DEP_2) | instskip(NEXT) | instid1(VALU_DEP_2)
	v_fma_f64 v[23:24], s[6:7], v[17:18], v[23:24]
	v_fma_f64 v[15:16], s[4:5], v[17:18], -v[19:20]
	s_delay_alu instid0(VALU_DEP_2) | instskip(NEXT) | instid1(VALU_DEP_2)
	v_add_f64 v[17:18], v[21:22], v[23:24]
	v_add_f64 v[13:14], v[13:14], v[15:16]
	s_delay_alu instid0(VALU_DEP_2)
	v_dual_cndmask_b32 v16, 0, v18 :: v_dual_cndmask_b32 v15, 0, v17
	global_store_b128 v[7:8], v[13:16], off
.LBB1841_15:
	s_or_b32 exec_lo, exec_lo, s1
	v_cmp_le_i32_e32 vcc_lo, v3, v2
	s_and_b32 s0, vcc_lo, s0
	s_delay_alu instid0(SALU_CYCLE_1)
	s_and_saveexec_b32 s1, s0
	s_cbranch_execz .LBB1841_17
; %bb.16:
	v_ashrrev_i32_e32 v3, 31, v2
	s_delay_alu instid0(VALU_DEP_1) | instskip(NEXT) | instid1(VALU_DEP_1)
	v_lshlrev_b64 v[1:2], 4, v[2:3]
	v_add_co_u32 v13, vcc_lo, v5, v1
	s_delay_alu instid0(VALU_DEP_2)
	v_add_co_ci_u32_e32 v14, vcc_lo, v6, v2, vcc_lo
	v_mul_f64 v[1:2], s[18:19], v[9:10]
	v_mul_f64 v[9:10], s[20:21], v[9:10]
	v_cmp_ne_u32_e32 vcc_lo, v4, v0
	global_load_b128 v[5:8], v[13:14], off
	v_fma_f64 v[1:2], s[20:21], v[11:12], v[1:2]
	v_fma_f64 v[9:10], s[18:19], v[11:12], -v[9:10]
	s_waitcnt vmcnt(0)
	v_mul_f64 v[15:16], s[4:5], v[7:8]
	v_mul_f64 v[7:8], s[6:7], v[7:8]
	s_delay_alu instid0(VALU_DEP_2) | instskip(NEXT) | instid1(VALU_DEP_2)
	v_fma_f64 v[15:16], s[6:7], v[5:6], v[15:16]
	v_fma_f64 v[5:6], s[4:5], v[5:6], -v[7:8]
	s_delay_alu instid0(VALU_DEP_2) | instskip(NEXT) | instid1(VALU_DEP_2)
	v_add_f64 v[7:8], v[1:2], v[15:16]
	v_add_f64 v[1:2], v[9:10], v[5:6]
	s_delay_alu instid0(VALU_DEP_2)
	v_dual_cndmask_b32 v4, 0, v8 :: v_dual_cndmask_b32 v3, 0, v7
	global_store_b128 v[13:14], v[1:4], off
.LBB1841_17:
	s_nop 0
	s_sendmsg sendmsg(MSG_DEALLOC_VGPRS)
	s_endpgm
	.section	.rodata,"a",@progbits
	.p2align	6, 0x0
	.amdhsa_kernel _ZL34rocblas_syrkx_herkx_general_kernelIl19rocblas_complex_numIdELi16ELi32ELi8ELb0ELb1ELc78ELc76EKPKS1_KPS1_EviT_T0_PT8_S7_lSA_S7_lS8_PT9_S7_li
		.amdhsa_group_segment_fixed_size 8192
		.amdhsa_private_segment_fixed_size 0
		.amdhsa_kernarg_size 124
		.amdhsa_user_sgpr_count 13
		.amdhsa_user_sgpr_dispatch_ptr 0
		.amdhsa_user_sgpr_queue_ptr 0
		.amdhsa_user_sgpr_kernarg_segment_ptr 1
		.amdhsa_user_sgpr_dispatch_id 0
		.amdhsa_user_sgpr_private_segment_size 0
		.amdhsa_wavefront_size32 1
		.amdhsa_uses_dynamic_stack 0
		.amdhsa_enable_private_segment 0
		.amdhsa_system_sgpr_workgroup_id_x 1
		.amdhsa_system_sgpr_workgroup_id_y 1
		.amdhsa_system_sgpr_workgroup_id_z 1
		.amdhsa_system_sgpr_workgroup_info 0
		.amdhsa_system_vgpr_workitem_id 1
		.amdhsa_next_free_vgpr 119
		.amdhsa_next_free_sgpr 36
		.amdhsa_reserve_vcc 1
		.amdhsa_float_round_mode_32 0
		.amdhsa_float_round_mode_16_64 0
		.amdhsa_float_denorm_mode_32 3
		.amdhsa_float_denorm_mode_16_64 3
		.amdhsa_dx10_clamp 1
		.amdhsa_ieee_mode 1
		.amdhsa_fp16_overflow 0
		.amdhsa_workgroup_processor_mode 1
		.amdhsa_memory_ordered 1
		.amdhsa_forward_progress 0
		.amdhsa_shared_vgpr_count 0
		.amdhsa_exception_fp_ieee_invalid_op 0
		.amdhsa_exception_fp_denorm_src 0
		.amdhsa_exception_fp_ieee_div_zero 0
		.amdhsa_exception_fp_ieee_overflow 0
		.amdhsa_exception_fp_ieee_underflow 0
		.amdhsa_exception_fp_ieee_inexact 0
		.amdhsa_exception_int_div_zero 0
	.end_amdhsa_kernel
	.section	.text._ZL34rocblas_syrkx_herkx_general_kernelIl19rocblas_complex_numIdELi16ELi32ELi8ELb0ELb1ELc78ELc76EKPKS1_KPS1_EviT_T0_PT8_S7_lSA_S7_lS8_PT9_S7_li,"axG",@progbits,_ZL34rocblas_syrkx_herkx_general_kernelIl19rocblas_complex_numIdELi16ELi32ELi8ELb0ELb1ELc78ELc76EKPKS1_KPS1_EviT_T0_PT8_S7_lSA_S7_lS8_PT9_S7_li,comdat
.Lfunc_end1841:
	.size	_ZL34rocblas_syrkx_herkx_general_kernelIl19rocblas_complex_numIdELi16ELi32ELi8ELb0ELb1ELc78ELc76EKPKS1_KPS1_EviT_T0_PT8_S7_lSA_S7_lS8_PT9_S7_li, .Lfunc_end1841-_ZL34rocblas_syrkx_herkx_general_kernelIl19rocblas_complex_numIdELi16ELi32ELi8ELb0ELb1ELc78ELc76EKPKS1_KPS1_EviT_T0_PT8_S7_lSA_S7_lS8_PT9_S7_li
                                        ; -- End function
	.section	.AMDGPU.csdata,"",@progbits
; Kernel info:
; codeLenInByte = 3672
; NumSgprs: 38
; NumVgprs: 119
; ScratchSize: 0
; MemoryBound: 1
; FloatMode: 240
; IeeeMode: 1
; LDSByteSize: 8192 bytes/workgroup (compile time only)
; SGPRBlocks: 4
; VGPRBlocks: 14
; NumSGPRsForWavesPerEU: 38
; NumVGPRsForWavesPerEU: 119
; Occupancy: 12
; WaveLimiterHint : 1
; COMPUTE_PGM_RSRC2:SCRATCH_EN: 0
; COMPUTE_PGM_RSRC2:USER_SGPR: 13
; COMPUTE_PGM_RSRC2:TRAP_HANDLER: 0
; COMPUTE_PGM_RSRC2:TGID_X_EN: 1
; COMPUTE_PGM_RSRC2:TGID_Y_EN: 1
; COMPUTE_PGM_RSRC2:TGID_Z_EN: 1
; COMPUTE_PGM_RSRC2:TIDIG_COMP_CNT: 1
	.section	.text._ZL34rocblas_syrkx_herkx_general_kernelIl19rocblas_complex_numIdELi16ELi32ELi8ELb0ELb1ELc84ELc85EKPKS1_KPS1_EviT_T0_PT8_S7_lSA_S7_lS8_PT9_S7_li,"axG",@progbits,_ZL34rocblas_syrkx_herkx_general_kernelIl19rocblas_complex_numIdELi16ELi32ELi8ELb0ELb1ELc84ELc85EKPKS1_KPS1_EviT_T0_PT8_S7_lSA_S7_lS8_PT9_S7_li,comdat
	.globl	_ZL34rocblas_syrkx_herkx_general_kernelIl19rocblas_complex_numIdELi16ELi32ELi8ELb0ELb1ELc84ELc85EKPKS1_KPS1_EviT_T0_PT8_S7_lSA_S7_lS8_PT9_S7_li ; -- Begin function _ZL34rocblas_syrkx_herkx_general_kernelIl19rocblas_complex_numIdELi16ELi32ELi8ELb0ELb1ELc84ELc85EKPKS1_KPS1_EviT_T0_PT8_S7_lSA_S7_lS8_PT9_S7_li
	.p2align	8
	.type	_ZL34rocblas_syrkx_herkx_general_kernelIl19rocblas_complex_numIdELi16ELi32ELi8ELb0ELb1ELc84ELc85EKPKS1_KPS1_EviT_T0_PT8_S7_lSA_S7_lS8_PT9_S7_li,@function
_ZL34rocblas_syrkx_herkx_general_kernelIl19rocblas_complex_numIdELi16ELi32ELi8ELb0ELb1ELc84ELc85EKPKS1_KPS1_EviT_T0_PT8_S7_lSA_S7_lS8_PT9_S7_li: ; @_ZL34rocblas_syrkx_herkx_general_kernelIl19rocblas_complex_numIdELi16ELi32ELi8ELb0ELb1ELc84ELc85EKPKS1_KPS1_EviT_T0_PT8_S7_lSA_S7_lS8_PT9_S7_li
; %bb.0:
	s_clause 0x1
	s_load_b256 s[4:11], s[0:1], 0x50
	s_load_b256 s[16:23], s[0:1], 0x8
	s_mov_b32 s2, s15
	s_mov_b32 s3, 0
	s_load_b32 s15, s[0:1], 0x0
	s_lshl_b64 s[24:25], s[2:3], 3
	v_mov_b32_e32 v20, 0
	v_dual_mov_b32 v21, 0 :: v_dual_and_b32 v24, 0x3ff, v0
	v_bfe_u32 v25, v0, 10, 10
	s_delay_alu instid0(VALU_DEP_3) | instskip(NEXT) | instid1(VALU_DEP_3)
	v_mov_b32_e32 v16, v20
	v_dual_mov_b32 v18, v20 :: v_dual_mov_b32 v19, v21
	v_dual_mov_b32 v23, v21 :: v_dual_mov_b32 v22, v20
	;; [unrolled: 1-line block ×4, first 2 shown]
	v_mov_b32_e32 v15, v21
	s_waitcnt lgkmcnt(0)
	s_add_u32 s2, s8, s24
	s_addc_u32 s3, s9, s25
	s_load_b64 s[26:27], s[0:1], 0x28
	s_load_b64 s[8:9], s[2:3], 0x0
	v_cmp_lt_i64_e64 s2, s[16:17], 1
	v_dual_mov_b32 v10, v20 :: v_dual_mov_b32 v11, v21
	v_dual_mov_b32 v8, v20 :: v_dual_mov_b32 v9, v21
	s_lshl_b32 s28, s13, 5
	s_lshl_b32 s14, s14, 5
	s_delay_alu instid0(VALU_DEP_3)
	s_and_b32 vcc_lo, exec_lo, s2
	s_mov_b64 s[12:13], 0
	s_cbranch_vccnz .LBB1842_11
; %bb.1:
	v_lshl_add_u32 v0, v25, 4, v24
	v_and_b32_e32 v26, 7, v24
	s_load_b128 s[0:3], s[0:1], 0x38
	v_lshl_add_u32 v31, v25, 7, 0x1000
	s_delay_alu instid0(VALU_DEP_3) | instskip(SKIP_2) | instid1(VALU_DEP_3)
	v_and_b32_e32 v1, 31, v0
	v_lshrrev_b32_e32 v27, 5, v0
	v_lshrrev_b32_e32 v5, 3, v0
	v_or_b32_e32 v8, s28, v1
	v_lshlrev_b32_e32 v9, 4, v1
	s_delay_alu instid0(VALU_DEP_2) | instskip(NEXT) | instid1(VALU_DEP_2)
	v_cmp_gt_i32_e32 vcc_lo, s15, v8
	v_lshl_or_b32 v28, v27, 9, v9
	v_mov_b32_e32 v8, 0
	v_dual_mov_b32 v9, 0 :: v_dual_add_nc_u32 v0, s28, v1
	v_add_nc_u32_e32 v6, s14, v5
	v_lshlrev_b32_e32 v7, 4, v26
	s_waitcnt lgkmcnt(0)
	s_add_u32 s0, s0, s24
	v_mov_b32_e32 v15, v9
	v_ashrrev_i32_e32 v4, 31, v0
	v_mul_lo_u32 v10, s27, v0
	v_mad_u64_u32 v[1:2], null, s26, v0, 0
	s_addc_u32 s1, s1, s25
	s_delay_alu instid0(VALU_DEP_3)
	v_mul_lo_u32 v11, s26, v4
	s_add_u32 s22, s22, s24
	s_addc_u32 s23, s23, s25
	s_load_b64 s[24:25], s[0:1], 0x0
	s_load_b64 s[22:23], s[22:23], 0x0
	v_lshlrev_b32_e32 v30, 4, v24
	v_dual_mov_b32 v0, 0 :: v_dual_mov_b32 v19, v9
	v_mov_b32_e32 v18, v8
	v_add3_u32 v2, v2, v11, v10
	v_mov_b32_e32 v11, v9
	v_ashrrev_i32_e32 v3, 31, v6
	v_mul_lo_u32 v13, s3, v6
	v_mov_b32_e32 v10, v8
	v_lshl_or_b32 v5, v5, 7, v7
	v_lshlrev_b64 v[1:2], 4, v[1:2]
	v_mul_lo_u32 v12, s2, v3
	v_mad_u64_u32 v[3:4], null, s2, v6, 0
	s_delay_alu instid0(VALU_DEP_4)
	v_dual_mov_b32 v14, v8 :: v_dual_add_nc_u32 v29, 0x1000, v5
	v_lshlrev_b32_e32 v5, 4, v27
	v_cmp_gt_i32_e64 s0, s15, v6
	v_dual_mov_b32 v17, v9 :: v_dual_mov_b32 v16, v8
	v_add3_u32 v4, v4, v12, v13
	v_dual_mov_b32 v13, v9 :: v_dual_mov_b32 v12, v8
	v_add_co_u32 v1, s1, v1, v5
	s_delay_alu instid0(VALU_DEP_3) | instskip(SKIP_3) | instid1(VALU_DEP_4)
	v_lshlrev_b64 v[3:4], 4, v[3:4]
	v_add_co_ci_u32_e64 v2, s1, 0, v2, s1
	v_dual_mov_b32 v23, v9 :: v_dual_mov_b32 v22, v8
	v_dual_mov_b32 v21, v9 :: v_dual_mov_b32 v20, v8
	v_add_co_u32 v3, s1, v3, v7
	s_delay_alu instid0(VALU_DEP_1) | instskip(SKIP_2) | instid1(VALU_DEP_1)
	v_add_co_ci_u32_e64 v7, s1, 0, v4, s1
	s_waitcnt lgkmcnt(0)
	v_add_co_u32 v4, s1, s22, v1
	v_add_co_ci_u32_e64 v5, s1, s23, v2, s1
	v_add_co_u32 v6, s1, s24, v3
	s_delay_alu instid0(VALU_DEP_1)
	v_add_co_ci_u32_e64 v7, s1, s25, v7, s1
	s_xor_b32 s1, vcc_lo, -1
	s_xor_b32 s0, s0, -1
	s_branch .LBB1842_3
.LBB1842_2:                             ;   in Loop: Header=BB1842_3 Depth=1
	s_or_b32 exec_lo, exec_lo, s2
	s_waitcnt lgkmcnt(0)
	s_barrier
	buffer_gl0_inv
	ds_load_b128 v[32:35], v31
	ds_load_b128 v[36:39], v30
	ds_load_b128 v[40:43], v30 offset:256
	ds_load_b128 v[44:47], v31 offset:2048
	;; [unrolled: 1-line block ×9, first 2 shown]
	s_add_u32 s12, s12, 8
	s_addc_u32 s13, s13, 0
	v_add_co_u32 v4, vcc_lo, 0x80, v4
	v_cmp_ge_i64_e64 s2, s[12:13], s[16:17]
	v_add_co_ci_u32_e32 v5, vcc_lo, 0, v5, vcc_lo
	v_add_co_u32 v6, vcc_lo, 0x80, v6
	v_add_co_ci_u32_e32 v7, vcc_lo, 0, v7, vcc_lo
	s_delay_alu instid0(VALU_DEP_4)
	s_and_b32 vcc_lo, exec_lo, s2
	s_waitcnt lgkmcnt(9)
	v_mul_f64 v[1:2], v[34:35], v[38:39]
	v_mul_f64 v[76:77], v[32:33], v[38:39]
	s_waitcnt lgkmcnt(8)
	v_mul_f64 v[78:79], v[34:35], v[42:43]
	v_mul_f64 v[80:81], v[32:33], v[42:43]
	;; [unrolled: 3-line block ×3, first 2 shown]
	v_mul_f64 v[84:85], v[46:47], v[42:43]
	v_mul_f64 v[42:43], v[44:45], v[42:43]
	s_waitcnt lgkmcnt(4)
	v_mul_f64 v[86:87], v[50:51], v[58:59]
	v_mul_f64 v[88:89], v[48:49], v[58:59]
	s_waitcnt lgkmcnt(3)
	v_mul_f64 v[90:91], v[50:51], v[62:63]
	v_mul_f64 v[92:93], v[48:49], v[62:63]
	v_mul_f64 v[94:95], v[54:55], v[58:59]
	v_mul_f64 v[58:59], v[52:53], v[58:59]
	v_mul_f64 v[96:97], v[54:55], v[62:63]
	v_mul_f64 v[62:63], v[52:53], v[62:63]
	s_waitcnt lgkmcnt(0)
	v_mul_f64 v[114:115], v[74:75], v[66:67]
	v_mul_f64 v[116:117], v[74:75], v[70:71]
	v_fma_f64 v[1:2], v[32:33], v[36:37], -v[1:2]
	v_fma_f64 v[98:99], v[34:35], v[36:37], v[76:77]
	v_fma_f64 v[100:101], v[32:33], v[40:41], -v[78:79]
	v_fma_f64 v[80:81], v[34:35], v[40:41], v[80:81]
	;; [unrolled: 2-line block ×4, first 2 shown]
	ds_load_b128 v[76:79], v31 offset:32
	v_fma_f64 v[86:87], v[48:49], v[56:57], -v[86:87]
	v_fma_f64 v[88:89], v[50:51], v[56:57], v[88:89]
	v_fma_f64 v[48:49], v[48:49], v[60:61], -v[90:91]
	v_fma_f64 v[50:51], v[50:51], v[60:61], v[92:93]
	;; [unrolled: 2-line block ×4, first 2 shown]
	ds_load_b128 v[32:35], v31 offset:48
	ds_load_b128 v[36:39], v31 offset:2096
	;; [unrolled: 1-line block ×4, first 2 shown]
	s_waitcnt lgkmcnt(4)
	v_mul_f64 v[106:107], v[78:79], v[66:67]
	v_mul_f64 v[108:109], v[76:77], v[66:67]
	;; [unrolled: 1-line block ×6, first 2 shown]
	s_waitcnt lgkmcnt(1)
	v_mul_f64 v[92:93], v[32:33], v[42:43]
	s_waitcnt lgkmcnt(0)
	v_mul_f64 v[94:95], v[34:35], v[46:47]
	v_add_f64 v[1:2], v[20:21], v[1:2]
	v_add_f64 v[20:21], v[22:23], v[98:99]
	;; [unrolled: 1-line block ×8, first 2 shown]
	v_mul_f64 v[84:85], v[34:35], v[42:43]
	v_mul_f64 v[96:97], v[32:33], v[46:47]
	;; [unrolled: 1-line block ×6, first 2 shown]
	ds_load_b128 v[8:11], v30 offset:2048
	ds_load_b128 v[12:15], v30 offset:2304
	;; [unrolled: 1-line block ×3, first 2 shown]
	v_fma_f64 v[104:105], v[76:77], v[64:65], -v[106:107]
	v_fma_f64 v[106:107], v[78:79], v[64:65], v[108:109]
	v_fma_f64 v[76:77], v[76:77], v[68:69], -v[110:111]
	v_fma_f64 v[78:79], v[78:79], v[68:69], v[112:113]
	;; [unrolled: 2-line block ×4, first 2 shown]
	s_waitcnt lgkmcnt(0)
	v_mul_f64 v[114:115], v[18:19], v[10:11]
	v_mul_f64 v[116:117], v[18:19], v[14:15]
	v_add_f64 v[1:2], v[1:2], v[86:87]
	v_add_f64 v[70:71], v[20:21], v[88:89]
	;; [unrolled: 1-line block ×8, first 2 shown]
	ds_load_b128 v[20:23], v31 offset:64
	v_fma_f64 v[84:85], v[32:33], v[40:41], -v[84:85]
	v_fma_f64 v[92:93], v[34:35], v[40:41], v[92:93]
	v_fma_f64 v[94:95], v[32:33], v[44:45], -v[94:95]
	v_fma_f64 v[96:97], v[34:35], v[44:45], v[96:97]
	;; [unrolled: 2-line block ×4, first 2 shown]
	ds_load_b128 v[46:49], v31 offset:80
	ds_load_b128 v[50:53], v31 offset:2128
	;; [unrolled: 1-line block ×7, first 2 shown]
	s_waitcnt lgkmcnt(7)
	v_mul_f64 v[88:89], v[22:23], v[10:11]
	v_mul_f64 v[90:91], v[20:21], v[10:11]
	v_mul_f64 v[110:111], v[22:23], v[14:15]
	v_mul_f64 v[112:113], v[20:21], v[14:15]
	v_mul_f64 v[10:11], v[16:17], v[10:11]
	v_mul_f64 v[14:15], v[16:17], v[14:15]
	s_waitcnt lgkmcnt(3)
	v_mul_f64 v[102:103], v[52:53], v[60:61]
	v_add_f64 v[1:2], v[1:2], v[104:105]
	v_add_f64 v[70:71], v[70:71], v[106:107]
	;; [unrolled: 1-line block ×8, first 2 shown]
	v_mul_f64 v[68:69], v[48:49], v[56:57]
	v_mul_f64 v[78:79], v[46:47], v[56:57]
	;; [unrolled: 1-line block ×7, first 2 shown]
	v_fma_f64 v[88:89], v[20:21], v[8:9], -v[88:89]
	v_fma_f64 v[90:91], v[22:23], v[8:9], v[90:91]
	v_fma_f64 v[106:107], v[20:21], v[12:13], -v[110:111]
	v_fma_f64 v[108:109], v[22:23], v[12:13], v[112:113]
	;; [unrolled: 2-line block ×4, first 2 shown]
	ds_load_b128 v[8:11], v31 offset:96
	v_add_f64 v[1:2], v[1:2], v[84:85]
	v_add_f64 v[70:71], v[70:71], v[92:93]
	;; [unrolled: 1-line block ×8, first 2 shown]
	s_waitcnt lgkmcnt(1)
	v_mul_f64 v[98:99], v[42:43], v[34:35]
	v_mul_f64 v[100:101], v[42:43], v[38:39]
	v_fma_f64 v[68:69], v[46:47], v[54:55], -v[68:69]
	v_fma_f64 v[78:79], v[48:49], v[54:55], v[78:79]
	v_fma_f64 v[46:47], v[46:47], v[58:59], -v[80:81]
	v_fma_f64 v[48:49], v[48:49], v[58:59], v[82:83]
	;; [unrolled: 2-line block ×4, first 2 shown]
	s_waitcnt lgkmcnt(0)
	v_mul_f64 v[66:67], v[10:11], v[34:35]
	v_mul_f64 v[92:93], v[8:9], v[34:35]
	;; [unrolled: 1-line block ×6, first 2 shown]
	ds_load_b128 v[12:15], v31 offset:112
	ds_load_b128 v[16:19], v31 offset:2160
	;; [unrolled: 1-line block ×4, first 2 shown]
	s_waitcnt lgkmcnt(0)
	s_barrier
	buffer_gl0_inv
	v_add_f64 v[1:2], v[1:2], v[88:89]
	v_add_f64 v[56:57], v[70:71], v[90:91]
	;; [unrolled: 1-line block ×8, first 2 shown]
	v_mul_f64 v[76:77], v[14:15], v[22:23]
	v_mul_f64 v[82:83], v[12:13], v[22:23]
	;; [unrolled: 1-line block ×8, first 2 shown]
	v_fma_f64 v[66:67], v[8:9], v[32:33], -v[66:67]
	v_fma_f64 v[92:93], v[10:11], v[32:33], v[92:93]
	v_fma_f64 v[8:9], v[8:9], v[36:37], -v[94:95]
	v_fma_f64 v[10:11], v[10:11], v[36:37], v[96:97]
	;; [unrolled: 2-line block ×4, first 2 shown]
	v_add_f64 v[1:2], v[1:2], v[68:69]
	v_add_f64 v[38:39], v[56:57], v[78:79]
	;; [unrolled: 1-line block ×8, first 2 shown]
	v_fma_f64 v[52:53], v[12:13], v[20:21], -v[76:77]
	v_fma_f64 v[54:55], v[14:15], v[20:21], v[82:83]
	v_fma_f64 v[12:13], v[12:13], v[60:61], -v[84:85]
	v_fma_f64 v[14:15], v[14:15], v[60:61], v[86:87]
	;; [unrolled: 2-line block ×4, first 2 shown]
	v_add_f64 v[1:2], v[1:2], v[66:67]
	v_add_f64 v[16:17], v[38:39], v[92:93]
	;; [unrolled: 1-line block ×16, first 2 shown]
	s_cbranch_vccnz .LBB1842_11
.LBB1842_3:                             ; =>This Inner Loop Header: Depth=1
	v_add_co_u32 v1, s2, v27, s12
	s_delay_alu instid0(VALU_DEP_1) | instskip(NEXT) | instid1(VALU_DEP_1)
	v_add_co_ci_u32_e64 v2, null, 0, s13, s2
	v_cmp_le_i64_e32 vcc_lo, s[16:17], v[1:2]
	s_or_b32 s2, s1, vcc_lo
	s_delay_alu instid0(SALU_CYCLE_1) | instskip(NEXT) | instid1(SALU_CYCLE_1)
	s_and_saveexec_b32 s3, s2
	s_xor_b32 s2, exec_lo, s3
	s_cbranch_execz .LBB1842_5
; %bb.4:                                ;   in Loop: Header=BB1842_3 Depth=1
	v_mov_b32_e32 v1, v0
	v_mov_b32_e32 v2, v0
	;; [unrolled: 1-line block ×3, first 2 shown]
	ds_store_b128 v28, v[0:3]
.LBB1842_5:                             ;   in Loop: Header=BB1842_3 Depth=1
	s_and_not1_saveexec_b32 s2, s2
	s_cbranch_execz .LBB1842_7
; %bb.6:                                ;   in Loop: Header=BB1842_3 Depth=1
	global_load_b128 v[32:35], v[4:5], off
	s_waitcnt vmcnt(0)
	ds_store_2addr_b64 v28, v[32:33], v[34:35] offset1:1
.LBB1842_7:                             ;   in Loop: Header=BB1842_3 Depth=1
	s_or_b32 exec_lo, exec_lo, s2
	v_add_co_u32 v1, s2, v26, s12
	s_delay_alu instid0(VALU_DEP_1) | instskip(NEXT) | instid1(VALU_DEP_1)
	v_add_co_ci_u32_e64 v2, null, 0, s13, s2
	v_cmp_le_i64_e32 vcc_lo, s[16:17], v[1:2]
	s_or_b32 s2, vcc_lo, s0
	s_delay_alu instid0(SALU_CYCLE_1) | instskip(NEXT) | instid1(SALU_CYCLE_1)
	s_and_saveexec_b32 s3, s2
	s_xor_b32 s2, exec_lo, s3
	s_cbranch_execz .LBB1842_9
; %bb.8:                                ;   in Loop: Header=BB1842_3 Depth=1
	v_mov_b32_e32 v1, v0
	v_mov_b32_e32 v2, v0
	;; [unrolled: 1-line block ×3, first 2 shown]
	ds_store_b128 v29, v[0:3]
.LBB1842_9:                             ;   in Loop: Header=BB1842_3 Depth=1
	s_and_not1_saveexec_b32 s2, s2
	s_cbranch_execz .LBB1842_2
; %bb.10:                               ;   in Loop: Header=BB1842_3 Depth=1
	global_load_b128 v[32:35], v[6:7], off
	s_waitcnt vmcnt(0)
	ds_store_2addr_b64 v29, v[32:33], v[34:35] offset1:1
	s_branch .LBB1842_2
.LBB1842_11:
	v_add_nc_u32_e32 v4, s14, v25
	s_delay_alu instid0(VALU_DEP_1) | instskip(SKIP_3) | instid1(VALU_DEP_4)
	v_ashrrev_i32_e32 v0, 31, v4
	v_mul_lo_u32 v3, v4, s11
	v_mad_u64_u32 v[1:2], null, v4, s10, 0
	v_cmp_gt_i32_e32 vcc_lo, s15, v4
	v_mul_lo_u32 v0, v0, s10
	s_delay_alu instid0(VALU_DEP_1) | instskip(SKIP_1) | instid1(VALU_DEP_2)
	v_add3_u32 v2, v2, v3, v0
	v_add_nc_u32_e32 v0, s28, v24
	v_lshlrev_b64 v[1:2], 4, v[1:2]
	s_delay_alu instid0(VALU_DEP_2) | instskip(NEXT) | instid1(VALU_DEP_1)
	v_cmp_le_i32_e64 s0, v0, v4
	s_and_b32 s0, vcc_lo, s0
	s_waitcnt lgkmcnt(0)
	s_delay_alu instid0(VALU_DEP_2) | instskip(NEXT) | instid1(VALU_DEP_1)
	v_add_co_u32 v5, s1, s8, v1
	v_add_co_ci_u32_e64 v6, s1, s9, v2, s1
	s_and_saveexec_b32 s1, s0
	s_cbranch_execz .LBB1842_13
; %bb.12:
	v_ashrrev_i32_e32 v1, 31, v0
	v_mul_f64 v[28:29], s[18:19], v[22:23]
	v_mul_f64 v[22:23], s[20:21], v[22:23]
	s_delay_alu instid0(VALU_DEP_3) | instskip(NEXT) | instid1(VALU_DEP_1)
	v_lshlrev_b64 v[1:2], 4, v[0:1]
	v_add_co_u32 v1, s0, v5, v1
	s_delay_alu instid0(VALU_DEP_1)
	v_add_co_ci_u32_e64 v2, s0, v6, v2, s0
	v_cmp_ne_u32_e64 s0, v4, v0
	global_load_b128 v[24:27], v[1:2], off
	v_fma_f64 v[28:29], s[20:21], v[20:21], v[28:29]
	v_fma_f64 v[20:21], s[18:19], v[20:21], -v[22:23]
	s_waitcnt vmcnt(0)
	v_mul_f64 v[30:31], s[4:5], v[26:27]
	v_mul_f64 v[26:27], s[6:7], v[26:27]
	s_delay_alu instid0(VALU_DEP_2) | instskip(NEXT) | instid1(VALU_DEP_2)
	v_fma_f64 v[30:31], s[6:7], v[24:25], v[30:31]
	v_fma_f64 v[22:23], s[4:5], v[24:25], -v[26:27]
	s_delay_alu instid0(VALU_DEP_2) | instskip(NEXT) | instid1(VALU_DEP_2)
	v_add_f64 v[24:25], v[28:29], v[30:31]
	v_add_f64 v[20:21], v[20:21], v[22:23]
	s_delay_alu instid0(VALU_DEP_2) | instskip(NEXT) | instid1(VALU_DEP_3)
	v_cndmask_b32_e64 v23, 0, v25, s0
	v_cndmask_b32_e64 v22, 0, v24, s0
	global_store_b128 v[1:2], v[20:23], off
.LBB1842_13:
	s_or_b32 exec_lo, exec_lo, s1
	v_add_nc_u32_e32 v2, 16, v0
	s_delay_alu instid0(VALU_DEP_1) | instskip(NEXT) | instid1(VALU_DEP_1)
	v_cmp_le_i32_e64 s0, v2, v4
	s_and_b32 s1, vcc_lo, s0
	s_delay_alu instid0(SALU_CYCLE_1)
	s_and_saveexec_b32 s0, s1
	s_cbranch_execz .LBB1842_15
; %bb.14:
	v_ashrrev_i32_e32 v3, 31, v2
	v_mul_f64 v[24:25], s[18:19], v[18:19]
	v_mul_f64 v[18:19], s[20:21], v[18:19]
	s_delay_alu instid0(VALU_DEP_3) | instskip(NEXT) | instid1(VALU_DEP_1)
	v_lshlrev_b64 v[20:21], 4, v[2:3]
	v_add_co_u32 v5, vcc_lo, v5, v20
	s_delay_alu instid0(VALU_DEP_2)
	v_add_co_ci_u32_e32 v6, vcc_lo, v6, v21, vcc_lo
	v_cmp_ne_u32_e32 vcc_lo, v4, v2
	global_load_b128 v[20:23], v[5:6], off
	v_fma_f64 v[24:25], s[20:21], v[16:17], v[24:25]
	v_fma_f64 v[16:17], s[18:19], v[16:17], -v[18:19]
	s_waitcnt vmcnt(0)
	v_mul_f64 v[26:27], s[4:5], v[22:23]
	v_mul_f64 v[22:23], s[6:7], v[22:23]
	s_delay_alu instid0(VALU_DEP_2) | instskip(NEXT) | instid1(VALU_DEP_2)
	v_fma_f64 v[26:27], s[6:7], v[20:21], v[26:27]
	v_fma_f64 v[18:19], s[4:5], v[20:21], -v[22:23]
	s_delay_alu instid0(VALU_DEP_2) | instskip(NEXT) | instid1(VALU_DEP_2)
	v_add_f64 v[20:21], v[24:25], v[26:27]
	v_add_f64 v[16:17], v[16:17], v[18:19]
	s_delay_alu instid0(VALU_DEP_2)
	v_dual_cndmask_b32 v19, 0, v21 :: v_dual_cndmask_b32 v18, 0, v20
	global_store_b128 v[5:6], v[16:19], off
.LBB1842_15:
	s_or_b32 exec_lo, exec_lo, s0
	v_add_nc_u32_e32 v3, 16, v4
	s_delay_alu instid0(VALU_DEP_1) | instskip(SKIP_3) | instid1(VALU_DEP_4)
	v_ashrrev_i32_e32 v1, 31, v3
	v_mul_lo_u32 v7, v3, s11
	v_mad_u64_u32 v[5:6], null, v3, s10, 0
	v_cmp_gt_i32_e32 vcc_lo, s15, v3
	v_mul_lo_u32 v1, v1, s10
	v_cmp_le_i32_e64 s0, v0, v3
	s_delay_alu instid0(VALU_DEP_1) | instskip(NEXT) | instid1(VALU_DEP_2)
	s_and_b32 s0, vcc_lo, s0
	v_add3_u32 v6, v6, v7, v1
	s_delay_alu instid0(VALU_DEP_1) | instskip(NEXT) | instid1(VALU_DEP_1)
	v_lshlrev_b64 v[5:6], 4, v[5:6]
	v_add_co_u32 v5, s1, s8, v5
	s_delay_alu instid0(VALU_DEP_1)
	v_add_co_ci_u32_e64 v6, s1, s9, v6, s1
	s_and_saveexec_b32 s1, s0
	s_cbranch_execz .LBB1842_17
; %bb.16:
	v_ashrrev_i32_e32 v1, 31, v0
	v_mul_f64 v[22:23], s[18:19], v[14:15]
	v_mul_f64 v[14:15], s[20:21], v[14:15]
	s_delay_alu instid0(VALU_DEP_3) | instskip(NEXT) | instid1(VALU_DEP_1)
	v_lshlrev_b64 v[16:17], 4, v[0:1]
	v_add_co_u32 v20, s0, v5, v16
	s_delay_alu instid0(VALU_DEP_1)
	v_add_co_ci_u32_e64 v21, s0, v6, v17, s0
	v_cmp_ne_u32_e64 s0, v3, v0
	global_load_b128 v[16:19], v[20:21], off
	v_fma_f64 v[22:23], s[20:21], v[12:13], v[22:23]
	v_fma_f64 v[12:13], s[18:19], v[12:13], -v[14:15]
	s_waitcnt vmcnt(0)
	v_mul_f64 v[24:25], s[4:5], v[18:19]
	v_mul_f64 v[18:19], s[6:7], v[18:19]
	s_delay_alu instid0(VALU_DEP_2) | instskip(NEXT) | instid1(VALU_DEP_2)
	v_fma_f64 v[24:25], s[6:7], v[16:17], v[24:25]
	v_fma_f64 v[14:15], s[4:5], v[16:17], -v[18:19]
	s_delay_alu instid0(VALU_DEP_2) | instskip(NEXT) | instid1(VALU_DEP_2)
	v_add_f64 v[16:17], v[22:23], v[24:25]
	v_add_f64 v[12:13], v[12:13], v[14:15]
	s_delay_alu instid0(VALU_DEP_2) | instskip(NEXT) | instid1(VALU_DEP_3)
	v_cndmask_b32_e64 v15, 0, v17, s0
	v_cndmask_b32_e64 v14, 0, v16, s0
	global_store_b128 v[20:21], v[12:15], off
.LBB1842_17:
	s_or_b32 exec_lo, exec_lo, s1
	v_cmp_le_i32_e64 s0, v2, v3
	s_delay_alu instid0(VALU_DEP_1) | instskip(NEXT) | instid1(SALU_CYCLE_1)
	s_and_b32 s0, vcc_lo, s0
	s_and_saveexec_b32 s1, s0
	s_cbranch_execz .LBB1842_19
; %bb.18:
	v_ashrrev_i32_e32 v3, 31, v2
	s_delay_alu instid0(VALU_DEP_1) | instskip(NEXT) | instid1(VALU_DEP_1)
	v_lshlrev_b64 v[1:2], 4, v[2:3]
	v_add_co_u32 v5, vcc_lo, v5, v1
	s_delay_alu instid0(VALU_DEP_2)
	v_add_co_ci_u32_e32 v6, vcc_lo, v6, v2, vcc_lo
	v_mul_f64 v[1:2], s[18:19], v[8:9]
	v_mul_f64 v[7:8], s[20:21], v[8:9]
	v_cmp_ne_u32_e32 vcc_lo, v4, v0
	global_load_b128 v[12:15], v[5:6], off
	v_fma_f64 v[1:2], s[20:21], v[10:11], v[1:2]
	v_fma_f64 v[7:8], s[18:19], v[10:11], -v[7:8]
	s_waitcnt vmcnt(0)
	v_mul_f64 v[16:17], s[4:5], v[14:15]
	v_mul_f64 v[14:15], s[6:7], v[14:15]
	s_delay_alu instid0(VALU_DEP_2) | instskip(NEXT) | instid1(VALU_DEP_2)
	v_fma_f64 v[16:17], s[6:7], v[12:13], v[16:17]
	v_fma_f64 v[9:10], s[4:5], v[12:13], -v[14:15]
	s_delay_alu instid0(VALU_DEP_2) | instskip(NEXT) | instid1(VALU_DEP_2)
	v_add_f64 v[11:12], v[1:2], v[16:17]
	v_add_f64 v[1:2], v[7:8], v[9:10]
	s_delay_alu instid0(VALU_DEP_2)
	v_dual_cndmask_b32 v4, 0, v12 :: v_dual_cndmask_b32 v3, 0, v11
	global_store_b128 v[5:6], v[1:4], off
.LBB1842_19:
	s_nop 0
	s_sendmsg sendmsg(MSG_DEALLOC_VGPRS)
	s_endpgm
	.section	.rodata,"a",@progbits
	.p2align	6, 0x0
	.amdhsa_kernel _ZL34rocblas_syrkx_herkx_general_kernelIl19rocblas_complex_numIdELi16ELi32ELi8ELb0ELb1ELc84ELc85EKPKS1_KPS1_EviT_T0_PT8_S7_lSA_S7_lS8_PT9_S7_li
		.amdhsa_group_segment_fixed_size 8192
		.amdhsa_private_segment_fixed_size 0
		.amdhsa_kernarg_size 124
		.amdhsa_user_sgpr_count 13
		.amdhsa_user_sgpr_dispatch_ptr 0
		.amdhsa_user_sgpr_queue_ptr 0
		.amdhsa_user_sgpr_kernarg_segment_ptr 1
		.amdhsa_user_sgpr_dispatch_id 0
		.amdhsa_user_sgpr_private_segment_size 0
		.amdhsa_wavefront_size32 1
		.amdhsa_uses_dynamic_stack 0
		.amdhsa_enable_private_segment 0
		.amdhsa_system_sgpr_workgroup_id_x 1
		.amdhsa_system_sgpr_workgroup_id_y 1
		.amdhsa_system_sgpr_workgroup_id_z 1
		.amdhsa_system_sgpr_workgroup_info 0
		.amdhsa_system_vgpr_workitem_id 1
		.amdhsa_next_free_vgpr 120
		.amdhsa_next_free_sgpr 29
		.amdhsa_reserve_vcc 1
		.amdhsa_float_round_mode_32 0
		.amdhsa_float_round_mode_16_64 0
		.amdhsa_float_denorm_mode_32 3
		.amdhsa_float_denorm_mode_16_64 3
		.amdhsa_dx10_clamp 1
		.amdhsa_ieee_mode 1
		.amdhsa_fp16_overflow 0
		.amdhsa_workgroup_processor_mode 1
		.amdhsa_memory_ordered 1
		.amdhsa_forward_progress 0
		.amdhsa_shared_vgpr_count 0
		.amdhsa_exception_fp_ieee_invalid_op 0
		.amdhsa_exception_fp_denorm_src 0
		.amdhsa_exception_fp_ieee_div_zero 0
		.amdhsa_exception_fp_ieee_overflow 0
		.amdhsa_exception_fp_ieee_underflow 0
		.amdhsa_exception_fp_ieee_inexact 0
		.amdhsa_exception_int_div_zero 0
	.end_amdhsa_kernel
	.section	.text._ZL34rocblas_syrkx_herkx_general_kernelIl19rocblas_complex_numIdELi16ELi32ELi8ELb0ELb1ELc84ELc85EKPKS1_KPS1_EviT_T0_PT8_S7_lSA_S7_lS8_PT9_S7_li,"axG",@progbits,_ZL34rocblas_syrkx_herkx_general_kernelIl19rocblas_complex_numIdELi16ELi32ELi8ELb0ELb1ELc84ELc85EKPKS1_KPS1_EviT_T0_PT8_S7_lSA_S7_lS8_PT9_S7_li,comdat
.Lfunc_end1842:
	.size	_ZL34rocblas_syrkx_herkx_general_kernelIl19rocblas_complex_numIdELi16ELi32ELi8ELb0ELb1ELc84ELc85EKPKS1_KPS1_EviT_T0_PT8_S7_lSA_S7_lS8_PT9_S7_li, .Lfunc_end1842-_ZL34rocblas_syrkx_herkx_general_kernelIl19rocblas_complex_numIdELi16ELi32ELi8ELb0ELb1ELc84ELc85EKPKS1_KPS1_EviT_T0_PT8_S7_lSA_S7_lS8_PT9_S7_li
                                        ; -- End function
	.section	.AMDGPU.csdata,"",@progbits
; Kernel info:
; codeLenInByte = 3680
; NumSgprs: 31
; NumVgprs: 120
; ScratchSize: 0
; MemoryBound: 0
; FloatMode: 240
; IeeeMode: 1
; LDSByteSize: 8192 bytes/workgroup (compile time only)
; SGPRBlocks: 3
; VGPRBlocks: 14
; NumSGPRsForWavesPerEU: 31
; NumVGPRsForWavesPerEU: 120
; Occupancy: 12
; WaveLimiterHint : 1
; COMPUTE_PGM_RSRC2:SCRATCH_EN: 0
; COMPUTE_PGM_RSRC2:USER_SGPR: 13
; COMPUTE_PGM_RSRC2:TRAP_HANDLER: 0
; COMPUTE_PGM_RSRC2:TGID_X_EN: 1
; COMPUTE_PGM_RSRC2:TGID_Y_EN: 1
; COMPUTE_PGM_RSRC2:TGID_Z_EN: 1
; COMPUTE_PGM_RSRC2:TIDIG_COMP_CNT: 1
	.section	.text._ZL34rocblas_syrkx_herkx_general_kernelIl19rocblas_complex_numIdELi16ELi32ELi8ELb0ELb1ELc67ELc85EKPKS1_KPS1_EviT_T0_PT8_S7_lSA_S7_lS8_PT9_S7_li,"axG",@progbits,_ZL34rocblas_syrkx_herkx_general_kernelIl19rocblas_complex_numIdELi16ELi32ELi8ELb0ELb1ELc67ELc85EKPKS1_KPS1_EviT_T0_PT8_S7_lSA_S7_lS8_PT9_S7_li,comdat
	.globl	_ZL34rocblas_syrkx_herkx_general_kernelIl19rocblas_complex_numIdELi16ELi32ELi8ELb0ELb1ELc67ELc85EKPKS1_KPS1_EviT_T0_PT8_S7_lSA_S7_lS8_PT9_S7_li ; -- Begin function _ZL34rocblas_syrkx_herkx_general_kernelIl19rocblas_complex_numIdELi16ELi32ELi8ELb0ELb1ELc67ELc85EKPKS1_KPS1_EviT_T0_PT8_S7_lSA_S7_lS8_PT9_S7_li
	.p2align	8
	.type	_ZL34rocblas_syrkx_herkx_general_kernelIl19rocblas_complex_numIdELi16ELi32ELi8ELb0ELb1ELc67ELc85EKPKS1_KPS1_EviT_T0_PT8_S7_lSA_S7_lS8_PT9_S7_li,@function
_ZL34rocblas_syrkx_herkx_general_kernelIl19rocblas_complex_numIdELi16ELi32ELi8ELb0ELb1ELc67ELc85EKPKS1_KPS1_EviT_T0_PT8_S7_lSA_S7_lS8_PT9_S7_li: ; @_ZL34rocblas_syrkx_herkx_general_kernelIl19rocblas_complex_numIdELi16ELi32ELi8ELb0ELb1ELc67ELc85EKPKS1_KPS1_EviT_T0_PT8_S7_lSA_S7_lS8_PT9_S7_li
; %bb.0:
	s_clause 0x1
	s_load_b256 s[4:11], s[0:1], 0x50
	s_load_b256 s[16:23], s[0:1], 0x8
	s_mov_b32 s2, s15
	s_mov_b32 s3, 0
	s_load_b32 s15, s[0:1], 0x0
	s_lshl_b64 s[24:25], s[2:3], 3
	v_mov_b32_e32 v23, 0
	v_dual_mov_b32 v24, 0 :: v_dual_and_b32 v27, 0x3ff, v0
	v_bfe_u32 v28, v0, 10, 10
	s_delay_alu instid0(VALU_DEP_3) | instskip(NEXT) | instid1(VALU_DEP_3)
	v_mov_b32_e32 v19, v23
	v_dual_mov_b32 v21, v23 :: v_dual_mov_b32 v22, v24
	v_dual_mov_b32 v26, v24 :: v_dual_mov_b32 v25, v23
	;; [unrolled: 1-line block ×4, first 2 shown]
	v_mov_b32_e32 v18, v24
	s_waitcnt lgkmcnt(0)
	s_add_u32 s2, s8, s24
	s_addc_u32 s3, s9, s25
	s_load_b64 s[26:27], s[0:1], 0x28
	s_load_b64 s[8:9], s[2:3], 0x0
	v_cmp_lt_i64_e64 s2, s[16:17], 1
	v_dual_mov_b32 v11, v23 :: v_dual_mov_b32 v12, v24
	v_dual_mov_b32 v13, v23 :: v_dual_mov_b32 v14, v24
	s_lshl_b32 s28, s13, 5
	s_lshl_b32 s14, s14, 5
	s_delay_alu instid0(VALU_DEP_3)
	s_and_b32 vcc_lo, exec_lo, s2
	s_mov_b64 s[12:13], 0
	s_cbranch_vccnz .LBB1843_9
; %bb.1:
	s_load_b128 s[0:3], s[0:1], 0x38
	v_lshl_add_u32 v1, v28, 4, v27
	v_dual_mov_b32 v0, 0 :: v_dual_and_b32 v29, 7, v27
	v_lshl_add_u32 v31, v28, 7, 0x1000
	s_delay_alu instid0(VALU_DEP_3) | instskip(SKIP_3) | instid1(VALU_DEP_4)
	v_and_b32_e32 v2, 31, v1
	v_lshrrev_b32_e32 v3, 3, v1
	v_lshrrev_b32_e32 v32, 5, v1
	v_lshlrev_b32_e32 v6, 4, v29
	v_add_nc_u32_e32 v4, s28, v2
	s_delay_alu instid0(VALU_DEP_4) | instskip(SKIP_2) | instid1(VALU_DEP_4)
	v_add_nc_u32_e32 v5, s14, v3
	v_or_b32_e32 v7, s28, v2
	v_lshlrev_b32_e32 v8, 4, v2
	v_ashrrev_i32_e32 v10, 31, v4
	s_waitcnt lgkmcnt(0)
	v_mul_lo_u32 v11, s27, v4
	v_mad_u64_u32 v[1:2], null, s26, v4, 0
	s_add_u32 s30, s0, s24
	v_mul_lo_u32 v4, s26, v10
	s_addc_u32 s31, s1, s25
	s_add_u32 s0, s22, s24
	s_addc_u32 s1, s23, s25
	v_ashrrev_i32_e32 v9, 31, v5
	s_load_b64 s[22:23], s[0:1], 0x0
	v_lshl_or_b32 v10, v3, 7, v6
	v_mul_lo_u32 v12, s3, v5
	v_add3_u32 v2, v2, v4, v11
	v_mul_lo_u32 v9, s2, v9
	v_mad_u64_u32 v[3:4], null, s2, v5, 0
	v_lshlrev_b32_e32 v11, 4, v32
	s_delay_alu instid0(VALU_DEP_4) | instskip(SKIP_4) | instid1(VALU_DEP_4)
	v_lshlrev_b64 v[1:2], 4, v[1:2]
	s_load_b64 s[2:3], s[30:31], 0x0
	v_cmp_gt_i32_e32 vcc_lo, s15, v5
	v_cmp_gt_i32_e64 s0, s15, v7
	v_add3_u32 v4, v4, v9, v12
	v_add_co_u32 v5, s1, v1, v11
	s_delay_alu instid0(VALU_DEP_1) | instskip(NEXT) | instid1(VALU_DEP_3)
	v_add_co_ci_u32_e64 v7, s1, 0, v2, s1
	v_lshlrev_b64 v[1:2], 4, v[3:4]
	s_waitcnt lgkmcnt(0)
	s_delay_alu instid0(VALU_DEP_3) | instskip(NEXT) | instid1(VALU_DEP_1)
	v_add_co_u32 v3, s1, v5, s22
	v_add_co_ci_u32_e64 v4, s1, s23, v7, s1
	s_delay_alu instid0(VALU_DEP_3) | instskip(SKIP_4) | instid1(VALU_DEP_3)
	v_add_co_u32 v1, s1, v1, v6
	v_mov_b32_e32 v5, 0
	v_mov_b32_e32 v6, 0
	v_add_co_ci_u32_e64 v2, s1, 0, v2, s1
	v_add_co_u32 v7, s1, v3, 8
	v_dual_mov_b32 v18, v6 :: v_dual_mov_b32 v17, v5
	v_lshl_or_b32 v33, v32, 9, v8
	v_add_co_ci_u32_e64 v8, s1, 0, v4, s1
	v_add_co_u32 v9, s1, s2, v1
	v_mov_b32_e32 v14, v6
	v_mov_b32_e32 v12, v6
	;; [unrolled: 1-line block ×6, first 2 shown]
	v_dual_mov_b32 v24, v6 :: v_dual_mov_b32 v23, v5
	v_dual_mov_b32 v13, v5 :: v_dual_lshlrev_b32 v30, 4, v27
	v_dual_mov_b32 v15, v5 :: v_dual_add_nc_u32 v34, 0x1000, v10
	v_add_co_ci_u32_e64 v10, s1, s3, v2, s1
	v_mov_b32_e32 v11, v5
	v_mov_b32_e32 v21, v5
	;; [unrolled: 1-line block ×4, first 2 shown]
	s_xor_b32 s1, vcc_lo, -1
	s_branch .LBB1843_3
.LBB1843_2:                             ;   in Loop: Header=BB1843_3 Depth=1
	s_or_b32 exec_lo, exec_lo, s2
	s_waitcnt lgkmcnt(0)
	s_barrier
	buffer_gl0_inv
	ds_load_b128 v[1:4], v31
	ds_load_b128 v[35:38], v30
	ds_load_b128 v[39:42], v30 offset:256
	ds_load_b128 v[43:46], v31 offset:2048
	;; [unrolled: 1-line block ×9, first 2 shown]
	s_add_u32 s12, s12, 8
	s_addc_u32 s13, s13, 0
	v_add_co_u32 v7, vcc_lo, 0x80, v7
	v_cmp_ge_i64_e64 s2, s[12:13], s[16:17]
	v_add_co_ci_u32_e32 v8, vcc_lo, 0, v8, vcc_lo
	v_add_co_u32 v9, vcc_lo, 0x80, v9
	v_add_co_ci_u32_e32 v10, vcc_lo, 0, v10, vcc_lo
	s_delay_alu instid0(VALU_DEP_4)
	s_and_b32 vcc_lo, exec_lo, s2
	s_waitcnt lgkmcnt(9)
	v_mul_f64 v[75:76], v[3:4], v[37:38]
	v_mul_f64 v[77:78], v[1:2], v[37:38]
	s_waitcnt lgkmcnt(8)
	v_mul_f64 v[79:80], v[3:4], v[41:42]
	v_mul_f64 v[81:82], v[1:2], v[41:42]
	;; [unrolled: 3-line block ×3, first 2 shown]
	v_mul_f64 v[85:86], v[45:46], v[41:42]
	v_mul_f64 v[41:42], v[43:44], v[41:42]
	s_waitcnt lgkmcnt(4)
	v_mul_f64 v[87:88], v[49:50], v[57:58]
	v_mul_f64 v[89:90], v[47:48], v[57:58]
	s_waitcnt lgkmcnt(3)
	v_mul_f64 v[91:92], v[49:50], v[61:62]
	v_mul_f64 v[93:94], v[47:48], v[61:62]
	;; [unrolled: 1-line block ×6, first 2 shown]
	s_waitcnt lgkmcnt(0)
	v_mul_f64 v[115:116], v[73:74], v[65:66]
	v_mul_f64 v[117:118], v[73:74], v[69:70]
	v_fma_f64 v[99:100], v[1:2], v[35:36], -v[75:76]
	v_fma_f64 v[101:102], v[3:4], v[35:36], v[77:78]
	v_fma_f64 v[79:80], v[1:2], v[39:40], -v[79:80]
	v_fma_f64 v[81:82], v[3:4], v[39:40], v[81:82]
	;; [unrolled: 2-line block ×4, first 2 shown]
	ds_load_b128 v[75:78], v31 offset:32
	v_fma_f64 v[87:88], v[47:48], v[55:56], -v[87:88]
	v_fma_f64 v[89:90], v[49:50], v[55:56], v[89:90]
	v_fma_f64 v[47:48], v[47:48], v[59:60], -v[91:92]
	v_fma_f64 v[49:50], v[49:50], v[59:60], v[93:94]
	;; [unrolled: 2-line block ×4, first 2 shown]
	ds_load_b128 v[1:4], v31 offset:48
	ds_load_b128 v[35:38], v31 offset:2096
	;; [unrolled: 1-line block ×4, first 2 shown]
	s_waitcnt lgkmcnt(4)
	v_mul_f64 v[107:108], v[77:78], v[65:66]
	v_mul_f64 v[109:110], v[75:76], v[65:66]
	;; [unrolled: 1-line block ×6, first 2 shown]
	s_waitcnt lgkmcnt(1)
	v_mul_f64 v[93:94], v[1:2], v[41:42]
	s_waitcnt lgkmcnt(0)
	v_mul_f64 v[95:96], v[3:4], v[45:46]
	v_add_f64 v[23:24], v[23:24], v[99:100]
	v_add_f64 v[25:26], v[25:26], v[101:102]
	;; [unrolled: 1-line block ×8, first 2 shown]
	v_mul_f64 v[85:86], v[3:4], v[41:42]
	v_mul_f64 v[97:98], v[1:2], v[45:46]
	;; [unrolled: 1-line block ×6, first 2 shown]
	ds_load_b128 v[11:14], v30 offset:2048
	ds_load_b128 v[15:18], v30 offset:2304
	;; [unrolled: 1-line block ×3, first 2 shown]
	v_fma_f64 v[105:106], v[75:76], v[63:64], -v[107:108]
	v_fma_f64 v[107:108], v[77:78], v[63:64], v[109:110]
	v_fma_f64 v[75:76], v[75:76], v[67:68], -v[111:112]
	v_fma_f64 v[77:78], v[77:78], v[67:68], v[113:114]
	;; [unrolled: 2-line block ×4, first 2 shown]
	s_waitcnt lgkmcnt(0)
	v_mul_f64 v[115:116], v[21:22], v[13:14]
	v_mul_f64 v[117:118], v[21:22], v[17:18]
	v_add_f64 v[69:70], v[23:24], v[87:88]
	v_add_f64 v[71:72], v[25:26], v[89:90]
	;; [unrolled: 1-line block ×8, first 2 shown]
	ds_load_b128 v[23:26], v31 offset:64
	v_fma_f64 v[85:86], v[1:2], v[39:40], -v[85:86]
	v_fma_f64 v[93:94], v[3:4], v[39:40], v[93:94]
	v_fma_f64 v[95:96], v[1:2], v[43:44], -v[95:96]
	v_fma_f64 v[97:98], v[3:4], v[43:44], v[97:98]
	;; [unrolled: 2-line block ×4, first 2 shown]
	ds_load_b128 v[45:48], v31 offset:80
	ds_load_b128 v[49:52], v31 offset:2128
	;; [unrolled: 1-line block ×7, first 2 shown]
	s_waitcnt lgkmcnt(7)
	v_mul_f64 v[89:90], v[25:26], v[13:14]
	v_mul_f64 v[91:92], v[23:24], v[13:14]
	;; [unrolled: 1-line block ×6, first 2 shown]
	s_waitcnt lgkmcnt(3)
	v_mul_f64 v[103:104], v[51:52], v[59:60]
	v_add_f64 v[69:70], v[69:70], v[105:106]
	v_add_f64 v[71:72], v[71:72], v[107:108]
	;; [unrolled: 1-line block ×8, first 2 shown]
	v_mul_f64 v[77:78], v[47:48], v[55:56]
	v_mul_f64 v[79:80], v[45:46], v[55:56]
	;; [unrolled: 1-line block ×7, first 2 shown]
	v_fma_f64 v[89:90], v[23:24], v[11:12], -v[89:90]
	v_fma_f64 v[91:92], v[25:26], v[11:12], v[91:92]
	v_fma_f64 v[107:108], v[23:24], v[15:16], -v[111:112]
	v_fma_f64 v[109:110], v[25:26], v[15:16], v[113:114]
	;; [unrolled: 2-line block ×4, first 2 shown]
	ds_load_b128 v[11:14], v31 offset:96
	v_add_f64 v[69:70], v[69:70], v[85:86]
	v_add_f64 v[71:72], v[71:72], v[93:94]
	;; [unrolled: 1-line block ×8, first 2 shown]
	s_waitcnt lgkmcnt(1)
	v_mul_f64 v[99:100], v[41:42], v[3:4]
	v_mul_f64 v[101:102], v[41:42], v[37:38]
	v_fma_f64 v[77:78], v[45:46], v[53:54], -v[77:78]
	v_fma_f64 v[79:80], v[47:48], v[53:54], v[79:80]
	v_fma_f64 v[45:46], v[45:46], v[57:58], -v[81:82]
	v_fma_f64 v[47:48], v[47:48], v[57:58], v[83:84]
	;; [unrolled: 2-line block ×4, first 2 shown]
	s_waitcnt lgkmcnt(0)
	v_mul_f64 v[67:68], v[13:14], v[3:4]
	v_mul_f64 v[93:94], v[11:12], v[3:4]
	;; [unrolled: 1-line block ×6, first 2 shown]
	ds_load_b128 v[15:18], v31 offset:112
	ds_load_b128 v[19:22], v31 offset:2160
	;; [unrolled: 1-line block ×4, first 2 shown]
	s_waitcnt lgkmcnt(0)
	s_barrier
	buffer_gl0_inv
	v_add_f64 v[55:56], v[69:70], v[89:90]
	v_add_f64 v[57:58], v[71:72], v[91:92]
	;; [unrolled: 1-line block ×8, first 2 shown]
	v_mul_f64 v[75:76], v[17:18], v[25:26]
	v_mul_f64 v[83:84], v[15:16], v[25:26]
	;; [unrolled: 1-line block ×8, first 2 shown]
	v_fma_f64 v[67:68], v[11:12], v[1:2], -v[67:68]
	v_fma_f64 v[93:94], v[13:14], v[1:2], v[93:94]
	v_fma_f64 v[11:12], v[11:12], v[35:36], -v[95:96]
	v_fma_f64 v[13:14], v[13:14], v[35:36], v[97:98]
	;; [unrolled: 2-line block ×4, first 2 shown]
	v_add_f64 v[37:38], v[55:56], v[77:78]
	v_add_f64 v[39:40], v[57:58], v[79:80]
	;; [unrolled: 1-line block ×8, first 2 shown]
	v_fma_f64 v[51:52], v[15:16], v[23:24], -v[75:76]
	v_fma_f64 v[55:56], v[17:18], v[23:24], v[83:84]
	v_fma_f64 v[15:16], v[15:16], v[59:60], -v[85:86]
	v_fma_f64 v[17:18], v[17:18], v[59:60], v[87:88]
	;; [unrolled: 2-line block ×4, first 2 shown]
	v_add_f64 v[19:20], v[37:38], v[67:68]
	v_add_f64 v[21:22], v[39:40], v[93:94]
	;; [unrolled: 1-line block ×16, first 2 shown]
	s_cbranch_vccnz .LBB1843_9
.LBB1843_3:                             ; =>This Inner Loop Header: Depth=1
	v_add_co_u32 v1, s2, v32, s12
	s_delay_alu instid0(VALU_DEP_1) | instskip(SKIP_1) | instid1(VALU_DEP_2)
	v_add_co_ci_u32_e64 v2, null, 0, s13, s2
	v_dual_mov_b32 v3, v5 :: v_dual_mov_b32 v4, v6
	v_cmp_gt_i64_e32 vcc_lo, s[16:17], v[1:2]
	v_dual_mov_b32 v1, v5 :: v_dual_mov_b32 v2, v6
	s_and_b32 s3, s0, vcc_lo
	s_delay_alu instid0(SALU_CYCLE_1)
	s_and_saveexec_b32 s2, s3
	s_cbranch_execz .LBB1843_5
; %bb.4:                                ;   in Loop: Header=BB1843_3 Depth=1
	global_load_b128 v[1:4], v[7:8], off offset:-8
	s_waitcnt vmcnt(0)
	v_xor_b32_e32 v4, 0x80000000, v4
.LBB1843_5:                             ;   in Loop: Header=BB1843_3 Depth=1
	s_or_b32 exec_lo, exec_lo, s2
	v_add_co_u32 v35, s2, v29, s12
	s_delay_alu instid0(VALU_DEP_1) | instskip(SKIP_3) | instid1(SALU_CYCLE_1)
	v_add_co_ci_u32_e64 v36, null, 0, s13, s2
	ds_store_b128 v33, v[1:4]
	v_cmp_le_i64_e32 vcc_lo, s[16:17], v[35:36]
	s_or_b32 s2, vcc_lo, s1
	s_and_saveexec_b32 s3, s2
	s_delay_alu instid0(SALU_CYCLE_1)
	s_xor_b32 s2, exec_lo, s3
	s_cbranch_execz .LBB1843_7
; %bb.6:                                ;   in Loop: Header=BB1843_3 Depth=1
	v_mov_b32_e32 v1, v0
	v_mov_b32_e32 v2, v0
	;; [unrolled: 1-line block ×3, first 2 shown]
	ds_store_b128 v34, v[0:3]
.LBB1843_7:                             ;   in Loop: Header=BB1843_3 Depth=1
	s_and_not1_saveexec_b32 s2, s2
	s_cbranch_execz .LBB1843_2
; %bb.8:                                ;   in Loop: Header=BB1843_3 Depth=1
	global_load_b128 v[1:4], v[9:10], off
	s_waitcnt vmcnt(0)
	ds_store_2addr_b64 v34, v[1:2], v[3:4] offset1:1
	s_branch .LBB1843_2
.LBB1843_9:
	v_add_nc_u32_e32 v4, s14, v28
	s_delay_alu instid0(VALU_DEP_1) | instskip(SKIP_3) | instid1(VALU_DEP_4)
	v_ashrrev_i32_e32 v0, 31, v4
	v_mul_lo_u32 v3, v4, s11
	v_mad_u64_u32 v[1:2], null, v4, s10, 0
	v_cmp_gt_i32_e32 vcc_lo, s15, v4
	v_mul_lo_u32 v0, v0, s10
	s_delay_alu instid0(VALU_DEP_1) | instskip(SKIP_1) | instid1(VALU_DEP_2)
	v_add3_u32 v2, v2, v3, v0
	v_add_nc_u32_e32 v0, s28, v27
	v_lshlrev_b64 v[1:2], 4, v[1:2]
	s_delay_alu instid0(VALU_DEP_2) | instskip(NEXT) | instid1(VALU_DEP_1)
	v_cmp_le_i32_e64 s0, v0, v4
	s_and_b32 s0, vcc_lo, s0
	s_waitcnt lgkmcnt(0)
	s_delay_alu instid0(VALU_DEP_2) | instskip(NEXT) | instid1(VALU_DEP_1)
	v_add_co_u32 v5, s1, s8, v1
	v_add_co_ci_u32_e64 v6, s1, s9, v2, s1
	s_and_saveexec_b32 s1, s0
	s_cbranch_execz .LBB1843_11
; %bb.10:
	v_ashrrev_i32_e32 v1, 31, v0
	v_mul_f64 v[27:28], s[18:19], v[25:26]
	v_mul_f64 v[25:26], s[20:21], v[25:26]
	s_delay_alu instid0(VALU_DEP_3) | instskip(NEXT) | instid1(VALU_DEP_1)
	v_lshlrev_b64 v[1:2], 4, v[0:1]
	v_add_co_u32 v1, s0, v5, v1
	s_delay_alu instid0(VALU_DEP_1)
	v_add_co_ci_u32_e64 v2, s0, v6, v2, s0
	v_cmp_ne_u32_e64 s0, v4, v0
	global_load_b128 v[7:10], v[1:2], off
	v_fma_f64 v[27:28], s[20:21], v[23:24], v[27:28]
	v_fma_f64 v[23:24], s[18:19], v[23:24], -v[25:26]
	s_waitcnt vmcnt(0)
	v_mul_f64 v[29:30], s[4:5], v[9:10]
	v_mul_f64 v[9:10], s[6:7], v[9:10]
	s_delay_alu instid0(VALU_DEP_2) | instskip(NEXT) | instid1(VALU_DEP_2)
	v_fma_f64 v[29:30], s[6:7], v[7:8], v[29:30]
	v_fma_f64 v[7:8], s[4:5], v[7:8], -v[9:10]
	s_delay_alu instid0(VALU_DEP_2) | instskip(NEXT) | instid1(VALU_DEP_2)
	v_add_f64 v[9:10], v[27:28], v[29:30]
	v_add_f64 v[7:8], v[23:24], v[7:8]
	s_delay_alu instid0(VALU_DEP_2) | instskip(NEXT) | instid1(VALU_DEP_3)
	v_cndmask_b32_e64 v10, 0, v10, s0
	v_cndmask_b32_e64 v9, 0, v9, s0
	global_store_b128 v[1:2], v[7:10], off
.LBB1843_11:
	s_or_b32 exec_lo, exec_lo, s1
	v_add_nc_u32_e32 v2, 16, v0
	s_delay_alu instid0(VALU_DEP_1) | instskip(NEXT) | instid1(VALU_DEP_1)
	v_cmp_le_i32_e64 s0, v2, v4
	s_and_b32 s1, vcc_lo, s0
	s_delay_alu instid0(SALU_CYCLE_1)
	s_and_saveexec_b32 s0, s1
	s_cbranch_execz .LBB1843_13
; %bb.12:
	v_ashrrev_i32_e32 v3, 31, v2
	v_mul_f64 v[23:24], s[18:19], v[21:22]
	v_mul_f64 v[21:22], s[20:21], v[21:22]
	s_delay_alu instid0(VALU_DEP_3) | instskip(NEXT) | instid1(VALU_DEP_1)
	v_lshlrev_b64 v[7:8], 4, v[2:3]
	v_add_co_u32 v9, vcc_lo, v5, v7
	s_delay_alu instid0(VALU_DEP_2)
	v_add_co_ci_u32_e32 v10, vcc_lo, v6, v8, vcc_lo
	v_cmp_ne_u32_e32 vcc_lo, v4, v2
	global_load_b128 v[5:8], v[9:10], off
	v_fma_f64 v[23:24], s[20:21], v[19:20], v[23:24]
	v_fma_f64 v[19:20], s[18:19], v[19:20], -v[21:22]
	s_waitcnt vmcnt(0)
	v_mul_f64 v[25:26], s[4:5], v[7:8]
	v_mul_f64 v[7:8], s[6:7], v[7:8]
	s_delay_alu instid0(VALU_DEP_2) | instskip(NEXT) | instid1(VALU_DEP_2)
	v_fma_f64 v[25:26], s[6:7], v[5:6], v[25:26]
	v_fma_f64 v[5:6], s[4:5], v[5:6], -v[7:8]
	s_delay_alu instid0(VALU_DEP_2) | instskip(NEXT) | instid1(VALU_DEP_2)
	v_add_f64 v[7:8], v[23:24], v[25:26]
	v_add_f64 v[5:6], v[19:20], v[5:6]
	s_delay_alu instid0(VALU_DEP_2)
	v_dual_cndmask_b32 v8, 0, v8 :: v_dual_cndmask_b32 v7, 0, v7
	global_store_b128 v[9:10], v[5:8], off
.LBB1843_13:
	s_or_b32 exec_lo, exec_lo, s0
	v_add_nc_u32_e32 v3, 16, v4
	s_delay_alu instid0(VALU_DEP_1) | instskip(SKIP_3) | instid1(VALU_DEP_4)
	v_ashrrev_i32_e32 v1, 31, v3
	v_mul_lo_u32 v7, v3, s11
	v_mad_u64_u32 v[5:6], null, v3, s10, 0
	v_cmp_gt_i32_e32 vcc_lo, s15, v3
	v_mul_lo_u32 v1, v1, s10
	v_cmp_le_i32_e64 s0, v0, v3
	s_delay_alu instid0(VALU_DEP_1) | instskip(NEXT) | instid1(VALU_DEP_2)
	s_and_b32 s0, vcc_lo, s0
	v_add3_u32 v6, v6, v7, v1
	s_delay_alu instid0(VALU_DEP_1) | instskip(NEXT) | instid1(VALU_DEP_1)
	v_lshlrev_b64 v[5:6], 4, v[5:6]
	v_add_co_u32 v5, s1, s8, v5
	s_delay_alu instid0(VALU_DEP_1)
	v_add_co_ci_u32_e64 v6, s1, s9, v6, s1
	s_and_saveexec_b32 s1, s0
	s_cbranch_execz .LBB1843_15
; %bb.14:
	v_ashrrev_i32_e32 v1, 31, v0
	v_mul_f64 v[21:22], s[18:19], v[17:18]
	v_mul_f64 v[17:18], s[20:21], v[17:18]
	s_delay_alu instid0(VALU_DEP_3) | instskip(NEXT) | instid1(VALU_DEP_1)
	v_lshlrev_b64 v[7:8], 4, v[0:1]
	v_add_co_u32 v19, s0, v5, v7
	s_delay_alu instid0(VALU_DEP_1)
	v_add_co_ci_u32_e64 v20, s0, v6, v8, s0
	v_cmp_ne_u32_e64 s0, v3, v0
	global_load_b128 v[7:10], v[19:20], off
	v_fma_f64 v[21:22], s[20:21], v[15:16], v[21:22]
	v_fma_f64 v[15:16], s[18:19], v[15:16], -v[17:18]
	s_waitcnt vmcnt(0)
	v_mul_f64 v[23:24], s[4:5], v[9:10]
	v_mul_f64 v[9:10], s[6:7], v[9:10]
	s_delay_alu instid0(VALU_DEP_2) | instskip(NEXT) | instid1(VALU_DEP_2)
	v_fma_f64 v[23:24], s[6:7], v[7:8], v[23:24]
	v_fma_f64 v[7:8], s[4:5], v[7:8], -v[9:10]
	s_delay_alu instid0(VALU_DEP_2) | instskip(NEXT) | instid1(VALU_DEP_2)
	v_add_f64 v[9:10], v[21:22], v[23:24]
	v_add_f64 v[7:8], v[15:16], v[7:8]
	s_delay_alu instid0(VALU_DEP_2) | instskip(NEXT) | instid1(VALU_DEP_3)
	v_cndmask_b32_e64 v10, 0, v10, s0
	v_cndmask_b32_e64 v9, 0, v9, s0
	global_store_b128 v[19:20], v[7:10], off
.LBB1843_15:
	s_or_b32 exec_lo, exec_lo, s1
	v_cmp_le_i32_e64 s0, v2, v3
	s_delay_alu instid0(VALU_DEP_1) | instskip(NEXT) | instid1(SALU_CYCLE_1)
	s_and_b32 s0, vcc_lo, s0
	s_and_saveexec_b32 s1, s0
	s_cbranch_execz .LBB1843_17
; %bb.16:
	v_ashrrev_i32_e32 v3, 31, v2
	s_delay_alu instid0(VALU_DEP_1) | instskip(NEXT) | instid1(VALU_DEP_1)
	v_lshlrev_b64 v[1:2], 4, v[2:3]
	v_add_co_u32 v9, vcc_lo, v5, v1
	s_delay_alu instid0(VALU_DEP_2)
	v_add_co_ci_u32_e32 v10, vcc_lo, v6, v2, vcc_lo
	v_mul_f64 v[1:2], s[18:19], v[13:14]
	v_mul_f64 v[13:14], s[20:21], v[13:14]
	v_cmp_ne_u32_e32 vcc_lo, v4, v0
	global_load_b128 v[5:8], v[9:10], off
	v_fma_f64 v[1:2], s[20:21], v[11:12], v[1:2]
	v_fma_f64 v[11:12], s[18:19], v[11:12], -v[13:14]
	s_waitcnt vmcnt(0)
	v_mul_f64 v[15:16], s[4:5], v[7:8]
	v_mul_f64 v[7:8], s[6:7], v[7:8]
	s_delay_alu instid0(VALU_DEP_2) | instskip(NEXT) | instid1(VALU_DEP_2)
	v_fma_f64 v[15:16], s[6:7], v[5:6], v[15:16]
	v_fma_f64 v[5:6], s[4:5], v[5:6], -v[7:8]
	s_delay_alu instid0(VALU_DEP_2) | instskip(NEXT) | instid1(VALU_DEP_2)
	v_add_f64 v[7:8], v[1:2], v[15:16]
	v_add_f64 v[1:2], v[11:12], v[5:6]
	s_delay_alu instid0(VALU_DEP_2)
	v_dual_cndmask_b32 v4, 0, v8 :: v_dual_cndmask_b32 v3, 0, v7
	global_store_b128 v[9:10], v[1:4], off
.LBB1843_17:
	s_nop 0
	s_sendmsg sendmsg(MSG_DEALLOC_VGPRS)
	s_endpgm
	.section	.rodata,"a",@progbits
	.p2align	6, 0x0
	.amdhsa_kernel _ZL34rocblas_syrkx_herkx_general_kernelIl19rocblas_complex_numIdELi16ELi32ELi8ELb0ELb1ELc67ELc85EKPKS1_KPS1_EviT_T0_PT8_S7_lSA_S7_lS8_PT9_S7_li
		.amdhsa_group_segment_fixed_size 8192
		.amdhsa_private_segment_fixed_size 0
		.amdhsa_kernarg_size 124
		.amdhsa_user_sgpr_count 13
		.amdhsa_user_sgpr_dispatch_ptr 0
		.amdhsa_user_sgpr_queue_ptr 0
		.amdhsa_user_sgpr_kernarg_segment_ptr 1
		.amdhsa_user_sgpr_dispatch_id 0
		.amdhsa_user_sgpr_private_segment_size 0
		.amdhsa_wavefront_size32 1
		.amdhsa_uses_dynamic_stack 0
		.amdhsa_enable_private_segment 0
		.amdhsa_system_sgpr_workgroup_id_x 1
		.amdhsa_system_sgpr_workgroup_id_y 1
		.amdhsa_system_sgpr_workgroup_id_z 1
		.amdhsa_system_sgpr_workgroup_info 0
		.amdhsa_system_vgpr_workitem_id 1
		.amdhsa_next_free_vgpr 121
		.amdhsa_next_free_sgpr 32
		.amdhsa_reserve_vcc 1
		.amdhsa_float_round_mode_32 0
		.amdhsa_float_round_mode_16_64 0
		.amdhsa_float_denorm_mode_32 3
		.amdhsa_float_denorm_mode_16_64 3
		.amdhsa_dx10_clamp 1
		.amdhsa_ieee_mode 1
		.amdhsa_fp16_overflow 0
		.amdhsa_workgroup_processor_mode 1
		.amdhsa_memory_ordered 1
		.amdhsa_forward_progress 0
		.amdhsa_shared_vgpr_count 0
		.amdhsa_exception_fp_ieee_invalid_op 0
		.amdhsa_exception_fp_denorm_src 0
		.amdhsa_exception_fp_ieee_div_zero 0
		.amdhsa_exception_fp_ieee_overflow 0
		.amdhsa_exception_fp_ieee_underflow 0
		.amdhsa_exception_fp_ieee_inexact 0
		.amdhsa_exception_int_div_zero 0
	.end_amdhsa_kernel
	.section	.text._ZL34rocblas_syrkx_herkx_general_kernelIl19rocblas_complex_numIdELi16ELi32ELi8ELb0ELb1ELc67ELc85EKPKS1_KPS1_EviT_T0_PT8_S7_lSA_S7_lS8_PT9_S7_li,"axG",@progbits,_ZL34rocblas_syrkx_herkx_general_kernelIl19rocblas_complex_numIdELi16ELi32ELi8ELb0ELb1ELc67ELc85EKPKS1_KPS1_EviT_T0_PT8_S7_lSA_S7_lS8_PT9_S7_li,comdat
.Lfunc_end1843:
	.size	_ZL34rocblas_syrkx_herkx_general_kernelIl19rocblas_complex_numIdELi16ELi32ELi8ELb0ELb1ELc67ELc85EKPKS1_KPS1_EviT_T0_PT8_S7_lSA_S7_lS8_PT9_S7_li, .Lfunc_end1843-_ZL34rocblas_syrkx_herkx_general_kernelIl19rocblas_complex_numIdELi16ELi32ELi8ELb0ELb1ELc67ELc85EKPKS1_KPS1_EviT_T0_PT8_S7_lSA_S7_lS8_PT9_S7_li
                                        ; -- End function
	.section	.AMDGPU.csdata,"",@progbits
; Kernel info:
; codeLenInByte = 3688
; NumSgprs: 34
; NumVgprs: 121
; ScratchSize: 0
; MemoryBound: 1
; FloatMode: 240
; IeeeMode: 1
; LDSByteSize: 8192 bytes/workgroup (compile time only)
; SGPRBlocks: 4
; VGPRBlocks: 15
; NumSGPRsForWavesPerEU: 34
; NumVGPRsForWavesPerEU: 121
; Occupancy: 10
; WaveLimiterHint : 1
; COMPUTE_PGM_RSRC2:SCRATCH_EN: 0
; COMPUTE_PGM_RSRC2:USER_SGPR: 13
; COMPUTE_PGM_RSRC2:TRAP_HANDLER: 0
; COMPUTE_PGM_RSRC2:TGID_X_EN: 1
; COMPUTE_PGM_RSRC2:TGID_Y_EN: 1
; COMPUTE_PGM_RSRC2:TGID_Z_EN: 1
; COMPUTE_PGM_RSRC2:TIDIG_COMP_CNT: 1
	.section	.text._ZL34rocblas_syrkx_herkx_general_kernelIl19rocblas_complex_numIdELi16ELi32ELi8ELb0ELb1ELc78ELc85EKPKS1_KPS1_EviT_T0_PT8_S7_lSA_S7_lS8_PT9_S7_li,"axG",@progbits,_ZL34rocblas_syrkx_herkx_general_kernelIl19rocblas_complex_numIdELi16ELi32ELi8ELb0ELb1ELc78ELc85EKPKS1_KPS1_EviT_T0_PT8_S7_lSA_S7_lS8_PT9_S7_li,comdat
	.globl	_ZL34rocblas_syrkx_herkx_general_kernelIl19rocblas_complex_numIdELi16ELi32ELi8ELb0ELb1ELc78ELc85EKPKS1_KPS1_EviT_T0_PT8_S7_lSA_S7_lS8_PT9_S7_li ; -- Begin function _ZL34rocblas_syrkx_herkx_general_kernelIl19rocblas_complex_numIdELi16ELi32ELi8ELb0ELb1ELc78ELc85EKPKS1_KPS1_EviT_T0_PT8_S7_lSA_S7_lS8_PT9_S7_li
	.p2align	8
	.type	_ZL34rocblas_syrkx_herkx_general_kernelIl19rocblas_complex_numIdELi16ELi32ELi8ELb0ELb1ELc78ELc85EKPKS1_KPS1_EviT_T0_PT8_S7_lSA_S7_lS8_PT9_S7_li,@function
_ZL34rocblas_syrkx_herkx_general_kernelIl19rocblas_complex_numIdELi16ELi32ELi8ELb0ELb1ELc78ELc85EKPKS1_KPS1_EviT_T0_PT8_S7_lSA_S7_lS8_PT9_S7_li: ; @_ZL34rocblas_syrkx_herkx_general_kernelIl19rocblas_complex_numIdELi16ELi32ELi8ELb0ELb1ELc78ELc85EKPKS1_KPS1_EviT_T0_PT8_S7_lSA_S7_lS8_PT9_S7_li
; %bb.0:
	s_clause 0x1
	s_load_b256 s[4:11], s[0:1], 0x50
	s_load_b256 s[16:23], s[0:1], 0x8
	s_mov_b32 s2, s15
	s_mov_b32 s3, 0
	s_load_b32 s28, s[0:1], 0x0
	s_lshl_b64 s[26:27], s[2:3], 3
	v_mov_b32_e32 v21, 0
	v_dual_mov_b32 v22, 0 :: v_dual_and_b32 v25, 0x3ff, v0
	v_bfe_u32 v26, v0, 10, 10
	s_delay_alu instid0(VALU_DEP_3) | instskip(NEXT) | instid1(VALU_DEP_3)
	v_mov_b32_e32 v17, v21
	v_dual_mov_b32 v19, v21 :: v_dual_mov_b32 v20, v22
	v_dual_mov_b32 v24, v22 :: v_dual_mov_b32 v23, v21
	;; [unrolled: 1-line block ×4, first 2 shown]
	v_mov_b32_e32 v16, v22
	s_waitcnt lgkmcnt(0)
	s_add_u32 s2, s8, s26
	s_addc_u32 s3, s9, s27
	s_load_b64 s[24:25], s[0:1], 0x28
	s_load_b64 s[8:9], s[2:3], 0x0
	v_cmp_lt_i64_e64 s2, s[16:17], 1
	v_dual_mov_b32 v11, v21 :: v_dual_mov_b32 v12, v22
	v_dual_mov_b32 v9, v21 :: v_dual_mov_b32 v10, v22
	s_lshl_b32 s29, s13, 5
	s_lshl_b32 s30, s14, 5
	s_delay_alu instid0(VALU_DEP_3)
	s_and_b32 vcc_lo, exec_lo, s2
	s_mov_b64 s[12:13], 0
	s_cbranch_vccnz .LBB1844_9
; %bb.1:
	s_load_b128 s[0:3], s[0:1], 0x38
	v_lshl_add_u32 v1, v26, 4, v25
	v_dual_mov_b32 v0, 0 :: v_dual_and_b32 v27, 7, v25
	v_dual_mov_b32 v9, 0 :: v_dual_lshlrev_b32 v28, 4, v25
	s_delay_alu instid0(VALU_DEP_3)
	v_lshrrev_b32_e32 v30, 5, v1
	v_dual_mov_b32 v10, 0 :: v_dual_and_b32 v7, 31, v1
	v_lshrrev_b32_e32 v2, 3, v1
	v_lshlrev_b32_e32 v8, 4, v27
	s_waitcnt lgkmcnt(0)
	v_mad_u64_u32 v[5:6], null, s24, v30, 0
	v_or_b32_e32 v11, s29, v7
	v_lshlrev_b32_e32 v12, 4, v7
	v_dual_mov_b32 v20, v10 :: v_dual_add_nc_u32 v7, s29, v7
	v_mov_b32_e32 v18, v10
	s_delay_alu instid0(VALU_DEP_4) | instskip(NEXT) | instid1(VALU_DEP_4)
	v_cmp_gt_i32_e32 vcc_lo, s28, v11
	v_lshl_or_b32 v31, v30, 9, v12
	v_mad_u64_u32 v[3:4], null, s2, v27, 0
	s_add_u32 s0, s0, s26
	s_addc_u32 s1, s1, s27
	s_add_u32 s14, s22, s26
	s_load_b64 s[34:35], s[0:1], 0x0
	s_addc_u32 s15, s23, s27
	v_mov_b32_e32 v24, v10
	s_delay_alu instid0(VALU_DEP_2)
	v_mad_u64_u32 v[11:12], null, s3, v27, v[4:5]
	v_mad_u64_u32 v[12:13], null, s25, v30, v[6:7]
	v_add_nc_u32_e32 v1, s30, v2
	s_load_b64 s[14:15], s[14:15], 0x0
	v_mov_b32_e32 v22, v10
	v_lshl_add_u32 v29, v26, 7, 0x1000
	v_mov_b32_e32 v4, v11
	v_cmp_gt_i32_e64 s0, s28, v1
	v_mov_b32_e32 v6, v12
	v_dual_mov_b32 v12, v10 :: v_dual_mov_b32 v19, v9
	v_mov_b32_e32 v11, v9
	v_lshl_or_b32 v15, v2, 7, v8
	v_ashrrev_i32_e32 v2, 31, v1
	v_ashrrev_i32_e32 v8, 31, v7
	v_mov_b32_e32 v17, v9
	s_delay_alu instid0(VALU_DEP_4) | instskip(NEXT) | instid1(VALU_DEP_4)
	v_dual_mov_b32 v21, v9 :: v_dual_add_nc_u32 v32, 0x1000, v15
	v_lshlrev_b64 v[13:14], 4, v[1:2]
	v_lshlrev_b64 v[2:3], 4, v[3:4]
	;; [unrolled: 1-line block ×4, first 2 shown]
	v_dual_mov_b32 v16, v10 :: v_dual_mov_b32 v15, v9
	v_mov_b32_e32 v23, v9
	v_add_co_u32 v1, s1, v2, v13
	s_delay_alu instid0(VALU_DEP_1) | instskip(SKIP_1) | instid1(VALU_DEP_1)
	v_add_co_ci_u32_e64 v2, s1, v3, v14, s1
	v_add_co_u32 v3, s1, v4, v7
	v_add_co_ci_u32_e64 v4, s1, v5, v8, s1
	s_waitcnt lgkmcnt(0)
	v_add_co_u32 v1, s1, v1, s34
	s_delay_alu instid0(VALU_DEP_1) | instskip(SKIP_1) | instid1(VALU_DEP_1)
	v_add_co_ci_u32_e64 v2, s1, s35, v2, s1
	v_add_co_u32 v5, s1, s14, v3
	v_add_co_ci_u32_e64 v6, s1, s15, v4, s1
	s_delay_alu instid0(VALU_DEP_4)
	v_add_co_u32 v7, s1, v1, 8
	v_mov_b32_e32 v14, v10
	v_add_co_ci_u32_e64 v8, s1, 0, v2, s1
	v_mov_b32_e32 v13, v9
	s_lshl_b64 s[14:15], s[24:25], 7
	s_lshl_b64 s[2:3], s[2:3], 7
	s_xor_b32 s1, vcc_lo, -1
	s_branch .LBB1844_3
.LBB1844_2:                             ;   in Loop: Header=BB1844_3 Depth=1
	s_or_b32 exec_lo, exec_lo, s22
	ds_store_b128 v32, v[1:4]
	s_waitcnt lgkmcnt(0)
	s_barrier
	buffer_gl0_inv
	ds_load_b128 v[1:4], v29
	ds_load_b128 v[33:36], v28
	ds_load_b128 v[37:40], v28 offset:256
	ds_load_b128 v[41:44], v29 offset:2048
	;; [unrolled: 1-line block ×9, first 2 shown]
	s_add_u32 s12, s12, 8
	s_addc_u32 s13, s13, 0
	v_add_co_u32 v5, vcc_lo, v5, s14
	v_cmp_ge_i64_e64 s22, s[12:13], s[16:17]
	v_add_co_ci_u32_e32 v6, vcc_lo, s15, v6, vcc_lo
	v_add_co_u32 v7, vcc_lo, v7, s2
	v_add_co_ci_u32_e32 v8, vcc_lo, s3, v8, vcc_lo
	s_delay_alu instid0(VALU_DEP_4)
	s_and_b32 vcc_lo, exec_lo, s22
	s_waitcnt lgkmcnt(9)
	v_mul_f64 v[73:74], v[3:4], v[35:36]
	v_mul_f64 v[75:76], v[1:2], v[35:36]
	s_waitcnt lgkmcnt(8)
	v_mul_f64 v[77:78], v[3:4], v[39:40]
	v_mul_f64 v[79:80], v[1:2], v[39:40]
	;; [unrolled: 3-line block ×3, first 2 shown]
	v_mul_f64 v[83:84], v[43:44], v[39:40]
	v_mul_f64 v[39:40], v[41:42], v[39:40]
	s_waitcnt lgkmcnt(4)
	v_mul_f64 v[85:86], v[47:48], v[55:56]
	v_mul_f64 v[87:88], v[45:46], v[55:56]
	s_waitcnt lgkmcnt(3)
	v_mul_f64 v[89:90], v[47:48], v[59:60]
	v_mul_f64 v[91:92], v[45:46], v[59:60]
	v_mul_f64 v[93:94], v[51:52], v[55:56]
	v_mul_f64 v[55:56], v[49:50], v[55:56]
	v_mul_f64 v[95:96], v[51:52], v[59:60]
	v_mul_f64 v[59:60], v[49:50], v[59:60]
	v_fma_f64 v[97:98], v[1:2], v[33:34], -v[73:74]
	v_fma_f64 v[99:100], v[3:4], v[33:34], v[75:76]
	ds_load_b128 v[73:76], v29 offset:32
	v_fma_f64 v[77:78], v[1:2], v[37:38], -v[77:78]
	v_fma_f64 v[79:80], v[3:4], v[37:38], v[79:80]
	v_fma_f64 v[81:82], v[41:42], v[33:34], -v[81:82]
	v_fma_f64 v[101:102], v[43:44], v[33:34], v[35:36]
	;; [unrolled: 2-line block ×3, first 2 shown]
	s_waitcnt lgkmcnt(1)
	v_mul_f64 v[113:114], v[71:72], v[63:64]
	v_fma_f64 v[85:86], v[45:46], v[53:54], -v[85:86]
	v_fma_f64 v[87:88], v[47:48], v[53:54], v[87:88]
	v_fma_f64 v[45:46], v[45:46], v[57:58], -v[89:90]
	v_fma_f64 v[47:48], v[47:48], v[57:58], v[91:92]
	v_mul_f64 v[89:90], v[71:72], v[67:68]
	v_fma_f64 v[91:92], v[49:50], v[53:54], -v[93:94]
	v_fma_f64 v[53:54], v[51:52], v[53:54], v[55:56]
	v_fma_f64 v[49:50], v[49:50], v[57:58], -v[95:96]
	v_fma_f64 v[51:52], v[51:52], v[57:58], v[59:60]
	ds_load_b128 v[1:4], v29 offset:48
	ds_load_b128 v[33:36], v29 offset:2096
	;; [unrolled: 1-line block ×4, first 2 shown]
	s_waitcnt lgkmcnt(4)
	v_mul_f64 v[105:106], v[75:76], v[63:64]
	v_mul_f64 v[107:108], v[73:74], v[63:64]
	;; [unrolled: 1-line block ×6, first 2 shown]
	s_waitcnt lgkmcnt(1)
	v_mul_f64 v[93:94], v[1:2], v[39:40]
	v_add_f64 v[21:22], v[21:22], v[97:98]
	v_add_f64 v[23:24], v[23:24], v[99:100]
	;; [unrolled: 1-line block ×8, first 2 shown]
	v_mul_f64 v[83:84], v[3:4], v[39:40]
	s_waitcnt lgkmcnt(0)
	v_mul_f64 v[95:96], v[3:4], v[43:44]
	v_mul_f64 v[97:98], v[1:2], v[43:44]
	;; [unrolled: 1-line block ×6, first 2 shown]
	ds_load_b128 v[9:12], v28 offset:2048
	ds_load_b128 v[13:16], v28 offset:2304
	;; [unrolled: 1-line block ×3, first 2 shown]
	v_fma_f64 v[105:106], v[73:74], v[61:62], -v[105:106]
	v_fma_f64 v[107:108], v[75:76], v[61:62], v[107:108]
	v_fma_f64 v[73:74], v[73:74], v[65:66], -v[109:110]
	v_fma_f64 v[75:76], v[75:76], v[65:66], v[111:112]
	;; [unrolled: 2-line block ×4, first 2 shown]
	s_waitcnt lgkmcnt(0)
	v_mul_f64 v[113:114], v[19:20], v[11:12]
	v_mul_f64 v[115:116], v[19:20], v[15:16]
	v_fma_f64 v[93:94], v[3:4], v[37:38], v[93:94]
	v_add_f64 v[67:68], v[21:22], v[85:86]
	v_add_f64 v[69:70], v[23:24], v[87:88]
	v_add_f64 v[71:72], v[55:56], v[45:46]
	v_add_f64 v[85:86], v[57:58], v[47:48]
	v_add_f64 v[59:60], v[59:60], v[91:92]
	v_add_f64 v[77:78], v[77:78], v[53:54]
	v_add_f64 v[79:80], v[79:80], v[49:50]
	v_add_f64 v[81:82], v[81:82], v[51:52]
	ds_load_b128 v[21:24], v29 offset:64
	v_fma_f64 v[83:84], v[1:2], v[37:38], -v[83:84]
	v_fma_f64 v[95:96], v[1:2], v[41:42], -v[95:96]
	v_fma_f64 v[97:98], v[3:4], v[41:42], v[97:98]
	v_fma_f64 v[99:100], v[33:34], v[37:38], -v[99:100]
	v_fma_f64 v[117:118], v[35:36], v[37:38], v[39:40]
	;; [unrolled: 2-line block ×3, first 2 shown]
	ds_load_b128 v[43:46], v29 offset:80
	ds_load_b128 v[47:50], v29 offset:2128
	;; [unrolled: 1-line block ×7, first 2 shown]
	s_waitcnt lgkmcnt(7)
	v_mul_f64 v[87:88], v[23:24], v[11:12]
	v_mul_f64 v[89:90], v[21:22], v[11:12]
	;; [unrolled: 1-line block ×6, first 2 shown]
	s_waitcnt lgkmcnt(3)
	v_mul_f64 v[103:104], v[49:50], v[57:58]
	v_add_f64 v[67:68], v[67:68], v[105:106]
	v_add_f64 v[69:70], v[69:70], v[107:108]
	;; [unrolled: 1-line block ×8, first 2 shown]
	v_mul_f64 v[75:76], v[45:46], v[53:54]
	v_mul_f64 v[77:78], v[43:44], v[53:54]
	;; [unrolled: 1-line block ×7, first 2 shown]
	v_fma_f64 v[109:110], v[17:18], v[9:10], -v[113:114]
	v_fma_f64 v[113:114], v[17:18], v[13:14], -v[115:116]
	;; [unrolled: 1-line block ×3, first 2 shown]
	v_fma_f64 v[89:90], v[23:24], v[9:10], v[89:90]
	v_fma_f64 v[91:92], v[21:22], v[13:14], -v[91:92]
	v_fma_f64 v[107:108], v[23:24], v[13:14], v[111:112]
	v_fma_f64 v[111:112], v[19:20], v[9:10], v[11:12]
	;; [unrolled: 1-line block ×3, first 2 shown]
	ds_load_b128 v[9:12], v29 offset:96
	v_add_f64 v[67:68], v[67:68], v[83:84]
	v_add_f64 v[69:70], v[69:70], v[93:94]
	;; [unrolled: 1-line block ×8, first 2 shown]
	s_waitcnt lgkmcnt(1)
	v_mul_f64 v[99:100], v[39:40], v[3:4]
	v_fma_f64 v[75:76], v[43:44], v[51:52], -v[75:76]
	v_fma_f64 v[77:78], v[45:46], v[51:52], v[77:78]
	v_fma_f64 v[43:44], v[43:44], v[55:56], -v[79:80]
	v_fma_f64 v[45:46], v[45:46], v[55:56], v[81:82]
	v_mul_f64 v[79:80], v[39:40], v[35:36]
	v_fma_f64 v[81:82], v[47:48], v[51:52], -v[85:86]
	v_fma_f64 v[51:52], v[49:50], v[51:52], v[53:54]
	s_waitcnt lgkmcnt(0)
	v_mul_f64 v[65:66], v[11:12], v[3:4]
	v_mul_f64 v[93:94], v[9:10], v[3:4]
	;; [unrolled: 1-line block ×6, first 2 shown]
	v_fma_f64 v[47:48], v[47:48], v[55:56], -v[103:104]
	v_fma_f64 v[49:50], v[49:50], v[55:56], v[105:106]
	ds_load_b128 v[13:16], v29 offset:112
	ds_load_b128 v[17:20], v29 offset:2160
	;; [unrolled: 1-line block ×4, first 2 shown]
	s_waitcnt lgkmcnt(0)
	s_barrier
	buffer_gl0_inv
	v_add_f64 v[53:54], v[67:68], v[87:88]
	v_add_f64 v[55:56], v[69:70], v[89:90]
	;; [unrolled: 1-line block ×8, first 2 shown]
	v_mul_f64 v[73:74], v[15:16], v[23:24]
	v_mul_f64 v[83:84], v[13:14], v[23:24]
	;; [unrolled: 1-line block ×8, first 2 shown]
	v_fma_f64 v[65:66], v[9:10], v[1:2], -v[65:66]
	v_fma_f64 v[93:94], v[11:12], v[1:2], v[93:94]
	v_fma_f64 v[9:10], v[9:10], v[33:34], -v[95:96]
	v_fma_f64 v[11:12], v[11:12], v[33:34], v[97:98]
	;; [unrolled: 2-line block ×4, first 2 shown]
	v_add_f64 v[35:36], v[53:54], v[75:76]
	v_add_f64 v[37:38], v[55:56], v[77:78]
	;; [unrolled: 1-line block ×8, first 2 shown]
	v_fma_f64 v[49:50], v[13:14], v[21:22], -v[73:74]
	v_fma_f64 v[53:54], v[15:16], v[21:22], v[83:84]
	v_fma_f64 v[13:14], v[13:14], v[57:58], -v[85:86]
	v_fma_f64 v[15:16], v[15:16], v[57:58], v[87:88]
	;; [unrolled: 2-line block ×4, first 2 shown]
	v_add_f64 v[17:18], v[35:36], v[65:66]
	v_add_f64 v[19:20], v[37:38], v[93:94]
	;; [unrolled: 1-line block ×16, first 2 shown]
	s_cbranch_vccnz .LBB1844_9
.LBB1844_3:                             ; =>This Inner Loop Header: Depth=1
	v_add_co_u32 v1, s22, v30, s12
	s_delay_alu instid0(VALU_DEP_1) | instskip(NEXT) | instid1(VALU_DEP_1)
	v_add_co_ci_u32_e64 v2, null, 0, s13, s22
	v_cmp_le_i64_e32 vcc_lo, s[16:17], v[1:2]
	s_or_b32 s22, s1, vcc_lo
	s_delay_alu instid0(SALU_CYCLE_1) | instskip(NEXT) | instid1(SALU_CYCLE_1)
	s_and_saveexec_b32 s23, s22
	s_xor_b32 s22, exec_lo, s23
	s_cbranch_execz .LBB1844_5
; %bb.4:                                ;   in Loop: Header=BB1844_3 Depth=1
	v_mov_b32_e32 v1, v0
	v_mov_b32_e32 v2, v0
	;; [unrolled: 1-line block ×3, first 2 shown]
	ds_store_b128 v31, v[0:3]
.LBB1844_5:                             ;   in Loop: Header=BB1844_3 Depth=1
	s_and_not1_saveexec_b32 s22, s22
	s_cbranch_execz .LBB1844_7
; %bb.6:                                ;   in Loop: Header=BB1844_3 Depth=1
	global_load_b128 v[1:4], v[5:6], off
	s_waitcnt vmcnt(0)
	ds_store_2addr_b64 v31, v[1:2], v[3:4] offset1:1
.LBB1844_7:                             ;   in Loop: Header=BB1844_3 Depth=1
	s_or_b32 exec_lo, exec_lo, s22
	v_add_co_u32 v3, s22, v27, s12
	s_delay_alu instid0(VALU_DEP_1) | instskip(SKIP_2) | instid1(VALU_DEP_3)
	v_add_co_ci_u32_e64 v4, null, 0, s13, s22
	v_mov_b32_e32 v1, 0
	v_mov_b32_e32 v2, 0
	v_cmp_gt_i64_e32 vcc_lo, s[16:17], v[3:4]
	s_delay_alu instid0(VALU_DEP_2) | instskip(SKIP_1) | instid1(SALU_CYCLE_1)
	v_dual_mov_b32 v4, v2 :: v_dual_mov_b32 v3, v1
	s_and_b32 s23, vcc_lo, s0
	s_and_saveexec_b32 s22, s23
	s_cbranch_execz .LBB1844_2
; %bb.8:                                ;   in Loop: Header=BB1844_3 Depth=1
	global_load_b128 v[1:4], v[7:8], off offset:-8
	s_waitcnt vmcnt(0)
	v_xor_b32_e32 v4, 0x80000000, v4
	s_branch .LBB1844_2
.LBB1844_9:
	v_add_nc_u32_e32 v4, s30, v26
	s_delay_alu instid0(VALU_DEP_1) | instskip(SKIP_3) | instid1(VALU_DEP_4)
	v_ashrrev_i32_e32 v0, 31, v4
	v_mul_lo_u32 v3, v4, s11
	v_mad_u64_u32 v[1:2], null, v4, s10, 0
	v_cmp_gt_i32_e32 vcc_lo, s28, v4
	v_mul_lo_u32 v0, v0, s10
	s_delay_alu instid0(VALU_DEP_1) | instskip(SKIP_1) | instid1(VALU_DEP_2)
	v_add3_u32 v2, v2, v3, v0
	v_add_nc_u32_e32 v0, s29, v25
	v_lshlrev_b64 v[1:2], 4, v[1:2]
	s_delay_alu instid0(VALU_DEP_2) | instskip(NEXT) | instid1(VALU_DEP_1)
	v_cmp_le_i32_e64 s0, v0, v4
	s_and_b32 s0, vcc_lo, s0
	s_waitcnt lgkmcnt(0)
	s_delay_alu instid0(VALU_DEP_2) | instskip(NEXT) | instid1(VALU_DEP_1)
	v_add_co_u32 v5, s1, s8, v1
	v_add_co_ci_u32_e64 v6, s1, s9, v2, s1
	s_and_saveexec_b32 s1, s0
	s_cbranch_execz .LBB1844_11
; %bb.10:
	v_ashrrev_i32_e32 v1, 31, v0
	v_mul_f64 v[7:8], s[18:19], v[23:24]
	v_mul_f64 v[23:24], s[20:21], v[23:24]
	s_delay_alu instid0(VALU_DEP_3) | instskip(NEXT) | instid1(VALU_DEP_1)
	v_lshlrev_b64 v[1:2], 4, v[0:1]
	v_add_co_u32 v1, s0, v5, v1
	s_delay_alu instid0(VALU_DEP_1)
	v_add_co_ci_u32_e64 v2, s0, v6, v2, s0
	v_cmp_ne_u32_e64 s0, v4, v0
	global_load_b128 v[25:28], v[1:2], off
	v_fma_f64 v[7:8], s[20:21], v[21:22], v[7:8]
	v_fma_f64 v[21:22], s[18:19], v[21:22], -v[23:24]
	s_waitcnt vmcnt(0)
	v_mul_f64 v[29:30], s[4:5], v[27:28]
	v_mul_f64 v[27:28], s[6:7], v[27:28]
	s_delay_alu instid0(VALU_DEP_2) | instskip(NEXT) | instid1(VALU_DEP_2)
	v_fma_f64 v[29:30], s[6:7], v[25:26], v[29:30]
	v_fma_f64 v[23:24], s[4:5], v[25:26], -v[27:28]
	s_delay_alu instid0(VALU_DEP_2) | instskip(NEXT) | instid1(VALU_DEP_2)
	v_add_f64 v[7:8], v[7:8], v[29:30]
	v_add_f64 v[21:22], v[21:22], v[23:24]
	s_delay_alu instid0(VALU_DEP_2) | instskip(NEXT) | instid1(VALU_DEP_3)
	v_cndmask_b32_e64 v24, 0, v8, s0
	v_cndmask_b32_e64 v23, 0, v7, s0
	global_store_b128 v[1:2], v[21:24], off
.LBB1844_11:
	s_or_b32 exec_lo, exec_lo, s1
	v_add_nc_u32_e32 v2, 16, v0
	s_delay_alu instid0(VALU_DEP_1) | instskip(NEXT) | instid1(VALU_DEP_1)
	v_cmp_le_i32_e64 s0, v2, v4
	s_and_b32 s1, vcc_lo, s0
	s_delay_alu instid0(SALU_CYCLE_1)
	s_and_saveexec_b32 s0, s1
	s_cbranch_execz .LBB1844_13
; %bb.12:
	v_ashrrev_i32_e32 v3, 31, v2
	v_mul_f64 v[23:24], s[18:19], v[19:20]
	v_mul_f64 v[19:20], s[20:21], v[19:20]
	s_delay_alu instid0(VALU_DEP_3) | instskip(NEXT) | instid1(VALU_DEP_1)
	v_lshlrev_b64 v[7:8], 4, v[2:3]
	v_add_co_u32 v21, vcc_lo, v5, v7
	s_delay_alu instid0(VALU_DEP_2)
	v_add_co_ci_u32_e32 v22, vcc_lo, v6, v8, vcc_lo
	v_cmp_ne_u32_e32 vcc_lo, v4, v2
	global_load_b128 v[5:8], v[21:22], off
	v_fma_f64 v[23:24], s[20:21], v[17:18], v[23:24]
	v_fma_f64 v[17:18], s[18:19], v[17:18], -v[19:20]
	s_waitcnt vmcnt(0)
	v_mul_f64 v[25:26], s[4:5], v[7:8]
	v_mul_f64 v[7:8], s[6:7], v[7:8]
	s_delay_alu instid0(VALU_DEP_2) | instskip(NEXT) | instid1(VALU_DEP_2)
	v_fma_f64 v[25:26], s[6:7], v[5:6], v[25:26]
	v_fma_f64 v[5:6], s[4:5], v[5:6], -v[7:8]
	s_delay_alu instid0(VALU_DEP_2) | instskip(NEXT) | instid1(VALU_DEP_2)
	v_add_f64 v[7:8], v[23:24], v[25:26]
	v_add_f64 v[5:6], v[17:18], v[5:6]
	s_delay_alu instid0(VALU_DEP_2)
	v_dual_cndmask_b32 v8, 0, v8 :: v_dual_cndmask_b32 v7, 0, v7
	global_store_b128 v[21:22], v[5:8], off
.LBB1844_13:
	s_or_b32 exec_lo, exec_lo, s0
	v_add_nc_u32_e32 v3, 16, v4
	s_delay_alu instid0(VALU_DEP_1) | instskip(SKIP_3) | instid1(VALU_DEP_4)
	v_ashrrev_i32_e32 v1, 31, v3
	v_mul_lo_u32 v7, v3, s11
	v_mad_u64_u32 v[5:6], null, v3, s10, 0
	v_cmp_gt_i32_e32 vcc_lo, s28, v3
	v_mul_lo_u32 v1, v1, s10
	v_cmp_le_i32_e64 s0, v0, v3
	s_delay_alu instid0(VALU_DEP_1) | instskip(NEXT) | instid1(VALU_DEP_2)
	s_and_b32 s0, vcc_lo, s0
	v_add3_u32 v6, v6, v7, v1
	s_delay_alu instid0(VALU_DEP_1) | instskip(NEXT) | instid1(VALU_DEP_1)
	v_lshlrev_b64 v[5:6], 4, v[5:6]
	v_add_co_u32 v5, s1, s8, v5
	s_delay_alu instid0(VALU_DEP_1)
	v_add_co_ci_u32_e64 v6, s1, s9, v6, s1
	s_and_saveexec_b32 s1, s0
	s_cbranch_execz .LBB1844_15
; %bb.14:
	v_ashrrev_i32_e32 v1, 31, v0
	v_mul_f64 v[21:22], s[18:19], v[15:16]
	v_mul_f64 v[15:16], s[20:21], v[15:16]
	s_delay_alu instid0(VALU_DEP_3) | instskip(NEXT) | instid1(VALU_DEP_1)
	v_lshlrev_b64 v[7:8], 4, v[0:1]
	v_add_co_u32 v7, s0, v5, v7
	s_delay_alu instid0(VALU_DEP_1)
	v_add_co_ci_u32_e64 v8, s0, v6, v8, s0
	v_cmp_ne_u32_e64 s0, v3, v0
	global_load_b128 v[17:20], v[7:8], off
	v_fma_f64 v[21:22], s[20:21], v[13:14], v[21:22]
	v_fma_f64 v[13:14], s[18:19], v[13:14], -v[15:16]
	s_waitcnt vmcnt(0)
	v_mul_f64 v[23:24], s[4:5], v[19:20]
	v_mul_f64 v[19:20], s[6:7], v[19:20]
	s_delay_alu instid0(VALU_DEP_2) | instskip(NEXT) | instid1(VALU_DEP_2)
	v_fma_f64 v[23:24], s[6:7], v[17:18], v[23:24]
	v_fma_f64 v[15:16], s[4:5], v[17:18], -v[19:20]
	s_delay_alu instid0(VALU_DEP_2) | instskip(NEXT) | instid1(VALU_DEP_2)
	v_add_f64 v[17:18], v[21:22], v[23:24]
	v_add_f64 v[13:14], v[13:14], v[15:16]
	s_delay_alu instid0(VALU_DEP_2) | instskip(NEXT) | instid1(VALU_DEP_3)
	v_cndmask_b32_e64 v16, 0, v18, s0
	v_cndmask_b32_e64 v15, 0, v17, s0
	global_store_b128 v[7:8], v[13:16], off
.LBB1844_15:
	s_or_b32 exec_lo, exec_lo, s1
	v_cmp_le_i32_e64 s0, v2, v3
	s_delay_alu instid0(VALU_DEP_1) | instskip(NEXT) | instid1(SALU_CYCLE_1)
	s_and_b32 s0, vcc_lo, s0
	s_and_saveexec_b32 s1, s0
	s_cbranch_execz .LBB1844_17
; %bb.16:
	v_ashrrev_i32_e32 v3, 31, v2
	s_delay_alu instid0(VALU_DEP_1) | instskip(NEXT) | instid1(VALU_DEP_1)
	v_lshlrev_b64 v[1:2], 4, v[2:3]
	v_add_co_u32 v13, vcc_lo, v5, v1
	s_delay_alu instid0(VALU_DEP_2)
	v_add_co_ci_u32_e32 v14, vcc_lo, v6, v2, vcc_lo
	v_mul_f64 v[1:2], s[18:19], v[9:10]
	v_mul_f64 v[9:10], s[20:21], v[9:10]
	v_cmp_ne_u32_e32 vcc_lo, v4, v0
	global_load_b128 v[5:8], v[13:14], off
	v_fma_f64 v[1:2], s[20:21], v[11:12], v[1:2]
	v_fma_f64 v[9:10], s[18:19], v[11:12], -v[9:10]
	s_waitcnt vmcnt(0)
	v_mul_f64 v[15:16], s[4:5], v[7:8]
	v_mul_f64 v[7:8], s[6:7], v[7:8]
	s_delay_alu instid0(VALU_DEP_2) | instskip(NEXT) | instid1(VALU_DEP_2)
	v_fma_f64 v[15:16], s[6:7], v[5:6], v[15:16]
	v_fma_f64 v[5:6], s[4:5], v[5:6], -v[7:8]
	s_delay_alu instid0(VALU_DEP_2) | instskip(NEXT) | instid1(VALU_DEP_2)
	v_add_f64 v[7:8], v[1:2], v[15:16]
	v_add_f64 v[1:2], v[9:10], v[5:6]
	s_delay_alu instid0(VALU_DEP_2)
	v_dual_cndmask_b32 v4, 0, v8 :: v_dual_cndmask_b32 v3, 0, v7
	global_store_b128 v[13:14], v[1:4], off
.LBB1844_17:
	s_nop 0
	s_sendmsg sendmsg(MSG_DEALLOC_VGPRS)
	s_endpgm
	.section	.rodata,"a",@progbits
	.p2align	6, 0x0
	.amdhsa_kernel _ZL34rocblas_syrkx_herkx_general_kernelIl19rocblas_complex_numIdELi16ELi32ELi8ELb0ELb1ELc78ELc85EKPKS1_KPS1_EviT_T0_PT8_S7_lSA_S7_lS8_PT9_S7_li
		.amdhsa_group_segment_fixed_size 8192
		.amdhsa_private_segment_fixed_size 0
		.amdhsa_kernarg_size 124
		.amdhsa_user_sgpr_count 13
		.amdhsa_user_sgpr_dispatch_ptr 0
		.amdhsa_user_sgpr_queue_ptr 0
		.amdhsa_user_sgpr_kernarg_segment_ptr 1
		.amdhsa_user_sgpr_dispatch_id 0
		.amdhsa_user_sgpr_private_segment_size 0
		.amdhsa_wavefront_size32 1
		.amdhsa_uses_dynamic_stack 0
		.amdhsa_enable_private_segment 0
		.amdhsa_system_sgpr_workgroup_id_x 1
		.amdhsa_system_sgpr_workgroup_id_y 1
		.amdhsa_system_sgpr_workgroup_id_z 1
		.amdhsa_system_sgpr_workgroup_info 0
		.amdhsa_system_vgpr_workitem_id 1
		.amdhsa_next_free_vgpr 119
		.amdhsa_next_free_sgpr 36
		.amdhsa_reserve_vcc 1
		.amdhsa_float_round_mode_32 0
		.amdhsa_float_round_mode_16_64 0
		.amdhsa_float_denorm_mode_32 3
		.amdhsa_float_denorm_mode_16_64 3
		.amdhsa_dx10_clamp 1
		.amdhsa_ieee_mode 1
		.amdhsa_fp16_overflow 0
		.amdhsa_workgroup_processor_mode 1
		.amdhsa_memory_ordered 1
		.amdhsa_forward_progress 0
		.amdhsa_shared_vgpr_count 0
		.amdhsa_exception_fp_ieee_invalid_op 0
		.amdhsa_exception_fp_denorm_src 0
		.amdhsa_exception_fp_ieee_div_zero 0
		.amdhsa_exception_fp_ieee_overflow 0
		.amdhsa_exception_fp_ieee_underflow 0
		.amdhsa_exception_fp_ieee_inexact 0
		.amdhsa_exception_int_div_zero 0
	.end_amdhsa_kernel
	.section	.text._ZL34rocblas_syrkx_herkx_general_kernelIl19rocblas_complex_numIdELi16ELi32ELi8ELb0ELb1ELc78ELc85EKPKS1_KPS1_EviT_T0_PT8_S7_lSA_S7_lS8_PT9_S7_li,"axG",@progbits,_ZL34rocblas_syrkx_herkx_general_kernelIl19rocblas_complex_numIdELi16ELi32ELi8ELb0ELb1ELc78ELc85EKPKS1_KPS1_EviT_T0_PT8_S7_lSA_S7_lS8_PT9_S7_li,comdat
.Lfunc_end1844:
	.size	_ZL34rocblas_syrkx_herkx_general_kernelIl19rocblas_complex_numIdELi16ELi32ELi8ELb0ELb1ELc78ELc85EKPKS1_KPS1_EviT_T0_PT8_S7_lSA_S7_lS8_PT9_S7_li, .Lfunc_end1844-_ZL34rocblas_syrkx_herkx_general_kernelIl19rocblas_complex_numIdELi16ELi32ELi8ELb0ELb1ELc78ELc85EKPKS1_KPS1_EviT_T0_PT8_S7_lSA_S7_lS8_PT9_S7_li
                                        ; -- End function
	.section	.AMDGPU.csdata,"",@progbits
; Kernel info:
; codeLenInByte = 3672
; NumSgprs: 38
; NumVgprs: 119
; ScratchSize: 0
; MemoryBound: 1
; FloatMode: 240
; IeeeMode: 1
; LDSByteSize: 8192 bytes/workgroup (compile time only)
; SGPRBlocks: 4
; VGPRBlocks: 14
; NumSGPRsForWavesPerEU: 38
; NumVGPRsForWavesPerEU: 119
; Occupancy: 12
; WaveLimiterHint : 1
; COMPUTE_PGM_RSRC2:SCRATCH_EN: 0
; COMPUTE_PGM_RSRC2:USER_SGPR: 13
; COMPUTE_PGM_RSRC2:TRAP_HANDLER: 0
; COMPUTE_PGM_RSRC2:TGID_X_EN: 1
; COMPUTE_PGM_RSRC2:TGID_Y_EN: 1
; COMPUTE_PGM_RSRC2:TGID_Z_EN: 1
; COMPUTE_PGM_RSRC2:TIDIG_COMP_CNT: 1
	.section	.text._ZL26rocblas_syr2k_scale_kernelIlLi128ELi8ELb1E19rocblas_complex_numIdES1_PKPS1_EvbiT_T3_T4_T5_S5_li,"axG",@progbits,_ZL26rocblas_syr2k_scale_kernelIlLi128ELi8ELb1E19rocblas_complex_numIdES1_PKPS1_EvbiT_T3_T4_T5_S5_li,comdat
	.globl	_ZL26rocblas_syr2k_scale_kernelIlLi128ELi8ELb1E19rocblas_complex_numIdES1_PKPS1_EvbiT_T3_T4_T5_S5_li ; -- Begin function _ZL26rocblas_syr2k_scale_kernelIlLi128ELi8ELb1E19rocblas_complex_numIdES1_PKPS1_EvbiT_T3_T4_T5_S5_li
	.p2align	8
	.type	_ZL26rocblas_syr2k_scale_kernelIlLi128ELi8ELb1E19rocblas_complex_numIdES1_PKPS1_EvbiT_T3_T4_T5_S5_li,@function
_ZL26rocblas_syr2k_scale_kernelIlLi128ELi8ELb1E19rocblas_complex_numIdES1_PKPS1_EvbiT_T3_T4_T5_S5_li: ; @_ZL26rocblas_syr2k_scale_kernelIlLi128ELi8ELb1E19rocblas_complex_numIdES1_PKPS1_EvbiT_T3_T4_T5_S5_li
; %bb.0:
	s_load_b512 s[16:31], s[0:1], 0x8
	s_mov_b32 s2, s15
	s_waitcnt lgkmcnt(0)
	v_cmp_eq_f64_e64 s3, s[22:23], 1.0
	v_cmp_eq_f64_e64 s4, s[24:25], 0
	s_delay_alu instid0(VALU_DEP_1) | instskip(NEXT) | instid1(SALU_CYCLE_1)
	s_and_b32 s3, s3, s4
	s_and_not1_b32 vcc_lo, exec_lo, s3
	s_mov_b32 s3, -1
	s_cbranch_vccnz .LBB1845_3
; %bb.1:
	s_cmp_lg_u64 s[16:17], 0
	s_cbranch_scc0 .LBB1845_8
; %bb.2:
	v_cmp_neq_f64_e64 s3, s[18:19], 0
	v_cmp_neq_f64_e64 s4, s[20:21], 0
	s_delay_alu instid0(VALU_DEP_1)
	s_or_b32 s3, s3, s4
.LBB1845_3:
	s_delay_alu instid0(SALU_CYCLE_1)
	s_and_b32 vcc_lo, exec_lo, s3
	s_cbranch_vccz .LBB1845_9
; %bb.4:
	s_clause 0x1
	s_load_b64 s[4:5], s[0:1], 0x0
	s_load_b32 s0, s[0:1], 0x5c
	s_waitcnt lgkmcnt(0)
	s_bitcmp1_b32 s4, 0
	s_cselect_b32 vcc_lo, -1, 0
	v_and_b32_e32 v1, 0x3ff, v0
	v_bfe_u32 v0, v0, 10, 10
	s_lshr_b32 s1, s0, 16
	s_and_b32 s0, s0, 0xffff
	s_delay_alu instid0(VALU_DEP_2) | instid1(SALU_CYCLE_1)
	v_mad_u64_u32 v[2:3], null, s13, s0, v[1:2]
	s_delay_alu instid0(VALU_DEP_2) | instskip(NEXT) | instid1(VALU_DEP_1)
	v_mad_u64_u32 v[4:5], null, s14, s1, v[0:1]
	v_cndmask_b32_e32 v0, v4, v2, vcc_lo
	v_max_u32_e32 v1, v2, v4
	v_cndmask_b32_e32 v3, v2, v4, vcc_lo
	s_delay_alu instid0(VALU_DEP_2) | instskip(NEXT) | instid1(VALU_DEP_2)
	v_cmp_gt_u32_e32 vcc_lo, s5, v1
	v_cmp_le_i32_e64 s0, v0, v3
	s_delay_alu instid0(VALU_DEP_1) | instskip(NEXT) | instid1(SALU_CYCLE_1)
	s_and_b32 s0, vcc_lo, s0
	s_and_saveexec_b32 s1, s0
	s_cbranch_execz .LBB1845_9
; %bb.5:
	v_cmp_neq_f64_e64 s4, s[22:23], 0
	v_cmp_neq_f64_e64 s5, s[24:25], 0
	s_mov_b32 s3, 0
	v_mad_u64_u32 v[5:6], null, v4, s28, 0
	s_lshl_b64 s[0:1], s[2:3], 3
	v_mov_b32_e32 v3, 0
	s_add_u32 s0, s26, s0
	s_addc_u32 s1, s27, s1
	s_lshl_b64 s[2:3], s[30:31], 4
	s_load_b64 s[0:1], s[0:1], 0x0
	s_delay_alu instid0(VALU_DEP_2) | instskip(NEXT) | instid1(VALU_DEP_1)
	v_mov_b32_e32 v0, v6
	v_mad_u64_u32 v[6:7], null, v4, s29, v[0:1]
	v_lshlrev_b64 v[7:8], 4, v[2:3]
	v_mov_b32_e32 v0, 0
	v_mov_b32_e32 v1, 0
	s_delay_alu instid0(VALU_DEP_4) | instskip(SKIP_3) | instid1(VALU_DEP_1)
	v_lshlrev_b64 v[5:6], 4, v[5:6]
	s_waitcnt lgkmcnt(0)
	s_add_u32 s0, s0, s2
	s_addc_u32 s1, s1, s3
	v_add_co_u32 v3, vcc_lo, s0, v5
	s_delay_alu instid0(VALU_DEP_2) | instskip(NEXT) | instid1(VALU_DEP_2)
	v_add_co_ci_u32_e32 v6, vcc_lo, s1, v6, vcc_lo
	v_add_co_u32 v5, vcc_lo, v3, v7
	s_delay_alu instid0(VALU_DEP_2) | instskip(SKIP_2) | instid1(SALU_CYCLE_1)
	v_add_co_ci_u32_e32 v6, vcc_lo, v6, v8, vcc_lo
	v_dual_mov_b32 v8, v1 :: v_dual_mov_b32 v7, v0
	s_or_b32 s2, s4, s5
	s_and_not1_b32 vcc_lo, exec_lo, s2
	s_cbranch_vccnz .LBB1845_7
; %bb.6:
	global_load_b128 v[7:10], v[5:6], off
	s_waitcnt vmcnt(0)
	v_mul_f64 v[0:1], s[24:25], v[9:10]
	v_mul_f64 v[9:10], s[22:23], v[9:10]
	s_delay_alu instid0(VALU_DEP_2) | instskip(NEXT) | instid1(VALU_DEP_2)
	v_fma_f64 v[0:1], s[22:23], v[7:8], -v[0:1]
	v_fma_f64 v[7:8], s[24:25], v[7:8], v[9:10]
.LBB1845_7:
	v_cmp_ne_u32_e32 vcc_lo, v2, v4
	s_delay_alu instid0(VALU_DEP_2)
	v_dual_cndmask_b32 v3, 0, v8 :: v_dual_cndmask_b32 v2, 0, v7
	global_store_b128 v[5:6], v[0:3], off
	s_nop 0
	s_sendmsg sendmsg(MSG_DEALLOC_VGPRS)
	s_endpgm
.LBB1845_8:
.LBB1845_9:
	s_endpgm
	.section	.rodata,"a",@progbits
	.p2align	6, 0x0
	.amdhsa_kernel _ZL26rocblas_syr2k_scale_kernelIlLi128ELi8ELb1E19rocblas_complex_numIdES1_PKPS1_EvbiT_T3_T4_T5_S5_li
		.amdhsa_group_segment_fixed_size 0
		.amdhsa_private_segment_fixed_size 0
		.amdhsa_kernarg_size 336
		.amdhsa_user_sgpr_count 13
		.amdhsa_user_sgpr_dispatch_ptr 0
		.amdhsa_user_sgpr_queue_ptr 0
		.amdhsa_user_sgpr_kernarg_segment_ptr 1
		.amdhsa_user_sgpr_dispatch_id 0
		.amdhsa_user_sgpr_private_segment_size 0
		.amdhsa_wavefront_size32 1
		.amdhsa_uses_dynamic_stack 0
		.amdhsa_enable_private_segment 0
		.amdhsa_system_sgpr_workgroup_id_x 1
		.amdhsa_system_sgpr_workgroup_id_y 1
		.amdhsa_system_sgpr_workgroup_id_z 1
		.amdhsa_system_sgpr_workgroup_info 0
		.amdhsa_system_vgpr_workitem_id 1
		.amdhsa_next_free_vgpr 11
		.amdhsa_next_free_sgpr 32
		.amdhsa_reserve_vcc 1
		.amdhsa_float_round_mode_32 0
		.amdhsa_float_round_mode_16_64 0
		.amdhsa_float_denorm_mode_32 3
		.amdhsa_float_denorm_mode_16_64 3
		.amdhsa_dx10_clamp 1
		.amdhsa_ieee_mode 1
		.amdhsa_fp16_overflow 0
		.amdhsa_workgroup_processor_mode 1
		.amdhsa_memory_ordered 1
		.amdhsa_forward_progress 0
		.amdhsa_shared_vgpr_count 0
		.amdhsa_exception_fp_ieee_invalid_op 0
		.amdhsa_exception_fp_denorm_src 0
		.amdhsa_exception_fp_ieee_div_zero 0
		.amdhsa_exception_fp_ieee_overflow 0
		.amdhsa_exception_fp_ieee_underflow 0
		.amdhsa_exception_fp_ieee_inexact 0
		.amdhsa_exception_int_div_zero 0
	.end_amdhsa_kernel
	.section	.text._ZL26rocblas_syr2k_scale_kernelIlLi128ELi8ELb1E19rocblas_complex_numIdES1_PKPS1_EvbiT_T3_T4_T5_S5_li,"axG",@progbits,_ZL26rocblas_syr2k_scale_kernelIlLi128ELi8ELb1E19rocblas_complex_numIdES1_PKPS1_EvbiT_T3_T4_T5_S5_li,comdat
.Lfunc_end1845:
	.size	_ZL26rocblas_syr2k_scale_kernelIlLi128ELi8ELb1E19rocblas_complex_numIdES1_PKPS1_EvbiT_T3_T4_T5_S5_li, .Lfunc_end1845-_ZL26rocblas_syr2k_scale_kernelIlLi128ELi8ELb1E19rocblas_complex_numIdES1_PKPS1_EvbiT_T3_T4_T5_S5_li
                                        ; -- End function
	.section	.AMDGPU.csdata,"",@progbits
; Kernel info:
; codeLenInByte = 476
; NumSgprs: 34
; NumVgprs: 11
; ScratchSize: 0
; MemoryBound: 0
; FloatMode: 240
; IeeeMode: 1
; LDSByteSize: 0 bytes/workgroup (compile time only)
; SGPRBlocks: 4
; VGPRBlocks: 1
; NumSGPRsForWavesPerEU: 34
; NumVGPRsForWavesPerEU: 11
; Occupancy: 16
; WaveLimiterHint : 1
; COMPUTE_PGM_RSRC2:SCRATCH_EN: 0
; COMPUTE_PGM_RSRC2:USER_SGPR: 13
; COMPUTE_PGM_RSRC2:TRAP_HANDLER: 0
; COMPUTE_PGM_RSRC2:TGID_X_EN: 1
; COMPUTE_PGM_RSRC2:TGID_Y_EN: 1
; COMPUTE_PGM_RSRC2:TGID_Z_EN: 1
; COMPUTE_PGM_RSRC2:TIDIG_COMP_CNT: 1
	.section	.text._ZL26rocblas_syr2k_her2k_kernelIlLb0ELb1ELb0ELi32EPK19rocblas_complex_numIdEPKS3_PKPS1_EvbiT_T4_T5_S9_lSB_S9_lT6_S9_li,"axG",@progbits,_ZL26rocblas_syr2k_her2k_kernelIlLb0ELb1ELb0ELi32EPK19rocblas_complex_numIdEPKS3_PKPS1_EvbiT_T4_T5_S9_lSB_S9_lT6_S9_li,comdat
	.globl	_ZL26rocblas_syr2k_her2k_kernelIlLb0ELb1ELb0ELi32EPK19rocblas_complex_numIdEPKS3_PKPS1_EvbiT_T4_T5_S9_lSB_S9_lT6_S9_li ; -- Begin function _ZL26rocblas_syr2k_her2k_kernelIlLb0ELb1ELb0ELi32EPK19rocblas_complex_numIdEPKS3_PKPS1_EvbiT_T4_T5_S9_lSB_S9_lT6_S9_li
	.p2align	8
	.type	_ZL26rocblas_syr2k_her2k_kernelIlLb0ELb1ELb0ELi32EPK19rocblas_complex_numIdEPKS3_PKPS1_EvbiT_T4_T5_S9_lSB_S9_lT6_S9_li,@function
_ZL26rocblas_syr2k_her2k_kernelIlLb0ELb1ELb0ELi32EPK19rocblas_complex_numIdEPKS3_PKPS1_EvbiT_T4_T5_S9_lSB_S9_lT6_S9_li: ; @_ZL26rocblas_syr2k_her2k_kernelIlLb0ELb1ELb0ELi32EPK19rocblas_complex_numIdEPKS3_PKPS1_EvbiT_T4_T5_S9_lSB_S9_lT6_S9_li
; %bb.0:
	s_load_b512 s[16:31], s[0:1], 0x8
	s_waitcnt lgkmcnt(0)
	s_load_b128 s[4:7], s[18:19], 0x0
	s_waitcnt lgkmcnt(0)
	v_cmp_eq_f64_e64 s2, s[4:5], 0
	v_cmp_eq_f64_e64 s3, s[6:7], 0
	s_delay_alu instid0(VALU_DEP_1) | instskip(NEXT) | instid1(SALU_CYCLE_1)
	s_and_b32 s2, s2, s3
	s_and_b32 vcc_lo, exec_lo, s2
	s_cbranch_vccnz .LBB1846_13
; %bb.1:
	s_load_b64 s[2:3], s[0:1], 0x0
	s_mov_b32 s12, s15
	s_lshl_b32 s14, s14, 5
	s_lshl_b32 s15, s13, 5
	s_waitcnt lgkmcnt(0)
	s_and_b32 s2, 1, s2
	s_delay_alu instid0(SALU_CYCLE_1) | instskip(SKIP_1) | instid1(SALU_CYCLE_1)
	s_cmp_eq_u32 s2, 1
	s_cselect_b32 s2, -1, 0
	s_and_b32 s8, s2, exec_lo
	s_cselect_b32 s8, s15, s14
	s_cselect_b32 s9, s14, s15
	s_delay_alu instid0(SALU_CYCLE_1)
	s_cmp_gt_i32 s8, s9
	s_cbranch_scc1 .LBB1846_13
; %bb.2:
	s_load_b128 s[8:11], s[0:1], 0x48
	s_mov_b32 s13, 0
	s_load_b64 s[0:1], s[0:1], 0x58
	s_lshl_b64 s[12:13], s[12:13], 3
	v_and_b32_e32 v18, 0x3ff, v0
	v_bfe_u32 v19, v0, 10, 10
	v_cmp_lt_i64_e64 s33, s[16:17], 1
	s_delay_alu instid0(VALU_DEP_3) | instskip(NEXT) | instid1(VALU_DEP_3)
	v_add_nc_u32_e32 v8, s15, v18
	v_add_nc_u32_e32 v12, s14, v19
	s_delay_alu instid0(VALU_DEP_2)
	v_ashrrev_i32_e32 v11, 31, v8
	s_waitcnt lgkmcnt(0)
	s_add_u32 s8, s8, s12
	s_addc_u32 s9, s9, s13
	s_lshl_b64 s[0:1], s[0:1], 4
	s_load_b64 s[8:9], s[8:9], 0x0
	s_waitcnt lgkmcnt(0)
	s_add_u32 s18, s8, s0
	s_addc_u32 s19, s9, s1
	s_and_b32 vcc_lo, exec_lo, s33
	s_cbranch_vccnz .LBB1846_11
; %bb.3:
	v_ashrrev_i32_e32 v2, 31, v12
	v_dual_mov_b32 v9, 0 :: v_dual_lshlrev_b32 v0, 4, v19
	v_lshlrev_b32_e32 v20, 9, v18
	v_mul_lo_u32 v10, v12, s11
	s_delay_alu instid0(VALU_DEP_4) | instskip(NEXT) | instid1(VALU_DEP_4)
	v_mul_lo_u32 v14, v2, s10
	v_mov_b32_e32 v13, v9
	v_mad_u64_u32 v[2:3], null, v12, s10, 0
	v_add_nc_u32_e32 v21, v20, v0
	v_or_b32_e32 v22, 0x4000, v0
	v_mad_u64_u32 v[0:1], null, s28, v18, 0
	v_mad_u64_u32 v[4:5], null, s22, v19, 0
	v_cndmask_b32_e64 v6, v8, v12, s2
	v_cndmask_b32_e64 v7, v12, v8, s2
	v_add3_u32 v3, v3, v10, v14
	v_max_i32_e32 v15, v8, v12
	v_dual_mov_b32 v10, v8 :: v_dual_add_nc_u32 v23, v22, v20
	s_delay_alu instid0(VALU_DEP_4)
	v_cmp_le_i32_e64 s2, v7, v6
	v_mad_u64_u32 v[6:7], null, s29, v18, v[1:2]
	v_lshlrev_b64 v[2:3], 4, v[2:3]
	v_mov_b32_e32 v1, v5
	v_cmp_gt_i32_e32 vcc_lo, s3, v15
	s_add_u32 s0, s20, s12
	s_addc_u32 s1, s21, s13
	s_add_u32 s12, s26, s12
	v_mad_u64_u32 v[14:15], null, s23, v19, v[1:2]
	v_mov_b32_e32 v1, v6
	v_lshlrev_b64 v[15:16], 4, v[10:11]
	s_addc_u32 s13, s27, s13
	s_and_b32 s2, s2, vcc_lo
	v_add_co_u32 v2, vcc_lo, s18, v2
	v_add_co_ci_u32_e32 v3, vcc_lo, s19, v3, vcc_lo
	v_mov_b32_e32 v5, v14
	v_lshlrev_b64 v[0:1], 4, v[0:1]
	s_load_b64 s[8:9], s[0:1], 0x0
	s_load_b64 s[12:13], s[12:13], 0x0
	s_ashr_i32 s15, s3, 31
	s_mov_b32 s14, s3
	v_add_co_u32 v14, vcc_lo, v2, v15
	v_cmp_gt_i64_e64 s0, s[14:15], v[8:9]
	v_cmp_gt_i64_e64 s1, s[14:15], v[12:13]
	v_add_co_ci_u32_e32 v15, vcc_lo, v3, v16, vcc_lo
	s_lshl_b64 s[14:15], s[30:31], 4
	v_lshlrev_b64 v[2:3], 4, v[4:5]
	v_add_co_u32 v4, vcc_lo, v0, s14
	v_add_co_ci_u32_e32 v5, vcc_lo, s15, v1, vcc_lo
	s_lshl_b64 s[14:15], s[24:25], 4
	v_lshlrev_b64 v[0:1], 4, v[12:13]
	s_delay_alu instid0(VALU_DEP_4) | instskip(SKIP_2) | instid1(VALU_DEP_4)
	v_add_co_u32 v6, vcc_lo, v2, s14
	v_add_co_ci_u32_e32 v7, vcc_lo, s15, v3, vcc_lo
	v_lshlrev_b64 v[2:3], 4, v[8:9]
	v_add_co_u32 v0, vcc_lo, v4, v0
	v_add_co_ci_u32_e32 v1, vcc_lo, v5, v1, vcc_lo
	s_mov_b64 s[14:15], 0
	s_delay_alu instid0(VALU_DEP_3) | instskip(NEXT) | instid1(VALU_DEP_4)
	v_add_co_u32 v2, vcc_lo, v6, v2
	v_add_co_ci_u32_e32 v3, vcc_lo, v7, v3, vcc_lo
	s_waitcnt lgkmcnt(0)
	v_add_co_u32 v0, vcc_lo, v0, s12
	v_add_co_ci_u32_e32 v1, vcc_lo, s13, v1, vcc_lo
	v_add_co_u32 v2, vcc_lo, v2, s8
	v_add_co_ci_u32_e32 v3, vcc_lo, s9, v3, vcc_lo
	s_delay_alu instid0(VALU_DEP_4) | instskip(NEXT) | instid1(VALU_DEP_4)
	v_add_co_u32 v9, vcc_lo, v0, 8
	v_add_co_ci_u32_e32 v10, vcc_lo, 0, v1, vcc_lo
	s_delay_alu instid0(VALU_DEP_4) | instskip(NEXT) | instid1(VALU_DEP_4)
	v_add_co_u32 v16, vcc_lo, v2, 8
	v_add_co_ci_u32_e32 v17, vcc_lo, 0, v3, vcc_lo
	s_lshl_b64 s[8:9], s[28:29], 9
	s_lshl_b64 s[12:13], s[22:23], 9
	s_branch .LBB1846_5
.LBB1846_4:                             ;   in Loop: Header=BB1846_5 Depth=1
	s_or_b32 exec_lo, exec_lo, s20
	s_add_u32 s14, s14, 32
	s_addc_u32 s15, s15, 0
	v_add_co_u32 v9, vcc_lo, v9, s8
	v_cmp_ge_i64_e64 s20, s[14:15], s[16:17]
	v_add_co_ci_u32_e32 v10, vcc_lo, s9, v10, vcc_lo
	v_add_co_u32 v16, vcc_lo, v16, s12
	v_add_co_ci_u32_e32 v17, vcc_lo, s13, v17, vcc_lo
	s_delay_alu instid0(VALU_DEP_4)
	s_and_b32 vcc_lo, exec_lo, s20
	s_waitcnt_vscnt null, 0x0
	s_barrier
	buffer_gl0_inv
	s_cbranch_vccnz .LBB1846_11
.LBB1846_5:                             ; =>This Inner Loop Header: Depth=1
	v_add_co_u32 v2, s20, v19, s14
	s_delay_alu instid0(VALU_DEP_1) | instskip(SKIP_2) | instid1(VALU_DEP_3)
	v_add_co_ci_u32_e64 v3, null, 0, s15, s20
	v_mov_b32_e32 v0, 0
	v_mov_b32_e32 v1, 0
	v_cmp_gt_i64_e32 vcc_lo, s[16:17], v[2:3]
	s_delay_alu instid0(VALU_DEP_2) | instskip(SKIP_2) | instid1(SALU_CYCLE_1)
	v_dual_mov_b32 v5, v1 :: v_dual_mov_b32 v4, v0
	v_dual_mov_b32 v7, v1 :: v_dual_mov_b32 v6, v0
	s_and_b32 s21, s0, vcc_lo
	s_and_saveexec_b32 s20, s21
	s_cbranch_execz .LBB1846_7
; %bb.6:                                ;   in Loop: Header=BB1846_5 Depth=1
	global_load_b128 v[4:7], v[16:17], off offset:-8
.LBB1846_7:                             ;   in Loop: Header=BB1846_5 Depth=1
	s_or_b32 exec_lo, exec_lo, s20
	v_add_co_u32 v2, s20, v18, s14
	s_delay_alu instid0(VALU_DEP_1)
	v_add_co_ci_u32_e64 v3, null, 0, s15, s20
	s_waitcnt vmcnt(0)
	ds_store_b128 v21, v[4:7]
	v_cmp_gt_i64_e32 vcc_lo, s[16:17], v[2:3]
	v_dual_mov_b32 v3, v1 :: v_dual_mov_b32 v2, v0
	s_and_b32 s21, s1, vcc_lo
	s_delay_alu instid0(SALU_CYCLE_1)
	s_and_saveexec_b32 s20, s21
	s_cbranch_execz .LBB1846_9
; %bb.8:                                ;   in Loop: Header=BB1846_5 Depth=1
	global_load_b128 v[0:3], v[9:10], off offset:-8
	s_waitcnt vmcnt(0)
	v_xor_b32_e32 v3, 0x80000000, v3
.LBB1846_9:                             ;   in Loop: Header=BB1846_5 Depth=1
	s_or_b32 exec_lo, exec_lo, s20
	ds_store_b128 v23, v[0:3]
	s_waitcnt lgkmcnt(0)
	s_barrier
	buffer_gl0_inv
	s_and_saveexec_b32 s20, s2
	s_cbranch_execz .LBB1846_4
; %bb.10:                               ;   in Loop: Header=BB1846_5 Depth=1
	ds_load_b128 v[0:3], v22
	ds_load_b128 v[4:7], v20
	ds_load_b128 v[24:27], v20 offset:16
	ds_load_b128 v[28:31], v22 offset:512
	s_waitcnt lgkmcnt(2)
	v_mul_f64 v[32:33], v[0:1], v[6:7]
	v_mul_f64 v[6:7], v[2:3], v[6:7]
	s_waitcnt lgkmcnt(0)
	v_mul_f64 v[48:49], v[28:29], v[26:27]
	v_mul_f64 v[26:27], v[30:31], v[26:27]
	s_delay_alu instid0(VALU_DEP_4)
	v_fma_f64 v[2:3], v[2:3], v[4:5], v[32:33]
	ds_load_b128 v[32:35], v22 offset:1024
	ds_load_b128 v[36:39], v20 offset:32
	ds_load_b128 v[40:43], v20 offset:48
	ds_load_b128 v[44:47], v22 offset:1536
	v_fma_f64 v[0:1], v[0:1], v[4:5], -v[6:7]
	v_fma_f64 v[4:5], v[30:31], v[24:25], v[48:49]
	v_fma_f64 v[52:53], v[28:29], v[24:25], -v[26:27]
	s_waitcnt lgkmcnt(2)
	v_mul_f64 v[50:51], v[32:33], v[38:39]
	v_mul_f64 v[38:39], v[34:35], v[38:39]
	s_waitcnt lgkmcnt(0)
	v_mul_f64 v[48:49], v[44:45], v[42:43]
	v_mul_f64 v[42:43], v[46:47], v[42:43]
	v_add_f64 v[2:3], v[2:3], 0
	v_fma_f64 v[34:35], v[34:35], v[36:37], v[50:51]
	v_add_f64 v[50:51], v[0:1], 0
	v_fma_f64 v[32:33], v[32:33], v[36:37], -v[38:39]
	v_fma_f64 v[36:37], v[46:47], v[40:41], v[48:49]
	v_add_f64 v[54:55], v[2:3], v[4:5]
	ds_load_b128 v[0:3], v20 offset:64
	ds_load_b128 v[4:7], v22 offset:2048
	ds_load_b128 v[24:27], v22 offset:2560
	ds_load_b128 v[28:31], v20 offset:80
	s_waitcnt lgkmcnt(2)
	v_mul_f64 v[56:57], v[4:5], v[2:3]
	v_add_f64 v[38:39], v[50:51], v[52:53]
	v_mul_f64 v[2:3], v[6:7], v[2:3]
	s_waitcnt lgkmcnt(0)
	v_mul_f64 v[48:49], v[24:25], v[30:31]
	v_fma_f64 v[50:51], v[44:45], v[40:41], -v[42:43]
	v_mul_f64 v[30:31], v[26:27], v[30:31]
	v_add_f64 v[34:35], v[54:55], v[34:35]
	v_fma_f64 v[6:7], v[6:7], v[0:1], v[56:57]
	v_add_f64 v[52:53], v[38:39], v[32:33]
	v_fma_f64 v[0:1], v[4:5], v[0:1], -v[2:3]
	v_fma_f64 v[2:3], v[26:27], v[28:29], v[48:49]
	v_add_f64 v[54:55], v[34:35], v[36:37]
	ds_load_b128 v[32:35], v20 offset:96
	ds_load_b128 v[36:39], v22 offset:3072
	ds_load_b128 v[40:43], v22 offset:3584
	ds_load_b128 v[44:47], v20 offset:112
	s_waitcnt lgkmcnt(2)
	v_mul_f64 v[56:57], v[36:37], v[34:35]
	v_add_f64 v[4:5], v[52:53], v[50:51]
	v_mul_f64 v[34:35], v[38:39], v[34:35]
	s_waitcnt lgkmcnt(0)
	v_mul_f64 v[48:49], v[40:41], v[46:47]
	v_fma_f64 v[50:51], v[24:25], v[28:29], -v[30:31]
	;; [unrolled: 18-line block ×11, first 2 shown]
	v_mul_f64 v[30:31], v[26:27], v[30:31]
	v_add_f64 v[38:39], v[54:55], v[38:39]
	v_fma_f64 v[6:7], v[6:7], v[0:1], v[56:57]
	v_add_f64 v[52:53], v[36:37], v[32:33]
	v_fma_f64 v[0:1], v[4:5], v[0:1], -v[2:3]
	v_fma_f64 v[2:3], v[26:27], v[28:29], v[48:49]
	v_add_f64 v[54:55], v[38:39], v[34:35]
	ds_load_b128 v[32:35], v20 offset:416
	ds_load_b128 v[36:39], v22 offset:13312
	;; [unrolled: 1-line block ×4, first 2 shown]
	s_waitcnt lgkmcnt(2)
	v_mul_f64 v[56:57], v[36:37], v[34:35]
	v_add_f64 v[4:5], v[52:53], v[50:51]
	v_mul_f64 v[34:35], v[38:39], v[34:35]
	s_waitcnt lgkmcnt(0)
	v_mul_f64 v[52:53], v[40:41], v[46:47]
	v_mul_f64 v[46:47], v[42:43], v[46:47]
	v_add_f64 v[6:7], v[54:55], v[6:7]
	v_fma_f64 v[54:55], v[24:25], v[28:29], -v[30:31]
	v_fma_f64 v[38:39], v[38:39], v[32:33], v[56:57]
	v_add_f64 v[56:57], v[4:5], v[0:1]
	v_fma_f64 v[32:33], v[36:37], v[32:33], -v[34:35]
	v_fma_f64 v[34:35], v[42:43], v[44:45], v[52:53]
	v_add_f64 v[58:59], v[6:7], v[2:3]
	ds_load_b128 v[0:3], v20 offset:448
	ds_load_b128 v[4:7], v22 offset:14336
	global_load_b128 v[24:27], v[14:15], off
	ds_load_b128 v[28:31], v22 offset:14848
	ds_load_b128 v[48:51], v20 offset:464
	v_add_f64 v[36:37], v[56:57], v[54:55]
	s_waitcnt lgkmcnt(2)
	v_mul_f64 v[60:61], v[4:5], v[2:3]
	v_mul_f64 v[2:3], v[6:7], v[2:3]
	s_waitcnt lgkmcnt(0)
	v_mul_f64 v[52:53], v[28:29], v[50:51]
	v_fma_f64 v[54:55], v[40:41], v[44:45], -v[46:47]
	v_mul_f64 v[50:51], v[30:31], v[50:51]
	v_add_f64 v[38:39], v[58:59], v[38:39]
	v_add_f64 v[56:57], v[36:37], v[32:33]
	v_fma_f64 v[6:7], v[6:7], v[0:1], v[60:61]
	v_fma_f64 v[0:1], v[4:5], v[0:1], -v[2:3]
	v_fma_f64 v[2:3], v[30:31], v[48:49], v[52:53]
	v_fma_f64 v[28:29], v[28:29], v[48:49], -v[50:51]
	v_add_f64 v[58:59], v[38:39], v[34:35]
	ds_load_b128 v[32:35], v20 offset:480
	ds_load_b128 v[36:39], v22 offset:15360
	;; [unrolled: 1-line block ×4, first 2 shown]
	s_waitcnt lgkmcnt(2)
	v_mul_f64 v[60:61], v[36:37], v[34:35]
	v_add_f64 v[4:5], v[56:57], v[54:55]
	v_mul_f64 v[30:31], v[38:39], v[34:35]
	s_waitcnt lgkmcnt(0)
	v_mul_f64 v[34:35], v[40:41], v[46:47]
	v_add_f64 v[6:7], v[58:59], v[6:7]
	v_fma_f64 v[38:39], v[38:39], v[32:33], v[60:61]
	v_add_f64 v[0:1], v[4:5], v[0:1]
	v_mul_f64 v[4:5], v[42:43], v[46:47]
	s_delay_alu instid0(VALU_DEP_4)
	v_add_f64 v[2:3], v[6:7], v[2:3]
	v_fma_f64 v[6:7], v[36:37], v[32:33], -v[30:31]
	v_fma_f64 v[30:31], v[42:43], v[44:45], v[34:35]
	v_add_f64 v[0:1], v[0:1], v[28:29]
	v_fma_f64 v[4:5], v[40:41], v[44:45], -v[4:5]
	v_add_f64 v[2:3], v[2:3], v[38:39]
	s_delay_alu instid0(VALU_DEP_3) | instskip(NEXT) | instid1(VALU_DEP_2)
	v_add_f64 v[0:1], v[0:1], v[6:7]
	v_add_f64 v[2:3], v[2:3], v[30:31]
	s_delay_alu instid0(VALU_DEP_2) | instskip(NEXT) | instid1(VALU_DEP_2)
	v_add_f64 v[0:1], v[0:1], v[4:5]
	v_mul_f64 v[4:5], s[6:7], v[2:3]
	v_mul_f64 v[2:3], s[4:5], v[2:3]
	s_delay_alu instid0(VALU_DEP_2) | instskip(NEXT) | instid1(VALU_DEP_2)
	v_fma_f64 v[4:5], s[4:5], v[0:1], -v[4:5]
	v_fma_f64 v[2:3], s[6:7], v[0:1], v[2:3]
	s_waitcnt vmcnt(0)
	s_delay_alu instid0(VALU_DEP_2) | instskip(NEXT) | instid1(VALU_DEP_2)
	v_add_f64 v[0:1], v[24:25], v[4:5]
	v_add_f64 v[2:3], v[26:27], v[2:3]
	global_store_b128 v[14:15], v[0:3], off
	s_branch .LBB1846_4
.LBB1846_11:
	v_cmp_eq_u32_e32 vcc_lo, v8, v12
	v_cmp_gt_i32_e64 s0, s3, v8
	s_delay_alu instid0(VALU_DEP_1) | instskip(NEXT) | instid1(SALU_CYCLE_1)
	s_and_b32 s0, vcc_lo, s0
	s_and_saveexec_b32 s1, s0
	s_cbranch_execz .LBB1846_13
; %bb.12:
	v_mul_lo_u32 v2, v8, s11
	v_mul_lo_u32 v3, v11, s10
	v_mad_u64_u32 v[0:1], null, v8, s10, 0
	v_mov_b32_e32 v9, v11
	s_delay_alu instid0(VALU_DEP_2) | instskip(NEXT) | instid1(VALU_DEP_1)
	v_add3_u32 v1, v1, v2, v3
	v_lshlrev_b64 v[0:1], 4, v[0:1]
	s_delay_alu instid0(VALU_DEP_1) | instskip(SKIP_2) | instid1(VALU_DEP_4)
	v_add_co_u32 v4, vcc_lo, s18, v0
	v_mov_b32_e32 v0, 0
	v_lshlrev_b64 v[2:3], 4, v[8:9]
	v_add_co_ci_u32_e32 v1, vcc_lo, s19, v1, vcc_lo
	s_delay_alu instid0(VALU_DEP_2) | instskip(NEXT) | instid1(VALU_DEP_2)
	v_add_co_u32 v2, vcc_lo, v4, v2
	v_add_co_ci_u32_e32 v3, vcc_lo, v1, v3, vcc_lo
	v_mov_b32_e32 v1, v0
	global_store_b64 v[2:3], v[0:1], off offset:8
.LBB1846_13:
	s_nop 0
	s_sendmsg sendmsg(MSG_DEALLOC_VGPRS)
	s_endpgm
	.section	.rodata,"a",@progbits
	.p2align	6, 0x0
	.amdhsa_kernel _ZL26rocblas_syr2k_her2k_kernelIlLb0ELb1ELb0ELi32EPK19rocblas_complex_numIdEPKS3_PKPS1_EvbiT_T4_T5_S9_lSB_S9_lT6_S9_li
		.amdhsa_group_segment_fixed_size 32768
		.amdhsa_private_segment_fixed_size 0
		.amdhsa_kernarg_size 100
		.amdhsa_user_sgpr_count 13
		.amdhsa_user_sgpr_dispatch_ptr 0
		.amdhsa_user_sgpr_queue_ptr 0
		.amdhsa_user_sgpr_kernarg_segment_ptr 1
		.amdhsa_user_sgpr_dispatch_id 0
		.amdhsa_user_sgpr_private_segment_size 0
		.amdhsa_wavefront_size32 1
		.amdhsa_uses_dynamic_stack 0
		.amdhsa_enable_private_segment 0
		.amdhsa_system_sgpr_workgroup_id_x 1
		.amdhsa_system_sgpr_workgroup_id_y 1
		.amdhsa_system_sgpr_workgroup_id_z 1
		.amdhsa_system_sgpr_workgroup_info 0
		.amdhsa_system_vgpr_workitem_id 1
		.amdhsa_next_free_vgpr 62
		.amdhsa_next_free_sgpr 34
		.amdhsa_reserve_vcc 1
		.amdhsa_float_round_mode_32 0
		.amdhsa_float_round_mode_16_64 0
		.amdhsa_float_denorm_mode_32 3
		.amdhsa_float_denorm_mode_16_64 3
		.amdhsa_dx10_clamp 1
		.amdhsa_ieee_mode 1
		.amdhsa_fp16_overflow 0
		.amdhsa_workgroup_processor_mode 1
		.amdhsa_memory_ordered 1
		.amdhsa_forward_progress 0
		.amdhsa_shared_vgpr_count 0
		.amdhsa_exception_fp_ieee_invalid_op 0
		.amdhsa_exception_fp_denorm_src 0
		.amdhsa_exception_fp_ieee_div_zero 0
		.amdhsa_exception_fp_ieee_overflow 0
		.amdhsa_exception_fp_ieee_underflow 0
		.amdhsa_exception_fp_ieee_inexact 0
		.amdhsa_exception_int_div_zero 0
	.end_amdhsa_kernel
	.section	.text._ZL26rocblas_syr2k_her2k_kernelIlLb0ELb1ELb0ELi32EPK19rocblas_complex_numIdEPKS3_PKPS1_EvbiT_T4_T5_S9_lSB_S9_lT6_S9_li,"axG",@progbits,_ZL26rocblas_syr2k_her2k_kernelIlLb0ELb1ELb0ELi32EPK19rocblas_complex_numIdEPKS3_PKPS1_EvbiT_T4_T5_S9_lSB_S9_lT6_S9_li,comdat
.Lfunc_end1846:
	.size	_ZL26rocblas_syr2k_her2k_kernelIlLb0ELb1ELb0ELi32EPK19rocblas_complex_numIdEPKS3_PKPS1_EvbiT_T4_T5_S9_lSB_S9_lT6_S9_li, .Lfunc_end1846-_ZL26rocblas_syr2k_her2k_kernelIlLb0ELb1ELb0ELi32EPK19rocblas_complex_numIdEPKS3_PKPS1_EvbiT_T4_T5_S9_lSB_S9_lT6_S9_li
                                        ; -- End function
	.section	.AMDGPU.csdata,"",@progbits
; Kernel info:
; codeLenInByte = 3340
; NumSgprs: 36
; NumVgprs: 62
; ScratchSize: 0
; MemoryBound: 1
; FloatMode: 240
; IeeeMode: 1
; LDSByteSize: 32768 bytes/workgroup (compile time only)
; SGPRBlocks: 4
; VGPRBlocks: 7
; NumSGPRsForWavesPerEU: 36
; NumVGPRsForWavesPerEU: 62
; Occupancy: 16
; WaveLimiterHint : 1
; COMPUTE_PGM_RSRC2:SCRATCH_EN: 0
; COMPUTE_PGM_RSRC2:USER_SGPR: 13
; COMPUTE_PGM_RSRC2:TRAP_HANDLER: 0
; COMPUTE_PGM_RSRC2:TGID_X_EN: 1
; COMPUTE_PGM_RSRC2:TGID_Y_EN: 1
; COMPUTE_PGM_RSRC2:TGID_Z_EN: 1
; COMPUTE_PGM_RSRC2:TIDIG_COMP_CNT: 1
	.section	.text._ZL26rocblas_syr2k_her2k_kernelIlLb0ELb1ELb1ELi32EPK19rocblas_complex_numIdEPKS3_PKPS1_EvbiT_T4_T5_S9_lSB_S9_lT6_S9_li,"axG",@progbits,_ZL26rocblas_syr2k_her2k_kernelIlLb0ELb1ELb1ELi32EPK19rocblas_complex_numIdEPKS3_PKPS1_EvbiT_T4_T5_S9_lSB_S9_lT6_S9_li,comdat
	.globl	_ZL26rocblas_syr2k_her2k_kernelIlLb0ELb1ELb1ELi32EPK19rocblas_complex_numIdEPKS3_PKPS1_EvbiT_T4_T5_S9_lSB_S9_lT6_S9_li ; -- Begin function _ZL26rocblas_syr2k_her2k_kernelIlLb0ELb1ELb1ELi32EPK19rocblas_complex_numIdEPKS3_PKPS1_EvbiT_T4_T5_S9_lSB_S9_lT6_S9_li
	.p2align	8
	.type	_ZL26rocblas_syr2k_her2k_kernelIlLb0ELb1ELb1ELi32EPK19rocblas_complex_numIdEPKS3_PKPS1_EvbiT_T4_T5_S9_lSB_S9_lT6_S9_li,@function
_ZL26rocblas_syr2k_her2k_kernelIlLb0ELb1ELb1ELi32EPK19rocblas_complex_numIdEPKS3_PKPS1_EvbiT_T4_T5_S9_lSB_S9_lT6_S9_li: ; @_ZL26rocblas_syr2k_her2k_kernelIlLb0ELb1ELb1ELi32EPK19rocblas_complex_numIdEPKS3_PKPS1_EvbiT_T4_T5_S9_lSB_S9_lT6_S9_li
; %bb.0:
	s_load_b512 s[16:31], s[0:1], 0x8
	s_waitcnt lgkmcnt(0)
	s_load_b128 s[4:7], s[18:19], 0x0
	s_waitcnt lgkmcnt(0)
	v_cmp_eq_f64_e64 s2, s[4:5], 0
	v_cmp_eq_f64_e64 s3, s[6:7], 0
	s_delay_alu instid0(VALU_DEP_1) | instskip(NEXT) | instid1(SALU_CYCLE_1)
	s_and_b32 s2, s2, s3
	s_and_b32 vcc_lo, exec_lo, s2
	s_cbranch_vccnz .LBB1847_13
; %bb.1:
	s_load_b64 s[18:19], s[0:1], 0x0
	s_lshl_b32 s3, s14, 5
	s_lshl_b32 s14, s13, 5
	s_waitcnt lgkmcnt(0)
	s_and_b32 s2, 1, s18
	s_delay_alu instid0(SALU_CYCLE_1) | instskip(SKIP_1) | instid1(SALU_CYCLE_1)
	s_cmp_eq_u32 s2, 1
	s_cselect_b32 s2, -1, 0
	s_and_b32 s8, s2, exec_lo
	s_cselect_b32 s8, s14, s3
	s_cselect_b32 s9, s3, s14
	s_delay_alu instid0(SALU_CYCLE_1)
	s_cmp_gt_i32 s8, s9
	s_cbranch_scc1 .LBB1847_13
; %bb.2:
	s_load_b128 s[8:11], s[0:1], 0x48
	s_mov_b32 s12, s15
	s_mov_b32 s13, 0
	s_load_b64 s[0:1], s[0:1], 0x58
	s_lshl_b64 s[12:13], s[12:13], 3
	v_and_b32_e32 v18, 0x3ff, v0
	v_bfe_u32 v19, v0, 10, 10
	v_cmp_lt_i64_e64 s18, s[16:17], 1
	s_delay_alu instid0(VALU_DEP_3) | instskip(NEXT) | instid1(VALU_DEP_3)
	v_add_nc_u32_e32 v8, s14, v18
	v_add_nc_u32_e32 v10, s3, v19
	s_delay_alu instid0(VALU_DEP_2)
	v_ashrrev_i32_e32 v17, 31, v8
	s_waitcnt lgkmcnt(0)
	s_add_u32 s8, s8, s12
	s_addc_u32 s9, s9, s13
	s_lshl_b64 s[0:1], s[0:1], 4
	s_load_b64 s[8:9], s[8:9], 0x0
	s_waitcnt lgkmcnt(0)
	s_add_u32 s14, s8, s0
	s_addc_u32 s15, s9, s1
	s_and_b32 vcc_lo, exec_lo, s18
	s_cbranch_vccnz .LBB1847_11
; %bb.3:
	v_ashrrev_i32_e32 v2, 31, v10
	v_mul_lo_u32 v6, v10, s11
	v_mad_u64_u32 v[0:1], null, s28, v10, 0
	v_mad_u64_u32 v[4:5], null, s22, v8, 0
	s_delay_alu instid0(VALU_DEP_4)
	v_mul_lo_u32 v7, v2, s10
	v_mad_u64_u32 v[2:3], null, v10, s10, 0
	s_add_u32 s0, s20, s12
	v_dual_mov_b32 v9, 0 :: v_dual_lshlrev_b32 v14, 4, v19
	s_addc_u32 s1, s21, s13
	s_add_u32 s12, s26, s12
	s_addc_u32 s13, s27, s13
	s_delay_alu instid0(VALU_DEP_2) | instskip(SKIP_3) | instid1(VALU_DEP_2)
	v_add3_u32 v3, v3, v6, v7
	s_ashr_i32 s21, s19, 31
	s_mov_b32 s20, s19
	v_mad_u64_u32 v[6:7], null, s29, v10, v[1:2]
	v_lshlrev_b64 v[2:3], 4, v[2:3]
	s_load_b64 s[8:9], s[0:1], 0x0
	s_load_b64 s[12:13], s[12:13], 0x0
	v_cndmask_b32_e64 v12, v8, v10, s2
	v_dual_mov_b32 v11, v9 :: v_dual_lshlrev_b32 v20, 9, v18
	v_cndmask_b32_e64 v13, v10, v8, s2
	v_cmp_gt_i64_e64 s0, s[20:21], v[8:9]
	v_max_i32_e32 v9, v8, v10
	v_mov_b32_e32 v1, v5
	v_cmp_gt_i64_e64 s1, s[20:21], v[10:11]
	v_cmp_le_i32_e64 s2, v13, v12
	s_lshl_b64 s[20:21], s[30:31], 4
	v_cmp_gt_i32_e32 vcc_lo, s19, v9
	v_mov_b32_e32 v9, v17
	v_mad_u64_u32 v[11:12], null, s23, v8, v[1:2]
	v_mov_b32_e32 v1, v6
	v_add_co_u32 v2, s3, s14, v2
	s_delay_alu instid0(VALU_DEP_4)
	v_lshlrev_b64 v[12:13], 4, v[8:9]
	v_add_co_ci_u32_e64 v3, s3, s15, v3, s3
	v_mov_b32_e32 v5, v11
	v_lshlrev_b64 v[0:1], 4, v[0:1]
	v_or_b32_e32 v22, 0x4000, v14
	v_add_co_u32 v11, s3, v2, v12
	s_delay_alu instid0(VALU_DEP_1) | instskip(SKIP_3) | instid1(VALU_DEP_1)
	v_add_co_ci_u32_e64 v12, s3, v3, v13, s3
	v_lshlrev_b64 v[2:3], 4, v[4:5]
	v_lshlrev_b32_e32 v4, 4, v18
	v_add_co_u32 v0, s3, v0, s20
	v_add_co_ci_u32_e64 v1, s3, s21, v1, s3
	s_lshl_b64 s[20:21], s[24:25], 4
	v_add_nc_u32_e32 v21, v20, v14
	v_add_co_u32 v2, s3, v2, s20
	s_delay_alu instid0(VALU_DEP_1) | instskip(SKIP_1) | instid1(VALU_DEP_1)
	v_add_co_ci_u32_e64 v3, s3, s21, v3, s3
	v_add_co_u32 v0, s3, v0, v4
	v_add_co_ci_u32_e64 v1, s3, 0, v1, s3
	s_delay_alu instid0(VALU_DEP_4) | instskip(NEXT) | instid1(VALU_DEP_1)
	v_add_co_u32 v2, s3, v2, v14
	v_add_co_ci_u32_e64 v3, s3, 0, v3, s3
	s_waitcnt lgkmcnt(0)
	v_add_co_u32 v0, s3, v0, s12
	s_delay_alu instid0(VALU_DEP_1) | instskip(SKIP_1) | instid1(VALU_DEP_1)
	v_add_co_ci_u32_e64 v1, s3, s13, v1, s3
	v_add_co_u32 v2, s3, v2, s8
	v_add_co_ci_u32_e64 v3, s3, s9, v3, s3
	s_delay_alu instid0(VALU_DEP_4) | instskip(NEXT) | instid1(VALU_DEP_1)
	v_add_co_u32 v13, s3, v0, 8
	v_add_co_ci_u32_e64 v14, s3, 0, v1, s3
	s_delay_alu instid0(VALU_DEP_4)
	v_add_co_u32 v15, s3, v2, 8
	v_add_nc_u32_e32 v23, v22, v20
	v_add_co_ci_u32_e64 v16, s3, 0, v3, s3
	s_and_b32 s8, s2, vcc_lo
	s_mov_b64 s[2:3], 0
	s_branch .LBB1847_5
.LBB1847_4:                             ;   in Loop: Header=BB1847_5 Depth=1
	s_or_b32 exec_lo, exec_lo, s9
	s_add_u32 s2, s2, 32
	s_addc_u32 s3, s3, 0
	v_add_co_u32 v13, vcc_lo, 0x200, v13
	v_cmp_ge_i64_e64 s9, s[2:3], s[16:17]
	v_add_co_ci_u32_e32 v14, vcc_lo, 0, v14, vcc_lo
	v_add_co_u32 v15, vcc_lo, 0x200, v15
	v_add_co_ci_u32_e32 v16, vcc_lo, 0, v16, vcc_lo
	s_delay_alu instid0(VALU_DEP_4)
	s_and_b32 vcc_lo, exec_lo, s9
	s_waitcnt_vscnt null, 0x0
	s_barrier
	buffer_gl0_inv
	s_cbranch_vccnz .LBB1847_11
.LBB1847_5:                             ; =>This Inner Loop Header: Depth=1
	v_add_co_u32 v2, s9, v19, s2
	s_delay_alu instid0(VALU_DEP_1) | instskip(SKIP_2) | instid1(VALU_DEP_3)
	v_add_co_ci_u32_e64 v3, null, 0, s3, s9
	v_mov_b32_e32 v0, 0
	v_mov_b32_e32 v1, 0
	v_cmp_gt_i64_e32 vcc_lo, s[16:17], v[2:3]
	s_delay_alu instid0(VALU_DEP_2) | instskip(SKIP_2) | instid1(SALU_CYCLE_1)
	v_dual_mov_b32 v5, v1 :: v_dual_mov_b32 v4, v0
	v_dual_mov_b32 v7, v1 :: v_dual_mov_b32 v6, v0
	s_and_b32 s12, s0, vcc_lo
	s_and_saveexec_b32 s9, s12
	s_cbranch_execz .LBB1847_7
; %bb.6:                                ;   in Loop: Header=BB1847_5 Depth=1
	global_load_b128 v[4:7], v[15:16], off offset:-8
	s_waitcnt vmcnt(0)
	v_xor_b32_e32 v7, 0x80000000, v7
.LBB1847_7:                             ;   in Loop: Header=BB1847_5 Depth=1
	s_or_b32 exec_lo, exec_lo, s9
	v_add_co_u32 v2, s9, v18, s2
	s_delay_alu instid0(VALU_DEP_1) | instskip(SKIP_4) | instid1(SALU_CYCLE_1)
	v_add_co_ci_u32_e64 v3, null, 0, s3, s9
	ds_store_b128 v21, v[4:7]
	v_cmp_gt_i64_e32 vcc_lo, s[16:17], v[2:3]
	v_dual_mov_b32 v3, v1 :: v_dual_mov_b32 v2, v0
	s_and_b32 s12, s1, vcc_lo
	s_and_saveexec_b32 s9, s12
	s_cbranch_execz .LBB1847_9
; %bb.8:                                ;   in Loop: Header=BB1847_5 Depth=1
	global_load_b128 v[0:3], v[13:14], off offset:-8
.LBB1847_9:                             ;   in Loop: Header=BB1847_5 Depth=1
	s_or_b32 exec_lo, exec_lo, s9
	s_waitcnt vmcnt(0)
	ds_store_b128 v23, v[0:3]
	s_waitcnt lgkmcnt(0)
	s_barrier
	buffer_gl0_inv
	s_and_saveexec_b32 s9, s8
	s_cbranch_execz .LBB1847_4
; %bb.10:                               ;   in Loop: Header=BB1847_5 Depth=1
	ds_load_b128 v[0:3], v22
	ds_load_b128 v[4:7], v20
	ds_load_b128 v[24:27], v20 offset:16
	ds_load_b128 v[28:31], v22 offset:512
	s_waitcnt lgkmcnt(2)
	v_mul_f64 v[32:33], v[0:1], v[6:7]
	v_mul_f64 v[6:7], v[2:3], v[6:7]
	s_waitcnt lgkmcnt(0)
	v_mul_f64 v[48:49], v[28:29], v[26:27]
	v_mul_f64 v[26:27], v[30:31], v[26:27]
	s_delay_alu instid0(VALU_DEP_4)
	v_fma_f64 v[2:3], v[2:3], v[4:5], v[32:33]
	ds_load_b128 v[32:35], v22 offset:1024
	ds_load_b128 v[36:39], v20 offset:32
	;; [unrolled: 1-line block ×4, first 2 shown]
	v_fma_f64 v[0:1], v[0:1], v[4:5], -v[6:7]
	v_fma_f64 v[4:5], v[30:31], v[24:25], v[48:49]
	v_fma_f64 v[52:53], v[28:29], v[24:25], -v[26:27]
	s_waitcnt lgkmcnt(2)
	v_mul_f64 v[50:51], v[32:33], v[38:39]
	v_mul_f64 v[38:39], v[34:35], v[38:39]
	s_waitcnt lgkmcnt(0)
	v_mul_f64 v[48:49], v[44:45], v[42:43]
	v_mul_f64 v[42:43], v[46:47], v[42:43]
	v_add_f64 v[2:3], v[2:3], 0
	v_fma_f64 v[34:35], v[34:35], v[36:37], v[50:51]
	v_add_f64 v[50:51], v[0:1], 0
	v_fma_f64 v[32:33], v[32:33], v[36:37], -v[38:39]
	v_fma_f64 v[36:37], v[46:47], v[40:41], v[48:49]
	v_add_f64 v[54:55], v[2:3], v[4:5]
	ds_load_b128 v[0:3], v20 offset:64
	ds_load_b128 v[4:7], v22 offset:2048
	ds_load_b128 v[24:27], v22 offset:2560
	ds_load_b128 v[28:31], v20 offset:80
	s_waitcnt lgkmcnt(2)
	v_mul_f64 v[56:57], v[4:5], v[2:3]
	v_add_f64 v[38:39], v[50:51], v[52:53]
	v_mul_f64 v[2:3], v[6:7], v[2:3]
	s_waitcnt lgkmcnt(0)
	v_mul_f64 v[48:49], v[24:25], v[30:31]
	v_fma_f64 v[50:51], v[44:45], v[40:41], -v[42:43]
	v_mul_f64 v[30:31], v[26:27], v[30:31]
	v_add_f64 v[34:35], v[54:55], v[34:35]
	v_fma_f64 v[6:7], v[6:7], v[0:1], v[56:57]
	v_add_f64 v[52:53], v[38:39], v[32:33]
	v_fma_f64 v[0:1], v[4:5], v[0:1], -v[2:3]
	v_fma_f64 v[2:3], v[26:27], v[28:29], v[48:49]
	v_add_f64 v[54:55], v[34:35], v[36:37]
	ds_load_b128 v[32:35], v20 offset:96
	ds_load_b128 v[36:39], v22 offset:3072
	ds_load_b128 v[40:43], v22 offset:3584
	ds_load_b128 v[44:47], v20 offset:112
	s_waitcnt lgkmcnt(2)
	v_mul_f64 v[56:57], v[36:37], v[34:35]
	v_add_f64 v[4:5], v[52:53], v[50:51]
	v_mul_f64 v[34:35], v[38:39], v[34:35]
	s_waitcnt lgkmcnt(0)
	v_mul_f64 v[48:49], v[40:41], v[46:47]
	v_fma_f64 v[50:51], v[24:25], v[28:29], -v[30:31]
	;; [unrolled: 18-line block ×11, first 2 shown]
	v_mul_f64 v[30:31], v[26:27], v[30:31]
	v_add_f64 v[38:39], v[54:55], v[38:39]
	v_fma_f64 v[6:7], v[6:7], v[0:1], v[56:57]
	v_add_f64 v[52:53], v[36:37], v[32:33]
	v_fma_f64 v[0:1], v[4:5], v[0:1], -v[2:3]
	v_fma_f64 v[2:3], v[26:27], v[28:29], v[48:49]
	v_add_f64 v[54:55], v[38:39], v[34:35]
	ds_load_b128 v[32:35], v20 offset:416
	ds_load_b128 v[36:39], v22 offset:13312
	;; [unrolled: 1-line block ×4, first 2 shown]
	s_waitcnt lgkmcnt(2)
	v_mul_f64 v[56:57], v[36:37], v[34:35]
	v_add_f64 v[4:5], v[52:53], v[50:51]
	v_mul_f64 v[34:35], v[38:39], v[34:35]
	s_waitcnt lgkmcnt(0)
	v_mul_f64 v[52:53], v[40:41], v[46:47]
	v_mul_f64 v[46:47], v[42:43], v[46:47]
	v_add_f64 v[6:7], v[54:55], v[6:7]
	v_fma_f64 v[54:55], v[24:25], v[28:29], -v[30:31]
	v_fma_f64 v[38:39], v[38:39], v[32:33], v[56:57]
	v_add_f64 v[56:57], v[4:5], v[0:1]
	v_fma_f64 v[32:33], v[36:37], v[32:33], -v[34:35]
	v_fma_f64 v[34:35], v[42:43], v[44:45], v[52:53]
	v_add_f64 v[58:59], v[6:7], v[2:3]
	ds_load_b128 v[0:3], v20 offset:448
	ds_load_b128 v[4:7], v22 offset:14336
	global_load_b128 v[24:27], v[11:12], off
	ds_load_b128 v[28:31], v22 offset:14848
	ds_load_b128 v[48:51], v20 offset:464
	v_add_f64 v[36:37], v[56:57], v[54:55]
	s_waitcnt lgkmcnt(2)
	v_mul_f64 v[60:61], v[4:5], v[2:3]
	v_mul_f64 v[2:3], v[6:7], v[2:3]
	s_waitcnt lgkmcnt(0)
	v_mul_f64 v[52:53], v[28:29], v[50:51]
	v_fma_f64 v[54:55], v[40:41], v[44:45], -v[46:47]
	v_mul_f64 v[50:51], v[30:31], v[50:51]
	v_add_f64 v[38:39], v[58:59], v[38:39]
	v_add_f64 v[56:57], v[36:37], v[32:33]
	v_fma_f64 v[6:7], v[6:7], v[0:1], v[60:61]
	v_fma_f64 v[0:1], v[4:5], v[0:1], -v[2:3]
	v_fma_f64 v[2:3], v[30:31], v[48:49], v[52:53]
	v_fma_f64 v[28:29], v[28:29], v[48:49], -v[50:51]
	v_add_f64 v[58:59], v[38:39], v[34:35]
	ds_load_b128 v[32:35], v20 offset:480
	ds_load_b128 v[36:39], v22 offset:15360
	;; [unrolled: 1-line block ×4, first 2 shown]
	s_waitcnt lgkmcnt(2)
	v_mul_f64 v[60:61], v[36:37], v[34:35]
	v_add_f64 v[4:5], v[56:57], v[54:55]
	v_mul_f64 v[30:31], v[38:39], v[34:35]
	s_waitcnt lgkmcnt(0)
	v_mul_f64 v[34:35], v[40:41], v[46:47]
	v_add_f64 v[6:7], v[58:59], v[6:7]
	v_fma_f64 v[38:39], v[38:39], v[32:33], v[60:61]
	v_add_f64 v[0:1], v[4:5], v[0:1]
	v_mul_f64 v[4:5], v[42:43], v[46:47]
	s_delay_alu instid0(VALU_DEP_4)
	v_add_f64 v[2:3], v[6:7], v[2:3]
	v_fma_f64 v[6:7], v[36:37], v[32:33], -v[30:31]
	v_fma_f64 v[30:31], v[42:43], v[44:45], v[34:35]
	v_add_f64 v[0:1], v[0:1], v[28:29]
	v_fma_f64 v[4:5], v[40:41], v[44:45], -v[4:5]
	v_add_f64 v[2:3], v[2:3], v[38:39]
	s_delay_alu instid0(VALU_DEP_3) | instskip(NEXT) | instid1(VALU_DEP_2)
	v_add_f64 v[0:1], v[0:1], v[6:7]
	v_add_f64 v[2:3], v[2:3], v[30:31]
	s_delay_alu instid0(VALU_DEP_2) | instskip(NEXT) | instid1(VALU_DEP_2)
	v_add_f64 v[0:1], v[0:1], v[4:5]
	v_mul_f64 v[4:5], s[6:7], v[2:3]
	v_mul_f64 v[2:3], s[4:5], v[2:3]
	s_delay_alu instid0(VALU_DEP_2) | instskip(NEXT) | instid1(VALU_DEP_2)
	v_fma_f64 v[4:5], s[4:5], v[0:1], -v[4:5]
	v_fma_f64 v[2:3], s[6:7], v[0:1], v[2:3]
	s_waitcnt vmcnt(0)
	s_delay_alu instid0(VALU_DEP_2) | instskip(NEXT) | instid1(VALU_DEP_2)
	v_add_f64 v[0:1], v[24:25], v[4:5]
	v_add_f64 v[2:3], v[26:27], v[2:3]
	global_store_b128 v[11:12], v[0:3], off
	s_branch .LBB1847_4
.LBB1847_11:
	v_cmp_eq_u32_e32 vcc_lo, v8, v10
	v_cmp_gt_i32_e64 s0, s19, v8
	s_delay_alu instid0(VALU_DEP_1) | instskip(NEXT) | instid1(SALU_CYCLE_1)
	s_and_b32 s0, vcc_lo, s0
	s_and_saveexec_b32 s1, s0
	s_cbranch_execz .LBB1847_13
; %bb.12:
	v_mul_lo_u32 v2, v8, s11
	v_mul_lo_u32 v3, v17, s10
	v_mad_u64_u32 v[0:1], null, v8, s10, 0
	v_mov_b32_e32 v9, v17
	s_delay_alu instid0(VALU_DEP_2) | instskip(NEXT) | instid1(VALU_DEP_1)
	v_add3_u32 v1, v1, v2, v3
	v_lshlrev_b64 v[0:1], 4, v[0:1]
	s_delay_alu instid0(VALU_DEP_1) | instskip(SKIP_2) | instid1(VALU_DEP_4)
	v_add_co_u32 v4, vcc_lo, s14, v0
	v_mov_b32_e32 v0, 0
	v_lshlrev_b64 v[2:3], 4, v[8:9]
	v_add_co_ci_u32_e32 v1, vcc_lo, s15, v1, vcc_lo
	s_delay_alu instid0(VALU_DEP_2) | instskip(NEXT) | instid1(VALU_DEP_2)
	v_add_co_u32 v2, vcc_lo, v4, v2
	v_add_co_ci_u32_e32 v3, vcc_lo, v1, v3, vcc_lo
	v_mov_b32_e32 v1, v0
	global_store_b64 v[2:3], v[0:1], off offset:8
.LBB1847_13:
	s_nop 0
	s_sendmsg sendmsg(MSG_DEALLOC_VGPRS)
	s_endpgm
	.section	.rodata,"a",@progbits
	.p2align	6, 0x0
	.amdhsa_kernel _ZL26rocblas_syr2k_her2k_kernelIlLb0ELb1ELb1ELi32EPK19rocblas_complex_numIdEPKS3_PKPS1_EvbiT_T4_T5_S9_lSB_S9_lT6_S9_li
		.amdhsa_group_segment_fixed_size 32768
		.amdhsa_private_segment_fixed_size 0
		.amdhsa_kernarg_size 100
		.amdhsa_user_sgpr_count 13
		.amdhsa_user_sgpr_dispatch_ptr 0
		.amdhsa_user_sgpr_queue_ptr 0
		.amdhsa_user_sgpr_kernarg_segment_ptr 1
		.amdhsa_user_sgpr_dispatch_id 0
		.amdhsa_user_sgpr_private_segment_size 0
		.amdhsa_wavefront_size32 1
		.amdhsa_uses_dynamic_stack 0
		.amdhsa_enable_private_segment 0
		.amdhsa_system_sgpr_workgroup_id_x 1
		.amdhsa_system_sgpr_workgroup_id_y 1
		.amdhsa_system_sgpr_workgroup_id_z 1
		.amdhsa_system_sgpr_workgroup_info 0
		.amdhsa_system_vgpr_workitem_id 1
		.amdhsa_next_free_vgpr 62
		.amdhsa_next_free_sgpr 32
		.amdhsa_reserve_vcc 1
		.amdhsa_float_round_mode_32 0
		.amdhsa_float_round_mode_16_64 0
		.amdhsa_float_denorm_mode_32 3
		.amdhsa_float_denorm_mode_16_64 3
		.amdhsa_dx10_clamp 1
		.amdhsa_ieee_mode 1
		.amdhsa_fp16_overflow 0
		.amdhsa_workgroup_processor_mode 1
		.amdhsa_memory_ordered 1
		.amdhsa_forward_progress 0
		.amdhsa_shared_vgpr_count 0
		.amdhsa_exception_fp_ieee_invalid_op 0
		.amdhsa_exception_fp_denorm_src 0
		.amdhsa_exception_fp_ieee_div_zero 0
		.amdhsa_exception_fp_ieee_overflow 0
		.amdhsa_exception_fp_ieee_underflow 0
		.amdhsa_exception_fp_ieee_inexact 0
		.amdhsa_exception_int_div_zero 0
	.end_amdhsa_kernel
	.section	.text._ZL26rocblas_syr2k_her2k_kernelIlLb0ELb1ELb1ELi32EPK19rocblas_complex_numIdEPKS3_PKPS1_EvbiT_T4_T5_S9_lSB_S9_lT6_S9_li,"axG",@progbits,_ZL26rocblas_syr2k_her2k_kernelIlLb0ELb1ELb1ELi32EPK19rocblas_complex_numIdEPKS3_PKPS1_EvbiT_T4_T5_S9_lSB_S9_lT6_S9_li,comdat
.Lfunc_end1847:
	.size	_ZL26rocblas_syr2k_her2k_kernelIlLb0ELb1ELb1ELi32EPK19rocblas_complex_numIdEPKS3_PKPS1_EvbiT_T4_T5_S9_lSB_S9_lT6_S9_li, .Lfunc_end1847-_ZL26rocblas_syr2k_her2k_kernelIlLb0ELb1ELb1ELi32EPK19rocblas_complex_numIdEPKS3_PKPS1_EvbiT_T4_T5_S9_lSB_S9_lT6_S9_li
                                        ; -- End function
	.section	.AMDGPU.csdata,"",@progbits
; Kernel info:
; codeLenInByte = 3376
; NumSgprs: 34
; NumVgprs: 62
; ScratchSize: 0
; MemoryBound: 1
; FloatMode: 240
; IeeeMode: 1
; LDSByteSize: 32768 bytes/workgroup (compile time only)
; SGPRBlocks: 4
; VGPRBlocks: 7
; NumSGPRsForWavesPerEU: 34
; NumVGPRsForWavesPerEU: 62
; Occupancy: 16
; WaveLimiterHint : 1
; COMPUTE_PGM_RSRC2:SCRATCH_EN: 0
; COMPUTE_PGM_RSRC2:USER_SGPR: 13
; COMPUTE_PGM_RSRC2:TRAP_HANDLER: 0
; COMPUTE_PGM_RSRC2:TGID_X_EN: 1
; COMPUTE_PGM_RSRC2:TGID_Y_EN: 1
; COMPUTE_PGM_RSRC2:TGID_Z_EN: 1
; COMPUTE_PGM_RSRC2:TIDIG_COMP_CNT: 1
	.section	.text._ZL26rocblas_syr2k_her2k_kernelIlLb1ELb0ELb0ELi32EfPKfPfEvbiT_T4_T5_S3_lS5_S3_lT6_S3_li,"axG",@progbits,_ZL26rocblas_syr2k_her2k_kernelIlLb1ELb0ELb0ELi32EfPKfPfEvbiT_T4_T5_S3_lS5_S3_lT6_S3_li,comdat
	.globl	_ZL26rocblas_syr2k_her2k_kernelIlLb1ELb0ELb0ELi32EfPKfPfEvbiT_T4_T5_S3_lS5_S3_lT6_S3_li ; -- Begin function _ZL26rocblas_syr2k_her2k_kernelIlLb1ELb0ELb0ELi32EfPKfPfEvbiT_T4_T5_S3_lS5_S3_lT6_S3_li
	.p2align	8
	.type	_ZL26rocblas_syr2k_her2k_kernelIlLb1ELb0ELb0ELi32EfPKfPfEvbiT_T4_T5_S3_lS5_S3_lT6_S3_li,@function
_ZL26rocblas_syr2k_her2k_kernelIlLb1ELb0ELb0ELi32EfPKfPfEvbiT_T4_T5_S3_lS5_S3_lT6_S3_li: ; @_ZL26rocblas_syr2k_her2k_kernelIlLb1ELb0ELb0ELi32EfPKfPfEvbiT_T4_T5_S3_lS5_S3_lT6_S3_li
; %bb.0:
	s_load_b32 s10, s[0:1], 0x10
	s_waitcnt lgkmcnt(0)
	v_cmp_eq_f32_e64 s2, s10, 0
	s_delay_alu instid0(VALU_DEP_1)
	s_and_b32 vcc_lo, exec_lo, s2
	s_cbranch_vccnz .LBB1848_17
; %bb.1:
	s_load_b64 s[2:3], s[0:1], 0x0
	s_lshl_b32 s6, s14, 5
	s_lshl_b32 s7, s13, 5
	s_waitcnt lgkmcnt(0)
	s_and_b32 s2, 1, s2
	s_delay_alu instid0(SALU_CYCLE_1) | instskip(SKIP_1) | instid1(SALU_CYCLE_1)
	s_cmp_eq_u32 s2, 1
	s_cselect_b32 s2, -1, 0
	s_and_b32 s4, s2, exec_lo
	s_cselect_b32 s4, s7, s6
	s_cselect_b32 s5, s6, s7
	s_delay_alu instid0(SALU_CYCLE_1)
	s_cmp_gt_i32 s4, s5
	s_cbranch_scc1 .LBB1848_17
; %bb.2:
	s_load_b64 s[4:5], s[0:1], 0x8
	s_waitcnt lgkmcnt(0)
	v_cmp_lt_i64_e64 s8, s[4:5], 1
	s_delay_alu instid0(VALU_DEP_1)
	s_and_b32 vcc_lo, exec_lo, s8
	s_cbranch_vccnz .LBB1848_17
; %bb.3:
	s_clause 0x1
	s_load_b512 s[16:31], s[0:1], 0x18
	s_load_b64 s[0:1], s[0:1], 0x58
	v_bfe_u32 v2, v0, 10, 10
	v_and_b32_e32 v3, 0x3ff, v0
	s_delay_alu instid0(VALU_DEP_2) | instskip(NEXT) | instid1(VALU_DEP_1)
	v_dual_mov_b32 v11, 0 :: v_dual_add_nc_u32 v8, s6, v2
	v_dual_mov_b32 v9, v11 :: v_dual_add_nc_u32 v10, s7, v3
	v_lshlrev_b32_e32 v0, 2, v2
	v_lshlrev_b32_e32 v4, 7, v3
	s_delay_alu instid0(VALU_DEP_4) | instskip(NEXT) | instid1(VALU_DEP_4)
	v_ashrrev_i32_e32 v1, 31, v8
	v_cndmask_b32_e64 v7, v10, v8, s2
	v_cndmask_b32_e64 v14, v8, v10, s2
	v_or_b32_e32 v6, 0x1000, v0
	v_add_nc_u32_e32 v5, v4, v0
	v_max_i32_e32 v12, v10, v8
	s_mov_b32 s6, s3
	s_waitcnt lgkmcnt(0)
	s_mul_i32 s2, s15, s21
	s_mul_hi_u32 s7, s15, s20
	s_mul_i32 s8, s15, s20
	s_add_i32 s9, s7, s2
	v_mul_lo_u32 v16, v1, s30
	s_lshl_b64 s[8:9], s[8:9], 2
	v_mul_lo_u32 v17, v8, s31
	v_mad_u64_u32 v[0:1], null, v8, s30, 0
	s_mul_i32 s13, s15, s27
	s_mul_hi_u32 s14, s15, s26
	s_add_u32 s11, s16, s8
	s_mul_i32 s20, s15, s26
	s_addc_u32 s12, s17, s9
	s_add_i32 s21, s14, s13
	s_mul_i32 s1, s15, s1
	s_lshl_b64 s[8:9], s[20:21], 2
	s_mul_hi_u32 s2, s15, s0
	s_add_u32 s13, s22, s8
	s_addc_u32 s14, s23, s9
	s_add_i32 s1, s2, s1
	v_cmp_gt_i32_e32 vcc_lo, s3, v12
	v_cmp_le_i32_e64 s2, v14, v7
	v_add3_u32 v1, v1, v17, v16
	v_mov_b32_e32 v16, v10
	v_mad_u64_u32 v[12:13], null, s24, v3, 0
	v_mad_u64_u32 v[14:15], null, s18, v3, 0
	s_mul_i32 s0, s15, s0
	v_lshlrev_b64 v[0:1], 2, v[0:1]
	s_lshl_b64 s[0:1], s[0:1], 2
	v_ashrrev_i32_e32 v17, 31, v10
	s_add_u32 s8, s28, s0
	s_addc_u32 s9, s29, s1
	s_delay_alu instid0(VALU_DEP_3)
	v_mad_u64_u32 v[18:19], null, s25, v3, v[13:14]
	v_mad_u64_u32 v[19:20], null, s18, v2, 0
	v_mad_u64_u32 v[21:22], null, s19, v3, v[15:16]
	s_and_b32 s15, s2, vcc_lo
	v_add_co_u32 v22, vcc_lo, s8, v0
	v_add_co_ci_u32_e32 v23, vcc_lo, s9, v1, vcc_lo
	v_lshlrev_b64 v[0:1], 2, v[16:17]
	v_mov_b32_e32 v13, v18
	v_mad_u64_u32 v[17:18], null, s24, v2, 0
	v_dual_mov_b32 v16, v20 :: v_dual_mov_b32 v15, v21
	v_add_nc_u32_e32 v7, v6, v4
	v_add_co_u32 v0, vcc_lo, v22, v0
	v_add_co_ci_u32_e32 v1, vcc_lo, v23, v1, vcc_lo
	s_delay_alu instid0(VALU_DEP_4)
	v_mad_u64_u32 v[20:21], null, s19, v2, v[16:17]
	v_mov_b32_e32 v16, v18
	v_lshlrev_b64 v[12:13], 2, v[12:13]
	v_lshlrev_b64 v[21:22], 2, v[8:9]
	;; [unrolled: 1-line block ×3, first 2 shown]
	s_ashr_i32 s7, s3, 31
	v_mad_u64_u32 v[23:24], null, s25, v2, v[16:17]
	v_cmp_gt_i64_e64 s1, s[6:7], v[8:9]
	s_delay_alu instid0(VALU_DEP_4)
	v_add_co_u32 v8, vcc_lo, v12, v21
	v_add_co_ci_u32_e32 v9, vcc_lo, v13, v22, vcc_lo
	v_lshlrev_b64 v[12:13], 2, v[19:20]
	v_mov_b32_e32 v18, v23
	v_lshlrev_b64 v[19:20], 2, v[10:11]
	v_cmp_gt_i64_e64 s0, s[6:7], v[10:11]
	v_add_co_u32 v10, vcc_lo, v14, v21
	v_add_co_ci_u32_e32 v11, vcc_lo, v15, v22, vcc_lo
	v_lshlrev_b64 v[14:15], 2, v[17:18]
	v_add_nc_u32_e32 v17, 0x800, v6
	v_add_co_u32 v12, vcc_lo, v12, v19
	v_add_co_ci_u32_e32 v13, vcc_lo, v13, v20, vcc_lo
	s_delay_alu instid0(VALU_DEP_4)
	v_add_co_u32 v14, vcc_lo, v14, v19
	v_add_co_ci_u32_e32 v15, vcc_lo, v15, v20, vcc_lo
	v_add_nc_u32_e32 v16, 0x400, v6
	v_add_nc_u32_e32 v18, 0xc00, v6
	s_lshl_b64 s[2:3], s[24:25], 7
	s_lshl_b64 s[6:7], s[18:19], 7
	s_mov_b64 s[8:9], 0
	s_branch .LBB1848_5
.LBB1848_4:                             ;   in Loop: Header=BB1848_5 Depth=1
	s_or_b32 exec_lo, exec_lo, s16
	s_add_u32 s8, s8, 32
	s_addc_u32 s9, s9, 0
	s_add_u32 s13, s13, s2
	v_cmp_lt_i64_e64 s16, s[8:9], s[4:5]
	s_addc_u32 s14, s14, s3
	s_add_u32 s11, s11, s6
	s_addc_u32 s12, s12, s7
	s_waitcnt_vscnt null, 0x0
	s_barrier
	s_and_b32 vcc_lo, exec_lo, s16
	buffer_gl0_inv
	s_cbranch_vccz .LBB1848_17
.LBB1848_5:                             ; =>This Inner Loop Header: Depth=1
	v_add_co_u32 v19, s16, v2, s8
	s_delay_alu instid0(VALU_DEP_1) | instskip(NEXT) | instid1(VALU_DEP_1)
	v_add_co_ci_u32_e64 v20, null, 0, s9, s16
	v_cmp_gt_i64_e32 vcc_lo, s[4:5], v[19:20]
	v_mov_b32_e32 v19, 0
	s_and_b32 s16, s0, vcc_lo
	s_delay_alu instid0(SALU_CYCLE_1)
	s_and_saveexec_b32 s17, s16
	s_cbranch_execz .LBB1848_7
; %bb.6:                                ;   in Loop: Header=BB1848_5 Depth=1
	v_add_co_u32 v19, vcc_lo, s11, v12
	v_add_co_ci_u32_e32 v20, vcc_lo, s12, v13, vcc_lo
	global_load_b32 v19, v[19:20], off
.LBB1848_7:                             ;   in Loop: Header=BB1848_5 Depth=1
	s_or_b32 exec_lo, exec_lo, s17
	v_add_co_u32 v20, s17, v3, s8
	s_delay_alu instid0(VALU_DEP_1)
	v_add_co_ci_u32_e64 v21, null, 0, s9, s17
	s_waitcnt vmcnt(0)
	ds_store_b32 v5, v19
	v_cmp_gt_i64_e32 vcc_lo, s[4:5], v[20:21]
	v_mov_b32_e32 v20, 0
	s_and_b32 s17, s1, vcc_lo
	s_delay_alu instid0(SALU_CYCLE_1)
	s_and_saveexec_b32 s18, s17
	s_cbranch_execz .LBB1848_9
; %bb.8:                                ;   in Loop: Header=BB1848_5 Depth=1
	v_add_co_u32 v19, vcc_lo, s13, v8
	v_add_co_ci_u32_e32 v20, vcc_lo, s14, v9, vcc_lo
	global_load_b32 v20, v[19:20], off
.LBB1848_9:                             ;   in Loop: Header=BB1848_5 Depth=1
	s_or_b32 exec_lo, exec_lo, s18
	s_waitcnt vmcnt(0)
	ds_store_b32 v7, v20
	s_waitcnt lgkmcnt(0)
	s_barrier
	buffer_gl0_inv
	s_and_saveexec_b32 s18, s15
	s_cbranch_execz .LBB1848_11
; %bb.10:                               ;   in Loop: Header=BB1848_5 Depth=1
	global_load_b32 v33, v[0:1], off
	ds_load_2addr_b32 v[27:28], v6 offset1:32
	ds_load_b128 v[19:22], v4
	ds_load_2addr_b32 v[29:30], v6 offset0:64 offset1:96
	ds_load_b128 v[23:26], v4 offset:16
	ds_load_2addr_b32 v[31:32], v6 offset0:128 offset1:160
	s_waitcnt lgkmcnt(3)
	v_fma_f32 v34, v19, v27, 0
	s_delay_alu instid0(VALU_DEP_1) | instskip(SKIP_3) | instid1(VALU_DEP_1)
	v_fmac_f32_e32 v34, v20, v28
	ds_load_2addr_b32 v[27:28], v6 offset0:192 offset1:224
	s_waitcnt lgkmcnt(3)
	v_fmac_f32_e32 v34, v21, v29
	v_fmac_f32_e32 v34, v22, v30
	ds_load_2addr_b32 v[29:30], v16 offset1:32
	ds_load_b128 v[19:22], v4 offset:32
	s_waitcnt lgkmcnt(3)
	v_fmac_f32_e32 v34, v23, v31
	s_delay_alu instid0(VALU_DEP_1) | instskip(SKIP_3) | instid1(VALU_DEP_1)
	v_fmac_f32_e32 v34, v24, v32
	ds_load_2addr_b32 v[31:32], v16 offset0:64 offset1:96
	s_waitcnt lgkmcnt(3)
	v_fmac_f32_e32 v34, v25, v27
	v_fmac_f32_e32 v34, v26, v28
	ds_load_b128 v[23:26], v4 offset:48
	ds_load_2addr_b32 v[27:28], v16 offset0:128 offset1:160
	s_waitcnt lgkmcnt(3)
	v_fmac_f32_e32 v34, v19, v29
	s_delay_alu instid0(VALU_DEP_1) | instskip(SKIP_3) | instid1(VALU_DEP_1)
	v_fmac_f32_e32 v34, v20, v30
	ds_load_2addr_b32 v[29:30], v16 offset0:192 offset1:224
	s_waitcnt lgkmcnt(3)
	v_fmac_f32_e32 v34, v21, v31
	v_fmac_f32_e32 v34, v22, v32
	ds_load_2addr_b32 v[31:32], v17 offset1:32
	ds_load_b128 v[19:22], v4 offset:64
	s_waitcnt lgkmcnt(3)
	v_fmac_f32_e32 v34, v23, v27
	s_delay_alu instid0(VALU_DEP_1) | instskip(SKIP_3) | instid1(VALU_DEP_1)
	v_fmac_f32_e32 v34, v24, v28
	ds_load_2addr_b32 v[27:28], v17 offset0:64 offset1:96
	s_waitcnt lgkmcnt(3)
	v_fmac_f32_e32 v34, v25, v29
	v_fmac_f32_e32 v34, v26, v30
	ds_load_b128 v[23:26], v4 offset:80
	ds_load_2addr_b32 v[29:30], v17 offset0:128 offset1:160
	s_waitcnt lgkmcnt(3)
	v_fmac_f32_e32 v34, v19, v31
	;; [unrolled: 20-line block ×3, first 2 shown]
	s_delay_alu instid0(VALU_DEP_1) | instskip(SKIP_3) | instid1(VALU_DEP_1)
	v_fmac_f32_e32 v34, v20, v28
	ds_load_2addr_b32 v[19:20], v18 offset0:192 offset1:224
	s_waitcnt lgkmcnt(3)
	v_fmac_f32_e32 v34, v21, v29
	v_fmac_f32_e32 v34, v22, v30
	s_waitcnt lgkmcnt(1)
	s_delay_alu instid0(VALU_DEP_1) | instskip(NEXT) | instid1(VALU_DEP_1)
	v_fmac_f32_e32 v34, v23, v31
	v_fmac_f32_e32 v34, v24, v32
	s_waitcnt lgkmcnt(0)
	s_delay_alu instid0(VALU_DEP_1) | instskip(NEXT) | instid1(VALU_DEP_1)
	v_fmac_f32_e32 v34, v25, v19
	v_fmac_f32_e32 v34, v26, v20
	s_waitcnt vmcnt(0)
	s_delay_alu instid0(VALU_DEP_1)
	v_fmac_f32_e32 v33, s10, v34
	global_store_b32 v[0:1], v33, off
.LBB1848_11:                            ;   in Loop: Header=BB1848_5 Depth=1
	s_or_b32 exec_lo, exec_lo, s18
	v_dual_mov_b32 v19, 0 :: v_dual_mov_b32 v20, 0
	s_waitcnt_vscnt null, 0x0
	s_barrier
	buffer_gl0_inv
	s_and_saveexec_b32 s18, s16
	s_cbranch_execz .LBB1848_13
; %bb.12:                               ;   in Loop: Header=BB1848_5 Depth=1
	v_add_co_u32 v20, vcc_lo, s13, v14
	v_add_co_ci_u32_e32 v21, vcc_lo, s14, v15, vcc_lo
	global_load_b32 v20, v[20:21], off
.LBB1848_13:                            ;   in Loop: Header=BB1848_5 Depth=1
	s_or_b32 exec_lo, exec_lo, s18
	s_waitcnt vmcnt(0)
	ds_store_b32 v5, v20
	s_and_saveexec_b32 s16, s17
	s_cbranch_execz .LBB1848_15
; %bb.14:                               ;   in Loop: Header=BB1848_5 Depth=1
	v_add_co_u32 v19, vcc_lo, s11, v10
	v_add_co_ci_u32_e32 v20, vcc_lo, s12, v11, vcc_lo
	global_load_b32 v19, v[19:20], off
.LBB1848_15:                            ;   in Loop: Header=BB1848_5 Depth=1
	s_or_b32 exec_lo, exec_lo, s16
	s_waitcnt vmcnt(0)
	ds_store_b32 v7, v19
	s_waitcnt lgkmcnt(0)
	s_barrier
	buffer_gl0_inv
	s_and_saveexec_b32 s16, s15
	s_cbranch_execz .LBB1848_4
; %bb.16:                               ;   in Loop: Header=BB1848_5 Depth=1
	global_load_b32 v33, v[0:1], off
	ds_load_2addr_b32 v[27:28], v6 offset1:32
	ds_load_b128 v[19:22], v4
	ds_load_2addr_b32 v[29:30], v6 offset0:64 offset1:96
	ds_load_b128 v[23:26], v4 offset:16
	ds_load_2addr_b32 v[31:32], v6 offset0:128 offset1:160
	s_waitcnt lgkmcnt(3)
	v_fma_f32 v34, v19, v27, 0
	s_delay_alu instid0(VALU_DEP_1) | instskip(SKIP_3) | instid1(VALU_DEP_1)
	v_fmac_f32_e32 v34, v20, v28
	ds_load_2addr_b32 v[27:28], v6 offset0:192 offset1:224
	s_waitcnt lgkmcnt(3)
	v_fmac_f32_e32 v34, v21, v29
	v_fmac_f32_e32 v34, v22, v30
	ds_load_2addr_b32 v[29:30], v16 offset1:32
	ds_load_b128 v[19:22], v4 offset:32
	s_waitcnt lgkmcnt(3)
	v_fmac_f32_e32 v34, v23, v31
	s_delay_alu instid0(VALU_DEP_1) | instskip(SKIP_3) | instid1(VALU_DEP_1)
	v_fmac_f32_e32 v34, v24, v32
	ds_load_2addr_b32 v[31:32], v16 offset0:64 offset1:96
	s_waitcnt lgkmcnt(3)
	v_fmac_f32_e32 v34, v25, v27
	v_fmac_f32_e32 v34, v26, v28
	ds_load_b128 v[23:26], v4 offset:48
	ds_load_2addr_b32 v[27:28], v16 offset0:128 offset1:160
	s_waitcnt lgkmcnt(3)
	v_fmac_f32_e32 v34, v19, v29
	s_delay_alu instid0(VALU_DEP_1) | instskip(SKIP_3) | instid1(VALU_DEP_1)
	v_fmac_f32_e32 v34, v20, v30
	ds_load_2addr_b32 v[29:30], v16 offset0:192 offset1:224
	s_waitcnt lgkmcnt(3)
	v_fmac_f32_e32 v34, v21, v31
	v_fmac_f32_e32 v34, v22, v32
	ds_load_2addr_b32 v[31:32], v17 offset1:32
	ds_load_b128 v[19:22], v4 offset:64
	s_waitcnt lgkmcnt(3)
	v_fmac_f32_e32 v34, v23, v27
	s_delay_alu instid0(VALU_DEP_1) | instskip(SKIP_3) | instid1(VALU_DEP_1)
	v_fmac_f32_e32 v34, v24, v28
	ds_load_2addr_b32 v[27:28], v17 offset0:64 offset1:96
	s_waitcnt lgkmcnt(3)
	v_fmac_f32_e32 v34, v25, v29
	v_fmac_f32_e32 v34, v26, v30
	ds_load_b128 v[23:26], v4 offset:80
	ds_load_2addr_b32 v[29:30], v17 offset0:128 offset1:160
	s_waitcnt lgkmcnt(3)
	v_fmac_f32_e32 v34, v19, v31
	;; [unrolled: 20-line block ×3, first 2 shown]
	s_delay_alu instid0(VALU_DEP_1) | instskip(SKIP_3) | instid1(VALU_DEP_1)
	v_fmac_f32_e32 v34, v20, v28
	ds_load_2addr_b32 v[19:20], v18 offset0:192 offset1:224
	s_waitcnt lgkmcnt(3)
	v_fmac_f32_e32 v34, v21, v29
	v_fmac_f32_e32 v34, v22, v30
	s_waitcnt lgkmcnt(1)
	s_delay_alu instid0(VALU_DEP_1) | instskip(NEXT) | instid1(VALU_DEP_1)
	v_fmac_f32_e32 v34, v23, v31
	v_fmac_f32_e32 v34, v24, v32
	s_waitcnt lgkmcnt(0)
	s_delay_alu instid0(VALU_DEP_1) | instskip(NEXT) | instid1(VALU_DEP_1)
	v_fmac_f32_e32 v34, v25, v19
	v_fmac_f32_e32 v34, v26, v20
	s_waitcnt vmcnt(0)
	s_delay_alu instid0(VALU_DEP_1)
	v_fmac_f32_e32 v33, s10, v34
	global_store_b32 v[0:1], v33, off
	s_branch .LBB1848_4
.LBB1848_17:
	s_endpgm
	.section	.rodata,"a",@progbits
	.p2align	6, 0x0
	.amdhsa_kernel _ZL26rocblas_syr2k_her2k_kernelIlLb1ELb0ELb0ELi32EfPKfPfEvbiT_T4_T5_S3_lS5_S3_lT6_S3_li
		.amdhsa_group_segment_fixed_size 8192
		.amdhsa_private_segment_fixed_size 0
		.amdhsa_kernarg_size 100
		.amdhsa_user_sgpr_count 13
		.amdhsa_user_sgpr_dispatch_ptr 0
		.amdhsa_user_sgpr_queue_ptr 0
		.amdhsa_user_sgpr_kernarg_segment_ptr 1
		.amdhsa_user_sgpr_dispatch_id 0
		.amdhsa_user_sgpr_private_segment_size 0
		.amdhsa_wavefront_size32 1
		.amdhsa_uses_dynamic_stack 0
		.amdhsa_enable_private_segment 0
		.amdhsa_system_sgpr_workgroup_id_x 1
		.amdhsa_system_sgpr_workgroup_id_y 1
		.amdhsa_system_sgpr_workgroup_id_z 1
		.amdhsa_system_sgpr_workgroup_info 0
		.amdhsa_system_vgpr_workitem_id 1
		.amdhsa_next_free_vgpr 35
		.amdhsa_next_free_sgpr 32
		.amdhsa_reserve_vcc 1
		.amdhsa_float_round_mode_32 0
		.amdhsa_float_round_mode_16_64 0
		.amdhsa_float_denorm_mode_32 3
		.amdhsa_float_denorm_mode_16_64 3
		.amdhsa_dx10_clamp 1
		.amdhsa_ieee_mode 1
		.amdhsa_fp16_overflow 0
		.amdhsa_workgroup_processor_mode 1
		.amdhsa_memory_ordered 1
		.amdhsa_forward_progress 0
		.amdhsa_shared_vgpr_count 0
		.amdhsa_exception_fp_ieee_invalid_op 0
		.amdhsa_exception_fp_denorm_src 0
		.amdhsa_exception_fp_ieee_div_zero 0
		.amdhsa_exception_fp_ieee_overflow 0
		.amdhsa_exception_fp_ieee_underflow 0
		.amdhsa_exception_fp_ieee_inexact 0
		.amdhsa_exception_int_div_zero 0
	.end_amdhsa_kernel
	.section	.text._ZL26rocblas_syr2k_her2k_kernelIlLb1ELb0ELb0ELi32EfPKfPfEvbiT_T4_T5_S3_lS5_S3_lT6_S3_li,"axG",@progbits,_ZL26rocblas_syr2k_her2k_kernelIlLb1ELb0ELb0ELi32EfPKfPfEvbiT_T4_T5_S3_lS5_S3_lT6_S3_li,comdat
.Lfunc_end1848:
	.size	_ZL26rocblas_syr2k_her2k_kernelIlLb1ELb0ELb0ELi32EfPKfPfEvbiT_T4_T5_S3_lS5_S3_lT6_S3_li, .Lfunc_end1848-_ZL26rocblas_syr2k_her2k_kernelIlLb1ELb0ELb0ELi32EfPKfPfEvbiT_T4_T5_S3_lS5_S3_lT6_S3_li
                                        ; -- End function
	.section	.AMDGPU.csdata,"",@progbits
; Kernel info:
; codeLenInByte = 1972
; NumSgprs: 34
; NumVgprs: 35
; ScratchSize: 0
; MemoryBound: 0
; FloatMode: 240
; IeeeMode: 1
; LDSByteSize: 8192 bytes/workgroup (compile time only)
; SGPRBlocks: 4
; VGPRBlocks: 4
; NumSGPRsForWavesPerEU: 34
; NumVGPRsForWavesPerEU: 35
; Occupancy: 16
; WaveLimiterHint : 0
; COMPUTE_PGM_RSRC2:SCRATCH_EN: 0
; COMPUTE_PGM_RSRC2:USER_SGPR: 13
; COMPUTE_PGM_RSRC2:TRAP_HANDLER: 0
; COMPUTE_PGM_RSRC2:TGID_X_EN: 1
; COMPUTE_PGM_RSRC2:TGID_Y_EN: 1
; COMPUTE_PGM_RSRC2:TGID_Z_EN: 1
; COMPUTE_PGM_RSRC2:TIDIG_COMP_CNT: 1
	.section	.text._ZL26rocblas_syr2k_her2k_kernelIlLb1ELb0ELb1ELi32EfPKfPfEvbiT_T4_T5_S3_lS5_S3_lT6_S3_li,"axG",@progbits,_ZL26rocblas_syr2k_her2k_kernelIlLb1ELb0ELb1ELi32EfPKfPfEvbiT_T4_T5_S3_lS5_S3_lT6_S3_li,comdat
	.globl	_ZL26rocblas_syr2k_her2k_kernelIlLb1ELb0ELb1ELi32EfPKfPfEvbiT_T4_T5_S3_lS5_S3_lT6_S3_li ; -- Begin function _ZL26rocblas_syr2k_her2k_kernelIlLb1ELb0ELb1ELi32EfPKfPfEvbiT_T4_T5_S3_lS5_S3_lT6_S3_li
	.p2align	8
	.type	_ZL26rocblas_syr2k_her2k_kernelIlLb1ELb0ELb1ELi32EfPKfPfEvbiT_T4_T5_S3_lS5_S3_lT6_S3_li,@function
_ZL26rocblas_syr2k_her2k_kernelIlLb1ELb0ELb1ELi32EfPKfPfEvbiT_T4_T5_S3_lS5_S3_lT6_S3_li: ; @_ZL26rocblas_syr2k_her2k_kernelIlLb1ELb0ELb1ELi32EfPKfPfEvbiT_T4_T5_S3_lS5_S3_lT6_S3_li
; %bb.0:
	s_load_b32 s8, s[0:1], 0x10
	s_waitcnt lgkmcnt(0)
	v_cmp_eq_f32_e64 s2, s8, 0
	s_delay_alu instid0(VALU_DEP_1)
	s_and_b32 vcc_lo, exec_lo, s2
	s_cbranch_vccnz .LBB1849_17
; %bb.1:
	s_load_b64 s[2:3], s[0:1], 0x0
	s_lshl_b32 s6, s14, 5
	s_lshl_b32 s7, s13, 5
	s_waitcnt lgkmcnt(0)
	s_and_b32 s2, 1, s2
	s_delay_alu instid0(SALU_CYCLE_1) | instskip(SKIP_1) | instid1(SALU_CYCLE_1)
	s_cmp_eq_u32 s2, 1
	s_cselect_b32 s2, -1, 0
	s_and_b32 s4, s2, exec_lo
	s_cselect_b32 s4, s7, s6
	s_cselect_b32 s5, s6, s7
	s_delay_alu instid0(SALU_CYCLE_1)
	s_cmp_gt_i32 s4, s5
	s_cbranch_scc1 .LBB1849_17
; %bb.2:
	s_load_b64 s[4:5], s[0:1], 0x8
	s_waitcnt lgkmcnt(0)
	v_cmp_lt_i64_e64 s9, s[4:5], 1
	s_delay_alu instid0(VALU_DEP_1)
	s_and_b32 vcc_lo, exec_lo, s9
	s_cbranch_vccnz .LBB1849_17
; %bb.3:
	s_clause 0x1
	s_load_b64 s[10:11], s[0:1], 0x58
	s_load_b512 s[16:31], s[0:1], 0x18
	v_bfe_u32 v2, v0, 10, 10
	v_and_b32_e32 v3, 0x3ff, v0
	s_delay_alu instid0(VALU_DEP_2) | instskip(NEXT) | instid1(VALU_DEP_1)
	v_dual_mov_b32 v11, 0 :: v_dual_add_nc_u32 v0, s6, v2
	v_dual_mov_b32 v1, v11 :: v_dual_add_nc_u32 v10, s7, v3
	s_mov_b32 s6, s3
	v_lshlrev_b32_e32 v21, 2, v3
	s_delay_alu instid0(VALU_DEP_3) | instskip(NEXT) | instid1(VALU_DEP_3)
	v_ashrrev_i32_e32 v5, 31, v0
	v_cndmask_b32_e64 v16, v10, v0, s2
	v_cndmask_b32_e64 v17, v0, v10, s2
	s_waitcnt lgkmcnt(0)
	s_mul_i32 s1, s15, s11
	s_mul_hi_u32 s2, s15, s10
	v_mad_u64_u32 v[8:9], null, s24, v0, 0
	s_mul_i32 s0, s15, s10
	s_add_i32 s1, s2, s1
	v_mul_lo_u32 v7, v5, s30
	s_lshl_b64 s[0:1], s[0:1], 2
	v_mul_lo_u32 v14, v0, s31
	v_mad_u64_u32 v[12:13], null, v0, s30, 0
	s_add_u32 s9, s28, s0
	s_addc_u32 s10, s29, s1
	s_ashr_i32 s7, s3, 31
	v_lshlrev_b32_e32 v20, 2, v2
	v_cmp_gt_i64_e64 s1, s[6:7], v[0:1]
	v_mov_b32_e32 v1, v9
	s_delay_alu instid0(VALU_DEP_4) | instskip(SKIP_4) | instid1(VALU_DEP_4)
	v_add3_u32 v13, v13, v14, v7
	v_max_i32_e32 v9, v10, v0
	v_or_b32_e32 v6, 0x1000, v20
	v_cmp_gt_i64_e64 s0, s[6:7], v[10:11]
	v_mad_u64_u32 v[14:15], null, s25, v0, v[1:2]
	v_cmp_gt_i32_e32 vcc_lo, s3, v9
	v_lshlrev_b64 v[12:13], 2, v[12:13]
	v_ashrrev_i32_e32 v11, 31, v10
	s_mul_i32 s6, s27, s15
	s_mul_hi_u32 s7, s26, s15
	v_cmp_le_i32_e64 s2, v17, v16
	v_mov_b32_e32 v9, v14
	v_mad_u64_u32 v[14:15], null, s18, v0, 0
	s_add_i32 s7, s7, s6
	s_mul_i32 s6, s26, s15
	s_delay_alu instid0(VALU_DEP_2) | instskip(SKIP_2) | instid1(VALU_DEP_3)
	v_lshlrev_b64 v[8:9], 2, v[8:9]
	v_add_co_u32 v16, s3, s9, v12
	s_lshl_b64 s[6:7], s[6:7], 2
	v_mov_b32_e32 v1, v15
	v_add_co_ci_u32_e64 v13, s3, s10, v13, s3
	v_lshlrev_b64 v[11:12], 2, v[10:11]
	v_add_co_u32 v15, s3, s6, v8
	s_delay_alu instid0(VALU_DEP_1) | instskip(SKIP_1) | instid1(VALU_DEP_4)
	v_add_co_ci_u32_e64 v17, s3, s7, v9, s3
	v_mad_u64_u32 v[8:9], null, s19, v0, v[1:2]
	v_add_co_u32 v0, s3, v16, v11
	s_delay_alu instid0(VALU_DEP_1) | instskip(SKIP_1) | instid1(VALU_DEP_1)
	v_add_co_ci_u32_e64 v1, s3, v13, v12, s3
	v_add_co_u32 v9, s3, v15, v21
	v_add_co_ci_u32_e64 v13, s3, 0, v17, s3
	v_mov_b32_e32 v15, v8
	v_mad_u64_u32 v[16:17], null, s24, v10, 0
	v_mad_u64_u32 v[11:12], null, s18, v10, 0
	v_add_co_u32 v8, s3, s22, v9
	s_delay_alu instid0(VALU_DEP_1)
	v_add_co_ci_u32_e64 v9, s3, s23, v13, s3
	v_lshlrev_b64 v[13:14], 2, v[14:15]
	s_mul_i32 s9, s21, s15
	s_mul_hi_u32 s10, s20, s15
	v_mov_b32_e32 v15, v17
	s_add_i32 s11, s10, s9
	s_mul_i32 s10, s20, s15
	v_mad_u64_u32 v[17:18], null, s19, v10, v[12:13]
	s_lshl_b64 s[10:11], s[10:11], 2
	v_mad_u64_u32 v[18:19], null, s25, v10, v[15:16]
	v_add_co_u32 v10, s3, s10, v13
	s_delay_alu instid0(VALU_DEP_1) | instskip(NEXT) | instid1(VALU_DEP_4)
	v_add_co_ci_u32_e64 v13, s3, s11, v14, s3
	v_mov_b32_e32 v12, v17
	s_delay_alu instid0(VALU_DEP_3) | instskip(SKIP_1) | instid1(VALU_DEP_4)
	v_add_co_u32 v10, s3, v10, v21
	v_dual_mov_b32 v17, v18 :: v_dual_lshlrev_b32 v4, 7, v3
	v_add_co_ci_u32_e64 v14, s3, 0, v13, s3
	s_delay_alu instid0(VALU_DEP_4) | instskip(NEXT) | instid1(VALU_DEP_4)
	v_lshlrev_b64 v[12:13], 2, v[11:12]
	v_add_co_u32 v10, s3, s16, v10
	s_delay_alu instid0(VALU_DEP_1) | instskip(SKIP_1) | instid1(VALU_DEP_4)
	v_add_co_ci_u32_e64 v11, s3, s17, v14, s3
	v_lshlrev_b64 v[14:15], 2, v[16:17]
	v_add_co_u32 v12, s3, s10, v12
	s_delay_alu instid0(VALU_DEP_1) | instskip(SKIP_1) | instid1(VALU_DEP_4)
	v_add_co_ci_u32_e64 v13, s3, s11, v13, s3
	v_add_nc_u32_e32 v5, v4, v20
	v_add_co_u32 v14, s3, s6, v14
	s_delay_alu instid0(VALU_DEP_1) | instskip(SKIP_1) | instid1(VALU_DEP_1)
	v_add_co_ci_u32_e64 v15, s3, s7, v15, s3
	v_add_co_u32 v12, s3, v12, v20
	v_add_co_ci_u32_e64 v13, s3, 0, v13, s3
	s_delay_alu instid0(VALU_DEP_4) | instskip(NEXT) | instid1(VALU_DEP_1)
	v_add_co_u32 v14, s3, v14, v20
	v_add_co_ci_u32_e64 v15, s3, 0, v15, s3
	s_delay_alu instid0(VALU_DEP_4) | instskip(NEXT) | instid1(VALU_DEP_1)
	v_add_co_u32 v12, s3, s16, v12
	v_add_co_ci_u32_e64 v13, s3, s17, v13, s3
	s_delay_alu instid0(VALU_DEP_4)
	v_add_co_u32 v14, s3, s22, v14
	v_add_nc_u32_e32 v7, v6, v4
	v_add_co_ci_u32_e64 v15, s3, s23, v15, s3
	v_add_nc_u32_e32 v16, 0x400, v6
	v_add_nc_u32_e32 v17, 0x800, v6
	;; [unrolled: 1-line block ×3, first 2 shown]
	s_and_b32 s9, s2, vcc_lo
	s_mov_b64 s[2:3], 0
	s_mov_b64 s[6:7], 0
	s_branch .LBB1849_5
.LBB1849_4:                             ;   in Loop: Header=BB1849_5 Depth=1
	s_or_b32 exec_lo, exec_lo, s10
	s_add_u32 s6, s6, 32
	s_addc_u32 s7, s7, 0
	s_add_u32 s2, s2, 0x80
	v_cmp_lt_i64_e64 s10, s[6:7], s[4:5]
	s_addc_u32 s3, s3, 0
	s_waitcnt_vscnt null, 0x0
	s_barrier
	buffer_gl0_inv
	s_and_b32 vcc_lo, exec_lo, s10
	s_cbranch_vccz .LBB1849_17
.LBB1849_5:                             ; =>This Inner Loop Header: Depth=1
	v_add_co_u32 v19, s10, v2, s6
	s_delay_alu instid0(VALU_DEP_1) | instskip(NEXT) | instid1(VALU_DEP_1)
	v_add_co_ci_u32_e64 v20, null, 0, s7, s10
	v_cmp_gt_i64_e32 vcc_lo, s[4:5], v[19:20]
	v_mov_b32_e32 v19, 0
	s_and_b32 s10, s0, vcc_lo
	s_delay_alu instid0(SALU_CYCLE_1)
	s_and_saveexec_b32 s11, s10
	s_cbranch_execz .LBB1849_7
; %bb.6:                                ;   in Loop: Header=BB1849_5 Depth=1
	v_add_co_u32 v19, vcc_lo, v12, s2
	v_add_co_ci_u32_e32 v20, vcc_lo, s3, v13, vcc_lo
	global_load_b32 v19, v[19:20], off
.LBB1849_7:                             ;   in Loop: Header=BB1849_5 Depth=1
	s_or_b32 exec_lo, exec_lo, s11
	v_add_co_u32 v20, s11, v3, s6
	s_delay_alu instid0(VALU_DEP_1)
	v_add_co_ci_u32_e64 v21, null, 0, s7, s11
	s_waitcnt vmcnt(0)
	ds_store_b32 v5, v19
	v_cmp_gt_i64_e32 vcc_lo, s[4:5], v[20:21]
	v_mov_b32_e32 v20, 0
	s_and_b32 s11, s1, vcc_lo
	s_delay_alu instid0(SALU_CYCLE_1)
	s_and_saveexec_b32 s12, s11
	s_cbranch_execz .LBB1849_9
; %bb.8:                                ;   in Loop: Header=BB1849_5 Depth=1
	v_add_co_u32 v19, vcc_lo, v8, s2
	v_add_co_ci_u32_e32 v20, vcc_lo, s3, v9, vcc_lo
	global_load_b32 v20, v[19:20], off
.LBB1849_9:                             ;   in Loop: Header=BB1849_5 Depth=1
	s_or_b32 exec_lo, exec_lo, s12
	s_waitcnt vmcnt(0)
	ds_store_b32 v7, v20
	s_waitcnt lgkmcnt(0)
	s_barrier
	buffer_gl0_inv
	s_and_saveexec_b32 s12, s9
	s_cbranch_execz .LBB1849_11
; %bb.10:                               ;   in Loop: Header=BB1849_5 Depth=1
	global_load_b32 v33, v[0:1], off
	ds_load_2addr_b32 v[27:28], v6 offset1:32
	ds_load_b128 v[19:22], v4
	ds_load_2addr_b32 v[29:30], v6 offset0:64 offset1:96
	ds_load_b128 v[23:26], v4 offset:16
	ds_load_2addr_b32 v[31:32], v6 offset0:128 offset1:160
	s_waitcnt lgkmcnt(3)
	v_fma_f32 v34, v19, v27, 0
	s_delay_alu instid0(VALU_DEP_1) | instskip(SKIP_3) | instid1(VALU_DEP_1)
	v_fmac_f32_e32 v34, v20, v28
	ds_load_2addr_b32 v[27:28], v6 offset0:192 offset1:224
	s_waitcnt lgkmcnt(3)
	v_fmac_f32_e32 v34, v21, v29
	v_fmac_f32_e32 v34, v22, v30
	ds_load_2addr_b32 v[29:30], v16 offset1:32
	ds_load_b128 v[19:22], v4 offset:32
	s_waitcnt lgkmcnt(3)
	v_fmac_f32_e32 v34, v23, v31
	s_delay_alu instid0(VALU_DEP_1) | instskip(SKIP_3) | instid1(VALU_DEP_1)
	v_fmac_f32_e32 v34, v24, v32
	ds_load_2addr_b32 v[31:32], v16 offset0:64 offset1:96
	s_waitcnt lgkmcnt(3)
	v_fmac_f32_e32 v34, v25, v27
	v_fmac_f32_e32 v34, v26, v28
	ds_load_b128 v[23:26], v4 offset:48
	ds_load_2addr_b32 v[27:28], v16 offset0:128 offset1:160
	s_waitcnt lgkmcnt(3)
	v_fmac_f32_e32 v34, v19, v29
	s_delay_alu instid0(VALU_DEP_1) | instskip(SKIP_3) | instid1(VALU_DEP_1)
	v_fmac_f32_e32 v34, v20, v30
	ds_load_2addr_b32 v[29:30], v16 offset0:192 offset1:224
	s_waitcnt lgkmcnt(3)
	v_fmac_f32_e32 v34, v21, v31
	v_fmac_f32_e32 v34, v22, v32
	ds_load_2addr_b32 v[31:32], v17 offset1:32
	ds_load_b128 v[19:22], v4 offset:64
	s_waitcnt lgkmcnt(3)
	v_fmac_f32_e32 v34, v23, v27
	s_delay_alu instid0(VALU_DEP_1) | instskip(SKIP_3) | instid1(VALU_DEP_1)
	v_fmac_f32_e32 v34, v24, v28
	ds_load_2addr_b32 v[27:28], v17 offset0:64 offset1:96
	s_waitcnt lgkmcnt(3)
	v_fmac_f32_e32 v34, v25, v29
	v_fmac_f32_e32 v34, v26, v30
	ds_load_b128 v[23:26], v4 offset:80
	ds_load_2addr_b32 v[29:30], v17 offset0:128 offset1:160
	s_waitcnt lgkmcnt(3)
	v_fmac_f32_e32 v34, v19, v31
	;; [unrolled: 20-line block ×3, first 2 shown]
	s_delay_alu instid0(VALU_DEP_1) | instskip(SKIP_3) | instid1(VALU_DEP_1)
	v_fmac_f32_e32 v34, v20, v28
	ds_load_2addr_b32 v[19:20], v18 offset0:192 offset1:224
	s_waitcnt lgkmcnt(3)
	v_fmac_f32_e32 v34, v21, v29
	v_fmac_f32_e32 v34, v22, v30
	s_waitcnt lgkmcnt(1)
	s_delay_alu instid0(VALU_DEP_1) | instskip(NEXT) | instid1(VALU_DEP_1)
	v_fmac_f32_e32 v34, v23, v31
	v_fmac_f32_e32 v34, v24, v32
	s_waitcnt lgkmcnt(0)
	s_delay_alu instid0(VALU_DEP_1) | instskip(NEXT) | instid1(VALU_DEP_1)
	v_fmac_f32_e32 v34, v25, v19
	v_fmac_f32_e32 v34, v26, v20
	s_waitcnt vmcnt(0)
	s_delay_alu instid0(VALU_DEP_1)
	v_fmac_f32_e32 v33, s8, v34
	global_store_b32 v[0:1], v33, off
.LBB1849_11:                            ;   in Loop: Header=BB1849_5 Depth=1
	s_or_b32 exec_lo, exec_lo, s12
	v_dual_mov_b32 v19, 0 :: v_dual_mov_b32 v20, 0
	s_waitcnt_vscnt null, 0x0
	s_barrier
	buffer_gl0_inv
	s_and_saveexec_b32 s12, s10
	s_cbranch_execz .LBB1849_13
; %bb.12:                               ;   in Loop: Header=BB1849_5 Depth=1
	v_add_co_u32 v20, vcc_lo, v14, s2
	v_add_co_ci_u32_e32 v21, vcc_lo, s3, v15, vcc_lo
	global_load_b32 v20, v[20:21], off
.LBB1849_13:                            ;   in Loop: Header=BB1849_5 Depth=1
	s_or_b32 exec_lo, exec_lo, s12
	s_waitcnt vmcnt(0)
	ds_store_b32 v5, v20
	s_and_saveexec_b32 s10, s11
	s_cbranch_execz .LBB1849_15
; %bb.14:                               ;   in Loop: Header=BB1849_5 Depth=1
	v_add_co_u32 v19, vcc_lo, v10, s2
	v_add_co_ci_u32_e32 v20, vcc_lo, s3, v11, vcc_lo
	global_load_b32 v19, v[19:20], off
.LBB1849_15:                            ;   in Loop: Header=BB1849_5 Depth=1
	s_or_b32 exec_lo, exec_lo, s10
	s_waitcnt vmcnt(0)
	ds_store_b32 v7, v19
	s_waitcnt lgkmcnt(0)
	s_barrier
	buffer_gl0_inv
	s_and_saveexec_b32 s10, s9
	s_cbranch_execz .LBB1849_4
; %bb.16:                               ;   in Loop: Header=BB1849_5 Depth=1
	global_load_b32 v33, v[0:1], off
	ds_load_2addr_b32 v[27:28], v6 offset1:32
	ds_load_b128 v[19:22], v4
	ds_load_2addr_b32 v[29:30], v6 offset0:64 offset1:96
	ds_load_b128 v[23:26], v4 offset:16
	ds_load_2addr_b32 v[31:32], v6 offset0:128 offset1:160
	s_waitcnt lgkmcnt(3)
	v_fma_f32 v34, v19, v27, 0
	s_delay_alu instid0(VALU_DEP_1) | instskip(SKIP_3) | instid1(VALU_DEP_1)
	v_fmac_f32_e32 v34, v20, v28
	ds_load_2addr_b32 v[27:28], v6 offset0:192 offset1:224
	s_waitcnt lgkmcnt(3)
	v_fmac_f32_e32 v34, v21, v29
	v_fmac_f32_e32 v34, v22, v30
	ds_load_2addr_b32 v[29:30], v16 offset1:32
	ds_load_b128 v[19:22], v4 offset:32
	s_waitcnt lgkmcnt(3)
	v_fmac_f32_e32 v34, v23, v31
	s_delay_alu instid0(VALU_DEP_1) | instskip(SKIP_3) | instid1(VALU_DEP_1)
	v_fmac_f32_e32 v34, v24, v32
	ds_load_2addr_b32 v[31:32], v16 offset0:64 offset1:96
	s_waitcnt lgkmcnt(3)
	v_fmac_f32_e32 v34, v25, v27
	v_fmac_f32_e32 v34, v26, v28
	ds_load_b128 v[23:26], v4 offset:48
	ds_load_2addr_b32 v[27:28], v16 offset0:128 offset1:160
	s_waitcnt lgkmcnt(3)
	v_fmac_f32_e32 v34, v19, v29
	s_delay_alu instid0(VALU_DEP_1) | instskip(SKIP_3) | instid1(VALU_DEP_1)
	v_fmac_f32_e32 v34, v20, v30
	ds_load_2addr_b32 v[29:30], v16 offset0:192 offset1:224
	s_waitcnt lgkmcnt(3)
	v_fmac_f32_e32 v34, v21, v31
	v_fmac_f32_e32 v34, v22, v32
	ds_load_2addr_b32 v[31:32], v17 offset1:32
	ds_load_b128 v[19:22], v4 offset:64
	s_waitcnt lgkmcnt(3)
	v_fmac_f32_e32 v34, v23, v27
	s_delay_alu instid0(VALU_DEP_1) | instskip(SKIP_3) | instid1(VALU_DEP_1)
	v_fmac_f32_e32 v34, v24, v28
	ds_load_2addr_b32 v[27:28], v17 offset0:64 offset1:96
	s_waitcnt lgkmcnt(3)
	v_fmac_f32_e32 v34, v25, v29
	v_fmac_f32_e32 v34, v26, v30
	ds_load_b128 v[23:26], v4 offset:80
	ds_load_2addr_b32 v[29:30], v17 offset0:128 offset1:160
	s_waitcnt lgkmcnt(3)
	v_fmac_f32_e32 v34, v19, v31
	;; [unrolled: 20-line block ×3, first 2 shown]
	s_delay_alu instid0(VALU_DEP_1) | instskip(SKIP_3) | instid1(VALU_DEP_1)
	v_fmac_f32_e32 v34, v20, v28
	ds_load_2addr_b32 v[19:20], v18 offset0:192 offset1:224
	s_waitcnt lgkmcnt(3)
	v_fmac_f32_e32 v34, v21, v29
	v_fmac_f32_e32 v34, v22, v30
	s_waitcnt lgkmcnt(1)
	s_delay_alu instid0(VALU_DEP_1) | instskip(NEXT) | instid1(VALU_DEP_1)
	v_fmac_f32_e32 v34, v23, v31
	v_fmac_f32_e32 v34, v24, v32
	s_waitcnt lgkmcnt(0)
	s_delay_alu instid0(VALU_DEP_1) | instskip(NEXT) | instid1(VALU_DEP_1)
	v_fmac_f32_e32 v34, v25, v19
	v_fmac_f32_e32 v34, v26, v20
	s_waitcnt vmcnt(0)
	s_delay_alu instid0(VALU_DEP_1)
	v_fmac_f32_e32 v33, s8, v34
	global_store_b32 v[0:1], v33, off
	s_branch .LBB1849_4
.LBB1849_17:
	s_endpgm
	.section	.rodata,"a",@progbits
	.p2align	6, 0x0
	.amdhsa_kernel _ZL26rocblas_syr2k_her2k_kernelIlLb1ELb0ELb1ELi32EfPKfPfEvbiT_T4_T5_S3_lS5_S3_lT6_S3_li
		.amdhsa_group_segment_fixed_size 8192
		.amdhsa_private_segment_fixed_size 0
		.amdhsa_kernarg_size 100
		.amdhsa_user_sgpr_count 13
		.amdhsa_user_sgpr_dispatch_ptr 0
		.amdhsa_user_sgpr_queue_ptr 0
		.amdhsa_user_sgpr_kernarg_segment_ptr 1
		.amdhsa_user_sgpr_dispatch_id 0
		.amdhsa_user_sgpr_private_segment_size 0
		.amdhsa_wavefront_size32 1
		.amdhsa_uses_dynamic_stack 0
		.amdhsa_enable_private_segment 0
		.amdhsa_system_sgpr_workgroup_id_x 1
		.amdhsa_system_sgpr_workgroup_id_y 1
		.amdhsa_system_sgpr_workgroup_id_z 1
		.amdhsa_system_sgpr_workgroup_info 0
		.amdhsa_system_vgpr_workitem_id 1
		.amdhsa_next_free_vgpr 35
		.amdhsa_next_free_sgpr 32
		.amdhsa_reserve_vcc 1
		.amdhsa_float_round_mode_32 0
		.amdhsa_float_round_mode_16_64 0
		.amdhsa_float_denorm_mode_32 3
		.amdhsa_float_denorm_mode_16_64 3
		.amdhsa_dx10_clamp 1
		.amdhsa_ieee_mode 1
		.amdhsa_fp16_overflow 0
		.amdhsa_workgroup_processor_mode 1
		.amdhsa_memory_ordered 1
		.amdhsa_forward_progress 0
		.amdhsa_shared_vgpr_count 0
		.amdhsa_exception_fp_ieee_invalid_op 0
		.amdhsa_exception_fp_denorm_src 0
		.amdhsa_exception_fp_ieee_div_zero 0
		.amdhsa_exception_fp_ieee_overflow 0
		.amdhsa_exception_fp_ieee_underflow 0
		.amdhsa_exception_fp_ieee_inexact 0
		.amdhsa_exception_int_div_zero 0
	.end_amdhsa_kernel
	.section	.text._ZL26rocblas_syr2k_her2k_kernelIlLb1ELb0ELb1ELi32EfPKfPfEvbiT_T4_T5_S3_lS5_S3_lT6_S3_li,"axG",@progbits,_ZL26rocblas_syr2k_her2k_kernelIlLb1ELb0ELb1ELi32EfPKfPfEvbiT_T4_T5_S3_lS5_S3_lT6_S3_li,comdat
.Lfunc_end1849:
	.size	_ZL26rocblas_syr2k_her2k_kernelIlLb1ELb0ELb1ELi32EfPKfPfEvbiT_T4_T5_S3_lS5_S3_lT6_S3_li, .Lfunc_end1849-_ZL26rocblas_syr2k_her2k_kernelIlLb1ELb0ELb1ELi32EfPKfPfEvbiT_T4_T5_S3_lS5_S3_lT6_S3_li
                                        ; -- End function
	.section	.AMDGPU.csdata,"",@progbits
; Kernel info:
; codeLenInByte = 2132
; NumSgprs: 34
; NumVgprs: 35
; ScratchSize: 0
; MemoryBound: 0
; FloatMode: 240
; IeeeMode: 1
; LDSByteSize: 8192 bytes/workgroup (compile time only)
; SGPRBlocks: 4
; VGPRBlocks: 4
; NumSGPRsForWavesPerEU: 34
; NumVGPRsForWavesPerEU: 35
; Occupancy: 16
; WaveLimiterHint : 0
; COMPUTE_PGM_RSRC2:SCRATCH_EN: 0
; COMPUTE_PGM_RSRC2:USER_SGPR: 13
; COMPUTE_PGM_RSRC2:TRAP_HANDLER: 0
; COMPUTE_PGM_RSRC2:TGID_X_EN: 1
; COMPUTE_PGM_RSRC2:TGID_Y_EN: 1
; COMPUTE_PGM_RSRC2:TGID_Z_EN: 1
; COMPUTE_PGM_RSRC2:TIDIG_COMP_CNT: 1
	.section	.text._ZL26rocblas_syr2k_her2k_kernelIlLb1ELb0ELb0ELi32EPKfS1_PfEvbiT_T4_T5_S3_lS5_S3_lT6_S3_li,"axG",@progbits,_ZL26rocblas_syr2k_her2k_kernelIlLb1ELb0ELb0ELi32EPKfS1_PfEvbiT_T4_T5_S3_lS5_S3_lT6_S3_li,comdat
	.globl	_ZL26rocblas_syr2k_her2k_kernelIlLb1ELb0ELb0ELi32EPKfS1_PfEvbiT_T4_T5_S3_lS5_S3_lT6_S3_li ; -- Begin function _ZL26rocblas_syr2k_her2k_kernelIlLb1ELb0ELb0ELi32EPKfS1_PfEvbiT_T4_T5_S3_lS5_S3_lT6_S3_li
	.p2align	8
	.type	_ZL26rocblas_syr2k_her2k_kernelIlLb1ELb0ELb0ELi32EPKfS1_PfEvbiT_T4_T5_S3_lS5_S3_lT6_S3_li,@function
_ZL26rocblas_syr2k_her2k_kernelIlLb1ELb0ELb0ELi32EPKfS1_PfEvbiT_T4_T5_S3_lS5_S3_lT6_S3_li: ; @_ZL26rocblas_syr2k_her2k_kernelIlLb1ELb0ELb0ELi32EPKfS1_PfEvbiT_T4_T5_S3_lS5_S3_lT6_S3_li
; %bb.0:
	s_load_b512 s[16:31], s[0:1], 0x8
	s_waitcnt lgkmcnt(0)
	s_load_b32 s8, s[18:19], 0x0
	s_waitcnt lgkmcnt(0)
	v_cmp_eq_f32_e64 s2, s8, 0
	s_delay_alu instid0(VALU_DEP_1)
	s_and_b32 vcc_lo, exec_lo, s2
	s_cbranch_vccnz .LBB1850_17
; %bb.1:
	s_load_b64 s[2:3], s[0:1], 0x0
	s_lshl_b32 s11, s14, 5
	s_lshl_b32 s13, s13, 5
	s_waitcnt lgkmcnt(0)
	s_and_b32 s2, 1, s2
	s_delay_alu instid0(SALU_CYCLE_1) | instskip(SKIP_1) | instid1(SALU_CYCLE_1)
	s_cmp_eq_u32 s2, 1
	s_cselect_b32 s2, -1, 0
	s_and_b32 s4, s2, exec_lo
	s_cselect_b32 s4, s13, s11
	s_cselect_b32 s5, s11, s13
	s_delay_alu instid0(SALU_CYCLE_1)
	s_cmp_gt_i32 s4, s5
	s_cbranch_scc1 .LBB1850_17
; %bb.2:
	v_cmp_lt_i64_e64 s4, s[16:17], 1
	s_delay_alu instid0(VALU_DEP_1)
	s_and_b32 vcc_lo, exec_lo, s4
	s_cbranch_vccnz .LBB1850_17
; %bb.3:
	s_clause 0x1
	s_load_b64 s[18:19], s[0:1], 0x58
	s_load_b128 s[4:7], s[0:1], 0x48
	v_bfe_u32 v2, v0, 10, 10
	v_and_b32_e32 v3, 0x3ff, v0
	s_mul_i32 s1, s15, s25
	s_mul_hi_u32 s9, s15, s24
	s_delay_alu instid0(VALU_DEP_2) | instskip(SKIP_2) | instid1(VALU_DEP_3)
	v_dual_mov_b32 v11, 0 :: v_dual_add_nc_u32 v8, s11, v2
	v_lshlrev_b32_e32 v0, 2, v2
	v_lshlrev_b32_e32 v4, 7, v3
	v_dual_mov_b32 v9, v11 :: v_dual_add_nc_u32 v10, s13, v3
	s_delay_alu instid0(VALU_DEP_4) | instskip(NEXT) | instid1(VALU_DEP_4)
	v_ashrrev_i32_e32 v1, 31, v8
	v_or_b32_e32 v6, 0x1000, v0
	s_delay_alu instid0(VALU_DEP_4) | instskip(NEXT) | instid1(VALU_DEP_4)
	v_add_nc_u32_e32 v5, v4, v0
	v_cndmask_b32_e64 v7, v10, v8, s2
	v_cndmask_b32_e64 v14, v8, v10, s2
	v_max_i32_e32 v12, v10, v8
	s_mul_i32 s0, s15, s24
	s_add_i32 s1, s9, s1
	s_mul_i32 s12, s15, s31
	s_waitcnt lgkmcnt(0)
	v_mul_lo_u32 v16, v1, s6
	v_mul_lo_u32 v17, v8, s7
	v_mad_u64_u32 v[0:1], null, v8, s6, 0
	s_lshl_b64 s[0:1], s[0:1], 2
	s_mul_hi_u32 s14, s15, s30
	s_add_u32 s9, s20, s0
	v_cmp_gt_i32_e32 vcc_lo, s3, v12
	v_cmp_le_i32_e64 s2, v14, v7
	s_mul_i32 s24, s15, s30
	s_delay_alu instid0(VALU_DEP_3)
	v_add3_u32 v1, v1, v17, v16
	v_mov_b32_e32 v16, v10
	v_mad_u64_u32 v[12:13], null, s28, v3, 0
	v_mad_u64_u32 v[14:15], null, s22, v3, 0
	s_addc_u32 s10, s21, s1
	s_add_i32 s25, s14, s12
	s_mul_hi_u32 s14, s15, s18
	s_lshl_b64 s[0:1], s[24:25], 2
	v_lshlrev_b64 v[0:1], 2, v[0:1]
	s_add_u32 s11, s26, s0
	s_addc_u32 s12, s27, s1
	s_mul_i32 s1, s15, s19
	s_mul_i32 s0, s15, s18
	s_add_i32 s1, s14, s1
	v_mad_u64_u32 v[18:19], null, s29, v3, v[13:14]
	s_lshl_b64 s[0:1], s[0:1], 2
	v_ashrrev_i32_e32 v17, 31, v10
	v_mad_u64_u32 v[19:20], null, s22, v2, 0
	v_mad_u64_u32 v[21:22], null, s23, v3, v[15:16]
	s_add_u32 s14, s4, s0
	s_addc_u32 s15, s5, s1
	s_and_b32 s13, s2, vcc_lo
	v_add_co_u32 v22, vcc_lo, s14, v0
	v_add_co_ci_u32_e32 v23, vcc_lo, s15, v1, vcc_lo
	v_lshlrev_b64 v[0:1], 2, v[16:17]
	v_mov_b32_e32 v13, v18
	v_mad_u64_u32 v[17:18], null, s28, v2, 0
	v_dual_mov_b32 v16, v20 :: v_dual_mov_b32 v15, v21
	v_add_nc_u32_e32 v7, v6, v4
	v_add_co_u32 v0, vcc_lo, v22, v0
	v_add_co_ci_u32_e32 v1, vcc_lo, v23, v1, vcc_lo
	s_delay_alu instid0(VALU_DEP_4)
	v_mad_u64_u32 v[20:21], null, s23, v2, v[16:17]
	v_mov_b32_e32 v16, v18
	v_lshlrev_b64 v[12:13], 2, v[12:13]
	v_lshlrev_b64 v[21:22], 2, v[8:9]
	;; [unrolled: 1-line block ×3, first 2 shown]
	s_ashr_i32 s5, s3, 31
	v_mad_u64_u32 v[23:24], null, s29, v2, v[16:17]
	s_mov_b32 s4, s3
	v_add_nc_u32_e32 v16, 0x400, v6
	v_cmp_gt_i64_e64 s1, s[4:5], v[8:9]
	v_add_co_u32 v8, vcc_lo, v12, v21
	v_add_co_ci_u32_e32 v9, vcc_lo, v13, v22, vcc_lo
	v_mov_b32_e32 v18, v23
	v_lshlrev_b64 v[12:13], 2, v[19:20]
	v_lshlrev_b64 v[19:20], 2, v[10:11]
	v_cmp_gt_i64_e64 s0, s[4:5], v[10:11]
	v_add_co_u32 v10, vcc_lo, v14, v21
	v_add_co_ci_u32_e32 v11, vcc_lo, v15, v22, vcc_lo
	v_lshlrev_b64 v[14:15], 2, v[17:18]
	v_add_nc_u32_e32 v17, 0x800, v6
	v_add_co_u32 v12, vcc_lo, v12, v19
	v_add_co_ci_u32_e32 v13, vcc_lo, v13, v20, vcc_lo
	s_delay_alu instid0(VALU_DEP_4)
	v_add_co_u32 v14, vcc_lo, v14, v19
	v_add_co_ci_u32_e32 v15, vcc_lo, v15, v20, vcc_lo
	v_add_nc_u32_e32 v18, 0xc00, v6
	s_lshl_b64 s[2:3], s[28:29], 7
	s_lshl_b64 s[4:5], s[22:23], 7
	s_mov_b64 s[6:7], 0
	s_branch .LBB1850_5
.LBB1850_4:                             ;   in Loop: Header=BB1850_5 Depth=1
	s_or_b32 exec_lo, exec_lo, s14
	s_add_u32 s6, s6, 32
	s_addc_u32 s7, s7, 0
	s_add_u32 s11, s11, s2
	v_cmp_lt_i64_e64 s14, s[6:7], s[16:17]
	s_addc_u32 s12, s12, s3
	s_add_u32 s9, s9, s4
	s_addc_u32 s10, s10, s5
	s_waitcnt_vscnt null, 0x0
	s_barrier
	s_and_b32 vcc_lo, exec_lo, s14
	buffer_gl0_inv
	s_cbranch_vccz .LBB1850_17
.LBB1850_5:                             ; =>This Inner Loop Header: Depth=1
	v_add_co_u32 v19, s14, v2, s6
	s_delay_alu instid0(VALU_DEP_1) | instskip(NEXT) | instid1(VALU_DEP_1)
	v_add_co_ci_u32_e64 v20, null, 0, s7, s14
	v_cmp_gt_i64_e32 vcc_lo, s[16:17], v[19:20]
	v_mov_b32_e32 v19, 0
	s_and_b32 s14, s0, vcc_lo
	s_delay_alu instid0(SALU_CYCLE_1)
	s_and_saveexec_b32 s15, s14
	s_cbranch_execz .LBB1850_7
; %bb.6:                                ;   in Loop: Header=BB1850_5 Depth=1
	v_add_co_u32 v19, vcc_lo, s9, v12
	v_add_co_ci_u32_e32 v20, vcc_lo, s10, v13, vcc_lo
	global_load_b32 v19, v[19:20], off
.LBB1850_7:                             ;   in Loop: Header=BB1850_5 Depth=1
	s_or_b32 exec_lo, exec_lo, s15
	v_add_co_u32 v20, s15, v3, s6
	s_delay_alu instid0(VALU_DEP_1)
	v_add_co_ci_u32_e64 v21, null, 0, s7, s15
	s_waitcnt vmcnt(0)
	ds_store_b32 v5, v19
	v_cmp_gt_i64_e32 vcc_lo, s[16:17], v[20:21]
	v_mov_b32_e32 v20, 0
	s_and_b32 s15, s1, vcc_lo
	s_delay_alu instid0(SALU_CYCLE_1)
	s_and_saveexec_b32 s18, s15
	s_cbranch_execz .LBB1850_9
; %bb.8:                                ;   in Loop: Header=BB1850_5 Depth=1
	v_add_co_u32 v19, vcc_lo, s11, v8
	v_add_co_ci_u32_e32 v20, vcc_lo, s12, v9, vcc_lo
	global_load_b32 v20, v[19:20], off
.LBB1850_9:                             ;   in Loop: Header=BB1850_5 Depth=1
	s_or_b32 exec_lo, exec_lo, s18
	s_waitcnt vmcnt(0)
	ds_store_b32 v7, v20
	s_waitcnt lgkmcnt(0)
	s_barrier
	buffer_gl0_inv
	s_and_saveexec_b32 s18, s13
	s_cbranch_execz .LBB1850_11
; %bb.10:                               ;   in Loop: Header=BB1850_5 Depth=1
	global_load_b32 v33, v[0:1], off
	ds_load_2addr_b32 v[27:28], v6 offset1:32
	ds_load_b128 v[19:22], v4
	ds_load_2addr_b32 v[29:30], v6 offset0:64 offset1:96
	ds_load_b128 v[23:26], v4 offset:16
	ds_load_2addr_b32 v[31:32], v6 offset0:128 offset1:160
	s_waitcnt lgkmcnt(3)
	v_fma_f32 v34, v19, v27, 0
	s_delay_alu instid0(VALU_DEP_1) | instskip(SKIP_3) | instid1(VALU_DEP_1)
	v_fmac_f32_e32 v34, v20, v28
	ds_load_2addr_b32 v[27:28], v6 offset0:192 offset1:224
	s_waitcnt lgkmcnt(3)
	v_fmac_f32_e32 v34, v21, v29
	v_fmac_f32_e32 v34, v22, v30
	ds_load_2addr_b32 v[29:30], v16 offset1:32
	ds_load_b128 v[19:22], v4 offset:32
	s_waitcnt lgkmcnt(3)
	v_fmac_f32_e32 v34, v23, v31
	s_delay_alu instid0(VALU_DEP_1) | instskip(SKIP_3) | instid1(VALU_DEP_1)
	v_fmac_f32_e32 v34, v24, v32
	ds_load_2addr_b32 v[31:32], v16 offset0:64 offset1:96
	s_waitcnt lgkmcnt(3)
	v_fmac_f32_e32 v34, v25, v27
	v_fmac_f32_e32 v34, v26, v28
	ds_load_b128 v[23:26], v4 offset:48
	ds_load_2addr_b32 v[27:28], v16 offset0:128 offset1:160
	s_waitcnt lgkmcnt(3)
	v_fmac_f32_e32 v34, v19, v29
	s_delay_alu instid0(VALU_DEP_1) | instskip(SKIP_3) | instid1(VALU_DEP_1)
	v_fmac_f32_e32 v34, v20, v30
	ds_load_2addr_b32 v[29:30], v16 offset0:192 offset1:224
	s_waitcnt lgkmcnt(3)
	v_fmac_f32_e32 v34, v21, v31
	v_fmac_f32_e32 v34, v22, v32
	ds_load_2addr_b32 v[31:32], v17 offset1:32
	ds_load_b128 v[19:22], v4 offset:64
	s_waitcnt lgkmcnt(3)
	v_fmac_f32_e32 v34, v23, v27
	s_delay_alu instid0(VALU_DEP_1) | instskip(SKIP_3) | instid1(VALU_DEP_1)
	v_fmac_f32_e32 v34, v24, v28
	ds_load_2addr_b32 v[27:28], v17 offset0:64 offset1:96
	s_waitcnt lgkmcnt(3)
	v_fmac_f32_e32 v34, v25, v29
	v_fmac_f32_e32 v34, v26, v30
	ds_load_b128 v[23:26], v4 offset:80
	ds_load_2addr_b32 v[29:30], v17 offset0:128 offset1:160
	s_waitcnt lgkmcnt(3)
	v_fmac_f32_e32 v34, v19, v31
	s_delay_alu instid0(VALU_DEP_1) | instskip(SKIP_3) | instid1(VALU_DEP_1)
	v_fmac_f32_e32 v34, v20, v32
	ds_load_2addr_b32 v[31:32], v17 offset0:192 offset1:224
	s_waitcnt lgkmcnt(3)
	v_fmac_f32_e32 v34, v21, v27
	v_fmac_f32_e32 v34, v22, v28
	ds_load_2addr_b32 v[27:28], v18 offset1:32
	ds_load_b128 v[19:22], v4 offset:96
	s_waitcnt lgkmcnt(3)
	v_fmac_f32_e32 v34, v23, v29
	s_delay_alu instid0(VALU_DEP_1) | instskip(SKIP_3) | instid1(VALU_DEP_1)
	v_fmac_f32_e32 v34, v24, v30
	ds_load_2addr_b32 v[29:30], v18 offset0:64 offset1:96
	s_waitcnt lgkmcnt(3)
	v_fmac_f32_e32 v34, v25, v31
	v_fmac_f32_e32 v34, v26, v32
	ds_load_b128 v[23:26], v4 offset:112
	ds_load_2addr_b32 v[31:32], v18 offset0:128 offset1:160
	s_waitcnt lgkmcnt(3)
	v_fmac_f32_e32 v34, v19, v27
	s_delay_alu instid0(VALU_DEP_1) | instskip(SKIP_3) | instid1(VALU_DEP_1)
	v_fmac_f32_e32 v34, v20, v28
	ds_load_2addr_b32 v[19:20], v18 offset0:192 offset1:224
	s_waitcnt lgkmcnt(3)
	v_fmac_f32_e32 v34, v21, v29
	v_fmac_f32_e32 v34, v22, v30
	s_waitcnt lgkmcnt(1)
	s_delay_alu instid0(VALU_DEP_1) | instskip(NEXT) | instid1(VALU_DEP_1)
	v_fmac_f32_e32 v34, v23, v31
	v_fmac_f32_e32 v34, v24, v32
	s_waitcnt lgkmcnt(0)
	s_delay_alu instid0(VALU_DEP_1) | instskip(NEXT) | instid1(VALU_DEP_1)
	v_fmac_f32_e32 v34, v25, v19
	v_fmac_f32_e32 v34, v26, v20
	s_waitcnt vmcnt(0)
	s_delay_alu instid0(VALU_DEP_1)
	v_fmac_f32_e32 v33, s8, v34
	global_store_b32 v[0:1], v33, off
.LBB1850_11:                            ;   in Loop: Header=BB1850_5 Depth=1
	s_or_b32 exec_lo, exec_lo, s18
	v_dual_mov_b32 v19, 0 :: v_dual_mov_b32 v20, 0
	s_waitcnt_vscnt null, 0x0
	s_barrier
	buffer_gl0_inv
	s_and_saveexec_b32 s18, s14
	s_cbranch_execz .LBB1850_13
; %bb.12:                               ;   in Loop: Header=BB1850_5 Depth=1
	v_add_co_u32 v20, vcc_lo, s11, v14
	v_add_co_ci_u32_e32 v21, vcc_lo, s12, v15, vcc_lo
	global_load_b32 v20, v[20:21], off
.LBB1850_13:                            ;   in Loop: Header=BB1850_5 Depth=1
	s_or_b32 exec_lo, exec_lo, s18
	s_waitcnt vmcnt(0)
	ds_store_b32 v5, v20
	s_and_saveexec_b32 s14, s15
	s_cbranch_execz .LBB1850_15
; %bb.14:                               ;   in Loop: Header=BB1850_5 Depth=1
	v_add_co_u32 v19, vcc_lo, s9, v10
	v_add_co_ci_u32_e32 v20, vcc_lo, s10, v11, vcc_lo
	global_load_b32 v19, v[19:20], off
.LBB1850_15:                            ;   in Loop: Header=BB1850_5 Depth=1
	s_or_b32 exec_lo, exec_lo, s14
	s_waitcnt vmcnt(0)
	ds_store_b32 v7, v19
	s_waitcnt lgkmcnt(0)
	s_barrier
	buffer_gl0_inv
	s_and_saveexec_b32 s14, s13
	s_cbranch_execz .LBB1850_4
; %bb.16:                               ;   in Loop: Header=BB1850_5 Depth=1
	global_load_b32 v33, v[0:1], off
	ds_load_2addr_b32 v[27:28], v6 offset1:32
	ds_load_b128 v[19:22], v4
	ds_load_2addr_b32 v[29:30], v6 offset0:64 offset1:96
	ds_load_b128 v[23:26], v4 offset:16
	ds_load_2addr_b32 v[31:32], v6 offset0:128 offset1:160
	s_waitcnt lgkmcnt(3)
	v_fma_f32 v34, v19, v27, 0
	s_delay_alu instid0(VALU_DEP_1) | instskip(SKIP_3) | instid1(VALU_DEP_1)
	v_fmac_f32_e32 v34, v20, v28
	ds_load_2addr_b32 v[27:28], v6 offset0:192 offset1:224
	s_waitcnt lgkmcnt(3)
	v_fmac_f32_e32 v34, v21, v29
	v_fmac_f32_e32 v34, v22, v30
	ds_load_2addr_b32 v[29:30], v16 offset1:32
	ds_load_b128 v[19:22], v4 offset:32
	s_waitcnt lgkmcnt(3)
	v_fmac_f32_e32 v34, v23, v31
	s_delay_alu instid0(VALU_DEP_1) | instskip(SKIP_3) | instid1(VALU_DEP_1)
	v_fmac_f32_e32 v34, v24, v32
	ds_load_2addr_b32 v[31:32], v16 offset0:64 offset1:96
	s_waitcnt lgkmcnt(3)
	v_fmac_f32_e32 v34, v25, v27
	v_fmac_f32_e32 v34, v26, v28
	ds_load_b128 v[23:26], v4 offset:48
	ds_load_2addr_b32 v[27:28], v16 offset0:128 offset1:160
	s_waitcnt lgkmcnt(3)
	v_fmac_f32_e32 v34, v19, v29
	s_delay_alu instid0(VALU_DEP_1) | instskip(SKIP_3) | instid1(VALU_DEP_1)
	v_fmac_f32_e32 v34, v20, v30
	ds_load_2addr_b32 v[29:30], v16 offset0:192 offset1:224
	s_waitcnt lgkmcnt(3)
	v_fmac_f32_e32 v34, v21, v31
	v_fmac_f32_e32 v34, v22, v32
	ds_load_2addr_b32 v[31:32], v17 offset1:32
	ds_load_b128 v[19:22], v4 offset:64
	s_waitcnt lgkmcnt(3)
	v_fmac_f32_e32 v34, v23, v27
	s_delay_alu instid0(VALU_DEP_1) | instskip(SKIP_3) | instid1(VALU_DEP_1)
	v_fmac_f32_e32 v34, v24, v28
	ds_load_2addr_b32 v[27:28], v17 offset0:64 offset1:96
	s_waitcnt lgkmcnt(3)
	v_fmac_f32_e32 v34, v25, v29
	v_fmac_f32_e32 v34, v26, v30
	ds_load_b128 v[23:26], v4 offset:80
	ds_load_2addr_b32 v[29:30], v17 offset0:128 offset1:160
	s_waitcnt lgkmcnt(3)
	v_fmac_f32_e32 v34, v19, v31
	;; [unrolled: 20-line block ×3, first 2 shown]
	s_delay_alu instid0(VALU_DEP_1) | instskip(SKIP_3) | instid1(VALU_DEP_1)
	v_fmac_f32_e32 v34, v20, v28
	ds_load_2addr_b32 v[19:20], v18 offset0:192 offset1:224
	s_waitcnt lgkmcnt(3)
	v_fmac_f32_e32 v34, v21, v29
	v_fmac_f32_e32 v34, v22, v30
	s_waitcnt lgkmcnt(1)
	s_delay_alu instid0(VALU_DEP_1) | instskip(NEXT) | instid1(VALU_DEP_1)
	v_fmac_f32_e32 v34, v23, v31
	v_fmac_f32_e32 v34, v24, v32
	s_waitcnt lgkmcnt(0)
	s_delay_alu instid0(VALU_DEP_1) | instskip(NEXT) | instid1(VALU_DEP_1)
	v_fmac_f32_e32 v34, v25, v19
	v_fmac_f32_e32 v34, v26, v20
	s_waitcnt vmcnt(0)
	s_delay_alu instid0(VALU_DEP_1)
	v_fmac_f32_e32 v33, s8, v34
	global_store_b32 v[0:1], v33, off
	s_branch .LBB1850_4
.LBB1850_17:
	s_endpgm
	.section	.rodata,"a",@progbits
	.p2align	6, 0x0
	.amdhsa_kernel _ZL26rocblas_syr2k_her2k_kernelIlLb1ELb0ELb0ELi32EPKfS1_PfEvbiT_T4_T5_S3_lS5_S3_lT6_S3_li
		.amdhsa_group_segment_fixed_size 8192
		.amdhsa_private_segment_fixed_size 0
		.amdhsa_kernarg_size 100
		.amdhsa_user_sgpr_count 13
		.amdhsa_user_sgpr_dispatch_ptr 0
		.amdhsa_user_sgpr_queue_ptr 0
		.amdhsa_user_sgpr_kernarg_segment_ptr 1
		.amdhsa_user_sgpr_dispatch_id 0
		.amdhsa_user_sgpr_private_segment_size 0
		.amdhsa_wavefront_size32 1
		.amdhsa_uses_dynamic_stack 0
		.amdhsa_enable_private_segment 0
		.amdhsa_system_sgpr_workgroup_id_x 1
		.amdhsa_system_sgpr_workgroup_id_y 1
		.amdhsa_system_sgpr_workgroup_id_z 1
		.amdhsa_system_sgpr_workgroup_info 0
		.amdhsa_system_vgpr_workitem_id 1
		.amdhsa_next_free_vgpr 35
		.amdhsa_next_free_sgpr 32
		.amdhsa_reserve_vcc 1
		.amdhsa_float_round_mode_32 0
		.amdhsa_float_round_mode_16_64 0
		.amdhsa_float_denorm_mode_32 3
		.amdhsa_float_denorm_mode_16_64 3
		.amdhsa_dx10_clamp 1
		.amdhsa_ieee_mode 1
		.amdhsa_fp16_overflow 0
		.amdhsa_workgroup_processor_mode 1
		.amdhsa_memory_ordered 1
		.amdhsa_forward_progress 0
		.amdhsa_shared_vgpr_count 0
		.amdhsa_exception_fp_ieee_invalid_op 0
		.amdhsa_exception_fp_denorm_src 0
		.amdhsa_exception_fp_ieee_div_zero 0
		.amdhsa_exception_fp_ieee_overflow 0
		.amdhsa_exception_fp_ieee_underflow 0
		.amdhsa_exception_fp_ieee_inexact 0
		.amdhsa_exception_int_div_zero 0
	.end_amdhsa_kernel
	.section	.text._ZL26rocblas_syr2k_her2k_kernelIlLb1ELb0ELb0ELi32EPKfS1_PfEvbiT_T4_T5_S3_lS5_S3_lT6_S3_li,"axG",@progbits,_ZL26rocblas_syr2k_her2k_kernelIlLb1ELb0ELb0ELi32EPKfS1_PfEvbiT_T4_T5_S3_lS5_S3_lT6_S3_li,comdat
.Lfunc_end1850:
	.size	_ZL26rocblas_syr2k_her2k_kernelIlLb1ELb0ELb0ELi32EPKfS1_PfEvbiT_T4_T5_S3_lS5_S3_lT6_S3_li, .Lfunc_end1850-_ZL26rocblas_syr2k_her2k_kernelIlLb1ELb0ELb0ELi32EPKfS1_PfEvbiT_T4_T5_S3_lS5_S3_lT6_S3_li
                                        ; -- End function
	.section	.AMDGPU.csdata,"",@progbits
; Kernel info:
; codeLenInByte = 1972
; NumSgprs: 34
; NumVgprs: 35
; ScratchSize: 0
; MemoryBound: 0
; FloatMode: 240
; IeeeMode: 1
; LDSByteSize: 8192 bytes/workgroup (compile time only)
; SGPRBlocks: 4
; VGPRBlocks: 4
; NumSGPRsForWavesPerEU: 34
; NumVGPRsForWavesPerEU: 35
; Occupancy: 16
; WaveLimiterHint : 0
; COMPUTE_PGM_RSRC2:SCRATCH_EN: 0
; COMPUTE_PGM_RSRC2:USER_SGPR: 13
; COMPUTE_PGM_RSRC2:TRAP_HANDLER: 0
; COMPUTE_PGM_RSRC2:TGID_X_EN: 1
; COMPUTE_PGM_RSRC2:TGID_Y_EN: 1
; COMPUTE_PGM_RSRC2:TGID_Z_EN: 1
; COMPUTE_PGM_RSRC2:TIDIG_COMP_CNT: 1
	.section	.text._ZL26rocblas_syr2k_her2k_kernelIlLb1ELb0ELb1ELi32EPKfS1_PfEvbiT_T4_T5_S3_lS5_S3_lT6_S3_li,"axG",@progbits,_ZL26rocblas_syr2k_her2k_kernelIlLb1ELb0ELb1ELi32EPKfS1_PfEvbiT_T4_T5_S3_lS5_S3_lT6_S3_li,comdat
	.globl	_ZL26rocblas_syr2k_her2k_kernelIlLb1ELb0ELb1ELi32EPKfS1_PfEvbiT_T4_T5_S3_lS5_S3_lT6_S3_li ; -- Begin function _ZL26rocblas_syr2k_her2k_kernelIlLb1ELb0ELb1ELi32EPKfS1_PfEvbiT_T4_T5_S3_lS5_S3_lT6_S3_li
	.p2align	8
	.type	_ZL26rocblas_syr2k_her2k_kernelIlLb1ELb0ELb1ELi32EPKfS1_PfEvbiT_T4_T5_S3_lS5_S3_lT6_S3_li,@function
_ZL26rocblas_syr2k_her2k_kernelIlLb1ELb0ELb1ELi32EPKfS1_PfEvbiT_T4_T5_S3_lS5_S3_lT6_S3_li: ; @_ZL26rocblas_syr2k_her2k_kernelIlLb1ELb0ELb1ELi32EPKfS1_PfEvbiT_T4_T5_S3_lS5_S3_lT6_S3_li
; %bb.0:
	s_load_b512 s[16:31], s[0:1], 0x8
	s_waitcnt lgkmcnt(0)
	s_load_b32 s8, s[18:19], 0x0
	s_waitcnt lgkmcnt(0)
	v_cmp_eq_f32_e64 s2, s8, 0
	s_delay_alu instid0(VALU_DEP_1)
	s_and_b32 vcc_lo, exec_lo, s2
	s_cbranch_vccnz .LBB1851_17
; %bb.1:
	s_load_b64 s[2:3], s[0:1], 0x0
	s_lshl_b32 s9, s14, 5
	s_lshl_b32 s10, s13, 5
	s_waitcnt lgkmcnt(0)
	s_and_b32 s2, 1, s2
	s_delay_alu instid0(SALU_CYCLE_1) | instskip(SKIP_1) | instid1(SALU_CYCLE_1)
	s_cmp_eq_u32 s2, 1
	s_cselect_b32 s2, -1, 0
	s_and_b32 s4, s2, exec_lo
	s_cselect_b32 s4, s10, s9
	s_cselect_b32 s5, s9, s10
	s_delay_alu instid0(SALU_CYCLE_1)
	s_cmp_gt_i32 s4, s5
	s_cbranch_scc1 .LBB1851_17
; %bb.2:
	v_cmp_lt_i64_e64 s4, s[16:17], 1
	s_delay_alu instid0(VALU_DEP_1)
	s_and_b32 vcc_lo, exec_lo, s4
	s_cbranch_vccnz .LBB1851_17
; %bb.3:
	s_clause 0x1
	s_load_b64 s[12:13], s[0:1], 0x58
	s_load_b128 s[4:7], s[0:1], 0x48
	v_bfe_u32 v2, v0, 10, 10
	v_and_b32_e32 v3, 0x3ff, v0
	s_delay_alu instid0(VALU_DEP_2) | instskip(NEXT) | instid1(VALU_DEP_1)
	v_dual_mov_b32 v11, 0 :: v_dual_add_nc_u32 v0, s9, v2
	v_dual_mov_b32 v1, v11 :: v_dual_add_nc_u32 v10, s10, v3
	s_mov_b32 s10, s3
	v_lshlrev_b32_e32 v21, 2, v3
	s_delay_alu instid0(VALU_DEP_3) | instskip(NEXT) | instid1(VALU_DEP_3)
	v_ashrrev_i32_e32 v5, 31, v0
	v_cndmask_b32_e64 v16, v10, v0, s2
	v_cndmask_b32_e64 v17, v0, v10, s2
	v_mad_u64_u32 v[8:9], null, s28, v0, 0
	v_lshlrev_b32_e32 v20, 2, v2
	s_waitcnt lgkmcnt(0)
	s_mul_i32 s1, s15, s13
	s_mul_hi_u32 s2, s15, s12
	s_mul_i32 s0, s15, s12
	s_add_i32 s1, s2, s1
	v_mul_lo_u32 v7, v5, s6
	s_lshl_b64 s[0:1], s[0:1], 2
	v_mul_lo_u32 v14, v0, s7
	v_mad_u64_u32 v[12:13], null, v0, s6, 0
	s_add_u32 s4, s4, s0
	s_addc_u32 s5, s5, s1
	s_ashr_i32 s11, s3, 31
	v_cmp_le_i32_e64 s2, v17, v16
	v_cmp_gt_i64_e64 s1, s[10:11], v[0:1]
	v_mov_b32_e32 v1, v9
	s_delay_alu instid0(VALU_DEP_4)
	v_add3_u32 v13, v13, v14, v7
	v_max_i32_e32 v9, v10, v0
	v_or_b32_e32 v6, 0x1000, v20
	v_cmp_gt_i64_e64 s0, s[10:11], v[10:11]
	v_mad_u64_u32 v[14:15], null, s29, v0, v[1:2]
	v_lshlrev_b64 v[12:13], 2, v[12:13]
	v_cmp_gt_i32_e32 vcc_lo, s3, v9
	v_ashrrev_i32_e32 v11, 31, v10
	s_mul_i32 s6, s31, s15
	s_mul_hi_u32 s7, s30, s15
	s_delay_alu instid0(VALU_DEP_4) | instskip(SKIP_2) | instid1(VALU_DEP_3)
	v_mov_b32_e32 v9, v14
	v_mad_u64_u32 v[14:15], null, s22, v0, 0
	v_add_co_u32 v16, s3, s4, v12
	v_lshlrev_b64 v[8:9], 2, v[8:9]
	v_add_co_ci_u32_e64 v13, s3, s5, v13, s3
	s_add_i32 s5, s7, s6
	s_mul_i32 s4, s30, s15
	s_delay_alu instid0(VALU_DEP_4) | instskip(SKIP_3) | instid1(VALU_DEP_1)
	v_mov_b32_e32 v1, v15
	s_lshl_b64 s[4:5], s[4:5], 2
	v_lshlrev_b64 v[11:12], 2, v[10:11]
	v_add_co_u32 v15, s3, s4, v8
	v_add_co_ci_u32_e64 v17, s3, s5, v9, s3
	v_mad_u64_u32 v[8:9], null, s23, v0, v[1:2]
	s_delay_alu instid0(VALU_DEP_4) | instskip(NEXT) | instid1(VALU_DEP_1)
	v_add_co_u32 v0, s3, v16, v11
	v_add_co_ci_u32_e64 v1, s3, v13, v12, s3
	v_add_co_u32 v9, s3, v15, v21
	s_delay_alu instid0(VALU_DEP_1) | instskip(SKIP_4) | instid1(VALU_DEP_1)
	v_add_co_ci_u32_e64 v13, s3, 0, v17, s3
	v_mov_b32_e32 v15, v8
	v_mad_u64_u32 v[16:17], null, s28, v10, 0
	v_mad_u64_u32 v[11:12], null, s22, v10, 0
	v_add_co_u32 v8, s3, s26, v9
	v_add_co_ci_u32_e64 v9, s3, s27, v13, s3
	v_lshlrev_b64 v[13:14], 2, v[14:15]
	s_mul_i32 s6, s25, s15
	s_mul_hi_u32 s7, s24, s15
	v_mov_b32_e32 v15, v17
	s_add_i32 s7, s7, s6
	s_mul_i32 s6, s24, s15
	v_mad_u64_u32 v[17:18], null, s23, v10, v[12:13]
	s_lshl_b64 s[6:7], s[6:7], 2
	v_mad_u64_u32 v[18:19], null, s29, v10, v[15:16]
	v_add_co_u32 v10, s3, s6, v13
	s_delay_alu instid0(VALU_DEP_1) | instskip(NEXT) | instid1(VALU_DEP_4)
	v_add_co_ci_u32_e64 v13, s3, s7, v14, s3
	v_mov_b32_e32 v12, v17
	s_delay_alu instid0(VALU_DEP_3) | instskip(SKIP_1) | instid1(VALU_DEP_4)
	v_add_co_u32 v10, s3, v10, v21
	v_dual_mov_b32 v17, v18 :: v_dual_lshlrev_b32 v4, 7, v3
	v_add_co_ci_u32_e64 v14, s3, 0, v13, s3
	s_delay_alu instid0(VALU_DEP_4) | instskip(NEXT) | instid1(VALU_DEP_4)
	v_lshlrev_b64 v[12:13], 2, v[11:12]
	v_add_co_u32 v10, s3, s20, v10
	s_delay_alu instid0(VALU_DEP_1) | instskip(SKIP_1) | instid1(VALU_DEP_4)
	v_add_co_ci_u32_e64 v11, s3, s21, v14, s3
	v_lshlrev_b64 v[14:15], 2, v[16:17]
	v_add_co_u32 v12, s3, s6, v12
	s_delay_alu instid0(VALU_DEP_1) | instskip(SKIP_1) | instid1(VALU_DEP_4)
	v_add_co_ci_u32_e64 v13, s3, s7, v13, s3
	v_add_nc_u32_e32 v5, v4, v20
	v_add_co_u32 v14, s3, s4, v14
	s_delay_alu instid0(VALU_DEP_1) | instskip(SKIP_1) | instid1(VALU_DEP_1)
	v_add_co_ci_u32_e64 v15, s3, s5, v15, s3
	v_add_co_u32 v12, s3, v12, v20
	v_add_co_ci_u32_e64 v13, s3, 0, v13, s3
	s_delay_alu instid0(VALU_DEP_4) | instskip(NEXT) | instid1(VALU_DEP_1)
	v_add_co_u32 v14, s3, v14, v20
	v_add_co_ci_u32_e64 v15, s3, 0, v15, s3
	s_delay_alu instid0(VALU_DEP_4) | instskip(NEXT) | instid1(VALU_DEP_1)
	v_add_co_u32 v12, s3, s20, v12
	v_add_co_ci_u32_e64 v13, s3, s21, v13, s3
	s_delay_alu instid0(VALU_DEP_4)
	v_add_co_u32 v14, s3, s26, v14
	v_add_nc_u32_e32 v7, v6, v4
	v_add_co_ci_u32_e64 v15, s3, s27, v15, s3
	v_add_nc_u32_e32 v16, 0x400, v6
	v_add_nc_u32_e32 v17, 0x800, v6
	;; [unrolled: 1-line block ×3, first 2 shown]
	s_and_b32 s6, s2, vcc_lo
	s_mov_b64 s[2:3], 0
	s_mov_b64 s[4:5], 0
	s_branch .LBB1851_5
.LBB1851_4:                             ;   in Loop: Header=BB1851_5 Depth=1
	s_or_b32 exec_lo, exec_lo, s7
	s_add_u32 s4, s4, 32
	s_addc_u32 s5, s5, 0
	s_add_u32 s2, s2, 0x80
	v_cmp_lt_i64_e64 s7, s[4:5], s[16:17]
	s_addc_u32 s3, s3, 0
	s_waitcnt_vscnt null, 0x0
	s_barrier
	buffer_gl0_inv
	s_and_b32 vcc_lo, exec_lo, s7
	s_cbranch_vccz .LBB1851_17
.LBB1851_5:                             ; =>This Inner Loop Header: Depth=1
	v_add_co_u32 v19, s7, v2, s4
	s_delay_alu instid0(VALU_DEP_1) | instskip(NEXT) | instid1(VALU_DEP_1)
	v_add_co_ci_u32_e64 v20, null, 0, s5, s7
	v_cmp_gt_i64_e32 vcc_lo, s[16:17], v[19:20]
	v_mov_b32_e32 v19, 0
	s_and_b32 s7, s0, vcc_lo
	s_delay_alu instid0(SALU_CYCLE_1)
	s_and_saveexec_b32 s9, s7
	s_cbranch_execz .LBB1851_7
; %bb.6:                                ;   in Loop: Header=BB1851_5 Depth=1
	v_add_co_u32 v19, vcc_lo, v12, s2
	v_add_co_ci_u32_e32 v20, vcc_lo, s3, v13, vcc_lo
	global_load_b32 v19, v[19:20], off
.LBB1851_7:                             ;   in Loop: Header=BB1851_5 Depth=1
	s_or_b32 exec_lo, exec_lo, s9
	v_add_co_u32 v20, s9, v3, s4
	s_delay_alu instid0(VALU_DEP_1)
	v_add_co_ci_u32_e64 v21, null, 0, s5, s9
	s_waitcnt vmcnt(0)
	ds_store_b32 v5, v19
	v_cmp_gt_i64_e32 vcc_lo, s[16:17], v[20:21]
	v_mov_b32_e32 v20, 0
	s_and_b32 s9, s1, vcc_lo
	s_delay_alu instid0(SALU_CYCLE_1)
	s_and_saveexec_b32 s10, s9
	s_cbranch_execz .LBB1851_9
; %bb.8:                                ;   in Loop: Header=BB1851_5 Depth=1
	v_add_co_u32 v19, vcc_lo, v8, s2
	v_add_co_ci_u32_e32 v20, vcc_lo, s3, v9, vcc_lo
	global_load_b32 v20, v[19:20], off
.LBB1851_9:                             ;   in Loop: Header=BB1851_5 Depth=1
	s_or_b32 exec_lo, exec_lo, s10
	s_waitcnt vmcnt(0)
	ds_store_b32 v7, v20
	s_waitcnt lgkmcnt(0)
	s_barrier
	buffer_gl0_inv
	s_and_saveexec_b32 s10, s6
	s_cbranch_execz .LBB1851_11
; %bb.10:                               ;   in Loop: Header=BB1851_5 Depth=1
	global_load_b32 v33, v[0:1], off
	ds_load_2addr_b32 v[27:28], v6 offset1:32
	ds_load_b128 v[19:22], v4
	ds_load_2addr_b32 v[29:30], v6 offset0:64 offset1:96
	ds_load_b128 v[23:26], v4 offset:16
	ds_load_2addr_b32 v[31:32], v6 offset0:128 offset1:160
	s_waitcnt lgkmcnt(3)
	v_fma_f32 v34, v19, v27, 0
	s_delay_alu instid0(VALU_DEP_1) | instskip(SKIP_3) | instid1(VALU_DEP_1)
	v_fmac_f32_e32 v34, v20, v28
	ds_load_2addr_b32 v[27:28], v6 offset0:192 offset1:224
	s_waitcnt lgkmcnt(3)
	v_fmac_f32_e32 v34, v21, v29
	v_fmac_f32_e32 v34, v22, v30
	ds_load_2addr_b32 v[29:30], v16 offset1:32
	ds_load_b128 v[19:22], v4 offset:32
	s_waitcnt lgkmcnt(3)
	v_fmac_f32_e32 v34, v23, v31
	s_delay_alu instid0(VALU_DEP_1) | instskip(SKIP_3) | instid1(VALU_DEP_1)
	v_fmac_f32_e32 v34, v24, v32
	ds_load_2addr_b32 v[31:32], v16 offset0:64 offset1:96
	s_waitcnt lgkmcnt(3)
	v_fmac_f32_e32 v34, v25, v27
	v_fmac_f32_e32 v34, v26, v28
	ds_load_b128 v[23:26], v4 offset:48
	ds_load_2addr_b32 v[27:28], v16 offset0:128 offset1:160
	s_waitcnt lgkmcnt(3)
	v_fmac_f32_e32 v34, v19, v29
	s_delay_alu instid0(VALU_DEP_1) | instskip(SKIP_3) | instid1(VALU_DEP_1)
	v_fmac_f32_e32 v34, v20, v30
	ds_load_2addr_b32 v[29:30], v16 offset0:192 offset1:224
	s_waitcnt lgkmcnt(3)
	v_fmac_f32_e32 v34, v21, v31
	v_fmac_f32_e32 v34, v22, v32
	ds_load_2addr_b32 v[31:32], v17 offset1:32
	ds_load_b128 v[19:22], v4 offset:64
	s_waitcnt lgkmcnt(3)
	v_fmac_f32_e32 v34, v23, v27
	s_delay_alu instid0(VALU_DEP_1) | instskip(SKIP_3) | instid1(VALU_DEP_1)
	v_fmac_f32_e32 v34, v24, v28
	ds_load_2addr_b32 v[27:28], v17 offset0:64 offset1:96
	s_waitcnt lgkmcnt(3)
	v_fmac_f32_e32 v34, v25, v29
	v_fmac_f32_e32 v34, v26, v30
	ds_load_b128 v[23:26], v4 offset:80
	ds_load_2addr_b32 v[29:30], v17 offset0:128 offset1:160
	s_waitcnt lgkmcnt(3)
	v_fmac_f32_e32 v34, v19, v31
	;; [unrolled: 20-line block ×3, first 2 shown]
	s_delay_alu instid0(VALU_DEP_1) | instskip(SKIP_3) | instid1(VALU_DEP_1)
	v_fmac_f32_e32 v34, v20, v28
	ds_load_2addr_b32 v[19:20], v18 offset0:192 offset1:224
	s_waitcnt lgkmcnt(3)
	v_fmac_f32_e32 v34, v21, v29
	v_fmac_f32_e32 v34, v22, v30
	s_waitcnt lgkmcnt(1)
	s_delay_alu instid0(VALU_DEP_1) | instskip(NEXT) | instid1(VALU_DEP_1)
	v_fmac_f32_e32 v34, v23, v31
	v_fmac_f32_e32 v34, v24, v32
	s_waitcnt lgkmcnt(0)
	s_delay_alu instid0(VALU_DEP_1) | instskip(NEXT) | instid1(VALU_DEP_1)
	v_fmac_f32_e32 v34, v25, v19
	v_fmac_f32_e32 v34, v26, v20
	s_waitcnt vmcnt(0)
	s_delay_alu instid0(VALU_DEP_1)
	v_fmac_f32_e32 v33, s8, v34
	global_store_b32 v[0:1], v33, off
.LBB1851_11:                            ;   in Loop: Header=BB1851_5 Depth=1
	s_or_b32 exec_lo, exec_lo, s10
	v_dual_mov_b32 v19, 0 :: v_dual_mov_b32 v20, 0
	s_waitcnt_vscnt null, 0x0
	s_barrier
	buffer_gl0_inv
	s_and_saveexec_b32 s10, s7
	s_cbranch_execz .LBB1851_13
; %bb.12:                               ;   in Loop: Header=BB1851_5 Depth=1
	v_add_co_u32 v20, vcc_lo, v14, s2
	v_add_co_ci_u32_e32 v21, vcc_lo, s3, v15, vcc_lo
	global_load_b32 v20, v[20:21], off
.LBB1851_13:                            ;   in Loop: Header=BB1851_5 Depth=1
	s_or_b32 exec_lo, exec_lo, s10
	s_waitcnt vmcnt(0)
	ds_store_b32 v5, v20
	s_and_saveexec_b32 s7, s9
	s_cbranch_execz .LBB1851_15
; %bb.14:                               ;   in Loop: Header=BB1851_5 Depth=1
	v_add_co_u32 v19, vcc_lo, v10, s2
	v_add_co_ci_u32_e32 v20, vcc_lo, s3, v11, vcc_lo
	global_load_b32 v19, v[19:20], off
.LBB1851_15:                            ;   in Loop: Header=BB1851_5 Depth=1
	s_or_b32 exec_lo, exec_lo, s7
	s_waitcnt vmcnt(0)
	ds_store_b32 v7, v19
	s_waitcnt lgkmcnt(0)
	s_barrier
	buffer_gl0_inv
	s_and_saveexec_b32 s7, s6
	s_cbranch_execz .LBB1851_4
; %bb.16:                               ;   in Loop: Header=BB1851_5 Depth=1
	global_load_b32 v33, v[0:1], off
	ds_load_2addr_b32 v[27:28], v6 offset1:32
	ds_load_b128 v[19:22], v4
	ds_load_2addr_b32 v[29:30], v6 offset0:64 offset1:96
	ds_load_b128 v[23:26], v4 offset:16
	ds_load_2addr_b32 v[31:32], v6 offset0:128 offset1:160
	s_waitcnt lgkmcnt(3)
	v_fma_f32 v34, v19, v27, 0
	s_delay_alu instid0(VALU_DEP_1) | instskip(SKIP_3) | instid1(VALU_DEP_1)
	v_fmac_f32_e32 v34, v20, v28
	ds_load_2addr_b32 v[27:28], v6 offset0:192 offset1:224
	s_waitcnt lgkmcnt(3)
	v_fmac_f32_e32 v34, v21, v29
	v_fmac_f32_e32 v34, v22, v30
	ds_load_2addr_b32 v[29:30], v16 offset1:32
	ds_load_b128 v[19:22], v4 offset:32
	s_waitcnt lgkmcnt(3)
	v_fmac_f32_e32 v34, v23, v31
	s_delay_alu instid0(VALU_DEP_1) | instskip(SKIP_3) | instid1(VALU_DEP_1)
	v_fmac_f32_e32 v34, v24, v32
	ds_load_2addr_b32 v[31:32], v16 offset0:64 offset1:96
	s_waitcnt lgkmcnt(3)
	v_fmac_f32_e32 v34, v25, v27
	v_fmac_f32_e32 v34, v26, v28
	ds_load_b128 v[23:26], v4 offset:48
	ds_load_2addr_b32 v[27:28], v16 offset0:128 offset1:160
	s_waitcnt lgkmcnt(3)
	v_fmac_f32_e32 v34, v19, v29
	s_delay_alu instid0(VALU_DEP_1) | instskip(SKIP_3) | instid1(VALU_DEP_1)
	v_fmac_f32_e32 v34, v20, v30
	ds_load_2addr_b32 v[29:30], v16 offset0:192 offset1:224
	s_waitcnt lgkmcnt(3)
	v_fmac_f32_e32 v34, v21, v31
	v_fmac_f32_e32 v34, v22, v32
	ds_load_2addr_b32 v[31:32], v17 offset1:32
	ds_load_b128 v[19:22], v4 offset:64
	s_waitcnt lgkmcnt(3)
	v_fmac_f32_e32 v34, v23, v27
	s_delay_alu instid0(VALU_DEP_1) | instskip(SKIP_3) | instid1(VALU_DEP_1)
	v_fmac_f32_e32 v34, v24, v28
	ds_load_2addr_b32 v[27:28], v17 offset0:64 offset1:96
	s_waitcnt lgkmcnt(3)
	v_fmac_f32_e32 v34, v25, v29
	v_fmac_f32_e32 v34, v26, v30
	ds_load_b128 v[23:26], v4 offset:80
	ds_load_2addr_b32 v[29:30], v17 offset0:128 offset1:160
	s_waitcnt lgkmcnt(3)
	v_fmac_f32_e32 v34, v19, v31
	s_delay_alu instid0(VALU_DEP_1) | instskip(SKIP_3) | instid1(VALU_DEP_1)
	v_fmac_f32_e32 v34, v20, v32
	ds_load_2addr_b32 v[31:32], v17 offset0:192 offset1:224
	s_waitcnt lgkmcnt(3)
	v_fmac_f32_e32 v34, v21, v27
	v_fmac_f32_e32 v34, v22, v28
	ds_load_2addr_b32 v[27:28], v18 offset1:32
	ds_load_b128 v[19:22], v4 offset:96
	s_waitcnt lgkmcnt(3)
	v_fmac_f32_e32 v34, v23, v29
	s_delay_alu instid0(VALU_DEP_1) | instskip(SKIP_3) | instid1(VALU_DEP_1)
	v_fmac_f32_e32 v34, v24, v30
	ds_load_2addr_b32 v[29:30], v18 offset0:64 offset1:96
	s_waitcnt lgkmcnt(3)
	v_fmac_f32_e32 v34, v25, v31
	v_fmac_f32_e32 v34, v26, v32
	ds_load_b128 v[23:26], v4 offset:112
	ds_load_2addr_b32 v[31:32], v18 offset0:128 offset1:160
	s_waitcnt lgkmcnt(3)
	v_fmac_f32_e32 v34, v19, v27
	s_delay_alu instid0(VALU_DEP_1) | instskip(SKIP_3) | instid1(VALU_DEP_1)
	v_fmac_f32_e32 v34, v20, v28
	ds_load_2addr_b32 v[19:20], v18 offset0:192 offset1:224
	s_waitcnt lgkmcnt(3)
	v_fmac_f32_e32 v34, v21, v29
	v_fmac_f32_e32 v34, v22, v30
	s_waitcnt lgkmcnt(1)
	s_delay_alu instid0(VALU_DEP_1) | instskip(NEXT) | instid1(VALU_DEP_1)
	v_fmac_f32_e32 v34, v23, v31
	v_fmac_f32_e32 v34, v24, v32
	s_waitcnt lgkmcnt(0)
	s_delay_alu instid0(VALU_DEP_1) | instskip(NEXT) | instid1(VALU_DEP_1)
	v_fmac_f32_e32 v34, v25, v19
	v_fmac_f32_e32 v34, v26, v20
	s_waitcnt vmcnt(0)
	s_delay_alu instid0(VALU_DEP_1)
	v_fmac_f32_e32 v33, s8, v34
	global_store_b32 v[0:1], v33, off
	s_branch .LBB1851_4
.LBB1851_17:
	s_endpgm
	.section	.rodata,"a",@progbits
	.p2align	6, 0x0
	.amdhsa_kernel _ZL26rocblas_syr2k_her2k_kernelIlLb1ELb0ELb1ELi32EPKfS1_PfEvbiT_T4_T5_S3_lS5_S3_lT6_S3_li
		.amdhsa_group_segment_fixed_size 8192
		.amdhsa_private_segment_fixed_size 0
		.amdhsa_kernarg_size 100
		.amdhsa_user_sgpr_count 13
		.amdhsa_user_sgpr_dispatch_ptr 0
		.amdhsa_user_sgpr_queue_ptr 0
		.amdhsa_user_sgpr_kernarg_segment_ptr 1
		.amdhsa_user_sgpr_dispatch_id 0
		.amdhsa_user_sgpr_private_segment_size 0
		.amdhsa_wavefront_size32 1
		.amdhsa_uses_dynamic_stack 0
		.amdhsa_enable_private_segment 0
		.amdhsa_system_sgpr_workgroup_id_x 1
		.amdhsa_system_sgpr_workgroup_id_y 1
		.amdhsa_system_sgpr_workgroup_id_z 1
		.amdhsa_system_sgpr_workgroup_info 0
		.amdhsa_system_vgpr_workitem_id 1
		.amdhsa_next_free_vgpr 35
		.amdhsa_next_free_sgpr 32
		.amdhsa_reserve_vcc 1
		.amdhsa_float_round_mode_32 0
		.amdhsa_float_round_mode_16_64 0
		.amdhsa_float_denorm_mode_32 3
		.amdhsa_float_denorm_mode_16_64 3
		.amdhsa_dx10_clamp 1
		.amdhsa_ieee_mode 1
		.amdhsa_fp16_overflow 0
		.amdhsa_workgroup_processor_mode 1
		.amdhsa_memory_ordered 1
		.amdhsa_forward_progress 0
		.amdhsa_shared_vgpr_count 0
		.amdhsa_exception_fp_ieee_invalid_op 0
		.amdhsa_exception_fp_denorm_src 0
		.amdhsa_exception_fp_ieee_div_zero 0
		.amdhsa_exception_fp_ieee_overflow 0
		.amdhsa_exception_fp_ieee_underflow 0
		.amdhsa_exception_fp_ieee_inexact 0
		.amdhsa_exception_int_div_zero 0
	.end_amdhsa_kernel
	.section	.text._ZL26rocblas_syr2k_her2k_kernelIlLb1ELb0ELb1ELi32EPKfS1_PfEvbiT_T4_T5_S3_lS5_S3_lT6_S3_li,"axG",@progbits,_ZL26rocblas_syr2k_her2k_kernelIlLb1ELb0ELb1ELi32EPKfS1_PfEvbiT_T4_T5_S3_lS5_S3_lT6_S3_li,comdat
.Lfunc_end1851:
	.size	_ZL26rocblas_syr2k_her2k_kernelIlLb1ELb0ELb1ELi32EPKfS1_PfEvbiT_T4_T5_S3_lS5_S3_lT6_S3_li, .Lfunc_end1851-_ZL26rocblas_syr2k_her2k_kernelIlLb1ELb0ELb1ELi32EPKfS1_PfEvbiT_T4_T5_S3_lS5_S3_lT6_S3_li
                                        ; -- End function
	.section	.AMDGPU.csdata,"",@progbits
; Kernel info:
; codeLenInByte = 2132
; NumSgprs: 34
; NumVgprs: 35
; ScratchSize: 0
; MemoryBound: 0
; FloatMode: 240
; IeeeMode: 1
; LDSByteSize: 8192 bytes/workgroup (compile time only)
; SGPRBlocks: 4
; VGPRBlocks: 4
; NumSGPRsForWavesPerEU: 34
; NumVGPRsForWavesPerEU: 35
; Occupancy: 16
; WaveLimiterHint : 0
; COMPUTE_PGM_RSRC2:SCRATCH_EN: 0
; COMPUTE_PGM_RSRC2:USER_SGPR: 13
; COMPUTE_PGM_RSRC2:TRAP_HANDLER: 0
; COMPUTE_PGM_RSRC2:TGID_X_EN: 1
; COMPUTE_PGM_RSRC2:TGID_Y_EN: 1
; COMPUTE_PGM_RSRC2:TGID_Z_EN: 1
; COMPUTE_PGM_RSRC2:TIDIG_COMP_CNT: 1
	.section	.text._ZL26rocblas_syr2k_her2k_kernelIlLb1ELb0ELb0ELi32EdPKdPdEvbiT_T4_T5_S3_lS5_S3_lT6_S3_li,"axG",@progbits,_ZL26rocblas_syr2k_her2k_kernelIlLb1ELb0ELb0ELi32EdPKdPdEvbiT_T4_T5_S3_lS5_S3_lT6_S3_li,comdat
	.globl	_ZL26rocblas_syr2k_her2k_kernelIlLb1ELb0ELb0ELi32EdPKdPdEvbiT_T4_T5_S3_lS5_S3_lT6_S3_li ; -- Begin function _ZL26rocblas_syr2k_her2k_kernelIlLb1ELb0ELb0ELi32EdPKdPdEvbiT_T4_T5_S3_lS5_S3_lT6_S3_li
	.p2align	8
	.type	_ZL26rocblas_syr2k_her2k_kernelIlLb1ELb0ELb0ELi32EdPKdPdEvbiT_T4_T5_S3_lS5_S3_lT6_S3_li,@function
_ZL26rocblas_syr2k_her2k_kernelIlLb1ELb0ELb0ELi32EdPKdPdEvbiT_T4_T5_S3_lS5_S3_lT6_S3_li: ; @_ZL26rocblas_syr2k_her2k_kernelIlLb1ELb0ELb0ELi32EdPKdPdEvbiT_T4_T5_S3_lS5_S3_lT6_S3_li
; %bb.0:
	s_load_b512 s[16:31], s[0:1], 0x8
	s_waitcnt lgkmcnt(0)
	v_cmp_eq_f64_e64 s2, s[18:19], 0
	s_delay_alu instid0(VALU_DEP_1)
	s_and_b32 vcc_lo, exec_lo, s2
	s_cbranch_vccnz .LBB1852_17
; %bb.1:
	s_load_b64 s[2:3], s[0:1], 0x0
	s_lshl_b32 s10, s14, 5
	s_lshl_b32 s12, s13, 5
	s_waitcnt lgkmcnt(0)
	s_and_b32 s2, 1, s2
	s_delay_alu instid0(SALU_CYCLE_1) | instskip(SKIP_1) | instid1(SALU_CYCLE_1)
	s_cmp_eq_u32 s2, 1
	s_cselect_b32 s2, -1, 0
	s_and_b32 s4, s2, exec_lo
	s_cselect_b32 s4, s12, s10
	s_cselect_b32 s5, s10, s12
	s_delay_alu instid0(SALU_CYCLE_1)
	s_cmp_gt_i32 s4, s5
	s_cbranch_scc1 .LBB1852_17
; %bb.2:
	v_cmp_lt_i64_e64 s4, s[16:17], 1
	s_delay_alu instid0(VALU_DEP_1)
	s_and_b32 vcc_lo, exec_lo, s4
	s_cbranch_vccnz .LBB1852_17
; %bb.3:
	s_clause 0x1
	s_load_b64 s[34:35], s[0:1], 0x58
	s_load_b128 s[4:7], s[0:1], 0x48
	v_bfe_u32 v6, v0, 10, 10
	v_and_b32_e32 v7, 0x3ff, v0
	s_mul_i32 s1, s15, s25
	s_mul_hi_u32 s8, s15, s24
	s_delay_alu instid0(VALU_DEP_2) | instskip(SKIP_2) | instid1(VALU_DEP_3)
	v_dual_mov_b32 v5, 0 :: v_dual_add_nc_u32 v2, s10, v6
	v_lshlrev_b32_e32 v0, 3, v6
	v_lshlrev_b32_e32 v8, 8, v7
	v_dual_mov_b32 v3, v5 :: v_dual_add_nc_u32 v4, s12, v7
	s_delay_alu instid0(VALU_DEP_4) | instskip(NEXT) | instid1(VALU_DEP_4)
	v_ashrrev_i32_e32 v1, 31, v2
	v_or_b32_e32 v10, 0x2000, v0
	s_delay_alu instid0(VALU_DEP_4) | instskip(NEXT) | instid1(VALU_DEP_4)
	v_add_nc_u32_e32 v9, v8, v0
	v_cndmask_b32_e64 v11, v4, v2, s2
	v_cndmask_b32_e64 v14, v2, v4, s2
	v_max_i32_e32 v12, v4, v2
	s_mul_i32 s0, s15, s24
	s_add_i32 s1, s8, s1
	s_mul_i32 s11, s15, s31
	s_waitcnt lgkmcnt(0)
	v_mul_lo_u32 v16, v1, s6
	v_mul_lo_u32 v17, v2, s7
	v_mad_u64_u32 v[0:1], null, v2, s6, 0
	s_lshl_b64 s[0:1], s[0:1], 3
	s_mul_hi_u32 s13, s15, s30
	s_add_u32 s8, s20, s0
	v_cmp_gt_i32_e32 vcc_lo, s3, v12
	v_cmp_le_i32_e64 s2, v14, v11
	s_mul_i32 s24, s15, s30
	s_delay_alu instid0(VALU_DEP_3)
	v_add3_u32 v1, v1, v17, v16
	v_mov_b32_e32 v16, v4
	v_mad_u64_u32 v[12:13], null, s28, v7, 0
	v_mad_u64_u32 v[14:15], null, s22, v7, 0
	s_addc_u32 s9, s21, s1
	s_add_i32 s25, s13, s11
	s_mul_hi_u32 s13, s15, s34
	s_lshl_b64 s[0:1], s[24:25], 3
	v_lshlrev_b64 v[0:1], 3, v[0:1]
	s_add_u32 s10, s26, s0
	s_addc_u32 s11, s27, s1
	s_mul_i32 s1, s15, s35
	s_mul_i32 s0, s15, s34
	s_add_i32 s1, s13, s1
	v_mad_u64_u32 v[18:19], null, s29, v7, v[13:14]
	s_lshl_b64 s[0:1], s[0:1], 3
	v_ashrrev_i32_e32 v17, 31, v4
	v_mad_u64_u32 v[19:20], null, s22, v6, 0
	v_mad_u64_u32 v[21:22], null, s23, v7, v[15:16]
	s_add_u32 s13, s4, s0
	s_addc_u32 s14, s5, s1
	s_and_b32 s12, s2, vcc_lo
	v_add_co_u32 v22, vcc_lo, s13, v0
	v_add_co_ci_u32_e32 v23, vcc_lo, s14, v1, vcc_lo
	v_lshlrev_b64 v[0:1], 3, v[16:17]
	v_mov_b32_e32 v13, v18
	v_mad_u64_u32 v[17:18], null, s28, v6, 0
	v_dual_mov_b32 v16, v20 :: v_dual_mov_b32 v15, v21
	v_add_nc_u32_e32 v11, v10, v8
	s_ashr_i32 s5, s3, 31
	s_mov_b32 s4, s3
	v_add_co_u32 v0, vcc_lo, v22, v0
	s_delay_alu instid0(VALU_DEP_4)
	v_mad_u64_u32 v[20:21], null, s23, v6, v[16:17]
	v_mov_b32_e32 v16, v18
	v_cmp_gt_i64_e64 s1, s[4:5], v[2:3]
	v_lshlrev_b64 v[12:13], 3, v[12:13]
	v_lshlrev_b64 v[2:3], 3, v[2:3]
	;; [unrolled: 1-line block ×3, first 2 shown]
	v_mad_u64_u32 v[21:22], null, s29, v6, v[16:17]
	v_add_co_ci_u32_e32 v1, vcc_lo, v23, v1, vcc_lo
	s_delay_alu instid0(VALU_DEP_4)
	v_add_co_u32 v12, vcc_lo, v12, v2
	v_cmp_gt_i64_e64 s0, s[4:5], v[4:5]
	v_add_co_ci_u32_e32 v13, vcc_lo, v13, v3, vcc_lo
	v_dual_mov_b32 v18, v21 :: v_dual_add_nc_u32 v21, 0x1000, v10
	v_lshlrev_b64 v[19:20], 3, v[19:20]
	v_lshlrev_b64 v[4:5], 3, v[4:5]
	v_add_co_u32 v14, vcc_lo, v14, v2
	v_add_co_ci_u32_e32 v15, vcc_lo, v15, v3, vcc_lo
	v_lshlrev_b64 v[2:3], 3, v[17:18]
	s_delay_alu instid0(VALU_DEP_4) | instskip(SKIP_2) | instid1(VALU_DEP_4)
	v_add_co_u32 v16, vcc_lo, v19, v4
	v_add_co_ci_u32_e32 v17, vcc_lo, v20, v5, vcc_lo
	v_add_nc_u32_e32 v20, 0x800, v10
	v_add_co_u32 v18, vcc_lo, v2, v4
	v_add_co_ci_u32_e32 v19, vcc_lo, v3, v5, vcc_lo
	v_add_nc_u32_e32 v22, 0x1800, v10
	s_lshl_b64 s[2:3], s[28:29], 8
	s_lshl_b64 s[4:5], s[22:23], 8
	s_mov_b64 s[6:7], 0
	s_branch .LBB1852_5
.LBB1852_4:                             ;   in Loop: Header=BB1852_5 Depth=1
	s_or_b32 exec_lo, exec_lo, s13
	s_add_u32 s6, s6, 32
	s_addc_u32 s7, s7, 0
	s_add_u32 s10, s10, s2
	v_cmp_lt_i64_e64 s13, s[6:7], s[16:17]
	s_addc_u32 s11, s11, s3
	s_add_u32 s8, s8, s4
	s_addc_u32 s9, s9, s5
	s_waitcnt_vscnt null, 0x0
	s_barrier
	s_and_b32 vcc_lo, exec_lo, s13
	buffer_gl0_inv
	s_cbranch_vccz .LBB1852_17
.LBB1852_5:                             ; =>This Inner Loop Header: Depth=1
	v_add_co_u32 v4, s13, v6, s6
	s_delay_alu instid0(VALU_DEP_1) | instskip(SKIP_2) | instid1(VALU_DEP_3)
	v_add_co_ci_u32_e64 v5, null, 0, s7, s13
	v_mov_b32_e32 v2, 0
	v_mov_b32_e32 v3, 0
	v_cmp_gt_i64_e32 vcc_lo, s[16:17], v[4:5]
	s_delay_alu instid0(VALU_DEP_2) | instskip(SKIP_1) | instid1(SALU_CYCLE_1)
	v_dual_mov_b32 v5, v3 :: v_dual_mov_b32 v4, v2
	s_and_b32 s13, s0, vcc_lo
	s_and_saveexec_b32 s14, s13
	s_cbranch_execz .LBB1852_7
; %bb.6:                                ;   in Loop: Header=BB1852_5 Depth=1
	v_add_co_u32 v4, vcc_lo, s8, v16
	v_add_co_ci_u32_e32 v5, vcc_lo, s9, v17, vcc_lo
	global_load_b64 v[4:5], v[4:5], off
.LBB1852_7:                             ;   in Loop: Header=BB1852_5 Depth=1
	s_or_b32 exec_lo, exec_lo, s14
	v_add_co_u32 v23, s14, v7, s6
	s_delay_alu instid0(VALU_DEP_1) | instskip(SKIP_4) | instid1(SALU_CYCLE_1)
	v_add_co_ci_u32_e64 v24, null, 0, s7, s14
	s_waitcnt vmcnt(0)
	ds_store_b64 v9, v[4:5]
	v_cmp_gt_i64_e32 vcc_lo, s[16:17], v[23:24]
	s_and_b32 s14, s1, vcc_lo
	s_and_saveexec_b32 s15, s14
	s_cbranch_execz .LBB1852_9
; %bb.8:                                ;   in Loop: Header=BB1852_5 Depth=1
	v_add_co_u32 v2, vcc_lo, s10, v12
	v_add_co_ci_u32_e32 v3, vcc_lo, s11, v13, vcc_lo
	global_load_b64 v[2:3], v[2:3], off
.LBB1852_9:                             ;   in Loop: Header=BB1852_5 Depth=1
	s_or_b32 exec_lo, exec_lo, s15
	s_waitcnt vmcnt(0)
	ds_store_b64 v11, v[2:3]
	s_waitcnt lgkmcnt(0)
	s_barrier
	buffer_gl0_inv
	s_and_saveexec_b32 s15, s12
	s_cbranch_execz .LBB1852_11
; %bb.10:                               ;   in Loop: Header=BB1852_5 Depth=1
	ds_load_2addr_b64 v[2:5], v10 offset1:32
	ds_load_b128 v[23:26], v8
	ds_load_b128 v[27:30], v8 offset:16
	s_waitcnt lgkmcnt(1)
	v_fma_f64 v[2:3], v[23:24], v[2:3], 0
	s_delay_alu instid0(VALU_DEP_1) | instskip(SKIP_3) | instid1(VALU_DEP_1)
	v_fma_f64 v[23:24], v[25:26], v[4:5], v[2:3]
	ds_load_2addr_b64 v[2:5], v10 offset0:64 offset1:96
	s_waitcnt lgkmcnt(0)
	v_fma_f64 v[2:3], v[27:28], v[2:3], v[23:24]
	v_fma_f64 v[31:32], v[29:30], v[4:5], v[2:3]
	ds_load_2addr_b64 v[2:5], v10 offset0:128 offset1:160
	ds_load_b128 v[23:26], v8 offset:32
	ds_load_b128 v[27:30], v8 offset:48
	s_waitcnt lgkmcnt(1)
	v_fma_f64 v[2:3], v[23:24], v[2:3], v[31:32]
	s_delay_alu instid0(VALU_DEP_1) | instskip(SKIP_3) | instid1(VALU_DEP_1)
	v_fma_f64 v[23:24], v[25:26], v[4:5], v[2:3]
	ds_load_2addr_b64 v[2:5], v10 offset0:192 offset1:224
	s_waitcnt lgkmcnt(0)
	v_fma_f64 v[2:3], v[27:28], v[2:3], v[23:24]
	v_fma_f64 v[31:32], v[29:30], v[4:5], v[2:3]
	ds_load_2addr_b64 v[2:5], v20 offset1:32
	ds_load_b128 v[23:26], v8 offset:64
	ds_load_b128 v[27:30], v8 offset:80
	s_waitcnt lgkmcnt(1)
	v_fma_f64 v[2:3], v[23:24], v[2:3], v[31:32]
	s_delay_alu instid0(VALU_DEP_1) | instskip(SKIP_3) | instid1(VALU_DEP_1)
	v_fma_f64 v[23:24], v[25:26], v[4:5], v[2:3]
	ds_load_2addr_b64 v[2:5], v20 offset0:64 offset1:96
	s_waitcnt lgkmcnt(0)
	v_fma_f64 v[2:3], v[27:28], v[2:3], v[23:24]
	v_fma_f64 v[31:32], v[29:30], v[4:5], v[2:3]
	ds_load_2addr_b64 v[2:5], v20 offset0:128 offset1:160
	ds_load_b128 v[23:26], v8 offset:96
	ds_load_b128 v[27:30], v8 offset:112
	s_waitcnt lgkmcnt(1)
	v_fma_f64 v[2:3], v[23:24], v[2:3], v[31:32]
	s_delay_alu instid0(VALU_DEP_1) | instskip(SKIP_3) | instid1(VALU_DEP_1)
	v_fma_f64 v[23:24], v[25:26], v[4:5], v[2:3]
	ds_load_2addr_b64 v[2:5], v20 offset0:192 offset1:224
	s_waitcnt lgkmcnt(0)
	v_fma_f64 v[2:3], v[27:28], v[2:3], v[23:24]
	v_fma_f64 v[31:32], v[29:30], v[4:5], v[2:3]
	ds_load_2addr_b64 v[2:5], v21 offset1:32
	ds_load_b128 v[23:26], v8 offset:128
	;; [unrolled: 22-line block ×3, first 2 shown]
	global_load_b64 v[33:34], v[0:1], off
	ds_load_b128 v[27:30], v8 offset:208
	s_waitcnt lgkmcnt(1)
	v_fma_f64 v[2:3], v[23:24], v[2:3], v[31:32]
	s_delay_alu instid0(VALU_DEP_1) | instskip(SKIP_3) | instid1(VALU_DEP_1)
	v_fma_f64 v[23:24], v[25:26], v[4:5], v[2:3]
	ds_load_2addr_b64 v[2:5], v22 offset0:64 offset1:96
	s_waitcnt lgkmcnt(0)
	v_fma_f64 v[2:3], v[27:28], v[2:3], v[23:24]
	v_fma_f64 v[31:32], v[29:30], v[4:5], v[2:3]
	ds_load_2addr_b64 v[2:5], v22 offset0:128 offset1:160
	ds_load_b128 v[23:26], v8 offset:224
	ds_load_b128 v[27:30], v8 offset:240
	s_waitcnt lgkmcnt(1)
	v_fma_f64 v[2:3], v[23:24], v[2:3], v[31:32]
	s_delay_alu instid0(VALU_DEP_1) | instskip(SKIP_3) | instid1(VALU_DEP_1)
	v_fma_f64 v[23:24], v[25:26], v[4:5], v[2:3]
	ds_load_2addr_b64 v[2:5], v22 offset0:192 offset1:224
	s_waitcnt lgkmcnt(0)
	v_fma_f64 v[2:3], v[27:28], v[2:3], v[23:24]
	v_fma_f64 v[2:3], v[29:30], v[4:5], v[2:3]
	s_waitcnt vmcnt(0)
	s_delay_alu instid0(VALU_DEP_1)
	v_fma_f64 v[2:3], v[2:3], s[18:19], v[33:34]
	global_store_b64 v[0:1], v[2:3], off
.LBB1852_11:                            ;   in Loop: Header=BB1852_5 Depth=1
	s_or_b32 exec_lo, exec_lo, s15
	v_mov_b32_e32 v2, 0
	v_mov_b32_e32 v3, 0
	s_waitcnt_vscnt null, 0x0
	s_barrier
	buffer_gl0_inv
	v_dual_mov_b32 v5, v3 :: v_dual_mov_b32 v4, v2
	s_and_saveexec_b32 s15, s13
	s_cbranch_execz .LBB1852_13
; %bb.12:                               ;   in Loop: Header=BB1852_5 Depth=1
	v_add_co_u32 v4, vcc_lo, s10, v18
	v_add_co_ci_u32_e32 v5, vcc_lo, s11, v19, vcc_lo
	global_load_b64 v[4:5], v[4:5], off
.LBB1852_13:                            ;   in Loop: Header=BB1852_5 Depth=1
	s_or_b32 exec_lo, exec_lo, s15
	s_waitcnt vmcnt(0)
	ds_store_b64 v9, v[4:5]
	s_and_saveexec_b32 s13, s14
	s_cbranch_execz .LBB1852_15
; %bb.14:                               ;   in Loop: Header=BB1852_5 Depth=1
	v_add_co_u32 v2, vcc_lo, s8, v14
	v_add_co_ci_u32_e32 v3, vcc_lo, s9, v15, vcc_lo
	global_load_b64 v[2:3], v[2:3], off
.LBB1852_15:                            ;   in Loop: Header=BB1852_5 Depth=1
	s_or_b32 exec_lo, exec_lo, s13
	s_waitcnt vmcnt(0)
	ds_store_b64 v11, v[2:3]
	s_waitcnt lgkmcnt(0)
	s_barrier
	buffer_gl0_inv
	s_and_saveexec_b32 s13, s12
	s_cbranch_execz .LBB1852_4
; %bb.16:                               ;   in Loop: Header=BB1852_5 Depth=1
	ds_load_2addr_b64 v[2:5], v10 offset1:32
	ds_load_b128 v[23:26], v8
	ds_load_b128 v[27:30], v8 offset:16
	s_waitcnt lgkmcnt(1)
	v_fma_f64 v[2:3], v[23:24], v[2:3], 0
	s_delay_alu instid0(VALU_DEP_1) | instskip(SKIP_3) | instid1(VALU_DEP_1)
	v_fma_f64 v[23:24], v[25:26], v[4:5], v[2:3]
	ds_load_2addr_b64 v[2:5], v10 offset0:64 offset1:96
	s_waitcnt lgkmcnt(0)
	v_fma_f64 v[2:3], v[27:28], v[2:3], v[23:24]
	v_fma_f64 v[31:32], v[29:30], v[4:5], v[2:3]
	ds_load_2addr_b64 v[2:5], v10 offset0:128 offset1:160
	ds_load_b128 v[23:26], v8 offset:32
	ds_load_b128 v[27:30], v8 offset:48
	s_waitcnt lgkmcnt(1)
	v_fma_f64 v[2:3], v[23:24], v[2:3], v[31:32]
	s_delay_alu instid0(VALU_DEP_1) | instskip(SKIP_3) | instid1(VALU_DEP_1)
	v_fma_f64 v[23:24], v[25:26], v[4:5], v[2:3]
	ds_load_2addr_b64 v[2:5], v10 offset0:192 offset1:224
	s_waitcnt lgkmcnt(0)
	v_fma_f64 v[2:3], v[27:28], v[2:3], v[23:24]
	v_fma_f64 v[31:32], v[29:30], v[4:5], v[2:3]
	ds_load_2addr_b64 v[2:5], v20 offset1:32
	ds_load_b128 v[23:26], v8 offset:64
	ds_load_b128 v[27:30], v8 offset:80
	s_waitcnt lgkmcnt(1)
	v_fma_f64 v[2:3], v[23:24], v[2:3], v[31:32]
	s_delay_alu instid0(VALU_DEP_1) | instskip(SKIP_3) | instid1(VALU_DEP_1)
	v_fma_f64 v[23:24], v[25:26], v[4:5], v[2:3]
	ds_load_2addr_b64 v[2:5], v20 offset0:64 offset1:96
	s_waitcnt lgkmcnt(0)
	v_fma_f64 v[2:3], v[27:28], v[2:3], v[23:24]
	v_fma_f64 v[31:32], v[29:30], v[4:5], v[2:3]
	ds_load_2addr_b64 v[2:5], v20 offset0:128 offset1:160
	ds_load_b128 v[23:26], v8 offset:96
	ds_load_b128 v[27:30], v8 offset:112
	s_waitcnt lgkmcnt(1)
	v_fma_f64 v[2:3], v[23:24], v[2:3], v[31:32]
	s_delay_alu instid0(VALU_DEP_1) | instskip(SKIP_3) | instid1(VALU_DEP_1)
	v_fma_f64 v[23:24], v[25:26], v[4:5], v[2:3]
	ds_load_2addr_b64 v[2:5], v20 offset0:192 offset1:224
	s_waitcnt lgkmcnt(0)
	v_fma_f64 v[2:3], v[27:28], v[2:3], v[23:24]
	v_fma_f64 v[31:32], v[29:30], v[4:5], v[2:3]
	ds_load_2addr_b64 v[2:5], v21 offset1:32
	ds_load_b128 v[23:26], v8 offset:128
	;; [unrolled: 22-line block ×3, first 2 shown]
	global_load_b64 v[33:34], v[0:1], off
	ds_load_b128 v[27:30], v8 offset:208
	s_waitcnt lgkmcnt(1)
	v_fma_f64 v[2:3], v[23:24], v[2:3], v[31:32]
	s_delay_alu instid0(VALU_DEP_1) | instskip(SKIP_3) | instid1(VALU_DEP_1)
	v_fma_f64 v[23:24], v[25:26], v[4:5], v[2:3]
	ds_load_2addr_b64 v[2:5], v22 offset0:64 offset1:96
	s_waitcnt lgkmcnt(0)
	v_fma_f64 v[2:3], v[27:28], v[2:3], v[23:24]
	v_fma_f64 v[31:32], v[29:30], v[4:5], v[2:3]
	ds_load_2addr_b64 v[2:5], v22 offset0:128 offset1:160
	ds_load_b128 v[23:26], v8 offset:224
	ds_load_b128 v[27:30], v8 offset:240
	s_waitcnt lgkmcnt(1)
	v_fma_f64 v[2:3], v[23:24], v[2:3], v[31:32]
	s_delay_alu instid0(VALU_DEP_1) | instskip(SKIP_3) | instid1(VALU_DEP_1)
	v_fma_f64 v[23:24], v[25:26], v[4:5], v[2:3]
	ds_load_2addr_b64 v[2:5], v22 offset0:192 offset1:224
	s_waitcnt lgkmcnt(0)
	v_fma_f64 v[2:3], v[27:28], v[2:3], v[23:24]
	v_fma_f64 v[2:3], v[29:30], v[4:5], v[2:3]
	s_waitcnt vmcnt(0)
	s_delay_alu instid0(VALU_DEP_1)
	v_fma_f64 v[2:3], v[2:3], s[18:19], v[33:34]
	global_store_b64 v[0:1], v[2:3], off
	s_branch .LBB1852_4
.LBB1852_17:
	s_endpgm
	.section	.rodata,"a",@progbits
	.p2align	6, 0x0
	.amdhsa_kernel _ZL26rocblas_syr2k_her2k_kernelIlLb1ELb0ELb0ELi32EdPKdPdEvbiT_T4_T5_S3_lS5_S3_lT6_S3_li
		.amdhsa_group_segment_fixed_size 16384
		.amdhsa_private_segment_fixed_size 0
		.amdhsa_kernarg_size 100
		.amdhsa_user_sgpr_count 13
		.amdhsa_user_sgpr_dispatch_ptr 0
		.amdhsa_user_sgpr_queue_ptr 0
		.amdhsa_user_sgpr_kernarg_segment_ptr 1
		.amdhsa_user_sgpr_dispatch_id 0
		.amdhsa_user_sgpr_private_segment_size 0
		.amdhsa_wavefront_size32 1
		.amdhsa_uses_dynamic_stack 0
		.amdhsa_enable_private_segment 0
		.amdhsa_system_sgpr_workgroup_id_x 1
		.amdhsa_system_sgpr_workgroup_id_y 1
		.amdhsa_system_sgpr_workgroup_id_z 1
		.amdhsa_system_sgpr_workgroup_info 0
		.amdhsa_system_vgpr_workitem_id 1
		.amdhsa_next_free_vgpr 35
		.amdhsa_next_free_sgpr 36
		.amdhsa_reserve_vcc 1
		.amdhsa_float_round_mode_32 0
		.amdhsa_float_round_mode_16_64 0
		.amdhsa_float_denorm_mode_32 3
		.amdhsa_float_denorm_mode_16_64 3
		.amdhsa_dx10_clamp 1
		.amdhsa_ieee_mode 1
		.amdhsa_fp16_overflow 0
		.amdhsa_workgroup_processor_mode 1
		.amdhsa_memory_ordered 1
		.amdhsa_forward_progress 0
		.amdhsa_shared_vgpr_count 0
		.amdhsa_exception_fp_ieee_invalid_op 0
		.amdhsa_exception_fp_denorm_src 0
		.amdhsa_exception_fp_ieee_div_zero 0
		.amdhsa_exception_fp_ieee_overflow 0
		.amdhsa_exception_fp_ieee_underflow 0
		.amdhsa_exception_fp_ieee_inexact 0
		.amdhsa_exception_int_div_zero 0
	.end_amdhsa_kernel
	.section	.text._ZL26rocblas_syr2k_her2k_kernelIlLb1ELb0ELb0ELi32EdPKdPdEvbiT_T4_T5_S3_lS5_S3_lT6_S3_li,"axG",@progbits,_ZL26rocblas_syr2k_her2k_kernelIlLb1ELb0ELb0ELi32EdPKdPdEvbiT_T4_T5_S3_lS5_S3_lT6_S3_li,comdat
.Lfunc_end1852:
	.size	_ZL26rocblas_syr2k_her2k_kernelIlLb1ELb0ELb0ELi32EdPKdPdEvbiT_T4_T5_S3_lS5_S3_lT6_S3_li, .Lfunc_end1852-_ZL26rocblas_syr2k_her2k_kernelIlLb1ELb0ELb0ELi32EdPKdPdEvbiT_T4_T5_S3_lS5_S3_lT6_S3_li
                                        ; -- End function
	.section	.AMDGPU.csdata,"",@progbits
; Kernel info:
; codeLenInByte = 2352
; NumSgprs: 38
; NumVgprs: 35
; ScratchSize: 0
; MemoryBound: 0
; FloatMode: 240
; IeeeMode: 1
; LDSByteSize: 16384 bytes/workgroup (compile time only)
; SGPRBlocks: 4
; VGPRBlocks: 4
; NumSGPRsForWavesPerEU: 38
; NumVGPRsForWavesPerEU: 35
; Occupancy: 16
; WaveLimiterHint : 0
; COMPUTE_PGM_RSRC2:SCRATCH_EN: 0
; COMPUTE_PGM_RSRC2:USER_SGPR: 13
; COMPUTE_PGM_RSRC2:TRAP_HANDLER: 0
; COMPUTE_PGM_RSRC2:TGID_X_EN: 1
; COMPUTE_PGM_RSRC2:TGID_Y_EN: 1
; COMPUTE_PGM_RSRC2:TGID_Z_EN: 1
; COMPUTE_PGM_RSRC2:TIDIG_COMP_CNT: 1
	.section	.text._ZL26rocblas_syr2k_her2k_kernelIlLb1ELb0ELb1ELi32EdPKdPdEvbiT_T4_T5_S3_lS5_S3_lT6_S3_li,"axG",@progbits,_ZL26rocblas_syr2k_her2k_kernelIlLb1ELb0ELb1ELi32EdPKdPdEvbiT_T4_T5_S3_lS5_S3_lT6_S3_li,comdat
	.globl	_ZL26rocblas_syr2k_her2k_kernelIlLb1ELb0ELb1ELi32EdPKdPdEvbiT_T4_T5_S3_lS5_S3_lT6_S3_li ; -- Begin function _ZL26rocblas_syr2k_her2k_kernelIlLb1ELb0ELb1ELi32EdPKdPdEvbiT_T4_T5_S3_lS5_S3_lT6_S3_li
	.p2align	8
	.type	_ZL26rocblas_syr2k_her2k_kernelIlLb1ELb0ELb1ELi32EdPKdPdEvbiT_T4_T5_S3_lS5_S3_lT6_S3_li,@function
_ZL26rocblas_syr2k_her2k_kernelIlLb1ELb0ELb1ELi32EdPKdPdEvbiT_T4_T5_S3_lS5_S3_lT6_S3_li: ; @_ZL26rocblas_syr2k_her2k_kernelIlLb1ELb0ELb1ELi32EdPKdPdEvbiT_T4_T5_S3_lS5_S3_lT6_S3_li
; %bb.0:
	s_load_b512 s[16:31], s[0:1], 0x8
	s_waitcnt lgkmcnt(0)
	v_cmp_eq_f64_e64 s2, s[18:19], 0
	s_delay_alu instid0(VALU_DEP_1)
	s_and_b32 vcc_lo, exec_lo, s2
	s_cbranch_vccnz .LBB1853_17
; %bb.1:
	s_load_b64 s[2:3], s[0:1], 0x0
	s_lshl_b32 s8, s14, 5
	s_lshl_b32 s9, s13, 5
	s_waitcnt lgkmcnt(0)
	s_and_b32 s2, 1, s2
	s_delay_alu instid0(SALU_CYCLE_1) | instskip(SKIP_1) | instid1(SALU_CYCLE_1)
	s_cmp_eq_u32 s2, 1
	s_cselect_b32 s2, -1, 0
	s_and_b32 s4, s2, exec_lo
	s_cselect_b32 s4, s9, s8
	s_cselect_b32 s5, s8, s9
	s_delay_alu instid0(SALU_CYCLE_1)
	s_cmp_gt_i32 s4, s5
	s_cbranch_scc1 .LBB1853_17
; %bb.2:
	v_cmp_lt_i64_e64 s4, s[16:17], 1
	s_delay_alu instid0(VALU_DEP_1)
	s_and_b32 vcc_lo, exec_lo, s4
	s_cbranch_vccnz .LBB1853_17
; %bb.3:
	s_clause 0x1
	s_load_b64 s[10:11], s[0:1], 0x58
	s_load_b128 s[4:7], s[0:1], 0x48
	v_bfe_u32 v6, v0, 10, 10
	v_and_b32_e32 v7, 0x3ff, v0
	s_delay_alu instid0(VALU_DEP_2) | instskip(NEXT) | instid1(VALU_DEP_1)
	v_dual_mov_b32 v3, 0 :: v_dual_add_nc_u32 v0, s8, v6
	v_dual_mov_b32 v1, v3 :: v_dual_add_nc_u32 v2, s9, v7
	s_mov_b32 s8, s3
	v_lshlrev_b32_e32 v21, 3, v7
	s_delay_alu instid0(VALU_DEP_3) | instskip(NEXT) | instid1(VALU_DEP_3)
	v_ashrrev_i32_e32 v9, 31, v0
	v_cndmask_b32_e64 v16, v2, v0, s2
	v_cndmask_b32_e64 v17, v0, v2, s2
	v_mad_u64_u32 v[4:5], null, s28, v0, 0
	v_lshlrev_b32_e32 v20, 3, v6
	s_waitcnt lgkmcnt(0)
	s_mul_i32 s1, s15, s11
	s_mul_hi_u32 s2, s15, s10
	s_mul_i32 s0, s15, s10
	s_add_i32 s1, s2, s1
	v_mul_lo_u32 v11, v9, s6
	s_lshl_b64 s[0:1], s[0:1], 3
	v_mul_lo_u32 v14, v0, s7
	v_mad_u64_u32 v[12:13], null, v0, s6, 0
	s_add_u32 s4, s4, s0
	s_addc_u32 s5, s5, s1
	s_ashr_i32 s9, s3, 31
	v_cmp_le_i32_e64 s2, v17, v16
	v_cmp_gt_i64_e64 s1, s[8:9], v[0:1]
	v_mov_b32_e32 v1, v5
	s_delay_alu instid0(VALU_DEP_4)
	v_add3_u32 v13, v13, v14, v11
	v_cmp_gt_i64_e64 s0, s[8:9], v[2:3]
	v_max_i32_e32 v3, v2, v0
	v_or_b32_e32 v10, 0x2000, v20
	v_mad_u64_u32 v[14:15], null, s29, v0, v[1:2]
	v_lshlrev_b64 v[12:13], 3, v[12:13]
	s_delay_alu instid0(VALU_DEP_4) | instskip(SKIP_3) | instid1(VALU_DEP_4)
	v_cmp_gt_i32_e32 vcc_lo, s3, v3
	v_ashrrev_i32_e32 v3, 31, v2
	s_mul_i32 s6, s31, s15
	s_mul_hi_u32 s7, s30, s15
	v_dual_mov_b32 v5, v14 :: v_dual_add_nc_u32 v22, 0x1800, v10
	v_mad_u64_u32 v[14:15], null, s22, v0, 0
	v_add_co_u32 v16, s3, s4, v12
	s_delay_alu instid0(VALU_DEP_3)
	v_lshlrev_b64 v[4:5], 3, v[4:5]
	v_add_co_ci_u32_e64 v17, s3, s5, v13, s3
	s_add_i32 s5, s7, s6
	s_mul_i32 s4, s30, s15
	v_lshlrev_b64 v[12:13], 3, v[2:3]
	v_mov_b32_e32 v1, v15
	s_lshl_b64 s[4:5], s[4:5], 3
	s_mul_i32 s6, s25, s15
	v_add_co_u32 v15, s3, s4, v4
	s_delay_alu instid0(VALU_DEP_1) | instskip(SKIP_2) | instid1(VALU_DEP_1)
	v_add_co_ci_u32_e64 v5, s3, s5, v5, s3
	v_mad_u64_u32 v[3:4], null, s23, v0, v[1:2]
	v_add_co_u32 v0, s3, v16, v12
	v_add_co_ci_u32_e64 v1, s3, v17, v13, s3
	v_mad_u64_u32 v[16:17], null, s28, v2, 0
	v_add_co_u32 v12, s3, v15, v21
	s_delay_alu instid0(VALU_DEP_1) | instskip(SKIP_2) | instid1(VALU_DEP_4)
	v_add_co_ci_u32_e64 v5, s3, 0, v5, s3
	v_mov_b32_e32 v15, v3
	v_mad_u64_u32 v[3:4], null, s22, v2, 0
	v_add_co_u32 v12, s3, s26, v12
	s_delay_alu instid0(VALU_DEP_1)
	v_add_co_ci_u32_e64 v13, s3, s27, v5, s3
	v_mov_b32_e32 v5, v17
	s_mul_hi_u32 s7, s24, s15
	v_lshlrev_b64 v[14:15], 3, v[14:15]
	s_add_i32 s7, s7, s6
	s_mul_i32 s6, s24, s15
	v_mad_u64_u32 v[17:18], null, s23, v2, v[4:5]
	s_lshl_b64 s[6:7], s[6:7], 3
	v_mad_u64_u32 v[18:19], null, s29, v2, v[5:6]
	v_add_co_u32 v2, s3, s6, v14
	s_delay_alu instid0(VALU_DEP_1) | instskip(NEXT) | instid1(VALU_DEP_4)
	v_add_co_ci_u32_e64 v5, s3, s7, v15, s3
	v_mov_b32_e32 v4, v17
	s_delay_alu instid0(VALU_DEP_3) | instskip(SKIP_1) | instid1(VALU_DEP_4)
	v_add_co_u32 v14, s3, v2, v21
	v_dual_mov_b32 v17, v18 :: v_dual_lshlrev_b32 v8, 8, v7
	v_add_co_ci_u32_e64 v5, s3, 0, v5, s3
	s_delay_alu instid0(VALU_DEP_4) | instskip(NEXT) | instid1(VALU_DEP_4)
	v_lshlrev_b64 v[2:3], 3, v[3:4]
	v_add_co_u32 v14, s3, s20, v14
	s_delay_alu instid0(VALU_DEP_1) | instskip(SKIP_1) | instid1(VALU_DEP_4)
	v_add_co_ci_u32_e64 v15, s3, s21, v5, s3
	v_lshlrev_b64 v[4:5], 3, v[16:17]
	v_add_co_u32 v2, s3, s6, v2
	s_delay_alu instid0(VALU_DEP_1) | instskip(SKIP_1) | instid1(VALU_DEP_4)
	v_add_co_ci_u32_e64 v3, s3, s7, v3, s3
	v_add_nc_u32_e32 v9, v8, v20
	v_add_co_u32 v4, s3, s4, v4
	s_delay_alu instid0(VALU_DEP_1) | instskip(SKIP_1) | instid1(VALU_DEP_1)
	v_add_co_ci_u32_e64 v5, s3, s5, v5, s3
	v_add_co_u32 v2, s3, v2, v20
	v_add_co_ci_u32_e64 v3, s3, 0, v3, s3
	s_delay_alu instid0(VALU_DEP_4) | instskip(NEXT) | instid1(VALU_DEP_1)
	v_add_co_u32 v4, s3, v4, v20
	v_add_co_ci_u32_e64 v5, s3, 0, v5, s3
	s_delay_alu instid0(VALU_DEP_4) | instskip(NEXT) | instid1(VALU_DEP_1)
	v_add_co_u32 v16, s3, s20, v2
	v_add_co_ci_u32_e64 v17, s3, s21, v3, s3
	s_delay_alu instid0(VALU_DEP_4)
	v_add_co_u32 v18, s3, s26, v4
	v_add_nc_u32_e32 v11, v10, v8
	v_add_co_ci_u32_e64 v19, s3, s27, v5, s3
	v_add_nc_u32_e32 v20, 0x800, v10
	v_add_nc_u32_e32 v21, 0x1000, v10
	s_and_b32 s6, s2, vcc_lo
	s_mov_b64 s[2:3], 0
	s_mov_b64 s[4:5], 0
	s_branch .LBB1853_5
.LBB1853_4:                             ;   in Loop: Header=BB1853_5 Depth=1
	s_or_b32 exec_lo, exec_lo, s7
	s_add_u32 s4, s4, 32
	s_addc_u32 s5, s5, 0
	s_add_u32 s2, s2, 0x100
	v_cmp_lt_i64_e64 s7, s[4:5], s[16:17]
	s_addc_u32 s3, s3, 0
	s_waitcnt_vscnt null, 0x0
	s_barrier
	buffer_gl0_inv
	s_and_b32 vcc_lo, exec_lo, s7
	s_cbranch_vccz .LBB1853_17
.LBB1853_5:                             ; =>This Inner Loop Header: Depth=1
	v_add_co_u32 v4, s7, v6, s4
	s_delay_alu instid0(VALU_DEP_1) | instskip(SKIP_2) | instid1(VALU_DEP_3)
	v_add_co_ci_u32_e64 v5, null, 0, s5, s7
	v_mov_b32_e32 v2, 0
	v_mov_b32_e32 v3, 0
	v_cmp_gt_i64_e32 vcc_lo, s[16:17], v[4:5]
	s_delay_alu instid0(VALU_DEP_2) | instskip(SKIP_1) | instid1(SALU_CYCLE_1)
	v_dual_mov_b32 v5, v3 :: v_dual_mov_b32 v4, v2
	s_and_b32 s7, s0, vcc_lo
	s_and_saveexec_b32 s8, s7
	s_cbranch_execz .LBB1853_7
; %bb.6:                                ;   in Loop: Header=BB1853_5 Depth=1
	v_add_co_u32 v4, vcc_lo, v16, s2
	v_add_co_ci_u32_e32 v5, vcc_lo, s3, v17, vcc_lo
	global_load_b64 v[4:5], v[4:5], off
.LBB1853_7:                             ;   in Loop: Header=BB1853_5 Depth=1
	s_or_b32 exec_lo, exec_lo, s8
	v_add_co_u32 v23, s8, v7, s4
	s_delay_alu instid0(VALU_DEP_1) | instskip(SKIP_4) | instid1(SALU_CYCLE_1)
	v_add_co_ci_u32_e64 v24, null, 0, s5, s8
	s_waitcnt vmcnt(0)
	ds_store_b64 v9, v[4:5]
	v_cmp_gt_i64_e32 vcc_lo, s[16:17], v[23:24]
	s_and_b32 s8, s1, vcc_lo
	s_and_saveexec_b32 s9, s8
	s_cbranch_execz .LBB1853_9
; %bb.8:                                ;   in Loop: Header=BB1853_5 Depth=1
	v_add_co_u32 v2, vcc_lo, v12, s2
	v_add_co_ci_u32_e32 v3, vcc_lo, s3, v13, vcc_lo
	global_load_b64 v[2:3], v[2:3], off
.LBB1853_9:                             ;   in Loop: Header=BB1853_5 Depth=1
	s_or_b32 exec_lo, exec_lo, s9
	s_waitcnt vmcnt(0)
	ds_store_b64 v11, v[2:3]
	s_waitcnt lgkmcnt(0)
	s_barrier
	buffer_gl0_inv
	s_and_saveexec_b32 s9, s6
	s_cbranch_execz .LBB1853_11
; %bb.10:                               ;   in Loop: Header=BB1853_5 Depth=1
	ds_load_2addr_b64 v[2:5], v10 offset1:32
	ds_load_b128 v[23:26], v8
	ds_load_b128 v[27:30], v8 offset:16
	s_waitcnt lgkmcnt(1)
	v_fma_f64 v[2:3], v[23:24], v[2:3], 0
	s_delay_alu instid0(VALU_DEP_1) | instskip(SKIP_3) | instid1(VALU_DEP_1)
	v_fma_f64 v[23:24], v[25:26], v[4:5], v[2:3]
	ds_load_2addr_b64 v[2:5], v10 offset0:64 offset1:96
	s_waitcnt lgkmcnt(0)
	v_fma_f64 v[2:3], v[27:28], v[2:3], v[23:24]
	v_fma_f64 v[31:32], v[29:30], v[4:5], v[2:3]
	ds_load_2addr_b64 v[2:5], v10 offset0:128 offset1:160
	ds_load_b128 v[23:26], v8 offset:32
	ds_load_b128 v[27:30], v8 offset:48
	s_waitcnt lgkmcnt(1)
	v_fma_f64 v[2:3], v[23:24], v[2:3], v[31:32]
	s_delay_alu instid0(VALU_DEP_1) | instskip(SKIP_3) | instid1(VALU_DEP_1)
	v_fma_f64 v[23:24], v[25:26], v[4:5], v[2:3]
	ds_load_2addr_b64 v[2:5], v10 offset0:192 offset1:224
	s_waitcnt lgkmcnt(0)
	v_fma_f64 v[2:3], v[27:28], v[2:3], v[23:24]
	v_fma_f64 v[31:32], v[29:30], v[4:5], v[2:3]
	ds_load_2addr_b64 v[2:5], v20 offset1:32
	ds_load_b128 v[23:26], v8 offset:64
	ds_load_b128 v[27:30], v8 offset:80
	s_waitcnt lgkmcnt(1)
	v_fma_f64 v[2:3], v[23:24], v[2:3], v[31:32]
	s_delay_alu instid0(VALU_DEP_1) | instskip(SKIP_3) | instid1(VALU_DEP_1)
	v_fma_f64 v[23:24], v[25:26], v[4:5], v[2:3]
	ds_load_2addr_b64 v[2:5], v20 offset0:64 offset1:96
	s_waitcnt lgkmcnt(0)
	v_fma_f64 v[2:3], v[27:28], v[2:3], v[23:24]
	v_fma_f64 v[31:32], v[29:30], v[4:5], v[2:3]
	ds_load_2addr_b64 v[2:5], v20 offset0:128 offset1:160
	ds_load_b128 v[23:26], v8 offset:96
	ds_load_b128 v[27:30], v8 offset:112
	s_waitcnt lgkmcnt(1)
	v_fma_f64 v[2:3], v[23:24], v[2:3], v[31:32]
	s_delay_alu instid0(VALU_DEP_1) | instskip(SKIP_3) | instid1(VALU_DEP_1)
	v_fma_f64 v[23:24], v[25:26], v[4:5], v[2:3]
	ds_load_2addr_b64 v[2:5], v20 offset0:192 offset1:224
	s_waitcnt lgkmcnt(0)
	v_fma_f64 v[2:3], v[27:28], v[2:3], v[23:24]
	v_fma_f64 v[31:32], v[29:30], v[4:5], v[2:3]
	ds_load_2addr_b64 v[2:5], v21 offset1:32
	ds_load_b128 v[23:26], v8 offset:128
	;; [unrolled: 22-line block ×3, first 2 shown]
	global_load_b64 v[33:34], v[0:1], off
	ds_load_b128 v[27:30], v8 offset:208
	s_waitcnt lgkmcnt(1)
	v_fma_f64 v[2:3], v[23:24], v[2:3], v[31:32]
	s_delay_alu instid0(VALU_DEP_1) | instskip(SKIP_3) | instid1(VALU_DEP_1)
	v_fma_f64 v[23:24], v[25:26], v[4:5], v[2:3]
	ds_load_2addr_b64 v[2:5], v22 offset0:64 offset1:96
	s_waitcnt lgkmcnt(0)
	v_fma_f64 v[2:3], v[27:28], v[2:3], v[23:24]
	v_fma_f64 v[31:32], v[29:30], v[4:5], v[2:3]
	ds_load_2addr_b64 v[2:5], v22 offset0:128 offset1:160
	ds_load_b128 v[23:26], v8 offset:224
	ds_load_b128 v[27:30], v8 offset:240
	s_waitcnt lgkmcnt(1)
	v_fma_f64 v[2:3], v[23:24], v[2:3], v[31:32]
	s_delay_alu instid0(VALU_DEP_1) | instskip(SKIP_3) | instid1(VALU_DEP_1)
	v_fma_f64 v[23:24], v[25:26], v[4:5], v[2:3]
	ds_load_2addr_b64 v[2:5], v22 offset0:192 offset1:224
	s_waitcnt lgkmcnt(0)
	v_fma_f64 v[2:3], v[27:28], v[2:3], v[23:24]
	v_fma_f64 v[2:3], v[29:30], v[4:5], v[2:3]
	s_waitcnt vmcnt(0)
	s_delay_alu instid0(VALU_DEP_1)
	v_fma_f64 v[2:3], v[2:3], s[18:19], v[33:34]
	global_store_b64 v[0:1], v[2:3], off
.LBB1853_11:                            ;   in Loop: Header=BB1853_5 Depth=1
	s_or_b32 exec_lo, exec_lo, s9
	v_mov_b32_e32 v2, 0
	v_mov_b32_e32 v3, 0
	s_waitcnt_vscnt null, 0x0
	s_barrier
	buffer_gl0_inv
	v_dual_mov_b32 v5, v3 :: v_dual_mov_b32 v4, v2
	s_and_saveexec_b32 s9, s7
	s_cbranch_execz .LBB1853_13
; %bb.12:                               ;   in Loop: Header=BB1853_5 Depth=1
	v_add_co_u32 v4, vcc_lo, v18, s2
	v_add_co_ci_u32_e32 v5, vcc_lo, s3, v19, vcc_lo
	global_load_b64 v[4:5], v[4:5], off
.LBB1853_13:                            ;   in Loop: Header=BB1853_5 Depth=1
	s_or_b32 exec_lo, exec_lo, s9
	s_waitcnt vmcnt(0)
	ds_store_b64 v9, v[4:5]
	s_and_saveexec_b32 s7, s8
	s_cbranch_execz .LBB1853_15
; %bb.14:                               ;   in Loop: Header=BB1853_5 Depth=1
	v_add_co_u32 v2, vcc_lo, v14, s2
	v_add_co_ci_u32_e32 v3, vcc_lo, s3, v15, vcc_lo
	global_load_b64 v[2:3], v[2:3], off
.LBB1853_15:                            ;   in Loop: Header=BB1853_5 Depth=1
	s_or_b32 exec_lo, exec_lo, s7
	s_waitcnt vmcnt(0)
	ds_store_b64 v11, v[2:3]
	s_waitcnt lgkmcnt(0)
	s_barrier
	buffer_gl0_inv
	s_and_saveexec_b32 s7, s6
	s_cbranch_execz .LBB1853_4
; %bb.16:                               ;   in Loop: Header=BB1853_5 Depth=1
	ds_load_2addr_b64 v[2:5], v10 offset1:32
	ds_load_b128 v[23:26], v8
	ds_load_b128 v[27:30], v8 offset:16
	s_waitcnt lgkmcnt(1)
	v_fma_f64 v[2:3], v[23:24], v[2:3], 0
	s_delay_alu instid0(VALU_DEP_1) | instskip(SKIP_3) | instid1(VALU_DEP_1)
	v_fma_f64 v[23:24], v[25:26], v[4:5], v[2:3]
	ds_load_2addr_b64 v[2:5], v10 offset0:64 offset1:96
	s_waitcnt lgkmcnt(0)
	v_fma_f64 v[2:3], v[27:28], v[2:3], v[23:24]
	v_fma_f64 v[31:32], v[29:30], v[4:5], v[2:3]
	ds_load_2addr_b64 v[2:5], v10 offset0:128 offset1:160
	ds_load_b128 v[23:26], v8 offset:32
	ds_load_b128 v[27:30], v8 offset:48
	s_waitcnt lgkmcnt(1)
	v_fma_f64 v[2:3], v[23:24], v[2:3], v[31:32]
	s_delay_alu instid0(VALU_DEP_1) | instskip(SKIP_3) | instid1(VALU_DEP_1)
	v_fma_f64 v[23:24], v[25:26], v[4:5], v[2:3]
	ds_load_2addr_b64 v[2:5], v10 offset0:192 offset1:224
	s_waitcnt lgkmcnt(0)
	v_fma_f64 v[2:3], v[27:28], v[2:3], v[23:24]
	v_fma_f64 v[31:32], v[29:30], v[4:5], v[2:3]
	ds_load_2addr_b64 v[2:5], v20 offset1:32
	ds_load_b128 v[23:26], v8 offset:64
	ds_load_b128 v[27:30], v8 offset:80
	s_waitcnt lgkmcnt(1)
	v_fma_f64 v[2:3], v[23:24], v[2:3], v[31:32]
	s_delay_alu instid0(VALU_DEP_1) | instskip(SKIP_3) | instid1(VALU_DEP_1)
	v_fma_f64 v[23:24], v[25:26], v[4:5], v[2:3]
	ds_load_2addr_b64 v[2:5], v20 offset0:64 offset1:96
	s_waitcnt lgkmcnt(0)
	v_fma_f64 v[2:3], v[27:28], v[2:3], v[23:24]
	v_fma_f64 v[31:32], v[29:30], v[4:5], v[2:3]
	ds_load_2addr_b64 v[2:5], v20 offset0:128 offset1:160
	ds_load_b128 v[23:26], v8 offset:96
	ds_load_b128 v[27:30], v8 offset:112
	s_waitcnt lgkmcnt(1)
	v_fma_f64 v[2:3], v[23:24], v[2:3], v[31:32]
	s_delay_alu instid0(VALU_DEP_1) | instskip(SKIP_3) | instid1(VALU_DEP_1)
	v_fma_f64 v[23:24], v[25:26], v[4:5], v[2:3]
	ds_load_2addr_b64 v[2:5], v20 offset0:192 offset1:224
	s_waitcnt lgkmcnt(0)
	v_fma_f64 v[2:3], v[27:28], v[2:3], v[23:24]
	v_fma_f64 v[31:32], v[29:30], v[4:5], v[2:3]
	ds_load_2addr_b64 v[2:5], v21 offset1:32
	ds_load_b128 v[23:26], v8 offset:128
	;; [unrolled: 22-line block ×3, first 2 shown]
	global_load_b64 v[33:34], v[0:1], off
	ds_load_b128 v[27:30], v8 offset:208
	s_waitcnt lgkmcnt(1)
	v_fma_f64 v[2:3], v[23:24], v[2:3], v[31:32]
	s_delay_alu instid0(VALU_DEP_1) | instskip(SKIP_3) | instid1(VALU_DEP_1)
	v_fma_f64 v[23:24], v[25:26], v[4:5], v[2:3]
	ds_load_2addr_b64 v[2:5], v22 offset0:64 offset1:96
	s_waitcnt lgkmcnt(0)
	v_fma_f64 v[2:3], v[27:28], v[2:3], v[23:24]
	v_fma_f64 v[31:32], v[29:30], v[4:5], v[2:3]
	ds_load_2addr_b64 v[2:5], v22 offset0:128 offset1:160
	ds_load_b128 v[23:26], v8 offset:224
	ds_load_b128 v[27:30], v8 offset:240
	s_waitcnt lgkmcnt(1)
	v_fma_f64 v[2:3], v[23:24], v[2:3], v[31:32]
	s_delay_alu instid0(VALU_DEP_1) | instskip(SKIP_3) | instid1(VALU_DEP_1)
	v_fma_f64 v[23:24], v[25:26], v[4:5], v[2:3]
	ds_load_2addr_b64 v[2:5], v22 offset0:192 offset1:224
	s_waitcnt lgkmcnt(0)
	v_fma_f64 v[2:3], v[27:28], v[2:3], v[23:24]
	v_fma_f64 v[2:3], v[29:30], v[4:5], v[2:3]
	s_waitcnt vmcnt(0)
	s_delay_alu instid0(VALU_DEP_1)
	v_fma_f64 v[2:3], v[2:3], s[18:19], v[33:34]
	global_store_b64 v[0:1], v[2:3], off
	s_branch .LBB1853_4
.LBB1853_17:
	s_endpgm
	.section	.rodata,"a",@progbits
	.p2align	6, 0x0
	.amdhsa_kernel _ZL26rocblas_syr2k_her2k_kernelIlLb1ELb0ELb1ELi32EdPKdPdEvbiT_T4_T5_S3_lS5_S3_lT6_S3_li
		.amdhsa_group_segment_fixed_size 16384
		.amdhsa_private_segment_fixed_size 0
		.amdhsa_kernarg_size 100
		.amdhsa_user_sgpr_count 13
		.amdhsa_user_sgpr_dispatch_ptr 0
		.amdhsa_user_sgpr_queue_ptr 0
		.amdhsa_user_sgpr_kernarg_segment_ptr 1
		.amdhsa_user_sgpr_dispatch_id 0
		.amdhsa_user_sgpr_private_segment_size 0
		.amdhsa_wavefront_size32 1
		.amdhsa_uses_dynamic_stack 0
		.amdhsa_enable_private_segment 0
		.amdhsa_system_sgpr_workgroup_id_x 1
		.amdhsa_system_sgpr_workgroup_id_y 1
		.amdhsa_system_sgpr_workgroup_id_z 1
		.amdhsa_system_sgpr_workgroup_info 0
		.amdhsa_system_vgpr_workitem_id 1
		.amdhsa_next_free_vgpr 35
		.amdhsa_next_free_sgpr 32
		.amdhsa_reserve_vcc 1
		.amdhsa_float_round_mode_32 0
		.amdhsa_float_round_mode_16_64 0
		.amdhsa_float_denorm_mode_32 3
		.amdhsa_float_denorm_mode_16_64 3
		.amdhsa_dx10_clamp 1
		.amdhsa_ieee_mode 1
		.amdhsa_fp16_overflow 0
		.amdhsa_workgroup_processor_mode 1
		.amdhsa_memory_ordered 1
		.amdhsa_forward_progress 0
		.amdhsa_shared_vgpr_count 0
		.amdhsa_exception_fp_ieee_invalid_op 0
		.amdhsa_exception_fp_denorm_src 0
		.amdhsa_exception_fp_ieee_div_zero 0
		.amdhsa_exception_fp_ieee_overflow 0
		.amdhsa_exception_fp_ieee_underflow 0
		.amdhsa_exception_fp_ieee_inexact 0
		.amdhsa_exception_int_div_zero 0
	.end_amdhsa_kernel
	.section	.text._ZL26rocblas_syr2k_her2k_kernelIlLb1ELb0ELb1ELi32EdPKdPdEvbiT_T4_T5_S3_lS5_S3_lT6_S3_li,"axG",@progbits,_ZL26rocblas_syr2k_her2k_kernelIlLb1ELb0ELb1ELi32EdPKdPdEvbiT_T4_T5_S3_lS5_S3_lT6_S3_li,comdat
.Lfunc_end1853:
	.size	_ZL26rocblas_syr2k_her2k_kernelIlLb1ELb0ELb1ELi32EdPKdPdEvbiT_T4_T5_S3_lS5_S3_lT6_S3_li, .Lfunc_end1853-_ZL26rocblas_syr2k_her2k_kernelIlLb1ELb0ELb1ELi32EdPKdPdEvbiT_T4_T5_S3_lS5_S3_lT6_S3_li
                                        ; -- End function
	.section	.AMDGPU.csdata,"",@progbits
; Kernel info:
; codeLenInByte = 2512
; NumSgprs: 34
; NumVgprs: 35
; ScratchSize: 0
; MemoryBound: 0
; FloatMode: 240
; IeeeMode: 1
; LDSByteSize: 16384 bytes/workgroup (compile time only)
; SGPRBlocks: 4
; VGPRBlocks: 4
; NumSGPRsForWavesPerEU: 34
; NumVGPRsForWavesPerEU: 35
; Occupancy: 16
; WaveLimiterHint : 0
; COMPUTE_PGM_RSRC2:SCRATCH_EN: 0
; COMPUTE_PGM_RSRC2:USER_SGPR: 13
; COMPUTE_PGM_RSRC2:TRAP_HANDLER: 0
; COMPUTE_PGM_RSRC2:TGID_X_EN: 1
; COMPUTE_PGM_RSRC2:TGID_Y_EN: 1
; COMPUTE_PGM_RSRC2:TGID_Z_EN: 1
; COMPUTE_PGM_RSRC2:TIDIG_COMP_CNT: 1
	.section	.text._ZL26rocblas_syr2k_her2k_kernelIlLb1ELb0ELb0ELi32EPKdS1_PdEvbiT_T4_T5_S3_lS5_S3_lT6_S3_li,"axG",@progbits,_ZL26rocblas_syr2k_her2k_kernelIlLb1ELb0ELb0ELi32EPKdS1_PdEvbiT_T4_T5_S3_lS5_S3_lT6_S3_li,comdat
	.globl	_ZL26rocblas_syr2k_her2k_kernelIlLb1ELb0ELb0ELi32EPKdS1_PdEvbiT_T4_T5_S3_lS5_S3_lT6_S3_li ; -- Begin function _ZL26rocblas_syr2k_her2k_kernelIlLb1ELb0ELb0ELi32EPKdS1_PdEvbiT_T4_T5_S3_lS5_S3_lT6_S3_li
	.p2align	8
	.type	_ZL26rocblas_syr2k_her2k_kernelIlLb1ELb0ELb0ELi32EPKdS1_PdEvbiT_T4_T5_S3_lS5_S3_lT6_S3_li,@function
_ZL26rocblas_syr2k_her2k_kernelIlLb1ELb0ELb0ELi32EPKdS1_PdEvbiT_T4_T5_S3_lS5_S3_lT6_S3_li: ; @_ZL26rocblas_syr2k_her2k_kernelIlLb1ELb0ELb0ELi32EPKdS1_PdEvbiT_T4_T5_S3_lS5_S3_lT6_S3_li
; %bb.0:
	s_load_b512 s[16:31], s[0:1], 0x8
	s_waitcnt lgkmcnt(0)
	s_load_b64 s[8:9], s[18:19], 0x0
	s_waitcnt lgkmcnt(0)
	v_cmp_eq_f64_e64 s2, s[8:9], 0
	s_delay_alu instid0(VALU_DEP_1)
	s_and_b32 vcc_lo, exec_lo, s2
	s_cbranch_vccnz .LBB1854_17
; %bb.1:
	s_load_b64 s[2:3], s[0:1], 0x0
	s_lshl_b32 s12, s14, 5
	s_lshl_b32 s14, s13, 5
	s_waitcnt lgkmcnt(0)
	s_and_b32 s2, 1, s2
	s_delay_alu instid0(SALU_CYCLE_1) | instskip(SKIP_1) | instid1(SALU_CYCLE_1)
	s_cmp_eq_u32 s2, 1
	s_cselect_b32 s2, -1, 0
	s_and_b32 s4, s2, exec_lo
	s_cselect_b32 s4, s14, s12
	s_cselect_b32 s5, s12, s14
	s_delay_alu instid0(SALU_CYCLE_1)
	s_cmp_gt_i32 s4, s5
	s_cbranch_scc1 .LBB1854_17
; %bb.2:
	v_cmp_lt_i64_e64 s4, s[16:17], 1
	s_delay_alu instid0(VALU_DEP_1)
	s_and_b32 vcc_lo, exec_lo, s4
	s_cbranch_vccnz .LBB1854_17
; %bb.3:
	s_clause 0x1
	s_load_b64 s[18:19], s[0:1], 0x58
	s_load_b128 s[4:7], s[0:1], 0x48
	v_bfe_u32 v6, v0, 10, 10
	v_and_b32_e32 v7, 0x3ff, v0
	s_mul_i32 s1, s15, s25
	s_mul_hi_u32 s10, s15, s24
	s_delay_alu instid0(VALU_DEP_2) | instskip(SKIP_2) | instid1(VALU_DEP_3)
	v_dual_mov_b32 v5, 0 :: v_dual_add_nc_u32 v2, s12, v6
	v_lshlrev_b32_e32 v0, 3, v6
	v_lshlrev_b32_e32 v8, 8, v7
	v_dual_mov_b32 v3, v5 :: v_dual_add_nc_u32 v4, s14, v7
	s_delay_alu instid0(VALU_DEP_4) | instskip(NEXT) | instid1(VALU_DEP_4)
	v_ashrrev_i32_e32 v1, 31, v2
	v_or_b32_e32 v10, 0x2000, v0
	s_delay_alu instid0(VALU_DEP_4) | instskip(NEXT) | instid1(VALU_DEP_4)
	v_add_nc_u32_e32 v9, v8, v0
	v_cndmask_b32_e64 v11, v4, v2, s2
	v_cndmask_b32_e64 v14, v2, v4, s2
	v_max_i32_e32 v12, v4, v2
	s_mul_i32 s0, s15, s24
	s_add_i32 s1, s10, s1
	s_mul_i32 s13, s15, s31
	s_waitcnt lgkmcnt(0)
	v_mul_lo_u32 v16, v1, s6
	v_mul_lo_u32 v17, v2, s7
	v_mad_u64_u32 v[0:1], null, v2, s6, 0
	s_lshl_b64 s[0:1], s[0:1], 3
	s_mul_hi_u32 s25, s15, s30
	s_add_u32 s10, s20, s0
	v_cmp_gt_i32_e32 vcc_lo, s3, v12
	v_cmp_le_i32_e64 s2, v14, v11
	s_mul_i32 s24, s15, s30
	s_delay_alu instid0(VALU_DEP_3)
	v_add3_u32 v1, v1, v17, v16
	v_mov_b32_e32 v16, v4
	v_mad_u64_u32 v[12:13], null, s28, v7, 0
	v_mad_u64_u32 v[14:15], null, s22, v7, 0
	s_addc_u32 s11, s21, s1
	s_add_i32 s25, s25, s13
	v_lshlrev_b64 v[0:1], 3, v[0:1]
	s_lshl_b64 s[0:1], s[24:25], 3
	v_ashrrev_i32_e32 v17, 31, v4
	s_add_u32 s12, s26, s0
	s_addc_u32 s13, s27, s1
	s_mul_i32 s1, s15, s19
	s_mul_hi_u32 s19, s15, s18
	s_mul_i32 s0, s15, s18
	s_add_i32 s1, s19, s1
	v_mad_u64_u32 v[18:19], null, s29, v7, v[13:14]
	s_lshl_b64 s[0:1], s[0:1], 3
	v_mad_u64_u32 v[19:20], null, s22, v6, 0
	v_mad_u64_u32 v[21:22], null, s23, v7, v[15:16]
	s_add_u32 s15, s4, s0
	s_addc_u32 s18, s5, s1
	s_and_b32 s14, s2, vcc_lo
	v_add_co_u32 v22, vcc_lo, s15, v0
	v_add_co_ci_u32_e32 v23, vcc_lo, s18, v1, vcc_lo
	v_lshlrev_b64 v[0:1], 3, v[16:17]
	v_mov_b32_e32 v13, v18
	v_mad_u64_u32 v[17:18], null, s28, v6, 0
	v_dual_mov_b32 v16, v20 :: v_dual_mov_b32 v15, v21
	v_add_nc_u32_e32 v11, v10, v8
	s_ashr_i32 s5, s3, 31
	s_mov_b32 s4, s3
	v_add_co_u32 v0, vcc_lo, v22, v0
	s_delay_alu instid0(VALU_DEP_4)
	v_mad_u64_u32 v[20:21], null, s23, v6, v[16:17]
	v_mov_b32_e32 v16, v18
	v_cmp_gt_i64_e64 s1, s[4:5], v[2:3]
	v_lshlrev_b64 v[12:13], 3, v[12:13]
	v_lshlrev_b64 v[2:3], 3, v[2:3]
	;; [unrolled: 1-line block ×3, first 2 shown]
	v_mad_u64_u32 v[21:22], null, s29, v6, v[16:17]
	v_add_co_ci_u32_e32 v1, vcc_lo, v23, v1, vcc_lo
	s_delay_alu instid0(VALU_DEP_4)
	v_add_co_u32 v12, vcc_lo, v12, v2
	v_cmp_gt_i64_e64 s0, s[4:5], v[4:5]
	v_add_co_ci_u32_e32 v13, vcc_lo, v13, v3, vcc_lo
	v_dual_mov_b32 v18, v21 :: v_dual_add_nc_u32 v21, 0x1000, v10
	v_lshlrev_b64 v[19:20], 3, v[19:20]
	v_lshlrev_b64 v[4:5], 3, v[4:5]
	v_add_co_u32 v14, vcc_lo, v14, v2
	v_add_co_ci_u32_e32 v15, vcc_lo, v15, v3, vcc_lo
	v_lshlrev_b64 v[2:3], 3, v[17:18]
	s_delay_alu instid0(VALU_DEP_4) | instskip(SKIP_2) | instid1(VALU_DEP_4)
	v_add_co_u32 v16, vcc_lo, v19, v4
	v_add_co_ci_u32_e32 v17, vcc_lo, v20, v5, vcc_lo
	v_add_nc_u32_e32 v20, 0x800, v10
	v_add_co_u32 v18, vcc_lo, v2, v4
	v_add_co_ci_u32_e32 v19, vcc_lo, v3, v5, vcc_lo
	v_add_nc_u32_e32 v22, 0x1800, v10
	s_lshl_b64 s[2:3], s[28:29], 8
	s_lshl_b64 s[4:5], s[22:23], 8
	s_mov_b64 s[6:7], 0
	s_branch .LBB1854_5
.LBB1854_4:                             ;   in Loop: Header=BB1854_5 Depth=1
	s_or_b32 exec_lo, exec_lo, s15
	s_add_u32 s6, s6, 32
	s_addc_u32 s7, s7, 0
	s_add_u32 s12, s12, s2
	v_cmp_lt_i64_e64 s15, s[6:7], s[16:17]
	s_addc_u32 s13, s13, s3
	s_add_u32 s10, s10, s4
	s_addc_u32 s11, s11, s5
	s_waitcnt_vscnt null, 0x0
	s_barrier
	s_and_b32 vcc_lo, exec_lo, s15
	buffer_gl0_inv
	s_cbranch_vccz .LBB1854_17
.LBB1854_5:                             ; =>This Inner Loop Header: Depth=1
	v_add_co_u32 v4, s15, v6, s6
	s_delay_alu instid0(VALU_DEP_1) | instskip(SKIP_2) | instid1(VALU_DEP_3)
	v_add_co_ci_u32_e64 v5, null, 0, s7, s15
	v_mov_b32_e32 v2, 0
	v_mov_b32_e32 v3, 0
	v_cmp_gt_i64_e32 vcc_lo, s[16:17], v[4:5]
	s_delay_alu instid0(VALU_DEP_2) | instskip(SKIP_1) | instid1(SALU_CYCLE_1)
	v_dual_mov_b32 v5, v3 :: v_dual_mov_b32 v4, v2
	s_and_b32 s15, s0, vcc_lo
	s_and_saveexec_b32 s18, s15
	s_cbranch_execz .LBB1854_7
; %bb.6:                                ;   in Loop: Header=BB1854_5 Depth=1
	v_add_co_u32 v4, vcc_lo, s10, v16
	v_add_co_ci_u32_e32 v5, vcc_lo, s11, v17, vcc_lo
	global_load_b64 v[4:5], v[4:5], off
.LBB1854_7:                             ;   in Loop: Header=BB1854_5 Depth=1
	s_or_b32 exec_lo, exec_lo, s18
	v_add_co_u32 v23, s18, v7, s6
	s_delay_alu instid0(VALU_DEP_1) | instskip(SKIP_4) | instid1(SALU_CYCLE_1)
	v_add_co_ci_u32_e64 v24, null, 0, s7, s18
	s_waitcnt vmcnt(0)
	ds_store_b64 v9, v[4:5]
	v_cmp_gt_i64_e32 vcc_lo, s[16:17], v[23:24]
	s_and_b32 s18, s1, vcc_lo
	s_and_saveexec_b32 s19, s18
	s_cbranch_execz .LBB1854_9
; %bb.8:                                ;   in Loop: Header=BB1854_5 Depth=1
	v_add_co_u32 v2, vcc_lo, s12, v12
	v_add_co_ci_u32_e32 v3, vcc_lo, s13, v13, vcc_lo
	global_load_b64 v[2:3], v[2:3], off
.LBB1854_9:                             ;   in Loop: Header=BB1854_5 Depth=1
	s_or_b32 exec_lo, exec_lo, s19
	s_waitcnt vmcnt(0)
	ds_store_b64 v11, v[2:3]
	s_waitcnt lgkmcnt(0)
	s_barrier
	buffer_gl0_inv
	s_and_saveexec_b32 s19, s14
	s_cbranch_execz .LBB1854_11
; %bb.10:                               ;   in Loop: Header=BB1854_5 Depth=1
	ds_load_2addr_b64 v[2:5], v10 offset1:32
	ds_load_b128 v[23:26], v8
	ds_load_b128 v[27:30], v8 offset:16
	s_waitcnt lgkmcnt(1)
	v_fma_f64 v[2:3], v[23:24], v[2:3], 0
	s_delay_alu instid0(VALU_DEP_1) | instskip(SKIP_3) | instid1(VALU_DEP_1)
	v_fma_f64 v[23:24], v[25:26], v[4:5], v[2:3]
	ds_load_2addr_b64 v[2:5], v10 offset0:64 offset1:96
	s_waitcnt lgkmcnt(0)
	v_fma_f64 v[2:3], v[27:28], v[2:3], v[23:24]
	v_fma_f64 v[31:32], v[29:30], v[4:5], v[2:3]
	ds_load_2addr_b64 v[2:5], v10 offset0:128 offset1:160
	ds_load_b128 v[23:26], v8 offset:32
	ds_load_b128 v[27:30], v8 offset:48
	s_waitcnt lgkmcnt(1)
	v_fma_f64 v[2:3], v[23:24], v[2:3], v[31:32]
	s_delay_alu instid0(VALU_DEP_1) | instskip(SKIP_3) | instid1(VALU_DEP_1)
	v_fma_f64 v[23:24], v[25:26], v[4:5], v[2:3]
	ds_load_2addr_b64 v[2:5], v10 offset0:192 offset1:224
	s_waitcnt lgkmcnt(0)
	v_fma_f64 v[2:3], v[27:28], v[2:3], v[23:24]
	v_fma_f64 v[31:32], v[29:30], v[4:5], v[2:3]
	ds_load_2addr_b64 v[2:5], v20 offset1:32
	ds_load_b128 v[23:26], v8 offset:64
	ds_load_b128 v[27:30], v8 offset:80
	s_waitcnt lgkmcnt(1)
	v_fma_f64 v[2:3], v[23:24], v[2:3], v[31:32]
	s_delay_alu instid0(VALU_DEP_1) | instskip(SKIP_3) | instid1(VALU_DEP_1)
	v_fma_f64 v[23:24], v[25:26], v[4:5], v[2:3]
	ds_load_2addr_b64 v[2:5], v20 offset0:64 offset1:96
	s_waitcnt lgkmcnt(0)
	v_fma_f64 v[2:3], v[27:28], v[2:3], v[23:24]
	v_fma_f64 v[31:32], v[29:30], v[4:5], v[2:3]
	ds_load_2addr_b64 v[2:5], v20 offset0:128 offset1:160
	ds_load_b128 v[23:26], v8 offset:96
	ds_load_b128 v[27:30], v8 offset:112
	s_waitcnt lgkmcnt(1)
	v_fma_f64 v[2:3], v[23:24], v[2:3], v[31:32]
	s_delay_alu instid0(VALU_DEP_1) | instskip(SKIP_3) | instid1(VALU_DEP_1)
	v_fma_f64 v[23:24], v[25:26], v[4:5], v[2:3]
	ds_load_2addr_b64 v[2:5], v20 offset0:192 offset1:224
	s_waitcnt lgkmcnt(0)
	v_fma_f64 v[2:3], v[27:28], v[2:3], v[23:24]
	v_fma_f64 v[31:32], v[29:30], v[4:5], v[2:3]
	ds_load_2addr_b64 v[2:5], v21 offset1:32
	ds_load_b128 v[23:26], v8 offset:128
	ds_load_b128 v[27:30], v8 offset:144
	s_waitcnt lgkmcnt(1)
	v_fma_f64 v[2:3], v[23:24], v[2:3], v[31:32]
	s_delay_alu instid0(VALU_DEP_1) | instskip(SKIP_3) | instid1(VALU_DEP_1)
	v_fma_f64 v[23:24], v[25:26], v[4:5], v[2:3]
	ds_load_2addr_b64 v[2:5], v21 offset0:64 offset1:96
	s_waitcnt lgkmcnt(0)
	v_fma_f64 v[2:3], v[27:28], v[2:3], v[23:24]
	v_fma_f64 v[31:32], v[29:30], v[4:5], v[2:3]
	ds_load_2addr_b64 v[2:5], v21 offset0:128 offset1:160
	ds_load_b128 v[23:26], v8 offset:160
	ds_load_b128 v[27:30], v8 offset:176
	s_waitcnt lgkmcnt(1)
	v_fma_f64 v[2:3], v[23:24], v[2:3], v[31:32]
	s_delay_alu instid0(VALU_DEP_1) | instskip(SKIP_3) | instid1(VALU_DEP_1)
	v_fma_f64 v[23:24], v[25:26], v[4:5], v[2:3]
	ds_load_2addr_b64 v[2:5], v21 offset0:192 offset1:224
	s_waitcnt lgkmcnt(0)
	v_fma_f64 v[2:3], v[27:28], v[2:3], v[23:24]
	v_fma_f64 v[31:32], v[29:30], v[4:5], v[2:3]
	ds_load_2addr_b64 v[2:5], v22 offset1:32
	ds_load_b128 v[23:26], v8 offset:192
	global_load_b64 v[33:34], v[0:1], off
	ds_load_b128 v[27:30], v8 offset:208
	s_waitcnt lgkmcnt(1)
	v_fma_f64 v[2:3], v[23:24], v[2:3], v[31:32]
	s_delay_alu instid0(VALU_DEP_1) | instskip(SKIP_3) | instid1(VALU_DEP_1)
	v_fma_f64 v[23:24], v[25:26], v[4:5], v[2:3]
	ds_load_2addr_b64 v[2:5], v22 offset0:64 offset1:96
	s_waitcnt lgkmcnt(0)
	v_fma_f64 v[2:3], v[27:28], v[2:3], v[23:24]
	v_fma_f64 v[31:32], v[29:30], v[4:5], v[2:3]
	ds_load_2addr_b64 v[2:5], v22 offset0:128 offset1:160
	ds_load_b128 v[23:26], v8 offset:224
	ds_load_b128 v[27:30], v8 offset:240
	s_waitcnt lgkmcnt(1)
	v_fma_f64 v[2:3], v[23:24], v[2:3], v[31:32]
	s_delay_alu instid0(VALU_DEP_1) | instskip(SKIP_3) | instid1(VALU_DEP_1)
	v_fma_f64 v[23:24], v[25:26], v[4:5], v[2:3]
	ds_load_2addr_b64 v[2:5], v22 offset0:192 offset1:224
	s_waitcnt lgkmcnt(0)
	v_fma_f64 v[2:3], v[27:28], v[2:3], v[23:24]
	v_fma_f64 v[2:3], v[29:30], v[4:5], v[2:3]
	s_waitcnt vmcnt(0)
	s_delay_alu instid0(VALU_DEP_1)
	v_fma_f64 v[2:3], s[8:9], v[2:3], v[33:34]
	global_store_b64 v[0:1], v[2:3], off
.LBB1854_11:                            ;   in Loop: Header=BB1854_5 Depth=1
	s_or_b32 exec_lo, exec_lo, s19
	v_mov_b32_e32 v2, 0
	v_mov_b32_e32 v3, 0
	s_waitcnt_vscnt null, 0x0
	s_barrier
	buffer_gl0_inv
	v_dual_mov_b32 v5, v3 :: v_dual_mov_b32 v4, v2
	s_and_saveexec_b32 s19, s15
	s_cbranch_execz .LBB1854_13
; %bb.12:                               ;   in Loop: Header=BB1854_5 Depth=1
	v_add_co_u32 v4, vcc_lo, s12, v18
	v_add_co_ci_u32_e32 v5, vcc_lo, s13, v19, vcc_lo
	global_load_b64 v[4:5], v[4:5], off
.LBB1854_13:                            ;   in Loop: Header=BB1854_5 Depth=1
	s_or_b32 exec_lo, exec_lo, s19
	s_waitcnt vmcnt(0)
	ds_store_b64 v9, v[4:5]
	s_and_saveexec_b32 s15, s18
	s_cbranch_execz .LBB1854_15
; %bb.14:                               ;   in Loop: Header=BB1854_5 Depth=1
	v_add_co_u32 v2, vcc_lo, s10, v14
	v_add_co_ci_u32_e32 v3, vcc_lo, s11, v15, vcc_lo
	global_load_b64 v[2:3], v[2:3], off
.LBB1854_15:                            ;   in Loop: Header=BB1854_5 Depth=1
	s_or_b32 exec_lo, exec_lo, s15
	s_waitcnt vmcnt(0)
	ds_store_b64 v11, v[2:3]
	s_waitcnt lgkmcnt(0)
	s_barrier
	buffer_gl0_inv
	s_and_saveexec_b32 s15, s14
	s_cbranch_execz .LBB1854_4
; %bb.16:                               ;   in Loop: Header=BB1854_5 Depth=1
	ds_load_2addr_b64 v[2:5], v10 offset1:32
	ds_load_b128 v[23:26], v8
	ds_load_b128 v[27:30], v8 offset:16
	s_waitcnt lgkmcnt(1)
	v_fma_f64 v[2:3], v[23:24], v[2:3], 0
	s_delay_alu instid0(VALU_DEP_1) | instskip(SKIP_3) | instid1(VALU_DEP_1)
	v_fma_f64 v[23:24], v[25:26], v[4:5], v[2:3]
	ds_load_2addr_b64 v[2:5], v10 offset0:64 offset1:96
	s_waitcnt lgkmcnt(0)
	v_fma_f64 v[2:3], v[27:28], v[2:3], v[23:24]
	v_fma_f64 v[31:32], v[29:30], v[4:5], v[2:3]
	ds_load_2addr_b64 v[2:5], v10 offset0:128 offset1:160
	ds_load_b128 v[23:26], v8 offset:32
	ds_load_b128 v[27:30], v8 offset:48
	s_waitcnt lgkmcnt(1)
	v_fma_f64 v[2:3], v[23:24], v[2:3], v[31:32]
	s_delay_alu instid0(VALU_DEP_1) | instskip(SKIP_3) | instid1(VALU_DEP_1)
	v_fma_f64 v[23:24], v[25:26], v[4:5], v[2:3]
	ds_load_2addr_b64 v[2:5], v10 offset0:192 offset1:224
	s_waitcnt lgkmcnt(0)
	v_fma_f64 v[2:3], v[27:28], v[2:3], v[23:24]
	v_fma_f64 v[31:32], v[29:30], v[4:5], v[2:3]
	ds_load_2addr_b64 v[2:5], v20 offset1:32
	ds_load_b128 v[23:26], v8 offset:64
	ds_load_b128 v[27:30], v8 offset:80
	s_waitcnt lgkmcnt(1)
	v_fma_f64 v[2:3], v[23:24], v[2:3], v[31:32]
	s_delay_alu instid0(VALU_DEP_1) | instskip(SKIP_3) | instid1(VALU_DEP_1)
	v_fma_f64 v[23:24], v[25:26], v[4:5], v[2:3]
	ds_load_2addr_b64 v[2:5], v20 offset0:64 offset1:96
	s_waitcnt lgkmcnt(0)
	v_fma_f64 v[2:3], v[27:28], v[2:3], v[23:24]
	v_fma_f64 v[31:32], v[29:30], v[4:5], v[2:3]
	ds_load_2addr_b64 v[2:5], v20 offset0:128 offset1:160
	ds_load_b128 v[23:26], v8 offset:96
	ds_load_b128 v[27:30], v8 offset:112
	s_waitcnt lgkmcnt(1)
	v_fma_f64 v[2:3], v[23:24], v[2:3], v[31:32]
	s_delay_alu instid0(VALU_DEP_1) | instskip(SKIP_3) | instid1(VALU_DEP_1)
	v_fma_f64 v[23:24], v[25:26], v[4:5], v[2:3]
	ds_load_2addr_b64 v[2:5], v20 offset0:192 offset1:224
	s_waitcnt lgkmcnt(0)
	v_fma_f64 v[2:3], v[27:28], v[2:3], v[23:24]
	v_fma_f64 v[31:32], v[29:30], v[4:5], v[2:3]
	ds_load_2addr_b64 v[2:5], v21 offset1:32
	ds_load_b128 v[23:26], v8 offset:128
	ds_load_b128 v[27:30], v8 offset:144
	s_waitcnt lgkmcnt(1)
	v_fma_f64 v[2:3], v[23:24], v[2:3], v[31:32]
	s_delay_alu instid0(VALU_DEP_1) | instskip(SKIP_3) | instid1(VALU_DEP_1)
	v_fma_f64 v[23:24], v[25:26], v[4:5], v[2:3]
	ds_load_2addr_b64 v[2:5], v21 offset0:64 offset1:96
	s_waitcnt lgkmcnt(0)
	v_fma_f64 v[2:3], v[27:28], v[2:3], v[23:24]
	v_fma_f64 v[31:32], v[29:30], v[4:5], v[2:3]
	ds_load_2addr_b64 v[2:5], v21 offset0:128 offset1:160
	ds_load_b128 v[23:26], v8 offset:160
	ds_load_b128 v[27:30], v8 offset:176
	s_waitcnt lgkmcnt(1)
	v_fma_f64 v[2:3], v[23:24], v[2:3], v[31:32]
	s_delay_alu instid0(VALU_DEP_1) | instskip(SKIP_3) | instid1(VALU_DEP_1)
	v_fma_f64 v[23:24], v[25:26], v[4:5], v[2:3]
	ds_load_2addr_b64 v[2:5], v21 offset0:192 offset1:224
	s_waitcnt lgkmcnt(0)
	v_fma_f64 v[2:3], v[27:28], v[2:3], v[23:24]
	v_fma_f64 v[31:32], v[29:30], v[4:5], v[2:3]
	ds_load_2addr_b64 v[2:5], v22 offset1:32
	ds_load_b128 v[23:26], v8 offset:192
	global_load_b64 v[33:34], v[0:1], off
	ds_load_b128 v[27:30], v8 offset:208
	s_waitcnt lgkmcnt(1)
	v_fma_f64 v[2:3], v[23:24], v[2:3], v[31:32]
	s_delay_alu instid0(VALU_DEP_1) | instskip(SKIP_3) | instid1(VALU_DEP_1)
	v_fma_f64 v[23:24], v[25:26], v[4:5], v[2:3]
	ds_load_2addr_b64 v[2:5], v22 offset0:64 offset1:96
	s_waitcnt lgkmcnt(0)
	v_fma_f64 v[2:3], v[27:28], v[2:3], v[23:24]
	v_fma_f64 v[31:32], v[29:30], v[4:5], v[2:3]
	ds_load_2addr_b64 v[2:5], v22 offset0:128 offset1:160
	ds_load_b128 v[23:26], v8 offset:224
	ds_load_b128 v[27:30], v8 offset:240
	s_waitcnt lgkmcnt(1)
	v_fma_f64 v[2:3], v[23:24], v[2:3], v[31:32]
	s_delay_alu instid0(VALU_DEP_1) | instskip(SKIP_3) | instid1(VALU_DEP_1)
	v_fma_f64 v[23:24], v[25:26], v[4:5], v[2:3]
	ds_load_2addr_b64 v[2:5], v22 offset0:192 offset1:224
	s_waitcnt lgkmcnt(0)
	v_fma_f64 v[2:3], v[27:28], v[2:3], v[23:24]
	v_fma_f64 v[2:3], v[29:30], v[4:5], v[2:3]
	s_waitcnt vmcnt(0)
	s_delay_alu instid0(VALU_DEP_1)
	v_fma_f64 v[2:3], s[8:9], v[2:3], v[33:34]
	global_store_b64 v[0:1], v[2:3], off
	s_branch .LBB1854_4
.LBB1854_17:
	s_endpgm
	.section	.rodata,"a",@progbits
	.p2align	6, 0x0
	.amdhsa_kernel _ZL26rocblas_syr2k_her2k_kernelIlLb1ELb0ELb0ELi32EPKdS1_PdEvbiT_T4_T5_S3_lS5_S3_lT6_S3_li
		.amdhsa_group_segment_fixed_size 16384
		.amdhsa_private_segment_fixed_size 0
		.amdhsa_kernarg_size 100
		.amdhsa_user_sgpr_count 13
		.amdhsa_user_sgpr_dispatch_ptr 0
		.amdhsa_user_sgpr_queue_ptr 0
		.amdhsa_user_sgpr_kernarg_segment_ptr 1
		.amdhsa_user_sgpr_dispatch_id 0
		.amdhsa_user_sgpr_private_segment_size 0
		.amdhsa_wavefront_size32 1
		.amdhsa_uses_dynamic_stack 0
		.amdhsa_enable_private_segment 0
		.amdhsa_system_sgpr_workgroup_id_x 1
		.amdhsa_system_sgpr_workgroup_id_y 1
		.amdhsa_system_sgpr_workgroup_id_z 1
		.amdhsa_system_sgpr_workgroup_info 0
		.amdhsa_system_vgpr_workitem_id 1
		.amdhsa_next_free_vgpr 35
		.amdhsa_next_free_sgpr 32
		.amdhsa_reserve_vcc 1
		.amdhsa_float_round_mode_32 0
		.amdhsa_float_round_mode_16_64 0
		.amdhsa_float_denorm_mode_32 3
		.amdhsa_float_denorm_mode_16_64 3
		.amdhsa_dx10_clamp 1
		.amdhsa_ieee_mode 1
		.amdhsa_fp16_overflow 0
		.amdhsa_workgroup_processor_mode 1
		.amdhsa_memory_ordered 1
		.amdhsa_forward_progress 0
		.amdhsa_shared_vgpr_count 0
		.amdhsa_exception_fp_ieee_invalid_op 0
		.amdhsa_exception_fp_denorm_src 0
		.amdhsa_exception_fp_ieee_div_zero 0
		.amdhsa_exception_fp_ieee_overflow 0
		.amdhsa_exception_fp_ieee_underflow 0
		.amdhsa_exception_fp_ieee_inexact 0
		.amdhsa_exception_int_div_zero 0
	.end_amdhsa_kernel
	.section	.text._ZL26rocblas_syr2k_her2k_kernelIlLb1ELb0ELb0ELi32EPKdS1_PdEvbiT_T4_T5_S3_lS5_S3_lT6_S3_li,"axG",@progbits,_ZL26rocblas_syr2k_her2k_kernelIlLb1ELb0ELb0ELi32EPKdS1_PdEvbiT_T4_T5_S3_lS5_S3_lT6_S3_li,comdat
.Lfunc_end1854:
	.size	_ZL26rocblas_syr2k_her2k_kernelIlLb1ELb0ELb0ELi32EPKdS1_PdEvbiT_T4_T5_S3_lS5_S3_lT6_S3_li, .Lfunc_end1854-_ZL26rocblas_syr2k_her2k_kernelIlLb1ELb0ELb0ELi32EPKdS1_PdEvbiT_T4_T5_S3_lS5_S3_lT6_S3_li
                                        ; -- End function
	.section	.AMDGPU.csdata,"",@progbits
; Kernel info:
; codeLenInByte = 2364
; NumSgprs: 34
; NumVgprs: 35
; ScratchSize: 0
; MemoryBound: 0
; FloatMode: 240
; IeeeMode: 1
; LDSByteSize: 16384 bytes/workgroup (compile time only)
; SGPRBlocks: 4
; VGPRBlocks: 4
; NumSGPRsForWavesPerEU: 34
; NumVGPRsForWavesPerEU: 35
; Occupancy: 16
; WaveLimiterHint : 0
; COMPUTE_PGM_RSRC2:SCRATCH_EN: 0
; COMPUTE_PGM_RSRC2:USER_SGPR: 13
; COMPUTE_PGM_RSRC2:TRAP_HANDLER: 0
; COMPUTE_PGM_RSRC2:TGID_X_EN: 1
; COMPUTE_PGM_RSRC2:TGID_Y_EN: 1
; COMPUTE_PGM_RSRC2:TGID_Z_EN: 1
; COMPUTE_PGM_RSRC2:TIDIG_COMP_CNT: 1
	.section	.text._ZL26rocblas_syr2k_her2k_kernelIlLb1ELb0ELb1ELi32EPKdS1_PdEvbiT_T4_T5_S3_lS5_S3_lT6_S3_li,"axG",@progbits,_ZL26rocblas_syr2k_her2k_kernelIlLb1ELb0ELb1ELi32EPKdS1_PdEvbiT_T4_T5_S3_lS5_S3_lT6_S3_li,comdat
	.globl	_ZL26rocblas_syr2k_her2k_kernelIlLb1ELb0ELb1ELi32EPKdS1_PdEvbiT_T4_T5_S3_lS5_S3_lT6_S3_li ; -- Begin function _ZL26rocblas_syr2k_her2k_kernelIlLb1ELb0ELb1ELi32EPKdS1_PdEvbiT_T4_T5_S3_lS5_S3_lT6_S3_li
	.p2align	8
	.type	_ZL26rocblas_syr2k_her2k_kernelIlLb1ELb0ELb1ELi32EPKdS1_PdEvbiT_T4_T5_S3_lS5_S3_lT6_S3_li,@function
_ZL26rocblas_syr2k_her2k_kernelIlLb1ELb0ELb1ELi32EPKdS1_PdEvbiT_T4_T5_S3_lS5_S3_lT6_S3_li: ; @_ZL26rocblas_syr2k_her2k_kernelIlLb1ELb0ELb1ELi32EPKdS1_PdEvbiT_T4_T5_S3_lS5_S3_lT6_S3_li
; %bb.0:
	s_load_b512 s[16:31], s[0:1], 0x8
	s_waitcnt lgkmcnt(0)
	s_load_b64 s[8:9], s[18:19], 0x0
	s_waitcnt lgkmcnt(0)
	v_cmp_eq_f64_e64 s2, s[8:9], 0
	s_delay_alu instid0(VALU_DEP_1)
	s_and_b32 vcc_lo, exec_lo, s2
	s_cbranch_vccnz .LBB1855_17
; %bb.1:
	s_load_b64 s[2:3], s[0:1], 0x0
	s_lshl_b32 s10, s14, 5
	s_lshl_b32 s11, s13, 5
	s_waitcnt lgkmcnt(0)
	s_and_b32 s2, 1, s2
	s_delay_alu instid0(SALU_CYCLE_1) | instskip(SKIP_1) | instid1(SALU_CYCLE_1)
	s_cmp_eq_u32 s2, 1
	s_cselect_b32 s2, -1, 0
	s_and_b32 s4, s2, exec_lo
	s_cselect_b32 s4, s11, s10
	s_cselect_b32 s5, s10, s11
	s_delay_alu instid0(SALU_CYCLE_1)
	s_cmp_gt_i32 s4, s5
	s_cbranch_scc1 .LBB1855_17
; %bb.2:
	v_cmp_lt_i64_e64 s4, s[16:17], 1
	s_delay_alu instid0(VALU_DEP_1)
	s_and_b32 vcc_lo, exec_lo, s4
	s_cbranch_vccnz .LBB1855_17
; %bb.3:
	s_clause 0x1
	s_load_b64 s[12:13], s[0:1], 0x58
	s_load_b128 s[4:7], s[0:1], 0x48
	v_bfe_u32 v6, v0, 10, 10
	v_and_b32_e32 v7, 0x3ff, v0
	s_delay_alu instid0(VALU_DEP_2) | instskip(NEXT) | instid1(VALU_DEP_1)
	v_dual_mov_b32 v3, 0 :: v_dual_add_nc_u32 v0, s10, v6
	v_dual_mov_b32 v1, v3 :: v_dual_add_nc_u32 v2, s11, v7
	s_mov_b32 s10, s3
	v_lshlrev_b32_e32 v21, 3, v7
	s_delay_alu instid0(VALU_DEP_3) | instskip(NEXT) | instid1(VALU_DEP_3)
	v_ashrrev_i32_e32 v9, 31, v0
	v_cndmask_b32_e64 v16, v2, v0, s2
	v_cndmask_b32_e64 v17, v0, v2, s2
	v_mad_u64_u32 v[4:5], null, s28, v0, 0
	v_lshlrev_b32_e32 v20, 3, v6
	s_waitcnt lgkmcnt(0)
	s_mul_i32 s1, s15, s13
	s_mul_hi_u32 s2, s15, s12
	s_mul_i32 s0, s15, s12
	s_add_i32 s1, s2, s1
	v_mul_lo_u32 v11, v9, s6
	s_lshl_b64 s[0:1], s[0:1], 3
	v_mul_lo_u32 v14, v0, s7
	v_mad_u64_u32 v[12:13], null, v0, s6, 0
	s_add_u32 s4, s4, s0
	s_addc_u32 s5, s5, s1
	s_ashr_i32 s11, s3, 31
	v_cmp_le_i32_e64 s2, v17, v16
	v_cmp_gt_i64_e64 s1, s[10:11], v[0:1]
	v_mov_b32_e32 v1, v5
	s_delay_alu instid0(VALU_DEP_4)
	v_add3_u32 v13, v13, v14, v11
	v_cmp_gt_i64_e64 s0, s[10:11], v[2:3]
	v_max_i32_e32 v3, v2, v0
	v_or_b32_e32 v10, 0x2000, v20
	v_mad_u64_u32 v[14:15], null, s29, v0, v[1:2]
	v_lshlrev_b64 v[12:13], 3, v[12:13]
	s_delay_alu instid0(VALU_DEP_4) | instskip(SKIP_3) | instid1(VALU_DEP_4)
	v_cmp_gt_i32_e32 vcc_lo, s3, v3
	v_ashrrev_i32_e32 v3, 31, v2
	s_mul_i32 s6, s31, s15
	s_mul_hi_u32 s7, s30, s15
	v_dual_mov_b32 v5, v14 :: v_dual_add_nc_u32 v22, 0x1800, v10
	v_mad_u64_u32 v[14:15], null, s22, v0, 0
	v_add_co_u32 v16, s3, s4, v12
	s_delay_alu instid0(VALU_DEP_3)
	v_lshlrev_b64 v[4:5], 3, v[4:5]
	v_add_co_ci_u32_e64 v17, s3, s5, v13, s3
	s_add_i32 s5, s7, s6
	s_mul_i32 s4, s30, s15
	v_lshlrev_b64 v[12:13], 3, v[2:3]
	v_mov_b32_e32 v1, v15
	s_lshl_b64 s[4:5], s[4:5], 3
	s_mul_i32 s6, s25, s15
	v_add_co_u32 v15, s3, s4, v4
	s_delay_alu instid0(VALU_DEP_1) | instskip(SKIP_2) | instid1(VALU_DEP_1)
	v_add_co_ci_u32_e64 v5, s3, s5, v5, s3
	v_mad_u64_u32 v[3:4], null, s23, v0, v[1:2]
	v_add_co_u32 v0, s3, v16, v12
	v_add_co_ci_u32_e64 v1, s3, v17, v13, s3
	v_mad_u64_u32 v[16:17], null, s28, v2, 0
	v_add_co_u32 v12, s3, v15, v21
	s_delay_alu instid0(VALU_DEP_1) | instskip(SKIP_2) | instid1(VALU_DEP_4)
	v_add_co_ci_u32_e64 v5, s3, 0, v5, s3
	v_mov_b32_e32 v15, v3
	v_mad_u64_u32 v[3:4], null, s22, v2, 0
	v_add_co_u32 v12, s3, s26, v12
	s_delay_alu instid0(VALU_DEP_1)
	v_add_co_ci_u32_e64 v13, s3, s27, v5, s3
	v_mov_b32_e32 v5, v17
	s_mul_hi_u32 s7, s24, s15
	v_lshlrev_b64 v[14:15], 3, v[14:15]
	s_add_i32 s7, s7, s6
	s_mul_i32 s6, s24, s15
	v_mad_u64_u32 v[17:18], null, s23, v2, v[4:5]
	s_lshl_b64 s[6:7], s[6:7], 3
	v_mad_u64_u32 v[18:19], null, s29, v2, v[5:6]
	v_add_co_u32 v2, s3, s6, v14
	s_delay_alu instid0(VALU_DEP_1) | instskip(NEXT) | instid1(VALU_DEP_4)
	v_add_co_ci_u32_e64 v5, s3, s7, v15, s3
	v_mov_b32_e32 v4, v17
	s_delay_alu instid0(VALU_DEP_3) | instskip(SKIP_1) | instid1(VALU_DEP_4)
	v_add_co_u32 v14, s3, v2, v21
	v_dual_mov_b32 v17, v18 :: v_dual_lshlrev_b32 v8, 8, v7
	v_add_co_ci_u32_e64 v5, s3, 0, v5, s3
	s_delay_alu instid0(VALU_DEP_4) | instskip(NEXT) | instid1(VALU_DEP_4)
	v_lshlrev_b64 v[2:3], 3, v[3:4]
	v_add_co_u32 v14, s3, s20, v14
	s_delay_alu instid0(VALU_DEP_1) | instskip(SKIP_1) | instid1(VALU_DEP_4)
	v_add_co_ci_u32_e64 v15, s3, s21, v5, s3
	v_lshlrev_b64 v[4:5], 3, v[16:17]
	v_add_co_u32 v2, s3, s6, v2
	s_delay_alu instid0(VALU_DEP_1) | instskip(SKIP_1) | instid1(VALU_DEP_4)
	v_add_co_ci_u32_e64 v3, s3, s7, v3, s3
	v_add_nc_u32_e32 v9, v8, v20
	v_add_co_u32 v4, s3, s4, v4
	s_delay_alu instid0(VALU_DEP_1) | instskip(SKIP_1) | instid1(VALU_DEP_1)
	v_add_co_ci_u32_e64 v5, s3, s5, v5, s3
	v_add_co_u32 v2, s3, v2, v20
	v_add_co_ci_u32_e64 v3, s3, 0, v3, s3
	s_delay_alu instid0(VALU_DEP_4) | instskip(NEXT) | instid1(VALU_DEP_1)
	v_add_co_u32 v4, s3, v4, v20
	v_add_co_ci_u32_e64 v5, s3, 0, v5, s3
	s_delay_alu instid0(VALU_DEP_4) | instskip(NEXT) | instid1(VALU_DEP_1)
	v_add_co_u32 v16, s3, s20, v2
	v_add_co_ci_u32_e64 v17, s3, s21, v3, s3
	s_delay_alu instid0(VALU_DEP_4)
	v_add_co_u32 v18, s3, s26, v4
	v_add_nc_u32_e32 v11, v10, v8
	v_add_co_ci_u32_e64 v19, s3, s27, v5, s3
	v_add_nc_u32_e32 v20, 0x800, v10
	v_add_nc_u32_e32 v21, 0x1000, v10
	s_and_b32 s6, s2, vcc_lo
	s_mov_b64 s[2:3], 0
	s_mov_b64 s[4:5], 0
	s_branch .LBB1855_5
.LBB1855_4:                             ;   in Loop: Header=BB1855_5 Depth=1
	s_or_b32 exec_lo, exec_lo, s7
	s_add_u32 s4, s4, 32
	s_addc_u32 s5, s5, 0
	s_add_u32 s2, s2, 0x100
	v_cmp_lt_i64_e64 s7, s[4:5], s[16:17]
	s_addc_u32 s3, s3, 0
	s_waitcnt_vscnt null, 0x0
	s_barrier
	buffer_gl0_inv
	s_and_b32 vcc_lo, exec_lo, s7
	s_cbranch_vccz .LBB1855_17
.LBB1855_5:                             ; =>This Inner Loop Header: Depth=1
	v_add_co_u32 v4, s7, v6, s4
	s_delay_alu instid0(VALU_DEP_1) | instskip(SKIP_2) | instid1(VALU_DEP_3)
	v_add_co_ci_u32_e64 v5, null, 0, s5, s7
	v_mov_b32_e32 v2, 0
	v_mov_b32_e32 v3, 0
	v_cmp_gt_i64_e32 vcc_lo, s[16:17], v[4:5]
	s_delay_alu instid0(VALU_DEP_2) | instskip(SKIP_1) | instid1(SALU_CYCLE_1)
	v_dual_mov_b32 v5, v3 :: v_dual_mov_b32 v4, v2
	s_and_b32 s7, s0, vcc_lo
	s_and_saveexec_b32 s10, s7
	s_cbranch_execz .LBB1855_7
; %bb.6:                                ;   in Loop: Header=BB1855_5 Depth=1
	v_add_co_u32 v4, vcc_lo, v16, s2
	v_add_co_ci_u32_e32 v5, vcc_lo, s3, v17, vcc_lo
	global_load_b64 v[4:5], v[4:5], off
.LBB1855_7:                             ;   in Loop: Header=BB1855_5 Depth=1
	s_or_b32 exec_lo, exec_lo, s10
	v_add_co_u32 v23, s10, v7, s4
	s_delay_alu instid0(VALU_DEP_1) | instskip(SKIP_4) | instid1(SALU_CYCLE_1)
	v_add_co_ci_u32_e64 v24, null, 0, s5, s10
	s_waitcnt vmcnt(0)
	ds_store_b64 v9, v[4:5]
	v_cmp_gt_i64_e32 vcc_lo, s[16:17], v[23:24]
	s_and_b32 s10, s1, vcc_lo
	s_and_saveexec_b32 s11, s10
	s_cbranch_execz .LBB1855_9
; %bb.8:                                ;   in Loop: Header=BB1855_5 Depth=1
	v_add_co_u32 v2, vcc_lo, v12, s2
	v_add_co_ci_u32_e32 v3, vcc_lo, s3, v13, vcc_lo
	global_load_b64 v[2:3], v[2:3], off
.LBB1855_9:                             ;   in Loop: Header=BB1855_5 Depth=1
	s_or_b32 exec_lo, exec_lo, s11
	s_waitcnt vmcnt(0)
	ds_store_b64 v11, v[2:3]
	s_waitcnt lgkmcnt(0)
	s_barrier
	buffer_gl0_inv
	s_and_saveexec_b32 s11, s6
	s_cbranch_execz .LBB1855_11
; %bb.10:                               ;   in Loop: Header=BB1855_5 Depth=1
	ds_load_2addr_b64 v[2:5], v10 offset1:32
	ds_load_b128 v[23:26], v8
	ds_load_b128 v[27:30], v8 offset:16
	s_waitcnt lgkmcnt(1)
	v_fma_f64 v[2:3], v[23:24], v[2:3], 0
	s_delay_alu instid0(VALU_DEP_1) | instskip(SKIP_3) | instid1(VALU_DEP_1)
	v_fma_f64 v[23:24], v[25:26], v[4:5], v[2:3]
	ds_load_2addr_b64 v[2:5], v10 offset0:64 offset1:96
	s_waitcnt lgkmcnt(0)
	v_fma_f64 v[2:3], v[27:28], v[2:3], v[23:24]
	v_fma_f64 v[31:32], v[29:30], v[4:5], v[2:3]
	ds_load_2addr_b64 v[2:5], v10 offset0:128 offset1:160
	ds_load_b128 v[23:26], v8 offset:32
	ds_load_b128 v[27:30], v8 offset:48
	s_waitcnt lgkmcnt(1)
	v_fma_f64 v[2:3], v[23:24], v[2:3], v[31:32]
	s_delay_alu instid0(VALU_DEP_1) | instskip(SKIP_3) | instid1(VALU_DEP_1)
	v_fma_f64 v[23:24], v[25:26], v[4:5], v[2:3]
	ds_load_2addr_b64 v[2:5], v10 offset0:192 offset1:224
	s_waitcnt lgkmcnt(0)
	v_fma_f64 v[2:3], v[27:28], v[2:3], v[23:24]
	v_fma_f64 v[31:32], v[29:30], v[4:5], v[2:3]
	ds_load_2addr_b64 v[2:5], v20 offset1:32
	ds_load_b128 v[23:26], v8 offset:64
	ds_load_b128 v[27:30], v8 offset:80
	s_waitcnt lgkmcnt(1)
	v_fma_f64 v[2:3], v[23:24], v[2:3], v[31:32]
	s_delay_alu instid0(VALU_DEP_1) | instskip(SKIP_3) | instid1(VALU_DEP_1)
	v_fma_f64 v[23:24], v[25:26], v[4:5], v[2:3]
	ds_load_2addr_b64 v[2:5], v20 offset0:64 offset1:96
	s_waitcnt lgkmcnt(0)
	v_fma_f64 v[2:3], v[27:28], v[2:3], v[23:24]
	v_fma_f64 v[31:32], v[29:30], v[4:5], v[2:3]
	ds_load_2addr_b64 v[2:5], v20 offset0:128 offset1:160
	ds_load_b128 v[23:26], v8 offset:96
	ds_load_b128 v[27:30], v8 offset:112
	s_waitcnt lgkmcnt(1)
	v_fma_f64 v[2:3], v[23:24], v[2:3], v[31:32]
	s_delay_alu instid0(VALU_DEP_1) | instskip(SKIP_3) | instid1(VALU_DEP_1)
	v_fma_f64 v[23:24], v[25:26], v[4:5], v[2:3]
	ds_load_2addr_b64 v[2:5], v20 offset0:192 offset1:224
	s_waitcnt lgkmcnt(0)
	v_fma_f64 v[2:3], v[27:28], v[2:3], v[23:24]
	v_fma_f64 v[31:32], v[29:30], v[4:5], v[2:3]
	ds_load_2addr_b64 v[2:5], v21 offset1:32
	ds_load_b128 v[23:26], v8 offset:128
	;; [unrolled: 22-line block ×3, first 2 shown]
	global_load_b64 v[33:34], v[0:1], off
	ds_load_b128 v[27:30], v8 offset:208
	s_waitcnt lgkmcnt(1)
	v_fma_f64 v[2:3], v[23:24], v[2:3], v[31:32]
	s_delay_alu instid0(VALU_DEP_1) | instskip(SKIP_3) | instid1(VALU_DEP_1)
	v_fma_f64 v[23:24], v[25:26], v[4:5], v[2:3]
	ds_load_2addr_b64 v[2:5], v22 offset0:64 offset1:96
	s_waitcnt lgkmcnt(0)
	v_fma_f64 v[2:3], v[27:28], v[2:3], v[23:24]
	v_fma_f64 v[31:32], v[29:30], v[4:5], v[2:3]
	ds_load_2addr_b64 v[2:5], v22 offset0:128 offset1:160
	ds_load_b128 v[23:26], v8 offset:224
	ds_load_b128 v[27:30], v8 offset:240
	s_waitcnt lgkmcnt(1)
	v_fma_f64 v[2:3], v[23:24], v[2:3], v[31:32]
	s_delay_alu instid0(VALU_DEP_1) | instskip(SKIP_3) | instid1(VALU_DEP_1)
	v_fma_f64 v[23:24], v[25:26], v[4:5], v[2:3]
	ds_load_2addr_b64 v[2:5], v22 offset0:192 offset1:224
	s_waitcnt lgkmcnt(0)
	v_fma_f64 v[2:3], v[27:28], v[2:3], v[23:24]
	v_fma_f64 v[2:3], v[29:30], v[4:5], v[2:3]
	s_waitcnt vmcnt(0)
	s_delay_alu instid0(VALU_DEP_1)
	v_fma_f64 v[2:3], s[8:9], v[2:3], v[33:34]
	global_store_b64 v[0:1], v[2:3], off
.LBB1855_11:                            ;   in Loop: Header=BB1855_5 Depth=1
	s_or_b32 exec_lo, exec_lo, s11
	v_mov_b32_e32 v2, 0
	v_mov_b32_e32 v3, 0
	s_waitcnt_vscnt null, 0x0
	s_barrier
	buffer_gl0_inv
	v_dual_mov_b32 v5, v3 :: v_dual_mov_b32 v4, v2
	s_and_saveexec_b32 s11, s7
	s_cbranch_execz .LBB1855_13
; %bb.12:                               ;   in Loop: Header=BB1855_5 Depth=1
	v_add_co_u32 v4, vcc_lo, v18, s2
	v_add_co_ci_u32_e32 v5, vcc_lo, s3, v19, vcc_lo
	global_load_b64 v[4:5], v[4:5], off
.LBB1855_13:                            ;   in Loop: Header=BB1855_5 Depth=1
	s_or_b32 exec_lo, exec_lo, s11
	s_waitcnt vmcnt(0)
	ds_store_b64 v9, v[4:5]
	s_and_saveexec_b32 s7, s10
	s_cbranch_execz .LBB1855_15
; %bb.14:                               ;   in Loop: Header=BB1855_5 Depth=1
	v_add_co_u32 v2, vcc_lo, v14, s2
	v_add_co_ci_u32_e32 v3, vcc_lo, s3, v15, vcc_lo
	global_load_b64 v[2:3], v[2:3], off
.LBB1855_15:                            ;   in Loop: Header=BB1855_5 Depth=1
	s_or_b32 exec_lo, exec_lo, s7
	s_waitcnt vmcnt(0)
	ds_store_b64 v11, v[2:3]
	s_waitcnt lgkmcnt(0)
	s_barrier
	buffer_gl0_inv
	s_and_saveexec_b32 s7, s6
	s_cbranch_execz .LBB1855_4
; %bb.16:                               ;   in Loop: Header=BB1855_5 Depth=1
	ds_load_2addr_b64 v[2:5], v10 offset1:32
	ds_load_b128 v[23:26], v8
	ds_load_b128 v[27:30], v8 offset:16
	s_waitcnt lgkmcnt(1)
	v_fma_f64 v[2:3], v[23:24], v[2:3], 0
	s_delay_alu instid0(VALU_DEP_1) | instskip(SKIP_3) | instid1(VALU_DEP_1)
	v_fma_f64 v[23:24], v[25:26], v[4:5], v[2:3]
	ds_load_2addr_b64 v[2:5], v10 offset0:64 offset1:96
	s_waitcnt lgkmcnt(0)
	v_fma_f64 v[2:3], v[27:28], v[2:3], v[23:24]
	v_fma_f64 v[31:32], v[29:30], v[4:5], v[2:3]
	ds_load_2addr_b64 v[2:5], v10 offset0:128 offset1:160
	ds_load_b128 v[23:26], v8 offset:32
	ds_load_b128 v[27:30], v8 offset:48
	s_waitcnt lgkmcnt(1)
	v_fma_f64 v[2:3], v[23:24], v[2:3], v[31:32]
	s_delay_alu instid0(VALU_DEP_1) | instskip(SKIP_3) | instid1(VALU_DEP_1)
	v_fma_f64 v[23:24], v[25:26], v[4:5], v[2:3]
	ds_load_2addr_b64 v[2:5], v10 offset0:192 offset1:224
	s_waitcnt lgkmcnt(0)
	v_fma_f64 v[2:3], v[27:28], v[2:3], v[23:24]
	v_fma_f64 v[31:32], v[29:30], v[4:5], v[2:3]
	ds_load_2addr_b64 v[2:5], v20 offset1:32
	ds_load_b128 v[23:26], v8 offset:64
	ds_load_b128 v[27:30], v8 offset:80
	s_waitcnt lgkmcnt(1)
	v_fma_f64 v[2:3], v[23:24], v[2:3], v[31:32]
	s_delay_alu instid0(VALU_DEP_1) | instskip(SKIP_3) | instid1(VALU_DEP_1)
	v_fma_f64 v[23:24], v[25:26], v[4:5], v[2:3]
	ds_load_2addr_b64 v[2:5], v20 offset0:64 offset1:96
	s_waitcnt lgkmcnt(0)
	v_fma_f64 v[2:3], v[27:28], v[2:3], v[23:24]
	v_fma_f64 v[31:32], v[29:30], v[4:5], v[2:3]
	ds_load_2addr_b64 v[2:5], v20 offset0:128 offset1:160
	ds_load_b128 v[23:26], v8 offset:96
	ds_load_b128 v[27:30], v8 offset:112
	s_waitcnt lgkmcnt(1)
	v_fma_f64 v[2:3], v[23:24], v[2:3], v[31:32]
	s_delay_alu instid0(VALU_DEP_1) | instskip(SKIP_3) | instid1(VALU_DEP_1)
	v_fma_f64 v[23:24], v[25:26], v[4:5], v[2:3]
	ds_load_2addr_b64 v[2:5], v20 offset0:192 offset1:224
	s_waitcnt lgkmcnt(0)
	v_fma_f64 v[2:3], v[27:28], v[2:3], v[23:24]
	v_fma_f64 v[31:32], v[29:30], v[4:5], v[2:3]
	ds_load_2addr_b64 v[2:5], v21 offset1:32
	ds_load_b128 v[23:26], v8 offset:128
	;; [unrolled: 22-line block ×3, first 2 shown]
	global_load_b64 v[33:34], v[0:1], off
	ds_load_b128 v[27:30], v8 offset:208
	s_waitcnt lgkmcnt(1)
	v_fma_f64 v[2:3], v[23:24], v[2:3], v[31:32]
	s_delay_alu instid0(VALU_DEP_1) | instskip(SKIP_3) | instid1(VALU_DEP_1)
	v_fma_f64 v[23:24], v[25:26], v[4:5], v[2:3]
	ds_load_2addr_b64 v[2:5], v22 offset0:64 offset1:96
	s_waitcnt lgkmcnt(0)
	v_fma_f64 v[2:3], v[27:28], v[2:3], v[23:24]
	v_fma_f64 v[31:32], v[29:30], v[4:5], v[2:3]
	ds_load_2addr_b64 v[2:5], v22 offset0:128 offset1:160
	ds_load_b128 v[23:26], v8 offset:224
	ds_load_b128 v[27:30], v8 offset:240
	s_waitcnt lgkmcnt(1)
	v_fma_f64 v[2:3], v[23:24], v[2:3], v[31:32]
	s_delay_alu instid0(VALU_DEP_1) | instskip(SKIP_3) | instid1(VALU_DEP_1)
	v_fma_f64 v[23:24], v[25:26], v[4:5], v[2:3]
	ds_load_2addr_b64 v[2:5], v22 offset0:192 offset1:224
	s_waitcnt lgkmcnt(0)
	v_fma_f64 v[2:3], v[27:28], v[2:3], v[23:24]
	v_fma_f64 v[2:3], v[29:30], v[4:5], v[2:3]
	s_waitcnt vmcnt(0)
	s_delay_alu instid0(VALU_DEP_1)
	v_fma_f64 v[2:3], s[8:9], v[2:3], v[33:34]
	global_store_b64 v[0:1], v[2:3], off
	s_branch .LBB1855_4
.LBB1855_17:
	s_endpgm
	.section	.rodata,"a",@progbits
	.p2align	6, 0x0
	.amdhsa_kernel _ZL26rocblas_syr2k_her2k_kernelIlLb1ELb0ELb1ELi32EPKdS1_PdEvbiT_T4_T5_S3_lS5_S3_lT6_S3_li
		.amdhsa_group_segment_fixed_size 16384
		.amdhsa_private_segment_fixed_size 0
		.amdhsa_kernarg_size 100
		.amdhsa_user_sgpr_count 13
		.amdhsa_user_sgpr_dispatch_ptr 0
		.amdhsa_user_sgpr_queue_ptr 0
		.amdhsa_user_sgpr_kernarg_segment_ptr 1
		.amdhsa_user_sgpr_dispatch_id 0
		.amdhsa_user_sgpr_private_segment_size 0
		.amdhsa_wavefront_size32 1
		.amdhsa_uses_dynamic_stack 0
		.amdhsa_enable_private_segment 0
		.amdhsa_system_sgpr_workgroup_id_x 1
		.amdhsa_system_sgpr_workgroup_id_y 1
		.amdhsa_system_sgpr_workgroup_id_z 1
		.amdhsa_system_sgpr_workgroup_info 0
		.amdhsa_system_vgpr_workitem_id 1
		.amdhsa_next_free_vgpr 35
		.amdhsa_next_free_sgpr 32
		.amdhsa_reserve_vcc 1
		.amdhsa_float_round_mode_32 0
		.amdhsa_float_round_mode_16_64 0
		.amdhsa_float_denorm_mode_32 3
		.amdhsa_float_denorm_mode_16_64 3
		.amdhsa_dx10_clamp 1
		.amdhsa_ieee_mode 1
		.amdhsa_fp16_overflow 0
		.amdhsa_workgroup_processor_mode 1
		.amdhsa_memory_ordered 1
		.amdhsa_forward_progress 0
		.amdhsa_shared_vgpr_count 0
		.amdhsa_exception_fp_ieee_invalid_op 0
		.amdhsa_exception_fp_denorm_src 0
		.amdhsa_exception_fp_ieee_div_zero 0
		.amdhsa_exception_fp_ieee_overflow 0
		.amdhsa_exception_fp_ieee_underflow 0
		.amdhsa_exception_fp_ieee_inexact 0
		.amdhsa_exception_int_div_zero 0
	.end_amdhsa_kernel
	.section	.text._ZL26rocblas_syr2k_her2k_kernelIlLb1ELb0ELb1ELi32EPKdS1_PdEvbiT_T4_T5_S3_lS5_S3_lT6_S3_li,"axG",@progbits,_ZL26rocblas_syr2k_her2k_kernelIlLb1ELb0ELb1ELi32EPKdS1_PdEvbiT_T4_T5_S3_lS5_S3_lT6_S3_li,comdat
.Lfunc_end1855:
	.size	_ZL26rocblas_syr2k_her2k_kernelIlLb1ELb0ELb1ELi32EPKdS1_PdEvbiT_T4_T5_S3_lS5_S3_lT6_S3_li, .Lfunc_end1855-_ZL26rocblas_syr2k_her2k_kernelIlLb1ELb0ELb1ELi32EPKdS1_PdEvbiT_T4_T5_S3_lS5_S3_lT6_S3_li
                                        ; -- End function
	.section	.AMDGPU.csdata,"",@progbits
; Kernel info:
; codeLenInByte = 2524
; NumSgprs: 34
; NumVgprs: 35
; ScratchSize: 0
; MemoryBound: 0
; FloatMode: 240
; IeeeMode: 1
; LDSByteSize: 16384 bytes/workgroup (compile time only)
; SGPRBlocks: 4
; VGPRBlocks: 4
; NumSGPRsForWavesPerEU: 34
; NumVGPRsForWavesPerEU: 35
; Occupancy: 16
; WaveLimiterHint : 0
; COMPUTE_PGM_RSRC2:SCRATCH_EN: 0
; COMPUTE_PGM_RSRC2:USER_SGPR: 13
; COMPUTE_PGM_RSRC2:TRAP_HANDLER: 0
; COMPUTE_PGM_RSRC2:TGID_X_EN: 1
; COMPUTE_PGM_RSRC2:TGID_Y_EN: 1
; COMPUTE_PGM_RSRC2:TGID_Z_EN: 1
; COMPUTE_PGM_RSRC2:TIDIG_COMP_CNT: 1
	.section	.text._ZL26rocblas_syr2k_her2k_kernelIlLb1ELb0ELb0ELi32E19rocblas_complex_numIfEPKS1_PS1_EvbiT_T4_T5_S5_lS7_S5_lT6_S5_li,"axG",@progbits,_ZL26rocblas_syr2k_her2k_kernelIlLb1ELb0ELb0ELi32E19rocblas_complex_numIfEPKS1_PS1_EvbiT_T4_T5_S5_lS7_S5_lT6_S5_li,comdat
	.globl	_ZL26rocblas_syr2k_her2k_kernelIlLb1ELb0ELb0ELi32E19rocblas_complex_numIfEPKS1_PS1_EvbiT_T4_T5_S5_lS7_S5_lT6_S5_li ; -- Begin function _ZL26rocblas_syr2k_her2k_kernelIlLb1ELb0ELb0ELi32E19rocblas_complex_numIfEPKS1_PS1_EvbiT_T4_T5_S5_lS7_S5_lT6_S5_li
	.p2align	8
	.type	_ZL26rocblas_syr2k_her2k_kernelIlLb1ELb0ELb0ELi32E19rocblas_complex_numIfEPKS1_PS1_EvbiT_T4_T5_S5_lS7_S5_lT6_S5_li,@function
_ZL26rocblas_syr2k_her2k_kernelIlLb1ELb0ELb0ELi32E19rocblas_complex_numIfEPKS1_PS1_EvbiT_T4_T5_S5_lS7_S5_lT6_S5_li: ; @_ZL26rocblas_syr2k_her2k_kernelIlLb1ELb0ELb0ELi32E19rocblas_complex_numIfEPKS1_PS1_EvbiT_T4_T5_S5_lS7_S5_lT6_S5_li
; %bb.0:
	s_load_b64 s[4:5], s[0:1], 0x10
	s_waitcnt lgkmcnt(0)
	v_cmp_eq_f32_e64 s2, s4, 0
	v_cmp_eq_f32_e64 s3, s5, 0
	s_delay_alu instid0(VALU_DEP_1) | instskip(NEXT) | instid1(SALU_CYCLE_1)
	s_and_b32 s2, s2, s3
	s_and_b32 vcc_lo, exec_lo, s2
	s_cbranch_vccnz .LBB1856_17
; %bb.1:
	s_load_b64 s[2:3], s[0:1], 0x0
	s_lshl_b32 s8, s14, 5
	s_lshl_b32 s9, s13, 5
	s_waitcnt lgkmcnt(0)
	s_and_b32 s2, 1, s2
	s_delay_alu instid0(SALU_CYCLE_1) | instskip(SKIP_1) | instid1(SALU_CYCLE_1)
	s_cmp_eq_u32 s2, 1
	s_cselect_b32 s2, -1, 0
	s_and_b32 s6, s2, exec_lo
	s_cselect_b32 s6, s9, s8
	s_cselect_b32 s7, s8, s9
	s_delay_alu instid0(SALU_CYCLE_1)
	s_cmp_gt_i32 s6, s7
	s_cbranch_scc1 .LBB1856_17
; %bb.2:
	s_load_b64 s[6:7], s[0:1], 0x8
	s_waitcnt lgkmcnt(0)
	v_cmp_lt_i64_e64 s10, s[6:7], 1
	s_delay_alu instid0(VALU_DEP_1)
	s_and_b32 vcc_lo, exec_lo, s10
	s_cbranch_vccnz .LBB1856_17
; %bb.3:
	s_clause 0x1
	s_load_b512 s[16:31], s[0:1], 0x18
	s_load_b64 s[0:1], s[0:1], 0x58
	v_bfe_u32 v6, v0, 10, 10
	v_and_b32_e32 v7, 0x3ff, v0
	s_delay_alu instid0(VALU_DEP_2) | instskip(NEXT) | instid1(VALU_DEP_1)
	v_dual_mov_b32 v3, 0 :: v_dual_add_nc_u32 v0, s8, v6
	v_dual_mov_b32 v1, v3 :: v_dual_add_nc_u32 v2, s9, v7
	s_mov_b32 s8, s3
	s_delay_alu instid0(VALU_DEP_2) | instskip(NEXT) | instid1(VALU_DEP_2)
	v_ashrrev_i32_e32 v9, 31, v0
	v_cndmask_b32_e64 v11, v2, v0, s2
	v_cndmask_b32_e64 v16, v0, v2, s2
	v_max_i32_e32 v17, v2, v0
	v_lshlrev_b64 v[20:21], 3, v[0:1]
	s_delay_alu instid0(VALU_DEP_2)
	v_cmp_gt_i32_e32 vcc_lo, s3, v17
	s_waitcnt lgkmcnt(0)
	v_mad_u64_u32 v[4:5], null, s24, v7, 0
	v_mul_lo_u32 v18, v9, s30
	v_mul_lo_u32 v19, v0, s31
	v_mad_u64_u32 v[12:13], null, v0, s30, 0
	s_mul_i32 s2, s15, s27
	s_mul_hi_u32 s9, s15, s26
	s_delay_alu instid0(VALU_DEP_4) | instskip(SKIP_2) | instid1(VALU_DEP_2)
	v_mad_u64_u32 v[14:15], null, s25, v7, v[5:6]
	s_mul_i32 s10, s15, s26
	s_add_i32 s11, s9, s2
	v_add3_u32 v13, v13, v19, v18
	s_lshl_b64 s[10:11], s[10:11], 3
	s_mul_i32 s1, s15, s1
	s_mul_hi_u32 s14, s15, s0
	s_add_u32 s12, s22, s10
	v_dual_mov_b32 v5, v14 :: v_dual_lshlrev_b32 v10, 3, v6
	s_mul_i32 s0, s15, s0
	s_addc_u32 s13, s23, s11
	s_add_i32 s1, s14, s1
	v_cmp_le_i32_e64 s2, v16, v11
	v_mov_b32_e32 v14, v2
	v_lshlrev_b64 v[12:13], 3, v[12:13]
	v_mad_u64_u32 v[16:17], null, s24, v6, 0
	v_mad_u64_u32 v[18:19], null, s18, v7, 0
	s_lshl_b64 s[0:1], s[0:1], 3
	v_lshlrev_b32_e32 v8, 8, v7
	s_add_u32 s10, s28, s0
	s_addc_u32 s11, s29, s1
	s_and_b32 s14, s2, vcc_lo
	v_add_co_u32 v25, vcc_lo, s10, v12
	v_ashrrev_i32_e32 v15, 31, v2
	v_add_co_ci_u32_e32 v26, vcc_lo, s11, v13, vcc_lo
	v_dual_mov_b32 v13, v19 :: v_dual_mov_b32 v12, v17
	s_ashr_i32 s9, s3, 31
	v_lshlrev_b64 v[4:5], 3, v[4:5]
	v_cmp_gt_i64_e64 s1, s[8:9], v[0:1]
	v_lshlrev_b64 v[0:1], 3, v[14:15]
	v_mad_u64_u32 v[14:15], null, s25, v6, v[12:13]
	v_or_b32_e32 v9, 0x2000, v10
	v_add_co_u32 v4, vcc_lo, v4, v20
	v_add_nc_u32_e32 v10, v8, v10
	v_cmp_gt_i64_e64 s0, s[8:9], v[2:3]
	v_add_co_ci_u32_e32 v12, vcc_lo, v5, v21, vcc_lo
	v_mov_b32_e32 v17, v14
	v_mad_u64_u32 v[22:23], null, s19, v7, v[13:14]
	v_mad_u64_u32 v[23:24], null, s18, v6, 0
	v_add_nc_u32_e32 v11, v9, v8
	v_or_b32_e32 v13, 4, v4
	v_lshlrev_b64 v[2:3], 3, v[2:3]
	s_mul_i32 s8, s21, s15
	v_mov_b32_e32 v19, v22
	s_mul_hi_u32 s9, s20, s15
	v_mov_b32_e32 v4, v24
	v_add_co_u32 v0, s2, v25, v0
	s_add_i32 s9, s9, s8
	s_mul_i32 s8, s20, s15
	s_delay_alu instid0(VALU_DEP_2)
	v_mad_u64_u32 v[14:15], null, s19, v6, v[4:5]
	v_lshlrev_b64 v[4:5], 3, v[16:17]
	v_lshlrev_b64 v[16:17], 3, v[18:19]
	v_add_co_ci_u32_e64 v1, s2, v26, v1, s2
	s_lshl_b64 s[8:9], s[8:9], 3
	s_lshl_b64 s[2:3], s[24:25], 8
	s_delay_alu instid0(VALU_DEP_4)
	v_mov_b32_e32 v24, v14
	v_add_co_u32 v14, vcc_lo, v4, v2
	v_add_co_ci_u32_e32 v15, vcc_lo, v5, v3, vcc_lo
	v_add_co_u32 v16, vcc_lo, v16, v20
	v_add_co_ci_u32_e32 v17, vcc_lo, v17, v21, vcc_lo
	v_add_nc_u32_e32 v21, 0x1000, v9
	v_lshlrev_b64 v[4:5], 3, v[23:24]
	s_add_u32 s8, s8, s16
	v_add_nc_u32_e32 v20, 0x800, v9
	v_add_nc_u32_e32 v22, 0x1800, v9
	s_addc_u32 s9, s9, s17
	s_add_u32 s15, s8, 4
	v_add_co_u32 v18, vcc_lo, v4, v2
	v_add_co_ci_u32_e32 v19, vcc_lo, v5, v3, vcc_lo
	s_addc_u32 s16, s9, 0
	s_lshl_b64 s[8:9], s[18:19], 8
	s_mov_b64 s[10:11], 0
	s_branch .LBB1856_5
.LBB1856_4:                             ;   in Loop: Header=BB1856_5 Depth=1
	s_or_b32 exec_lo, exec_lo, s17
	s_add_u32 s10, s10, 32
	s_addc_u32 s11, s11, 0
	s_add_u32 s12, s12, s2
	v_cmp_lt_i64_e64 s17, s[10:11], s[6:7]
	s_addc_u32 s13, s13, s3
	s_add_u32 s15, s15, s8
	s_addc_u32 s16, s16, s9
	s_waitcnt_vscnt null, 0x0
	s_barrier
	s_and_b32 vcc_lo, exec_lo, s17
	buffer_gl0_inv
	s_cbranch_vccz .LBB1856_17
.LBB1856_5:                             ; =>This Inner Loop Header: Depth=1
	v_add_co_u32 v2, s17, v6, s10
	s_delay_alu instid0(VALU_DEP_1) | instskip(NEXT) | instid1(VALU_DEP_1)
	v_add_co_ci_u32_e64 v3, null, 0, s11, s17
	v_cmp_gt_i64_e32 vcc_lo, s[6:7], v[2:3]
	v_dual_mov_b32 v2, 0 :: v_dual_mov_b32 v3, 0
	s_and_b32 s17, s0, vcc_lo
	s_delay_alu instid0(SALU_CYCLE_1)
	s_and_saveexec_b32 s18, s17
	s_cbranch_execz .LBB1856_7
; %bb.6:                                ;   in Loop: Header=BB1856_5 Depth=1
	v_add_co_u32 v2, vcc_lo, s15, v18
	v_add_co_ci_u32_e32 v3, vcc_lo, s16, v19, vcc_lo
	global_load_b64 v[2:3], v[2:3], off offset:-4
.LBB1856_7:                             ;   in Loop: Header=BB1856_5 Depth=1
	s_or_b32 exec_lo, exec_lo, s18
	v_add_co_u32 v4, s18, v7, s10
	s_delay_alu instid0(VALU_DEP_1)
	v_add_co_ci_u32_e64 v5, null, 0, s11, s18
	s_waitcnt vmcnt(0)
	ds_store_b64 v10, v[2:3]
	v_cmp_gt_i64_e32 vcc_lo, s[6:7], v[4:5]
	v_dual_mov_b32 v4, 0 :: v_dual_mov_b32 v5, 0
	s_and_b32 s18, s1, vcc_lo
	s_delay_alu instid0(SALU_CYCLE_1)
	s_and_saveexec_b32 s19, s18
	s_cbranch_execz .LBB1856_9
; %bb.8:                                ;   in Loop: Header=BB1856_5 Depth=1
	v_add_co_u32 v2, vcc_lo, s12, v13
	v_add_co_ci_u32_e32 v3, vcc_lo, s13, v12, vcc_lo
	global_load_b64 v[4:5], v[2:3], off offset:-4
.LBB1856_9:                             ;   in Loop: Header=BB1856_5 Depth=1
	s_or_b32 exec_lo, exec_lo, s19
	s_waitcnt vmcnt(0)
	ds_store_b64 v11, v[4:5]
	s_waitcnt lgkmcnt(0)
	s_barrier
	buffer_gl0_inv
	s_and_saveexec_b32 s19, s14
	s_cbranch_execz .LBB1856_11
; %bb.10:                               ;   in Loop: Header=BB1856_5 Depth=1
	ds_load_b128 v[2:5], v8
	ds_load_b128 v[23:26], v8 offset:16
	ds_load_b128 v[27:30], v8 offset:32
	;; [unrolled: 1-line block ×3, first 2 shown]
	ds_load_2addr_b64 v[35:38], v9 offset1:32
	s_waitcnt lgkmcnt(0)
	v_mul_f32_e32 v39, v36, v3
	v_mul_f32_e32 v3, v35, v3
	s_delay_alu instid0(VALU_DEP_2) | instskip(NEXT) | instid1(VALU_DEP_2)
	v_fma_f32 v39, v35, v2, -v39
	v_fmac_f32_e32 v3, v36, v2
	v_mul_f32_e32 v35, v38, v5
	s_delay_alu instid0(VALU_DEP_3) | instskip(NEXT) | instid1(VALU_DEP_3)
	v_dual_mul_f32 v5, v37, v5 :: v_dual_add_f32 v2, 0, v39
	v_add_f32_e32 v3, 0, v3
	s_delay_alu instid0(VALU_DEP_3) | instskip(NEXT) | instid1(VALU_DEP_3)
	v_fma_f32 v35, v37, v4, -v35
	v_fmac_f32_e32 v5, v38, v4
	s_delay_alu instid0(VALU_DEP_1) | instskip(SKIP_3) | instid1(VALU_DEP_1)
	v_dual_add_f32 v35, v2, v35 :: v_dual_add_f32 v36, v3, v5
	ds_load_2addr_b64 v[2:5], v9 offset0:64 offset1:96
	s_waitcnt lgkmcnt(0)
	v_mul_f32_e32 v37, v3, v24
	v_fma_f32 v37, v2, v23, -v37
	v_mul_f32_e32 v2, v2, v24
	s_delay_alu instid0(VALU_DEP_1) | instskip(NEXT) | instid1(VALU_DEP_1)
	v_dual_fmac_f32 v2, v3, v23 :: v_dual_mul_f32 v23, v5, v26
	v_add_f32_e32 v2, v36, v2
	s_delay_alu instid0(VALU_DEP_2) | instskip(SKIP_1) | instid1(VALU_DEP_1)
	v_fma_f32 v23, v4, v25, -v23
	v_mul_f32_e32 v4, v4, v26
	v_fmac_f32_e32 v4, v5, v25
	s_delay_alu instid0(VALU_DEP_1) | instskip(NEXT) | instid1(VALU_DEP_1)
	v_dual_add_f32 v3, v35, v37 :: v_dual_add_f32 v24, v2, v4
	v_add_f32_e32 v23, v3, v23
	ds_load_2addr_b64 v[2:5], v9 offset0:128 offset1:160
	s_waitcnt lgkmcnt(0)
	v_mul_f32_e32 v25, v3, v28
	s_delay_alu instid0(VALU_DEP_1) | instskip(SKIP_1) | instid1(VALU_DEP_1)
	v_fma_f32 v25, v2, v27, -v25
	v_mul_f32_e32 v2, v2, v28
	v_fmac_f32_e32 v2, v3, v27
	s_delay_alu instid0(VALU_DEP_1) | instskip(SKIP_1) | instid1(VALU_DEP_1)
	v_dual_add_f32 v2, v24, v2 :: v_dual_add_f32 v3, v23, v25
	v_mul_f32_e32 v23, v5, v30
	v_fma_f32 v23, v4, v29, -v23
	v_mul_f32_e32 v4, v4, v30
	s_delay_alu instid0(VALU_DEP_1) | instskip(NEXT) | instid1(VALU_DEP_1)
	v_fmac_f32_e32 v4, v5, v29
	v_dual_add_f32 v24, v2, v4 :: v_dual_add_f32 v23, v3, v23
	ds_load_2addr_b64 v[2:5], v9 offset0:192 offset1:224
	s_waitcnt lgkmcnt(0)
	v_mul_f32_e32 v25, v3, v32
	s_delay_alu instid0(VALU_DEP_1) | instskip(SKIP_1) | instid1(VALU_DEP_1)
	v_fma_f32 v25, v2, v31, -v25
	v_mul_f32_e32 v2, v2, v32
	v_fmac_f32_e32 v2, v3, v31
	s_delay_alu instid0(VALU_DEP_1) | instskip(SKIP_1) | instid1(VALU_DEP_1)
	v_dual_add_f32 v2, v24, v2 :: v_dual_add_f32 v3, v23, v25
	v_mul_f32_e32 v23, v5, v34
	v_fma_f32 v23, v4, v33, -v23
	v_mul_f32_e32 v4, v4, v34
	s_delay_alu instid0(VALU_DEP_1) | instskip(NEXT) | instid1(VALU_DEP_1)
	v_fmac_f32_e32 v4, v5, v33
	v_dual_add_f32 v28, v2, v4 :: v_dual_add_f32 v27, v3, v23
	ds_load_b128 v[2:5], v8 offset:64
	ds_load_2addr_b64 v[23:26], v20 offset1:32
	s_waitcnt lgkmcnt(0)
	v_mul_f32_e32 v29, v24, v3
	v_mul_f32_e32 v3, v23, v3
	s_delay_alu instid0(VALU_DEP_2) | instskip(SKIP_1) | instid1(VALU_DEP_3)
	v_fma_f32 v29, v23, v2, -v29
	v_mul_f32_e32 v23, v26, v5
	v_fmac_f32_e32 v3, v24, v2
	v_mul_f32_e32 v5, v25, v5
	s_delay_alu instid0(VALU_DEP_4) | instskip(NEXT) | instid1(VALU_DEP_4)
	v_add_f32_e32 v2, v27, v29
	v_fma_f32 v23, v25, v4, -v23
	s_delay_alu instid0(VALU_DEP_3) | instskip(NEXT) | instid1(VALU_DEP_2)
	v_fmac_f32_e32 v5, v26, v4
	v_add_f32_e32 v27, v2, v23
	v_add_f32_e32 v3, v28, v3
	s_delay_alu instid0(VALU_DEP_1)
	v_add_f32_e32 v28, v3, v5
	ds_load_b128 v[2:5], v8 offset:80
	ds_load_2addr_b64 v[23:26], v20 offset0:64 offset1:96
	s_waitcnt lgkmcnt(0)
	v_mul_f32_e32 v29, v24, v3
	v_mul_f32_e32 v3, v23, v3
	s_delay_alu instid0(VALU_DEP_2) | instskip(NEXT) | instid1(VALU_DEP_2)
	v_fma_f32 v29, v23, v2, -v29
	v_fmac_f32_e32 v3, v24, v2
	v_mul_f32_e32 v23, v26, v5
	v_mul_f32_e32 v5, v25, v5
	s_delay_alu instid0(VALU_DEP_3) | instskip(NEXT) | instid1(VALU_DEP_3)
	v_add_f32_e32 v3, v28, v3
	v_fma_f32 v23, v25, v4, -v23
	s_delay_alu instid0(VALU_DEP_3) | instskip(NEXT) | instid1(VALU_DEP_1)
	v_fmac_f32_e32 v5, v26, v4
	v_add_f32_e32 v28, v3, v5
	v_add_f32_e32 v2, v27, v29
	s_delay_alu instid0(VALU_DEP_1)
	v_add_f32_e32 v27, v2, v23
	ds_load_b128 v[2:5], v8 offset:96
	ds_load_2addr_b64 v[23:26], v20 offset0:128 offset1:160
	s_waitcnt lgkmcnt(0)
	v_mul_f32_e32 v29, v24, v3
	v_mul_f32_e32 v3, v23, v3
	s_delay_alu instid0(VALU_DEP_2) | instskip(NEXT) | instid1(VALU_DEP_2)
	v_fma_f32 v29, v23, v2, -v29
	v_fmac_f32_e32 v3, v24, v2
	v_mul_f32_e32 v23, v26, v5
	v_mul_f32_e32 v5, v25, v5
	s_delay_alu instid0(VALU_DEP_3) | instskip(NEXT) | instid1(VALU_DEP_3)
	v_dual_add_f32 v2, v27, v29 :: v_dual_add_f32 v3, v28, v3
	v_fma_f32 v23, v25, v4, -v23
	s_delay_alu instid0(VALU_DEP_3) | instskip(NEXT) | instid1(VALU_DEP_1)
	v_fmac_f32_e32 v5, v26, v4
	v_dual_add_f32 v27, v2, v23 :: v_dual_add_f32 v28, v3, v5
	ds_load_b128 v[2:5], v8 offset:112
	ds_load_2addr_b64 v[23:26], v20 offset0:192 offset1:224
	s_waitcnt lgkmcnt(0)
	v_mul_f32_e32 v29, v24, v3
	v_mul_f32_e32 v3, v23, v3
	s_delay_alu instid0(VALU_DEP_2) | instskip(NEXT) | instid1(VALU_DEP_2)
	v_fma_f32 v29, v23, v2, -v29
	v_fmac_f32_e32 v3, v24, v2
	v_mul_f32_e32 v23, v26, v5
	v_mul_f32_e32 v5, v25, v5
	s_delay_alu instid0(VALU_DEP_3) | instskip(NEXT) | instid1(VALU_DEP_3)
	v_dual_add_f32 v2, v27, v29 :: v_dual_add_f32 v3, v28, v3
	v_fma_f32 v23, v25, v4, -v23
	s_delay_alu instid0(VALU_DEP_3) | instskip(NEXT) | instid1(VALU_DEP_1)
	v_fmac_f32_e32 v5, v26, v4
	v_dual_add_f32 v27, v2, v23 :: v_dual_add_f32 v28, v3, v5
	ds_load_b128 v[2:5], v8 offset:128
	ds_load_2addr_b64 v[23:26], v21 offset1:32
	s_waitcnt lgkmcnt(0)
	v_mul_f32_e32 v29, v24, v3
	v_mul_f32_e32 v3, v23, v3
	s_delay_alu instid0(VALU_DEP_2) | instskip(NEXT) | instid1(VALU_DEP_2)
	v_fma_f32 v29, v23, v2, -v29
	v_fmac_f32_e32 v3, v24, v2
	v_mul_f32_e32 v23, v26, v5
	v_mul_f32_e32 v5, v25, v5
	s_delay_alu instid0(VALU_DEP_3) | instskip(NEXT) | instid1(VALU_DEP_3)
	v_dual_add_f32 v2, v27, v29 :: v_dual_add_f32 v3, v28, v3
	v_fma_f32 v23, v25, v4, -v23
	s_delay_alu instid0(VALU_DEP_3) | instskip(NEXT) | instid1(VALU_DEP_1)
	v_fmac_f32_e32 v5, v26, v4
	v_dual_add_f32 v27, v2, v23 :: v_dual_add_f32 v28, v3, v5
	ds_load_b128 v[2:5], v8 offset:144
	ds_load_2addr_b64 v[23:26], v21 offset0:64 offset1:96
	s_waitcnt lgkmcnt(0)
	v_mul_f32_e32 v29, v24, v3
	v_mul_f32_e32 v3, v23, v3
	s_delay_alu instid0(VALU_DEP_2) | instskip(NEXT) | instid1(VALU_DEP_2)
	v_fma_f32 v29, v23, v2, -v29
	v_fmac_f32_e32 v3, v24, v2
	v_mul_f32_e32 v23, v26, v5
	v_mul_f32_e32 v5, v25, v5
	s_delay_alu instid0(VALU_DEP_3) | instskip(NEXT) | instid1(VALU_DEP_3)
	v_dual_add_f32 v2, v27, v29 :: v_dual_add_f32 v3, v28, v3
	v_fma_f32 v23, v25, v4, -v23
	s_delay_alu instid0(VALU_DEP_3) | instskip(NEXT) | instid1(VALU_DEP_1)
	v_fmac_f32_e32 v5, v26, v4
	v_dual_add_f32 v27, v2, v23 :: v_dual_add_f32 v28, v3, v5
	ds_load_b128 v[2:5], v8 offset:160
	ds_load_2addr_b64 v[23:26], v21 offset0:128 offset1:160
	;; [unrolled: 16-line block ×3, first 2 shown]
	s_waitcnt lgkmcnt(0)
	v_mul_f32_e32 v29, v24, v3
	v_mul_f32_e32 v3, v23, v3
	s_delay_alu instid0(VALU_DEP_2) | instskip(NEXT) | instid1(VALU_DEP_2)
	v_fma_f32 v29, v23, v2, -v29
	v_fmac_f32_e32 v3, v24, v2
	v_mul_f32_e32 v23, v26, v5
	v_mul_f32_e32 v5, v25, v5
	s_delay_alu instid0(VALU_DEP_3) | instskip(NEXT) | instid1(VALU_DEP_3)
	v_dual_add_f32 v2, v27, v29 :: v_dual_add_f32 v3, v28, v3
	v_fma_f32 v23, v25, v4, -v23
	s_delay_alu instid0(VALU_DEP_3) | instskip(NEXT) | instid1(VALU_DEP_1)
	v_fmac_f32_e32 v5, v26, v4
	v_dual_add_f32 v27, v2, v23 :: v_dual_add_f32 v28, v3, v5
	ds_load_b128 v[2:5], v8 offset:192
	ds_load_2addr_b64 v[23:26], v22 offset1:32
	s_waitcnt lgkmcnt(0)
	v_mul_f32_e32 v29, v24, v3
	v_mul_f32_e32 v3, v23, v3
	s_delay_alu instid0(VALU_DEP_2) | instskip(NEXT) | instid1(VALU_DEP_2)
	v_fma_f32 v29, v23, v2, -v29
	v_fmac_f32_e32 v3, v24, v2
	v_mul_f32_e32 v23, v26, v5
	v_mul_f32_e32 v5, v25, v5
	s_delay_alu instid0(VALU_DEP_3) | instskip(NEXT) | instid1(VALU_DEP_3)
	v_dual_add_f32 v2, v27, v29 :: v_dual_add_f32 v3, v28, v3
	v_fma_f32 v23, v25, v4, -v23
	s_delay_alu instid0(VALU_DEP_3) | instskip(NEXT) | instid1(VALU_DEP_1)
	v_fmac_f32_e32 v5, v26, v4
	v_dual_add_f32 v27, v2, v23 :: v_dual_add_f32 v28, v3, v5
	ds_load_b128 v[2:5], v8 offset:208
	ds_load_2addr_b64 v[23:26], v22 offset0:64 offset1:96
	s_waitcnt lgkmcnt(0)
	v_mul_f32_e32 v29, v24, v3
	v_mul_f32_e32 v3, v23, v3
	s_delay_alu instid0(VALU_DEP_2) | instskip(NEXT) | instid1(VALU_DEP_2)
	v_fma_f32 v29, v23, v2, -v29
	v_fmac_f32_e32 v3, v24, v2
	v_mul_f32_e32 v23, v26, v5
	v_mul_f32_e32 v5, v25, v5
	s_delay_alu instid0(VALU_DEP_3) | instskip(NEXT) | instid1(VALU_DEP_3)
	v_dual_add_f32 v2, v27, v29 :: v_dual_add_f32 v3, v28, v3
	v_fma_f32 v23, v25, v4, -v23
	s_delay_alu instid0(VALU_DEP_3) | instskip(NEXT) | instid1(VALU_DEP_1)
	v_fmac_f32_e32 v5, v26, v4
	v_dual_add_f32 v27, v2, v23 :: v_dual_add_f32 v28, v3, v5
	ds_load_b128 v[2:5], v8 offset:224
	ds_load_2addr_b64 v[23:26], v22 offset0:128 offset1:160
	;; [unrolled: 16-line block ×3, first 2 shown]
	s_waitcnt lgkmcnt(0)
	v_mul_f32_e32 v29, v24, v3
	v_mul_f32_e32 v3, v23, v3
	s_delay_alu instid0(VALU_DEP_2) | instskip(NEXT) | instid1(VALU_DEP_2)
	v_fma_f32 v29, v23, v2, -v29
	v_fmac_f32_e32 v3, v24, v2
	v_mul_f32_e32 v23, v26, v5
	v_mul_f32_e32 v5, v25, v5
	s_delay_alu instid0(VALU_DEP_3) | instskip(NEXT) | instid1(VALU_DEP_3)
	v_dual_add_f32 v2, v27, v29 :: v_dual_add_f32 v3, v28, v3
	v_fma_f32 v23, v25, v4, -v23
	s_delay_alu instid0(VALU_DEP_3) | instskip(NEXT) | instid1(VALU_DEP_1)
	v_fmac_f32_e32 v5, v26, v4
	v_dual_add_f32 v4, v2, v23 :: v_dual_add_f32 v3, v3, v5
	s_delay_alu instid0(VALU_DEP_1) | instskip(SKIP_1) | instid1(VALU_DEP_2)
	v_mul_f32_e32 v2, s5, v3
	v_mul_f32_e32 v3, s4, v3
	v_fma_f32 v2, s4, v4, -v2
	s_delay_alu instid0(VALU_DEP_2)
	v_fmac_f32_e32 v3, s5, v4
	global_load_b64 v[4:5], v[0:1], off
	s_waitcnt vmcnt(0)
	v_dual_add_f32 v2, v4, v2 :: v_dual_add_f32 v3, v5, v3
	global_store_b64 v[0:1], v[2:3], off
.LBB1856_11:                            ;   in Loop: Header=BB1856_5 Depth=1
	s_or_b32 exec_lo, exec_lo, s19
	v_dual_mov_b32 v3, 0 :: v_dual_mov_b32 v4, 0
	v_mov_b32_e32 v5, 0
	s_waitcnt_vscnt null, 0x0
	s_barrier
	buffer_gl0_inv
	s_and_saveexec_b32 s19, s17
	s_cbranch_execz .LBB1856_13
; %bb.12:                               ;   in Loop: Header=BB1856_5 Depth=1
	v_add_co_u32 v4, vcc_lo, s12, v14
	v_add_co_ci_u32_e32 v5, vcc_lo, s13, v15, vcc_lo
	global_load_b64 v[4:5], v[4:5], off
.LBB1856_13:                            ;   in Loop: Header=BB1856_5 Depth=1
	s_or_b32 exec_lo, exec_lo, s19
	v_mov_b32_e32 v2, 0
	s_waitcnt vmcnt(0)
	ds_store_b64 v10, v[4:5]
	s_and_saveexec_b32 s17, s18
	s_cbranch_execz .LBB1856_15
; %bb.14:                               ;   in Loop: Header=BB1856_5 Depth=1
	v_add_co_u32 v2, vcc_lo, s15, v16
	v_add_co_ci_u32_e32 v3, vcc_lo, s16, v17, vcc_lo
	global_load_b64 v[2:3], v[2:3], off offset:-4
.LBB1856_15:                            ;   in Loop: Header=BB1856_5 Depth=1
	s_or_b32 exec_lo, exec_lo, s17
	s_waitcnt vmcnt(0)
	ds_store_b64 v11, v[2:3]
	s_waitcnt lgkmcnt(0)
	s_barrier
	buffer_gl0_inv
	s_and_saveexec_b32 s17, s14
	s_cbranch_execz .LBB1856_4
; %bb.16:                               ;   in Loop: Header=BB1856_5 Depth=1
	ds_load_b128 v[2:5], v8
	ds_load_b128 v[23:26], v8 offset:16
	ds_load_b128 v[27:30], v8 offset:32
	;; [unrolled: 1-line block ×3, first 2 shown]
	ds_load_2addr_b64 v[35:38], v9 offset1:32
	s_waitcnt lgkmcnt(0)
	v_mul_f32_e32 v39, v36, v3
	v_mul_f32_e32 v3, v35, v3
	s_delay_alu instid0(VALU_DEP_2) | instskip(NEXT) | instid1(VALU_DEP_2)
	v_fma_f32 v39, v35, v2, -v39
	v_fmac_f32_e32 v3, v36, v2
	v_mul_f32_e32 v35, v38, v5
	s_delay_alu instid0(VALU_DEP_3) | instskip(NEXT) | instid1(VALU_DEP_3)
	v_dual_mul_f32 v5, v37, v5 :: v_dual_add_f32 v2, 0, v39
	v_add_f32_e32 v3, 0, v3
	s_delay_alu instid0(VALU_DEP_3) | instskip(NEXT) | instid1(VALU_DEP_3)
	v_fma_f32 v35, v37, v4, -v35
	v_fmac_f32_e32 v5, v38, v4
	s_delay_alu instid0(VALU_DEP_1) | instskip(SKIP_3) | instid1(VALU_DEP_1)
	v_dual_add_f32 v35, v2, v35 :: v_dual_add_f32 v36, v3, v5
	ds_load_2addr_b64 v[2:5], v9 offset0:64 offset1:96
	s_waitcnt lgkmcnt(0)
	v_mul_f32_e32 v37, v3, v24
	v_fma_f32 v37, v2, v23, -v37
	v_mul_f32_e32 v2, v2, v24
	s_delay_alu instid0(VALU_DEP_1) | instskip(NEXT) | instid1(VALU_DEP_1)
	v_dual_fmac_f32 v2, v3, v23 :: v_dual_mul_f32 v23, v5, v26
	v_add_f32_e32 v2, v36, v2
	s_delay_alu instid0(VALU_DEP_2) | instskip(SKIP_1) | instid1(VALU_DEP_1)
	v_fma_f32 v23, v4, v25, -v23
	v_mul_f32_e32 v4, v4, v26
	v_fmac_f32_e32 v4, v5, v25
	s_delay_alu instid0(VALU_DEP_1) | instskip(NEXT) | instid1(VALU_DEP_1)
	v_dual_add_f32 v3, v35, v37 :: v_dual_add_f32 v24, v2, v4
	v_add_f32_e32 v23, v3, v23
	ds_load_2addr_b64 v[2:5], v9 offset0:128 offset1:160
	s_waitcnt lgkmcnt(0)
	v_mul_f32_e32 v25, v3, v28
	s_delay_alu instid0(VALU_DEP_1) | instskip(SKIP_1) | instid1(VALU_DEP_1)
	v_fma_f32 v25, v2, v27, -v25
	v_mul_f32_e32 v2, v2, v28
	v_fmac_f32_e32 v2, v3, v27
	s_delay_alu instid0(VALU_DEP_1) | instskip(SKIP_1) | instid1(VALU_DEP_1)
	v_dual_add_f32 v2, v24, v2 :: v_dual_add_f32 v3, v23, v25
	v_mul_f32_e32 v23, v5, v30
	v_fma_f32 v23, v4, v29, -v23
	v_mul_f32_e32 v4, v4, v30
	s_delay_alu instid0(VALU_DEP_1) | instskip(NEXT) | instid1(VALU_DEP_1)
	v_fmac_f32_e32 v4, v5, v29
	v_dual_add_f32 v24, v2, v4 :: v_dual_add_f32 v23, v3, v23
	ds_load_2addr_b64 v[2:5], v9 offset0:192 offset1:224
	s_waitcnt lgkmcnt(0)
	v_mul_f32_e32 v25, v3, v32
	s_delay_alu instid0(VALU_DEP_1) | instskip(SKIP_1) | instid1(VALU_DEP_1)
	v_fma_f32 v25, v2, v31, -v25
	v_mul_f32_e32 v2, v2, v32
	v_fmac_f32_e32 v2, v3, v31
	s_delay_alu instid0(VALU_DEP_1) | instskip(SKIP_1) | instid1(VALU_DEP_1)
	v_dual_add_f32 v2, v24, v2 :: v_dual_add_f32 v3, v23, v25
	v_mul_f32_e32 v23, v5, v34
	v_fma_f32 v23, v4, v33, -v23
	v_mul_f32_e32 v4, v4, v34
	s_delay_alu instid0(VALU_DEP_1) | instskip(NEXT) | instid1(VALU_DEP_1)
	v_fmac_f32_e32 v4, v5, v33
	v_dual_add_f32 v28, v2, v4 :: v_dual_add_f32 v27, v3, v23
	ds_load_b128 v[2:5], v8 offset:64
	ds_load_2addr_b64 v[23:26], v20 offset1:32
	s_waitcnt lgkmcnt(0)
	v_mul_f32_e32 v29, v24, v3
	v_mul_f32_e32 v3, v23, v3
	s_delay_alu instid0(VALU_DEP_2) | instskip(SKIP_1) | instid1(VALU_DEP_3)
	v_fma_f32 v29, v23, v2, -v29
	v_mul_f32_e32 v23, v26, v5
	v_fmac_f32_e32 v3, v24, v2
	v_mul_f32_e32 v5, v25, v5
	s_delay_alu instid0(VALU_DEP_4) | instskip(NEXT) | instid1(VALU_DEP_4)
	v_add_f32_e32 v2, v27, v29
	v_fma_f32 v23, v25, v4, -v23
	s_delay_alu instid0(VALU_DEP_3) | instskip(NEXT) | instid1(VALU_DEP_2)
	v_fmac_f32_e32 v5, v26, v4
	v_add_f32_e32 v27, v2, v23
	v_add_f32_e32 v3, v28, v3
	s_delay_alu instid0(VALU_DEP_1)
	v_add_f32_e32 v28, v3, v5
	ds_load_b128 v[2:5], v8 offset:80
	ds_load_2addr_b64 v[23:26], v20 offset0:64 offset1:96
	s_waitcnt lgkmcnt(0)
	v_mul_f32_e32 v29, v24, v3
	v_mul_f32_e32 v3, v23, v3
	s_delay_alu instid0(VALU_DEP_2) | instskip(NEXT) | instid1(VALU_DEP_2)
	v_fma_f32 v29, v23, v2, -v29
	v_fmac_f32_e32 v3, v24, v2
	v_mul_f32_e32 v23, v26, v5
	v_mul_f32_e32 v5, v25, v5
	s_delay_alu instid0(VALU_DEP_3) | instskip(NEXT) | instid1(VALU_DEP_3)
	v_add_f32_e32 v3, v28, v3
	v_fma_f32 v23, v25, v4, -v23
	s_delay_alu instid0(VALU_DEP_3) | instskip(NEXT) | instid1(VALU_DEP_1)
	v_fmac_f32_e32 v5, v26, v4
	v_add_f32_e32 v28, v3, v5
	v_add_f32_e32 v2, v27, v29
	s_delay_alu instid0(VALU_DEP_1)
	v_add_f32_e32 v27, v2, v23
	ds_load_b128 v[2:5], v8 offset:96
	ds_load_2addr_b64 v[23:26], v20 offset0:128 offset1:160
	s_waitcnt lgkmcnt(0)
	v_mul_f32_e32 v29, v24, v3
	v_mul_f32_e32 v3, v23, v3
	s_delay_alu instid0(VALU_DEP_2) | instskip(NEXT) | instid1(VALU_DEP_2)
	v_fma_f32 v29, v23, v2, -v29
	v_fmac_f32_e32 v3, v24, v2
	v_mul_f32_e32 v23, v26, v5
	v_mul_f32_e32 v5, v25, v5
	s_delay_alu instid0(VALU_DEP_3) | instskip(NEXT) | instid1(VALU_DEP_3)
	v_dual_add_f32 v2, v27, v29 :: v_dual_add_f32 v3, v28, v3
	v_fma_f32 v23, v25, v4, -v23
	s_delay_alu instid0(VALU_DEP_3) | instskip(NEXT) | instid1(VALU_DEP_1)
	v_fmac_f32_e32 v5, v26, v4
	v_dual_add_f32 v27, v2, v23 :: v_dual_add_f32 v28, v3, v5
	ds_load_b128 v[2:5], v8 offset:112
	ds_load_2addr_b64 v[23:26], v20 offset0:192 offset1:224
	s_waitcnt lgkmcnt(0)
	v_mul_f32_e32 v29, v24, v3
	v_mul_f32_e32 v3, v23, v3
	s_delay_alu instid0(VALU_DEP_2) | instskip(NEXT) | instid1(VALU_DEP_2)
	v_fma_f32 v29, v23, v2, -v29
	v_fmac_f32_e32 v3, v24, v2
	v_mul_f32_e32 v23, v26, v5
	v_mul_f32_e32 v5, v25, v5
	s_delay_alu instid0(VALU_DEP_3) | instskip(NEXT) | instid1(VALU_DEP_3)
	v_dual_add_f32 v2, v27, v29 :: v_dual_add_f32 v3, v28, v3
	v_fma_f32 v23, v25, v4, -v23
	s_delay_alu instid0(VALU_DEP_3) | instskip(NEXT) | instid1(VALU_DEP_1)
	v_fmac_f32_e32 v5, v26, v4
	v_dual_add_f32 v27, v2, v23 :: v_dual_add_f32 v28, v3, v5
	ds_load_b128 v[2:5], v8 offset:128
	ds_load_2addr_b64 v[23:26], v21 offset1:32
	s_waitcnt lgkmcnt(0)
	v_mul_f32_e32 v29, v24, v3
	v_mul_f32_e32 v3, v23, v3
	s_delay_alu instid0(VALU_DEP_2) | instskip(NEXT) | instid1(VALU_DEP_2)
	v_fma_f32 v29, v23, v2, -v29
	v_fmac_f32_e32 v3, v24, v2
	v_mul_f32_e32 v23, v26, v5
	v_mul_f32_e32 v5, v25, v5
	s_delay_alu instid0(VALU_DEP_3) | instskip(NEXT) | instid1(VALU_DEP_3)
	v_dual_add_f32 v2, v27, v29 :: v_dual_add_f32 v3, v28, v3
	v_fma_f32 v23, v25, v4, -v23
	s_delay_alu instid0(VALU_DEP_3) | instskip(NEXT) | instid1(VALU_DEP_1)
	v_fmac_f32_e32 v5, v26, v4
	v_dual_add_f32 v27, v2, v23 :: v_dual_add_f32 v28, v3, v5
	ds_load_b128 v[2:5], v8 offset:144
	ds_load_2addr_b64 v[23:26], v21 offset0:64 offset1:96
	s_waitcnt lgkmcnt(0)
	v_mul_f32_e32 v29, v24, v3
	v_mul_f32_e32 v3, v23, v3
	s_delay_alu instid0(VALU_DEP_2) | instskip(NEXT) | instid1(VALU_DEP_2)
	v_fma_f32 v29, v23, v2, -v29
	v_fmac_f32_e32 v3, v24, v2
	v_mul_f32_e32 v23, v26, v5
	v_mul_f32_e32 v5, v25, v5
	s_delay_alu instid0(VALU_DEP_3) | instskip(NEXT) | instid1(VALU_DEP_3)
	v_dual_add_f32 v2, v27, v29 :: v_dual_add_f32 v3, v28, v3
	v_fma_f32 v23, v25, v4, -v23
	s_delay_alu instid0(VALU_DEP_3) | instskip(NEXT) | instid1(VALU_DEP_1)
	v_fmac_f32_e32 v5, v26, v4
	v_dual_add_f32 v27, v2, v23 :: v_dual_add_f32 v28, v3, v5
	ds_load_b128 v[2:5], v8 offset:160
	ds_load_2addr_b64 v[23:26], v21 offset0:128 offset1:160
	;; [unrolled: 16-line block ×3, first 2 shown]
	s_waitcnt lgkmcnt(0)
	v_mul_f32_e32 v29, v24, v3
	v_mul_f32_e32 v3, v23, v3
	s_delay_alu instid0(VALU_DEP_2) | instskip(NEXT) | instid1(VALU_DEP_2)
	v_fma_f32 v29, v23, v2, -v29
	v_fmac_f32_e32 v3, v24, v2
	v_mul_f32_e32 v23, v26, v5
	v_mul_f32_e32 v5, v25, v5
	s_delay_alu instid0(VALU_DEP_3) | instskip(NEXT) | instid1(VALU_DEP_3)
	v_dual_add_f32 v2, v27, v29 :: v_dual_add_f32 v3, v28, v3
	v_fma_f32 v23, v25, v4, -v23
	s_delay_alu instid0(VALU_DEP_3) | instskip(NEXT) | instid1(VALU_DEP_1)
	v_fmac_f32_e32 v5, v26, v4
	v_dual_add_f32 v27, v2, v23 :: v_dual_add_f32 v28, v3, v5
	ds_load_b128 v[2:5], v8 offset:192
	ds_load_2addr_b64 v[23:26], v22 offset1:32
	s_waitcnt lgkmcnt(0)
	v_mul_f32_e32 v29, v24, v3
	v_mul_f32_e32 v3, v23, v3
	s_delay_alu instid0(VALU_DEP_2) | instskip(NEXT) | instid1(VALU_DEP_2)
	v_fma_f32 v29, v23, v2, -v29
	v_fmac_f32_e32 v3, v24, v2
	v_mul_f32_e32 v23, v26, v5
	v_mul_f32_e32 v5, v25, v5
	s_delay_alu instid0(VALU_DEP_3) | instskip(NEXT) | instid1(VALU_DEP_3)
	v_dual_add_f32 v2, v27, v29 :: v_dual_add_f32 v3, v28, v3
	v_fma_f32 v23, v25, v4, -v23
	s_delay_alu instid0(VALU_DEP_3) | instskip(NEXT) | instid1(VALU_DEP_1)
	v_fmac_f32_e32 v5, v26, v4
	v_dual_add_f32 v27, v2, v23 :: v_dual_add_f32 v28, v3, v5
	ds_load_b128 v[2:5], v8 offset:208
	ds_load_2addr_b64 v[23:26], v22 offset0:64 offset1:96
	s_waitcnt lgkmcnt(0)
	v_mul_f32_e32 v29, v24, v3
	v_mul_f32_e32 v3, v23, v3
	s_delay_alu instid0(VALU_DEP_2) | instskip(NEXT) | instid1(VALU_DEP_2)
	v_fma_f32 v29, v23, v2, -v29
	v_fmac_f32_e32 v3, v24, v2
	v_mul_f32_e32 v23, v26, v5
	v_mul_f32_e32 v5, v25, v5
	s_delay_alu instid0(VALU_DEP_3) | instskip(NEXT) | instid1(VALU_DEP_3)
	v_dual_add_f32 v2, v27, v29 :: v_dual_add_f32 v3, v28, v3
	v_fma_f32 v23, v25, v4, -v23
	s_delay_alu instid0(VALU_DEP_3) | instskip(NEXT) | instid1(VALU_DEP_1)
	v_fmac_f32_e32 v5, v26, v4
	v_dual_add_f32 v27, v2, v23 :: v_dual_add_f32 v28, v3, v5
	ds_load_b128 v[2:5], v8 offset:224
	ds_load_2addr_b64 v[23:26], v22 offset0:128 offset1:160
	;; [unrolled: 16-line block ×3, first 2 shown]
	s_waitcnt lgkmcnt(0)
	v_mul_f32_e32 v29, v24, v3
	v_mul_f32_e32 v3, v23, v3
	s_delay_alu instid0(VALU_DEP_2) | instskip(NEXT) | instid1(VALU_DEP_2)
	v_fma_f32 v29, v23, v2, -v29
	v_fmac_f32_e32 v3, v24, v2
	v_mul_f32_e32 v23, v26, v5
	v_mul_f32_e32 v5, v25, v5
	s_delay_alu instid0(VALU_DEP_3) | instskip(NEXT) | instid1(VALU_DEP_3)
	v_dual_add_f32 v2, v27, v29 :: v_dual_add_f32 v3, v28, v3
	v_fma_f32 v23, v25, v4, -v23
	s_delay_alu instid0(VALU_DEP_3) | instskip(NEXT) | instid1(VALU_DEP_1)
	v_fmac_f32_e32 v5, v26, v4
	v_dual_add_f32 v4, v2, v23 :: v_dual_add_f32 v5, v3, v5
	s_delay_alu instid0(VALU_DEP_1) | instskip(NEXT) | instid1(VALU_DEP_1)
	v_dual_mul_f32 v3, s5, v4 :: v_dual_mul_f32 v2, s5, v5
	v_fmac_f32_e32 v3, s4, v5
	s_delay_alu instid0(VALU_DEP_2)
	v_fma_f32 v2, s4, v4, -v2
	global_load_b64 v[4:5], v[0:1], off
	s_waitcnt vmcnt(0)
	v_dual_add_f32 v2, v4, v2 :: v_dual_add_f32 v3, v5, v3
	global_store_b64 v[0:1], v[2:3], off
	s_branch .LBB1856_4
.LBB1856_17:
	s_endpgm
	.section	.rodata,"a",@progbits
	.p2align	6, 0x0
	.amdhsa_kernel _ZL26rocblas_syr2k_her2k_kernelIlLb1ELb0ELb0ELi32E19rocblas_complex_numIfEPKS1_PS1_EvbiT_T4_T5_S5_lS7_S5_lT6_S5_li
		.amdhsa_group_segment_fixed_size 16384
		.amdhsa_private_segment_fixed_size 0
		.amdhsa_kernarg_size 100
		.amdhsa_user_sgpr_count 13
		.amdhsa_user_sgpr_dispatch_ptr 0
		.amdhsa_user_sgpr_queue_ptr 0
		.amdhsa_user_sgpr_kernarg_segment_ptr 1
		.amdhsa_user_sgpr_dispatch_id 0
		.amdhsa_user_sgpr_private_segment_size 0
		.amdhsa_wavefront_size32 1
		.amdhsa_uses_dynamic_stack 0
		.amdhsa_enable_private_segment 0
		.amdhsa_system_sgpr_workgroup_id_x 1
		.amdhsa_system_sgpr_workgroup_id_y 1
		.amdhsa_system_sgpr_workgroup_id_z 1
		.amdhsa_system_sgpr_workgroup_info 0
		.amdhsa_system_vgpr_workitem_id 1
		.amdhsa_next_free_vgpr 40
		.amdhsa_next_free_sgpr 32
		.amdhsa_reserve_vcc 1
		.amdhsa_float_round_mode_32 0
		.amdhsa_float_round_mode_16_64 0
		.amdhsa_float_denorm_mode_32 3
		.amdhsa_float_denorm_mode_16_64 3
		.amdhsa_dx10_clamp 1
		.amdhsa_ieee_mode 1
		.amdhsa_fp16_overflow 0
		.amdhsa_workgroup_processor_mode 1
		.amdhsa_memory_ordered 1
		.amdhsa_forward_progress 0
		.amdhsa_shared_vgpr_count 0
		.amdhsa_exception_fp_ieee_invalid_op 0
		.amdhsa_exception_fp_denorm_src 0
		.amdhsa_exception_fp_ieee_div_zero 0
		.amdhsa_exception_fp_ieee_overflow 0
		.amdhsa_exception_fp_ieee_underflow 0
		.amdhsa_exception_fp_ieee_inexact 0
		.amdhsa_exception_int_div_zero 0
	.end_amdhsa_kernel
	.section	.text._ZL26rocblas_syr2k_her2k_kernelIlLb1ELb0ELb0ELi32E19rocblas_complex_numIfEPKS1_PS1_EvbiT_T4_T5_S5_lS7_S5_lT6_S5_li,"axG",@progbits,_ZL26rocblas_syr2k_her2k_kernelIlLb1ELb0ELb0ELi32E19rocblas_complex_numIfEPKS1_PS1_EvbiT_T4_T5_S5_lS7_S5_lT6_S5_li,comdat
.Lfunc_end1856:
	.size	_ZL26rocblas_syr2k_her2k_kernelIlLb1ELb0ELb0ELi32E19rocblas_complex_numIfEPKS1_PS1_EvbiT_T4_T5_S5_lS7_S5_lT6_S5_li, .Lfunc_end1856-_ZL26rocblas_syr2k_her2k_kernelIlLb1ELb0ELb0ELi32E19rocblas_complex_numIfEPKS1_PS1_EvbiT_T4_T5_S5_lS7_S5_lT6_S5_li
                                        ; -- End function
	.section	.AMDGPU.csdata,"",@progbits
; Kernel info:
; codeLenInByte = 4072
; NumSgprs: 34
; NumVgprs: 40
; ScratchSize: 0
; MemoryBound: 0
; FloatMode: 240
; IeeeMode: 1
; LDSByteSize: 16384 bytes/workgroup (compile time only)
; SGPRBlocks: 4
; VGPRBlocks: 4
; NumSGPRsForWavesPerEU: 34
; NumVGPRsForWavesPerEU: 40
; Occupancy: 16
; WaveLimiterHint : 0
; COMPUTE_PGM_RSRC2:SCRATCH_EN: 0
; COMPUTE_PGM_RSRC2:USER_SGPR: 13
; COMPUTE_PGM_RSRC2:TRAP_HANDLER: 0
; COMPUTE_PGM_RSRC2:TGID_X_EN: 1
; COMPUTE_PGM_RSRC2:TGID_Y_EN: 1
; COMPUTE_PGM_RSRC2:TGID_Z_EN: 1
; COMPUTE_PGM_RSRC2:TIDIG_COMP_CNT: 1
	.section	.text._ZL26rocblas_syr2k_her2k_kernelIlLb1ELb0ELb1ELi32E19rocblas_complex_numIfEPKS1_PS1_EvbiT_T4_T5_S5_lS7_S5_lT6_S5_li,"axG",@progbits,_ZL26rocblas_syr2k_her2k_kernelIlLb1ELb0ELb1ELi32E19rocblas_complex_numIfEPKS1_PS1_EvbiT_T4_T5_S5_lS7_S5_lT6_S5_li,comdat
	.globl	_ZL26rocblas_syr2k_her2k_kernelIlLb1ELb0ELb1ELi32E19rocblas_complex_numIfEPKS1_PS1_EvbiT_T4_T5_S5_lS7_S5_lT6_S5_li ; -- Begin function _ZL26rocblas_syr2k_her2k_kernelIlLb1ELb0ELb1ELi32E19rocblas_complex_numIfEPKS1_PS1_EvbiT_T4_T5_S5_lS7_S5_lT6_S5_li
	.p2align	8
	.type	_ZL26rocblas_syr2k_her2k_kernelIlLb1ELb0ELb1ELi32E19rocblas_complex_numIfEPKS1_PS1_EvbiT_T4_T5_S5_lS7_S5_lT6_S5_li,@function
_ZL26rocblas_syr2k_her2k_kernelIlLb1ELb0ELb1ELi32E19rocblas_complex_numIfEPKS1_PS1_EvbiT_T4_T5_S5_lS7_S5_lT6_S5_li: ; @_ZL26rocblas_syr2k_her2k_kernelIlLb1ELb0ELb1ELi32E19rocblas_complex_numIfEPKS1_PS1_EvbiT_T4_T5_S5_lS7_S5_lT6_S5_li
; %bb.0:
	s_load_b64 s[4:5], s[0:1], 0x10
	s_waitcnt lgkmcnt(0)
	v_cmp_eq_f32_e64 s2, s4, 0
	v_cmp_eq_f32_e64 s3, s5, 0
	s_delay_alu instid0(VALU_DEP_1) | instskip(NEXT) | instid1(SALU_CYCLE_1)
	s_and_b32 s2, s2, s3
	s_and_b32 vcc_lo, exec_lo, s2
	s_cbranch_vccnz .LBB1857_17
; %bb.1:
	s_load_b64 s[2:3], s[0:1], 0x0
	s_lshl_b32 s8, s14, 5
	s_lshl_b32 s9, s13, 5
	s_waitcnt lgkmcnt(0)
	s_and_b32 s2, 1, s2
	s_delay_alu instid0(SALU_CYCLE_1) | instskip(SKIP_1) | instid1(SALU_CYCLE_1)
	s_cmp_eq_u32 s2, 1
	s_cselect_b32 s2, -1, 0
	s_and_b32 s6, s2, exec_lo
	s_cselect_b32 s6, s9, s8
	s_cselect_b32 s7, s8, s9
	s_delay_alu instid0(SALU_CYCLE_1)
	s_cmp_gt_i32 s6, s7
	s_cbranch_scc1 .LBB1857_17
; %bb.2:
	s_load_b64 s[6:7], s[0:1], 0x8
	s_waitcnt lgkmcnt(0)
	v_cmp_lt_i64_e64 s10, s[6:7], 1
	s_delay_alu instid0(VALU_DEP_1)
	s_and_b32 vcc_lo, exec_lo, s10
	s_cbranch_vccnz .LBB1857_17
; %bb.3:
	s_clause 0x1
	s_load_b64 s[10:11], s[0:1], 0x58
	s_load_b512 s[16:31], s[0:1], 0x18
	v_bfe_u32 v6, v0, 10, 10
	v_mov_b32_e32 v3, 0
	v_and_b32_e32 v7, 0x3ff, v0
	s_delay_alu instid0(VALU_DEP_2) | instskip(NEXT) | instid1(VALU_DEP_2)
	v_dual_mov_b32 v5, v3 :: v_dual_add_nc_u32 v4, s8, v6
	v_add_nc_u32_e32 v2, s9, v7
	s_mov_b32 s8, s3
	v_lshlrev_b32_e32 v23, 3, v7
	s_delay_alu instid0(VALU_DEP_3) | instskip(NEXT) | instid1(VALU_DEP_3)
	v_ashrrev_i32_e32 v0, 31, v4
	v_cndmask_b32_e64 v14, v2, v4, s2
	v_cndmask_b32_e64 v15, v4, v2, s2
	s_waitcnt lgkmcnt(0)
	s_mul_i32 s1, s15, s11
	v_mul_lo_u32 v11, v0, s30
	v_mul_lo_u32 v16, v4, s31
	v_mad_u64_u32 v[0:1], null, v4, s30, 0
	s_mul_hi_u32 s2, s15, s10
	v_mad_u64_u32 v[12:13], null, s24, v4, 0
	s_mul_i32 s0, s15, s10
	s_add_i32 s1, s2, s1
	v_lshlrev_b32_e32 v22, 3, v6
	s_lshl_b64 s[0:1], s[0:1], 3
	s_delay_alu instid0(VALU_DEP_3)
	v_add3_u32 v1, v1, v16, v11
	s_add_u32 s10, s28, s0
	s_addc_u32 s11, s29, s1
	s_ashr_i32 s9, s3, 31
	v_cmp_le_i32_e64 s2, v15, v14
	v_cmp_gt_i64_e64 s0, s[8:9], v[2:3]
	v_max_i32_e32 v3, v2, v4
	v_cmp_gt_i64_e64 s1, s[8:9], v[4:5]
	v_mov_b32_e32 v5, v13
	v_lshlrev_b64 v[0:1], 3, v[0:1]
	s_mul_i32 s8, s27, s15
	v_cmp_gt_i32_e32 vcc_lo, s3, v3
	v_ashrrev_i32_e32 v3, 31, v2
	v_mad_u64_u32 v[13:14], null, s25, v4, v[5:6]
	v_mad_u64_u32 v[14:15], null, s24, v2, 0
	v_add_co_u32 v5, s3, s10, v0
	s_delay_alu instid0(VALU_DEP_1)
	v_add_co_ci_u32_e64 v16, s3, s11, v1, s3
	v_lshlrev_b64 v[0:1], 3, v[2:3]
	s_mul_hi_u32 s9, s26, s15
	v_lshlrev_b64 v[12:13], 3, v[12:13]
	v_dual_mov_b32 v3, v15 :: v_dual_lshlrev_b32 v8, 8, v7
	s_add_i32 s9, s9, s8
	s_mul_i32 s8, s26, s15
	v_add_co_u32 v0, s3, v5, v0
	s_lshl_b64 s[8:9], s[8:9], 3
	v_add_co_ci_u32_e64 v1, s3, v16, v1, s3
	v_mad_u64_u32 v[15:16], null, s25, v2, v[3:4]
	v_add_co_u32 v3, s3, s8, v12
	v_mad_u64_u32 v[16:17], null, s18, v4, 0
	v_add_co_ci_u32_e64 v5, s3, s9, v13, s3
	s_delay_alu instid0(VALU_DEP_3) | instskip(SKIP_1) | instid1(VALU_DEP_3)
	v_add_co_u32 v3, s3, v3, v23
	v_add_nc_u32_e32 v10, v8, v22
	v_add_co_ci_u32_e64 v5, s3, 0, v5, s3
	s_delay_alu instid0(VALU_DEP_3) | instskip(SKIP_4) | instid1(VALU_DEP_4)
	v_add_co_u32 v12, s3, v3, s22
	v_mov_b32_e32 v3, v17
	v_mad_u64_u32 v[18:19], null, s18, v2, 0
	v_or_b32_e32 v9, 0x2000, v22
	v_add_co_ci_u32_e64 v5, s3, s23, v5, s3
	v_mad_u64_u32 v[20:21], null, s19, v4, v[3:4]
	v_lshlrev_b64 v[14:15], 3, v[14:15]
	v_mov_b32_e32 v3, v19
	v_add_co_u32 v12, s3, v12, 4
	s_delay_alu instid0(VALU_DEP_1) | instskip(SKIP_1) | instid1(VALU_DEP_4)
	v_add_co_ci_u32_e64 v13, s3, 0, v5, s3
	v_dual_mov_b32 v17, v20 :: v_dual_add_nc_u32 v20, 0x800, v9
	v_mad_u64_u32 v[4:5], null, s19, v2, v[3:4]
	v_add_co_u32 v14, s3, s8, v14
	s_delay_alu instid0(VALU_DEP_1) | instskip(SKIP_1) | instid1(VALU_DEP_2)
	v_add_co_ci_u32_e64 v15, s3, s9, v15, s3
	s_mul_i32 s8, s21, s15
	v_add_co_u32 v5, s3, v14, v22
	s_delay_alu instid0(VALU_DEP_4)
	v_mov_b32_e32 v19, v4
	s_mul_hi_u32 s9, s20, s15
	v_add_co_ci_u32_e64 v15, s3, 0, v15, s3
	v_lshlrev_b64 v[2:3], 3, v[16:17]
	s_add_i32 s9, s9, s8
	s_mul_i32 s8, s20, s15
	v_add_co_u32 v14, s3, s22, v5
	v_lshlrev_b64 v[4:5], 3, v[18:19]
	s_lshl_b64 s[8:9], s[8:9], 3
	v_add_co_ci_u32_e64 v15, s3, s23, v15, s3
	v_add_co_u32 v2, s3, s8, v2
	s_delay_alu instid0(VALU_DEP_1) | instskip(NEXT) | instid1(VALU_DEP_4)
	v_add_co_ci_u32_e64 v3, s3, s9, v3, s3
	v_add_co_u32 v4, s3, s8, v4
	s_delay_alu instid0(VALU_DEP_1) | instskip(NEXT) | instid1(VALU_DEP_4)
	;; [unrolled: 3-line block ×3, first 2 shown]
	v_add_co_ci_u32_e64 v3, s3, 0, v3, s3
	v_add_co_u32 v4, s3, v4, v22
	v_add_nc_u32_e32 v22, 0x1800, v9
	v_add_co_ci_u32_e64 v5, s3, 0, v5, s3
	v_add_co_u32 v2, s3, v2, s16
	s_delay_alu instid0(VALU_DEP_1) | instskip(SKIP_1) | instid1(VALU_DEP_1)
	v_add_co_ci_u32_e64 v3, s3, s17, v3, s3
	v_add_co_u32 v4, s3, v4, s16
	v_add_co_ci_u32_e64 v5, s3, s17, v5, s3
	s_delay_alu instid0(VALU_DEP_4) | instskip(NEXT) | instid1(VALU_DEP_1)
	v_add_co_u32 v16, s3, v2, 4
	v_add_co_ci_u32_e64 v17, s3, 0, v3, s3
	s_delay_alu instid0(VALU_DEP_4)
	v_add_co_u32 v18, s3, v4, 4
	v_add_nc_u32_e32 v11, v9, v8
	v_add_co_ci_u32_e64 v19, s3, 0, v5, s3
	v_add_nc_u32_e32 v21, 0x1000, v9
	s_and_b32 s10, s2, vcc_lo
	s_mov_b64 s[2:3], 0
	s_mov_b64 s[8:9], 0
	s_branch .LBB1857_5
.LBB1857_4:                             ;   in Loop: Header=BB1857_5 Depth=1
	s_or_b32 exec_lo, exec_lo, s11
	s_add_u32 s8, s8, 32
	s_addc_u32 s9, s9, 0
	s_add_u32 s2, s2, 0x100
	v_cmp_lt_i64_e64 s11, s[8:9], s[6:7]
	s_addc_u32 s3, s3, 0
	s_waitcnt_vscnt null, 0x0
	s_barrier
	buffer_gl0_inv
	s_and_b32 vcc_lo, exec_lo, s11
	s_cbranch_vccz .LBB1857_17
.LBB1857_5:                             ; =>This Inner Loop Header: Depth=1
	v_add_co_u32 v2, s11, v6, s8
	s_delay_alu instid0(VALU_DEP_1) | instskip(NEXT) | instid1(VALU_DEP_1)
	v_add_co_ci_u32_e64 v3, null, 0, s9, s11
	v_cmp_gt_i64_e32 vcc_lo, s[6:7], v[2:3]
	v_dual_mov_b32 v2, 0 :: v_dual_mov_b32 v3, 0
	s_and_b32 s11, s0, vcc_lo
	s_delay_alu instid0(SALU_CYCLE_1)
	s_and_saveexec_b32 s12, s11
	s_cbranch_execz .LBB1857_7
; %bb.6:                                ;   in Loop: Header=BB1857_5 Depth=1
	v_add_co_u32 v2, vcc_lo, v18, s2
	v_add_co_ci_u32_e32 v3, vcc_lo, s3, v19, vcc_lo
	global_load_b64 v[2:3], v[2:3], off offset:-4
.LBB1857_7:                             ;   in Loop: Header=BB1857_5 Depth=1
	s_or_b32 exec_lo, exec_lo, s12
	v_add_co_u32 v4, s12, v7, s8
	s_delay_alu instid0(VALU_DEP_1)
	v_add_co_ci_u32_e64 v5, null, 0, s9, s12
	s_waitcnt vmcnt(0)
	ds_store_b64 v10, v[2:3]
	v_cmp_gt_i64_e32 vcc_lo, s[6:7], v[4:5]
	v_dual_mov_b32 v4, 0 :: v_dual_mov_b32 v5, 0
	s_and_b32 s12, s1, vcc_lo
	s_delay_alu instid0(SALU_CYCLE_1)
	s_and_saveexec_b32 s13, s12
	s_cbranch_execz .LBB1857_9
; %bb.8:                                ;   in Loop: Header=BB1857_5 Depth=1
	v_add_co_u32 v2, vcc_lo, v12, s2
	v_add_co_ci_u32_e32 v3, vcc_lo, s3, v13, vcc_lo
	global_load_b64 v[4:5], v[2:3], off offset:-4
.LBB1857_9:                             ;   in Loop: Header=BB1857_5 Depth=1
	s_or_b32 exec_lo, exec_lo, s13
	s_waitcnt vmcnt(0)
	ds_store_b64 v11, v[4:5]
	s_waitcnt lgkmcnt(0)
	s_barrier
	buffer_gl0_inv
	s_and_saveexec_b32 s13, s10
	s_cbranch_execz .LBB1857_11
; %bb.10:                               ;   in Loop: Header=BB1857_5 Depth=1
	ds_load_b128 v[2:5], v8
	ds_load_b128 v[23:26], v8 offset:16
	ds_load_b128 v[27:30], v8 offset:32
	;; [unrolled: 1-line block ×3, first 2 shown]
	ds_load_2addr_b64 v[35:38], v9 offset1:32
	s_waitcnt lgkmcnt(0)
	v_mul_f32_e32 v39, v36, v3
	v_mul_f32_e32 v3, v35, v3
	s_delay_alu instid0(VALU_DEP_2) | instskip(NEXT) | instid1(VALU_DEP_2)
	v_fma_f32 v39, v35, v2, -v39
	v_fmac_f32_e32 v3, v36, v2
	v_mul_f32_e32 v35, v38, v5
	s_delay_alu instid0(VALU_DEP_3) | instskip(NEXT) | instid1(VALU_DEP_3)
	v_dual_mul_f32 v5, v37, v5 :: v_dual_add_f32 v2, 0, v39
	v_add_f32_e32 v3, 0, v3
	s_delay_alu instid0(VALU_DEP_3) | instskip(NEXT) | instid1(VALU_DEP_3)
	v_fma_f32 v35, v37, v4, -v35
	v_fmac_f32_e32 v5, v38, v4
	s_delay_alu instid0(VALU_DEP_1) | instskip(SKIP_3) | instid1(VALU_DEP_1)
	v_dual_add_f32 v35, v2, v35 :: v_dual_add_f32 v36, v3, v5
	ds_load_2addr_b64 v[2:5], v9 offset0:64 offset1:96
	s_waitcnt lgkmcnt(0)
	v_mul_f32_e32 v37, v3, v24
	v_fma_f32 v37, v2, v23, -v37
	v_mul_f32_e32 v2, v2, v24
	s_delay_alu instid0(VALU_DEP_1) | instskip(NEXT) | instid1(VALU_DEP_1)
	v_dual_fmac_f32 v2, v3, v23 :: v_dual_mul_f32 v23, v5, v26
	v_add_f32_e32 v2, v36, v2
	s_delay_alu instid0(VALU_DEP_2) | instskip(SKIP_1) | instid1(VALU_DEP_1)
	v_fma_f32 v23, v4, v25, -v23
	v_mul_f32_e32 v4, v4, v26
	v_fmac_f32_e32 v4, v5, v25
	s_delay_alu instid0(VALU_DEP_1) | instskip(NEXT) | instid1(VALU_DEP_1)
	v_dual_add_f32 v3, v35, v37 :: v_dual_add_f32 v24, v2, v4
	v_add_f32_e32 v23, v3, v23
	ds_load_2addr_b64 v[2:5], v9 offset0:128 offset1:160
	s_waitcnt lgkmcnt(0)
	v_mul_f32_e32 v25, v3, v28
	s_delay_alu instid0(VALU_DEP_1) | instskip(SKIP_1) | instid1(VALU_DEP_1)
	v_fma_f32 v25, v2, v27, -v25
	v_mul_f32_e32 v2, v2, v28
	v_fmac_f32_e32 v2, v3, v27
	s_delay_alu instid0(VALU_DEP_1) | instskip(SKIP_1) | instid1(VALU_DEP_1)
	v_dual_add_f32 v2, v24, v2 :: v_dual_add_f32 v3, v23, v25
	v_mul_f32_e32 v23, v5, v30
	v_fma_f32 v23, v4, v29, -v23
	v_mul_f32_e32 v4, v4, v30
	s_delay_alu instid0(VALU_DEP_1) | instskip(NEXT) | instid1(VALU_DEP_1)
	v_fmac_f32_e32 v4, v5, v29
	v_dual_add_f32 v24, v2, v4 :: v_dual_add_f32 v23, v3, v23
	ds_load_2addr_b64 v[2:5], v9 offset0:192 offset1:224
	s_waitcnt lgkmcnt(0)
	v_mul_f32_e32 v25, v3, v32
	s_delay_alu instid0(VALU_DEP_1) | instskip(SKIP_1) | instid1(VALU_DEP_1)
	v_fma_f32 v25, v2, v31, -v25
	v_mul_f32_e32 v2, v2, v32
	v_fmac_f32_e32 v2, v3, v31
	s_delay_alu instid0(VALU_DEP_1) | instskip(SKIP_1) | instid1(VALU_DEP_1)
	v_dual_add_f32 v2, v24, v2 :: v_dual_add_f32 v3, v23, v25
	v_mul_f32_e32 v23, v5, v34
	v_fma_f32 v23, v4, v33, -v23
	v_mul_f32_e32 v4, v4, v34
	s_delay_alu instid0(VALU_DEP_1) | instskip(NEXT) | instid1(VALU_DEP_1)
	v_fmac_f32_e32 v4, v5, v33
	v_dual_add_f32 v28, v2, v4 :: v_dual_add_f32 v27, v3, v23
	ds_load_b128 v[2:5], v8 offset:64
	ds_load_2addr_b64 v[23:26], v20 offset1:32
	s_waitcnt lgkmcnt(0)
	v_mul_f32_e32 v29, v24, v3
	v_mul_f32_e32 v3, v23, v3
	s_delay_alu instid0(VALU_DEP_2) | instskip(SKIP_1) | instid1(VALU_DEP_3)
	v_fma_f32 v29, v23, v2, -v29
	v_mul_f32_e32 v23, v26, v5
	v_fmac_f32_e32 v3, v24, v2
	v_mul_f32_e32 v5, v25, v5
	s_delay_alu instid0(VALU_DEP_4) | instskip(NEXT) | instid1(VALU_DEP_4)
	v_add_f32_e32 v2, v27, v29
	v_fma_f32 v23, v25, v4, -v23
	s_delay_alu instid0(VALU_DEP_3) | instskip(NEXT) | instid1(VALU_DEP_2)
	v_fmac_f32_e32 v5, v26, v4
	v_add_f32_e32 v27, v2, v23
	v_add_f32_e32 v3, v28, v3
	s_delay_alu instid0(VALU_DEP_1)
	v_add_f32_e32 v28, v3, v5
	ds_load_b128 v[2:5], v8 offset:80
	ds_load_2addr_b64 v[23:26], v20 offset0:64 offset1:96
	s_waitcnt lgkmcnt(0)
	v_mul_f32_e32 v29, v24, v3
	v_mul_f32_e32 v3, v23, v3
	s_delay_alu instid0(VALU_DEP_2) | instskip(NEXT) | instid1(VALU_DEP_2)
	v_fma_f32 v29, v23, v2, -v29
	v_fmac_f32_e32 v3, v24, v2
	v_mul_f32_e32 v23, v26, v5
	v_mul_f32_e32 v5, v25, v5
	s_delay_alu instid0(VALU_DEP_3) | instskip(NEXT) | instid1(VALU_DEP_3)
	v_add_f32_e32 v3, v28, v3
	v_fma_f32 v23, v25, v4, -v23
	s_delay_alu instid0(VALU_DEP_3) | instskip(NEXT) | instid1(VALU_DEP_1)
	v_fmac_f32_e32 v5, v26, v4
	v_add_f32_e32 v28, v3, v5
	v_add_f32_e32 v2, v27, v29
	s_delay_alu instid0(VALU_DEP_1)
	v_add_f32_e32 v27, v2, v23
	ds_load_b128 v[2:5], v8 offset:96
	ds_load_2addr_b64 v[23:26], v20 offset0:128 offset1:160
	s_waitcnt lgkmcnt(0)
	v_mul_f32_e32 v29, v24, v3
	v_mul_f32_e32 v3, v23, v3
	s_delay_alu instid0(VALU_DEP_2) | instskip(NEXT) | instid1(VALU_DEP_2)
	v_fma_f32 v29, v23, v2, -v29
	v_fmac_f32_e32 v3, v24, v2
	v_mul_f32_e32 v23, v26, v5
	v_mul_f32_e32 v5, v25, v5
	s_delay_alu instid0(VALU_DEP_3) | instskip(NEXT) | instid1(VALU_DEP_3)
	v_dual_add_f32 v2, v27, v29 :: v_dual_add_f32 v3, v28, v3
	v_fma_f32 v23, v25, v4, -v23
	s_delay_alu instid0(VALU_DEP_3) | instskip(NEXT) | instid1(VALU_DEP_1)
	v_fmac_f32_e32 v5, v26, v4
	v_dual_add_f32 v27, v2, v23 :: v_dual_add_f32 v28, v3, v5
	ds_load_b128 v[2:5], v8 offset:112
	ds_load_2addr_b64 v[23:26], v20 offset0:192 offset1:224
	s_waitcnt lgkmcnt(0)
	v_mul_f32_e32 v29, v24, v3
	v_mul_f32_e32 v3, v23, v3
	s_delay_alu instid0(VALU_DEP_2) | instskip(NEXT) | instid1(VALU_DEP_2)
	v_fma_f32 v29, v23, v2, -v29
	v_fmac_f32_e32 v3, v24, v2
	v_mul_f32_e32 v23, v26, v5
	v_mul_f32_e32 v5, v25, v5
	s_delay_alu instid0(VALU_DEP_3) | instskip(NEXT) | instid1(VALU_DEP_3)
	v_dual_add_f32 v2, v27, v29 :: v_dual_add_f32 v3, v28, v3
	v_fma_f32 v23, v25, v4, -v23
	s_delay_alu instid0(VALU_DEP_3) | instskip(NEXT) | instid1(VALU_DEP_1)
	v_fmac_f32_e32 v5, v26, v4
	v_dual_add_f32 v27, v2, v23 :: v_dual_add_f32 v28, v3, v5
	ds_load_b128 v[2:5], v8 offset:128
	ds_load_2addr_b64 v[23:26], v21 offset1:32
	s_waitcnt lgkmcnt(0)
	v_mul_f32_e32 v29, v24, v3
	v_mul_f32_e32 v3, v23, v3
	s_delay_alu instid0(VALU_DEP_2) | instskip(NEXT) | instid1(VALU_DEP_2)
	v_fma_f32 v29, v23, v2, -v29
	v_fmac_f32_e32 v3, v24, v2
	v_mul_f32_e32 v23, v26, v5
	v_mul_f32_e32 v5, v25, v5
	s_delay_alu instid0(VALU_DEP_3) | instskip(NEXT) | instid1(VALU_DEP_3)
	v_dual_add_f32 v2, v27, v29 :: v_dual_add_f32 v3, v28, v3
	v_fma_f32 v23, v25, v4, -v23
	s_delay_alu instid0(VALU_DEP_3) | instskip(NEXT) | instid1(VALU_DEP_1)
	v_fmac_f32_e32 v5, v26, v4
	v_dual_add_f32 v27, v2, v23 :: v_dual_add_f32 v28, v3, v5
	ds_load_b128 v[2:5], v8 offset:144
	ds_load_2addr_b64 v[23:26], v21 offset0:64 offset1:96
	s_waitcnt lgkmcnt(0)
	v_mul_f32_e32 v29, v24, v3
	v_mul_f32_e32 v3, v23, v3
	s_delay_alu instid0(VALU_DEP_2) | instskip(NEXT) | instid1(VALU_DEP_2)
	v_fma_f32 v29, v23, v2, -v29
	v_fmac_f32_e32 v3, v24, v2
	v_mul_f32_e32 v23, v26, v5
	v_mul_f32_e32 v5, v25, v5
	s_delay_alu instid0(VALU_DEP_3) | instskip(NEXT) | instid1(VALU_DEP_3)
	v_dual_add_f32 v2, v27, v29 :: v_dual_add_f32 v3, v28, v3
	v_fma_f32 v23, v25, v4, -v23
	s_delay_alu instid0(VALU_DEP_3) | instskip(NEXT) | instid1(VALU_DEP_1)
	v_fmac_f32_e32 v5, v26, v4
	v_dual_add_f32 v27, v2, v23 :: v_dual_add_f32 v28, v3, v5
	ds_load_b128 v[2:5], v8 offset:160
	ds_load_2addr_b64 v[23:26], v21 offset0:128 offset1:160
	;; [unrolled: 16-line block ×3, first 2 shown]
	s_waitcnt lgkmcnt(0)
	v_mul_f32_e32 v29, v24, v3
	v_mul_f32_e32 v3, v23, v3
	s_delay_alu instid0(VALU_DEP_2) | instskip(NEXT) | instid1(VALU_DEP_2)
	v_fma_f32 v29, v23, v2, -v29
	v_fmac_f32_e32 v3, v24, v2
	v_mul_f32_e32 v23, v26, v5
	v_mul_f32_e32 v5, v25, v5
	s_delay_alu instid0(VALU_DEP_3) | instskip(NEXT) | instid1(VALU_DEP_3)
	v_dual_add_f32 v2, v27, v29 :: v_dual_add_f32 v3, v28, v3
	v_fma_f32 v23, v25, v4, -v23
	s_delay_alu instid0(VALU_DEP_3) | instskip(NEXT) | instid1(VALU_DEP_1)
	v_fmac_f32_e32 v5, v26, v4
	v_dual_add_f32 v27, v2, v23 :: v_dual_add_f32 v28, v3, v5
	ds_load_b128 v[2:5], v8 offset:192
	ds_load_2addr_b64 v[23:26], v22 offset1:32
	s_waitcnt lgkmcnt(0)
	v_mul_f32_e32 v29, v24, v3
	v_mul_f32_e32 v3, v23, v3
	s_delay_alu instid0(VALU_DEP_2) | instskip(NEXT) | instid1(VALU_DEP_2)
	v_fma_f32 v29, v23, v2, -v29
	v_fmac_f32_e32 v3, v24, v2
	v_mul_f32_e32 v23, v26, v5
	v_mul_f32_e32 v5, v25, v5
	s_delay_alu instid0(VALU_DEP_3) | instskip(NEXT) | instid1(VALU_DEP_3)
	v_dual_add_f32 v2, v27, v29 :: v_dual_add_f32 v3, v28, v3
	v_fma_f32 v23, v25, v4, -v23
	s_delay_alu instid0(VALU_DEP_3) | instskip(NEXT) | instid1(VALU_DEP_1)
	v_fmac_f32_e32 v5, v26, v4
	v_dual_add_f32 v27, v2, v23 :: v_dual_add_f32 v28, v3, v5
	ds_load_b128 v[2:5], v8 offset:208
	ds_load_2addr_b64 v[23:26], v22 offset0:64 offset1:96
	s_waitcnt lgkmcnt(0)
	v_mul_f32_e32 v29, v24, v3
	v_mul_f32_e32 v3, v23, v3
	s_delay_alu instid0(VALU_DEP_2) | instskip(NEXT) | instid1(VALU_DEP_2)
	v_fma_f32 v29, v23, v2, -v29
	v_fmac_f32_e32 v3, v24, v2
	v_mul_f32_e32 v23, v26, v5
	v_mul_f32_e32 v5, v25, v5
	s_delay_alu instid0(VALU_DEP_3) | instskip(NEXT) | instid1(VALU_DEP_3)
	v_dual_add_f32 v2, v27, v29 :: v_dual_add_f32 v3, v28, v3
	v_fma_f32 v23, v25, v4, -v23
	s_delay_alu instid0(VALU_DEP_3) | instskip(NEXT) | instid1(VALU_DEP_1)
	v_fmac_f32_e32 v5, v26, v4
	v_dual_add_f32 v27, v2, v23 :: v_dual_add_f32 v28, v3, v5
	ds_load_b128 v[2:5], v8 offset:224
	ds_load_2addr_b64 v[23:26], v22 offset0:128 offset1:160
	;; [unrolled: 16-line block ×3, first 2 shown]
	s_waitcnt lgkmcnt(0)
	v_mul_f32_e32 v29, v24, v3
	v_mul_f32_e32 v3, v23, v3
	s_delay_alu instid0(VALU_DEP_2) | instskip(NEXT) | instid1(VALU_DEP_2)
	v_fma_f32 v29, v23, v2, -v29
	v_fmac_f32_e32 v3, v24, v2
	v_mul_f32_e32 v23, v26, v5
	v_mul_f32_e32 v5, v25, v5
	s_delay_alu instid0(VALU_DEP_3) | instskip(NEXT) | instid1(VALU_DEP_3)
	v_dual_add_f32 v2, v27, v29 :: v_dual_add_f32 v3, v28, v3
	v_fma_f32 v23, v25, v4, -v23
	s_delay_alu instid0(VALU_DEP_3) | instskip(NEXT) | instid1(VALU_DEP_1)
	v_fmac_f32_e32 v5, v26, v4
	v_dual_add_f32 v4, v2, v23 :: v_dual_add_f32 v3, v3, v5
	s_delay_alu instid0(VALU_DEP_1) | instskip(SKIP_1) | instid1(VALU_DEP_2)
	v_mul_f32_e32 v2, s5, v3
	v_mul_f32_e32 v3, s4, v3
	v_fma_f32 v2, s4, v4, -v2
	s_delay_alu instid0(VALU_DEP_2)
	v_fmac_f32_e32 v3, s5, v4
	global_load_b64 v[4:5], v[0:1], off
	s_waitcnt vmcnt(0)
	v_dual_add_f32 v2, v4, v2 :: v_dual_add_f32 v3, v5, v3
	global_store_b64 v[0:1], v[2:3], off
.LBB1857_11:                            ;   in Loop: Header=BB1857_5 Depth=1
	s_or_b32 exec_lo, exec_lo, s13
	v_dual_mov_b32 v3, 0 :: v_dual_mov_b32 v4, 0
	v_mov_b32_e32 v5, 0
	s_waitcnt_vscnt null, 0x0
	s_barrier
	buffer_gl0_inv
	s_and_saveexec_b32 s13, s11
	s_cbranch_execz .LBB1857_13
; %bb.12:                               ;   in Loop: Header=BB1857_5 Depth=1
	v_add_co_u32 v4, vcc_lo, v14, s2
	v_add_co_ci_u32_e32 v5, vcc_lo, s3, v15, vcc_lo
	global_load_b64 v[4:5], v[4:5], off
.LBB1857_13:                            ;   in Loop: Header=BB1857_5 Depth=1
	s_or_b32 exec_lo, exec_lo, s13
	v_mov_b32_e32 v2, 0
	s_waitcnt vmcnt(0)
	ds_store_b64 v10, v[4:5]
	s_and_saveexec_b32 s11, s12
	s_cbranch_execz .LBB1857_15
; %bb.14:                               ;   in Loop: Header=BB1857_5 Depth=1
	v_add_co_u32 v2, vcc_lo, v16, s2
	v_add_co_ci_u32_e32 v3, vcc_lo, s3, v17, vcc_lo
	global_load_b64 v[2:3], v[2:3], off offset:-4
.LBB1857_15:                            ;   in Loop: Header=BB1857_5 Depth=1
	s_or_b32 exec_lo, exec_lo, s11
	s_waitcnt vmcnt(0)
	ds_store_b64 v11, v[2:3]
	s_waitcnt lgkmcnt(0)
	s_barrier
	buffer_gl0_inv
	s_and_saveexec_b32 s11, s10
	s_cbranch_execz .LBB1857_4
; %bb.16:                               ;   in Loop: Header=BB1857_5 Depth=1
	ds_load_b128 v[2:5], v8
	ds_load_b128 v[23:26], v8 offset:16
	ds_load_b128 v[27:30], v8 offset:32
	;; [unrolled: 1-line block ×3, first 2 shown]
	ds_load_2addr_b64 v[35:38], v9 offset1:32
	s_waitcnt lgkmcnt(0)
	v_mul_f32_e32 v39, v36, v3
	v_mul_f32_e32 v3, v35, v3
	s_delay_alu instid0(VALU_DEP_2) | instskip(NEXT) | instid1(VALU_DEP_2)
	v_fma_f32 v39, v35, v2, -v39
	v_fmac_f32_e32 v3, v36, v2
	v_mul_f32_e32 v35, v38, v5
	s_delay_alu instid0(VALU_DEP_3) | instskip(NEXT) | instid1(VALU_DEP_3)
	v_dual_mul_f32 v5, v37, v5 :: v_dual_add_f32 v2, 0, v39
	v_add_f32_e32 v3, 0, v3
	s_delay_alu instid0(VALU_DEP_3) | instskip(NEXT) | instid1(VALU_DEP_3)
	v_fma_f32 v35, v37, v4, -v35
	v_fmac_f32_e32 v5, v38, v4
	s_delay_alu instid0(VALU_DEP_1) | instskip(SKIP_3) | instid1(VALU_DEP_1)
	v_dual_add_f32 v35, v2, v35 :: v_dual_add_f32 v36, v3, v5
	ds_load_2addr_b64 v[2:5], v9 offset0:64 offset1:96
	s_waitcnt lgkmcnt(0)
	v_mul_f32_e32 v37, v3, v24
	v_fma_f32 v37, v2, v23, -v37
	v_mul_f32_e32 v2, v2, v24
	s_delay_alu instid0(VALU_DEP_1) | instskip(NEXT) | instid1(VALU_DEP_1)
	v_dual_fmac_f32 v2, v3, v23 :: v_dual_mul_f32 v23, v5, v26
	v_add_f32_e32 v2, v36, v2
	s_delay_alu instid0(VALU_DEP_2) | instskip(SKIP_1) | instid1(VALU_DEP_1)
	v_fma_f32 v23, v4, v25, -v23
	v_mul_f32_e32 v4, v4, v26
	v_fmac_f32_e32 v4, v5, v25
	s_delay_alu instid0(VALU_DEP_1) | instskip(NEXT) | instid1(VALU_DEP_1)
	v_dual_add_f32 v3, v35, v37 :: v_dual_add_f32 v24, v2, v4
	v_add_f32_e32 v23, v3, v23
	ds_load_2addr_b64 v[2:5], v9 offset0:128 offset1:160
	s_waitcnt lgkmcnt(0)
	v_mul_f32_e32 v25, v3, v28
	s_delay_alu instid0(VALU_DEP_1) | instskip(SKIP_1) | instid1(VALU_DEP_1)
	v_fma_f32 v25, v2, v27, -v25
	v_mul_f32_e32 v2, v2, v28
	v_fmac_f32_e32 v2, v3, v27
	s_delay_alu instid0(VALU_DEP_1) | instskip(SKIP_1) | instid1(VALU_DEP_1)
	v_dual_add_f32 v2, v24, v2 :: v_dual_add_f32 v3, v23, v25
	v_mul_f32_e32 v23, v5, v30
	v_fma_f32 v23, v4, v29, -v23
	v_mul_f32_e32 v4, v4, v30
	s_delay_alu instid0(VALU_DEP_1) | instskip(NEXT) | instid1(VALU_DEP_1)
	v_fmac_f32_e32 v4, v5, v29
	v_dual_add_f32 v24, v2, v4 :: v_dual_add_f32 v23, v3, v23
	ds_load_2addr_b64 v[2:5], v9 offset0:192 offset1:224
	s_waitcnt lgkmcnt(0)
	v_mul_f32_e32 v25, v3, v32
	s_delay_alu instid0(VALU_DEP_1) | instskip(SKIP_1) | instid1(VALU_DEP_1)
	v_fma_f32 v25, v2, v31, -v25
	v_mul_f32_e32 v2, v2, v32
	v_fmac_f32_e32 v2, v3, v31
	s_delay_alu instid0(VALU_DEP_1) | instskip(SKIP_1) | instid1(VALU_DEP_1)
	v_dual_add_f32 v2, v24, v2 :: v_dual_add_f32 v3, v23, v25
	v_mul_f32_e32 v23, v5, v34
	v_fma_f32 v23, v4, v33, -v23
	v_mul_f32_e32 v4, v4, v34
	s_delay_alu instid0(VALU_DEP_1) | instskip(NEXT) | instid1(VALU_DEP_1)
	v_fmac_f32_e32 v4, v5, v33
	v_dual_add_f32 v28, v2, v4 :: v_dual_add_f32 v27, v3, v23
	ds_load_b128 v[2:5], v8 offset:64
	ds_load_2addr_b64 v[23:26], v20 offset1:32
	s_waitcnt lgkmcnt(0)
	v_mul_f32_e32 v29, v24, v3
	v_mul_f32_e32 v3, v23, v3
	s_delay_alu instid0(VALU_DEP_2) | instskip(SKIP_1) | instid1(VALU_DEP_3)
	v_fma_f32 v29, v23, v2, -v29
	v_mul_f32_e32 v23, v26, v5
	v_fmac_f32_e32 v3, v24, v2
	v_mul_f32_e32 v5, v25, v5
	s_delay_alu instid0(VALU_DEP_4) | instskip(NEXT) | instid1(VALU_DEP_4)
	v_add_f32_e32 v2, v27, v29
	v_fma_f32 v23, v25, v4, -v23
	s_delay_alu instid0(VALU_DEP_3) | instskip(NEXT) | instid1(VALU_DEP_2)
	v_fmac_f32_e32 v5, v26, v4
	v_add_f32_e32 v27, v2, v23
	v_add_f32_e32 v3, v28, v3
	s_delay_alu instid0(VALU_DEP_1)
	v_add_f32_e32 v28, v3, v5
	ds_load_b128 v[2:5], v8 offset:80
	ds_load_2addr_b64 v[23:26], v20 offset0:64 offset1:96
	s_waitcnt lgkmcnt(0)
	v_mul_f32_e32 v29, v24, v3
	v_mul_f32_e32 v3, v23, v3
	s_delay_alu instid0(VALU_DEP_2) | instskip(NEXT) | instid1(VALU_DEP_2)
	v_fma_f32 v29, v23, v2, -v29
	v_fmac_f32_e32 v3, v24, v2
	v_mul_f32_e32 v23, v26, v5
	v_mul_f32_e32 v5, v25, v5
	s_delay_alu instid0(VALU_DEP_3) | instskip(NEXT) | instid1(VALU_DEP_3)
	v_add_f32_e32 v3, v28, v3
	v_fma_f32 v23, v25, v4, -v23
	s_delay_alu instid0(VALU_DEP_3) | instskip(NEXT) | instid1(VALU_DEP_1)
	v_fmac_f32_e32 v5, v26, v4
	v_add_f32_e32 v28, v3, v5
	v_add_f32_e32 v2, v27, v29
	s_delay_alu instid0(VALU_DEP_1)
	v_add_f32_e32 v27, v2, v23
	ds_load_b128 v[2:5], v8 offset:96
	ds_load_2addr_b64 v[23:26], v20 offset0:128 offset1:160
	s_waitcnt lgkmcnt(0)
	v_mul_f32_e32 v29, v24, v3
	v_mul_f32_e32 v3, v23, v3
	s_delay_alu instid0(VALU_DEP_2) | instskip(NEXT) | instid1(VALU_DEP_2)
	v_fma_f32 v29, v23, v2, -v29
	v_fmac_f32_e32 v3, v24, v2
	v_mul_f32_e32 v23, v26, v5
	v_mul_f32_e32 v5, v25, v5
	s_delay_alu instid0(VALU_DEP_3) | instskip(NEXT) | instid1(VALU_DEP_3)
	v_dual_add_f32 v2, v27, v29 :: v_dual_add_f32 v3, v28, v3
	v_fma_f32 v23, v25, v4, -v23
	s_delay_alu instid0(VALU_DEP_3) | instskip(NEXT) | instid1(VALU_DEP_1)
	v_fmac_f32_e32 v5, v26, v4
	v_dual_add_f32 v27, v2, v23 :: v_dual_add_f32 v28, v3, v5
	ds_load_b128 v[2:5], v8 offset:112
	ds_load_2addr_b64 v[23:26], v20 offset0:192 offset1:224
	s_waitcnt lgkmcnt(0)
	v_mul_f32_e32 v29, v24, v3
	v_mul_f32_e32 v3, v23, v3
	s_delay_alu instid0(VALU_DEP_2) | instskip(NEXT) | instid1(VALU_DEP_2)
	v_fma_f32 v29, v23, v2, -v29
	v_fmac_f32_e32 v3, v24, v2
	v_mul_f32_e32 v23, v26, v5
	v_mul_f32_e32 v5, v25, v5
	s_delay_alu instid0(VALU_DEP_3) | instskip(NEXT) | instid1(VALU_DEP_3)
	v_dual_add_f32 v2, v27, v29 :: v_dual_add_f32 v3, v28, v3
	v_fma_f32 v23, v25, v4, -v23
	s_delay_alu instid0(VALU_DEP_3) | instskip(NEXT) | instid1(VALU_DEP_1)
	v_fmac_f32_e32 v5, v26, v4
	v_dual_add_f32 v27, v2, v23 :: v_dual_add_f32 v28, v3, v5
	ds_load_b128 v[2:5], v8 offset:128
	ds_load_2addr_b64 v[23:26], v21 offset1:32
	s_waitcnt lgkmcnt(0)
	v_mul_f32_e32 v29, v24, v3
	v_mul_f32_e32 v3, v23, v3
	s_delay_alu instid0(VALU_DEP_2) | instskip(NEXT) | instid1(VALU_DEP_2)
	v_fma_f32 v29, v23, v2, -v29
	v_fmac_f32_e32 v3, v24, v2
	v_mul_f32_e32 v23, v26, v5
	v_mul_f32_e32 v5, v25, v5
	s_delay_alu instid0(VALU_DEP_3) | instskip(NEXT) | instid1(VALU_DEP_3)
	v_dual_add_f32 v2, v27, v29 :: v_dual_add_f32 v3, v28, v3
	v_fma_f32 v23, v25, v4, -v23
	s_delay_alu instid0(VALU_DEP_3) | instskip(NEXT) | instid1(VALU_DEP_1)
	v_fmac_f32_e32 v5, v26, v4
	v_dual_add_f32 v27, v2, v23 :: v_dual_add_f32 v28, v3, v5
	ds_load_b128 v[2:5], v8 offset:144
	ds_load_2addr_b64 v[23:26], v21 offset0:64 offset1:96
	s_waitcnt lgkmcnt(0)
	v_mul_f32_e32 v29, v24, v3
	v_mul_f32_e32 v3, v23, v3
	s_delay_alu instid0(VALU_DEP_2) | instskip(NEXT) | instid1(VALU_DEP_2)
	v_fma_f32 v29, v23, v2, -v29
	v_fmac_f32_e32 v3, v24, v2
	v_mul_f32_e32 v23, v26, v5
	v_mul_f32_e32 v5, v25, v5
	s_delay_alu instid0(VALU_DEP_3) | instskip(NEXT) | instid1(VALU_DEP_3)
	v_dual_add_f32 v2, v27, v29 :: v_dual_add_f32 v3, v28, v3
	v_fma_f32 v23, v25, v4, -v23
	s_delay_alu instid0(VALU_DEP_3) | instskip(NEXT) | instid1(VALU_DEP_1)
	v_fmac_f32_e32 v5, v26, v4
	v_dual_add_f32 v27, v2, v23 :: v_dual_add_f32 v28, v3, v5
	ds_load_b128 v[2:5], v8 offset:160
	ds_load_2addr_b64 v[23:26], v21 offset0:128 offset1:160
	;; [unrolled: 16-line block ×3, first 2 shown]
	s_waitcnt lgkmcnt(0)
	v_mul_f32_e32 v29, v24, v3
	v_mul_f32_e32 v3, v23, v3
	s_delay_alu instid0(VALU_DEP_2) | instskip(NEXT) | instid1(VALU_DEP_2)
	v_fma_f32 v29, v23, v2, -v29
	v_fmac_f32_e32 v3, v24, v2
	v_mul_f32_e32 v23, v26, v5
	v_mul_f32_e32 v5, v25, v5
	s_delay_alu instid0(VALU_DEP_3) | instskip(NEXT) | instid1(VALU_DEP_3)
	v_dual_add_f32 v2, v27, v29 :: v_dual_add_f32 v3, v28, v3
	v_fma_f32 v23, v25, v4, -v23
	s_delay_alu instid0(VALU_DEP_3) | instskip(NEXT) | instid1(VALU_DEP_1)
	v_fmac_f32_e32 v5, v26, v4
	v_dual_add_f32 v27, v2, v23 :: v_dual_add_f32 v28, v3, v5
	ds_load_b128 v[2:5], v8 offset:192
	ds_load_2addr_b64 v[23:26], v22 offset1:32
	s_waitcnt lgkmcnt(0)
	v_mul_f32_e32 v29, v24, v3
	v_mul_f32_e32 v3, v23, v3
	s_delay_alu instid0(VALU_DEP_2) | instskip(NEXT) | instid1(VALU_DEP_2)
	v_fma_f32 v29, v23, v2, -v29
	v_fmac_f32_e32 v3, v24, v2
	v_mul_f32_e32 v23, v26, v5
	v_mul_f32_e32 v5, v25, v5
	s_delay_alu instid0(VALU_DEP_3) | instskip(NEXT) | instid1(VALU_DEP_3)
	v_dual_add_f32 v2, v27, v29 :: v_dual_add_f32 v3, v28, v3
	v_fma_f32 v23, v25, v4, -v23
	s_delay_alu instid0(VALU_DEP_3) | instskip(NEXT) | instid1(VALU_DEP_1)
	v_fmac_f32_e32 v5, v26, v4
	v_dual_add_f32 v27, v2, v23 :: v_dual_add_f32 v28, v3, v5
	ds_load_b128 v[2:5], v8 offset:208
	ds_load_2addr_b64 v[23:26], v22 offset0:64 offset1:96
	s_waitcnt lgkmcnt(0)
	v_mul_f32_e32 v29, v24, v3
	v_mul_f32_e32 v3, v23, v3
	s_delay_alu instid0(VALU_DEP_2) | instskip(NEXT) | instid1(VALU_DEP_2)
	v_fma_f32 v29, v23, v2, -v29
	v_fmac_f32_e32 v3, v24, v2
	v_mul_f32_e32 v23, v26, v5
	v_mul_f32_e32 v5, v25, v5
	s_delay_alu instid0(VALU_DEP_3) | instskip(NEXT) | instid1(VALU_DEP_3)
	v_dual_add_f32 v2, v27, v29 :: v_dual_add_f32 v3, v28, v3
	v_fma_f32 v23, v25, v4, -v23
	s_delay_alu instid0(VALU_DEP_3) | instskip(NEXT) | instid1(VALU_DEP_1)
	v_fmac_f32_e32 v5, v26, v4
	v_dual_add_f32 v27, v2, v23 :: v_dual_add_f32 v28, v3, v5
	ds_load_b128 v[2:5], v8 offset:224
	ds_load_2addr_b64 v[23:26], v22 offset0:128 offset1:160
	s_waitcnt lgkmcnt(0)
	v_mul_f32_e32 v29, v24, v3
	v_mul_f32_e32 v3, v23, v3
	s_delay_alu instid0(VALU_DEP_2) | instskip(NEXT) | instid1(VALU_DEP_2)
	v_fma_f32 v29, v23, v2, -v29
	v_fmac_f32_e32 v3, v24, v2
	v_mul_f32_e32 v23, v26, v5
	v_mul_f32_e32 v5, v25, v5
	s_delay_alu instid0(VALU_DEP_3) | instskip(NEXT) | instid1(VALU_DEP_3)
	v_dual_add_f32 v2, v27, v29 :: v_dual_add_f32 v3, v28, v3
	v_fma_f32 v23, v25, v4, -v23
	s_delay_alu instid0(VALU_DEP_3) | instskip(NEXT) | instid1(VALU_DEP_1)
	v_fmac_f32_e32 v5, v26, v4
	v_dual_add_f32 v27, v2, v23 :: v_dual_add_f32 v28, v3, v5
	ds_load_b128 v[2:5], v8 offset:240
	ds_load_2addr_b64 v[23:26], v22 offset0:192 offset1:224
	s_waitcnt lgkmcnt(0)
	v_mul_f32_e32 v29, v24, v3
	v_mul_f32_e32 v3, v23, v3
	s_delay_alu instid0(VALU_DEP_2) | instskip(NEXT) | instid1(VALU_DEP_2)
	v_fma_f32 v29, v23, v2, -v29
	v_fmac_f32_e32 v3, v24, v2
	v_mul_f32_e32 v23, v26, v5
	v_mul_f32_e32 v5, v25, v5
	s_delay_alu instid0(VALU_DEP_3) | instskip(NEXT) | instid1(VALU_DEP_3)
	v_dual_add_f32 v2, v27, v29 :: v_dual_add_f32 v3, v28, v3
	v_fma_f32 v23, v25, v4, -v23
	s_delay_alu instid0(VALU_DEP_3) | instskip(NEXT) | instid1(VALU_DEP_1)
	v_fmac_f32_e32 v5, v26, v4
	v_dual_add_f32 v4, v2, v23 :: v_dual_add_f32 v5, v3, v5
	s_delay_alu instid0(VALU_DEP_1) | instskip(NEXT) | instid1(VALU_DEP_1)
	v_dual_mul_f32 v3, s5, v4 :: v_dual_mul_f32 v2, s5, v5
	v_fmac_f32_e32 v3, s4, v5
	s_delay_alu instid0(VALU_DEP_2)
	v_fma_f32 v2, s4, v4, -v2
	global_load_b64 v[4:5], v[0:1], off
	s_waitcnt vmcnt(0)
	v_dual_add_f32 v2, v4, v2 :: v_dual_add_f32 v3, v5, v3
	global_store_b64 v[0:1], v[2:3], off
	s_branch .LBB1857_4
.LBB1857_17:
	s_endpgm
	.section	.rodata,"a",@progbits
	.p2align	6, 0x0
	.amdhsa_kernel _ZL26rocblas_syr2k_her2k_kernelIlLb1ELb0ELb1ELi32E19rocblas_complex_numIfEPKS1_PS1_EvbiT_T4_T5_S5_lS7_S5_lT6_S5_li
		.amdhsa_group_segment_fixed_size 16384
		.amdhsa_private_segment_fixed_size 0
		.amdhsa_kernarg_size 100
		.amdhsa_user_sgpr_count 13
		.amdhsa_user_sgpr_dispatch_ptr 0
		.amdhsa_user_sgpr_queue_ptr 0
		.amdhsa_user_sgpr_kernarg_segment_ptr 1
		.amdhsa_user_sgpr_dispatch_id 0
		.amdhsa_user_sgpr_private_segment_size 0
		.amdhsa_wavefront_size32 1
		.amdhsa_uses_dynamic_stack 0
		.amdhsa_enable_private_segment 0
		.amdhsa_system_sgpr_workgroup_id_x 1
		.amdhsa_system_sgpr_workgroup_id_y 1
		.amdhsa_system_sgpr_workgroup_id_z 1
		.amdhsa_system_sgpr_workgroup_info 0
		.amdhsa_system_vgpr_workitem_id 1
		.amdhsa_next_free_vgpr 40
		.amdhsa_next_free_sgpr 32
		.amdhsa_reserve_vcc 1
		.amdhsa_float_round_mode_32 0
		.amdhsa_float_round_mode_16_64 0
		.amdhsa_float_denorm_mode_32 3
		.amdhsa_float_denorm_mode_16_64 3
		.amdhsa_dx10_clamp 1
		.amdhsa_ieee_mode 1
		.amdhsa_fp16_overflow 0
		.amdhsa_workgroup_processor_mode 1
		.amdhsa_memory_ordered 1
		.amdhsa_forward_progress 0
		.amdhsa_shared_vgpr_count 0
		.amdhsa_exception_fp_ieee_invalid_op 0
		.amdhsa_exception_fp_denorm_src 0
		.amdhsa_exception_fp_ieee_div_zero 0
		.amdhsa_exception_fp_ieee_overflow 0
		.amdhsa_exception_fp_ieee_underflow 0
		.amdhsa_exception_fp_ieee_inexact 0
		.amdhsa_exception_int_div_zero 0
	.end_amdhsa_kernel
	.section	.text._ZL26rocblas_syr2k_her2k_kernelIlLb1ELb0ELb1ELi32E19rocblas_complex_numIfEPKS1_PS1_EvbiT_T4_T5_S5_lS7_S5_lT6_S5_li,"axG",@progbits,_ZL26rocblas_syr2k_her2k_kernelIlLb1ELb0ELb1ELi32E19rocblas_complex_numIfEPKS1_PS1_EvbiT_T4_T5_S5_lS7_S5_lT6_S5_li,comdat
.Lfunc_end1857:
	.size	_ZL26rocblas_syr2k_her2k_kernelIlLb1ELb0ELb1ELi32E19rocblas_complex_numIfEPKS1_PS1_EvbiT_T4_T5_S5_lS7_S5_lT6_S5_li, .Lfunc_end1857-_ZL26rocblas_syr2k_her2k_kernelIlLb1ELb0ELb1ELi32E19rocblas_complex_numIfEPKS1_PS1_EvbiT_T4_T5_S5_lS7_S5_lT6_S5_li
                                        ; -- End function
	.section	.AMDGPU.csdata,"",@progbits
; Kernel info:
; codeLenInByte = 4248
; NumSgprs: 34
; NumVgprs: 40
; ScratchSize: 0
; MemoryBound: 0
; FloatMode: 240
; IeeeMode: 1
; LDSByteSize: 16384 bytes/workgroup (compile time only)
; SGPRBlocks: 4
; VGPRBlocks: 4
; NumSGPRsForWavesPerEU: 34
; NumVGPRsForWavesPerEU: 40
; Occupancy: 16
; WaveLimiterHint : 0
; COMPUTE_PGM_RSRC2:SCRATCH_EN: 0
; COMPUTE_PGM_RSRC2:USER_SGPR: 13
; COMPUTE_PGM_RSRC2:TRAP_HANDLER: 0
; COMPUTE_PGM_RSRC2:TGID_X_EN: 1
; COMPUTE_PGM_RSRC2:TGID_Y_EN: 1
; COMPUTE_PGM_RSRC2:TGID_Z_EN: 1
; COMPUTE_PGM_RSRC2:TIDIG_COMP_CNT: 1
	.section	.text._ZL26rocblas_syr2k_her2k_kernelIlLb1ELb0ELb0ELi32EPK19rocblas_complex_numIfES3_PS1_EvbiT_T4_T5_S5_lS7_S5_lT6_S5_li,"axG",@progbits,_ZL26rocblas_syr2k_her2k_kernelIlLb1ELb0ELb0ELi32EPK19rocblas_complex_numIfES3_PS1_EvbiT_T4_T5_S5_lS7_S5_lT6_S5_li,comdat
	.globl	_ZL26rocblas_syr2k_her2k_kernelIlLb1ELb0ELb0ELi32EPK19rocblas_complex_numIfES3_PS1_EvbiT_T4_T5_S5_lS7_S5_lT6_S5_li ; -- Begin function _ZL26rocblas_syr2k_her2k_kernelIlLb1ELb0ELb0ELi32EPK19rocblas_complex_numIfES3_PS1_EvbiT_T4_T5_S5_lS7_S5_lT6_S5_li
	.p2align	8
	.type	_ZL26rocblas_syr2k_her2k_kernelIlLb1ELb0ELb0ELi32EPK19rocblas_complex_numIfES3_PS1_EvbiT_T4_T5_S5_lS7_S5_lT6_S5_li,@function
_ZL26rocblas_syr2k_her2k_kernelIlLb1ELb0ELb0ELi32EPK19rocblas_complex_numIfES3_PS1_EvbiT_T4_T5_S5_lS7_S5_lT6_S5_li: ; @_ZL26rocblas_syr2k_her2k_kernelIlLb1ELb0ELb0ELi32EPK19rocblas_complex_numIfES3_PS1_EvbiT_T4_T5_S5_lS7_S5_lT6_S5_li
; %bb.0:
	s_load_b512 s[16:31], s[0:1], 0x8
	s_waitcnt lgkmcnt(0)
	s_load_b64 s[8:9], s[18:19], 0x0
	s_waitcnt lgkmcnt(0)
	v_cmp_eq_f32_e64 s2, s8, 0
	v_cmp_eq_f32_e64 s3, s9, 0
	s_delay_alu instid0(VALU_DEP_1) | instskip(NEXT) | instid1(SALU_CYCLE_1)
	s_and_b32 s2, s2, s3
	s_and_b32 vcc_lo, exec_lo, s2
	s_cbranch_vccnz .LBB1858_17
; %bb.1:
	s_load_b64 s[2:3], s[0:1], 0x0
	s_lshl_b32 s10, s14, 5
	s_lshl_b32 s11, s13, 5
	s_waitcnt lgkmcnt(0)
	s_and_b32 s2, 1, s2
	s_delay_alu instid0(SALU_CYCLE_1) | instskip(SKIP_1) | instid1(SALU_CYCLE_1)
	s_cmp_eq_u32 s2, 1
	s_cselect_b32 s2, -1, 0
	s_and_b32 s4, s2, exec_lo
	s_cselect_b32 s4, s11, s10
	s_cselect_b32 s5, s10, s11
	s_delay_alu instid0(SALU_CYCLE_1)
	s_cmp_gt_i32 s4, s5
	s_cbranch_scc1 .LBB1858_17
; %bb.2:
	v_cmp_lt_i64_e64 s4, s[16:17], 1
	s_delay_alu instid0(VALU_DEP_1)
	s_and_b32 vcc_lo, exec_lo, s4
	s_cbranch_vccnz .LBB1858_17
; %bb.3:
	s_clause 0x1
	s_load_b64 s[12:13], s[0:1], 0x58
	s_load_b128 s[4:7], s[0:1], 0x48
	v_bfe_u32 v6, v0, 10, 10
	v_and_b32_e32 v7, 0x3ff, v0
	v_mov_b32_e32 v3, 0
	s_mul_i32 s1, s15, s31
	s_mul_hi_u32 s14, s15, s30
	v_add_nc_u32_e32 v0, s10, v6
	v_mad_u64_u32 v[4:5], null, s28, v7, 0
	v_dual_mov_b32 v1, v3 :: v_dual_add_nc_u32 v2, s11, v7
	s_delay_alu instid0(VALU_DEP_3) | instskip(SKIP_2) | instid1(VALU_DEP_2)
	v_ashrrev_i32_e32 v9, 31, v0
	s_mul_i32 s0, s15, s30
	s_add_i32 s1, s14, s1
	v_cndmask_b32_e64 v11, v2, v0, s2
	s_delay_alu instid0(VALU_DEP_4)
	v_mad_u64_u32 v[14:15], null, s29, v7, v[5:6]
	s_lshl_b64 s[0:1], s[0:1], 3
	v_cndmask_b32_e64 v16, v0, v2, s2
	v_max_i32_e32 v17, v2, v0
	s_waitcnt lgkmcnt(0)
	v_mul_lo_u32 v18, v9, s6
	v_mul_lo_u32 v19, v0, s7
	v_mad_u64_u32 v[12:13], null, v0, s6, 0
	s_add_u32 s10, s26, s0
	s_addc_u32 s11, s27, s1
	s_mul_i32 s1, s15, s13
	s_mul_hi_u32 s13, s15, s12
	v_dual_mov_b32 v5, v14 :: v_dual_lshlrev_b32 v10, 3, v6
	s_delay_alu instid0(VALU_DEP_2)
	v_add3_u32 v13, v13, v19, v18
	s_mul_i32 s0, s15, s12
	s_add_i32 s1, s13, s1
	v_cmp_gt_i32_e32 vcc_lo, s3, v17
	v_cmp_le_i32_e64 s2, v16, v11
	v_mov_b32_e32 v14, v2
	v_lshlrev_b64 v[12:13], 3, v[12:13]
	v_mad_u64_u32 v[16:17], null, s28, v6, 0
	v_mad_u64_u32 v[18:19], null, s22, v7, 0
	s_lshl_b64 s[0:1], s[0:1], 3
	v_lshlrev_b32_e32 v8, 8, v7
	s_add_u32 s4, s4, s0
	s_addc_u32 s5, s5, s1
	s_and_b32 s12, s2, vcc_lo
	v_add_co_u32 v25, vcc_lo, s4, v12
	v_ashrrev_i32_e32 v15, 31, v2
	v_add_co_ci_u32_e32 v26, vcc_lo, s5, v13, vcc_lo
	v_dual_mov_b32 v13, v19 :: v_dual_mov_b32 v12, v17
	s_mov_b32 s18, s3
	s_ashr_i32 s19, s3, 31
	v_lshlrev_b64 v[20:21], 3, v[0:1]
	v_cmp_gt_i64_e64 s1, s[18:19], v[0:1]
	v_lshlrev_b64 v[0:1], 3, v[14:15]
	v_mad_u64_u32 v[14:15], null, s29, v6, v[12:13]
	v_lshlrev_b64 v[4:5], 3, v[4:5]
	v_or_b32_e32 v9, 0x2000, v10
	v_add_nc_u32_e32 v10, v8, v10
	v_cmp_gt_i64_e64 s0, s[18:19], v[2:3]
	v_lshlrev_b64 v[2:3], 3, v[2:3]
	s_mul_i32 s4, s25, s15
	v_mov_b32_e32 v17, v14
	v_mad_u64_u32 v[22:23], null, s23, v7, v[13:14]
	v_mad_u64_u32 v[23:24], null, s22, v6, 0
	v_add_co_u32 v4, vcc_lo, v4, v20
	v_add_nc_u32_e32 v11, v9, v8
	v_add_co_ci_u32_e32 v12, vcc_lo, v5, v21, vcc_lo
	s_delay_alu instid0(VALU_DEP_3) | instskip(SKIP_3) | instid1(VALU_DEP_2)
	v_or_b32_e32 v13, 4, v4
	v_dual_mov_b32 v4, v24 :: v_dual_mov_b32 v19, v22
	s_mul_hi_u32 s5, s24, s15
	v_add_co_u32 v0, s2, v25, v0
	v_mad_u64_u32 v[14:15], null, s23, v6, v[4:5]
	v_lshlrev_b64 v[4:5], 3, v[16:17]
	v_lshlrev_b64 v[16:17], 3, v[18:19]
	s_add_i32 s5, s5, s4
	s_mul_i32 s4, s24, s15
	v_add_co_ci_u32_e64 v1, s2, v26, v1, s2
	s_delay_alu instid0(VALU_DEP_4)
	v_mov_b32_e32 v24, v14
	v_add_co_u32 v14, vcc_lo, v4, v2
	v_add_co_ci_u32_e32 v15, vcc_lo, v5, v3, vcc_lo
	v_add_co_u32 v16, vcc_lo, v16, v20
	v_add_co_ci_u32_e32 v17, vcc_lo, v17, v21, vcc_lo
	v_add_nc_u32_e32 v21, 0x1000, v9
	v_lshlrev_b64 v[4:5], 3, v[23:24]
	s_lshl_b64 s[4:5], s[4:5], 3
	s_lshl_b64 s[2:3], s[28:29], 8
	s_add_u32 s4, s4, s20
	v_add_nc_u32_e32 v20, 0x800, v9
	v_add_nc_u32_e32 v22, 0x1800, v9
	v_add_co_u32 v18, vcc_lo, v4, v2
	v_add_co_ci_u32_e32 v19, vcc_lo, v5, v3, vcc_lo
	s_addc_u32 s5, s5, s21
	s_add_u32 s13, s4, 4
	s_addc_u32 s14, s5, 0
	s_lshl_b64 s[4:5], s[22:23], 8
	s_mov_b64 s[6:7], 0
	s_branch .LBB1858_5
.LBB1858_4:                             ;   in Loop: Header=BB1858_5 Depth=1
	s_or_b32 exec_lo, exec_lo, s15
	s_add_u32 s6, s6, 32
	s_addc_u32 s7, s7, 0
	s_add_u32 s10, s10, s2
	v_cmp_lt_i64_e64 s15, s[6:7], s[16:17]
	s_addc_u32 s11, s11, s3
	s_add_u32 s13, s13, s4
	s_addc_u32 s14, s14, s5
	s_waitcnt_vscnt null, 0x0
	s_barrier
	s_and_b32 vcc_lo, exec_lo, s15
	buffer_gl0_inv
	s_cbranch_vccz .LBB1858_17
.LBB1858_5:                             ; =>This Inner Loop Header: Depth=1
	v_add_co_u32 v2, s15, v6, s6
	s_delay_alu instid0(VALU_DEP_1) | instskip(NEXT) | instid1(VALU_DEP_1)
	v_add_co_ci_u32_e64 v3, null, 0, s7, s15
	v_cmp_gt_i64_e32 vcc_lo, s[16:17], v[2:3]
	v_dual_mov_b32 v2, 0 :: v_dual_mov_b32 v3, 0
	s_and_b32 s15, s0, vcc_lo
	s_delay_alu instid0(SALU_CYCLE_1)
	s_and_saveexec_b32 s18, s15
	s_cbranch_execz .LBB1858_7
; %bb.6:                                ;   in Loop: Header=BB1858_5 Depth=1
	v_add_co_u32 v2, vcc_lo, s13, v18
	v_add_co_ci_u32_e32 v3, vcc_lo, s14, v19, vcc_lo
	global_load_b64 v[2:3], v[2:3], off offset:-4
.LBB1858_7:                             ;   in Loop: Header=BB1858_5 Depth=1
	s_or_b32 exec_lo, exec_lo, s18
	v_add_co_u32 v4, s18, v7, s6
	s_delay_alu instid0(VALU_DEP_1)
	v_add_co_ci_u32_e64 v5, null, 0, s7, s18
	s_waitcnt vmcnt(0)
	ds_store_b64 v10, v[2:3]
	v_cmp_gt_i64_e32 vcc_lo, s[16:17], v[4:5]
	v_dual_mov_b32 v4, 0 :: v_dual_mov_b32 v5, 0
	s_and_b32 s18, s1, vcc_lo
	s_delay_alu instid0(SALU_CYCLE_1)
	s_and_saveexec_b32 s19, s18
	s_cbranch_execz .LBB1858_9
; %bb.8:                                ;   in Loop: Header=BB1858_5 Depth=1
	v_add_co_u32 v2, vcc_lo, s10, v13
	v_add_co_ci_u32_e32 v3, vcc_lo, s11, v12, vcc_lo
	global_load_b64 v[4:5], v[2:3], off offset:-4
.LBB1858_9:                             ;   in Loop: Header=BB1858_5 Depth=1
	s_or_b32 exec_lo, exec_lo, s19
	s_waitcnt vmcnt(0)
	ds_store_b64 v11, v[4:5]
	s_waitcnt lgkmcnt(0)
	s_barrier
	buffer_gl0_inv
	s_and_saveexec_b32 s19, s12
	s_cbranch_execz .LBB1858_11
; %bb.10:                               ;   in Loop: Header=BB1858_5 Depth=1
	ds_load_b128 v[2:5], v8
	ds_load_b128 v[23:26], v8 offset:16
	ds_load_b128 v[27:30], v8 offset:32
	;; [unrolled: 1-line block ×3, first 2 shown]
	ds_load_2addr_b64 v[35:38], v9 offset1:32
	s_waitcnt lgkmcnt(0)
	v_mul_f32_e32 v39, v36, v3
	v_mul_f32_e32 v3, v35, v3
	s_delay_alu instid0(VALU_DEP_2) | instskip(NEXT) | instid1(VALU_DEP_2)
	v_fma_f32 v39, v35, v2, -v39
	v_fmac_f32_e32 v3, v36, v2
	v_mul_f32_e32 v35, v38, v5
	s_delay_alu instid0(VALU_DEP_3) | instskip(NEXT) | instid1(VALU_DEP_3)
	v_dual_mul_f32 v5, v37, v5 :: v_dual_add_f32 v2, 0, v39
	v_add_f32_e32 v3, 0, v3
	s_delay_alu instid0(VALU_DEP_3) | instskip(NEXT) | instid1(VALU_DEP_3)
	v_fma_f32 v35, v37, v4, -v35
	v_fmac_f32_e32 v5, v38, v4
	s_delay_alu instid0(VALU_DEP_1) | instskip(SKIP_3) | instid1(VALU_DEP_1)
	v_dual_add_f32 v35, v2, v35 :: v_dual_add_f32 v36, v3, v5
	ds_load_2addr_b64 v[2:5], v9 offset0:64 offset1:96
	s_waitcnt lgkmcnt(0)
	v_mul_f32_e32 v37, v3, v24
	v_fma_f32 v37, v2, v23, -v37
	v_mul_f32_e32 v2, v2, v24
	s_delay_alu instid0(VALU_DEP_1) | instskip(NEXT) | instid1(VALU_DEP_1)
	v_dual_fmac_f32 v2, v3, v23 :: v_dual_mul_f32 v23, v5, v26
	v_add_f32_e32 v2, v36, v2
	s_delay_alu instid0(VALU_DEP_2) | instskip(SKIP_1) | instid1(VALU_DEP_1)
	v_fma_f32 v23, v4, v25, -v23
	v_mul_f32_e32 v4, v4, v26
	v_fmac_f32_e32 v4, v5, v25
	s_delay_alu instid0(VALU_DEP_1) | instskip(NEXT) | instid1(VALU_DEP_1)
	v_dual_add_f32 v3, v35, v37 :: v_dual_add_f32 v24, v2, v4
	v_add_f32_e32 v23, v3, v23
	ds_load_2addr_b64 v[2:5], v9 offset0:128 offset1:160
	s_waitcnt lgkmcnt(0)
	v_mul_f32_e32 v25, v3, v28
	s_delay_alu instid0(VALU_DEP_1) | instskip(SKIP_1) | instid1(VALU_DEP_1)
	v_fma_f32 v25, v2, v27, -v25
	v_mul_f32_e32 v2, v2, v28
	v_fmac_f32_e32 v2, v3, v27
	s_delay_alu instid0(VALU_DEP_1) | instskip(SKIP_1) | instid1(VALU_DEP_1)
	v_dual_add_f32 v2, v24, v2 :: v_dual_add_f32 v3, v23, v25
	v_mul_f32_e32 v23, v5, v30
	v_fma_f32 v23, v4, v29, -v23
	v_mul_f32_e32 v4, v4, v30
	s_delay_alu instid0(VALU_DEP_1) | instskip(NEXT) | instid1(VALU_DEP_1)
	v_fmac_f32_e32 v4, v5, v29
	v_dual_add_f32 v24, v2, v4 :: v_dual_add_f32 v23, v3, v23
	ds_load_2addr_b64 v[2:5], v9 offset0:192 offset1:224
	s_waitcnt lgkmcnt(0)
	v_mul_f32_e32 v25, v3, v32
	s_delay_alu instid0(VALU_DEP_1) | instskip(SKIP_1) | instid1(VALU_DEP_1)
	v_fma_f32 v25, v2, v31, -v25
	v_mul_f32_e32 v2, v2, v32
	v_fmac_f32_e32 v2, v3, v31
	s_delay_alu instid0(VALU_DEP_1) | instskip(SKIP_1) | instid1(VALU_DEP_1)
	v_dual_add_f32 v2, v24, v2 :: v_dual_add_f32 v3, v23, v25
	v_mul_f32_e32 v23, v5, v34
	v_fma_f32 v23, v4, v33, -v23
	v_mul_f32_e32 v4, v4, v34
	s_delay_alu instid0(VALU_DEP_1) | instskip(NEXT) | instid1(VALU_DEP_1)
	v_fmac_f32_e32 v4, v5, v33
	v_dual_add_f32 v28, v2, v4 :: v_dual_add_f32 v27, v3, v23
	ds_load_b128 v[2:5], v8 offset:64
	ds_load_2addr_b64 v[23:26], v20 offset1:32
	s_waitcnt lgkmcnt(0)
	v_mul_f32_e32 v29, v24, v3
	v_mul_f32_e32 v3, v23, v3
	s_delay_alu instid0(VALU_DEP_2) | instskip(SKIP_1) | instid1(VALU_DEP_3)
	v_fma_f32 v29, v23, v2, -v29
	v_mul_f32_e32 v23, v26, v5
	v_fmac_f32_e32 v3, v24, v2
	v_mul_f32_e32 v5, v25, v5
	s_delay_alu instid0(VALU_DEP_4) | instskip(NEXT) | instid1(VALU_DEP_4)
	v_add_f32_e32 v2, v27, v29
	v_fma_f32 v23, v25, v4, -v23
	s_delay_alu instid0(VALU_DEP_3) | instskip(NEXT) | instid1(VALU_DEP_2)
	v_fmac_f32_e32 v5, v26, v4
	v_add_f32_e32 v27, v2, v23
	v_add_f32_e32 v3, v28, v3
	s_delay_alu instid0(VALU_DEP_1)
	v_add_f32_e32 v28, v3, v5
	ds_load_b128 v[2:5], v8 offset:80
	ds_load_2addr_b64 v[23:26], v20 offset0:64 offset1:96
	s_waitcnt lgkmcnt(0)
	v_mul_f32_e32 v29, v24, v3
	v_mul_f32_e32 v3, v23, v3
	s_delay_alu instid0(VALU_DEP_2) | instskip(NEXT) | instid1(VALU_DEP_2)
	v_fma_f32 v29, v23, v2, -v29
	v_fmac_f32_e32 v3, v24, v2
	v_mul_f32_e32 v23, v26, v5
	v_mul_f32_e32 v5, v25, v5
	s_delay_alu instid0(VALU_DEP_3) | instskip(NEXT) | instid1(VALU_DEP_3)
	v_add_f32_e32 v3, v28, v3
	v_fma_f32 v23, v25, v4, -v23
	s_delay_alu instid0(VALU_DEP_3) | instskip(NEXT) | instid1(VALU_DEP_1)
	v_fmac_f32_e32 v5, v26, v4
	v_add_f32_e32 v28, v3, v5
	v_add_f32_e32 v2, v27, v29
	s_delay_alu instid0(VALU_DEP_1)
	v_add_f32_e32 v27, v2, v23
	ds_load_b128 v[2:5], v8 offset:96
	ds_load_2addr_b64 v[23:26], v20 offset0:128 offset1:160
	s_waitcnt lgkmcnt(0)
	v_mul_f32_e32 v29, v24, v3
	v_mul_f32_e32 v3, v23, v3
	s_delay_alu instid0(VALU_DEP_2) | instskip(NEXT) | instid1(VALU_DEP_2)
	v_fma_f32 v29, v23, v2, -v29
	v_fmac_f32_e32 v3, v24, v2
	v_mul_f32_e32 v23, v26, v5
	v_mul_f32_e32 v5, v25, v5
	s_delay_alu instid0(VALU_DEP_3) | instskip(NEXT) | instid1(VALU_DEP_3)
	v_dual_add_f32 v2, v27, v29 :: v_dual_add_f32 v3, v28, v3
	v_fma_f32 v23, v25, v4, -v23
	s_delay_alu instid0(VALU_DEP_3) | instskip(NEXT) | instid1(VALU_DEP_1)
	v_fmac_f32_e32 v5, v26, v4
	v_dual_add_f32 v27, v2, v23 :: v_dual_add_f32 v28, v3, v5
	ds_load_b128 v[2:5], v8 offset:112
	ds_load_2addr_b64 v[23:26], v20 offset0:192 offset1:224
	s_waitcnt lgkmcnt(0)
	v_mul_f32_e32 v29, v24, v3
	v_mul_f32_e32 v3, v23, v3
	s_delay_alu instid0(VALU_DEP_2) | instskip(NEXT) | instid1(VALU_DEP_2)
	v_fma_f32 v29, v23, v2, -v29
	v_fmac_f32_e32 v3, v24, v2
	v_mul_f32_e32 v23, v26, v5
	v_mul_f32_e32 v5, v25, v5
	s_delay_alu instid0(VALU_DEP_3) | instskip(NEXT) | instid1(VALU_DEP_3)
	v_dual_add_f32 v2, v27, v29 :: v_dual_add_f32 v3, v28, v3
	v_fma_f32 v23, v25, v4, -v23
	s_delay_alu instid0(VALU_DEP_3) | instskip(NEXT) | instid1(VALU_DEP_1)
	v_fmac_f32_e32 v5, v26, v4
	v_dual_add_f32 v27, v2, v23 :: v_dual_add_f32 v28, v3, v5
	ds_load_b128 v[2:5], v8 offset:128
	ds_load_2addr_b64 v[23:26], v21 offset1:32
	s_waitcnt lgkmcnt(0)
	v_mul_f32_e32 v29, v24, v3
	v_mul_f32_e32 v3, v23, v3
	s_delay_alu instid0(VALU_DEP_2) | instskip(NEXT) | instid1(VALU_DEP_2)
	v_fma_f32 v29, v23, v2, -v29
	v_fmac_f32_e32 v3, v24, v2
	v_mul_f32_e32 v23, v26, v5
	v_mul_f32_e32 v5, v25, v5
	s_delay_alu instid0(VALU_DEP_3) | instskip(NEXT) | instid1(VALU_DEP_3)
	v_dual_add_f32 v2, v27, v29 :: v_dual_add_f32 v3, v28, v3
	v_fma_f32 v23, v25, v4, -v23
	s_delay_alu instid0(VALU_DEP_3) | instskip(NEXT) | instid1(VALU_DEP_1)
	v_fmac_f32_e32 v5, v26, v4
	v_dual_add_f32 v27, v2, v23 :: v_dual_add_f32 v28, v3, v5
	ds_load_b128 v[2:5], v8 offset:144
	ds_load_2addr_b64 v[23:26], v21 offset0:64 offset1:96
	s_waitcnt lgkmcnt(0)
	v_mul_f32_e32 v29, v24, v3
	v_mul_f32_e32 v3, v23, v3
	s_delay_alu instid0(VALU_DEP_2) | instskip(NEXT) | instid1(VALU_DEP_2)
	v_fma_f32 v29, v23, v2, -v29
	v_fmac_f32_e32 v3, v24, v2
	v_mul_f32_e32 v23, v26, v5
	v_mul_f32_e32 v5, v25, v5
	s_delay_alu instid0(VALU_DEP_3) | instskip(NEXT) | instid1(VALU_DEP_3)
	v_dual_add_f32 v2, v27, v29 :: v_dual_add_f32 v3, v28, v3
	v_fma_f32 v23, v25, v4, -v23
	s_delay_alu instid0(VALU_DEP_3) | instskip(NEXT) | instid1(VALU_DEP_1)
	v_fmac_f32_e32 v5, v26, v4
	v_dual_add_f32 v27, v2, v23 :: v_dual_add_f32 v28, v3, v5
	ds_load_b128 v[2:5], v8 offset:160
	ds_load_2addr_b64 v[23:26], v21 offset0:128 offset1:160
	;; [unrolled: 16-line block ×3, first 2 shown]
	s_waitcnt lgkmcnt(0)
	v_mul_f32_e32 v29, v24, v3
	v_mul_f32_e32 v3, v23, v3
	s_delay_alu instid0(VALU_DEP_2) | instskip(NEXT) | instid1(VALU_DEP_2)
	v_fma_f32 v29, v23, v2, -v29
	v_fmac_f32_e32 v3, v24, v2
	v_mul_f32_e32 v23, v26, v5
	v_mul_f32_e32 v5, v25, v5
	s_delay_alu instid0(VALU_DEP_3) | instskip(NEXT) | instid1(VALU_DEP_3)
	v_dual_add_f32 v2, v27, v29 :: v_dual_add_f32 v3, v28, v3
	v_fma_f32 v23, v25, v4, -v23
	s_delay_alu instid0(VALU_DEP_3) | instskip(NEXT) | instid1(VALU_DEP_1)
	v_fmac_f32_e32 v5, v26, v4
	v_dual_add_f32 v27, v2, v23 :: v_dual_add_f32 v28, v3, v5
	ds_load_b128 v[2:5], v8 offset:192
	ds_load_2addr_b64 v[23:26], v22 offset1:32
	s_waitcnt lgkmcnt(0)
	v_mul_f32_e32 v29, v24, v3
	v_mul_f32_e32 v3, v23, v3
	s_delay_alu instid0(VALU_DEP_2) | instskip(NEXT) | instid1(VALU_DEP_2)
	v_fma_f32 v29, v23, v2, -v29
	v_fmac_f32_e32 v3, v24, v2
	v_mul_f32_e32 v23, v26, v5
	v_mul_f32_e32 v5, v25, v5
	s_delay_alu instid0(VALU_DEP_3) | instskip(NEXT) | instid1(VALU_DEP_3)
	v_dual_add_f32 v2, v27, v29 :: v_dual_add_f32 v3, v28, v3
	v_fma_f32 v23, v25, v4, -v23
	s_delay_alu instid0(VALU_DEP_3) | instskip(NEXT) | instid1(VALU_DEP_1)
	v_fmac_f32_e32 v5, v26, v4
	v_dual_add_f32 v27, v2, v23 :: v_dual_add_f32 v28, v3, v5
	ds_load_b128 v[2:5], v8 offset:208
	ds_load_2addr_b64 v[23:26], v22 offset0:64 offset1:96
	s_waitcnt lgkmcnt(0)
	v_mul_f32_e32 v29, v24, v3
	v_mul_f32_e32 v3, v23, v3
	s_delay_alu instid0(VALU_DEP_2) | instskip(NEXT) | instid1(VALU_DEP_2)
	v_fma_f32 v29, v23, v2, -v29
	v_fmac_f32_e32 v3, v24, v2
	v_mul_f32_e32 v23, v26, v5
	v_mul_f32_e32 v5, v25, v5
	s_delay_alu instid0(VALU_DEP_3) | instskip(NEXT) | instid1(VALU_DEP_3)
	v_dual_add_f32 v2, v27, v29 :: v_dual_add_f32 v3, v28, v3
	v_fma_f32 v23, v25, v4, -v23
	s_delay_alu instid0(VALU_DEP_3) | instskip(NEXT) | instid1(VALU_DEP_1)
	v_fmac_f32_e32 v5, v26, v4
	v_dual_add_f32 v27, v2, v23 :: v_dual_add_f32 v28, v3, v5
	ds_load_b128 v[2:5], v8 offset:224
	ds_load_2addr_b64 v[23:26], v22 offset0:128 offset1:160
	;; [unrolled: 16-line block ×3, first 2 shown]
	s_waitcnt lgkmcnt(0)
	v_mul_f32_e32 v29, v24, v3
	v_mul_f32_e32 v3, v23, v3
	s_delay_alu instid0(VALU_DEP_2) | instskip(NEXT) | instid1(VALU_DEP_2)
	v_fma_f32 v29, v23, v2, -v29
	v_fmac_f32_e32 v3, v24, v2
	v_mul_f32_e32 v23, v26, v5
	v_mul_f32_e32 v5, v25, v5
	s_delay_alu instid0(VALU_DEP_3) | instskip(NEXT) | instid1(VALU_DEP_3)
	v_dual_add_f32 v2, v27, v29 :: v_dual_add_f32 v3, v28, v3
	v_fma_f32 v23, v25, v4, -v23
	s_delay_alu instid0(VALU_DEP_3) | instskip(NEXT) | instid1(VALU_DEP_1)
	v_fmac_f32_e32 v5, v26, v4
	v_dual_add_f32 v4, v2, v23 :: v_dual_add_f32 v3, v3, v5
	s_delay_alu instid0(VALU_DEP_1) | instskip(SKIP_1) | instid1(VALU_DEP_2)
	v_mul_f32_e32 v2, s9, v3
	v_mul_f32_e32 v3, s8, v3
	v_fma_f32 v2, s8, v4, -v2
	s_delay_alu instid0(VALU_DEP_2)
	v_fmac_f32_e32 v3, s9, v4
	global_load_b64 v[4:5], v[0:1], off
	s_waitcnt vmcnt(0)
	v_dual_add_f32 v2, v4, v2 :: v_dual_add_f32 v3, v5, v3
	global_store_b64 v[0:1], v[2:3], off
.LBB1858_11:                            ;   in Loop: Header=BB1858_5 Depth=1
	s_or_b32 exec_lo, exec_lo, s19
	v_dual_mov_b32 v3, 0 :: v_dual_mov_b32 v4, 0
	v_mov_b32_e32 v5, 0
	s_waitcnt_vscnt null, 0x0
	s_barrier
	buffer_gl0_inv
	s_and_saveexec_b32 s19, s15
	s_cbranch_execz .LBB1858_13
; %bb.12:                               ;   in Loop: Header=BB1858_5 Depth=1
	v_add_co_u32 v4, vcc_lo, s10, v14
	v_add_co_ci_u32_e32 v5, vcc_lo, s11, v15, vcc_lo
	global_load_b64 v[4:5], v[4:5], off
.LBB1858_13:                            ;   in Loop: Header=BB1858_5 Depth=1
	s_or_b32 exec_lo, exec_lo, s19
	v_mov_b32_e32 v2, 0
	s_waitcnt vmcnt(0)
	ds_store_b64 v10, v[4:5]
	s_and_saveexec_b32 s15, s18
	s_cbranch_execz .LBB1858_15
; %bb.14:                               ;   in Loop: Header=BB1858_5 Depth=1
	v_add_co_u32 v2, vcc_lo, s13, v16
	v_add_co_ci_u32_e32 v3, vcc_lo, s14, v17, vcc_lo
	global_load_b64 v[2:3], v[2:3], off offset:-4
.LBB1858_15:                            ;   in Loop: Header=BB1858_5 Depth=1
	s_or_b32 exec_lo, exec_lo, s15
	s_waitcnt vmcnt(0)
	ds_store_b64 v11, v[2:3]
	s_waitcnt lgkmcnt(0)
	s_barrier
	buffer_gl0_inv
	s_and_saveexec_b32 s15, s12
	s_cbranch_execz .LBB1858_4
; %bb.16:                               ;   in Loop: Header=BB1858_5 Depth=1
	ds_load_b128 v[2:5], v8
	ds_load_b128 v[23:26], v8 offset:16
	ds_load_b128 v[27:30], v8 offset:32
	;; [unrolled: 1-line block ×3, first 2 shown]
	ds_load_2addr_b64 v[35:38], v9 offset1:32
	s_waitcnt lgkmcnt(0)
	v_mul_f32_e32 v39, v36, v3
	v_mul_f32_e32 v3, v35, v3
	s_delay_alu instid0(VALU_DEP_2) | instskip(NEXT) | instid1(VALU_DEP_2)
	v_fma_f32 v39, v35, v2, -v39
	v_fmac_f32_e32 v3, v36, v2
	v_mul_f32_e32 v35, v38, v5
	s_delay_alu instid0(VALU_DEP_3) | instskip(NEXT) | instid1(VALU_DEP_3)
	v_dual_mul_f32 v5, v37, v5 :: v_dual_add_f32 v2, 0, v39
	v_add_f32_e32 v3, 0, v3
	s_delay_alu instid0(VALU_DEP_3) | instskip(NEXT) | instid1(VALU_DEP_3)
	v_fma_f32 v35, v37, v4, -v35
	v_fmac_f32_e32 v5, v38, v4
	s_delay_alu instid0(VALU_DEP_1) | instskip(SKIP_3) | instid1(VALU_DEP_1)
	v_dual_add_f32 v35, v2, v35 :: v_dual_add_f32 v36, v3, v5
	ds_load_2addr_b64 v[2:5], v9 offset0:64 offset1:96
	s_waitcnt lgkmcnt(0)
	v_mul_f32_e32 v37, v3, v24
	v_fma_f32 v37, v2, v23, -v37
	v_mul_f32_e32 v2, v2, v24
	s_delay_alu instid0(VALU_DEP_1) | instskip(NEXT) | instid1(VALU_DEP_1)
	v_dual_fmac_f32 v2, v3, v23 :: v_dual_mul_f32 v23, v5, v26
	v_add_f32_e32 v2, v36, v2
	s_delay_alu instid0(VALU_DEP_2) | instskip(SKIP_1) | instid1(VALU_DEP_1)
	v_fma_f32 v23, v4, v25, -v23
	v_mul_f32_e32 v4, v4, v26
	v_fmac_f32_e32 v4, v5, v25
	s_delay_alu instid0(VALU_DEP_1) | instskip(NEXT) | instid1(VALU_DEP_1)
	v_dual_add_f32 v3, v35, v37 :: v_dual_add_f32 v24, v2, v4
	v_add_f32_e32 v23, v3, v23
	ds_load_2addr_b64 v[2:5], v9 offset0:128 offset1:160
	s_waitcnt lgkmcnt(0)
	v_mul_f32_e32 v25, v3, v28
	s_delay_alu instid0(VALU_DEP_1) | instskip(SKIP_1) | instid1(VALU_DEP_1)
	v_fma_f32 v25, v2, v27, -v25
	v_mul_f32_e32 v2, v2, v28
	v_fmac_f32_e32 v2, v3, v27
	s_delay_alu instid0(VALU_DEP_1) | instskip(SKIP_1) | instid1(VALU_DEP_1)
	v_dual_add_f32 v2, v24, v2 :: v_dual_add_f32 v3, v23, v25
	v_mul_f32_e32 v23, v5, v30
	v_fma_f32 v23, v4, v29, -v23
	v_mul_f32_e32 v4, v4, v30
	s_delay_alu instid0(VALU_DEP_1) | instskip(NEXT) | instid1(VALU_DEP_1)
	v_fmac_f32_e32 v4, v5, v29
	v_dual_add_f32 v24, v2, v4 :: v_dual_add_f32 v23, v3, v23
	ds_load_2addr_b64 v[2:5], v9 offset0:192 offset1:224
	s_waitcnt lgkmcnt(0)
	v_mul_f32_e32 v25, v3, v32
	s_delay_alu instid0(VALU_DEP_1) | instskip(SKIP_1) | instid1(VALU_DEP_1)
	v_fma_f32 v25, v2, v31, -v25
	v_mul_f32_e32 v2, v2, v32
	v_fmac_f32_e32 v2, v3, v31
	s_delay_alu instid0(VALU_DEP_1) | instskip(SKIP_1) | instid1(VALU_DEP_1)
	v_dual_add_f32 v2, v24, v2 :: v_dual_add_f32 v3, v23, v25
	v_mul_f32_e32 v23, v5, v34
	v_fma_f32 v23, v4, v33, -v23
	v_mul_f32_e32 v4, v4, v34
	s_delay_alu instid0(VALU_DEP_1) | instskip(NEXT) | instid1(VALU_DEP_1)
	v_fmac_f32_e32 v4, v5, v33
	v_dual_add_f32 v28, v2, v4 :: v_dual_add_f32 v27, v3, v23
	ds_load_b128 v[2:5], v8 offset:64
	ds_load_2addr_b64 v[23:26], v20 offset1:32
	s_waitcnt lgkmcnt(0)
	v_mul_f32_e32 v29, v24, v3
	v_mul_f32_e32 v3, v23, v3
	s_delay_alu instid0(VALU_DEP_2) | instskip(SKIP_1) | instid1(VALU_DEP_3)
	v_fma_f32 v29, v23, v2, -v29
	v_mul_f32_e32 v23, v26, v5
	v_fmac_f32_e32 v3, v24, v2
	v_mul_f32_e32 v5, v25, v5
	s_delay_alu instid0(VALU_DEP_4) | instskip(NEXT) | instid1(VALU_DEP_4)
	v_add_f32_e32 v2, v27, v29
	v_fma_f32 v23, v25, v4, -v23
	s_delay_alu instid0(VALU_DEP_3) | instskip(NEXT) | instid1(VALU_DEP_2)
	v_fmac_f32_e32 v5, v26, v4
	v_add_f32_e32 v27, v2, v23
	v_add_f32_e32 v3, v28, v3
	s_delay_alu instid0(VALU_DEP_1)
	v_add_f32_e32 v28, v3, v5
	ds_load_b128 v[2:5], v8 offset:80
	ds_load_2addr_b64 v[23:26], v20 offset0:64 offset1:96
	s_waitcnt lgkmcnt(0)
	v_mul_f32_e32 v29, v24, v3
	v_mul_f32_e32 v3, v23, v3
	s_delay_alu instid0(VALU_DEP_2) | instskip(NEXT) | instid1(VALU_DEP_2)
	v_fma_f32 v29, v23, v2, -v29
	v_fmac_f32_e32 v3, v24, v2
	v_mul_f32_e32 v23, v26, v5
	v_mul_f32_e32 v5, v25, v5
	s_delay_alu instid0(VALU_DEP_3) | instskip(NEXT) | instid1(VALU_DEP_3)
	v_add_f32_e32 v3, v28, v3
	v_fma_f32 v23, v25, v4, -v23
	s_delay_alu instid0(VALU_DEP_3) | instskip(NEXT) | instid1(VALU_DEP_1)
	v_fmac_f32_e32 v5, v26, v4
	v_add_f32_e32 v28, v3, v5
	v_add_f32_e32 v2, v27, v29
	s_delay_alu instid0(VALU_DEP_1)
	v_add_f32_e32 v27, v2, v23
	ds_load_b128 v[2:5], v8 offset:96
	ds_load_2addr_b64 v[23:26], v20 offset0:128 offset1:160
	s_waitcnt lgkmcnt(0)
	v_mul_f32_e32 v29, v24, v3
	v_mul_f32_e32 v3, v23, v3
	s_delay_alu instid0(VALU_DEP_2) | instskip(NEXT) | instid1(VALU_DEP_2)
	v_fma_f32 v29, v23, v2, -v29
	v_fmac_f32_e32 v3, v24, v2
	v_mul_f32_e32 v23, v26, v5
	v_mul_f32_e32 v5, v25, v5
	s_delay_alu instid0(VALU_DEP_3) | instskip(NEXT) | instid1(VALU_DEP_3)
	v_dual_add_f32 v2, v27, v29 :: v_dual_add_f32 v3, v28, v3
	v_fma_f32 v23, v25, v4, -v23
	s_delay_alu instid0(VALU_DEP_3) | instskip(NEXT) | instid1(VALU_DEP_1)
	v_fmac_f32_e32 v5, v26, v4
	v_dual_add_f32 v27, v2, v23 :: v_dual_add_f32 v28, v3, v5
	ds_load_b128 v[2:5], v8 offset:112
	ds_load_2addr_b64 v[23:26], v20 offset0:192 offset1:224
	s_waitcnt lgkmcnt(0)
	v_mul_f32_e32 v29, v24, v3
	v_mul_f32_e32 v3, v23, v3
	s_delay_alu instid0(VALU_DEP_2) | instskip(NEXT) | instid1(VALU_DEP_2)
	v_fma_f32 v29, v23, v2, -v29
	v_fmac_f32_e32 v3, v24, v2
	v_mul_f32_e32 v23, v26, v5
	v_mul_f32_e32 v5, v25, v5
	s_delay_alu instid0(VALU_DEP_3) | instskip(NEXT) | instid1(VALU_DEP_3)
	v_dual_add_f32 v2, v27, v29 :: v_dual_add_f32 v3, v28, v3
	v_fma_f32 v23, v25, v4, -v23
	s_delay_alu instid0(VALU_DEP_3) | instskip(NEXT) | instid1(VALU_DEP_1)
	v_fmac_f32_e32 v5, v26, v4
	v_dual_add_f32 v27, v2, v23 :: v_dual_add_f32 v28, v3, v5
	ds_load_b128 v[2:5], v8 offset:128
	ds_load_2addr_b64 v[23:26], v21 offset1:32
	s_waitcnt lgkmcnt(0)
	v_mul_f32_e32 v29, v24, v3
	v_mul_f32_e32 v3, v23, v3
	s_delay_alu instid0(VALU_DEP_2) | instskip(NEXT) | instid1(VALU_DEP_2)
	v_fma_f32 v29, v23, v2, -v29
	v_fmac_f32_e32 v3, v24, v2
	v_mul_f32_e32 v23, v26, v5
	v_mul_f32_e32 v5, v25, v5
	s_delay_alu instid0(VALU_DEP_3) | instskip(NEXT) | instid1(VALU_DEP_3)
	v_dual_add_f32 v2, v27, v29 :: v_dual_add_f32 v3, v28, v3
	v_fma_f32 v23, v25, v4, -v23
	s_delay_alu instid0(VALU_DEP_3) | instskip(NEXT) | instid1(VALU_DEP_1)
	v_fmac_f32_e32 v5, v26, v4
	v_dual_add_f32 v27, v2, v23 :: v_dual_add_f32 v28, v3, v5
	ds_load_b128 v[2:5], v8 offset:144
	ds_load_2addr_b64 v[23:26], v21 offset0:64 offset1:96
	s_waitcnt lgkmcnt(0)
	v_mul_f32_e32 v29, v24, v3
	v_mul_f32_e32 v3, v23, v3
	s_delay_alu instid0(VALU_DEP_2) | instskip(NEXT) | instid1(VALU_DEP_2)
	v_fma_f32 v29, v23, v2, -v29
	v_fmac_f32_e32 v3, v24, v2
	v_mul_f32_e32 v23, v26, v5
	v_mul_f32_e32 v5, v25, v5
	s_delay_alu instid0(VALU_DEP_3) | instskip(NEXT) | instid1(VALU_DEP_3)
	v_dual_add_f32 v2, v27, v29 :: v_dual_add_f32 v3, v28, v3
	v_fma_f32 v23, v25, v4, -v23
	s_delay_alu instid0(VALU_DEP_3) | instskip(NEXT) | instid1(VALU_DEP_1)
	v_fmac_f32_e32 v5, v26, v4
	v_dual_add_f32 v27, v2, v23 :: v_dual_add_f32 v28, v3, v5
	ds_load_b128 v[2:5], v8 offset:160
	ds_load_2addr_b64 v[23:26], v21 offset0:128 offset1:160
	;; [unrolled: 16-line block ×3, first 2 shown]
	s_waitcnt lgkmcnt(0)
	v_mul_f32_e32 v29, v24, v3
	v_mul_f32_e32 v3, v23, v3
	s_delay_alu instid0(VALU_DEP_2) | instskip(NEXT) | instid1(VALU_DEP_2)
	v_fma_f32 v29, v23, v2, -v29
	v_fmac_f32_e32 v3, v24, v2
	v_mul_f32_e32 v23, v26, v5
	v_mul_f32_e32 v5, v25, v5
	s_delay_alu instid0(VALU_DEP_3) | instskip(NEXT) | instid1(VALU_DEP_3)
	v_dual_add_f32 v2, v27, v29 :: v_dual_add_f32 v3, v28, v3
	v_fma_f32 v23, v25, v4, -v23
	s_delay_alu instid0(VALU_DEP_3) | instskip(NEXT) | instid1(VALU_DEP_1)
	v_fmac_f32_e32 v5, v26, v4
	v_dual_add_f32 v27, v2, v23 :: v_dual_add_f32 v28, v3, v5
	ds_load_b128 v[2:5], v8 offset:192
	ds_load_2addr_b64 v[23:26], v22 offset1:32
	s_waitcnt lgkmcnt(0)
	v_mul_f32_e32 v29, v24, v3
	v_mul_f32_e32 v3, v23, v3
	s_delay_alu instid0(VALU_DEP_2) | instskip(NEXT) | instid1(VALU_DEP_2)
	v_fma_f32 v29, v23, v2, -v29
	v_fmac_f32_e32 v3, v24, v2
	v_mul_f32_e32 v23, v26, v5
	v_mul_f32_e32 v5, v25, v5
	s_delay_alu instid0(VALU_DEP_3) | instskip(NEXT) | instid1(VALU_DEP_3)
	v_dual_add_f32 v2, v27, v29 :: v_dual_add_f32 v3, v28, v3
	v_fma_f32 v23, v25, v4, -v23
	s_delay_alu instid0(VALU_DEP_3) | instskip(NEXT) | instid1(VALU_DEP_1)
	v_fmac_f32_e32 v5, v26, v4
	v_dual_add_f32 v27, v2, v23 :: v_dual_add_f32 v28, v3, v5
	ds_load_b128 v[2:5], v8 offset:208
	ds_load_2addr_b64 v[23:26], v22 offset0:64 offset1:96
	s_waitcnt lgkmcnt(0)
	v_mul_f32_e32 v29, v24, v3
	v_mul_f32_e32 v3, v23, v3
	s_delay_alu instid0(VALU_DEP_2) | instskip(NEXT) | instid1(VALU_DEP_2)
	v_fma_f32 v29, v23, v2, -v29
	v_fmac_f32_e32 v3, v24, v2
	v_mul_f32_e32 v23, v26, v5
	v_mul_f32_e32 v5, v25, v5
	s_delay_alu instid0(VALU_DEP_3) | instskip(NEXT) | instid1(VALU_DEP_3)
	v_dual_add_f32 v2, v27, v29 :: v_dual_add_f32 v3, v28, v3
	v_fma_f32 v23, v25, v4, -v23
	s_delay_alu instid0(VALU_DEP_3) | instskip(NEXT) | instid1(VALU_DEP_1)
	v_fmac_f32_e32 v5, v26, v4
	v_dual_add_f32 v27, v2, v23 :: v_dual_add_f32 v28, v3, v5
	ds_load_b128 v[2:5], v8 offset:224
	ds_load_2addr_b64 v[23:26], v22 offset0:128 offset1:160
	;; [unrolled: 16-line block ×3, first 2 shown]
	s_waitcnt lgkmcnt(0)
	v_mul_f32_e32 v29, v24, v3
	v_mul_f32_e32 v3, v23, v3
	s_delay_alu instid0(VALU_DEP_2) | instskip(NEXT) | instid1(VALU_DEP_2)
	v_fma_f32 v29, v23, v2, -v29
	v_fmac_f32_e32 v3, v24, v2
	v_mul_f32_e32 v23, v26, v5
	v_mul_f32_e32 v5, v25, v5
	s_delay_alu instid0(VALU_DEP_3) | instskip(NEXT) | instid1(VALU_DEP_3)
	v_dual_add_f32 v2, v27, v29 :: v_dual_add_f32 v3, v28, v3
	v_fma_f32 v23, v25, v4, -v23
	s_delay_alu instid0(VALU_DEP_3) | instskip(NEXT) | instid1(VALU_DEP_1)
	v_fmac_f32_e32 v5, v26, v4
	v_dual_add_f32 v4, v2, v23 :: v_dual_add_f32 v5, v3, v5
	s_delay_alu instid0(VALU_DEP_1) | instskip(NEXT) | instid1(VALU_DEP_1)
	v_dual_mul_f32 v3, s9, v4 :: v_dual_mul_f32 v2, s9, v5
	v_fmac_f32_e32 v3, s8, v5
	s_delay_alu instid0(VALU_DEP_2)
	v_fma_f32 v2, s8, v4, -v2
	global_load_b64 v[4:5], v[0:1], off
	s_waitcnt vmcnt(0)
	v_dual_add_f32 v2, v4, v2 :: v_dual_add_f32 v3, v5, v3
	global_store_b64 v[0:1], v[2:3], off
	s_branch .LBB1858_4
.LBB1858_17:
	s_endpgm
	.section	.rodata,"a",@progbits
	.p2align	6, 0x0
	.amdhsa_kernel _ZL26rocblas_syr2k_her2k_kernelIlLb1ELb0ELb0ELi32EPK19rocblas_complex_numIfES3_PS1_EvbiT_T4_T5_S5_lS7_S5_lT6_S5_li
		.amdhsa_group_segment_fixed_size 16384
		.amdhsa_private_segment_fixed_size 0
		.amdhsa_kernarg_size 100
		.amdhsa_user_sgpr_count 13
		.amdhsa_user_sgpr_dispatch_ptr 0
		.amdhsa_user_sgpr_queue_ptr 0
		.amdhsa_user_sgpr_kernarg_segment_ptr 1
		.amdhsa_user_sgpr_dispatch_id 0
		.amdhsa_user_sgpr_private_segment_size 0
		.amdhsa_wavefront_size32 1
		.amdhsa_uses_dynamic_stack 0
		.amdhsa_enable_private_segment 0
		.amdhsa_system_sgpr_workgroup_id_x 1
		.amdhsa_system_sgpr_workgroup_id_y 1
		.amdhsa_system_sgpr_workgroup_id_z 1
		.amdhsa_system_sgpr_workgroup_info 0
		.amdhsa_system_vgpr_workitem_id 1
		.amdhsa_next_free_vgpr 40
		.amdhsa_next_free_sgpr 32
		.amdhsa_reserve_vcc 1
		.amdhsa_float_round_mode_32 0
		.amdhsa_float_round_mode_16_64 0
		.amdhsa_float_denorm_mode_32 3
		.amdhsa_float_denorm_mode_16_64 3
		.amdhsa_dx10_clamp 1
		.amdhsa_ieee_mode 1
		.amdhsa_fp16_overflow 0
		.amdhsa_workgroup_processor_mode 1
		.amdhsa_memory_ordered 1
		.amdhsa_forward_progress 0
		.amdhsa_shared_vgpr_count 0
		.amdhsa_exception_fp_ieee_invalid_op 0
		.amdhsa_exception_fp_denorm_src 0
		.amdhsa_exception_fp_ieee_div_zero 0
		.amdhsa_exception_fp_ieee_overflow 0
		.amdhsa_exception_fp_ieee_underflow 0
		.amdhsa_exception_fp_ieee_inexact 0
		.amdhsa_exception_int_div_zero 0
	.end_amdhsa_kernel
	.section	.text._ZL26rocblas_syr2k_her2k_kernelIlLb1ELb0ELb0ELi32EPK19rocblas_complex_numIfES3_PS1_EvbiT_T4_T5_S5_lS7_S5_lT6_S5_li,"axG",@progbits,_ZL26rocblas_syr2k_her2k_kernelIlLb1ELb0ELb0ELi32EPK19rocblas_complex_numIfES3_PS1_EvbiT_T4_T5_S5_lS7_S5_lT6_S5_li,comdat
.Lfunc_end1858:
	.size	_ZL26rocblas_syr2k_her2k_kernelIlLb1ELb0ELb0ELi32EPK19rocblas_complex_numIfES3_PS1_EvbiT_T4_T5_S5_lS7_S5_lT6_S5_li, .Lfunc_end1858-_ZL26rocblas_syr2k_her2k_kernelIlLb1ELb0ELb0ELi32EPK19rocblas_complex_numIfES3_PS1_EvbiT_T4_T5_S5_lS7_S5_lT6_S5_li
                                        ; -- End function
	.section	.AMDGPU.csdata,"",@progbits
; Kernel info:
; codeLenInByte = 4068
; NumSgprs: 34
; NumVgprs: 40
; ScratchSize: 0
; MemoryBound: 0
; FloatMode: 240
; IeeeMode: 1
; LDSByteSize: 16384 bytes/workgroup (compile time only)
; SGPRBlocks: 4
; VGPRBlocks: 4
; NumSGPRsForWavesPerEU: 34
; NumVGPRsForWavesPerEU: 40
; Occupancy: 16
; WaveLimiterHint : 0
; COMPUTE_PGM_RSRC2:SCRATCH_EN: 0
; COMPUTE_PGM_RSRC2:USER_SGPR: 13
; COMPUTE_PGM_RSRC2:TRAP_HANDLER: 0
; COMPUTE_PGM_RSRC2:TGID_X_EN: 1
; COMPUTE_PGM_RSRC2:TGID_Y_EN: 1
; COMPUTE_PGM_RSRC2:TGID_Z_EN: 1
; COMPUTE_PGM_RSRC2:TIDIG_COMP_CNT: 1
	.section	.text._ZL26rocblas_syr2k_her2k_kernelIlLb1ELb0ELb1ELi32EPK19rocblas_complex_numIfES3_PS1_EvbiT_T4_T5_S5_lS7_S5_lT6_S5_li,"axG",@progbits,_ZL26rocblas_syr2k_her2k_kernelIlLb1ELb0ELb1ELi32EPK19rocblas_complex_numIfES3_PS1_EvbiT_T4_T5_S5_lS7_S5_lT6_S5_li,comdat
	.globl	_ZL26rocblas_syr2k_her2k_kernelIlLb1ELb0ELb1ELi32EPK19rocblas_complex_numIfES3_PS1_EvbiT_T4_T5_S5_lS7_S5_lT6_S5_li ; -- Begin function _ZL26rocblas_syr2k_her2k_kernelIlLb1ELb0ELb1ELi32EPK19rocblas_complex_numIfES3_PS1_EvbiT_T4_T5_S5_lS7_S5_lT6_S5_li
	.p2align	8
	.type	_ZL26rocblas_syr2k_her2k_kernelIlLb1ELb0ELb1ELi32EPK19rocblas_complex_numIfES3_PS1_EvbiT_T4_T5_S5_lS7_S5_lT6_S5_li,@function
_ZL26rocblas_syr2k_her2k_kernelIlLb1ELb0ELb1ELi32EPK19rocblas_complex_numIfES3_PS1_EvbiT_T4_T5_S5_lS7_S5_lT6_S5_li: ; @_ZL26rocblas_syr2k_her2k_kernelIlLb1ELb0ELb1ELi32EPK19rocblas_complex_numIfES3_PS1_EvbiT_T4_T5_S5_lS7_S5_lT6_S5_li
; %bb.0:
	s_load_b512 s[16:31], s[0:1], 0x8
	s_waitcnt lgkmcnt(0)
	s_load_b64 s[8:9], s[18:19], 0x0
	s_waitcnt lgkmcnt(0)
	v_cmp_eq_f32_e64 s2, s8, 0
	v_cmp_eq_f32_e64 s3, s9, 0
	s_delay_alu instid0(VALU_DEP_1) | instskip(NEXT) | instid1(SALU_CYCLE_1)
	s_and_b32 s2, s2, s3
	s_and_b32 vcc_lo, exec_lo, s2
	s_cbranch_vccnz .LBB1859_17
; %bb.1:
	s_load_b64 s[2:3], s[0:1], 0x0
	s_lshl_b32 s10, s14, 5
	s_lshl_b32 s11, s13, 5
	s_waitcnt lgkmcnt(0)
	s_and_b32 s2, 1, s2
	s_delay_alu instid0(SALU_CYCLE_1) | instskip(SKIP_1) | instid1(SALU_CYCLE_1)
	s_cmp_eq_u32 s2, 1
	s_cselect_b32 s2, -1, 0
	s_and_b32 s4, s2, exec_lo
	s_cselect_b32 s4, s11, s10
	s_cselect_b32 s5, s10, s11
	s_delay_alu instid0(SALU_CYCLE_1)
	s_cmp_gt_i32 s4, s5
	s_cbranch_scc1 .LBB1859_17
; %bb.2:
	v_cmp_lt_i64_e64 s4, s[16:17], 1
	s_delay_alu instid0(VALU_DEP_1)
	s_and_b32 vcc_lo, exec_lo, s4
	s_cbranch_vccnz .LBB1859_17
; %bb.3:
	s_clause 0x1
	s_load_b64 s[12:13], s[0:1], 0x58
	s_load_b128 s[4:7], s[0:1], 0x48
	v_bfe_u32 v6, v0, 10, 10
	v_mov_b32_e32 v3, 0
	v_and_b32_e32 v7, 0x3ff, v0
	s_delay_alu instid0(VALU_DEP_2) | instskip(NEXT) | instid1(VALU_DEP_2)
	v_dual_mov_b32 v5, v3 :: v_dual_add_nc_u32 v4, s10, v6
	v_add_nc_u32_e32 v2, s11, v7
	s_mov_b32 s10, s3
	v_lshlrev_b32_e32 v23, 3, v7
	s_delay_alu instid0(VALU_DEP_3)
	v_ashrrev_i32_e32 v0, 31, v4
	v_mad_u64_u32 v[12:13], null, s28, v4, 0
	v_cndmask_b32_e64 v14, v2, v4, s2
	v_cndmask_b32_e64 v15, v4, v2, s2
	v_lshlrev_b32_e32 v22, 3, v6
	v_mad_u64_u32 v[18:19], null, s22, v2, 0
	s_waitcnt lgkmcnt(0)
	s_mul_i32 s1, s15, s13
	v_mul_lo_u32 v11, v0, s6
	v_mul_lo_u32 v16, v4, s7
	v_mad_u64_u32 v[0:1], null, v4, s6, 0
	s_mul_hi_u32 s2, s15, s12
	s_mul_i32 s0, s15, s12
	s_add_i32 s1, s2, s1
	v_cmp_le_i32_e64 s2, v15, v14
	s_lshl_b64 s[0:1], s[0:1], 3
	s_delay_alu instid0(SALU_CYCLE_1) | instskip(NEXT) | instid1(VALU_DEP_2)
	s_add_u32 s4, s4, s0
	v_add3_u32 v1, v1, v16, v11
	s_addc_u32 s5, s5, s1
	s_ashr_i32 s11, s3, 31
	s_delay_alu instid0(SALU_CYCLE_1)
	v_cmp_gt_i64_e64 s0, s[10:11], v[2:3]
	v_max_i32_e32 v3, v2, v4
	v_cmp_gt_i64_e64 s1, s[10:11], v[4:5]
	v_mov_b32_e32 v5, v13
	v_lshlrev_b64 v[0:1], 3, v[0:1]
	v_or_b32_e32 v9, 0x2000, v22
	v_cmp_gt_i32_e32 vcc_lo, s3, v3
	v_ashrrev_i32_e32 v3, 31, v2
	v_mad_u64_u32 v[13:14], null, s29, v4, v[5:6]
	v_mad_u64_u32 v[14:15], null, s28, v2, 0
	v_add_co_u32 v5, s3, s4, v0
	s_delay_alu instid0(VALU_DEP_1)
	v_add_co_ci_u32_e64 v16, s3, s5, v1, s3
	v_lshlrev_b64 v[0:1], 3, v[2:3]
	s_mul_i32 s4, s31, s15
	s_mul_hi_u32 s5, s30, s15
	v_lshlrev_b64 v[12:13], 3, v[12:13]
	v_dual_mov_b32 v3, v15 :: v_dual_lshlrev_b32 v8, 8, v7
	s_add_i32 s5, s5, s4
	s_mul_i32 s4, s30, s15
	v_add_co_u32 v0, s3, v5, v0
	s_lshl_b64 s[4:5], s[4:5], 3
	v_add_co_ci_u32_e64 v1, s3, v16, v1, s3
	v_mad_u64_u32 v[15:16], null, s29, v2, v[3:4]
	v_add_co_u32 v3, s3, s4, v12
	v_mad_u64_u32 v[16:17], null, s22, v4, 0
	v_add_co_ci_u32_e64 v5, s3, s5, v13, s3
	s_delay_alu instid0(VALU_DEP_3) | instskip(SKIP_1) | instid1(VALU_DEP_3)
	v_add_co_u32 v3, s3, v3, v23
	v_add_nc_u32_e32 v10, v8, v22
	v_add_co_ci_u32_e64 v5, s3, 0, v5, s3
	s_delay_alu instid0(VALU_DEP_3) | instskip(SKIP_1) | instid1(VALU_DEP_3)
	v_add_co_u32 v12, s3, v3, s26
	v_mov_b32_e32 v3, v17
	v_add_co_ci_u32_e64 v5, s3, s27, v5, s3
	v_lshlrev_b64 v[14:15], 3, v[14:15]
	s_delay_alu instid0(VALU_DEP_4) | instskip(NEXT) | instid1(VALU_DEP_4)
	v_add_co_u32 v12, s3, v12, 4
	v_mad_u64_u32 v[20:21], null, s23, v4, v[3:4]
	v_mov_b32_e32 v3, v19
	v_add_co_ci_u32_e64 v13, s3, 0, v5, s3
	v_add_co_u32 v14, s3, s4, v14
	s_delay_alu instid0(VALU_DEP_1) | instskip(SKIP_2) | instid1(VALU_DEP_4)
	v_add_co_ci_u32_e64 v15, s3, s5, v15, s3
	v_dual_mov_b32 v17, v20 :: v_dual_add_nc_u32 v20, 0x800, v9
	v_mad_u64_u32 v[4:5], null, s23, v2, v[3:4]
	v_add_co_u32 v5, s3, v14, v22
	s_mul_i32 s4, s25, s15
	s_mul_hi_u32 s5, s24, s15
	v_add_co_ci_u32_e64 v15, s3, 0, v15, s3
	s_delay_alu instid0(VALU_DEP_3)
	v_mov_b32_e32 v19, v4
	v_lshlrev_b64 v[2:3], 3, v[16:17]
	s_add_i32 s5, s5, s4
	s_mul_i32 s4, s24, s15
	v_add_co_u32 v14, s3, s26, v5
	v_lshlrev_b64 v[4:5], 3, v[18:19]
	s_lshl_b64 s[4:5], s[4:5], 3
	v_add_co_ci_u32_e64 v15, s3, s27, v15, s3
	v_add_co_u32 v2, s3, s4, v2
	s_delay_alu instid0(VALU_DEP_1) | instskip(NEXT) | instid1(VALU_DEP_4)
	v_add_co_ci_u32_e64 v3, s3, s5, v3, s3
	v_add_co_u32 v4, s3, s4, v4
	s_delay_alu instid0(VALU_DEP_1) | instskip(NEXT) | instid1(VALU_DEP_4)
	;; [unrolled: 3-line block ×3, first 2 shown]
	v_add_co_ci_u32_e64 v3, s3, 0, v3, s3
	v_add_co_u32 v4, s3, v4, v22
	v_add_nc_u32_e32 v22, 0x1800, v9
	v_add_co_ci_u32_e64 v5, s3, 0, v5, s3
	v_add_co_u32 v2, s3, v2, s20
	s_delay_alu instid0(VALU_DEP_1) | instskip(SKIP_1) | instid1(VALU_DEP_1)
	v_add_co_ci_u32_e64 v3, s3, s21, v3, s3
	v_add_co_u32 v4, s3, v4, s20
	v_add_co_ci_u32_e64 v5, s3, s21, v5, s3
	s_delay_alu instid0(VALU_DEP_4) | instskip(NEXT) | instid1(VALU_DEP_1)
	v_add_co_u32 v16, s3, v2, 4
	v_add_co_ci_u32_e64 v17, s3, 0, v3, s3
	s_delay_alu instid0(VALU_DEP_4)
	v_add_co_u32 v18, s3, v4, 4
	v_add_nc_u32_e32 v11, v9, v8
	v_add_co_ci_u32_e64 v19, s3, 0, v5, s3
	v_add_nc_u32_e32 v21, 0x1000, v9
	s_and_b32 s6, s2, vcc_lo
	s_mov_b64 s[2:3], 0
	s_mov_b64 s[4:5], 0
	s_branch .LBB1859_5
.LBB1859_4:                             ;   in Loop: Header=BB1859_5 Depth=1
	s_or_b32 exec_lo, exec_lo, s7
	s_add_u32 s4, s4, 32
	s_addc_u32 s5, s5, 0
	s_add_u32 s2, s2, 0x100
	v_cmp_lt_i64_e64 s7, s[4:5], s[16:17]
	s_addc_u32 s3, s3, 0
	s_waitcnt_vscnt null, 0x0
	s_barrier
	buffer_gl0_inv
	s_and_b32 vcc_lo, exec_lo, s7
	s_cbranch_vccz .LBB1859_17
.LBB1859_5:                             ; =>This Inner Loop Header: Depth=1
	v_add_co_u32 v2, s7, v6, s4
	s_delay_alu instid0(VALU_DEP_1) | instskip(NEXT) | instid1(VALU_DEP_1)
	v_add_co_ci_u32_e64 v3, null, 0, s5, s7
	v_cmp_gt_i64_e32 vcc_lo, s[16:17], v[2:3]
	v_dual_mov_b32 v2, 0 :: v_dual_mov_b32 v3, 0
	s_and_b32 s7, s0, vcc_lo
	s_delay_alu instid0(SALU_CYCLE_1)
	s_and_saveexec_b32 s10, s7
	s_cbranch_execz .LBB1859_7
; %bb.6:                                ;   in Loop: Header=BB1859_5 Depth=1
	v_add_co_u32 v2, vcc_lo, v18, s2
	v_add_co_ci_u32_e32 v3, vcc_lo, s3, v19, vcc_lo
	global_load_b64 v[2:3], v[2:3], off offset:-4
.LBB1859_7:                             ;   in Loop: Header=BB1859_5 Depth=1
	s_or_b32 exec_lo, exec_lo, s10
	v_add_co_u32 v4, s10, v7, s4
	s_delay_alu instid0(VALU_DEP_1)
	v_add_co_ci_u32_e64 v5, null, 0, s5, s10
	s_waitcnt vmcnt(0)
	ds_store_b64 v10, v[2:3]
	v_cmp_gt_i64_e32 vcc_lo, s[16:17], v[4:5]
	v_dual_mov_b32 v4, 0 :: v_dual_mov_b32 v5, 0
	s_and_b32 s10, s1, vcc_lo
	s_delay_alu instid0(SALU_CYCLE_1)
	s_and_saveexec_b32 s11, s10
	s_cbranch_execz .LBB1859_9
; %bb.8:                                ;   in Loop: Header=BB1859_5 Depth=1
	v_add_co_u32 v2, vcc_lo, v12, s2
	v_add_co_ci_u32_e32 v3, vcc_lo, s3, v13, vcc_lo
	global_load_b64 v[4:5], v[2:3], off offset:-4
.LBB1859_9:                             ;   in Loop: Header=BB1859_5 Depth=1
	s_or_b32 exec_lo, exec_lo, s11
	s_waitcnt vmcnt(0)
	ds_store_b64 v11, v[4:5]
	s_waitcnt lgkmcnt(0)
	s_barrier
	buffer_gl0_inv
	s_and_saveexec_b32 s11, s6
	s_cbranch_execz .LBB1859_11
; %bb.10:                               ;   in Loop: Header=BB1859_5 Depth=1
	ds_load_b128 v[2:5], v8
	ds_load_b128 v[23:26], v8 offset:16
	ds_load_b128 v[27:30], v8 offset:32
	;; [unrolled: 1-line block ×3, first 2 shown]
	ds_load_2addr_b64 v[35:38], v9 offset1:32
	s_waitcnt lgkmcnt(0)
	v_mul_f32_e32 v39, v36, v3
	v_mul_f32_e32 v3, v35, v3
	s_delay_alu instid0(VALU_DEP_2) | instskip(NEXT) | instid1(VALU_DEP_2)
	v_fma_f32 v39, v35, v2, -v39
	v_fmac_f32_e32 v3, v36, v2
	v_mul_f32_e32 v35, v38, v5
	s_delay_alu instid0(VALU_DEP_3) | instskip(NEXT) | instid1(VALU_DEP_3)
	v_dual_mul_f32 v5, v37, v5 :: v_dual_add_f32 v2, 0, v39
	v_add_f32_e32 v3, 0, v3
	s_delay_alu instid0(VALU_DEP_3) | instskip(NEXT) | instid1(VALU_DEP_3)
	v_fma_f32 v35, v37, v4, -v35
	v_fmac_f32_e32 v5, v38, v4
	s_delay_alu instid0(VALU_DEP_1) | instskip(SKIP_3) | instid1(VALU_DEP_1)
	v_dual_add_f32 v35, v2, v35 :: v_dual_add_f32 v36, v3, v5
	ds_load_2addr_b64 v[2:5], v9 offset0:64 offset1:96
	s_waitcnt lgkmcnt(0)
	v_mul_f32_e32 v37, v3, v24
	v_fma_f32 v37, v2, v23, -v37
	v_mul_f32_e32 v2, v2, v24
	s_delay_alu instid0(VALU_DEP_1) | instskip(NEXT) | instid1(VALU_DEP_1)
	v_dual_fmac_f32 v2, v3, v23 :: v_dual_mul_f32 v23, v5, v26
	v_add_f32_e32 v2, v36, v2
	s_delay_alu instid0(VALU_DEP_2) | instskip(SKIP_1) | instid1(VALU_DEP_1)
	v_fma_f32 v23, v4, v25, -v23
	v_mul_f32_e32 v4, v4, v26
	v_fmac_f32_e32 v4, v5, v25
	s_delay_alu instid0(VALU_DEP_1) | instskip(NEXT) | instid1(VALU_DEP_1)
	v_dual_add_f32 v3, v35, v37 :: v_dual_add_f32 v24, v2, v4
	v_add_f32_e32 v23, v3, v23
	ds_load_2addr_b64 v[2:5], v9 offset0:128 offset1:160
	s_waitcnt lgkmcnt(0)
	v_mul_f32_e32 v25, v3, v28
	s_delay_alu instid0(VALU_DEP_1) | instskip(SKIP_1) | instid1(VALU_DEP_1)
	v_fma_f32 v25, v2, v27, -v25
	v_mul_f32_e32 v2, v2, v28
	v_fmac_f32_e32 v2, v3, v27
	s_delay_alu instid0(VALU_DEP_1) | instskip(SKIP_1) | instid1(VALU_DEP_1)
	v_dual_add_f32 v2, v24, v2 :: v_dual_add_f32 v3, v23, v25
	v_mul_f32_e32 v23, v5, v30
	v_fma_f32 v23, v4, v29, -v23
	v_mul_f32_e32 v4, v4, v30
	s_delay_alu instid0(VALU_DEP_1) | instskip(NEXT) | instid1(VALU_DEP_1)
	v_fmac_f32_e32 v4, v5, v29
	v_dual_add_f32 v24, v2, v4 :: v_dual_add_f32 v23, v3, v23
	ds_load_2addr_b64 v[2:5], v9 offset0:192 offset1:224
	s_waitcnt lgkmcnt(0)
	v_mul_f32_e32 v25, v3, v32
	s_delay_alu instid0(VALU_DEP_1) | instskip(SKIP_1) | instid1(VALU_DEP_1)
	v_fma_f32 v25, v2, v31, -v25
	v_mul_f32_e32 v2, v2, v32
	v_fmac_f32_e32 v2, v3, v31
	s_delay_alu instid0(VALU_DEP_1) | instskip(SKIP_1) | instid1(VALU_DEP_1)
	v_dual_add_f32 v2, v24, v2 :: v_dual_add_f32 v3, v23, v25
	v_mul_f32_e32 v23, v5, v34
	v_fma_f32 v23, v4, v33, -v23
	v_mul_f32_e32 v4, v4, v34
	s_delay_alu instid0(VALU_DEP_1) | instskip(NEXT) | instid1(VALU_DEP_1)
	v_fmac_f32_e32 v4, v5, v33
	v_dual_add_f32 v28, v2, v4 :: v_dual_add_f32 v27, v3, v23
	ds_load_b128 v[2:5], v8 offset:64
	ds_load_2addr_b64 v[23:26], v20 offset1:32
	s_waitcnt lgkmcnt(0)
	v_mul_f32_e32 v29, v24, v3
	v_mul_f32_e32 v3, v23, v3
	s_delay_alu instid0(VALU_DEP_2) | instskip(SKIP_1) | instid1(VALU_DEP_3)
	v_fma_f32 v29, v23, v2, -v29
	v_mul_f32_e32 v23, v26, v5
	v_fmac_f32_e32 v3, v24, v2
	v_mul_f32_e32 v5, v25, v5
	s_delay_alu instid0(VALU_DEP_4) | instskip(NEXT) | instid1(VALU_DEP_4)
	v_add_f32_e32 v2, v27, v29
	v_fma_f32 v23, v25, v4, -v23
	s_delay_alu instid0(VALU_DEP_3) | instskip(NEXT) | instid1(VALU_DEP_2)
	v_fmac_f32_e32 v5, v26, v4
	v_add_f32_e32 v27, v2, v23
	v_add_f32_e32 v3, v28, v3
	s_delay_alu instid0(VALU_DEP_1)
	v_add_f32_e32 v28, v3, v5
	ds_load_b128 v[2:5], v8 offset:80
	ds_load_2addr_b64 v[23:26], v20 offset0:64 offset1:96
	s_waitcnt lgkmcnt(0)
	v_mul_f32_e32 v29, v24, v3
	v_mul_f32_e32 v3, v23, v3
	s_delay_alu instid0(VALU_DEP_2) | instskip(NEXT) | instid1(VALU_DEP_2)
	v_fma_f32 v29, v23, v2, -v29
	v_fmac_f32_e32 v3, v24, v2
	v_mul_f32_e32 v23, v26, v5
	v_mul_f32_e32 v5, v25, v5
	s_delay_alu instid0(VALU_DEP_3) | instskip(NEXT) | instid1(VALU_DEP_3)
	v_add_f32_e32 v3, v28, v3
	v_fma_f32 v23, v25, v4, -v23
	s_delay_alu instid0(VALU_DEP_3) | instskip(NEXT) | instid1(VALU_DEP_1)
	v_fmac_f32_e32 v5, v26, v4
	v_add_f32_e32 v28, v3, v5
	v_add_f32_e32 v2, v27, v29
	s_delay_alu instid0(VALU_DEP_1)
	v_add_f32_e32 v27, v2, v23
	ds_load_b128 v[2:5], v8 offset:96
	ds_load_2addr_b64 v[23:26], v20 offset0:128 offset1:160
	s_waitcnt lgkmcnt(0)
	v_mul_f32_e32 v29, v24, v3
	v_mul_f32_e32 v3, v23, v3
	s_delay_alu instid0(VALU_DEP_2) | instskip(NEXT) | instid1(VALU_DEP_2)
	v_fma_f32 v29, v23, v2, -v29
	v_fmac_f32_e32 v3, v24, v2
	v_mul_f32_e32 v23, v26, v5
	v_mul_f32_e32 v5, v25, v5
	s_delay_alu instid0(VALU_DEP_3) | instskip(NEXT) | instid1(VALU_DEP_3)
	v_dual_add_f32 v2, v27, v29 :: v_dual_add_f32 v3, v28, v3
	v_fma_f32 v23, v25, v4, -v23
	s_delay_alu instid0(VALU_DEP_3) | instskip(NEXT) | instid1(VALU_DEP_1)
	v_fmac_f32_e32 v5, v26, v4
	v_dual_add_f32 v27, v2, v23 :: v_dual_add_f32 v28, v3, v5
	ds_load_b128 v[2:5], v8 offset:112
	ds_load_2addr_b64 v[23:26], v20 offset0:192 offset1:224
	s_waitcnt lgkmcnt(0)
	v_mul_f32_e32 v29, v24, v3
	v_mul_f32_e32 v3, v23, v3
	s_delay_alu instid0(VALU_DEP_2) | instskip(NEXT) | instid1(VALU_DEP_2)
	v_fma_f32 v29, v23, v2, -v29
	v_fmac_f32_e32 v3, v24, v2
	v_mul_f32_e32 v23, v26, v5
	v_mul_f32_e32 v5, v25, v5
	s_delay_alu instid0(VALU_DEP_3) | instskip(NEXT) | instid1(VALU_DEP_3)
	v_dual_add_f32 v2, v27, v29 :: v_dual_add_f32 v3, v28, v3
	v_fma_f32 v23, v25, v4, -v23
	s_delay_alu instid0(VALU_DEP_3) | instskip(NEXT) | instid1(VALU_DEP_1)
	v_fmac_f32_e32 v5, v26, v4
	v_dual_add_f32 v27, v2, v23 :: v_dual_add_f32 v28, v3, v5
	ds_load_b128 v[2:5], v8 offset:128
	ds_load_2addr_b64 v[23:26], v21 offset1:32
	s_waitcnt lgkmcnt(0)
	v_mul_f32_e32 v29, v24, v3
	v_mul_f32_e32 v3, v23, v3
	s_delay_alu instid0(VALU_DEP_2) | instskip(NEXT) | instid1(VALU_DEP_2)
	v_fma_f32 v29, v23, v2, -v29
	v_fmac_f32_e32 v3, v24, v2
	v_mul_f32_e32 v23, v26, v5
	v_mul_f32_e32 v5, v25, v5
	s_delay_alu instid0(VALU_DEP_3) | instskip(NEXT) | instid1(VALU_DEP_3)
	v_dual_add_f32 v2, v27, v29 :: v_dual_add_f32 v3, v28, v3
	v_fma_f32 v23, v25, v4, -v23
	s_delay_alu instid0(VALU_DEP_3) | instskip(NEXT) | instid1(VALU_DEP_1)
	v_fmac_f32_e32 v5, v26, v4
	v_dual_add_f32 v27, v2, v23 :: v_dual_add_f32 v28, v3, v5
	ds_load_b128 v[2:5], v8 offset:144
	ds_load_2addr_b64 v[23:26], v21 offset0:64 offset1:96
	s_waitcnt lgkmcnt(0)
	v_mul_f32_e32 v29, v24, v3
	v_mul_f32_e32 v3, v23, v3
	s_delay_alu instid0(VALU_DEP_2) | instskip(NEXT) | instid1(VALU_DEP_2)
	v_fma_f32 v29, v23, v2, -v29
	v_fmac_f32_e32 v3, v24, v2
	v_mul_f32_e32 v23, v26, v5
	v_mul_f32_e32 v5, v25, v5
	s_delay_alu instid0(VALU_DEP_3) | instskip(NEXT) | instid1(VALU_DEP_3)
	v_dual_add_f32 v2, v27, v29 :: v_dual_add_f32 v3, v28, v3
	v_fma_f32 v23, v25, v4, -v23
	s_delay_alu instid0(VALU_DEP_3) | instskip(NEXT) | instid1(VALU_DEP_1)
	v_fmac_f32_e32 v5, v26, v4
	v_dual_add_f32 v27, v2, v23 :: v_dual_add_f32 v28, v3, v5
	ds_load_b128 v[2:5], v8 offset:160
	ds_load_2addr_b64 v[23:26], v21 offset0:128 offset1:160
	;; [unrolled: 16-line block ×3, first 2 shown]
	s_waitcnt lgkmcnt(0)
	v_mul_f32_e32 v29, v24, v3
	v_mul_f32_e32 v3, v23, v3
	s_delay_alu instid0(VALU_DEP_2) | instskip(NEXT) | instid1(VALU_DEP_2)
	v_fma_f32 v29, v23, v2, -v29
	v_fmac_f32_e32 v3, v24, v2
	v_mul_f32_e32 v23, v26, v5
	v_mul_f32_e32 v5, v25, v5
	s_delay_alu instid0(VALU_DEP_3) | instskip(NEXT) | instid1(VALU_DEP_3)
	v_dual_add_f32 v2, v27, v29 :: v_dual_add_f32 v3, v28, v3
	v_fma_f32 v23, v25, v4, -v23
	s_delay_alu instid0(VALU_DEP_3) | instskip(NEXT) | instid1(VALU_DEP_1)
	v_fmac_f32_e32 v5, v26, v4
	v_dual_add_f32 v27, v2, v23 :: v_dual_add_f32 v28, v3, v5
	ds_load_b128 v[2:5], v8 offset:192
	ds_load_2addr_b64 v[23:26], v22 offset1:32
	s_waitcnt lgkmcnt(0)
	v_mul_f32_e32 v29, v24, v3
	v_mul_f32_e32 v3, v23, v3
	s_delay_alu instid0(VALU_DEP_2) | instskip(NEXT) | instid1(VALU_DEP_2)
	v_fma_f32 v29, v23, v2, -v29
	v_fmac_f32_e32 v3, v24, v2
	v_mul_f32_e32 v23, v26, v5
	v_mul_f32_e32 v5, v25, v5
	s_delay_alu instid0(VALU_DEP_3) | instskip(NEXT) | instid1(VALU_DEP_3)
	v_dual_add_f32 v2, v27, v29 :: v_dual_add_f32 v3, v28, v3
	v_fma_f32 v23, v25, v4, -v23
	s_delay_alu instid0(VALU_DEP_3) | instskip(NEXT) | instid1(VALU_DEP_1)
	v_fmac_f32_e32 v5, v26, v4
	v_dual_add_f32 v27, v2, v23 :: v_dual_add_f32 v28, v3, v5
	ds_load_b128 v[2:5], v8 offset:208
	ds_load_2addr_b64 v[23:26], v22 offset0:64 offset1:96
	s_waitcnt lgkmcnt(0)
	v_mul_f32_e32 v29, v24, v3
	v_mul_f32_e32 v3, v23, v3
	s_delay_alu instid0(VALU_DEP_2) | instskip(NEXT) | instid1(VALU_DEP_2)
	v_fma_f32 v29, v23, v2, -v29
	v_fmac_f32_e32 v3, v24, v2
	v_mul_f32_e32 v23, v26, v5
	v_mul_f32_e32 v5, v25, v5
	s_delay_alu instid0(VALU_DEP_3) | instskip(NEXT) | instid1(VALU_DEP_3)
	v_dual_add_f32 v2, v27, v29 :: v_dual_add_f32 v3, v28, v3
	v_fma_f32 v23, v25, v4, -v23
	s_delay_alu instid0(VALU_DEP_3) | instskip(NEXT) | instid1(VALU_DEP_1)
	v_fmac_f32_e32 v5, v26, v4
	v_dual_add_f32 v27, v2, v23 :: v_dual_add_f32 v28, v3, v5
	ds_load_b128 v[2:5], v8 offset:224
	ds_load_2addr_b64 v[23:26], v22 offset0:128 offset1:160
	;; [unrolled: 16-line block ×3, first 2 shown]
	s_waitcnt lgkmcnt(0)
	v_mul_f32_e32 v29, v24, v3
	v_mul_f32_e32 v3, v23, v3
	s_delay_alu instid0(VALU_DEP_2) | instskip(NEXT) | instid1(VALU_DEP_2)
	v_fma_f32 v29, v23, v2, -v29
	v_fmac_f32_e32 v3, v24, v2
	v_mul_f32_e32 v23, v26, v5
	v_mul_f32_e32 v5, v25, v5
	s_delay_alu instid0(VALU_DEP_3) | instskip(NEXT) | instid1(VALU_DEP_3)
	v_dual_add_f32 v2, v27, v29 :: v_dual_add_f32 v3, v28, v3
	v_fma_f32 v23, v25, v4, -v23
	s_delay_alu instid0(VALU_DEP_3) | instskip(NEXT) | instid1(VALU_DEP_1)
	v_fmac_f32_e32 v5, v26, v4
	v_dual_add_f32 v4, v2, v23 :: v_dual_add_f32 v3, v3, v5
	s_delay_alu instid0(VALU_DEP_1) | instskip(SKIP_1) | instid1(VALU_DEP_2)
	v_mul_f32_e32 v2, s9, v3
	v_mul_f32_e32 v3, s8, v3
	v_fma_f32 v2, s8, v4, -v2
	s_delay_alu instid0(VALU_DEP_2)
	v_fmac_f32_e32 v3, s9, v4
	global_load_b64 v[4:5], v[0:1], off
	s_waitcnt vmcnt(0)
	v_dual_add_f32 v2, v4, v2 :: v_dual_add_f32 v3, v5, v3
	global_store_b64 v[0:1], v[2:3], off
.LBB1859_11:                            ;   in Loop: Header=BB1859_5 Depth=1
	s_or_b32 exec_lo, exec_lo, s11
	v_dual_mov_b32 v3, 0 :: v_dual_mov_b32 v4, 0
	v_mov_b32_e32 v5, 0
	s_waitcnt_vscnt null, 0x0
	s_barrier
	buffer_gl0_inv
	s_and_saveexec_b32 s11, s7
	s_cbranch_execz .LBB1859_13
; %bb.12:                               ;   in Loop: Header=BB1859_5 Depth=1
	v_add_co_u32 v4, vcc_lo, v14, s2
	v_add_co_ci_u32_e32 v5, vcc_lo, s3, v15, vcc_lo
	global_load_b64 v[4:5], v[4:5], off
.LBB1859_13:                            ;   in Loop: Header=BB1859_5 Depth=1
	s_or_b32 exec_lo, exec_lo, s11
	v_mov_b32_e32 v2, 0
	s_waitcnt vmcnt(0)
	ds_store_b64 v10, v[4:5]
	s_and_saveexec_b32 s7, s10
	s_cbranch_execz .LBB1859_15
; %bb.14:                               ;   in Loop: Header=BB1859_5 Depth=1
	v_add_co_u32 v2, vcc_lo, v16, s2
	v_add_co_ci_u32_e32 v3, vcc_lo, s3, v17, vcc_lo
	global_load_b64 v[2:3], v[2:3], off offset:-4
.LBB1859_15:                            ;   in Loop: Header=BB1859_5 Depth=1
	s_or_b32 exec_lo, exec_lo, s7
	s_waitcnt vmcnt(0)
	ds_store_b64 v11, v[2:3]
	s_waitcnt lgkmcnt(0)
	s_barrier
	buffer_gl0_inv
	s_and_saveexec_b32 s7, s6
	s_cbranch_execz .LBB1859_4
; %bb.16:                               ;   in Loop: Header=BB1859_5 Depth=1
	ds_load_b128 v[2:5], v8
	ds_load_b128 v[23:26], v8 offset:16
	ds_load_b128 v[27:30], v8 offset:32
	;; [unrolled: 1-line block ×3, first 2 shown]
	ds_load_2addr_b64 v[35:38], v9 offset1:32
	s_waitcnt lgkmcnt(0)
	v_mul_f32_e32 v39, v36, v3
	v_mul_f32_e32 v3, v35, v3
	s_delay_alu instid0(VALU_DEP_2) | instskip(NEXT) | instid1(VALU_DEP_2)
	v_fma_f32 v39, v35, v2, -v39
	v_fmac_f32_e32 v3, v36, v2
	v_mul_f32_e32 v35, v38, v5
	s_delay_alu instid0(VALU_DEP_3) | instskip(NEXT) | instid1(VALU_DEP_3)
	v_dual_mul_f32 v5, v37, v5 :: v_dual_add_f32 v2, 0, v39
	v_add_f32_e32 v3, 0, v3
	s_delay_alu instid0(VALU_DEP_3) | instskip(NEXT) | instid1(VALU_DEP_3)
	v_fma_f32 v35, v37, v4, -v35
	v_fmac_f32_e32 v5, v38, v4
	s_delay_alu instid0(VALU_DEP_1) | instskip(SKIP_3) | instid1(VALU_DEP_1)
	v_dual_add_f32 v35, v2, v35 :: v_dual_add_f32 v36, v3, v5
	ds_load_2addr_b64 v[2:5], v9 offset0:64 offset1:96
	s_waitcnt lgkmcnt(0)
	v_mul_f32_e32 v37, v3, v24
	v_fma_f32 v37, v2, v23, -v37
	v_mul_f32_e32 v2, v2, v24
	s_delay_alu instid0(VALU_DEP_1) | instskip(NEXT) | instid1(VALU_DEP_1)
	v_dual_fmac_f32 v2, v3, v23 :: v_dual_mul_f32 v23, v5, v26
	v_add_f32_e32 v2, v36, v2
	s_delay_alu instid0(VALU_DEP_2) | instskip(SKIP_1) | instid1(VALU_DEP_1)
	v_fma_f32 v23, v4, v25, -v23
	v_mul_f32_e32 v4, v4, v26
	v_fmac_f32_e32 v4, v5, v25
	s_delay_alu instid0(VALU_DEP_1) | instskip(NEXT) | instid1(VALU_DEP_1)
	v_dual_add_f32 v3, v35, v37 :: v_dual_add_f32 v24, v2, v4
	v_add_f32_e32 v23, v3, v23
	ds_load_2addr_b64 v[2:5], v9 offset0:128 offset1:160
	s_waitcnt lgkmcnt(0)
	v_mul_f32_e32 v25, v3, v28
	s_delay_alu instid0(VALU_DEP_1) | instskip(SKIP_1) | instid1(VALU_DEP_1)
	v_fma_f32 v25, v2, v27, -v25
	v_mul_f32_e32 v2, v2, v28
	v_fmac_f32_e32 v2, v3, v27
	s_delay_alu instid0(VALU_DEP_1) | instskip(SKIP_1) | instid1(VALU_DEP_1)
	v_dual_add_f32 v2, v24, v2 :: v_dual_add_f32 v3, v23, v25
	v_mul_f32_e32 v23, v5, v30
	v_fma_f32 v23, v4, v29, -v23
	v_mul_f32_e32 v4, v4, v30
	s_delay_alu instid0(VALU_DEP_1) | instskip(NEXT) | instid1(VALU_DEP_1)
	v_fmac_f32_e32 v4, v5, v29
	v_dual_add_f32 v24, v2, v4 :: v_dual_add_f32 v23, v3, v23
	ds_load_2addr_b64 v[2:5], v9 offset0:192 offset1:224
	s_waitcnt lgkmcnt(0)
	v_mul_f32_e32 v25, v3, v32
	s_delay_alu instid0(VALU_DEP_1) | instskip(SKIP_1) | instid1(VALU_DEP_1)
	v_fma_f32 v25, v2, v31, -v25
	v_mul_f32_e32 v2, v2, v32
	v_fmac_f32_e32 v2, v3, v31
	s_delay_alu instid0(VALU_DEP_1) | instskip(SKIP_1) | instid1(VALU_DEP_1)
	v_dual_add_f32 v2, v24, v2 :: v_dual_add_f32 v3, v23, v25
	v_mul_f32_e32 v23, v5, v34
	v_fma_f32 v23, v4, v33, -v23
	v_mul_f32_e32 v4, v4, v34
	s_delay_alu instid0(VALU_DEP_1) | instskip(NEXT) | instid1(VALU_DEP_1)
	v_fmac_f32_e32 v4, v5, v33
	v_dual_add_f32 v28, v2, v4 :: v_dual_add_f32 v27, v3, v23
	ds_load_b128 v[2:5], v8 offset:64
	ds_load_2addr_b64 v[23:26], v20 offset1:32
	s_waitcnt lgkmcnt(0)
	v_mul_f32_e32 v29, v24, v3
	v_mul_f32_e32 v3, v23, v3
	s_delay_alu instid0(VALU_DEP_2) | instskip(SKIP_1) | instid1(VALU_DEP_3)
	v_fma_f32 v29, v23, v2, -v29
	v_mul_f32_e32 v23, v26, v5
	v_fmac_f32_e32 v3, v24, v2
	v_mul_f32_e32 v5, v25, v5
	s_delay_alu instid0(VALU_DEP_4) | instskip(NEXT) | instid1(VALU_DEP_4)
	v_add_f32_e32 v2, v27, v29
	v_fma_f32 v23, v25, v4, -v23
	s_delay_alu instid0(VALU_DEP_3) | instskip(NEXT) | instid1(VALU_DEP_2)
	v_fmac_f32_e32 v5, v26, v4
	v_add_f32_e32 v27, v2, v23
	v_add_f32_e32 v3, v28, v3
	s_delay_alu instid0(VALU_DEP_1)
	v_add_f32_e32 v28, v3, v5
	ds_load_b128 v[2:5], v8 offset:80
	ds_load_2addr_b64 v[23:26], v20 offset0:64 offset1:96
	s_waitcnt lgkmcnt(0)
	v_mul_f32_e32 v29, v24, v3
	v_mul_f32_e32 v3, v23, v3
	s_delay_alu instid0(VALU_DEP_2) | instskip(NEXT) | instid1(VALU_DEP_2)
	v_fma_f32 v29, v23, v2, -v29
	v_fmac_f32_e32 v3, v24, v2
	v_mul_f32_e32 v23, v26, v5
	v_mul_f32_e32 v5, v25, v5
	s_delay_alu instid0(VALU_DEP_3) | instskip(NEXT) | instid1(VALU_DEP_3)
	v_add_f32_e32 v3, v28, v3
	v_fma_f32 v23, v25, v4, -v23
	s_delay_alu instid0(VALU_DEP_3) | instskip(NEXT) | instid1(VALU_DEP_1)
	v_fmac_f32_e32 v5, v26, v4
	v_add_f32_e32 v28, v3, v5
	v_add_f32_e32 v2, v27, v29
	s_delay_alu instid0(VALU_DEP_1)
	v_add_f32_e32 v27, v2, v23
	ds_load_b128 v[2:5], v8 offset:96
	ds_load_2addr_b64 v[23:26], v20 offset0:128 offset1:160
	s_waitcnt lgkmcnt(0)
	v_mul_f32_e32 v29, v24, v3
	v_mul_f32_e32 v3, v23, v3
	s_delay_alu instid0(VALU_DEP_2) | instskip(NEXT) | instid1(VALU_DEP_2)
	v_fma_f32 v29, v23, v2, -v29
	v_fmac_f32_e32 v3, v24, v2
	v_mul_f32_e32 v23, v26, v5
	v_mul_f32_e32 v5, v25, v5
	s_delay_alu instid0(VALU_DEP_3) | instskip(NEXT) | instid1(VALU_DEP_3)
	v_dual_add_f32 v2, v27, v29 :: v_dual_add_f32 v3, v28, v3
	v_fma_f32 v23, v25, v4, -v23
	s_delay_alu instid0(VALU_DEP_3) | instskip(NEXT) | instid1(VALU_DEP_1)
	v_fmac_f32_e32 v5, v26, v4
	v_dual_add_f32 v27, v2, v23 :: v_dual_add_f32 v28, v3, v5
	ds_load_b128 v[2:5], v8 offset:112
	ds_load_2addr_b64 v[23:26], v20 offset0:192 offset1:224
	s_waitcnt lgkmcnt(0)
	v_mul_f32_e32 v29, v24, v3
	v_mul_f32_e32 v3, v23, v3
	s_delay_alu instid0(VALU_DEP_2) | instskip(NEXT) | instid1(VALU_DEP_2)
	v_fma_f32 v29, v23, v2, -v29
	v_fmac_f32_e32 v3, v24, v2
	v_mul_f32_e32 v23, v26, v5
	v_mul_f32_e32 v5, v25, v5
	s_delay_alu instid0(VALU_DEP_3) | instskip(NEXT) | instid1(VALU_DEP_3)
	v_dual_add_f32 v2, v27, v29 :: v_dual_add_f32 v3, v28, v3
	v_fma_f32 v23, v25, v4, -v23
	s_delay_alu instid0(VALU_DEP_3) | instskip(NEXT) | instid1(VALU_DEP_1)
	v_fmac_f32_e32 v5, v26, v4
	v_dual_add_f32 v27, v2, v23 :: v_dual_add_f32 v28, v3, v5
	ds_load_b128 v[2:5], v8 offset:128
	ds_load_2addr_b64 v[23:26], v21 offset1:32
	s_waitcnt lgkmcnt(0)
	v_mul_f32_e32 v29, v24, v3
	v_mul_f32_e32 v3, v23, v3
	s_delay_alu instid0(VALU_DEP_2) | instskip(NEXT) | instid1(VALU_DEP_2)
	v_fma_f32 v29, v23, v2, -v29
	v_fmac_f32_e32 v3, v24, v2
	v_mul_f32_e32 v23, v26, v5
	v_mul_f32_e32 v5, v25, v5
	s_delay_alu instid0(VALU_DEP_3) | instskip(NEXT) | instid1(VALU_DEP_3)
	v_dual_add_f32 v2, v27, v29 :: v_dual_add_f32 v3, v28, v3
	v_fma_f32 v23, v25, v4, -v23
	s_delay_alu instid0(VALU_DEP_3) | instskip(NEXT) | instid1(VALU_DEP_1)
	v_fmac_f32_e32 v5, v26, v4
	v_dual_add_f32 v27, v2, v23 :: v_dual_add_f32 v28, v3, v5
	ds_load_b128 v[2:5], v8 offset:144
	ds_load_2addr_b64 v[23:26], v21 offset0:64 offset1:96
	s_waitcnt lgkmcnt(0)
	v_mul_f32_e32 v29, v24, v3
	v_mul_f32_e32 v3, v23, v3
	s_delay_alu instid0(VALU_DEP_2) | instskip(NEXT) | instid1(VALU_DEP_2)
	v_fma_f32 v29, v23, v2, -v29
	v_fmac_f32_e32 v3, v24, v2
	v_mul_f32_e32 v23, v26, v5
	v_mul_f32_e32 v5, v25, v5
	s_delay_alu instid0(VALU_DEP_3) | instskip(NEXT) | instid1(VALU_DEP_3)
	v_dual_add_f32 v2, v27, v29 :: v_dual_add_f32 v3, v28, v3
	v_fma_f32 v23, v25, v4, -v23
	s_delay_alu instid0(VALU_DEP_3) | instskip(NEXT) | instid1(VALU_DEP_1)
	v_fmac_f32_e32 v5, v26, v4
	v_dual_add_f32 v27, v2, v23 :: v_dual_add_f32 v28, v3, v5
	ds_load_b128 v[2:5], v8 offset:160
	ds_load_2addr_b64 v[23:26], v21 offset0:128 offset1:160
	;; [unrolled: 16-line block ×3, first 2 shown]
	s_waitcnt lgkmcnt(0)
	v_mul_f32_e32 v29, v24, v3
	v_mul_f32_e32 v3, v23, v3
	s_delay_alu instid0(VALU_DEP_2) | instskip(NEXT) | instid1(VALU_DEP_2)
	v_fma_f32 v29, v23, v2, -v29
	v_fmac_f32_e32 v3, v24, v2
	v_mul_f32_e32 v23, v26, v5
	v_mul_f32_e32 v5, v25, v5
	s_delay_alu instid0(VALU_DEP_3) | instskip(NEXT) | instid1(VALU_DEP_3)
	v_dual_add_f32 v2, v27, v29 :: v_dual_add_f32 v3, v28, v3
	v_fma_f32 v23, v25, v4, -v23
	s_delay_alu instid0(VALU_DEP_3) | instskip(NEXT) | instid1(VALU_DEP_1)
	v_fmac_f32_e32 v5, v26, v4
	v_dual_add_f32 v27, v2, v23 :: v_dual_add_f32 v28, v3, v5
	ds_load_b128 v[2:5], v8 offset:192
	ds_load_2addr_b64 v[23:26], v22 offset1:32
	s_waitcnt lgkmcnt(0)
	v_mul_f32_e32 v29, v24, v3
	v_mul_f32_e32 v3, v23, v3
	s_delay_alu instid0(VALU_DEP_2) | instskip(NEXT) | instid1(VALU_DEP_2)
	v_fma_f32 v29, v23, v2, -v29
	v_fmac_f32_e32 v3, v24, v2
	v_mul_f32_e32 v23, v26, v5
	v_mul_f32_e32 v5, v25, v5
	s_delay_alu instid0(VALU_DEP_3) | instskip(NEXT) | instid1(VALU_DEP_3)
	v_dual_add_f32 v2, v27, v29 :: v_dual_add_f32 v3, v28, v3
	v_fma_f32 v23, v25, v4, -v23
	s_delay_alu instid0(VALU_DEP_3) | instskip(NEXT) | instid1(VALU_DEP_1)
	v_fmac_f32_e32 v5, v26, v4
	v_dual_add_f32 v27, v2, v23 :: v_dual_add_f32 v28, v3, v5
	ds_load_b128 v[2:5], v8 offset:208
	ds_load_2addr_b64 v[23:26], v22 offset0:64 offset1:96
	s_waitcnt lgkmcnt(0)
	v_mul_f32_e32 v29, v24, v3
	v_mul_f32_e32 v3, v23, v3
	s_delay_alu instid0(VALU_DEP_2) | instskip(NEXT) | instid1(VALU_DEP_2)
	v_fma_f32 v29, v23, v2, -v29
	v_fmac_f32_e32 v3, v24, v2
	v_mul_f32_e32 v23, v26, v5
	v_mul_f32_e32 v5, v25, v5
	s_delay_alu instid0(VALU_DEP_3) | instskip(NEXT) | instid1(VALU_DEP_3)
	v_dual_add_f32 v2, v27, v29 :: v_dual_add_f32 v3, v28, v3
	v_fma_f32 v23, v25, v4, -v23
	s_delay_alu instid0(VALU_DEP_3) | instskip(NEXT) | instid1(VALU_DEP_1)
	v_fmac_f32_e32 v5, v26, v4
	v_dual_add_f32 v27, v2, v23 :: v_dual_add_f32 v28, v3, v5
	ds_load_b128 v[2:5], v8 offset:224
	ds_load_2addr_b64 v[23:26], v22 offset0:128 offset1:160
	;; [unrolled: 16-line block ×3, first 2 shown]
	s_waitcnt lgkmcnt(0)
	v_mul_f32_e32 v29, v24, v3
	v_mul_f32_e32 v3, v23, v3
	s_delay_alu instid0(VALU_DEP_2) | instskip(NEXT) | instid1(VALU_DEP_2)
	v_fma_f32 v29, v23, v2, -v29
	v_fmac_f32_e32 v3, v24, v2
	v_mul_f32_e32 v23, v26, v5
	v_mul_f32_e32 v5, v25, v5
	s_delay_alu instid0(VALU_DEP_3) | instskip(NEXT) | instid1(VALU_DEP_3)
	v_dual_add_f32 v2, v27, v29 :: v_dual_add_f32 v3, v28, v3
	v_fma_f32 v23, v25, v4, -v23
	s_delay_alu instid0(VALU_DEP_3) | instskip(NEXT) | instid1(VALU_DEP_1)
	v_fmac_f32_e32 v5, v26, v4
	v_dual_add_f32 v4, v2, v23 :: v_dual_add_f32 v5, v3, v5
	s_delay_alu instid0(VALU_DEP_1) | instskip(NEXT) | instid1(VALU_DEP_1)
	v_dual_mul_f32 v3, s9, v4 :: v_dual_mul_f32 v2, s9, v5
	v_fmac_f32_e32 v3, s8, v5
	s_delay_alu instid0(VALU_DEP_2)
	v_fma_f32 v2, s8, v4, -v2
	global_load_b64 v[4:5], v[0:1], off
	s_waitcnt vmcnt(0)
	v_dual_add_f32 v2, v4, v2 :: v_dual_add_f32 v3, v5, v3
	global_store_b64 v[0:1], v[2:3], off
	s_branch .LBB1859_4
.LBB1859_17:
	s_endpgm
	.section	.rodata,"a",@progbits
	.p2align	6, 0x0
	.amdhsa_kernel _ZL26rocblas_syr2k_her2k_kernelIlLb1ELb0ELb1ELi32EPK19rocblas_complex_numIfES3_PS1_EvbiT_T4_T5_S5_lS7_S5_lT6_S5_li
		.amdhsa_group_segment_fixed_size 16384
		.amdhsa_private_segment_fixed_size 0
		.amdhsa_kernarg_size 100
		.amdhsa_user_sgpr_count 13
		.amdhsa_user_sgpr_dispatch_ptr 0
		.amdhsa_user_sgpr_queue_ptr 0
		.amdhsa_user_sgpr_kernarg_segment_ptr 1
		.amdhsa_user_sgpr_dispatch_id 0
		.amdhsa_user_sgpr_private_segment_size 0
		.amdhsa_wavefront_size32 1
		.amdhsa_uses_dynamic_stack 0
		.amdhsa_enable_private_segment 0
		.amdhsa_system_sgpr_workgroup_id_x 1
		.amdhsa_system_sgpr_workgroup_id_y 1
		.amdhsa_system_sgpr_workgroup_id_z 1
		.amdhsa_system_sgpr_workgroup_info 0
		.amdhsa_system_vgpr_workitem_id 1
		.amdhsa_next_free_vgpr 40
		.amdhsa_next_free_sgpr 32
		.amdhsa_reserve_vcc 1
		.amdhsa_float_round_mode_32 0
		.amdhsa_float_round_mode_16_64 0
		.amdhsa_float_denorm_mode_32 3
		.amdhsa_float_denorm_mode_16_64 3
		.amdhsa_dx10_clamp 1
		.amdhsa_ieee_mode 1
		.amdhsa_fp16_overflow 0
		.amdhsa_workgroup_processor_mode 1
		.amdhsa_memory_ordered 1
		.amdhsa_forward_progress 0
		.amdhsa_shared_vgpr_count 0
		.amdhsa_exception_fp_ieee_invalid_op 0
		.amdhsa_exception_fp_denorm_src 0
		.amdhsa_exception_fp_ieee_div_zero 0
		.amdhsa_exception_fp_ieee_overflow 0
		.amdhsa_exception_fp_ieee_underflow 0
		.amdhsa_exception_fp_ieee_inexact 0
		.amdhsa_exception_int_div_zero 0
	.end_amdhsa_kernel
	.section	.text._ZL26rocblas_syr2k_her2k_kernelIlLb1ELb0ELb1ELi32EPK19rocblas_complex_numIfES3_PS1_EvbiT_T4_T5_S5_lS7_S5_lT6_S5_li,"axG",@progbits,_ZL26rocblas_syr2k_her2k_kernelIlLb1ELb0ELb1ELi32EPK19rocblas_complex_numIfES3_PS1_EvbiT_T4_T5_S5_lS7_S5_lT6_S5_li,comdat
.Lfunc_end1859:
	.size	_ZL26rocblas_syr2k_her2k_kernelIlLb1ELb0ELb1ELi32EPK19rocblas_complex_numIfES3_PS1_EvbiT_T4_T5_S5_lS7_S5_lT6_S5_li, .Lfunc_end1859-_ZL26rocblas_syr2k_her2k_kernelIlLb1ELb0ELb1ELi32EPK19rocblas_complex_numIfES3_PS1_EvbiT_T4_T5_S5_lS7_S5_lT6_S5_li
                                        ; -- End function
	.section	.AMDGPU.csdata,"",@progbits
; Kernel info:
; codeLenInByte = 4252
; NumSgprs: 34
; NumVgprs: 40
; ScratchSize: 0
; MemoryBound: 0
; FloatMode: 240
; IeeeMode: 1
; LDSByteSize: 16384 bytes/workgroup (compile time only)
; SGPRBlocks: 4
; VGPRBlocks: 4
; NumSGPRsForWavesPerEU: 34
; NumVGPRsForWavesPerEU: 40
; Occupancy: 16
; WaveLimiterHint : 0
; COMPUTE_PGM_RSRC2:SCRATCH_EN: 0
; COMPUTE_PGM_RSRC2:USER_SGPR: 13
; COMPUTE_PGM_RSRC2:TRAP_HANDLER: 0
; COMPUTE_PGM_RSRC2:TGID_X_EN: 1
; COMPUTE_PGM_RSRC2:TGID_Y_EN: 1
; COMPUTE_PGM_RSRC2:TGID_Z_EN: 1
; COMPUTE_PGM_RSRC2:TIDIG_COMP_CNT: 1
	.section	.text._ZL26rocblas_syr2k_her2k_kernelIlLb1ELb0ELb0ELi32E19rocblas_complex_numIdEPKS1_PS1_EvbiT_T4_T5_S5_lS7_S5_lT6_S5_li,"axG",@progbits,_ZL26rocblas_syr2k_her2k_kernelIlLb1ELb0ELb0ELi32E19rocblas_complex_numIdEPKS1_PS1_EvbiT_T4_T5_S5_lS7_S5_lT6_S5_li,comdat
	.globl	_ZL26rocblas_syr2k_her2k_kernelIlLb1ELb0ELb0ELi32E19rocblas_complex_numIdEPKS1_PS1_EvbiT_T4_T5_S5_lS7_S5_lT6_S5_li ; -- Begin function _ZL26rocblas_syr2k_her2k_kernelIlLb1ELb0ELb0ELi32E19rocblas_complex_numIdEPKS1_PS1_EvbiT_T4_T5_S5_lS7_S5_lT6_S5_li
	.p2align	8
	.type	_ZL26rocblas_syr2k_her2k_kernelIlLb1ELb0ELb0ELi32E19rocblas_complex_numIdEPKS1_PS1_EvbiT_T4_T5_S5_lS7_S5_lT6_S5_li,@function
_ZL26rocblas_syr2k_her2k_kernelIlLb1ELb0ELb0ELi32E19rocblas_complex_numIdEPKS1_PS1_EvbiT_T4_T5_S5_lS7_S5_lT6_S5_li: ; @_ZL26rocblas_syr2k_her2k_kernelIlLb1ELb0ELb0ELi32E19rocblas_complex_numIdEPKS1_PS1_EvbiT_T4_T5_S5_lS7_S5_lT6_S5_li
; %bb.0:
	s_load_b512 s[16:31], s[0:1], 0x8
	s_waitcnt lgkmcnt(0)
	v_cmp_eq_f64_e64 s2, s[18:19], 0
	v_cmp_eq_f64_e64 s3, s[20:21], 0
	s_delay_alu instid0(VALU_DEP_1) | instskip(NEXT) | instid1(SALU_CYCLE_1)
	s_and_b32 s2, s2, s3
	s_and_b32 vcc_lo, exec_lo, s2
	s_cbranch_vccnz .LBB1860_17
; %bb.1:
	s_load_b64 s[2:3], s[0:1], 0x0
	s_lshl_b32 s12, s14, 5
	s_lshl_b32 s13, s13, 5
	s_waitcnt lgkmcnt(0)
	s_and_b32 s2, 1, s2
	s_delay_alu instid0(SALU_CYCLE_1) | instskip(SKIP_1) | instid1(SALU_CYCLE_1)
	s_cmp_eq_u32 s2, 1
	s_cselect_b32 s2, -1, 0
	s_and_b32 s4, s2, exec_lo
	s_cselect_b32 s4, s13, s12
	s_cselect_b32 s5, s12, s13
	s_delay_alu instid0(SALU_CYCLE_1)
	s_cmp_gt_i32 s4, s5
	s_cbranch_scc1 .LBB1860_17
; %bb.2:
	v_cmp_lt_i64_e64 s4, s[16:17], 1
	s_delay_alu instid0(VALU_DEP_1)
	s_and_b32 vcc_lo, exec_lo, s4
	s_cbranch_vccnz .LBB1860_17
; %bb.3:
	s_load_b256 s[4:11], s[0:1], 0x48
	v_bfe_u32 v10, v0, 10, 10
	v_mov_b32_e32 v1, 0
	v_and_b32_e32 v11, 0x3ff, v0
	s_mov_b32 s34, s3
	s_delay_alu instid0(VALU_DEP_2) | instskip(NEXT) | instid1(VALU_DEP_2)
	v_dual_mov_b32 v3, v1 :: v_dual_add_nc_u32 v2, s12, v10
	v_mad_u64_u32 v[4:5], null, s30, v11, 0
	v_add_nc_u32_e32 v0, s13, v11
	s_delay_alu instid0(VALU_DEP_3) | instskip(NEXT) | instid1(VALU_DEP_2)
	v_ashrrev_i32_e32 v6, 31, v2
	v_cndmask_b32_e64 v15, v0, v2, s2
	v_cndmask_b32_e64 v16, v2, v0, s2
	v_max_i32_e32 v17, v0, v2
	s_waitcnt lgkmcnt(0)
	v_mul_lo_u32 v18, v6, s8
	v_mad_u64_u32 v[6:7], null, v2, s8, 0
	v_mul_lo_u32 v19, v2, s9
	s_mul_i32 s1, s15, s5
	s_mul_hi_u32 s2, s15, s4
	s_mul_i32 s0, s15, s4
	s_add_i32 s1, s2, s1
	s_mul_i32 s5, s15, s11
	s_delay_alu instid0(VALU_DEP_2) | instskip(NEXT) | instid1(VALU_DEP_2)
	v_mad_u64_u32 v[8:9], null, s31, v11, v[5:6]
	v_add3_u32 v7, v7, v19, v18
	s_lshl_b64 s[0:1], s[0:1], 4
	v_lshlrev_b32_e32 v14, 4, v10
	s_mul_hi_u32 s2, s15, s10
	s_mul_i32 s4, s15, s10
	s_add_u32 s10, s28, s0
	s_delay_alu instid0(VALU_DEP_3)
	v_mov_b32_e32 v5, v8
	s_addc_u32 s11, s29, s1
	s_add_i32 s5, s2, s5
	v_mov_b32_e32 v8, v0
	v_lshlrev_b64 v[6:7], 4, v[6:7]
	v_mad_u64_u32 v[18:19], null, s30, v10, 0
	v_mad_u64_u32 v[20:21], null, s24, v11, 0
	v_cmp_gt_i32_e32 vcc_lo, s3, v17
	v_cmp_le_i32_e64 s2, v16, v15
	s_lshl_b64 s[0:1], s[4:5], 4
	v_lshlrev_b32_e32 v12, 9, v11
	v_or_b32_e32 v13, 0x4000, v14
	v_ashrrev_i32_e32 v9, 31, v0
	s_add_u32 s4, s6, s0
	s_addc_u32 s5, s7, s1
	s_and_b32 s8, s2, vcc_lo
	v_add_co_u32 v16, vcc_lo, s4, v6
	v_add_co_ci_u32_e32 v17, vcc_lo, s5, v7, vcc_lo
	v_lshlrev_b64 v[6:7], 4, v[8:9]
	v_mov_b32_e32 v9, v21
	v_dual_mov_b32 v8, v19 :: v_dual_add_nc_u32 v15, v13, v12
	s_ashr_i32 s35, s3, 31
	v_lshlrev_b64 v[4:5], 4, v[4:5]
	v_cmp_gt_i64_e64 s1, s[34:35], v[2:3]
	v_lshlrev_b64 v[2:3], 4, v[2:3]
	v_mad_u64_u32 v[21:22], null, s31, v10, v[8:9]
	v_mad_u64_u32 v[22:23], null, s25, v11, v[9:10]
	;; [unrolled: 1-line block ×3, first 2 shown]
	s_delay_alu instid0(VALU_DEP_4) | instskip(SKIP_1) | instid1(VALU_DEP_1)
	v_add_co_u32 v4, vcc_lo, v4, v2
	v_add_co_u32 v8, s2, v16, v6
	v_add_co_ci_u32_e64 v9, s2, v17, v7, s2
	s_delay_alu instid0(VALU_DEP_3) | instskip(SKIP_4) | instid1(VALU_DEP_4)
	v_or_b32_e32 v17, 8, v4
	v_mov_b32_e32 v4, v24
	v_dual_mov_b32 v19, v21 :: v_dual_add_nc_u32 v14, v12, v14
	v_add_co_ci_u32_e32 v16, vcc_lo, v5, v3, vcc_lo
	v_mov_b32_e32 v21, v22
	v_mad_u64_u32 v[5:6], null, s25, v10, v[4:5]
	v_cmp_gt_i64_e64 s0, s[34:35], v[0:1]
	v_lshlrev_b64 v[6:7], 4, v[18:19]
	v_lshlrev_b64 v[0:1], 4, v[0:1]
	;; [unrolled: 1-line block ×3, first 2 shown]
	s_mul_i32 s4, s27, s15
	s_mul_hi_u32 s5, s26, s15
	v_mov_b32_e32 v24, v5
	s_add_i32 s5, s5, s4
	v_add_co_u32 v18, vcc_lo, v6, v0
	v_add_co_ci_u32_e32 v19, vcc_lo, v7, v1, vcc_lo
	s_delay_alu instid0(VALU_DEP_3) | instskip(SKIP_4) | instid1(VALU_DEP_3)
	v_lshlrev_b64 v[4:5], 4, v[23:24]
	v_add_co_u32 v20, vcc_lo, v20, v2
	s_mul_i32 s4, s26, s15
	v_add_co_ci_u32_e32 v21, vcc_lo, v21, v3, vcc_lo
	s_lshl_b64 s[4:5], s[4:5], 4
	v_add_co_u32 v22, vcc_lo, v4, v0
	s_lshl_b64 s[2:3], s[30:31], 9
	s_add_u32 s4, s4, s22
	v_add_co_ci_u32_e32 v23, vcc_lo, v5, v1, vcc_lo
	s_addc_u32 s5, s5, s23
	s_add_u32 s9, s4, 8
	s_addc_u32 s12, s5, 0
	s_lshl_b64 s[4:5], s[24:25], 9
	s_mov_b64 s[6:7], 0
	s_branch .LBB1860_5
.LBB1860_4:                             ;   in Loop: Header=BB1860_5 Depth=1
	s_or_b32 exec_lo, exec_lo, s13
	s_add_u32 s6, s6, 32
	s_addc_u32 s7, s7, 0
	s_add_u32 s10, s10, s2
	v_cmp_lt_i64_e64 s13, s[6:7], s[16:17]
	s_addc_u32 s11, s11, s3
	s_add_u32 s9, s9, s4
	s_addc_u32 s12, s12, s5
	s_waitcnt_vscnt null, 0x0
	s_barrier
	s_and_b32 vcc_lo, exec_lo, s13
	buffer_gl0_inv
	s_cbranch_vccz .LBB1860_17
.LBB1860_5:                             ; =>This Inner Loop Header: Depth=1
	v_add_co_u32 v2, s13, v10, s6
	s_delay_alu instid0(VALU_DEP_1) | instskip(SKIP_2) | instid1(VALU_DEP_3)
	v_add_co_ci_u32_e64 v3, null, 0, s7, s13
	v_mov_b32_e32 v0, 0
	v_mov_b32_e32 v1, 0
	v_cmp_gt_i64_e32 vcc_lo, s[16:17], v[2:3]
	s_delay_alu instid0(VALU_DEP_2) | instskip(SKIP_2) | instid1(SALU_CYCLE_1)
	v_dual_mov_b32 v5, v1 :: v_dual_mov_b32 v4, v0
	v_dual_mov_b32 v7, v1 :: v_dual_mov_b32 v6, v0
	s_and_b32 s13, s0, vcc_lo
	s_and_saveexec_b32 s14, s13
	s_cbranch_execz .LBB1860_7
; %bb.6:                                ;   in Loop: Header=BB1860_5 Depth=1
	v_add_co_u32 v2, vcc_lo, s9, v22
	v_add_co_ci_u32_e32 v3, vcc_lo, s12, v23, vcc_lo
	global_load_b128 v[4:7], v[2:3], off offset:-8
.LBB1860_7:                             ;   in Loop: Header=BB1860_5 Depth=1
	s_or_b32 exec_lo, exec_lo, s14
	v_add_co_u32 v2, s14, v11, s6
	s_delay_alu instid0(VALU_DEP_1)
	v_add_co_ci_u32_e64 v3, null, 0, s7, s14
	s_waitcnt vmcnt(0)
	ds_store_b128 v14, v[4:7]
	v_cmp_gt_i64_e32 vcc_lo, s[16:17], v[2:3]
	v_dual_mov_b32 v3, v1 :: v_dual_mov_b32 v2, v0
	s_and_b32 s14, s1, vcc_lo
	s_delay_alu instid0(SALU_CYCLE_1)
	s_and_saveexec_b32 s15, s14
	s_cbranch_execz .LBB1860_9
; %bb.8:                                ;   in Loop: Header=BB1860_5 Depth=1
	v_add_co_u32 v0, vcc_lo, s10, v17
	v_add_co_ci_u32_e32 v1, vcc_lo, s11, v16, vcc_lo
	global_load_b128 v[0:3], v[0:1], off offset:-8
.LBB1860_9:                             ;   in Loop: Header=BB1860_5 Depth=1
	s_or_b32 exec_lo, exec_lo, s15
	s_waitcnt vmcnt(0)
	ds_store_b128 v15, v[0:3]
	s_waitcnt lgkmcnt(0)
	s_barrier
	buffer_gl0_inv
	s_and_saveexec_b32 s15, s8
	s_cbranch_execz .LBB1860_11
; %bb.10:                               ;   in Loop: Header=BB1860_5 Depth=1
	ds_load_b128 v[0:3], v13
	ds_load_b128 v[4:7], v12
	ds_load_b128 v[24:27], v12 offset:16
	ds_load_b128 v[28:31], v13 offset:512
	s_waitcnt lgkmcnt(2)
	v_mul_f64 v[32:33], v[0:1], v[6:7]
	v_mul_f64 v[6:7], v[2:3], v[6:7]
	s_waitcnt lgkmcnt(0)
	v_mul_f64 v[48:49], v[28:29], v[26:27]
	v_mul_f64 v[26:27], v[30:31], v[26:27]
	s_delay_alu instid0(VALU_DEP_4)
	v_fma_f64 v[2:3], v[2:3], v[4:5], v[32:33]
	ds_load_b128 v[32:35], v13 offset:1024
	ds_load_b128 v[36:39], v12 offset:32
	;; [unrolled: 1-line block ×4, first 2 shown]
	v_fma_f64 v[0:1], v[0:1], v[4:5], -v[6:7]
	v_fma_f64 v[4:5], v[30:31], v[24:25], v[48:49]
	v_fma_f64 v[52:53], v[28:29], v[24:25], -v[26:27]
	s_waitcnt lgkmcnt(2)
	v_mul_f64 v[50:51], v[32:33], v[38:39]
	v_mul_f64 v[38:39], v[34:35], v[38:39]
	s_waitcnt lgkmcnt(0)
	v_mul_f64 v[48:49], v[44:45], v[42:43]
	v_mul_f64 v[42:43], v[46:47], v[42:43]
	v_add_f64 v[2:3], v[2:3], 0
	v_fma_f64 v[34:35], v[34:35], v[36:37], v[50:51]
	v_add_f64 v[50:51], v[0:1], 0
	v_fma_f64 v[32:33], v[32:33], v[36:37], -v[38:39]
	v_fma_f64 v[36:37], v[46:47], v[40:41], v[48:49]
	v_add_f64 v[54:55], v[2:3], v[4:5]
	ds_load_b128 v[0:3], v12 offset:64
	ds_load_b128 v[4:7], v13 offset:2048
	ds_load_b128 v[24:27], v13 offset:2560
	ds_load_b128 v[28:31], v12 offset:80
	s_waitcnt lgkmcnt(2)
	v_mul_f64 v[56:57], v[4:5], v[2:3]
	v_add_f64 v[38:39], v[50:51], v[52:53]
	v_mul_f64 v[2:3], v[6:7], v[2:3]
	s_waitcnt lgkmcnt(0)
	v_mul_f64 v[48:49], v[24:25], v[30:31]
	v_fma_f64 v[50:51], v[44:45], v[40:41], -v[42:43]
	v_mul_f64 v[30:31], v[26:27], v[30:31]
	v_add_f64 v[34:35], v[54:55], v[34:35]
	v_fma_f64 v[6:7], v[6:7], v[0:1], v[56:57]
	v_add_f64 v[52:53], v[38:39], v[32:33]
	v_fma_f64 v[0:1], v[4:5], v[0:1], -v[2:3]
	v_fma_f64 v[2:3], v[26:27], v[28:29], v[48:49]
	v_add_f64 v[54:55], v[34:35], v[36:37]
	ds_load_b128 v[32:35], v12 offset:96
	ds_load_b128 v[36:39], v13 offset:3072
	ds_load_b128 v[40:43], v13 offset:3584
	ds_load_b128 v[44:47], v12 offset:112
	s_waitcnt lgkmcnt(2)
	v_mul_f64 v[56:57], v[36:37], v[34:35]
	v_add_f64 v[4:5], v[52:53], v[50:51]
	v_mul_f64 v[34:35], v[38:39], v[34:35]
	s_waitcnt lgkmcnt(0)
	v_mul_f64 v[48:49], v[40:41], v[46:47]
	v_fma_f64 v[50:51], v[24:25], v[28:29], -v[30:31]
	v_mul_f64 v[46:47], v[42:43], v[46:47]
	v_add_f64 v[6:7], v[54:55], v[6:7]
	v_fma_f64 v[38:39], v[38:39], v[32:33], v[56:57]
	v_add_f64 v[52:53], v[4:5], v[0:1]
	v_fma_f64 v[32:33], v[36:37], v[32:33], -v[34:35]
	v_fma_f64 v[34:35], v[42:43], v[44:45], v[48:49]
	v_add_f64 v[54:55], v[6:7], v[2:3]
	ds_load_b128 v[0:3], v12 offset:128
	ds_load_b128 v[4:7], v13 offset:4096
	ds_load_b128 v[24:27], v13 offset:4608
	ds_load_b128 v[28:31], v12 offset:144
	s_waitcnt lgkmcnt(2)
	v_mul_f64 v[56:57], v[4:5], v[2:3]
	v_add_f64 v[36:37], v[52:53], v[50:51]
	v_mul_f64 v[2:3], v[6:7], v[2:3]
	s_waitcnt lgkmcnt(0)
	v_mul_f64 v[48:49], v[24:25], v[30:31]
	v_fma_f64 v[50:51], v[40:41], v[44:45], -v[46:47]
	v_mul_f64 v[30:31], v[26:27], v[30:31]
	v_add_f64 v[38:39], v[54:55], v[38:39]
	v_fma_f64 v[6:7], v[6:7], v[0:1], v[56:57]
	v_add_f64 v[52:53], v[36:37], v[32:33]
	v_fma_f64 v[0:1], v[4:5], v[0:1], -v[2:3]
	v_fma_f64 v[2:3], v[26:27], v[28:29], v[48:49]
	v_add_f64 v[54:55], v[38:39], v[34:35]
	ds_load_b128 v[32:35], v12 offset:160
	ds_load_b128 v[36:39], v13 offset:5120
	ds_load_b128 v[40:43], v13 offset:5632
	ds_load_b128 v[44:47], v12 offset:176
	s_waitcnt lgkmcnt(2)
	v_mul_f64 v[56:57], v[36:37], v[34:35]
	v_add_f64 v[4:5], v[52:53], v[50:51]
	v_mul_f64 v[34:35], v[38:39], v[34:35]
	s_waitcnt lgkmcnt(0)
	v_mul_f64 v[48:49], v[40:41], v[46:47]
	v_fma_f64 v[50:51], v[24:25], v[28:29], -v[30:31]
	v_mul_f64 v[46:47], v[42:43], v[46:47]
	v_add_f64 v[6:7], v[54:55], v[6:7]
	v_fma_f64 v[38:39], v[38:39], v[32:33], v[56:57]
	v_add_f64 v[52:53], v[4:5], v[0:1]
	v_fma_f64 v[32:33], v[36:37], v[32:33], -v[34:35]
	v_fma_f64 v[34:35], v[42:43], v[44:45], v[48:49]
	v_add_f64 v[54:55], v[6:7], v[2:3]
	ds_load_b128 v[0:3], v12 offset:192
	ds_load_b128 v[4:7], v13 offset:6144
	ds_load_b128 v[24:27], v13 offset:6656
	ds_load_b128 v[28:31], v12 offset:208
	s_waitcnt lgkmcnt(2)
	v_mul_f64 v[56:57], v[4:5], v[2:3]
	v_add_f64 v[36:37], v[52:53], v[50:51]
	v_mul_f64 v[2:3], v[6:7], v[2:3]
	s_waitcnt lgkmcnt(0)
	v_mul_f64 v[48:49], v[24:25], v[30:31]
	v_fma_f64 v[50:51], v[40:41], v[44:45], -v[46:47]
	v_mul_f64 v[30:31], v[26:27], v[30:31]
	v_add_f64 v[38:39], v[54:55], v[38:39]
	v_fma_f64 v[6:7], v[6:7], v[0:1], v[56:57]
	v_add_f64 v[52:53], v[36:37], v[32:33]
	v_fma_f64 v[0:1], v[4:5], v[0:1], -v[2:3]
	v_fma_f64 v[2:3], v[26:27], v[28:29], v[48:49]
	v_add_f64 v[54:55], v[38:39], v[34:35]
	ds_load_b128 v[32:35], v12 offset:224
	ds_load_b128 v[36:39], v13 offset:7168
	ds_load_b128 v[40:43], v13 offset:7680
	ds_load_b128 v[44:47], v12 offset:240
	s_waitcnt lgkmcnt(2)
	v_mul_f64 v[56:57], v[36:37], v[34:35]
	v_add_f64 v[4:5], v[52:53], v[50:51]
	v_mul_f64 v[34:35], v[38:39], v[34:35]
	s_waitcnt lgkmcnt(0)
	v_mul_f64 v[48:49], v[40:41], v[46:47]
	v_fma_f64 v[50:51], v[24:25], v[28:29], -v[30:31]
	v_mul_f64 v[46:47], v[42:43], v[46:47]
	v_add_f64 v[6:7], v[54:55], v[6:7]
	v_fma_f64 v[38:39], v[38:39], v[32:33], v[56:57]
	v_add_f64 v[52:53], v[4:5], v[0:1]
	v_fma_f64 v[32:33], v[36:37], v[32:33], -v[34:35]
	v_fma_f64 v[34:35], v[42:43], v[44:45], v[48:49]
	v_add_f64 v[54:55], v[6:7], v[2:3]
	ds_load_b128 v[0:3], v12 offset:256
	ds_load_b128 v[4:7], v13 offset:8192
	ds_load_b128 v[24:27], v13 offset:8704
	ds_load_b128 v[28:31], v12 offset:272
	s_waitcnt lgkmcnt(2)
	v_mul_f64 v[56:57], v[4:5], v[2:3]
	v_add_f64 v[36:37], v[52:53], v[50:51]
	v_mul_f64 v[2:3], v[6:7], v[2:3]
	s_waitcnt lgkmcnt(0)
	v_mul_f64 v[48:49], v[24:25], v[30:31]
	v_fma_f64 v[50:51], v[40:41], v[44:45], -v[46:47]
	v_mul_f64 v[30:31], v[26:27], v[30:31]
	v_add_f64 v[38:39], v[54:55], v[38:39]
	v_fma_f64 v[6:7], v[6:7], v[0:1], v[56:57]
	v_add_f64 v[52:53], v[36:37], v[32:33]
	v_fma_f64 v[0:1], v[4:5], v[0:1], -v[2:3]
	v_fma_f64 v[2:3], v[26:27], v[28:29], v[48:49]
	v_add_f64 v[54:55], v[38:39], v[34:35]
	ds_load_b128 v[32:35], v12 offset:288
	ds_load_b128 v[36:39], v13 offset:9216
	ds_load_b128 v[40:43], v13 offset:9728
	ds_load_b128 v[44:47], v12 offset:304
	s_waitcnt lgkmcnt(2)
	v_mul_f64 v[56:57], v[36:37], v[34:35]
	v_add_f64 v[4:5], v[52:53], v[50:51]
	v_mul_f64 v[34:35], v[38:39], v[34:35]
	s_waitcnt lgkmcnt(0)
	v_mul_f64 v[48:49], v[40:41], v[46:47]
	v_fma_f64 v[50:51], v[24:25], v[28:29], -v[30:31]
	v_mul_f64 v[46:47], v[42:43], v[46:47]
	v_add_f64 v[6:7], v[54:55], v[6:7]
	v_fma_f64 v[38:39], v[38:39], v[32:33], v[56:57]
	v_add_f64 v[52:53], v[4:5], v[0:1]
	v_fma_f64 v[32:33], v[36:37], v[32:33], -v[34:35]
	v_fma_f64 v[34:35], v[42:43], v[44:45], v[48:49]
	v_add_f64 v[54:55], v[6:7], v[2:3]
	ds_load_b128 v[0:3], v12 offset:320
	ds_load_b128 v[4:7], v13 offset:10240
	ds_load_b128 v[24:27], v13 offset:10752
	ds_load_b128 v[28:31], v12 offset:336
	s_waitcnt lgkmcnt(2)
	v_mul_f64 v[56:57], v[4:5], v[2:3]
	v_add_f64 v[36:37], v[52:53], v[50:51]
	v_mul_f64 v[2:3], v[6:7], v[2:3]
	s_waitcnt lgkmcnt(0)
	v_mul_f64 v[48:49], v[24:25], v[30:31]
	v_fma_f64 v[50:51], v[40:41], v[44:45], -v[46:47]
	v_mul_f64 v[30:31], v[26:27], v[30:31]
	v_add_f64 v[38:39], v[54:55], v[38:39]
	v_fma_f64 v[6:7], v[6:7], v[0:1], v[56:57]
	v_add_f64 v[52:53], v[36:37], v[32:33]
	v_fma_f64 v[0:1], v[4:5], v[0:1], -v[2:3]
	v_fma_f64 v[2:3], v[26:27], v[28:29], v[48:49]
	v_add_f64 v[54:55], v[38:39], v[34:35]
	ds_load_b128 v[32:35], v12 offset:352
	ds_load_b128 v[36:39], v13 offset:11264
	ds_load_b128 v[40:43], v13 offset:11776
	ds_load_b128 v[44:47], v12 offset:368
	s_waitcnt lgkmcnt(2)
	v_mul_f64 v[56:57], v[36:37], v[34:35]
	v_add_f64 v[4:5], v[52:53], v[50:51]
	v_mul_f64 v[34:35], v[38:39], v[34:35]
	s_waitcnt lgkmcnt(0)
	v_mul_f64 v[48:49], v[40:41], v[46:47]
	v_fma_f64 v[50:51], v[24:25], v[28:29], -v[30:31]
	v_mul_f64 v[46:47], v[42:43], v[46:47]
	v_add_f64 v[6:7], v[54:55], v[6:7]
	v_fma_f64 v[38:39], v[38:39], v[32:33], v[56:57]
	v_add_f64 v[52:53], v[4:5], v[0:1]
	v_fma_f64 v[32:33], v[36:37], v[32:33], -v[34:35]
	v_fma_f64 v[34:35], v[42:43], v[44:45], v[48:49]
	v_add_f64 v[54:55], v[6:7], v[2:3]
	ds_load_b128 v[0:3], v12 offset:384
	ds_load_b128 v[4:7], v13 offset:12288
	ds_load_b128 v[24:27], v13 offset:12800
	ds_load_b128 v[28:31], v12 offset:400
	s_waitcnt lgkmcnt(2)
	v_mul_f64 v[56:57], v[4:5], v[2:3]
	v_add_f64 v[36:37], v[52:53], v[50:51]
	v_mul_f64 v[2:3], v[6:7], v[2:3]
	s_waitcnt lgkmcnt(0)
	v_mul_f64 v[48:49], v[24:25], v[30:31]
	v_fma_f64 v[50:51], v[40:41], v[44:45], -v[46:47]
	v_mul_f64 v[30:31], v[26:27], v[30:31]
	v_add_f64 v[38:39], v[54:55], v[38:39]
	v_fma_f64 v[6:7], v[6:7], v[0:1], v[56:57]
	v_add_f64 v[52:53], v[36:37], v[32:33]
	v_fma_f64 v[0:1], v[4:5], v[0:1], -v[2:3]
	v_fma_f64 v[2:3], v[26:27], v[28:29], v[48:49]
	v_add_f64 v[54:55], v[38:39], v[34:35]
	ds_load_b128 v[32:35], v12 offset:416
	ds_load_b128 v[36:39], v13 offset:13312
	;; [unrolled: 1-line block ×4, first 2 shown]
	s_waitcnt lgkmcnt(2)
	v_mul_f64 v[56:57], v[36:37], v[34:35]
	v_add_f64 v[4:5], v[52:53], v[50:51]
	v_mul_f64 v[34:35], v[38:39], v[34:35]
	s_waitcnt lgkmcnt(0)
	v_mul_f64 v[52:53], v[40:41], v[46:47]
	v_mul_f64 v[46:47], v[42:43], v[46:47]
	v_add_f64 v[6:7], v[54:55], v[6:7]
	v_fma_f64 v[54:55], v[24:25], v[28:29], -v[30:31]
	v_fma_f64 v[38:39], v[38:39], v[32:33], v[56:57]
	v_add_f64 v[56:57], v[4:5], v[0:1]
	v_fma_f64 v[32:33], v[36:37], v[32:33], -v[34:35]
	v_fma_f64 v[34:35], v[42:43], v[44:45], v[52:53]
	v_add_f64 v[58:59], v[6:7], v[2:3]
	ds_load_b128 v[0:3], v12 offset:448
	ds_load_b128 v[4:7], v13 offset:14336
	global_load_b128 v[24:27], v[8:9], off
	ds_load_b128 v[28:31], v13 offset:14848
	ds_load_b128 v[48:51], v12 offset:464
	v_add_f64 v[36:37], v[56:57], v[54:55]
	s_waitcnt lgkmcnt(2)
	v_mul_f64 v[60:61], v[4:5], v[2:3]
	v_mul_f64 v[2:3], v[6:7], v[2:3]
	s_waitcnt lgkmcnt(0)
	v_mul_f64 v[52:53], v[28:29], v[50:51]
	v_fma_f64 v[54:55], v[40:41], v[44:45], -v[46:47]
	v_mul_f64 v[50:51], v[30:31], v[50:51]
	v_add_f64 v[38:39], v[58:59], v[38:39]
	v_add_f64 v[56:57], v[36:37], v[32:33]
	v_fma_f64 v[6:7], v[6:7], v[0:1], v[60:61]
	v_fma_f64 v[0:1], v[4:5], v[0:1], -v[2:3]
	v_fma_f64 v[2:3], v[30:31], v[48:49], v[52:53]
	v_fma_f64 v[28:29], v[28:29], v[48:49], -v[50:51]
	v_add_f64 v[58:59], v[38:39], v[34:35]
	ds_load_b128 v[32:35], v12 offset:480
	ds_load_b128 v[36:39], v13 offset:15360
	;; [unrolled: 1-line block ×4, first 2 shown]
	s_waitcnt lgkmcnt(2)
	v_mul_f64 v[60:61], v[36:37], v[34:35]
	v_add_f64 v[4:5], v[56:57], v[54:55]
	v_mul_f64 v[30:31], v[38:39], v[34:35]
	s_waitcnt lgkmcnt(0)
	v_mul_f64 v[34:35], v[40:41], v[46:47]
	v_add_f64 v[6:7], v[58:59], v[6:7]
	v_fma_f64 v[38:39], v[38:39], v[32:33], v[60:61]
	v_add_f64 v[0:1], v[4:5], v[0:1]
	v_mul_f64 v[4:5], v[42:43], v[46:47]
	s_delay_alu instid0(VALU_DEP_4)
	v_add_f64 v[2:3], v[6:7], v[2:3]
	v_fma_f64 v[6:7], v[36:37], v[32:33], -v[30:31]
	v_fma_f64 v[30:31], v[42:43], v[44:45], v[34:35]
	v_add_f64 v[0:1], v[0:1], v[28:29]
	v_fma_f64 v[4:5], v[40:41], v[44:45], -v[4:5]
	v_add_f64 v[2:3], v[2:3], v[38:39]
	s_delay_alu instid0(VALU_DEP_3) | instskip(NEXT) | instid1(VALU_DEP_2)
	v_add_f64 v[0:1], v[0:1], v[6:7]
	v_add_f64 v[2:3], v[2:3], v[30:31]
	s_delay_alu instid0(VALU_DEP_2) | instskip(NEXT) | instid1(VALU_DEP_2)
	v_add_f64 v[0:1], v[0:1], v[4:5]
	v_mul_f64 v[4:5], s[20:21], v[2:3]
	v_mul_f64 v[2:3], s[18:19], v[2:3]
	s_delay_alu instid0(VALU_DEP_2) | instskip(NEXT) | instid1(VALU_DEP_2)
	v_fma_f64 v[4:5], s[18:19], v[0:1], -v[4:5]
	v_fma_f64 v[2:3], s[20:21], v[0:1], v[2:3]
	s_waitcnt vmcnt(0)
	s_delay_alu instid0(VALU_DEP_2) | instskip(NEXT) | instid1(VALU_DEP_2)
	v_add_f64 v[0:1], v[24:25], v[4:5]
	v_add_f64 v[2:3], v[26:27], v[2:3]
	global_store_b128 v[8:9], v[0:3], off
.LBB1860_11:                            ;   in Loop: Header=BB1860_5 Depth=1
	s_or_b32 exec_lo, exec_lo, s15
	v_mov_b32_e32 v2, 0
	v_mov_b32_e32 v3, 0
	s_waitcnt_vscnt null, 0x0
	s_barrier
	buffer_gl0_inv
	v_dual_mov_b32 v7, v3 :: v_dual_mov_b32 v6, v2
	v_dual_mov_b32 v5, v3 :: v_dual_mov_b32 v4, v2
	s_and_saveexec_b32 s15, s13
	s_cbranch_execz .LBB1860_13
; %bb.12:                               ;   in Loop: Header=BB1860_5 Depth=1
	v_add_co_u32 v0, vcc_lo, s10, v18
	v_add_co_ci_u32_e32 v1, vcc_lo, s11, v19, vcc_lo
	global_load_b128 v[4:7], v[0:1], off
.LBB1860_13:                            ;   in Loop: Header=BB1860_5 Depth=1
	s_or_b32 exec_lo, exec_lo, s15
	v_dual_mov_b32 v0, v2 :: v_dual_mov_b32 v1, v3
	s_waitcnt vmcnt(0)
	ds_store_b128 v14, v[4:7]
	s_and_saveexec_b32 s13, s14
	s_cbranch_execz .LBB1860_15
; %bb.14:                               ;   in Loop: Header=BB1860_5 Depth=1
	v_add_co_u32 v0, vcc_lo, s9, v20
	v_add_co_ci_u32_e32 v1, vcc_lo, s12, v21, vcc_lo
	global_load_b128 v[0:3], v[0:1], off offset:-8
.LBB1860_15:                            ;   in Loop: Header=BB1860_5 Depth=1
	s_or_b32 exec_lo, exec_lo, s13
	s_waitcnt vmcnt(0)
	ds_store_b128 v15, v[0:3]
	s_waitcnt lgkmcnt(0)
	s_barrier
	buffer_gl0_inv
	s_and_saveexec_b32 s13, s8
	s_cbranch_execz .LBB1860_4
; %bb.16:                               ;   in Loop: Header=BB1860_5 Depth=1
	ds_load_b128 v[0:3], v13
	ds_load_b128 v[4:7], v12
	ds_load_b128 v[24:27], v12 offset:16
	ds_load_b128 v[28:31], v13 offset:512
	s_waitcnt lgkmcnt(2)
	v_mul_f64 v[32:33], v[0:1], v[6:7]
	v_mul_f64 v[6:7], v[2:3], v[6:7]
	s_waitcnt lgkmcnt(0)
	v_mul_f64 v[40:41], v[30:31], v[26:27]
	v_mul_f64 v[26:27], v[28:29], v[26:27]
	s_delay_alu instid0(VALU_DEP_4) | instskip(NEXT) | instid1(VALU_DEP_4)
	v_fma_f64 v[42:43], v[2:3], v[4:5], v[32:33]
	v_fma_f64 v[44:45], v[0:1], v[4:5], -v[6:7]
	ds_load_b128 v[0:3], v13 offset:1024
	ds_load_b128 v[4:7], v12 offset:32
	;; [unrolled: 1-line block ×4, first 2 shown]
	v_fma_f64 v[28:29], v[28:29], v[24:25], -v[40:41]
	v_fma_f64 v[24:25], v[30:31], v[24:25], v[26:27]
	s_waitcnt lgkmcnt(2)
	v_mul_f64 v[46:47], v[2:3], v[6:7]
	v_mul_f64 v[6:7], v[0:1], v[6:7]
	s_waitcnt lgkmcnt(0)
	v_mul_f64 v[40:41], v[38:39], v[34:35]
	v_mul_f64 v[34:35], v[36:37], v[34:35]
	v_add_f64 v[26:27], v[42:43], 0
	v_add_f64 v[30:31], v[44:45], 0
	v_fma_f64 v[42:43], v[0:1], v[4:5], -v[46:47]
	v_fma_f64 v[44:45], v[2:3], v[4:5], v[6:7]
	v_fma_f64 v[36:37], v[36:37], v[32:33], -v[40:41]
	v_fma_f64 v[32:33], v[38:39], v[32:33], v[34:35]
	v_add_f64 v[46:47], v[26:27], v[24:25]
	v_add_f64 v[48:49], v[30:31], v[28:29]
	ds_load_b128 v[0:3], v12 offset:64
	ds_load_b128 v[4:7], v13 offset:2048
	ds_load_b128 v[24:27], v13 offset:2560
	ds_load_b128 v[28:31], v12 offset:80
	s_waitcnt lgkmcnt(2)
	v_mul_f64 v[50:51], v[6:7], v[2:3]
	v_mul_f64 v[2:3], v[4:5], v[2:3]
	s_waitcnt lgkmcnt(0)
	v_mul_f64 v[40:41], v[26:27], v[30:31]
	v_add_f64 v[34:35], v[46:47], v[44:45]
	v_add_f64 v[38:39], v[48:49], v[42:43]
	v_mul_f64 v[42:43], v[24:25], v[30:31]
	v_fma_f64 v[44:45], v[4:5], v[0:1], -v[50:51]
	v_fma_f64 v[46:47], v[6:7], v[0:1], v[2:3]
	v_fma_f64 v[24:25], v[24:25], v[28:29], -v[40:41]
	v_add_f64 v[48:49], v[34:35], v[32:33]
	v_add_f64 v[38:39], v[38:39], v[36:37]
	ds_load_b128 v[0:3], v12 offset:96
	ds_load_b128 v[4:7], v13 offset:3072
	ds_load_b128 v[30:33], v13 offset:3584
	ds_load_b128 v[34:37], v12 offset:112
	v_fma_f64 v[26:27], v[26:27], v[28:29], v[42:43]
	s_waitcnt lgkmcnt(2)
	v_mul_f64 v[50:51], v[6:7], v[2:3]
	v_mul_f64 v[2:3], v[4:5], v[2:3]
	s_waitcnt lgkmcnt(0)
	v_mul_f64 v[40:41], v[32:33], v[36:37]
	v_mul_f64 v[42:43], v[30:31], v[36:37]
	v_add_f64 v[28:29], v[48:49], v[46:47]
	v_add_f64 v[38:39], v[38:39], v[44:45]
	v_fma_f64 v[44:45], v[4:5], v[0:1], -v[50:51]
	v_fma_f64 v[46:47], v[6:7], v[0:1], v[2:3]
	v_fma_f64 v[30:31], v[30:31], v[34:35], -v[40:41]
	v_fma_f64 v[32:33], v[32:33], v[34:35], v[42:43]
	v_add_f64 v[28:29], v[28:29], v[26:27]
	v_add_f64 v[48:49], v[38:39], v[24:25]
	ds_load_b128 v[0:3], v12 offset:128
	ds_load_b128 v[4:7], v13 offset:4096
	ds_load_b128 v[24:27], v13 offset:4608
	ds_load_b128 v[36:39], v12 offset:144
	s_waitcnt lgkmcnt(2)
	v_mul_f64 v[50:51], v[6:7], v[2:3]
	v_mul_f64 v[2:3], v[4:5], v[2:3]
	s_waitcnt lgkmcnt(0)
	v_mul_f64 v[40:41], v[26:27], v[38:39]
	v_mul_f64 v[38:39], v[24:25], v[38:39]
	v_add_f64 v[28:29], v[28:29], v[46:47]
	v_add_f64 v[34:35], v[48:49], v[44:45]
	v_fma_f64 v[42:43], v[4:5], v[0:1], -v[50:51]
	v_fma_f64 v[44:45], v[6:7], v[0:1], v[2:3]
	v_fma_f64 v[24:25], v[24:25], v[36:37], -v[40:41]
	v_fma_f64 v[26:27], v[26:27], v[36:37], v[38:39]
	v_add_f64 v[46:47], v[28:29], v[32:33]
	v_add_f64 v[48:49], v[34:35], v[30:31]
	ds_load_b128 v[0:3], v12 offset:160
	ds_load_b128 v[4:7], v13 offset:5120
	ds_load_b128 v[28:31], v13 offset:5632
	ds_load_b128 v[32:35], v12 offset:176
	s_waitcnt lgkmcnt(2)
	v_mul_f64 v[50:51], v[6:7], v[2:3]
	v_mul_f64 v[2:3], v[4:5], v[2:3]
	s_waitcnt lgkmcnt(0)
	v_mul_f64 v[40:41], v[30:31], v[34:35]
	v_add_f64 v[36:37], v[46:47], v[44:45]
	v_add_f64 v[38:39], v[48:49], v[42:43]
	v_mul_f64 v[42:43], v[28:29], v[34:35]
	v_fma_f64 v[44:45], v[4:5], v[0:1], -v[50:51]
	v_fma_f64 v[46:47], v[6:7], v[0:1], v[2:3]
	v_fma_f64 v[28:29], v[28:29], v[32:33], -v[40:41]
	v_add_f64 v[48:49], v[36:37], v[26:27]
	v_add_f64 v[38:39], v[38:39], v[24:25]
	ds_load_b128 v[0:3], v12 offset:192
	ds_load_b128 v[4:7], v13 offset:6144
	ds_load_b128 v[24:27], v13 offset:6656
	ds_load_b128 v[34:37], v12 offset:208
	v_fma_f64 v[30:31], v[30:31], v[32:33], v[42:43]
	s_waitcnt lgkmcnt(2)
	v_mul_f64 v[50:51], v[6:7], v[2:3]
	v_mul_f64 v[2:3], v[4:5], v[2:3]
	s_waitcnt lgkmcnt(0)
	v_mul_f64 v[40:41], v[26:27], v[36:37]
	v_mul_f64 v[42:43], v[24:25], v[36:37]
	v_add_f64 v[32:33], v[48:49], v[46:47]
	v_add_f64 v[38:39], v[38:39], v[44:45]
	v_fma_f64 v[44:45], v[4:5], v[0:1], -v[50:51]
	v_fma_f64 v[46:47], v[6:7], v[0:1], v[2:3]
	v_fma_f64 v[24:25], v[24:25], v[34:35], -v[40:41]
	v_fma_f64 v[26:27], v[26:27], v[34:35], v[42:43]
	v_add_f64 v[32:33], v[32:33], v[30:31]
	v_add_f64 v[48:49], v[38:39], v[28:29]
	ds_load_b128 v[0:3], v12 offset:224
	ds_load_b128 v[4:7], v13 offset:7168
	ds_load_b128 v[28:31], v13 offset:7680
	ds_load_b128 v[36:39], v12 offset:240
	;; [unrolled: 54-line block ×4, first 2 shown]
	s_waitcnt lgkmcnt(2)
	v_mul_f64 v[50:51], v[6:7], v[2:3]
	v_mul_f64 v[2:3], v[4:5], v[2:3]
	s_waitcnt lgkmcnt(0)
	v_mul_f64 v[42:43], v[30:31], v[38:39]
	v_add_f64 v[32:33], v[32:33], v[46:47]
	v_add_f64 v[34:35], v[48:49], v[44:45]
	v_mul_f64 v[44:45], v[28:29], v[38:39]
	v_fma_f64 v[46:47], v[4:5], v[0:1], -v[50:51]
	v_fma_f64 v[48:49], v[6:7], v[0:1], v[2:3]
	ds_load_b128 v[0:3], v12 offset:448
	ds_load_b128 v[4:7], v13 offset:14336
	v_fma_f64 v[28:29], v[28:29], v[36:37], -v[42:43]
	v_add_f64 v[50:51], v[32:33], v[26:27]
	v_add_f64 v[52:53], v[34:35], v[24:25]
	global_load_b128 v[24:27], v[8:9], off
	v_fma_f64 v[30:31], v[30:31], v[36:37], v[44:45]
	s_waitcnt lgkmcnt(0)
	v_mul_f64 v[54:55], v[6:7], v[2:3]
	v_mul_f64 v[2:3], v[4:5], v[2:3]
	ds_load_b128 v[32:35], v13 offset:14848
	ds_load_b128 v[38:41], v12 offset:464
	s_waitcnt lgkmcnt(0)
	v_mul_f64 v[44:45], v[34:35], v[40:41]
	v_add_f64 v[36:37], v[50:51], v[48:49]
	v_add_f64 v[42:43], v[52:53], v[46:47]
	v_mul_f64 v[46:47], v[32:33], v[40:41]
	v_fma_f64 v[48:49], v[4:5], v[0:1], -v[54:55]
	v_fma_f64 v[50:51], v[6:7], v[0:1], v[2:3]
	v_fma_f64 v[32:33], v[32:33], v[38:39], -v[44:45]
	v_add_f64 v[36:37], v[36:37], v[30:31]
	v_add_f64 v[52:53], v[42:43], v[28:29]
	ds_load_b128 v[0:3], v12 offset:480
	ds_load_b128 v[4:7], v13 offset:15360
	;; [unrolled: 1-line block ×4, first 2 shown]
	v_fma_f64 v[34:35], v[34:35], v[38:39], v[46:47]
	s_waitcnt lgkmcnt(2)
	v_mul_f64 v[54:55], v[6:7], v[2:3]
	v_mul_f64 v[2:3], v[4:5], v[2:3]
	s_waitcnt lgkmcnt(0)
	v_mul_f64 v[44:45], v[30:31], v[42:43]
	v_mul_f64 v[42:43], v[28:29], v[42:43]
	v_add_f64 v[36:37], v[36:37], v[50:51]
	v_add_f64 v[38:39], v[52:53], v[48:49]
	v_fma_f64 v[4:5], v[4:5], v[0:1], -v[54:55]
	v_fma_f64 v[0:1], v[6:7], v[0:1], v[2:3]
	v_fma_f64 v[28:29], v[28:29], v[40:41], -v[44:45]
	v_fma_f64 v[30:31], v[30:31], v[40:41], v[42:43]
	v_add_f64 v[2:3], v[36:37], v[34:35]
	v_add_f64 v[6:7], v[38:39], v[32:33]
	s_delay_alu instid0(VALU_DEP_2) | instskip(NEXT) | instid1(VALU_DEP_2)
	v_add_f64 v[0:1], v[2:3], v[0:1]
	v_add_f64 v[2:3], v[6:7], v[4:5]
	s_delay_alu instid0(VALU_DEP_2) | instskip(NEXT) | instid1(VALU_DEP_2)
	;; [unrolled: 3-line block ×3, first 2 shown]
	v_mul_f64 v[4:5], s[20:21], v[0:1]
	v_mul_f64 v[6:7], s[20:21], v[2:3]
	s_delay_alu instid0(VALU_DEP_2) | instskip(NEXT) | instid1(VALU_DEP_2)
	v_fma_f64 v[2:3], s[18:19], v[2:3], -v[4:5]
	v_fma_f64 v[4:5], s[18:19], v[0:1], v[6:7]
	s_waitcnt vmcnt(0)
	s_delay_alu instid0(VALU_DEP_2) | instskip(NEXT) | instid1(VALU_DEP_2)
	v_add_f64 v[0:1], v[24:25], v[2:3]
	v_add_f64 v[2:3], v[26:27], v[4:5]
	global_store_b128 v[8:9], v[0:3], off
	s_branch .LBB1860_4
.LBB1860_17:
	s_endpgm
	.section	.rodata,"a",@progbits
	.p2align	6, 0x0
	.amdhsa_kernel _ZL26rocblas_syr2k_her2k_kernelIlLb1ELb0ELb0ELi32E19rocblas_complex_numIdEPKS1_PS1_EvbiT_T4_T5_S5_lS7_S5_lT6_S5_li
		.amdhsa_group_segment_fixed_size 32768
		.amdhsa_private_segment_fixed_size 0
		.amdhsa_kernarg_size 108
		.amdhsa_user_sgpr_count 13
		.amdhsa_user_sgpr_dispatch_ptr 0
		.amdhsa_user_sgpr_queue_ptr 0
		.amdhsa_user_sgpr_kernarg_segment_ptr 1
		.amdhsa_user_sgpr_dispatch_id 0
		.amdhsa_user_sgpr_private_segment_size 0
		.amdhsa_wavefront_size32 1
		.amdhsa_uses_dynamic_stack 0
		.amdhsa_enable_private_segment 0
		.amdhsa_system_sgpr_workgroup_id_x 1
		.amdhsa_system_sgpr_workgroup_id_y 1
		.amdhsa_system_sgpr_workgroup_id_z 1
		.amdhsa_system_sgpr_workgroup_info 0
		.amdhsa_system_vgpr_workitem_id 1
		.amdhsa_next_free_vgpr 62
		.amdhsa_next_free_sgpr 36
		.amdhsa_reserve_vcc 1
		.amdhsa_float_round_mode_32 0
		.amdhsa_float_round_mode_16_64 0
		.amdhsa_float_denorm_mode_32 3
		.amdhsa_float_denorm_mode_16_64 3
		.amdhsa_dx10_clamp 1
		.amdhsa_ieee_mode 1
		.amdhsa_fp16_overflow 0
		.amdhsa_workgroup_processor_mode 1
		.amdhsa_memory_ordered 1
		.amdhsa_forward_progress 0
		.amdhsa_shared_vgpr_count 0
		.amdhsa_exception_fp_ieee_invalid_op 0
		.amdhsa_exception_fp_denorm_src 0
		.amdhsa_exception_fp_ieee_div_zero 0
		.amdhsa_exception_fp_ieee_overflow 0
		.amdhsa_exception_fp_ieee_underflow 0
		.amdhsa_exception_fp_ieee_inexact 0
		.amdhsa_exception_int_div_zero 0
	.end_amdhsa_kernel
	.section	.text._ZL26rocblas_syr2k_her2k_kernelIlLb1ELb0ELb0ELi32E19rocblas_complex_numIdEPKS1_PS1_EvbiT_T4_T5_S5_lS7_S5_lT6_S5_li,"axG",@progbits,_ZL26rocblas_syr2k_her2k_kernelIlLb1ELb0ELb0ELi32E19rocblas_complex_numIdEPKS1_PS1_EvbiT_T4_T5_S5_lS7_S5_lT6_S5_li,comdat
.Lfunc_end1860:
	.size	_ZL26rocblas_syr2k_her2k_kernelIlLb1ELb0ELb0ELi32E19rocblas_complex_numIdEPKS1_PS1_EvbiT_T4_T5_S5_lS7_S5_lT6_S5_li, .Lfunc_end1860-_ZL26rocblas_syr2k_her2k_kernelIlLb1ELb0ELb0ELi32E19rocblas_complex_numIdEPKS1_PS1_EvbiT_T4_T5_S5_lS7_S5_lT6_S5_li
                                        ; -- End function
	.section	.AMDGPU.csdata,"",@progbits
; Kernel info:
; codeLenInByte = 5644
; NumSgprs: 38
; NumVgprs: 62
; ScratchSize: 0
; MemoryBound: 1
; FloatMode: 240
; IeeeMode: 1
; LDSByteSize: 32768 bytes/workgroup (compile time only)
; SGPRBlocks: 4
; VGPRBlocks: 7
; NumSGPRsForWavesPerEU: 38
; NumVGPRsForWavesPerEU: 62
; Occupancy: 16
; WaveLimiterHint : 0
; COMPUTE_PGM_RSRC2:SCRATCH_EN: 0
; COMPUTE_PGM_RSRC2:USER_SGPR: 13
; COMPUTE_PGM_RSRC2:TRAP_HANDLER: 0
; COMPUTE_PGM_RSRC2:TGID_X_EN: 1
; COMPUTE_PGM_RSRC2:TGID_Y_EN: 1
; COMPUTE_PGM_RSRC2:TGID_Z_EN: 1
; COMPUTE_PGM_RSRC2:TIDIG_COMP_CNT: 1
	.section	.text._ZL26rocblas_syr2k_her2k_kernelIlLb1ELb0ELb1ELi32E19rocblas_complex_numIdEPKS1_PS1_EvbiT_T4_T5_S5_lS7_S5_lT6_S5_li,"axG",@progbits,_ZL26rocblas_syr2k_her2k_kernelIlLb1ELb0ELb1ELi32E19rocblas_complex_numIdEPKS1_PS1_EvbiT_T4_T5_S5_lS7_S5_lT6_S5_li,comdat
	.globl	_ZL26rocblas_syr2k_her2k_kernelIlLb1ELb0ELb1ELi32E19rocblas_complex_numIdEPKS1_PS1_EvbiT_T4_T5_S5_lS7_S5_lT6_S5_li ; -- Begin function _ZL26rocblas_syr2k_her2k_kernelIlLb1ELb0ELb1ELi32E19rocblas_complex_numIdEPKS1_PS1_EvbiT_T4_T5_S5_lS7_S5_lT6_S5_li
	.p2align	8
	.type	_ZL26rocblas_syr2k_her2k_kernelIlLb1ELb0ELb1ELi32E19rocblas_complex_numIdEPKS1_PS1_EvbiT_T4_T5_S5_lS7_S5_lT6_S5_li,@function
_ZL26rocblas_syr2k_her2k_kernelIlLb1ELb0ELb1ELi32E19rocblas_complex_numIdEPKS1_PS1_EvbiT_T4_T5_S5_lS7_S5_lT6_S5_li: ; @_ZL26rocblas_syr2k_her2k_kernelIlLb1ELb0ELb1ELi32E19rocblas_complex_numIdEPKS1_PS1_EvbiT_T4_T5_S5_lS7_S5_lT6_S5_li
; %bb.0:
	s_load_b512 s[16:31], s[0:1], 0x8
	s_waitcnt lgkmcnt(0)
	v_cmp_eq_f64_e64 s2, s[18:19], 0
	v_cmp_eq_f64_e64 s3, s[20:21], 0
	s_delay_alu instid0(VALU_DEP_1) | instskip(NEXT) | instid1(SALU_CYCLE_1)
	s_and_b32 s2, s2, s3
	s_and_b32 vcc_lo, exec_lo, s2
	s_cbranch_vccnz .LBB1861_17
; %bb.1:
	s_load_b64 s[2:3], s[0:1], 0x0
	s_lshl_b32 s12, s14, 5
	s_lshl_b32 s13, s13, 5
	s_waitcnt lgkmcnt(0)
	s_and_b32 s2, 1, s2
	s_delay_alu instid0(SALU_CYCLE_1) | instskip(SKIP_1) | instid1(SALU_CYCLE_1)
	s_cmp_eq_u32 s2, 1
	s_cselect_b32 s2, -1, 0
	s_and_b32 s4, s2, exec_lo
	s_cselect_b32 s4, s13, s12
	s_cselect_b32 s5, s12, s13
	s_delay_alu instid0(SALU_CYCLE_1)
	s_cmp_gt_i32 s4, s5
	s_cbranch_scc1 .LBB1861_17
; %bb.2:
	v_cmp_lt_i64_e64 s4, s[16:17], 1
	s_delay_alu instid0(VALU_DEP_1)
	s_and_b32 vcc_lo, exec_lo, s4
	s_cbranch_vccnz .LBB1861_17
; %bb.3:
	s_load_b256 s[4:11], s[0:1], 0x48
	v_bfe_u32 v10, v0, 10, 10
	v_mov_b32_e32 v1, 0
	v_and_b32_e32 v11, 0x3ff, v0
	s_delay_alu instid0(VALU_DEP_2) | instskip(NEXT) | instid1(VALU_DEP_2)
	v_dual_mov_b32 v3, v1 :: v_dual_add_nc_u32 v2, s12, v10
	v_add_nc_u32_e32 v0, s13, v11
	s_mov_b32 s12, s3
	s_delay_alu instid0(VALU_DEP_2) | instskip(SKIP_1) | instid1(VALU_DEP_3)
	v_ashrrev_i32_e32 v4, 31, v2
	v_mad_u64_u32 v[6:7], null, s30, v2, 0
	v_cndmask_b32_e64 v8, v0, v2, s2
	v_cndmask_b32_e64 v9, v2, v0, s2
	v_lshlrev_b32_e32 v22, 4, v10
	v_max_i32_e32 v17, v0, v2
	v_mad_u64_u32 v[20:21], null, s24, v0, 0
	s_waitcnt lgkmcnt(0)
	v_mul_lo_u32 v15, v4, s8
	v_mul_lo_u32 v16, v2, s9
	v_mad_u64_u32 v[4:5], null, v2, s8, 0
	s_mul_i32 s1, s15, s11
	s_mul_hi_u32 s2, s15, s10
	s_mul_i32 s0, s15, s10
	s_add_i32 s1, s2, s1
	v_cmp_le_i32_e64 s2, v9, v8
	s_lshl_b64 s[0:1], s[0:1], 4
	s_delay_alu instid0(VALU_DEP_2)
	v_add3_u32 v5, v5, v16, v15
	s_add_u32 s6, s6, s0
	s_addc_u32 s7, s7, s1
	s_ashr_i32 s13, s3, 31
	v_cmp_gt_i32_e32 vcc_lo, s3, v17
	v_lshlrev_b64 v[4:5], 4, v[4:5]
	v_cmp_gt_i64_e64 s1, s[12:13], v[2:3]
	v_mov_b32_e32 v3, v7
	v_cmp_gt_i64_e64 s0, s[12:13], v[0:1]
	v_ashrrev_i32_e32 v1, 31, v0
	v_mad_u64_u32 v[16:17], null, s30, v0, 0
	s_delay_alu instid0(VALU_DEP_4) | instskip(SKIP_1) | instid1(VALU_DEP_4)
	v_mad_u64_u32 v[7:8], null, s31, v2, v[3:4]
	v_add_co_u32 v8, s3, s6, v4
	v_lshlrev_b64 v[3:4], 4, v[0:1]
	v_add_co_ci_u32_e64 v5, s3, s7, v5, s3
	s_mul_i32 s5, s5, s15
	s_mul_hi_u32 s6, s4, s15
	v_mov_b32_e32 v1, v17
	s_delay_alu instid0(VALU_DEP_3) | instskip(NEXT) | instid1(VALU_DEP_1)
	v_add_co_u32 v8, s3, v8, v3
	v_add_co_ci_u32_e64 v9, s3, v5, v4, s3
	v_lshlrev_b64 v[3:4], 4, v[6:7]
	s_add_i32 s5, s6, s5
	s_mul_i32 s4, s4, s15
	v_lshlrev_b32_e32 v7, 4, v11
	s_lshl_b64 s[4:5], s[4:5], 4
	v_mad_u64_u32 v[5:6], null, s31, v0, v[1:2]
	v_add_co_u32 v1, s3, s4, v3
	s_delay_alu instid0(VALU_DEP_1) | instskip(SKIP_1) | instid1(VALU_DEP_3)
	v_add_co_ci_u32_e64 v6, s3, s5, v4, s3
	v_mad_u64_u32 v[3:4], null, s24, v2, 0
	v_add_co_u32 v1, s3, v1, v7
	s_delay_alu instid0(VALU_DEP_1) | instskip(SKIP_1) | instid1(VALU_DEP_3)
	v_add_co_ci_u32_e64 v6, s3, 0, v6, s3
	v_mov_b32_e32 v17, v5
	v_add_co_u32 v18, s3, v1, s28
	s_delay_alu instid0(VALU_DEP_1) | instskip(SKIP_1) | instid1(VALU_DEP_4)
	v_add_co_ci_u32_e64 v19, s3, s29, v6, s3
	v_mov_b32_e32 v1, v4
	v_lshlrev_b64 v[5:6], 4, v[16:17]
	s_delay_alu instid0(VALU_DEP_4) | instskip(NEXT) | instid1(VALU_DEP_1)
	v_add_co_u32 v16, s3, v18, 8
	v_add_co_ci_u32_e64 v17, s3, 0, v19, s3
	s_delay_alu instid0(VALU_DEP_4) | instskip(NEXT) | instid1(VALU_DEP_4)
	v_mad_u64_u32 v[18:19], null, s25, v2, v[1:2]
	v_add_co_u32 v2, s3, s4, v5
	v_mov_b32_e32 v1, v21
	v_add_co_ci_u32_e64 v19, s3, s5, v6, s3
	s_mul_i32 s4, s27, s15
	s_delay_alu instid0(VALU_DEP_4) | instskip(SKIP_3) | instid1(VALU_DEP_3)
	v_mov_b32_e32 v4, v18
	v_lshlrev_b32_e32 v12, 9, v11
	v_mad_u64_u32 v[5:6], null, s25, v0, v[1:2]
	v_add_co_u32 v2, s3, v2, v22
	v_add_nc_u32_e32 v14, v12, v22
	s_mul_hi_u32 s5, s26, s15
	v_add_co_ci_u32_e64 v6, s3, 0, v19, s3
	s_delay_alu instid0(VALU_DEP_4)
	v_mov_b32_e32 v21, v5
	v_lshlrev_b64 v[0:1], 4, v[3:4]
	s_add_i32 s5, s5, s4
	s_mul_i32 s4, s26, s15
	v_add_co_u32 v18, s3, s28, v2
	v_lshlrev_b64 v[2:3], 4, v[20:21]
	s_lshl_b64 s[4:5], s[4:5], 4
	v_add_co_ci_u32_e64 v19, s3, s29, v6, s3
	v_add_co_u32 v0, s3, s4, v0
	s_delay_alu instid0(VALU_DEP_1) | instskip(NEXT) | instid1(VALU_DEP_4)
	v_add_co_ci_u32_e64 v1, s3, s5, v1, s3
	v_add_co_u32 v2, s3, s4, v2
	s_delay_alu instid0(VALU_DEP_1) | instskip(NEXT) | instid1(VALU_DEP_4)
	;; [unrolled: 3-line block ×5, first 2 shown]
	v_add_co_ci_u32_e64 v1, s3, s23, v1, s3
	v_add_co_u32 v2, s3, v2, s22
	s_delay_alu instid0(VALU_DEP_1) | instskip(SKIP_2) | instid1(VALU_DEP_1)
	v_add_co_ci_u32_e64 v3, s3, s23, v3, s3
	v_or_b32_e32 v13, 0x4000, v22
	v_add_co_u32 v20, s3, v0, 8
	v_add_co_ci_u32_e64 v21, s3, 0, v1, s3
	v_add_co_u32 v22, s3, v2, 8
	s_delay_alu instid0(VALU_DEP_4)
	v_add_nc_u32_e32 v15, v13, v12
	v_add_co_ci_u32_e64 v23, s3, 0, v3, s3
	s_and_b32 s6, s2, vcc_lo
	s_mov_b64 s[2:3], 0
	s_mov_b64 s[4:5], 0
	s_branch .LBB1861_5
.LBB1861_4:                             ;   in Loop: Header=BB1861_5 Depth=1
	s_or_b32 exec_lo, exec_lo, s7
	s_add_u32 s4, s4, 32
	s_addc_u32 s5, s5, 0
	s_add_u32 s2, s2, 0x200
	v_cmp_lt_i64_e64 s7, s[4:5], s[16:17]
	s_addc_u32 s3, s3, 0
	s_waitcnt_vscnt null, 0x0
	s_barrier
	buffer_gl0_inv
	s_and_b32 vcc_lo, exec_lo, s7
	s_cbranch_vccz .LBB1861_17
.LBB1861_5:                             ; =>This Inner Loop Header: Depth=1
	v_add_co_u32 v2, s7, v10, s4
	s_delay_alu instid0(VALU_DEP_1) | instskip(SKIP_2) | instid1(VALU_DEP_3)
	v_add_co_ci_u32_e64 v3, null, 0, s5, s7
	v_mov_b32_e32 v0, 0
	v_mov_b32_e32 v1, 0
	v_cmp_gt_i64_e32 vcc_lo, s[16:17], v[2:3]
	s_delay_alu instid0(VALU_DEP_2) | instskip(SKIP_2) | instid1(SALU_CYCLE_1)
	v_dual_mov_b32 v5, v1 :: v_dual_mov_b32 v4, v0
	v_dual_mov_b32 v7, v1 :: v_dual_mov_b32 v6, v0
	s_and_b32 s7, s0, vcc_lo
	s_and_saveexec_b32 s8, s7
	s_cbranch_execz .LBB1861_7
; %bb.6:                                ;   in Loop: Header=BB1861_5 Depth=1
	v_add_co_u32 v2, vcc_lo, v22, s2
	v_add_co_ci_u32_e32 v3, vcc_lo, s3, v23, vcc_lo
	global_load_b128 v[4:7], v[2:3], off offset:-8
.LBB1861_7:                             ;   in Loop: Header=BB1861_5 Depth=1
	s_or_b32 exec_lo, exec_lo, s8
	v_add_co_u32 v2, s8, v11, s4
	s_delay_alu instid0(VALU_DEP_1)
	v_add_co_ci_u32_e64 v3, null, 0, s5, s8
	s_waitcnt vmcnt(0)
	ds_store_b128 v14, v[4:7]
	v_cmp_gt_i64_e32 vcc_lo, s[16:17], v[2:3]
	v_dual_mov_b32 v3, v1 :: v_dual_mov_b32 v2, v0
	s_and_b32 s8, s1, vcc_lo
	s_delay_alu instid0(SALU_CYCLE_1)
	s_and_saveexec_b32 s9, s8
	s_cbranch_execz .LBB1861_9
; %bb.8:                                ;   in Loop: Header=BB1861_5 Depth=1
	v_add_co_u32 v0, vcc_lo, v16, s2
	v_add_co_ci_u32_e32 v1, vcc_lo, s3, v17, vcc_lo
	global_load_b128 v[0:3], v[0:1], off offset:-8
.LBB1861_9:                             ;   in Loop: Header=BB1861_5 Depth=1
	s_or_b32 exec_lo, exec_lo, s9
	s_waitcnt vmcnt(0)
	ds_store_b128 v15, v[0:3]
	s_waitcnt lgkmcnt(0)
	s_barrier
	buffer_gl0_inv
	s_and_saveexec_b32 s9, s6
	s_cbranch_execz .LBB1861_11
; %bb.10:                               ;   in Loop: Header=BB1861_5 Depth=1
	ds_load_b128 v[0:3], v13
	ds_load_b128 v[4:7], v12
	ds_load_b128 v[24:27], v12 offset:16
	ds_load_b128 v[28:31], v13 offset:512
	s_waitcnt lgkmcnt(2)
	v_mul_f64 v[32:33], v[0:1], v[6:7]
	v_mul_f64 v[6:7], v[2:3], v[6:7]
	s_waitcnt lgkmcnt(0)
	v_mul_f64 v[48:49], v[28:29], v[26:27]
	v_mul_f64 v[26:27], v[30:31], v[26:27]
	s_delay_alu instid0(VALU_DEP_4)
	v_fma_f64 v[2:3], v[2:3], v[4:5], v[32:33]
	ds_load_b128 v[32:35], v13 offset:1024
	ds_load_b128 v[36:39], v12 offset:32
	;; [unrolled: 1-line block ×4, first 2 shown]
	v_fma_f64 v[0:1], v[0:1], v[4:5], -v[6:7]
	v_fma_f64 v[4:5], v[30:31], v[24:25], v[48:49]
	v_fma_f64 v[52:53], v[28:29], v[24:25], -v[26:27]
	s_waitcnt lgkmcnt(2)
	v_mul_f64 v[50:51], v[32:33], v[38:39]
	v_mul_f64 v[38:39], v[34:35], v[38:39]
	s_waitcnt lgkmcnt(0)
	v_mul_f64 v[48:49], v[44:45], v[42:43]
	v_mul_f64 v[42:43], v[46:47], v[42:43]
	v_add_f64 v[2:3], v[2:3], 0
	v_fma_f64 v[34:35], v[34:35], v[36:37], v[50:51]
	v_add_f64 v[50:51], v[0:1], 0
	v_fma_f64 v[32:33], v[32:33], v[36:37], -v[38:39]
	v_fma_f64 v[36:37], v[46:47], v[40:41], v[48:49]
	v_add_f64 v[54:55], v[2:3], v[4:5]
	ds_load_b128 v[0:3], v12 offset:64
	ds_load_b128 v[4:7], v13 offset:2048
	ds_load_b128 v[24:27], v13 offset:2560
	ds_load_b128 v[28:31], v12 offset:80
	s_waitcnt lgkmcnt(2)
	v_mul_f64 v[56:57], v[4:5], v[2:3]
	v_add_f64 v[38:39], v[50:51], v[52:53]
	v_mul_f64 v[2:3], v[6:7], v[2:3]
	s_waitcnt lgkmcnt(0)
	v_mul_f64 v[48:49], v[24:25], v[30:31]
	v_fma_f64 v[50:51], v[44:45], v[40:41], -v[42:43]
	v_mul_f64 v[30:31], v[26:27], v[30:31]
	v_add_f64 v[34:35], v[54:55], v[34:35]
	v_fma_f64 v[6:7], v[6:7], v[0:1], v[56:57]
	v_add_f64 v[52:53], v[38:39], v[32:33]
	v_fma_f64 v[0:1], v[4:5], v[0:1], -v[2:3]
	v_fma_f64 v[2:3], v[26:27], v[28:29], v[48:49]
	v_add_f64 v[54:55], v[34:35], v[36:37]
	ds_load_b128 v[32:35], v12 offset:96
	ds_load_b128 v[36:39], v13 offset:3072
	ds_load_b128 v[40:43], v13 offset:3584
	ds_load_b128 v[44:47], v12 offset:112
	s_waitcnt lgkmcnt(2)
	v_mul_f64 v[56:57], v[36:37], v[34:35]
	v_add_f64 v[4:5], v[52:53], v[50:51]
	v_mul_f64 v[34:35], v[38:39], v[34:35]
	s_waitcnt lgkmcnt(0)
	v_mul_f64 v[48:49], v[40:41], v[46:47]
	v_fma_f64 v[50:51], v[24:25], v[28:29], -v[30:31]
	;; [unrolled: 18-line block ×11, first 2 shown]
	v_mul_f64 v[30:31], v[26:27], v[30:31]
	v_add_f64 v[38:39], v[54:55], v[38:39]
	v_fma_f64 v[6:7], v[6:7], v[0:1], v[56:57]
	v_add_f64 v[52:53], v[36:37], v[32:33]
	v_fma_f64 v[0:1], v[4:5], v[0:1], -v[2:3]
	v_fma_f64 v[2:3], v[26:27], v[28:29], v[48:49]
	v_add_f64 v[54:55], v[38:39], v[34:35]
	ds_load_b128 v[32:35], v12 offset:416
	ds_load_b128 v[36:39], v13 offset:13312
	;; [unrolled: 1-line block ×4, first 2 shown]
	s_waitcnt lgkmcnt(2)
	v_mul_f64 v[56:57], v[36:37], v[34:35]
	v_add_f64 v[4:5], v[52:53], v[50:51]
	v_mul_f64 v[34:35], v[38:39], v[34:35]
	s_waitcnt lgkmcnt(0)
	v_mul_f64 v[52:53], v[40:41], v[46:47]
	v_mul_f64 v[46:47], v[42:43], v[46:47]
	v_add_f64 v[6:7], v[54:55], v[6:7]
	v_fma_f64 v[54:55], v[24:25], v[28:29], -v[30:31]
	v_fma_f64 v[38:39], v[38:39], v[32:33], v[56:57]
	v_add_f64 v[56:57], v[4:5], v[0:1]
	v_fma_f64 v[32:33], v[36:37], v[32:33], -v[34:35]
	v_fma_f64 v[34:35], v[42:43], v[44:45], v[52:53]
	v_add_f64 v[58:59], v[6:7], v[2:3]
	ds_load_b128 v[0:3], v12 offset:448
	ds_load_b128 v[4:7], v13 offset:14336
	global_load_b128 v[24:27], v[8:9], off
	ds_load_b128 v[28:31], v13 offset:14848
	ds_load_b128 v[48:51], v12 offset:464
	v_add_f64 v[36:37], v[56:57], v[54:55]
	s_waitcnt lgkmcnt(2)
	v_mul_f64 v[60:61], v[4:5], v[2:3]
	v_mul_f64 v[2:3], v[6:7], v[2:3]
	s_waitcnt lgkmcnt(0)
	v_mul_f64 v[52:53], v[28:29], v[50:51]
	v_fma_f64 v[54:55], v[40:41], v[44:45], -v[46:47]
	v_mul_f64 v[50:51], v[30:31], v[50:51]
	v_add_f64 v[38:39], v[58:59], v[38:39]
	v_add_f64 v[56:57], v[36:37], v[32:33]
	v_fma_f64 v[6:7], v[6:7], v[0:1], v[60:61]
	v_fma_f64 v[0:1], v[4:5], v[0:1], -v[2:3]
	v_fma_f64 v[2:3], v[30:31], v[48:49], v[52:53]
	v_fma_f64 v[28:29], v[28:29], v[48:49], -v[50:51]
	v_add_f64 v[58:59], v[38:39], v[34:35]
	ds_load_b128 v[32:35], v12 offset:480
	ds_load_b128 v[36:39], v13 offset:15360
	;; [unrolled: 1-line block ×4, first 2 shown]
	s_waitcnt lgkmcnt(2)
	v_mul_f64 v[60:61], v[36:37], v[34:35]
	v_add_f64 v[4:5], v[56:57], v[54:55]
	v_mul_f64 v[30:31], v[38:39], v[34:35]
	s_waitcnt lgkmcnt(0)
	v_mul_f64 v[34:35], v[40:41], v[46:47]
	v_add_f64 v[6:7], v[58:59], v[6:7]
	v_fma_f64 v[38:39], v[38:39], v[32:33], v[60:61]
	v_add_f64 v[0:1], v[4:5], v[0:1]
	v_mul_f64 v[4:5], v[42:43], v[46:47]
	s_delay_alu instid0(VALU_DEP_4)
	v_add_f64 v[2:3], v[6:7], v[2:3]
	v_fma_f64 v[6:7], v[36:37], v[32:33], -v[30:31]
	v_fma_f64 v[30:31], v[42:43], v[44:45], v[34:35]
	v_add_f64 v[0:1], v[0:1], v[28:29]
	v_fma_f64 v[4:5], v[40:41], v[44:45], -v[4:5]
	v_add_f64 v[2:3], v[2:3], v[38:39]
	s_delay_alu instid0(VALU_DEP_3) | instskip(NEXT) | instid1(VALU_DEP_2)
	v_add_f64 v[0:1], v[0:1], v[6:7]
	v_add_f64 v[2:3], v[2:3], v[30:31]
	s_delay_alu instid0(VALU_DEP_2) | instskip(NEXT) | instid1(VALU_DEP_2)
	v_add_f64 v[0:1], v[0:1], v[4:5]
	v_mul_f64 v[4:5], s[20:21], v[2:3]
	v_mul_f64 v[2:3], s[18:19], v[2:3]
	s_delay_alu instid0(VALU_DEP_2) | instskip(NEXT) | instid1(VALU_DEP_2)
	v_fma_f64 v[4:5], s[18:19], v[0:1], -v[4:5]
	v_fma_f64 v[2:3], s[20:21], v[0:1], v[2:3]
	s_waitcnt vmcnt(0)
	s_delay_alu instid0(VALU_DEP_2) | instskip(NEXT) | instid1(VALU_DEP_2)
	v_add_f64 v[0:1], v[24:25], v[4:5]
	v_add_f64 v[2:3], v[26:27], v[2:3]
	global_store_b128 v[8:9], v[0:3], off
.LBB1861_11:                            ;   in Loop: Header=BB1861_5 Depth=1
	s_or_b32 exec_lo, exec_lo, s9
	v_mov_b32_e32 v2, 0
	v_mov_b32_e32 v3, 0
	s_waitcnt_vscnt null, 0x0
	s_barrier
	buffer_gl0_inv
	v_dual_mov_b32 v7, v3 :: v_dual_mov_b32 v6, v2
	v_dual_mov_b32 v5, v3 :: v_dual_mov_b32 v4, v2
	s_and_saveexec_b32 s9, s7
	s_cbranch_execz .LBB1861_13
; %bb.12:                               ;   in Loop: Header=BB1861_5 Depth=1
	v_add_co_u32 v0, vcc_lo, v18, s2
	v_add_co_ci_u32_e32 v1, vcc_lo, s3, v19, vcc_lo
	global_load_b128 v[4:7], v[0:1], off
.LBB1861_13:                            ;   in Loop: Header=BB1861_5 Depth=1
	s_or_b32 exec_lo, exec_lo, s9
	v_dual_mov_b32 v0, v2 :: v_dual_mov_b32 v1, v3
	s_waitcnt vmcnt(0)
	ds_store_b128 v14, v[4:7]
	s_and_saveexec_b32 s7, s8
	s_cbranch_execz .LBB1861_15
; %bb.14:                               ;   in Loop: Header=BB1861_5 Depth=1
	v_add_co_u32 v0, vcc_lo, v20, s2
	v_add_co_ci_u32_e32 v1, vcc_lo, s3, v21, vcc_lo
	global_load_b128 v[0:3], v[0:1], off offset:-8
.LBB1861_15:                            ;   in Loop: Header=BB1861_5 Depth=1
	s_or_b32 exec_lo, exec_lo, s7
	s_waitcnt vmcnt(0)
	ds_store_b128 v15, v[0:3]
	s_waitcnt lgkmcnt(0)
	s_barrier
	buffer_gl0_inv
	s_and_saveexec_b32 s7, s6
	s_cbranch_execz .LBB1861_4
; %bb.16:                               ;   in Loop: Header=BB1861_5 Depth=1
	ds_load_b128 v[0:3], v13
	ds_load_b128 v[4:7], v12
	ds_load_b128 v[24:27], v12 offset:16
	ds_load_b128 v[28:31], v13 offset:512
	s_waitcnt lgkmcnt(2)
	v_mul_f64 v[32:33], v[0:1], v[6:7]
	v_mul_f64 v[6:7], v[2:3], v[6:7]
	s_waitcnt lgkmcnt(0)
	v_mul_f64 v[40:41], v[30:31], v[26:27]
	v_mul_f64 v[26:27], v[28:29], v[26:27]
	s_delay_alu instid0(VALU_DEP_4) | instskip(NEXT) | instid1(VALU_DEP_4)
	v_fma_f64 v[42:43], v[2:3], v[4:5], v[32:33]
	v_fma_f64 v[44:45], v[0:1], v[4:5], -v[6:7]
	ds_load_b128 v[0:3], v13 offset:1024
	ds_load_b128 v[4:7], v12 offset:32
	ds_load_b128 v[32:35], v12 offset:48
	ds_load_b128 v[36:39], v13 offset:1536
	v_fma_f64 v[28:29], v[28:29], v[24:25], -v[40:41]
	v_fma_f64 v[24:25], v[30:31], v[24:25], v[26:27]
	s_waitcnt lgkmcnt(2)
	v_mul_f64 v[46:47], v[2:3], v[6:7]
	v_mul_f64 v[6:7], v[0:1], v[6:7]
	s_waitcnt lgkmcnt(0)
	v_mul_f64 v[40:41], v[38:39], v[34:35]
	v_mul_f64 v[34:35], v[36:37], v[34:35]
	v_add_f64 v[26:27], v[42:43], 0
	v_add_f64 v[30:31], v[44:45], 0
	v_fma_f64 v[42:43], v[0:1], v[4:5], -v[46:47]
	v_fma_f64 v[44:45], v[2:3], v[4:5], v[6:7]
	v_fma_f64 v[36:37], v[36:37], v[32:33], -v[40:41]
	v_fma_f64 v[32:33], v[38:39], v[32:33], v[34:35]
	v_add_f64 v[46:47], v[26:27], v[24:25]
	v_add_f64 v[48:49], v[30:31], v[28:29]
	ds_load_b128 v[0:3], v12 offset:64
	ds_load_b128 v[4:7], v13 offset:2048
	ds_load_b128 v[24:27], v13 offset:2560
	ds_load_b128 v[28:31], v12 offset:80
	s_waitcnt lgkmcnt(2)
	v_mul_f64 v[50:51], v[6:7], v[2:3]
	v_mul_f64 v[2:3], v[4:5], v[2:3]
	s_waitcnt lgkmcnt(0)
	v_mul_f64 v[40:41], v[26:27], v[30:31]
	v_add_f64 v[34:35], v[46:47], v[44:45]
	v_add_f64 v[38:39], v[48:49], v[42:43]
	v_mul_f64 v[42:43], v[24:25], v[30:31]
	v_fma_f64 v[44:45], v[4:5], v[0:1], -v[50:51]
	v_fma_f64 v[46:47], v[6:7], v[0:1], v[2:3]
	v_fma_f64 v[24:25], v[24:25], v[28:29], -v[40:41]
	v_add_f64 v[48:49], v[34:35], v[32:33]
	v_add_f64 v[38:39], v[38:39], v[36:37]
	ds_load_b128 v[0:3], v12 offset:96
	ds_load_b128 v[4:7], v13 offset:3072
	ds_load_b128 v[30:33], v13 offset:3584
	ds_load_b128 v[34:37], v12 offset:112
	v_fma_f64 v[26:27], v[26:27], v[28:29], v[42:43]
	s_waitcnt lgkmcnt(2)
	v_mul_f64 v[50:51], v[6:7], v[2:3]
	v_mul_f64 v[2:3], v[4:5], v[2:3]
	s_waitcnt lgkmcnt(0)
	v_mul_f64 v[40:41], v[32:33], v[36:37]
	v_mul_f64 v[42:43], v[30:31], v[36:37]
	v_add_f64 v[28:29], v[48:49], v[46:47]
	v_add_f64 v[38:39], v[38:39], v[44:45]
	v_fma_f64 v[44:45], v[4:5], v[0:1], -v[50:51]
	v_fma_f64 v[46:47], v[6:7], v[0:1], v[2:3]
	v_fma_f64 v[30:31], v[30:31], v[34:35], -v[40:41]
	v_fma_f64 v[32:33], v[32:33], v[34:35], v[42:43]
	v_add_f64 v[28:29], v[28:29], v[26:27]
	v_add_f64 v[48:49], v[38:39], v[24:25]
	ds_load_b128 v[0:3], v12 offset:128
	ds_load_b128 v[4:7], v13 offset:4096
	ds_load_b128 v[24:27], v13 offset:4608
	ds_load_b128 v[36:39], v12 offset:144
	s_waitcnt lgkmcnt(2)
	v_mul_f64 v[50:51], v[6:7], v[2:3]
	v_mul_f64 v[2:3], v[4:5], v[2:3]
	s_waitcnt lgkmcnt(0)
	v_mul_f64 v[40:41], v[26:27], v[38:39]
	v_mul_f64 v[38:39], v[24:25], v[38:39]
	v_add_f64 v[28:29], v[28:29], v[46:47]
	v_add_f64 v[34:35], v[48:49], v[44:45]
	v_fma_f64 v[42:43], v[4:5], v[0:1], -v[50:51]
	v_fma_f64 v[44:45], v[6:7], v[0:1], v[2:3]
	v_fma_f64 v[24:25], v[24:25], v[36:37], -v[40:41]
	v_fma_f64 v[26:27], v[26:27], v[36:37], v[38:39]
	v_add_f64 v[46:47], v[28:29], v[32:33]
	v_add_f64 v[48:49], v[34:35], v[30:31]
	ds_load_b128 v[0:3], v12 offset:160
	ds_load_b128 v[4:7], v13 offset:5120
	ds_load_b128 v[28:31], v13 offset:5632
	ds_load_b128 v[32:35], v12 offset:176
	s_waitcnt lgkmcnt(2)
	v_mul_f64 v[50:51], v[6:7], v[2:3]
	v_mul_f64 v[2:3], v[4:5], v[2:3]
	s_waitcnt lgkmcnt(0)
	v_mul_f64 v[40:41], v[30:31], v[34:35]
	v_add_f64 v[36:37], v[46:47], v[44:45]
	v_add_f64 v[38:39], v[48:49], v[42:43]
	v_mul_f64 v[42:43], v[28:29], v[34:35]
	v_fma_f64 v[44:45], v[4:5], v[0:1], -v[50:51]
	v_fma_f64 v[46:47], v[6:7], v[0:1], v[2:3]
	v_fma_f64 v[28:29], v[28:29], v[32:33], -v[40:41]
	v_add_f64 v[48:49], v[36:37], v[26:27]
	v_add_f64 v[38:39], v[38:39], v[24:25]
	ds_load_b128 v[0:3], v12 offset:192
	ds_load_b128 v[4:7], v13 offset:6144
	ds_load_b128 v[24:27], v13 offset:6656
	ds_load_b128 v[34:37], v12 offset:208
	v_fma_f64 v[30:31], v[30:31], v[32:33], v[42:43]
	s_waitcnt lgkmcnt(2)
	v_mul_f64 v[50:51], v[6:7], v[2:3]
	v_mul_f64 v[2:3], v[4:5], v[2:3]
	s_waitcnt lgkmcnt(0)
	v_mul_f64 v[40:41], v[26:27], v[36:37]
	v_mul_f64 v[42:43], v[24:25], v[36:37]
	v_add_f64 v[32:33], v[48:49], v[46:47]
	v_add_f64 v[38:39], v[38:39], v[44:45]
	v_fma_f64 v[44:45], v[4:5], v[0:1], -v[50:51]
	v_fma_f64 v[46:47], v[6:7], v[0:1], v[2:3]
	v_fma_f64 v[24:25], v[24:25], v[34:35], -v[40:41]
	v_fma_f64 v[26:27], v[26:27], v[34:35], v[42:43]
	v_add_f64 v[32:33], v[32:33], v[30:31]
	v_add_f64 v[48:49], v[38:39], v[28:29]
	ds_load_b128 v[0:3], v12 offset:224
	ds_load_b128 v[4:7], v13 offset:7168
	ds_load_b128 v[28:31], v13 offset:7680
	ds_load_b128 v[36:39], v12 offset:240
	;; [unrolled: 54-line block ×4, first 2 shown]
	s_waitcnt lgkmcnt(2)
	v_mul_f64 v[50:51], v[6:7], v[2:3]
	v_mul_f64 v[2:3], v[4:5], v[2:3]
	s_waitcnt lgkmcnt(0)
	v_mul_f64 v[42:43], v[30:31], v[38:39]
	v_add_f64 v[32:33], v[32:33], v[46:47]
	v_add_f64 v[34:35], v[48:49], v[44:45]
	v_mul_f64 v[44:45], v[28:29], v[38:39]
	v_fma_f64 v[46:47], v[4:5], v[0:1], -v[50:51]
	v_fma_f64 v[48:49], v[6:7], v[0:1], v[2:3]
	ds_load_b128 v[0:3], v12 offset:448
	ds_load_b128 v[4:7], v13 offset:14336
	v_fma_f64 v[28:29], v[28:29], v[36:37], -v[42:43]
	v_add_f64 v[50:51], v[32:33], v[26:27]
	v_add_f64 v[52:53], v[34:35], v[24:25]
	global_load_b128 v[24:27], v[8:9], off
	v_fma_f64 v[30:31], v[30:31], v[36:37], v[44:45]
	s_waitcnt lgkmcnt(0)
	v_mul_f64 v[54:55], v[6:7], v[2:3]
	v_mul_f64 v[2:3], v[4:5], v[2:3]
	ds_load_b128 v[32:35], v13 offset:14848
	ds_load_b128 v[38:41], v12 offset:464
	s_waitcnt lgkmcnt(0)
	v_mul_f64 v[44:45], v[34:35], v[40:41]
	v_add_f64 v[36:37], v[50:51], v[48:49]
	v_add_f64 v[42:43], v[52:53], v[46:47]
	v_mul_f64 v[46:47], v[32:33], v[40:41]
	v_fma_f64 v[48:49], v[4:5], v[0:1], -v[54:55]
	v_fma_f64 v[50:51], v[6:7], v[0:1], v[2:3]
	v_fma_f64 v[32:33], v[32:33], v[38:39], -v[44:45]
	v_add_f64 v[36:37], v[36:37], v[30:31]
	v_add_f64 v[52:53], v[42:43], v[28:29]
	ds_load_b128 v[0:3], v12 offset:480
	ds_load_b128 v[4:7], v13 offset:15360
	;; [unrolled: 1-line block ×4, first 2 shown]
	v_fma_f64 v[34:35], v[34:35], v[38:39], v[46:47]
	s_waitcnt lgkmcnt(2)
	v_mul_f64 v[54:55], v[6:7], v[2:3]
	v_mul_f64 v[2:3], v[4:5], v[2:3]
	s_waitcnt lgkmcnt(0)
	v_mul_f64 v[44:45], v[30:31], v[42:43]
	v_mul_f64 v[42:43], v[28:29], v[42:43]
	v_add_f64 v[36:37], v[36:37], v[50:51]
	v_add_f64 v[38:39], v[52:53], v[48:49]
	v_fma_f64 v[4:5], v[4:5], v[0:1], -v[54:55]
	v_fma_f64 v[0:1], v[6:7], v[0:1], v[2:3]
	v_fma_f64 v[28:29], v[28:29], v[40:41], -v[44:45]
	v_fma_f64 v[30:31], v[30:31], v[40:41], v[42:43]
	v_add_f64 v[2:3], v[36:37], v[34:35]
	v_add_f64 v[6:7], v[38:39], v[32:33]
	s_delay_alu instid0(VALU_DEP_2) | instskip(NEXT) | instid1(VALU_DEP_2)
	v_add_f64 v[0:1], v[2:3], v[0:1]
	v_add_f64 v[2:3], v[6:7], v[4:5]
	s_delay_alu instid0(VALU_DEP_2) | instskip(NEXT) | instid1(VALU_DEP_2)
	v_add_f64 v[0:1], v[0:1], v[30:31]
	v_add_f64 v[2:3], v[2:3], v[28:29]
	s_delay_alu instid0(VALU_DEP_2) | instskip(NEXT) | instid1(VALU_DEP_2)
	v_mul_f64 v[4:5], s[20:21], v[0:1]
	v_mul_f64 v[6:7], s[20:21], v[2:3]
	s_delay_alu instid0(VALU_DEP_2) | instskip(NEXT) | instid1(VALU_DEP_2)
	v_fma_f64 v[2:3], s[18:19], v[2:3], -v[4:5]
	v_fma_f64 v[4:5], s[18:19], v[0:1], v[6:7]
	s_waitcnt vmcnt(0)
	s_delay_alu instid0(VALU_DEP_2) | instskip(NEXT) | instid1(VALU_DEP_2)
	v_add_f64 v[0:1], v[24:25], v[2:3]
	v_add_f64 v[2:3], v[26:27], v[4:5]
	global_store_b128 v[8:9], v[0:3], off
	s_branch .LBB1861_4
.LBB1861_17:
	s_endpgm
	.section	.rodata,"a",@progbits
	.p2align	6, 0x0
	.amdhsa_kernel _ZL26rocblas_syr2k_her2k_kernelIlLb1ELb0ELb1ELi32E19rocblas_complex_numIdEPKS1_PS1_EvbiT_T4_T5_S5_lS7_S5_lT6_S5_li
		.amdhsa_group_segment_fixed_size 32768
		.amdhsa_private_segment_fixed_size 0
		.amdhsa_kernarg_size 108
		.amdhsa_user_sgpr_count 13
		.amdhsa_user_sgpr_dispatch_ptr 0
		.amdhsa_user_sgpr_queue_ptr 0
		.amdhsa_user_sgpr_kernarg_segment_ptr 1
		.amdhsa_user_sgpr_dispatch_id 0
		.amdhsa_user_sgpr_private_segment_size 0
		.amdhsa_wavefront_size32 1
		.amdhsa_uses_dynamic_stack 0
		.amdhsa_enable_private_segment 0
		.amdhsa_system_sgpr_workgroup_id_x 1
		.amdhsa_system_sgpr_workgroup_id_y 1
		.amdhsa_system_sgpr_workgroup_id_z 1
		.amdhsa_system_sgpr_workgroup_info 0
		.amdhsa_system_vgpr_workitem_id 1
		.amdhsa_next_free_vgpr 62
		.amdhsa_next_free_sgpr 32
		.amdhsa_reserve_vcc 1
		.amdhsa_float_round_mode_32 0
		.amdhsa_float_round_mode_16_64 0
		.amdhsa_float_denorm_mode_32 3
		.amdhsa_float_denorm_mode_16_64 3
		.amdhsa_dx10_clamp 1
		.amdhsa_ieee_mode 1
		.amdhsa_fp16_overflow 0
		.amdhsa_workgroup_processor_mode 1
		.amdhsa_memory_ordered 1
		.amdhsa_forward_progress 0
		.amdhsa_shared_vgpr_count 0
		.amdhsa_exception_fp_ieee_invalid_op 0
		.amdhsa_exception_fp_denorm_src 0
		.amdhsa_exception_fp_ieee_div_zero 0
		.amdhsa_exception_fp_ieee_overflow 0
		.amdhsa_exception_fp_ieee_underflow 0
		.amdhsa_exception_fp_ieee_inexact 0
		.amdhsa_exception_int_div_zero 0
	.end_amdhsa_kernel
	.section	.text._ZL26rocblas_syr2k_her2k_kernelIlLb1ELb0ELb1ELi32E19rocblas_complex_numIdEPKS1_PS1_EvbiT_T4_T5_S5_lS7_S5_lT6_S5_li,"axG",@progbits,_ZL26rocblas_syr2k_her2k_kernelIlLb1ELb0ELb1ELi32E19rocblas_complex_numIdEPKS1_PS1_EvbiT_T4_T5_S5_lS7_S5_lT6_S5_li,comdat
.Lfunc_end1861:
	.size	_ZL26rocblas_syr2k_her2k_kernelIlLb1ELb0ELb1ELi32E19rocblas_complex_numIdEPKS1_PS1_EvbiT_T4_T5_S5_lS7_S5_lT6_S5_li, .Lfunc_end1861-_ZL26rocblas_syr2k_her2k_kernelIlLb1ELb0ELb1ELi32E19rocblas_complex_numIdEPKS1_PS1_EvbiT_T4_T5_S5_lS7_S5_lT6_S5_li
                                        ; -- End function
	.section	.AMDGPU.csdata,"",@progbits
; Kernel info:
; codeLenInByte = 5836
; NumSgprs: 34
; NumVgprs: 62
; ScratchSize: 0
; MemoryBound: 1
; FloatMode: 240
; IeeeMode: 1
; LDSByteSize: 32768 bytes/workgroup (compile time only)
; SGPRBlocks: 4
; VGPRBlocks: 7
; NumSGPRsForWavesPerEU: 34
; NumVGPRsForWavesPerEU: 62
; Occupancy: 16
; WaveLimiterHint : 0
; COMPUTE_PGM_RSRC2:SCRATCH_EN: 0
; COMPUTE_PGM_RSRC2:USER_SGPR: 13
; COMPUTE_PGM_RSRC2:TRAP_HANDLER: 0
; COMPUTE_PGM_RSRC2:TGID_X_EN: 1
; COMPUTE_PGM_RSRC2:TGID_Y_EN: 1
; COMPUTE_PGM_RSRC2:TGID_Z_EN: 1
; COMPUTE_PGM_RSRC2:TIDIG_COMP_CNT: 1
	.section	.text._ZL26rocblas_syr2k_her2k_kernelIlLb1ELb0ELb0ELi32EPK19rocblas_complex_numIdES3_PS1_EvbiT_T4_T5_S5_lS7_S5_lT6_S5_li,"axG",@progbits,_ZL26rocblas_syr2k_her2k_kernelIlLb1ELb0ELb0ELi32EPK19rocblas_complex_numIdES3_PS1_EvbiT_T4_T5_S5_lS7_S5_lT6_S5_li,comdat
	.globl	_ZL26rocblas_syr2k_her2k_kernelIlLb1ELb0ELb0ELi32EPK19rocblas_complex_numIdES3_PS1_EvbiT_T4_T5_S5_lS7_S5_lT6_S5_li ; -- Begin function _ZL26rocblas_syr2k_her2k_kernelIlLb1ELb0ELb0ELi32EPK19rocblas_complex_numIdES3_PS1_EvbiT_T4_T5_S5_lS7_S5_lT6_S5_li
	.p2align	8
	.type	_ZL26rocblas_syr2k_her2k_kernelIlLb1ELb0ELb0ELi32EPK19rocblas_complex_numIdES3_PS1_EvbiT_T4_T5_S5_lS7_S5_lT6_S5_li,@function
_ZL26rocblas_syr2k_her2k_kernelIlLb1ELb0ELb0ELi32EPK19rocblas_complex_numIdES3_PS1_EvbiT_T4_T5_S5_lS7_S5_lT6_S5_li: ; @_ZL26rocblas_syr2k_her2k_kernelIlLb1ELb0ELb0ELi32EPK19rocblas_complex_numIdES3_PS1_EvbiT_T4_T5_S5_lS7_S5_lT6_S5_li
; %bb.0:
	s_load_b512 s[16:31], s[0:1], 0x8
	s_waitcnt lgkmcnt(0)
	s_load_b128 s[4:7], s[18:19], 0x0
	s_waitcnt lgkmcnt(0)
	v_cmp_eq_f64_e64 s2, s[4:5], 0
	v_cmp_eq_f64_e64 s3, s[6:7], 0
	s_delay_alu instid0(VALU_DEP_1) | instskip(NEXT) | instid1(SALU_CYCLE_1)
	s_and_b32 s2, s2, s3
	s_and_b32 vcc_lo, exec_lo, s2
	s_cbranch_vccnz .LBB1862_17
; %bb.1:
	s_load_b64 s[2:3], s[0:1], 0x0
	s_lshl_b32 s12, s14, 5
	s_lshl_b32 s13, s13, 5
	s_waitcnt lgkmcnt(0)
	s_and_b32 s2, 1, s2
	s_delay_alu instid0(SALU_CYCLE_1) | instskip(SKIP_1) | instid1(SALU_CYCLE_1)
	s_cmp_eq_u32 s2, 1
	s_cselect_b32 s2, -1, 0
	s_and_b32 s8, s2, exec_lo
	s_cselect_b32 s8, s13, s12
	s_cselect_b32 s9, s12, s13
	s_delay_alu instid0(SALU_CYCLE_1)
	s_cmp_gt_i32 s8, s9
	s_cbranch_scc1 .LBB1862_17
; %bb.2:
	v_cmp_lt_i64_e64 s8, s[16:17], 1
	s_delay_alu instid0(VALU_DEP_1)
	s_and_b32 vcc_lo, exec_lo, s8
	s_cbranch_vccnz .LBB1862_17
; %bb.3:
	s_clause 0x1
	s_load_b64 s[18:19], s[0:1], 0x58
	s_load_b128 s[8:11], s[0:1], 0x48
	v_bfe_u32 v10, v0, 10, 10
	v_mov_b32_e32 v1, 0
	v_and_b32_e32 v11, 0x3ff, v0
	s_mul_i32 s1, s15, s31
	s_mul_hi_u32 s14, s15, s30
	v_add_nc_u32_e32 v2, s12, v10
	s_mul_i32 s0, s15, s30
	v_mad_u64_u32 v[4:5], null, s28, v11, 0
	v_dual_mov_b32 v3, v1 :: v_dual_add_nc_u32 v0, s13, v11
	s_delay_alu instid0(VALU_DEP_3)
	v_ashrrev_i32_e32 v6, 31, v2
	s_add_i32 s1, s14, s1
	s_mov_b32 s30, s3
	s_lshl_b64 s[0:1], s[0:1], 4
	v_cndmask_b32_e64 v15, v0, v2, s2
	v_cndmask_b32_e64 v16, v2, v0, s2
	v_max_i32_e32 v17, v0, v2
	s_add_u32 s12, s26, s0
	s_waitcnt lgkmcnt(0)
	v_mul_lo_u32 v18, v6, s10
	v_mad_u64_u32 v[6:7], null, v2, s10, 0
	v_mul_lo_u32 v19, v2, s11
	s_addc_u32 s13, s27, s1
	s_mul_i32 s1, s15, s19
	s_mul_hi_u32 s14, s15, s18
	s_mul_i32 s0, s15, s18
	s_add_i32 s1, s14, s1
	s_delay_alu instid0(VALU_DEP_2) | instskip(NEXT) | instid1(VALU_DEP_2)
	v_mad_u64_u32 v[8:9], null, s29, v11, v[5:6]
	v_add3_u32 v7, v7, v19, v18
	v_lshlrev_b32_e32 v14, 4, v10
	v_mad_u64_u32 v[18:19], null, s28, v10, 0
	v_cmp_gt_i32_e32 vcc_lo, s3, v17
	s_delay_alu instid0(VALU_DEP_4)
	v_lshlrev_b64 v[6:7], 4, v[6:7]
	v_mov_b32_e32 v5, v8
	v_mov_b32_e32 v8, v0
	v_mad_u64_u32 v[20:21], null, s22, v11, 0
	v_cmp_le_i32_e64 s2, v16, v15
	s_lshl_b64 s[0:1], s[0:1], 4
	v_lshlrev_b32_e32 v12, 9, v11
	v_or_b32_e32 v13, 0x4000, v14
	v_ashrrev_i32_e32 v9, 31, v0
	s_add_u32 s8, s8, s0
	s_addc_u32 s9, s9, s1
	s_and_b32 s14, s2, vcc_lo
	v_add_co_u32 v16, vcc_lo, s8, v6
	v_add_co_ci_u32_e32 v17, vcc_lo, s9, v7, vcc_lo
	v_lshlrev_b64 v[6:7], 4, v[8:9]
	v_mov_b32_e32 v9, v21
	v_dual_mov_b32 v8, v19 :: v_dual_add_nc_u32 v15, v13, v12
	s_ashr_i32 s31, s3, 31
	v_lshlrev_b64 v[4:5], 4, v[4:5]
	v_cmp_gt_i64_e64 s1, s[30:31], v[2:3]
	v_lshlrev_b64 v[2:3], 4, v[2:3]
	v_mad_u64_u32 v[21:22], null, s29, v10, v[8:9]
	v_mad_u64_u32 v[22:23], null, s23, v11, v[9:10]
	;; [unrolled: 1-line block ×3, first 2 shown]
	s_delay_alu instid0(VALU_DEP_4) | instskip(SKIP_1) | instid1(VALU_DEP_1)
	v_add_co_u32 v4, vcc_lo, v4, v2
	v_add_co_u32 v8, s2, v16, v6
	v_add_co_ci_u32_e64 v9, s2, v17, v7, s2
	s_delay_alu instid0(VALU_DEP_3) | instskip(SKIP_4) | instid1(VALU_DEP_4)
	v_or_b32_e32 v17, 8, v4
	v_mov_b32_e32 v4, v24
	v_dual_mov_b32 v19, v21 :: v_dual_add_nc_u32 v14, v12, v14
	v_add_co_ci_u32_e32 v16, vcc_lo, v5, v3, vcc_lo
	v_mov_b32_e32 v21, v22
	v_mad_u64_u32 v[5:6], null, s23, v10, v[4:5]
	v_cmp_gt_i64_e64 s0, s[30:31], v[0:1]
	v_lshlrev_b64 v[6:7], 4, v[18:19]
	v_lshlrev_b64 v[0:1], 4, v[0:1]
	;; [unrolled: 1-line block ×3, first 2 shown]
	s_mul_i32 s8, s25, s15
	s_mul_hi_u32 s9, s24, s15
	v_mov_b32_e32 v24, v5
	s_add_i32 s9, s9, s8
	v_add_co_u32 v18, vcc_lo, v6, v0
	v_add_co_ci_u32_e32 v19, vcc_lo, v7, v1, vcc_lo
	s_delay_alu instid0(VALU_DEP_3) | instskip(SKIP_4) | instid1(VALU_DEP_3)
	v_lshlrev_b64 v[4:5], 4, v[23:24]
	v_add_co_u32 v20, vcc_lo, v20, v2
	s_mul_i32 s8, s24, s15
	v_add_co_ci_u32_e32 v21, vcc_lo, v21, v3, vcc_lo
	s_lshl_b64 s[8:9], s[8:9], 4
	v_add_co_u32 v22, vcc_lo, v4, v0
	s_lshl_b64 s[2:3], s[28:29], 9
	s_add_u32 s8, s8, s20
	v_add_co_ci_u32_e32 v23, vcc_lo, v5, v1, vcc_lo
	s_addc_u32 s9, s9, s21
	s_add_u32 s15, s8, 8
	s_addc_u32 s18, s9, 0
	s_lshl_b64 s[8:9], s[22:23], 9
	s_mov_b64 s[10:11], 0
	s_branch .LBB1862_5
.LBB1862_4:                             ;   in Loop: Header=BB1862_5 Depth=1
	s_or_b32 exec_lo, exec_lo, s19
	s_add_u32 s10, s10, 32
	s_addc_u32 s11, s11, 0
	s_add_u32 s12, s12, s2
	v_cmp_lt_i64_e64 s19, s[10:11], s[16:17]
	s_addc_u32 s13, s13, s3
	s_add_u32 s15, s15, s8
	s_addc_u32 s18, s18, s9
	s_waitcnt_vscnt null, 0x0
	s_barrier
	s_and_b32 vcc_lo, exec_lo, s19
	buffer_gl0_inv
	s_cbranch_vccz .LBB1862_17
.LBB1862_5:                             ; =>This Inner Loop Header: Depth=1
	v_add_co_u32 v2, s19, v10, s10
	s_delay_alu instid0(VALU_DEP_1) | instskip(SKIP_2) | instid1(VALU_DEP_3)
	v_add_co_ci_u32_e64 v3, null, 0, s11, s19
	v_mov_b32_e32 v0, 0
	v_mov_b32_e32 v1, 0
	v_cmp_gt_i64_e32 vcc_lo, s[16:17], v[2:3]
	s_delay_alu instid0(VALU_DEP_2) | instskip(SKIP_2) | instid1(SALU_CYCLE_1)
	v_dual_mov_b32 v5, v1 :: v_dual_mov_b32 v4, v0
	v_dual_mov_b32 v7, v1 :: v_dual_mov_b32 v6, v0
	s_and_b32 s19, s0, vcc_lo
	s_and_saveexec_b32 s20, s19
	s_cbranch_execz .LBB1862_7
; %bb.6:                                ;   in Loop: Header=BB1862_5 Depth=1
	v_add_co_u32 v2, vcc_lo, s15, v22
	v_add_co_ci_u32_e32 v3, vcc_lo, s18, v23, vcc_lo
	global_load_b128 v[4:7], v[2:3], off offset:-8
.LBB1862_7:                             ;   in Loop: Header=BB1862_5 Depth=1
	s_or_b32 exec_lo, exec_lo, s20
	v_add_co_u32 v2, s20, v11, s10
	s_delay_alu instid0(VALU_DEP_1)
	v_add_co_ci_u32_e64 v3, null, 0, s11, s20
	s_waitcnt vmcnt(0)
	ds_store_b128 v14, v[4:7]
	v_cmp_gt_i64_e32 vcc_lo, s[16:17], v[2:3]
	v_dual_mov_b32 v3, v1 :: v_dual_mov_b32 v2, v0
	s_and_b32 s20, s1, vcc_lo
	s_delay_alu instid0(SALU_CYCLE_1)
	s_and_saveexec_b32 s21, s20
	s_cbranch_execz .LBB1862_9
; %bb.8:                                ;   in Loop: Header=BB1862_5 Depth=1
	v_add_co_u32 v0, vcc_lo, s12, v17
	v_add_co_ci_u32_e32 v1, vcc_lo, s13, v16, vcc_lo
	global_load_b128 v[0:3], v[0:1], off offset:-8
.LBB1862_9:                             ;   in Loop: Header=BB1862_5 Depth=1
	s_or_b32 exec_lo, exec_lo, s21
	s_waitcnt vmcnt(0)
	ds_store_b128 v15, v[0:3]
	s_waitcnt lgkmcnt(0)
	s_barrier
	buffer_gl0_inv
	s_and_saveexec_b32 s21, s14
	s_cbranch_execz .LBB1862_11
; %bb.10:                               ;   in Loop: Header=BB1862_5 Depth=1
	ds_load_b128 v[0:3], v13
	ds_load_b128 v[4:7], v12
	ds_load_b128 v[24:27], v12 offset:16
	ds_load_b128 v[28:31], v13 offset:512
	s_waitcnt lgkmcnt(2)
	v_mul_f64 v[32:33], v[0:1], v[6:7]
	v_mul_f64 v[6:7], v[2:3], v[6:7]
	s_waitcnt lgkmcnt(0)
	v_mul_f64 v[48:49], v[28:29], v[26:27]
	v_mul_f64 v[26:27], v[30:31], v[26:27]
	s_delay_alu instid0(VALU_DEP_4)
	v_fma_f64 v[2:3], v[2:3], v[4:5], v[32:33]
	ds_load_b128 v[32:35], v13 offset:1024
	ds_load_b128 v[36:39], v12 offset:32
	;; [unrolled: 1-line block ×4, first 2 shown]
	v_fma_f64 v[0:1], v[0:1], v[4:5], -v[6:7]
	v_fma_f64 v[4:5], v[30:31], v[24:25], v[48:49]
	v_fma_f64 v[52:53], v[28:29], v[24:25], -v[26:27]
	s_waitcnt lgkmcnt(2)
	v_mul_f64 v[50:51], v[32:33], v[38:39]
	v_mul_f64 v[38:39], v[34:35], v[38:39]
	s_waitcnt lgkmcnt(0)
	v_mul_f64 v[48:49], v[44:45], v[42:43]
	v_mul_f64 v[42:43], v[46:47], v[42:43]
	v_add_f64 v[2:3], v[2:3], 0
	v_fma_f64 v[34:35], v[34:35], v[36:37], v[50:51]
	v_add_f64 v[50:51], v[0:1], 0
	v_fma_f64 v[32:33], v[32:33], v[36:37], -v[38:39]
	v_fma_f64 v[36:37], v[46:47], v[40:41], v[48:49]
	v_add_f64 v[54:55], v[2:3], v[4:5]
	ds_load_b128 v[0:3], v12 offset:64
	ds_load_b128 v[4:7], v13 offset:2048
	ds_load_b128 v[24:27], v13 offset:2560
	ds_load_b128 v[28:31], v12 offset:80
	s_waitcnt lgkmcnt(2)
	v_mul_f64 v[56:57], v[4:5], v[2:3]
	v_add_f64 v[38:39], v[50:51], v[52:53]
	v_mul_f64 v[2:3], v[6:7], v[2:3]
	s_waitcnt lgkmcnt(0)
	v_mul_f64 v[48:49], v[24:25], v[30:31]
	v_fma_f64 v[50:51], v[44:45], v[40:41], -v[42:43]
	v_mul_f64 v[30:31], v[26:27], v[30:31]
	v_add_f64 v[34:35], v[54:55], v[34:35]
	v_fma_f64 v[6:7], v[6:7], v[0:1], v[56:57]
	v_add_f64 v[52:53], v[38:39], v[32:33]
	v_fma_f64 v[0:1], v[4:5], v[0:1], -v[2:3]
	v_fma_f64 v[2:3], v[26:27], v[28:29], v[48:49]
	v_add_f64 v[54:55], v[34:35], v[36:37]
	ds_load_b128 v[32:35], v12 offset:96
	ds_load_b128 v[36:39], v13 offset:3072
	ds_load_b128 v[40:43], v13 offset:3584
	ds_load_b128 v[44:47], v12 offset:112
	s_waitcnt lgkmcnt(2)
	v_mul_f64 v[56:57], v[36:37], v[34:35]
	v_add_f64 v[4:5], v[52:53], v[50:51]
	v_mul_f64 v[34:35], v[38:39], v[34:35]
	s_waitcnt lgkmcnt(0)
	v_mul_f64 v[48:49], v[40:41], v[46:47]
	v_fma_f64 v[50:51], v[24:25], v[28:29], -v[30:31]
	;; [unrolled: 18-line block ×11, first 2 shown]
	v_mul_f64 v[30:31], v[26:27], v[30:31]
	v_add_f64 v[38:39], v[54:55], v[38:39]
	v_fma_f64 v[6:7], v[6:7], v[0:1], v[56:57]
	v_add_f64 v[52:53], v[36:37], v[32:33]
	v_fma_f64 v[0:1], v[4:5], v[0:1], -v[2:3]
	v_fma_f64 v[2:3], v[26:27], v[28:29], v[48:49]
	v_add_f64 v[54:55], v[38:39], v[34:35]
	ds_load_b128 v[32:35], v12 offset:416
	ds_load_b128 v[36:39], v13 offset:13312
	;; [unrolled: 1-line block ×4, first 2 shown]
	s_waitcnt lgkmcnt(2)
	v_mul_f64 v[56:57], v[36:37], v[34:35]
	v_add_f64 v[4:5], v[52:53], v[50:51]
	v_mul_f64 v[34:35], v[38:39], v[34:35]
	s_waitcnt lgkmcnt(0)
	v_mul_f64 v[52:53], v[40:41], v[46:47]
	v_mul_f64 v[46:47], v[42:43], v[46:47]
	v_add_f64 v[6:7], v[54:55], v[6:7]
	v_fma_f64 v[54:55], v[24:25], v[28:29], -v[30:31]
	v_fma_f64 v[38:39], v[38:39], v[32:33], v[56:57]
	v_add_f64 v[56:57], v[4:5], v[0:1]
	v_fma_f64 v[32:33], v[36:37], v[32:33], -v[34:35]
	v_fma_f64 v[34:35], v[42:43], v[44:45], v[52:53]
	v_add_f64 v[58:59], v[6:7], v[2:3]
	ds_load_b128 v[0:3], v12 offset:448
	ds_load_b128 v[4:7], v13 offset:14336
	global_load_b128 v[24:27], v[8:9], off
	ds_load_b128 v[28:31], v13 offset:14848
	ds_load_b128 v[48:51], v12 offset:464
	v_add_f64 v[36:37], v[56:57], v[54:55]
	s_waitcnt lgkmcnt(2)
	v_mul_f64 v[60:61], v[4:5], v[2:3]
	v_mul_f64 v[2:3], v[6:7], v[2:3]
	s_waitcnt lgkmcnt(0)
	v_mul_f64 v[52:53], v[28:29], v[50:51]
	v_fma_f64 v[54:55], v[40:41], v[44:45], -v[46:47]
	v_mul_f64 v[50:51], v[30:31], v[50:51]
	v_add_f64 v[38:39], v[58:59], v[38:39]
	v_add_f64 v[56:57], v[36:37], v[32:33]
	v_fma_f64 v[6:7], v[6:7], v[0:1], v[60:61]
	v_fma_f64 v[0:1], v[4:5], v[0:1], -v[2:3]
	v_fma_f64 v[2:3], v[30:31], v[48:49], v[52:53]
	v_fma_f64 v[28:29], v[28:29], v[48:49], -v[50:51]
	v_add_f64 v[58:59], v[38:39], v[34:35]
	ds_load_b128 v[32:35], v12 offset:480
	ds_load_b128 v[36:39], v13 offset:15360
	ds_load_b128 v[40:43], v13 offset:15872
	ds_load_b128 v[44:47], v12 offset:496
	s_waitcnt lgkmcnt(2)
	v_mul_f64 v[60:61], v[36:37], v[34:35]
	v_add_f64 v[4:5], v[56:57], v[54:55]
	v_mul_f64 v[30:31], v[38:39], v[34:35]
	s_waitcnt lgkmcnt(0)
	v_mul_f64 v[34:35], v[40:41], v[46:47]
	v_add_f64 v[6:7], v[58:59], v[6:7]
	v_fma_f64 v[38:39], v[38:39], v[32:33], v[60:61]
	v_add_f64 v[0:1], v[4:5], v[0:1]
	v_mul_f64 v[4:5], v[42:43], v[46:47]
	s_delay_alu instid0(VALU_DEP_4)
	v_add_f64 v[2:3], v[6:7], v[2:3]
	v_fma_f64 v[6:7], v[36:37], v[32:33], -v[30:31]
	v_fma_f64 v[30:31], v[42:43], v[44:45], v[34:35]
	v_add_f64 v[0:1], v[0:1], v[28:29]
	v_fma_f64 v[4:5], v[40:41], v[44:45], -v[4:5]
	v_add_f64 v[2:3], v[2:3], v[38:39]
	s_delay_alu instid0(VALU_DEP_3) | instskip(NEXT) | instid1(VALU_DEP_2)
	v_add_f64 v[0:1], v[0:1], v[6:7]
	v_add_f64 v[2:3], v[2:3], v[30:31]
	s_delay_alu instid0(VALU_DEP_2) | instskip(NEXT) | instid1(VALU_DEP_2)
	v_add_f64 v[0:1], v[0:1], v[4:5]
	v_mul_f64 v[4:5], s[6:7], v[2:3]
	v_mul_f64 v[2:3], s[4:5], v[2:3]
	s_delay_alu instid0(VALU_DEP_2) | instskip(NEXT) | instid1(VALU_DEP_2)
	v_fma_f64 v[4:5], s[4:5], v[0:1], -v[4:5]
	v_fma_f64 v[2:3], s[6:7], v[0:1], v[2:3]
	s_waitcnt vmcnt(0)
	s_delay_alu instid0(VALU_DEP_2) | instskip(NEXT) | instid1(VALU_DEP_2)
	v_add_f64 v[0:1], v[24:25], v[4:5]
	v_add_f64 v[2:3], v[26:27], v[2:3]
	global_store_b128 v[8:9], v[0:3], off
.LBB1862_11:                            ;   in Loop: Header=BB1862_5 Depth=1
	s_or_b32 exec_lo, exec_lo, s21
	v_mov_b32_e32 v2, 0
	v_mov_b32_e32 v3, 0
	s_waitcnt_vscnt null, 0x0
	s_barrier
	buffer_gl0_inv
	v_dual_mov_b32 v7, v3 :: v_dual_mov_b32 v6, v2
	v_dual_mov_b32 v5, v3 :: v_dual_mov_b32 v4, v2
	s_and_saveexec_b32 s21, s19
	s_cbranch_execz .LBB1862_13
; %bb.12:                               ;   in Loop: Header=BB1862_5 Depth=1
	v_add_co_u32 v0, vcc_lo, s12, v18
	v_add_co_ci_u32_e32 v1, vcc_lo, s13, v19, vcc_lo
	global_load_b128 v[4:7], v[0:1], off
.LBB1862_13:                            ;   in Loop: Header=BB1862_5 Depth=1
	s_or_b32 exec_lo, exec_lo, s21
	v_dual_mov_b32 v0, v2 :: v_dual_mov_b32 v1, v3
	s_waitcnt vmcnt(0)
	ds_store_b128 v14, v[4:7]
	s_and_saveexec_b32 s19, s20
	s_cbranch_execz .LBB1862_15
; %bb.14:                               ;   in Loop: Header=BB1862_5 Depth=1
	v_add_co_u32 v0, vcc_lo, s15, v20
	v_add_co_ci_u32_e32 v1, vcc_lo, s18, v21, vcc_lo
	global_load_b128 v[0:3], v[0:1], off offset:-8
.LBB1862_15:                            ;   in Loop: Header=BB1862_5 Depth=1
	s_or_b32 exec_lo, exec_lo, s19
	s_waitcnt vmcnt(0)
	ds_store_b128 v15, v[0:3]
	s_waitcnt lgkmcnt(0)
	s_barrier
	buffer_gl0_inv
	s_and_saveexec_b32 s19, s14
	s_cbranch_execz .LBB1862_4
; %bb.16:                               ;   in Loop: Header=BB1862_5 Depth=1
	ds_load_b128 v[0:3], v13
	ds_load_b128 v[4:7], v12
	ds_load_b128 v[24:27], v12 offset:16
	ds_load_b128 v[28:31], v13 offset:512
	s_waitcnt lgkmcnt(2)
	v_mul_f64 v[32:33], v[0:1], v[6:7]
	v_mul_f64 v[6:7], v[2:3], v[6:7]
	s_waitcnt lgkmcnt(0)
	v_mul_f64 v[40:41], v[30:31], v[26:27]
	v_mul_f64 v[26:27], v[28:29], v[26:27]
	s_delay_alu instid0(VALU_DEP_4) | instskip(NEXT) | instid1(VALU_DEP_4)
	v_fma_f64 v[42:43], v[2:3], v[4:5], v[32:33]
	v_fma_f64 v[44:45], v[0:1], v[4:5], -v[6:7]
	ds_load_b128 v[0:3], v13 offset:1024
	ds_load_b128 v[4:7], v12 offset:32
	;; [unrolled: 1-line block ×4, first 2 shown]
	v_fma_f64 v[28:29], v[28:29], v[24:25], -v[40:41]
	v_fma_f64 v[24:25], v[30:31], v[24:25], v[26:27]
	s_waitcnt lgkmcnt(2)
	v_mul_f64 v[46:47], v[2:3], v[6:7]
	v_mul_f64 v[6:7], v[0:1], v[6:7]
	s_waitcnt lgkmcnt(0)
	v_mul_f64 v[40:41], v[38:39], v[34:35]
	v_mul_f64 v[34:35], v[36:37], v[34:35]
	v_add_f64 v[26:27], v[42:43], 0
	v_add_f64 v[30:31], v[44:45], 0
	v_fma_f64 v[42:43], v[0:1], v[4:5], -v[46:47]
	v_fma_f64 v[44:45], v[2:3], v[4:5], v[6:7]
	v_fma_f64 v[36:37], v[36:37], v[32:33], -v[40:41]
	v_fma_f64 v[32:33], v[38:39], v[32:33], v[34:35]
	v_add_f64 v[46:47], v[26:27], v[24:25]
	v_add_f64 v[48:49], v[30:31], v[28:29]
	ds_load_b128 v[0:3], v12 offset:64
	ds_load_b128 v[4:7], v13 offset:2048
	ds_load_b128 v[24:27], v13 offset:2560
	ds_load_b128 v[28:31], v12 offset:80
	s_waitcnt lgkmcnt(2)
	v_mul_f64 v[50:51], v[6:7], v[2:3]
	v_mul_f64 v[2:3], v[4:5], v[2:3]
	s_waitcnt lgkmcnt(0)
	v_mul_f64 v[40:41], v[26:27], v[30:31]
	v_add_f64 v[34:35], v[46:47], v[44:45]
	v_add_f64 v[38:39], v[48:49], v[42:43]
	v_mul_f64 v[42:43], v[24:25], v[30:31]
	v_fma_f64 v[44:45], v[4:5], v[0:1], -v[50:51]
	v_fma_f64 v[46:47], v[6:7], v[0:1], v[2:3]
	v_fma_f64 v[24:25], v[24:25], v[28:29], -v[40:41]
	v_add_f64 v[48:49], v[34:35], v[32:33]
	v_add_f64 v[38:39], v[38:39], v[36:37]
	ds_load_b128 v[0:3], v12 offset:96
	ds_load_b128 v[4:7], v13 offset:3072
	ds_load_b128 v[30:33], v13 offset:3584
	ds_load_b128 v[34:37], v12 offset:112
	v_fma_f64 v[26:27], v[26:27], v[28:29], v[42:43]
	s_waitcnt lgkmcnt(2)
	v_mul_f64 v[50:51], v[6:7], v[2:3]
	v_mul_f64 v[2:3], v[4:5], v[2:3]
	s_waitcnt lgkmcnt(0)
	v_mul_f64 v[40:41], v[32:33], v[36:37]
	v_mul_f64 v[42:43], v[30:31], v[36:37]
	v_add_f64 v[28:29], v[48:49], v[46:47]
	v_add_f64 v[38:39], v[38:39], v[44:45]
	v_fma_f64 v[44:45], v[4:5], v[0:1], -v[50:51]
	v_fma_f64 v[46:47], v[6:7], v[0:1], v[2:3]
	v_fma_f64 v[30:31], v[30:31], v[34:35], -v[40:41]
	v_fma_f64 v[32:33], v[32:33], v[34:35], v[42:43]
	v_add_f64 v[28:29], v[28:29], v[26:27]
	v_add_f64 v[48:49], v[38:39], v[24:25]
	ds_load_b128 v[0:3], v12 offset:128
	ds_load_b128 v[4:7], v13 offset:4096
	ds_load_b128 v[24:27], v13 offset:4608
	ds_load_b128 v[36:39], v12 offset:144
	s_waitcnt lgkmcnt(2)
	v_mul_f64 v[50:51], v[6:7], v[2:3]
	v_mul_f64 v[2:3], v[4:5], v[2:3]
	s_waitcnt lgkmcnt(0)
	v_mul_f64 v[40:41], v[26:27], v[38:39]
	v_mul_f64 v[38:39], v[24:25], v[38:39]
	v_add_f64 v[28:29], v[28:29], v[46:47]
	v_add_f64 v[34:35], v[48:49], v[44:45]
	v_fma_f64 v[42:43], v[4:5], v[0:1], -v[50:51]
	v_fma_f64 v[44:45], v[6:7], v[0:1], v[2:3]
	v_fma_f64 v[24:25], v[24:25], v[36:37], -v[40:41]
	v_fma_f64 v[26:27], v[26:27], v[36:37], v[38:39]
	v_add_f64 v[46:47], v[28:29], v[32:33]
	v_add_f64 v[48:49], v[34:35], v[30:31]
	ds_load_b128 v[0:3], v12 offset:160
	ds_load_b128 v[4:7], v13 offset:5120
	ds_load_b128 v[28:31], v13 offset:5632
	ds_load_b128 v[32:35], v12 offset:176
	s_waitcnt lgkmcnt(2)
	v_mul_f64 v[50:51], v[6:7], v[2:3]
	v_mul_f64 v[2:3], v[4:5], v[2:3]
	s_waitcnt lgkmcnt(0)
	v_mul_f64 v[40:41], v[30:31], v[34:35]
	v_add_f64 v[36:37], v[46:47], v[44:45]
	v_add_f64 v[38:39], v[48:49], v[42:43]
	v_mul_f64 v[42:43], v[28:29], v[34:35]
	v_fma_f64 v[44:45], v[4:5], v[0:1], -v[50:51]
	v_fma_f64 v[46:47], v[6:7], v[0:1], v[2:3]
	v_fma_f64 v[28:29], v[28:29], v[32:33], -v[40:41]
	v_add_f64 v[48:49], v[36:37], v[26:27]
	v_add_f64 v[38:39], v[38:39], v[24:25]
	ds_load_b128 v[0:3], v12 offset:192
	ds_load_b128 v[4:7], v13 offset:6144
	ds_load_b128 v[24:27], v13 offset:6656
	ds_load_b128 v[34:37], v12 offset:208
	v_fma_f64 v[30:31], v[30:31], v[32:33], v[42:43]
	s_waitcnt lgkmcnt(2)
	v_mul_f64 v[50:51], v[6:7], v[2:3]
	v_mul_f64 v[2:3], v[4:5], v[2:3]
	s_waitcnt lgkmcnt(0)
	v_mul_f64 v[40:41], v[26:27], v[36:37]
	v_mul_f64 v[42:43], v[24:25], v[36:37]
	v_add_f64 v[32:33], v[48:49], v[46:47]
	v_add_f64 v[38:39], v[38:39], v[44:45]
	v_fma_f64 v[44:45], v[4:5], v[0:1], -v[50:51]
	v_fma_f64 v[46:47], v[6:7], v[0:1], v[2:3]
	v_fma_f64 v[24:25], v[24:25], v[34:35], -v[40:41]
	v_fma_f64 v[26:27], v[26:27], v[34:35], v[42:43]
	v_add_f64 v[32:33], v[32:33], v[30:31]
	v_add_f64 v[48:49], v[38:39], v[28:29]
	ds_load_b128 v[0:3], v12 offset:224
	ds_load_b128 v[4:7], v13 offset:7168
	ds_load_b128 v[28:31], v13 offset:7680
	ds_load_b128 v[36:39], v12 offset:240
	;; [unrolled: 54-line block ×4, first 2 shown]
	s_waitcnt lgkmcnt(2)
	v_mul_f64 v[50:51], v[6:7], v[2:3]
	v_mul_f64 v[2:3], v[4:5], v[2:3]
	s_waitcnt lgkmcnt(0)
	v_mul_f64 v[42:43], v[30:31], v[38:39]
	v_add_f64 v[32:33], v[32:33], v[46:47]
	v_add_f64 v[34:35], v[48:49], v[44:45]
	v_mul_f64 v[44:45], v[28:29], v[38:39]
	v_fma_f64 v[46:47], v[4:5], v[0:1], -v[50:51]
	v_fma_f64 v[48:49], v[6:7], v[0:1], v[2:3]
	ds_load_b128 v[0:3], v12 offset:448
	ds_load_b128 v[4:7], v13 offset:14336
	v_fma_f64 v[28:29], v[28:29], v[36:37], -v[42:43]
	v_add_f64 v[50:51], v[32:33], v[26:27]
	v_add_f64 v[52:53], v[34:35], v[24:25]
	global_load_b128 v[24:27], v[8:9], off
	v_fma_f64 v[30:31], v[30:31], v[36:37], v[44:45]
	s_waitcnt lgkmcnt(0)
	v_mul_f64 v[54:55], v[6:7], v[2:3]
	v_mul_f64 v[2:3], v[4:5], v[2:3]
	ds_load_b128 v[32:35], v13 offset:14848
	ds_load_b128 v[38:41], v12 offset:464
	s_waitcnt lgkmcnt(0)
	v_mul_f64 v[44:45], v[34:35], v[40:41]
	v_add_f64 v[36:37], v[50:51], v[48:49]
	v_add_f64 v[42:43], v[52:53], v[46:47]
	v_mul_f64 v[46:47], v[32:33], v[40:41]
	v_fma_f64 v[48:49], v[4:5], v[0:1], -v[54:55]
	v_fma_f64 v[50:51], v[6:7], v[0:1], v[2:3]
	v_fma_f64 v[32:33], v[32:33], v[38:39], -v[44:45]
	v_add_f64 v[36:37], v[36:37], v[30:31]
	v_add_f64 v[52:53], v[42:43], v[28:29]
	ds_load_b128 v[0:3], v12 offset:480
	ds_load_b128 v[4:7], v13 offset:15360
	;; [unrolled: 1-line block ×4, first 2 shown]
	v_fma_f64 v[34:35], v[34:35], v[38:39], v[46:47]
	s_waitcnt lgkmcnt(2)
	v_mul_f64 v[54:55], v[6:7], v[2:3]
	v_mul_f64 v[2:3], v[4:5], v[2:3]
	s_waitcnt lgkmcnt(0)
	v_mul_f64 v[44:45], v[30:31], v[42:43]
	v_mul_f64 v[42:43], v[28:29], v[42:43]
	v_add_f64 v[36:37], v[36:37], v[50:51]
	v_add_f64 v[38:39], v[52:53], v[48:49]
	v_fma_f64 v[4:5], v[4:5], v[0:1], -v[54:55]
	v_fma_f64 v[0:1], v[6:7], v[0:1], v[2:3]
	v_fma_f64 v[28:29], v[28:29], v[40:41], -v[44:45]
	v_fma_f64 v[30:31], v[30:31], v[40:41], v[42:43]
	v_add_f64 v[2:3], v[36:37], v[34:35]
	v_add_f64 v[6:7], v[38:39], v[32:33]
	s_delay_alu instid0(VALU_DEP_2) | instskip(NEXT) | instid1(VALU_DEP_2)
	v_add_f64 v[0:1], v[2:3], v[0:1]
	v_add_f64 v[2:3], v[6:7], v[4:5]
	s_delay_alu instid0(VALU_DEP_2) | instskip(NEXT) | instid1(VALU_DEP_2)
	;; [unrolled: 3-line block ×3, first 2 shown]
	v_mul_f64 v[4:5], s[6:7], v[0:1]
	v_mul_f64 v[6:7], s[6:7], v[2:3]
	s_delay_alu instid0(VALU_DEP_2) | instskip(NEXT) | instid1(VALU_DEP_2)
	v_fma_f64 v[2:3], s[4:5], v[2:3], -v[4:5]
	v_fma_f64 v[4:5], s[4:5], v[0:1], v[6:7]
	s_waitcnt vmcnt(0)
	s_delay_alu instid0(VALU_DEP_2) | instskip(NEXT) | instid1(VALU_DEP_2)
	v_add_f64 v[0:1], v[24:25], v[2:3]
	v_add_f64 v[2:3], v[26:27], v[4:5]
	global_store_b128 v[8:9], v[0:3], off
	s_branch .LBB1862_4
.LBB1862_17:
	s_endpgm
	.section	.rodata,"a",@progbits
	.p2align	6, 0x0
	.amdhsa_kernel _ZL26rocblas_syr2k_her2k_kernelIlLb1ELb0ELb0ELi32EPK19rocblas_complex_numIdES3_PS1_EvbiT_T4_T5_S5_lS7_S5_lT6_S5_li
		.amdhsa_group_segment_fixed_size 32768
		.amdhsa_private_segment_fixed_size 0
		.amdhsa_kernarg_size 100
		.amdhsa_user_sgpr_count 13
		.amdhsa_user_sgpr_dispatch_ptr 0
		.amdhsa_user_sgpr_queue_ptr 0
		.amdhsa_user_sgpr_kernarg_segment_ptr 1
		.amdhsa_user_sgpr_dispatch_id 0
		.amdhsa_user_sgpr_private_segment_size 0
		.amdhsa_wavefront_size32 1
		.amdhsa_uses_dynamic_stack 0
		.amdhsa_enable_private_segment 0
		.amdhsa_system_sgpr_workgroup_id_x 1
		.amdhsa_system_sgpr_workgroup_id_y 1
		.amdhsa_system_sgpr_workgroup_id_z 1
		.amdhsa_system_sgpr_workgroup_info 0
		.amdhsa_system_vgpr_workitem_id 1
		.amdhsa_next_free_vgpr 62
		.amdhsa_next_free_sgpr 32
		.amdhsa_reserve_vcc 1
		.amdhsa_float_round_mode_32 0
		.amdhsa_float_round_mode_16_64 0
		.amdhsa_float_denorm_mode_32 3
		.amdhsa_float_denorm_mode_16_64 3
		.amdhsa_dx10_clamp 1
		.amdhsa_ieee_mode 1
		.amdhsa_fp16_overflow 0
		.amdhsa_workgroup_processor_mode 1
		.amdhsa_memory_ordered 1
		.amdhsa_forward_progress 0
		.amdhsa_shared_vgpr_count 0
		.amdhsa_exception_fp_ieee_invalid_op 0
		.amdhsa_exception_fp_denorm_src 0
		.amdhsa_exception_fp_ieee_div_zero 0
		.amdhsa_exception_fp_ieee_overflow 0
		.amdhsa_exception_fp_ieee_underflow 0
		.amdhsa_exception_fp_ieee_inexact 0
		.amdhsa_exception_int_div_zero 0
	.end_amdhsa_kernel
	.section	.text._ZL26rocblas_syr2k_her2k_kernelIlLb1ELb0ELb0ELi32EPK19rocblas_complex_numIdES3_PS1_EvbiT_T4_T5_S5_lS7_S5_lT6_S5_li,"axG",@progbits,_ZL26rocblas_syr2k_her2k_kernelIlLb1ELb0ELb0ELi32EPK19rocblas_complex_numIdES3_PS1_EvbiT_T4_T5_S5_lS7_S5_lT6_S5_li,comdat
.Lfunc_end1862:
	.size	_ZL26rocblas_syr2k_her2k_kernelIlLb1ELb0ELb0ELi32EPK19rocblas_complex_numIdES3_PS1_EvbiT_T4_T5_S5_lS7_S5_lT6_S5_li, .Lfunc_end1862-_ZL26rocblas_syr2k_her2k_kernelIlLb1ELb0ELb0ELi32EPK19rocblas_complex_numIdES3_PS1_EvbiT_T4_T5_S5_lS7_S5_lT6_S5_li
                                        ; -- End function
	.section	.AMDGPU.csdata,"",@progbits
; Kernel info:
; codeLenInByte = 5664
; NumSgprs: 34
; NumVgprs: 62
; ScratchSize: 0
; MemoryBound: 1
; FloatMode: 240
; IeeeMode: 1
; LDSByteSize: 32768 bytes/workgroup (compile time only)
; SGPRBlocks: 4
; VGPRBlocks: 7
; NumSGPRsForWavesPerEU: 34
; NumVGPRsForWavesPerEU: 62
; Occupancy: 16
; WaveLimiterHint : 0
; COMPUTE_PGM_RSRC2:SCRATCH_EN: 0
; COMPUTE_PGM_RSRC2:USER_SGPR: 13
; COMPUTE_PGM_RSRC2:TRAP_HANDLER: 0
; COMPUTE_PGM_RSRC2:TGID_X_EN: 1
; COMPUTE_PGM_RSRC2:TGID_Y_EN: 1
; COMPUTE_PGM_RSRC2:TGID_Z_EN: 1
; COMPUTE_PGM_RSRC2:TIDIG_COMP_CNT: 1
	.section	.text._ZL26rocblas_syr2k_her2k_kernelIlLb1ELb0ELb1ELi32EPK19rocblas_complex_numIdES3_PS1_EvbiT_T4_T5_S5_lS7_S5_lT6_S5_li,"axG",@progbits,_ZL26rocblas_syr2k_her2k_kernelIlLb1ELb0ELb1ELi32EPK19rocblas_complex_numIdES3_PS1_EvbiT_T4_T5_S5_lS7_S5_lT6_S5_li,comdat
	.globl	_ZL26rocblas_syr2k_her2k_kernelIlLb1ELb0ELb1ELi32EPK19rocblas_complex_numIdES3_PS1_EvbiT_T4_T5_S5_lS7_S5_lT6_S5_li ; -- Begin function _ZL26rocblas_syr2k_her2k_kernelIlLb1ELb0ELb1ELi32EPK19rocblas_complex_numIdES3_PS1_EvbiT_T4_T5_S5_lS7_S5_lT6_S5_li
	.p2align	8
	.type	_ZL26rocblas_syr2k_her2k_kernelIlLb1ELb0ELb1ELi32EPK19rocblas_complex_numIdES3_PS1_EvbiT_T4_T5_S5_lS7_S5_lT6_S5_li,@function
_ZL26rocblas_syr2k_her2k_kernelIlLb1ELb0ELb1ELi32EPK19rocblas_complex_numIdES3_PS1_EvbiT_T4_T5_S5_lS7_S5_lT6_S5_li: ; @_ZL26rocblas_syr2k_her2k_kernelIlLb1ELb0ELb1ELi32EPK19rocblas_complex_numIdES3_PS1_EvbiT_T4_T5_S5_lS7_S5_lT6_S5_li
; %bb.0:
	s_load_b512 s[16:31], s[0:1], 0x8
	s_waitcnt lgkmcnt(0)
	s_load_b128 s[4:7], s[18:19], 0x0
	s_waitcnt lgkmcnt(0)
	v_cmp_eq_f64_e64 s2, s[4:5], 0
	v_cmp_eq_f64_e64 s3, s[6:7], 0
	s_delay_alu instid0(VALU_DEP_1) | instskip(NEXT) | instid1(SALU_CYCLE_1)
	s_and_b32 s2, s2, s3
	s_and_b32 vcc_lo, exec_lo, s2
	s_cbranch_vccnz .LBB1863_17
; %bb.1:
	s_load_b64 s[2:3], s[0:1], 0x0
	s_lshl_b32 s12, s14, 5
	s_lshl_b32 s13, s13, 5
	s_waitcnt lgkmcnt(0)
	s_and_b32 s2, 1, s2
	s_delay_alu instid0(SALU_CYCLE_1) | instskip(SKIP_1) | instid1(SALU_CYCLE_1)
	s_cmp_eq_u32 s2, 1
	s_cselect_b32 s2, -1, 0
	s_and_b32 s8, s2, exec_lo
	s_cselect_b32 s8, s13, s12
	s_cselect_b32 s9, s12, s13
	s_delay_alu instid0(SALU_CYCLE_1)
	s_cmp_gt_i32 s8, s9
	s_cbranch_scc1 .LBB1863_17
; %bb.2:
	v_cmp_lt_i64_e64 s8, s[16:17], 1
	s_delay_alu instid0(VALU_DEP_1)
	s_and_b32 vcc_lo, exec_lo, s8
	s_cbranch_vccnz .LBB1863_17
; %bb.3:
	s_clause 0x1
	s_load_b64 s[18:19], s[0:1], 0x58
	s_load_b128 s[8:11], s[0:1], 0x48
	v_bfe_u32 v10, v0, 10, 10
	v_mov_b32_e32 v1, 0
	v_and_b32_e32 v11, 0x3ff, v0
	s_delay_alu instid0(VALU_DEP_2) | instskip(NEXT) | instid1(VALU_DEP_2)
	v_dual_mov_b32 v3, v1 :: v_dual_add_nc_u32 v2, s12, v10
	v_add_nc_u32_e32 v0, s13, v11
	s_mov_b32 s12, s3
	s_delay_alu instid0(VALU_DEP_2) | instskip(SKIP_1) | instid1(VALU_DEP_3)
	v_ashrrev_i32_e32 v4, 31, v2
	v_mad_u64_u32 v[6:7], null, s28, v2, 0
	v_cndmask_b32_e64 v8, v0, v2, s2
	v_cndmask_b32_e64 v9, v2, v0, s2
	v_lshlrev_b32_e32 v22, 4, v10
	v_mad_u64_u32 v[20:21], null, s22, v0, 0
	s_waitcnt lgkmcnt(0)
	s_mul_i32 s1, s15, s19
	v_mul_lo_u32 v15, v4, s10
	v_mul_lo_u32 v16, v2, s11
	v_mad_u64_u32 v[4:5], null, v2, s10, 0
	s_mul_hi_u32 s2, s15, s18
	s_mul_i32 s0, s15, s18
	s_add_i32 s1, s2, s1
	v_cmp_le_i32_e64 s2, v9, v8
	s_lshl_b64 s[0:1], s[0:1], 4
	s_delay_alu instid0(SALU_CYCLE_1)
	s_add_u32 s8, s8, s0
	s_addc_u32 s9, s9, s1
	s_ashr_i32 s13, s3, 31
	v_add3_u32 v5, v5, v16, v15
	v_cmp_gt_i64_e64 s0, s[12:13], v[0:1]
	v_max_i32_e32 v1, v0, v2
	v_cmp_gt_i64_e64 s1, s[12:13], v[2:3]
	v_mov_b32_e32 v3, v7
	v_lshlrev_b64 v[4:5], 4, v[4:5]
	v_mad_u64_u32 v[16:17], null, s28, v0, 0
	v_cmp_gt_i32_e32 vcc_lo, s3, v1
	v_ashrrev_i32_e32 v1, 31, v0
	v_or_b32_e32 v13, 0x4000, v22
	v_mad_u64_u32 v[7:8], null, s29, v2, v[3:4]
	v_add_co_u32 v8, s3, s8, v4
	s_delay_alu instid0(VALU_DEP_4) | instskip(SKIP_4) | instid1(VALU_DEP_3)
	v_lshlrev_b64 v[3:4], 4, v[0:1]
	v_add_co_ci_u32_e64 v5, s3, s9, v5, s3
	s_mul_i32 s8, s31, s15
	s_mul_hi_u32 s9, s30, s15
	v_mov_b32_e32 v1, v17
	v_add_co_u32 v8, s3, v8, v3
	s_delay_alu instid0(VALU_DEP_1)
	v_add_co_ci_u32_e64 v9, s3, v5, v4, s3
	v_lshlrev_b64 v[3:4], 4, v[6:7]
	s_add_i32 s9, s9, s8
	s_mul_i32 s8, s30, s15
	v_lshlrev_b32_e32 v7, 4, v11
	s_lshl_b64 s[8:9], s[8:9], 4
	v_mad_u64_u32 v[5:6], null, s29, v0, v[1:2]
	v_add_co_u32 v1, s3, s8, v3
	s_delay_alu instid0(VALU_DEP_1) | instskip(SKIP_1) | instid1(VALU_DEP_3)
	v_add_co_ci_u32_e64 v6, s3, s9, v4, s3
	v_mad_u64_u32 v[3:4], null, s22, v2, 0
	v_add_co_u32 v1, s3, v1, v7
	s_delay_alu instid0(VALU_DEP_1) | instskip(SKIP_1) | instid1(VALU_DEP_3)
	v_add_co_ci_u32_e64 v6, s3, 0, v6, s3
	v_mov_b32_e32 v17, v5
	v_add_co_u32 v18, s3, v1, s26
	s_delay_alu instid0(VALU_DEP_1) | instskip(SKIP_1) | instid1(VALU_DEP_4)
	v_add_co_ci_u32_e64 v19, s3, s27, v6, s3
	v_mov_b32_e32 v1, v4
	v_lshlrev_b64 v[5:6], 4, v[16:17]
	s_delay_alu instid0(VALU_DEP_4) | instskip(NEXT) | instid1(VALU_DEP_1)
	v_add_co_u32 v16, s3, v18, 8
	v_add_co_ci_u32_e64 v17, s3, 0, v19, s3
	s_delay_alu instid0(VALU_DEP_4) | instskip(NEXT) | instid1(VALU_DEP_4)
	v_mad_u64_u32 v[18:19], null, s23, v2, v[1:2]
	v_add_co_u32 v2, s3, s8, v5
	v_mov_b32_e32 v1, v21
	v_add_co_ci_u32_e64 v19, s3, s9, v6, s3
	s_mul_i32 s8, s25, s15
	s_delay_alu instid0(VALU_DEP_4) | instskip(SKIP_3) | instid1(VALU_DEP_3)
	v_mov_b32_e32 v4, v18
	v_lshlrev_b32_e32 v12, 9, v11
	v_mad_u64_u32 v[5:6], null, s23, v0, v[1:2]
	v_add_co_u32 v2, s3, v2, v22
	v_add_nc_u32_e32 v14, v12, v22
	s_mul_hi_u32 s9, s24, s15
	v_add_co_ci_u32_e64 v6, s3, 0, v19, s3
	s_delay_alu instid0(VALU_DEP_4)
	v_mov_b32_e32 v21, v5
	v_lshlrev_b64 v[0:1], 4, v[3:4]
	s_add_i32 s9, s9, s8
	s_mul_i32 s8, s24, s15
	v_add_co_u32 v18, s3, s26, v2
	v_lshlrev_b64 v[2:3], 4, v[20:21]
	s_lshl_b64 s[8:9], s[8:9], 4
	v_add_co_ci_u32_e64 v19, s3, s27, v6, s3
	v_add_co_u32 v0, s3, s8, v0
	s_delay_alu instid0(VALU_DEP_1) | instskip(NEXT) | instid1(VALU_DEP_4)
	v_add_co_ci_u32_e64 v1, s3, s9, v1, s3
	v_add_co_u32 v2, s3, s8, v2
	s_delay_alu instid0(VALU_DEP_1) | instskip(NEXT) | instid1(VALU_DEP_4)
	;; [unrolled: 3-line block ×7, first 2 shown]
	v_add_co_ci_u32_e64 v21, s3, 0, v1, s3
	v_add_co_u32 v22, s3, v2, 8
	v_add_nc_u32_e32 v15, v13, v12
	v_add_co_ci_u32_e64 v23, s3, 0, v3, s3
	s_and_b32 s10, s2, vcc_lo
	s_mov_b64 s[2:3], 0
	s_mov_b64 s[8:9], 0
	s_branch .LBB1863_5
.LBB1863_4:                             ;   in Loop: Header=BB1863_5 Depth=1
	s_or_b32 exec_lo, exec_lo, s11
	s_add_u32 s8, s8, 32
	s_addc_u32 s9, s9, 0
	s_add_u32 s2, s2, 0x200
	v_cmp_lt_i64_e64 s11, s[8:9], s[16:17]
	s_addc_u32 s3, s3, 0
	s_waitcnt_vscnt null, 0x0
	s_barrier
	buffer_gl0_inv
	s_and_b32 vcc_lo, exec_lo, s11
	s_cbranch_vccz .LBB1863_17
.LBB1863_5:                             ; =>This Inner Loop Header: Depth=1
	v_add_co_u32 v2, s11, v10, s8
	s_delay_alu instid0(VALU_DEP_1) | instskip(SKIP_2) | instid1(VALU_DEP_3)
	v_add_co_ci_u32_e64 v3, null, 0, s9, s11
	v_mov_b32_e32 v0, 0
	v_mov_b32_e32 v1, 0
	v_cmp_gt_i64_e32 vcc_lo, s[16:17], v[2:3]
	s_delay_alu instid0(VALU_DEP_2) | instskip(SKIP_2) | instid1(SALU_CYCLE_1)
	v_dual_mov_b32 v5, v1 :: v_dual_mov_b32 v4, v0
	v_dual_mov_b32 v7, v1 :: v_dual_mov_b32 v6, v0
	s_and_b32 s11, s0, vcc_lo
	s_and_saveexec_b32 s12, s11
	s_cbranch_execz .LBB1863_7
; %bb.6:                                ;   in Loop: Header=BB1863_5 Depth=1
	v_add_co_u32 v2, vcc_lo, v22, s2
	v_add_co_ci_u32_e32 v3, vcc_lo, s3, v23, vcc_lo
	global_load_b128 v[4:7], v[2:3], off offset:-8
.LBB1863_7:                             ;   in Loop: Header=BB1863_5 Depth=1
	s_or_b32 exec_lo, exec_lo, s12
	v_add_co_u32 v2, s12, v11, s8
	s_delay_alu instid0(VALU_DEP_1)
	v_add_co_ci_u32_e64 v3, null, 0, s9, s12
	s_waitcnt vmcnt(0)
	ds_store_b128 v14, v[4:7]
	v_cmp_gt_i64_e32 vcc_lo, s[16:17], v[2:3]
	v_dual_mov_b32 v3, v1 :: v_dual_mov_b32 v2, v0
	s_and_b32 s12, s1, vcc_lo
	s_delay_alu instid0(SALU_CYCLE_1)
	s_and_saveexec_b32 s13, s12
	s_cbranch_execz .LBB1863_9
; %bb.8:                                ;   in Loop: Header=BB1863_5 Depth=1
	v_add_co_u32 v0, vcc_lo, v16, s2
	v_add_co_ci_u32_e32 v1, vcc_lo, s3, v17, vcc_lo
	global_load_b128 v[0:3], v[0:1], off offset:-8
.LBB1863_9:                             ;   in Loop: Header=BB1863_5 Depth=1
	s_or_b32 exec_lo, exec_lo, s13
	s_waitcnt vmcnt(0)
	ds_store_b128 v15, v[0:3]
	s_waitcnt lgkmcnt(0)
	s_barrier
	buffer_gl0_inv
	s_and_saveexec_b32 s13, s10
	s_cbranch_execz .LBB1863_11
; %bb.10:                               ;   in Loop: Header=BB1863_5 Depth=1
	ds_load_b128 v[0:3], v13
	ds_load_b128 v[4:7], v12
	ds_load_b128 v[24:27], v12 offset:16
	ds_load_b128 v[28:31], v13 offset:512
	s_waitcnt lgkmcnt(2)
	v_mul_f64 v[32:33], v[0:1], v[6:7]
	v_mul_f64 v[6:7], v[2:3], v[6:7]
	s_waitcnt lgkmcnt(0)
	v_mul_f64 v[48:49], v[28:29], v[26:27]
	v_mul_f64 v[26:27], v[30:31], v[26:27]
	s_delay_alu instid0(VALU_DEP_4)
	v_fma_f64 v[2:3], v[2:3], v[4:5], v[32:33]
	ds_load_b128 v[32:35], v13 offset:1024
	ds_load_b128 v[36:39], v12 offset:32
	ds_load_b128 v[40:43], v12 offset:48
	ds_load_b128 v[44:47], v13 offset:1536
	v_fma_f64 v[0:1], v[0:1], v[4:5], -v[6:7]
	v_fma_f64 v[4:5], v[30:31], v[24:25], v[48:49]
	v_fma_f64 v[52:53], v[28:29], v[24:25], -v[26:27]
	s_waitcnt lgkmcnt(2)
	v_mul_f64 v[50:51], v[32:33], v[38:39]
	v_mul_f64 v[38:39], v[34:35], v[38:39]
	s_waitcnt lgkmcnt(0)
	v_mul_f64 v[48:49], v[44:45], v[42:43]
	v_mul_f64 v[42:43], v[46:47], v[42:43]
	v_add_f64 v[2:3], v[2:3], 0
	v_fma_f64 v[34:35], v[34:35], v[36:37], v[50:51]
	v_add_f64 v[50:51], v[0:1], 0
	v_fma_f64 v[32:33], v[32:33], v[36:37], -v[38:39]
	v_fma_f64 v[36:37], v[46:47], v[40:41], v[48:49]
	v_add_f64 v[54:55], v[2:3], v[4:5]
	ds_load_b128 v[0:3], v12 offset:64
	ds_load_b128 v[4:7], v13 offset:2048
	ds_load_b128 v[24:27], v13 offset:2560
	ds_load_b128 v[28:31], v12 offset:80
	s_waitcnt lgkmcnt(2)
	v_mul_f64 v[56:57], v[4:5], v[2:3]
	v_add_f64 v[38:39], v[50:51], v[52:53]
	v_mul_f64 v[2:3], v[6:7], v[2:3]
	s_waitcnt lgkmcnt(0)
	v_mul_f64 v[48:49], v[24:25], v[30:31]
	v_fma_f64 v[50:51], v[44:45], v[40:41], -v[42:43]
	v_mul_f64 v[30:31], v[26:27], v[30:31]
	v_add_f64 v[34:35], v[54:55], v[34:35]
	v_fma_f64 v[6:7], v[6:7], v[0:1], v[56:57]
	v_add_f64 v[52:53], v[38:39], v[32:33]
	v_fma_f64 v[0:1], v[4:5], v[0:1], -v[2:3]
	v_fma_f64 v[2:3], v[26:27], v[28:29], v[48:49]
	v_add_f64 v[54:55], v[34:35], v[36:37]
	ds_load_b128 v[32:35], v12 offset:96
	ds_load_b128 v[36:39], v13 offset:3072
	ds_load_b128 v[40:43], v13 offset:3584
	ds_load_b128 v[44:47], v12 offset:112
	s_waitcnt lgkmcnt(2)
	v_mul_f64 v[56:57], v[36:37], v[34:35]
	v_add_f64 v[4:5], v[52:53], v[50:51]
	v_mul_f64 v[34:35], v[38:39], v[34:35]
	s_waitcnt lgkmcnt(0)
	v_mul_f64 v[48:49], v[40:41], v[46:47]
	v_fma_f64 v[50:51], v[24:25], v[28:29], -v[30:31]
	;; [unrolled: 18-line block ×11, first 2 shown]
	v_mul_f64 v[30:31], v[26:27], v[30:31]
	v_add_f64 v[38:39], v[54:55], v[38:39]
	v_fma_f64 v[6:7], v[6:7], v[0:1], v[56:57]
	v_add_f64 v[52:53], v[36:37], v[32:33]
	v_fma_f64 v[0:1], v[4:5], v[0:1], -v[2:3]
	v_fma_f64 v[2:3], v[26:27], v[28:29], v[48:49]
	v_add_f64 v[54:55], v[38:39], v[34:35]
	ds_load_b128 v[32:35], v12 offset:416
	ds_load_b128 v[36:39], v13 offset:13312
	;; [unrolled: 1-line block ×4, first 2 shown]
	s_waitcnt lgkmcnt(2)
	v_mul_f64 v[56:57], v[36:37], v[34:35]
	v_add_f64 v[4:5], v[52:53], v[50:51]
	v_mul_f64 v[34:35], v[38:39], v[34:35]
	s_waitcnt lgkmcnt(0)
	v_mul_f64 v[52:53], v[40:41], v[46:47]
	v_mul_f64 v[46:47], v[42:43], v[46:47]
	v_add_f64 v[6:7], v[54:55], v[6:7]
	v_fma_f64 v[54:55], v[24:25], v[28:29], -v[30:31]
	v_fma_f64 v[38:39], v[38:39], v[32:33], v[56:57]
	v_add_f64 v[56:57], v[4:5], v[0:1]
	v_fma_f64 v[32:33], v[36:37], v[32:33], -v[34:35]
	v_fma_f64 v[34:35], v[42:43], v[44:45], v[52:53]
	v_add_f64 v[58:59], v[6:7], v[2:3]
	ds_load_b128 v[0:3], v12 offset:448
	ds_load_b128 v[4:7], v13 offset:14336
	global_load_b128 v[24:27], v[8:9], off
	ds_load_b128 v[28:31], v13 offset:14848
	ds_load_b128 v[48:51], v12 offset:464
	v_add_f64 v[36:37], v[56:57], v[54:55]
	s_waitcnt lgkmcnt(2)
	v_mul_f64 v[60:61], v[4:5], v[2:3]
	v_mul_f64 v[2:3], v[6:7], v[2:3]
	s_waitcnt lgkmcnt(0)
	v_mul_f64 v[52:53], v[28:29], v[50:51]
	v_fma_f64 v[54:55], v[40:41], v[44:45], -v[46:47]
	v_mul_f64 v[50:51], v[30:31], v[50:51]
	v_add_f64 v[38:39], v[58:59], v[38:39]
	v_add_f64 v[56:57], v[36:37], v[32:33]
	v_fma_f64 v[6:7], v[6:7], v[0:1], v[60:61]
	v_fma_f64 v[0:1], v[4:5], v[0:1], -v[2:3]
	v_fma_f64 v[2:3], v[30:31], v[48:49], v[52:53]
	v_fma_f64 v[28:29], v[28:29], v[48:49], -v[50:51]
	v_add_f64 v[58:59], v[38:39], v[34:35]
	ds_load_b128 v[32:35], v12 offset:480
	ds_load_b128 v[36:39], v13 offset:15360
	ds_load_b128 v[40:43], v13 offset:15872
	ds_load_b128 v[44:47], v12 offset:496
	s_waitcnt lgkmcnt(2)
	v_mul_f64 v[60:61], v[36:37], v[34:35]
	v_add_f64 v[4:5], v[56:57], v[54:55]
	v_mul_f64 v[30:31], v[38:39], v[34:35]
	s_waitcnt lgkmcnt(0)
	v_mul_f64 v[34:35], v[40:41], v[46:47]
	v_add_f64 v[6:7], v[58:59], v[6:7]
	v_fma_f64 v[38:39], v[38:39], v[32:33], v[60:61]
	v_add_f64 v[0:1], v[4:5], v[0:1]
	v_mul_f64 v[4:5], v[42:43], v[46:47]
	s_delay_alu instid0(VALU_DEP_4)
	v_add_f64 v[2:3], v[6:7], v[2:3]
	v_fma_f64 v[6:7], v[36:37], v[32:33], -v[30:31]
	v_fma_f64 v[30:31], v[42:43], v[44:45], v[34:35]
	v_add_f64 v[0:1], v[0:1], v[28:29]
	v_fma_f64 v[4:5], v[40:41], v[44:45], -v[4:5]
	v_add_f64 v[2:3], v[2:3], v[38:39]
	s_delay_alu instid0(VALU_DEP_3) | instskip(NEXT) | instid1(VALU_DEP_2)
	v_add_f64 v[0:1], v[0:1], v[6:7]
	v_add_f64 v[2:3], v[2:3], v[30:31]
	s_delay_alu instid0(VALU_DEP_2) | instskip(NEXT) | instid1(VALU_DEP_2)
	v_add_f64 v[0:1], v[0:1], v[4:5]
	v_mul_f64 v[4:5], s[6:7], v[2:3]
	v_mul_f64 v[2:3], s[4:5], v[2:3]
	s_delay_alu instid0(VALU_DEP_2) | instskip(NEXT) | instid1(VALU_DEP_2)
	v_fma_f64 v[4:5], s[4:5], v[0:1], -v[4:5]
	v_fma_f64 v[2:3], s[6:7], v[0:1], v[2:3]
	s_waitcnt vmcnt(0)
	s_delay_alu instid0(VALU_DEP_2) | instskip(NEXT) | instid1(VALU_DEP_2)
	v_add_f64 v[0:1], v[24:25], v[4:5]
	v_add_f64 v[2:3], v[26:27], v[2:3]
	global_store_b128 v[8:9], v[0:3], off
.LBB1863_11:                            ;   in Loop: Header=BB1863_5 Depth=1
	s_or_b32 exec_lo, exec_lo, s13
	v_mov_b32_e32 v2, 0
	v_mov_b32_e32 v3, 0
	s_waitcnt_vscnt null, 0x0
	s_barrier
	buffer_gl0_inv
	v_dual_mov_b32 v7, v3 :: v_dual_mov_b32 v6, v2
	v_dual_mov_b32 v5, v3 :: v_dual_mov_b32 v4, v2
	s_and_saveexec_b32 s13, s11
	s_cbranch_execz .LBB1863_13
; %bb.12:                               ;   in Loop: Header=BB1863_5 Depth=1
	v_add_co_u32 v0, vcc_lo, v18, s2
	v_add_co_ci_u32_e32 v1, vcc_lo, s3, v19, vcc_lo
	global_load_b128 v[4:7], v[0:1], off
.LBB1863_13:                            ;   in Loop: Header=BB1863_5 Depth=1
	s_or_b32 exec_lo, exec_lo, s13
	v_dual_mov_b32 v0, v2 :: v_dual_mov_b32 v1, v3
	s_waitcnt vmcnt(0)
	ds_store_b128 v14, v[4:7]
	s_and_saveexec_b32 s11, s12
	s_cbranch_execz .LBB1863_15
; %bb.14:                               ;   in Loop: Header=BB1863_5 Depth=1
	v_add_co_u32 v0, vcc_lo, v20, s2
	v_add_co_ci_u32_e32 v1, vcc_lo, s3, v21, vcc_lo
	global_load_b128 v[0:3], v[0:1], off offset:-8
.LBB1863_15:                            ;   in Loop: Header=BB1863_5 Depth=1
	s_or_b32 exec_lo, exec_lo, s11
	s_waitcnt vmcnt(0)
	ds_store_b128 v15, v[0:3]
	s_waitcnt lgkmcnt(0)
	s_barrier
	buffer_gl0_inv
	s_and_saveexec_b32 s11, s10
	s_cbranch_execz .LBB1863_4
; %bb.16:                               ;   in Loop: Header=BB1863_5 Depth=1
	ds_load_b128 v[0:3], v13
	ds_load_b128 v[4:7], v12
	ds_load_b128 v[24:27], v12 offset:16
	ds_load_b128 v[28:31], v13 offset:512
	s_waitcnt lgkmcnt(2)
	v_mul_f64 v[32:33], v[0:1], v[6:7]
	v_mul_f64 v[6:7], v[2:3], v[6:7]
	s_waitcnt lgkmcnt(0)
	v_mul_f64 v[40:41], v[30:31], v[26:27]
	v_mul_f64 v[26:27], v[28:29], v[26:27]
	s_delay_alu instid0(VALU_DEP_4) | instskip(NEXT) | instid1(VALU_DEP_4)
	v_fma_f64 v[42:43], v[2:3], v[4:5], v[32:33]
	v_fma_f64 v[44:45], v[0:1], v[4:5], -v[6:7]
	ds_load_b128 v[0:3], v13 offset:1024
	ds_load_b128 v[4:7], v12 offset:32
	;; [unrolled: 1-line block ×4, first 2 shown]
	v_fma_f64 v[28:29], v[28:29], v[24:25], -v[40:41]
	v_fma_f64 v[24:25], v[30:31], v[24:25], v[26:27]
	s_waitcnt lgkmcnt(2)
	v_mul_f64 v[46:47], v[2:3], v[6:7]
	v_mul_f64 v[6:7], v[0:1], v[6:7]
	s_waitcnt lgkmcnt(0)
	v_mul_f64 v[40:41], v[38:39], v[34:35]
	v_mul_f64 v[34:35], v[36:37], v[34:35]
	v_add_f64 v[26:27], v[42:43], 0
	v_add_f64 v[30:31], v[44:45], 0
	v_fma_f64 v[42:43], v[0:1], v[4:5], -v[46:47]
	v_fma_f64 v[44:45], v[2:3], v[4:5], v[6:7]
	v_fma_f64 v[36:37], v[36:37], v[32:33], -v[40:41]
	v_fma_f64 v[32:33], v[38:39], v[32:33], v[34:35]
	v_add_f64 v[46:47], v[26:27], v[24:25]
	v_add_f64 v[48:49], v[30:31], v[28:29]
	ds_load_b128 v[0:3], v12 offset:64
	ds_load_b128 v[4:7], v13 offset:2048
	ds_load_b128 v[24:27], v13 offset:2560
	ds_load_b128 v[28:31], v12 offset:80
	s_waitcnt lgkmcnt(2)
	v_mul_f64 v[50:51], v[6:7], v[2:3]
	v_mul_f64 v[2:3], v[4:5], v[2:3]
	s_waitcnt lgkmcnt(0)
	v_mul_f64 v[40:41], v[26:27], v[30:31]
	v_add_f64 v[34:35], v[46:47], v[44:45]
	v_add_f64 v[38:39], v[48:49], v[42:43]
	v_mul_f64 v[42:43], v[24:25], v[30:31]
	v_fma_f64 v[44:45], v[4:5], v[0:1], -v[50:51]
	v_fma_f64 v[46:47], v[6:7], v[0:1], v[2:3]
	v_fma_f64 v[24:25], v[24:25], v[28:29], -v[40:41]
	v_add_f64 v[48:49], v[34:35], v[32:33]
	v_add_f64 v[38:39], v[38:39], v[36:37]
	ds_load_b128 v[0:3], v12 offset:96
	ds_load_b128 v[4:7], v13 offset:3072
	ds_load_b128 v[30:33], v13 offset:3584
	ds_load_b128 v[34:37], v12 offset:112
	v_fma_f64 v[26:27], v[26:27], v[28:29], v[42:43]
	s_waitcnt lgkmcnt(2)
	v_mul_f64 v[50:51], v[6:7], v[2:3]
	v_mul_f64 v[2:3], v[4:5], v[2:3]
	s_waitcnt lgkmcnt(0)
	v_mul_f64 v[40:41], v[32:33], v[36:37]
	v_mul_f64 v[42:43], v[30:31], v[36:37]
	v_add_f64 v[28:29], v[48:49], v[46:47]
	v_add_f64 v[38:39], v[38:39], v[44:45]
	v_fma_f64 v[44:45], v[4:5], v[0:1], -v[50:51]
	v_fma_f64 v[46:47], v[6:7], v[0:1], v[2:3]
	v_fma_f64 v[30:31], v[30:31], v[34:35], -v[40:41]
	v_fma_f64 v[32:33], v[32:33], v[34:35], v[42:43]
	v_add_f64 v[28:29], v[28:29], v[26:27]
	v_add_f64 v[48:49], v[38:39], v[24:25]
	ds_load_b128 v[0:3], v12 offset:128
	ds_load_b128 v[4:7], v13 offset:4096
	ds_load_b128 v[24:27], v13 offset:4608
	ds_load_b128 v[36:39], v12 offset:144
	s_waitcnt lgkmcnt(2)
	v_mul_f64 v[50:51], v[6:7], v[2:3]
	v_mul_f64 v[2:3], v[4:5], v[2:3]
	s_waitcnt lgkmcnt(0)
	v_mul_f64 v[40:41], v[26:27], v[38:39]
	v_mul_f64 v[38:39], v[24:25], v[38:39]
	v_add_f64 v[28:29], v[28:29], v[46:47]
	v_add_f64 v[34:35], v[48:49], v[44:45]
	v_fma_f64 v[42:43], v[4:5], v[0:1], -v[50:51]
	v_fma_f64 v[44:45], v[6:7], v[0:1], v[2:3]
	v_fma_f64 v[24:25], v[24:25], v[36:37], -v[40:41]
	v_fma_f64 v[26:27], v[26:27], v[36:37], v[38:39]
	v_add_f64 v[46:47], v[28:29], v[32:33]
	v_add_f64 v[48:49], v[34:35], v[30:31]
	ds_load_b128 v[0:3], v12 offset:160
	ds_load_b128 v[4:7], v13 offset:5120
	ds_load_b128 v[28:31], v13 offset:5632
	ds_load_b128 v[32:35], v12 offset:176
	s_waitcnt lgkmcnt(2)
	v_mul_f64 v[50:51], v[6:7], v[2:3]
	v_mul_f64 v[2:3], v[4:5], v[2:3]
	s_waitcnt lgkmcnt(0)
	v_mul_f64 v[40:41], v[30:31], v[34:35]
	v_add_f64 v[36:37], v[46:47], v[44:45]
	v_add_f64 v[38:39], v[48:49], v[42:43]
	v_mul_f64 v[42:43], v[28:29], v[34:35]
	v_fma_f64 v[44:45], v[4:5], v[0:1], -v[50:51]
	v_fma_f64 v[46:47], v[6:7], v[0:1], v[2:3]
	v_fma_f64 v[28:29], v[28:29], v[32:33], -v[40:41]
	v_add_f64 v[48:49], v[36:37], v[26:27]
	v_add_f64 v[38:39], v[38:39], v[24:25]
	ds_load_b128 v[0:3], v12 offset:192
	ds_load_b128 v[4:7], v13 offset:6144
	ds_load_b128 v[24:27], v13 offset:6656
	ds_load_b128 v[34:37], v12 offset:208
	v_fma_f64 v[30:31], v[30:31], v[32:33], v[42:43]
	s_waitcnt lgkmcnt(2)
	v_mul_f64 v[50:51], v[6:7], v[2:3]
	v_mul_f64 v[2:3], v[4:5], v[2:3]
	s_waitcnt lgkmcnt(0)
	v_mul_f64 v[40:41], v[26:27], v[36:37]
	v_mul_f64 v[42:43], v[24:25], v[36:37]
	v_add_f64 v[32:33], v[48:49], v[46:47]
	v_add_f64 v[38:39], v[38:39], v[44:45]
	v_fma_f64 v[44:45], v[4:5], v[0:1], -v[50:51]
	v_fma_f64 v[46:47], v[6:7], v[0:1], v[2:3]
	v_fma_f64 v[24:25], v[24:25], v[34:35], -v[40:41]
	v_fma_f64 v[26:27], v[26:27], v[34:35], v[42:43]
	v_add_f64 v[32:33], v[32:33], v[30:31]
	v_add_f64 v[48:49], v[38:39], v[28:29]
	ds_load_b128 v[0:3], v12 offset:224
	ds_load_b128 v[4:7], v13 offset:7168
	ds_load_b128 v[28:31], v13 offset:7680
	ds_load_b128 v[36:39], v12 offset:240
	s_waitcnt lgkmcnt(2)
	v_mul_f64 v[50:51], v[6:7], v[2:3]
	v_mul_f64 v[2:3], v[4:5], v[2:3]
	s_waitcnt lgkmcnt(0)
	v_mul_f64 v[40:41], v[30:31], v[38:39]
	v_mul_f64 v[38:39], v[28:29], v[38:39]
	v_add_f64 v[32:33], v[32:33], v[46:47]
	v_add_f64 v[34:35], v[48:49], v[44:45]
	v_fma_f64 v[42:43], v[4:5], v[0:1], -v[50:51]
	v_fma_f64 v[44:45], v[6:7], v[0:1], v[2:3]
	v_fma_f64 v[28:29], v[28:29], v[36:37], -v[40:41]
	v_fma_f64 v[30:31], v[30:31], v[36:37], v[38:39]
	v_add_f64 v[46:47], v[32:33], v[26:27]
	v_add_f64 v[48:49], v[34:35], v[24:25]
	ds_load_b128 v[0:3], v12 offset:256
	ds_load_b128 v[4:7], v13 offset:8192
	ds_load_b128 v[24:27], v13 offset:8704
	ds_load_b128 v[32:35], v12 offset:272
	s_waitcnt lgkmcnt(2)
	v_mul_f64 v[50:51], v[6:7], v[2:3]
	v_mul_f64 v[2:3], v[4:5], v[2:3]
	s_waitcnt lgkmcnt(0)
	v_mul_f64 v[40:41], v[26:27], v[34:35]
	v_add_f64 v[36:37], v[46:47], v[44:45]
	v_add_f64 v[38:39], v[48:49], v[42:43]
	v_mul_f64 v[42:43], v[24:25], v[34:35]
	v_fma_f64 v[44:45], v[4:5], v[0:1], -v[50:51]
	v_fma_f64 v[46:47], v[6:7], v[0:1], v[2:3]
	v_fma_f64 v[24:25], v[24:25], v[32:33], -v[40:41]
	v_add_f64 v[48:49], v[36:37], v[30:31]
	v_add_f64 v[38:39], v[38:39], v[28:29]
	ds_load_b128 v[0:3], v12 offset:288
	ds_load_b128 v[4:7], v13 offset:9216
	ds_load_b128 v[28:31], v13 offset:9728
	ds_load_b128 v[34:37], v12 offset:304
	v_fma_f64 v[26:27], v[26:27], v[32:33], v[42:43]
	s_waitcnt lgkmcnt(2)
	v_mul_f64 v[50:51], v[6:7], v[2:3]
	v_mul_f64 v[2:3], v[4:5], v[2:3]
	s_waitcnt lgkmcnt(0)
	v_mul_f64 v[40:41], v[30:31], v[36:37]
	v_mul_f64 v[42:43], v[28:29], v[36:37]
	v_add_f64 v[32:33], v[48:49], v[46:47]
	v_add_f64 v[38:39], v[38:39], v[44:45]
	v_fma_f64 v[44:45], v[4:5], v[0:1], -v[50:51]
	v_fma_f64 v[46:47], v[6:7], v[0:1], v[2:3]
	v_fma_f64 v[28:29], v[28:29], v[34:35], -v[40:41]
	v_fma_f64 v[30:31], v[30:31], v[34:35], v[42:43]
	v_add_f64 v[32:33], v[32:33], v[26:27]
	v_add_f64 v[48:49], v[38:39], v[24:25]
	ds_load_b128 v[0:3], v12 offset:320
	ds_load_b128 v[4:7], v13 offset:10240
	ds_load_b128 v[24:27], v13 offset:10752
	ds_load_b128 v[36:39], v12 offset:336
	s_waitcnt lgkmcnt(2)
	v_mul_f64 v[50:51], v[6:7], v[2:3]
	v_mul_f64 v[2:3], v[4:5], v[2:3]
	s_waitcnt lgkmcnt(0)
	v_mul_f64 v[40:41], v[26:27], v[38:39]
	v_mul_f64 v[38:39], v[24:25], v[38:39]
	v_add_f64 v[32:33], v[32:33], v[46:47]
	v_add_f64 v[34:35], v[48:49], v[44:45]
	v_fma_f64 v[42:43], v[4:5], v[0:1], -v[50:51]
	v_fma_f64 v[44:45], v[6:7], v[0:1], v[2:3]
	v_fma_f64 v[24:25], v[24:25], v[36:37], -v[40:41]
	v_fma_f64 v[26:27], v[26:27], v[36:37], v[38:39]
	v_add_f64 v[46:47], v[32:33], v[30:31]
	v_add_f64 v[48:49], v[34:35], v[28:29]
	ds_load_b128 v[0:3], v12 offset:352
	ds_load_b128 v[4:7], v13 offset:11264
	ds_load_b128 v[28:31], v13 offset:11776
	ds_load_b128 v[32:35], v12 offset:368
	s_waitcnt lgkmcnt(2)
	v_mul_f64 v[50:51], v[6:7], v[2:3]
	v_mul_f64 v[2:3], v[4:5], v[2:3]
	s_waitcnt lgkmcnt(0)
	v_mul_f64 v[40:41], v[30:31], v[34:35]
	v_add_f64 v[36:37], v[46:47], v[44:45]
	v_add_f64 v[38:39], v[48:49], v[42:43]
	v_mul_f64 v[42:43], v[28:29], v[34:35]
	v_fma_f64 v[44:45], v[4:5], v[0:1], -v[50:51]
	v_fma_f64 v[46:47], v[6:7], v[0:1], v[2:3]
	v_fma_f64 v[28:29], v[28:29], v[32:33], -v[40:41]
	v_add_f64 v[48:49], v[36:37], v[26:27]
	v_add_f64 v[38:39], v[38:39], v[24:25]
	ds_load_b128 v[0:3], v12 offset:384
	ds_load_b128 v[4:7], v13 offset:12288
	ds_load_b128 v[24:27], v13 offset:12800
	ds_load_b128 v[34:37], v12 offset:400
	v_fma_f64 v[30:31], v[30:31], v[32:33], v[42:43]
	s_waitcnt lgkmcnt(2)
	v_mul_f64 v[50:51], v[6:7], v[2:3]
	v_mul_f64 v[2:3], v[4:5], v[2:3]
	s_waitcnt lgkmcnt(0)
	v_mul_f64 v[40:41], v[26:27], v[36:37]
	v_mul_f64 v[42:43], v[24:25], v[36:37]
	v_add_f64 v[32:33], v[48:49], v[46:47]
	v_add_f64 v[38:39], v[38:39], v[44:45]
	v_fma_f64 v[44:45], v[4:5], v[0:1], -v[50:51]
	v_fma_f64 v[46:47], v[6:7], v[0:1], v[2:3]
	v_fma_f64 v[24:25], v[24:25], v[34:35], -v[40:41]
	v_fma_f64 v[26:27], v[26:27], v[34:35], v[42:43]
	v_add_f64 v[32:33], v[32:33], v[30:31]
	v_add_f64 v[48:49], v[38:39], v[28:29]
	ds_load_b128 v[0:3], v12 offset:416
	ds_load_b128 v[4:7], v13 offset:13312
	ds_load_b128 v[28:31], v13 offset:13824
	ds_load_b128 v[36:39], v12 offset:432
	s_waitcnt lgkmcnt(2)
	v_mul_f64 v[50:51], v[6:7], v[2:3]
	v_mul_f64 v[2:3], v[4:5], v[2:3]
	s_waitcnt lgkmcnt(0)
	v_mul_f64 v[42:43], v[30:31], v[38:39]
	v_add_f64 v[32:33], v[32:33], v[46:47]
	v_add_f64 v[34:35], v[48:49], v[44:45]
	v_mul_f64 v[44:45], v[28:29], v[38:39]
	v_fma_f64 v[46:47], v[4:5], v[0:1], -v[50:51]
	v_fma_f64 v[48:49], v[6:7], v[0:1], v[2:3]
	ds_load_b128 v[0:3], v12 offset:448
	ds_load_b128 v[4:7], v13 offset:14336
	v_fma_f64 v[28:29], v[28:29], v[36:37], -v[42:43]
	v_add_f64 v[50:51], v[32:33], v[26:27]
	v_add_f64 v[52:53], v[34:35], v[24:25]
	global_load_b128 v[24:27], v[8:9], off
	v_fma_f64 v[30:31], v[30:31], v[36:37], v[44:45]
	s_waitcnt lgkmcnt(0)
	v_mul_f64 v[54:55], v[6:7], v[2:3]
	v_mul_f64 v[2:3], v[4:5], v[2:3]
	ds_load_b128 v[32:35], v13 offset:14848
	ds_load_b128 v[38:41], v12 offset:464
	s_waitcnt lgkmcnt(0)
	v_mul_f64 v[44:45], v[34:35], v[40:41]
	v_add_f64 v[36:37], v[50:51], v[48:49]
	v_add_f64 v[42:43], v[52:53], v[46:47]
	v_mul_f64 v[46:47], v[32:33], v[40:41]
	v_fma_f64 v[48:49], v[4:5], v[0:1], -v[54:55]
	v_fma_f64 v[50:51], v[6:7], v[0:1], v[2:3]
	v_fma_f64 v[32:33], v[32:33], v[38:39], -v[44:45]
	v_add_f64 v[36:37], v[36:37], v[30:31]
	v_add_f64 v[52:53], v[42:43], v[28:29]
	ds_load_b128 v[0:3], v12 offset:480
	ds_load_b128 v[4:7], v13 offset:15360
	;; [unrolled: 1-line block ×4, first 2 shown]
	v_fma_f64 v[34:35], v[34:35], v[38:39], v[46:47]
	s_waitcnt lgkmcnt(2)
	v_mul_f64 v[54:55], v[6:7], v[2:3]
	v_mul_f64 v[2:3], v[4:5], v[2:3]
	s_waitcnt lgkmcnt(0)
	v_mul_f64 v[44:45], v[30:31], v[42:43]
	v_mul_f64 v[42:43], v[28:29], v[42:43]
	v_add_f64 v[36:37], v[36:37], v[50:51]
	v_add_f64 v[38:39], v[52:53], v[48:49]
	v_fma_f64 v[4:5], v[4:5], v[0:1], -v[54:55]
	v_fma_f64 v[0:1], v[6:7], v[0:1], v[2:3]
	v_fma_f64 v[28:29], v[28:29], v[40:41], -v[44:45]
	v_fma_f64 v[30:31], v[30:31], v[40:41], v[42:43]
	v_add_f64 v[2:3], v[36:37], v[34:35]
	v_add_f64 v[6:7], v[38:39], v[32:33]
	s_delay_alu instid0(VALU_DEP_2) | instskip(NEXT) | instid1(VALU_DEP_2)
	v_add_f64 v[0:1], v[2:3], v[0:1]
	v_add_f64 v[2:3], v[6:7], v[4:5]
	s_delay_alu instid0(VALU_DEP_2) | instskip(NEXT) | instid1(VALU_DEP_2)
	;; [unrolled: 3-line block ×3, first 2 shown]
	v_mul_f64 v[4:5], s[6:7], v[0:1]
	v_mul_f64 v[6:7], s[6:7], v[2:3]
	s_delay_alu instid0(VALU_DEP_2) | instskip(NEXT) | instid1(VALU_DEP_2)
	v_fma_f64 v[2:3], s[4:5], v[2:3], -v[4:5]
	v_fma_f64 v[4:5], s[4:5], v[0:1], v[6:7]
	s_waitcnt vmcnt(0)
	s_delay_alu instid0(VALU_DEP_2) | instskip(NEXT) | instid1(VALU_DEP_2)
	v_add_f64 v[0:1], v[24:25], v[2:3]
	v_add_f64 v[2:3], v[26:27], v[4:5]
	global_store_b128 v[8:9], v[0:3], off
	s_branch .LBB1863_4
.LBB1863_17:
	s_endpgm
	.section	.rodata,"a",@progbits
	.p2align	6, 0x0
	.amdhsa_kernel _ZL26rocblas_syr2k_her2k_kernelIlLb1ELb0ELb1ELi32EPK19rocblas_complex_numIdES3_PS1_EvbiT_T4_T5_S5_lS7_S5_lT6_S5_li
		.amdhsa_group_segment_fixed_size 32768
		.amdhsa_private_segment_fixed_size 0
		.amdhsa_kernarg_size 100
		.amdhsa_user_sgpr_count 13
		.amdhsa_user_sgpr_dispatch_ptr 0
		.amdhsa_user_sgpr_queue_ptr 0
		.amdhsa_user_sgpr_kernarg_segment_ptr 1
		.amdhsa_user_sgpr_dispatch_id 0
		.amdhsa_user_sgpr_private_segment_size 0
		.amdhsa_wavefront_size32 1
		.amdhsa_uses_dynamic_stack 0
		.amdhsa_enable_private_segment 0
		.amdhsa_system_sgpr_workgroup_id_x 1
		.amdhsa_system_sgpr_workgroup_id_y 1
		.amdhsa_system_sgpr_workgroup_id_z 1
		.amdhsa_system_sgpr_workgroup_info 0
		.amdhsa_system_vgpr_workitem_id 1
		.amdhsa_next_free_vgpr 62
		.amdhsa_next_free_sgpr 32
		.amdhsa_reserve_vcc 1
		.amdhsa_float_round_mode_32 0
		.amdhsa_float_round_mode_16_64 0
		.amdhsa_float_denorm_mode_32 3
		.amdhsa_float_denorm_mode_16_64 3
		.amdhsa_dx10_clamp 1
		.amdhsa_ieee_mode 1
		.amdhsa_fp16_overflow 0
		.amdhsa_workgroup_processor_mode 1
		.amdhsa_memory_ordered 1
		.amdhsa_forward_progress 0
		.amdhsa_shared_vgpr_count 0
		.amdhsa_exception_fp_ieee_invalid_op 0
		.amdhsa_exception_fp_denorm_src 0
		.amdhsa_exception_fp_ieee_div_zero 0
		.amdhsa_exception_fp_ieee_overflow 0
		.amdhsa_exception_fp_ieee_underflow 0
		.amdhsa_exception_fp_ieee_inexact 0
		.amdhsa_exception_int_div_zero 0
	.end_amdhsa_kernel
	.section	.text._ZL26rocblas_syr2k_her2k_kernelIlLb1ELb0ELb1ELi32EPK19rocblas_complex_numIdES3_PS1_EvbiT_T4_T5_S5_lS7_S5_lT6_S5_li,"axG",@progbits,_ZL26rocblas_syr2k_her2k_kernelIlLb1ELb0ELb1ELi32EPK19rocblas_complex_numIdES3_PS1_EvbiT_T4_T5_S5_lS7_S5_lT6_S5_li,comdat
.Lfunc_end1863:
	.size	_ZL26rocblas_syr2k_her2k_kernelIlLb1ELb0ELb1ELi32EPK19rocblas_complex_numIdES3_PS1_EvbiT_T4_T5_S5_lS7_S5_lT6_S5_li, .Lfunc_end1863-_ZL26rocblas_syr2k_her2k_kernelIlLb1ELb0ELb1ELi32EPK19rocblas_complex_numIdES3_PS1_EvbiT_T4_T5_S5_lS7_S5_lT6_S5_li
                                        ; -- End function
	.section	.AMDGPU.csdata,"",@progbits
; Kernel info:
; codeLenInByte = 5860
; NumSgprs: 34
; NumVgprs: 62
; ScratchSize: 0
; MemoryBound: 1
; FloatMode: 240
; IeeeMode: 1
; LDSByteSize: 32768 bytes/workgroup (compile time only)
; SGPRBlocks: 4
; VGPRBlocks: 7
; NumSGPRsForWavesPerEU: 34
; NumVGPRsForWavesPerEU: 62
; Occupancy: 16
; WaveLimiterHint : 0
; COMPUTE_PGM_RSRC2:SCRATCH_EN: 0
; COMPUTE_PGM_RSRC2:USER_SGPR: 13
; COMPUTE_PGM_RSRC2:TRAP_HANDLER: 0
; COMPUTE_PGM_RSRC2:TGID_X_EN: 1
; COMPUTE_PGM_RSRC2:TGID_Y_EN: 1
; COMPUTE_PGM_RSRC2:TGID_Z_EN: 1
; COMPUTE_PGM_RSRC2:TIDIG_COMP_CNT: 1
	.section	.text._ZL26rocblas_syr2k_her2k_kernelIlLb1ELb1ELb0ELi32E19rocblas_complex_numIfEPKS1_PS1_EvbiT_T4_T5_S5_lS7_S5_lT6_S5_li,"axG",@progbits,_ZL26rocblas_syr2k_her2k_kernelIlLb1ELb1ELb0ELi32E19rocblas_complex_numIfEPKS1_PS1_EvbiT_T4_T5_S5_lS7_S5_lT6_S5_li,comdat
	.globl	_ZL26rocblas_syr2k_her2k_kernelIlLb1ELb1ELb0ELi32E19rocblas_complex_numIfEPKS1_PS1_EvbiT_T4_T5_S5_lS7_S5_lT6_S5_li ; -- Begin function _ZL26rocblas_syr2k_her2k_kernelIlLb1ELb1ELb0ELi32E19rocblas_complex_numIfEPKS1_PS1_EvbiT_T4_T5_S5_lS7_S5_lT6_S5_li
	.p2align	8
	.type	_ZL26rocblas_syr2k_her2k_kernelIlLb1ELb1ELb0ELi32E19rocblas_complex_numIfEPKS1_PS1_EvbiT_T4_T5_S5_lS7_S5_lT6_S5_li,@function
_ZL26rocblas_syr2k_her2k_kernelIlLb1ELb1ELb0ELi32E19rocblas_complex_numIfEPKS1_PS1_EvbiT_T4_T5_S5_lS7_S5_lT6_S5_li: ; @_ZL26rocblas_syr2k_her2k_kernelIlLb1ELb1ELb0ELi32E19rocblas_complex_numIfEPKS1_PS1_EvbiT_T4_T5_S5_lS7_S5_lT6_S5_li
; %bb.0:
	s_load_b64 s[4:5], s[0:1], 0x10
	s_waitcnt lgkmcnt(0)
	v_cmp_eq_f32_e64 s2, s4, 0
	v_cmp_eq_f32_e64 s3, s5, 0
	s_delay_alu instid0(VALU_DEP_1) | instskip(NEXT) | instid1(SALU_CYCLE_1)
	s_and_b32 s2, s2, s3
	s_and_b32 vcc_lo, exec_lo, s2
	s_cbranch_vccnz .LBB1864_17
; %bb.1:
	s_load_b64 s[2:3], s[0:1], 0x0
	s_lshl_b32 s8, s14, 5
	s_lshl_b32 s9, s13, 5
	s_waitcnt lgkmcnt(0)
	s_and_b32 s2, 1, s2
	s_delay_alu instid0(SALU_CYCLE_1) | instskip(SKIP_1) | instid1(SALU_CYCLE_1)
	s_cmp_eq_u32 s2, 1
	s_cselect_b32 s2, -1, 0
	s_and_b32 s6, s2, exec_lo
	s_cselect_b32 s6, s9, s8
	s_cselect_b32 s7, s8, s9
	s_delay_alu instid0(SALU_CYCLE_1)
	s_cmp_gt_i32 s6, s7
	s_cbranch_scc1 .LBB1864_17
; %bb.2:
	s_load_b64 s[6:7], s[0:1], 0x8
	s_waitcnt lgkmcnt(0)
	v_cmp_lt_i64_e64 s10, s[6:7], 1
	s_delay_alu instid0(VALU_DEP_1)
	s_and_b32 vcc_lo, exec_lo, s10
	s_cbranch_vccnz .LBB1864_17
; %bb.3:
	s_clause 0x1
	s_load_b512 s[16:31], s[0:1], 0x18
	s_load_b64 s[0:1], s[0:1], 0x58
	v_bfe_u32 v6, v0, 10, 10
	v_and_b32_e32 v7, 0x3ff, v0
	s_delay_alu instid0(VALU_DEP_2) | instskip(NEXT) | instid1(VALU_DEP_1)
	v_dual_mov_b32 v3, 0 :: v_dual_add_nc_u32 v0, s8, v6
	v_dual_mov_b32 v1, v3 :: v_dual_add_nc_u32 v2, s9, v7
	s_mov_b32 s8, s3
	s_delay_alu instid0(VALU_DEP_2) | instskip(NEXT) | instid1(VALU_DEP_2)
	v_ashrrev_i32_e32 v9, 31, v0
	v_cndmask_b32_e64 v11, v2, v0, s2
	v_cndmask_b32_e64 v16, v0, v2, s2
	v_max_i32_e32 v17, v2, v0
	v_lshlrev_b64 v[20:21], 3, v[0:1]
	s_delay_alu instid0(VALU_DEP_2)
	v_cmp_gt_i32_e32 vcc_lo, s3, v17
	s_waitcnt lgkmcnt(0)
	v_mad_u64_u32 v[4:5], null, s24, v7, 0
	v_mul_lo_u32 v18, v9, s30
	v_mul_lo_u32 v19, v0, s31
	v_mad_u64_u32 v[12:13], null, v0, s30, 0
	s_mul_i32 s2, s15, s27
	s_mul_hi_u32 s9, s15, s26
	s_delay_alu instid0(VALU_DEP_4) | instskip(SKIP_2) | instid1(VALU_DEP_2)
	v_mad_u64_u32 v[14:15], null, s25, v7, v[5:6]
	s_mul_i32 s10, s15, s26
	s_add_i32 s11, s9, s2
	v_add3_u32 v13, v13, v19, v18
	s_lshl_b64 s[10:11], s[10:11], 3
	s_mul_i32 s1, s15, s1
	s_mul_hi_u32 s14, s15, s0
	s_add_u32 s12, s22, s10
	v_dual_mov_b32 v5, v14 :: v_dual_lshlrev_b32 v10, 3, v6
	s_mul_i32 s0, s15, s0
	s_addc_u32 s13, s23, s11
	s_add_i32 s1, s14, s1
	v_cmp_le_i32_e64 s2, v16, v11
	v_mov_b32_e32 v14, v2
	v_lshlrev_b64 v[12:13], 3, v[12:13]
	v_mad_u64_u32 v[16:17], null, s24, v6, 0
	v_mad_u64_u32 v[18:19], null, s18, v7, 0
	s_lshl_b64 s[0:1], s[0:1], 3
	v_lshlrev_b32_e32 v8, 8, v7
	s_add_u32 s10, s28, s0
	s_addc_u32 s11, s29, s1
	s_and_b32 s14, s2, vcc_lo
	v_add_co_u32 v25, vcc_lo, s10, v12
	v_ashrrev_i32_e32 v15, 31, v2
	v_add_co_ci_u32_e32 v26, vcc_lo, s11, v13, vcc_lo
	v_dual_mov_b32 v13, v19 :: v_dual_mov_b32 v12, v17
	s_ashr_i32 s9, s3, 31
	v_lshlrev_b64 v[4:5], 3, v[4:5]
	v_cmp_gt_i64_e64 s1, s[8:9], v[0:1]
	v_lshlrev_b64 v[0:1], 3, v[14:15]
	v_mad_u64_u32 v[14:15], null, s25, v6, v[12:13]
	v_or_b32_e32 v9, 0x2000, v10
	v_add_co_u32 v4, vcc_lo, v4, v20
	v_add_nc_u32_e32 v10, v8, v10
	v_cmp_gt_i64_e64 s0, s[8:9], v[2:3]
	v_add_co_ci_u32_e32 v12, vcc_lo, v5, v21, vcc_lo
	v_mov_b32_e32 v17, v14
	v_mad_u64_u32 v[22:23], null, s19, v7, v[13:14]
	v_mad_u64_u32 v[23:24], null, s18, v6, 0
	v_add_nc_u32_e32 v11, v9, v8
	v_or_b32_e32 v13, 4, v4
	v_lshlrev_b64 v[2:3], 3, v[2:3]
	s_mul_i32 s8, s21, s15
	v_mov_b32_e32 v19, v22
	s_mul_hi_u32 s9, s20, s15
	v_mov_b32_e32 v4, v24
	v_add_co_u32 v0, s2, v25, v0
	s_add_i32 s9, s9, s8
	s_mul_i32 s8, s20, s15
	s_delay_alu instid0(VALU_DEP_2)
	v_mad_u64_u32 v[14:15], null, s19, v6, v[4:5]
	v_lshlrev_b64 v[4:5], 3, v[16:17]
	v_lshlrev_b64 v[16:17], 3, v[18:19]
	v_add_co_ci_u32_e64 v1, s2, v26, v1, s2
	s_lshl_b64 s[8:9], s[8:9], 3
	s_lshl_b64 s[2:3], s[24:25], 8
	s_delay_alu instid0(VALU_DEP_4)
	v_mov_b32_e32 v24, v14
	v_add_co_u32 v14, vcc_lo, v4, v2
	v_add_co_ci_u32_e32 v15, vcc_lo, v5, v3, vcc_lo
	v_add_co_u32 v16, vcc_lo, v16, v20
	v_add_co_ci_u32_e32 v17, vcc_lo, v17, v21, vcc_lo
	v_add_nc_u32_e32 v21, 0x1000, v9
	v_lshlrev_b64 v[4:5], 3, v[23:24]
	s_add_u32 s8, s8, s16
	v_add_nc_u32_e32 v20, 0x800, v9
	v_add_nc_u32_e32 v22, 0x1800, v9
	s_addc_u32 s9, s9, s17
	s_add_u32 s15, s8, 4
	v_add_co_u32 v18, vcc_lo, v4, v2
	v_add_co_ci_u32_e32 v19, vcc_lo, v5, v3, vcc_lo
	s_addc_u32 s16, s9, 0
	s_lshl_b64 s[8:9], s[18:19], 8
	s_mov_b64 s[10:11], 0
	s_branch .LBB1864_5
.LBB1864_4:                             ;   in Loop: Header=BB1864_5 Depth=1
	s_or_b32 exec_lo, exec_lo, s17
	s_add_u32 s10, s10, 32
	s_addc_u32 s11, s11, 0
	s_add_u32 s12, s12, s2
	v_cmp_lt_i64_e64 s17, s[10:11], s[6:7]
	s_addc_u32 s13, s13, s3
	s_add_u32 s15, s15, s8
	s_addc_u32 s16, s16, s9
	s_waitcnt_vscnt null, 0x0
	s_barrier
	s_and_b32 vcc_lo, exec_lo, s17
	buffer_gl0_inv
	s_cbranch_vccz .LBB1864_17
.LBB1864_5:                             ; =>This Inner Loop Header: Depth=1
	v_add_co_u32 v2, s17, v6, s10
	s_delay_alu instid0(VALU_DEP_1) | instskip(NEXT) | instid1(VALU_DEP_1)
	v_add_co_ci_u32_e64 v3, null, 0, s11, s17
	v_cmp_gt_i64_e32 vcc_lo, s[6:7], v[2:3]
	v_dual_mov_b32 v2, 0 :: v_dual_mov_b32 v3, 0
	s_and_b32 s17, s0, vcc_lo
	s_delay_alu instid0(SALU_CYCLE_1)
	s_and_saveexec_b32 s18, s17
	s_cbranch_execz .LBB1864_7
; %bb.6:                                ;   in Loop: Header=BB1864_5 Depth=1
	v_add_co_u32 v2, vcc_lo, s15, v18
	v_add_co_ci_u32_e32 v3, vcc_lo, s16, v19, vcc_lo
	global_load_b64 v[2:3], v[2:3], off offset:-4
.LBB1864_7:                             ;   in Loop: Header=BB1864_5 Depth=1
	s_or_b32 exec_lo, exec_lo, s18
	v_add_co_u32 v4, s18, v7, s10
	s_delay_alu instid0(VALU_DEP_1)
	v_add_co_ci_u32_e64 v5, null, 0, s11, s18
	s_waitcnt vmcnt(0)
	ds_store_b64 v10, v[2:3]
	v_cmp_gt_i64_e32 vcc_lo, s[6:7], v[4:5]
	v_dual_mov_b32 v4, 0 :: v_dual_mov_b32 v5, 0
	s_and_b32 s18, s1, vcc_lo
	s_delay_alu instid0(SALU_CYCLE_1)
	s_and_saveexec_b32 s19, s18
	s_cbranch_execz .LBB1864_9
; %bb.8:                                ;   in Loop: Header=BB1864_5 Depth=1
	v_add_co_u32 v2, vcc_lo, s12, v13
	v_add_co_ci_u32_e32 v3, vcc_lo, s13, v12, vcc_lo
	global_load_b64 v[4:5], v[2:3], off offset:-4
	s_waitcnt vmcnt(0)
	v_xor_b32_e32 v5, 0x80000000, v5
.LBB1864_9:                             ;   in Loop: Header=BB1864_5 Depth=1
	s_or_b32 exec_lo, exec_lo, s19
	ds_store_b64 v11, v[4:5]
	s_waitcnt lgkmcnt(0)
	s_barrier
	buffer_gl0_inv
	s_and_saveexec_b32 s19, s14
	s_cbranch_execz .LBB1864_11
; %bb.10:                               ;   in Loop: Header=BB1864_5 Depth=1
	ds_load_b128 v[2:5], v8
	ds_load_b128 v[23:26], v8 offset:16
	ds_load_b128 v[27:30], v8 offset:32
	;; [unrolled: 1-line block ×3, first 2 shown]
	ds_load_2addr_b64 v[35:38], v9 offset1:32
	s_waitcnt lgkmcnt(0)
	v_mul_f32_e32 v39, v36, v3
	v_mul_f32_e32 v3, v35, v3
	s_delay_alu instid0(VALU_DEP_2) | instskip(NEXT) | instid1(VALU_DEP_2)
	v_fma_f32 v39, v35, v2, -v39
	v_fmac_f32_e32 v3, v36, v2
	v_mul_f32_e32 v35, v38, v5
	s_delay_alu instid0(VALU_DEP_3) | instskip(NEXT) | instid1(VALU_DEP_3)
	v_dual_mul_f32 v5, v37, v5 :: v_dual_add_f32 v2, 0, v39
	v_add_f32_e32 v3, 0, v3
	s_delay_alu instid0(VALU_DEP_3) | instskip(NEXT) | instid1(VALU_DEP_3)
	v_fma_f32 v35, v37, v4, -v35
	v_fmac_f32_e32 v5, v38, v4
	s_delay_alu instid0(VALU_DEP_1) | instskip(SKIP_3) | instid1(VALU_DEP_1)
	v_dual_add_f32 v35, v2, v35 :: v_dual_add_f32 v36, v3, v5
	ds_load_2addr_b64 v[2:5], v9 offset0:64 offset1:96
	s_waitcnt lgkmcnt(0)
	v_mul_f32_e32 v37, v3, v24
	v_fma_f32 v37, v2, v23, -v37
	v_mul_f32_e32 v2, v2, v24
	s_delay_alu instid0(VALU_DEP_1) | instskip(NEXT) | instid1(VALU_DEP_1)
	v_dual_fmac_f32 v2, v3, v23 :: v_dual_mul_f32 v23, v5, v26
	v_add_f32_e32 v2, v36, v2
	s_delay_alu instid0(VALU_DEP_2) | instskip(SKIP_1) | instid1(VALU_DEP_1)
	v_fma_f32 v23, v4, v25, -v23
	v_mul_f32_e32 v4, v4, v26
	v_fmac_f32_e32 v4, v5, v25
	s_delay_alu instid0(VALU_DEP_1) | instskip(NEXT) | instid1(VALU_DEP_1)
	v_dual_add_f32 v3, v35, v37 :: v_dual_add_f32 v24, v2, v4
	v_add_f32_e32 v23, v3, v23
	ds_load_2addr_b64 v[2:5], v9 offset0:128 offset1:160
	s_waitcnt lgkmcnt(0)
	v_mul_f32_e32 v25, v3, v28
	s_delay_alu instid0(VALU_DEP_1) | instskip(SKIP_1) | instid1(VALU_DEP_1)
	v_fma_f32 v25, v2, v27, -v25
	v_mul_f32_e32 v2, v2, v28
	v_fmac_f32_e32 v2, v3, v27
	s_delay_alu instid0(VALU_DEP_1) | instskip(SKIP_1) | instid1(VALU_DEP_1)
	v_dual_add_f32 v2, v24, v2 :: v_dual_add_f32 v3, v23, v25
	v_mul_f32_e32 v23, v5, v30
	v_fma_f32 v23, v4, v29, -v23
	v_mul_f32_e32 v4, v4, v30
	s_delay_alu instid0(VALU_DEP_1) | instskip(NEXT) | instid1(VALU_DEP_1)
	v_fmac_f32_e32 v4, v5, v29
	v_dual_add_f32 v24, v2, v4 :: v_dual_add_f32 v23, v3, v23
	ds_load_2addr_b64 v[2:5], v9 offset0:192 offset1:224
	s_waitcnt lgkmcnt(0)
	v_mul_f32_e32 v25, v3, v32
	s_delay_alu instid0(VALU_DEP_1) | instskip(SKIP_1) | instid1(VALU_DEP_1)
	v_fma_f32 v25, v2, v31, -v25
	v_mul_f32_e32 v2, v2, v32
	v_fmac_f32_e32 v2, v3, v31
	s_delay_alu instid0(VALU_DEP_1) | instskip(SKIP_1) | instid1(VALU_DEP_1)
	v_dual_add_f32 v2, v24, v2 :: v_dual_add_f32 v3, v23, v25
	v_mul_f32_e32 v23, v5, v34
	v_fma_f32 v23, v4, v33, -v23
	v_mul_f32_e32 v4, v4, v34
	s_delay_alu instid0(VALU_DEP_1) | instskip(NEXT) | instid1(VALU_DEP_1)
	v_fmac_f32_e32 v4, v5, v33
	v_dual_add_f32 v28, v2, v4 :: v_dual_add_f32 v27, v3, v23
	ds_load_b128 v[2:5], v8 offset:64
	ds_load_2addr_b64 v[23:26], v20 offset1:32
	s_waitcnt lgkmcnt(0)
	v_mul_f32_e32 v29, v24, v3
	v_mul_f32_e32 v3, v23, v3
	s_delay_alu instid0(VALU_DEP_2) | instskip(SKIP_1) | instid1(VALU_DEP_3)
	v_fma_f32 v29, v23, v2, -v29
	v_mul_f32_e32 v23, v26, v5
	v_fmac_f32_e32 v3, v24, v2
	v_mul_f32_e32 v5, v25, v5
	s_delay_alu instid0(VALU_DEP_4) | instskip(NEXT) | instid1(VALU_DEP_4)
	v_add_f32_e32 v2, v27, v29
	v_fma_f32 v23, v25, v4, -v23
	s_delay_alu instid0(VALU_DEP_3) | instskip(NEXT) | instid1(VALU_DEP_2)
	v_fmac_f32_e32 v5, v26, v4
	v_add_f32_e32 v27, v2, v23
	v_add_f32_e32 v3, v28, v3
	s_delay_alu instid0(VALU_DEP_1)
	v_add_f32_e32 v28, v3, v5
	ds_load_b128 v[2:5], v8 offset:80
	ds_load_2addr_b64 v[23:26], v20 offset0:64 offset1:96
	s_waitcnt lgkmcnt(0)
	v_mul_f32_e32 v29, v24, v3
	v_mul_f32_e32 v3, v23, v3
	s_delay_alu instid0(VALU_DEP_2) | instskip(NEXT) | instid1(VALU_DEP_2)
	v_fma_f32 v29, v23, v2, -v29
	v_fmac_f32_e32 v3, v24, v2
	v_mul_f32_e32 v23, v26, v5
	v_mul_f32_e32 v5, v25, v5
	s_delay_alu instid0(VALU_DEP_3) | instskip(NEXT) | instid1(VALU_DEP_3)
	v_add_f32_e32 v3, v28, v3
	v_fma_f32 v23, v25, v4, -v23
	s_delay_alu instid0(VALU_DEP_3) | instskip(NEXT) | instid1(VALU_DEP_1)
	v_fmac_f32_e32 v5, v26, v4
	v_add_f32_e32 v28, v3, v5
	v_add_f32_e32 v2, v27, v29
	s_delay_alu instid0(VALU_DEP_1)
	v_add_f32_e32 v27, v2, v23
	ds_load_b128 v[2:5], v8 offset:96
	ds_load_2addr_b64 v[23:26], v20 offset0:128 offset1:160
	s_waitcnt lgkmcnt(0)
	v_mul_f32_e32 v29, v24, v3
	v_mul_f32_e32 v3, v23, v3
	s_delay_alu instid0(VALU_DEP_2) | instskip(NEXT) | instid1(VALU_DEP_2)
	v_fma_f32 v29, v23, v2, -v29
	v_fmac_f32_e32 v3, v24, v2
	v_mul_f32_e32 v23, v26, v5
	v_mul_f32_e32 v5, v25, v5
	s_delay_alu instid0(VALU_DEP_3) | instskip(NEXT) | instid1(VALU_DEP_3)
	v_dual_add_f32 v2, v27, v29 :: v_dual_add_f32 v3, v28, v3
	v_fma_f32 v23, v25, v4, -v23
	s_delay_alu instid0(VALU_DEP_3) | instskip(NEXT) | instid1(VALU_DEP_1)
	v_fmac_f32_e32 v5, v26, v4
	v_dual_add_f32 v27, v2, v23 :: v_dual_add_f32 v28, v3, v5
	ds_load_b128 v[2:5], v8 offset:112
	ds_load_2addr_b64 v[23:26], v20 offset0:192 offset1:224
	s_waitcnt lgkmcnt(0)
	v_mul_f32_e32 v29, v24, v3
	v_mul_f32_e32 v3, v23, v3
	s_delay_alu instid0(VALU_DEP_2) | instskip(NEXT) | instid1(VALU_DEP_2)
	v_fma_f32 v29, v23, v2, -v29
	v_fmac_f32_e32 v3, v24, v2
	v_mul_f32_e32 v23, v26, v5
	v_mul_f32_e32 v5, v25, v5
	s_delay_alu instid0(VALU_DEP_3) | instskip(NEXT) | instid1(VALU_DEP_3)
	v_dual_add_f32 v2, v27, v29 :: v_dual_add_f32 v3, v28, v3
	v_fma_f32 v23, v25, v4, -v23
	s_delay_alu instid0(VALU_DEP_3) | instskip(NEXT) | instid1(VALU_DEP_1)
	v_fmac_f32_e32 v5, v26, v4
	v_dual_add_f32 v27, v2, v23 :: v_dual_add_f32 v28, v3, v5
	ds_load_b128 v[2:5], v8 offset:128
	ds_load_2addr_b64 v[23:26], v21 offset1:32
	s_waitcnt lgkmcnt(0)
	v_mul_f32_e32 v29, v24, v3
	v_mul_f32_e32 v3, v23, v3
	s_delay_alu instid0(VALU_DEP_2) | instskip(NEXT) | instid1(VALU_DEP_2)
	v_fma_f32 v29, v23, v2, -v29
	v_fmac_f32_e32 v3, v24, v2
	v_mul_f32_e32 v23, v26, v5
	v_mul_f32_e32 v5, v25, v5
	s_delay_alu instid0(VALU_DEP_3) | instskip(NEXT) | instid1(VALU_DEP_3)
	v_dual_add_f32 v2, v27, v29 :: v_dual_add_f32 v3, v28, v3
	v_fma_f32 v23, v25, v4, -v23
	s_delay_alu instid0(VALU_DEP_3) | instskip(NEXT) | instid1(VALU_DEP_1)
	v_fmac_f32_e32 v5, v26, v4
	v_dual_add_f32 v27, v2, v23 :: v_dual_add_f32 v28, v3, v5
	ds_load_b128 v[2:5], v8 offset:144
	ds_load_2addr_b64 v[23:26], v21 offset0:64 offset1:96
	s_waitcnt lgkmcnt(0)
	v_mul_f32_e32 v29, v24, v3
	v_mul_f32_e32 v3, v23, v3
	s_delay_alu instid0(VALU_DEP_2) | instskip(NEXT) | instid1(VALU_DEP_2)
	v_fma_f32 v29, v23, v2, -v29
	v_fmac_f32_e32 v3, v24, v2
	v_mul_f32_e32 v23, v26, v5
	v_mul_f32_e32 v5, v25, v5
	s_delay_alu instid0(VALU_DEP_3) | instskip(NEXT) | instid1(VALU_DEP_3)
	v_dual_add_f32 v2, v27, v29 :: v_dual_add_f32 v3, v28, v3
	v_fma_f32 v23, v25, v4, -v23
	s_delay_alu instid0(VALU_DEP_3) | instskip(NEXT) | instid1(VALU_DEP_1)
	v_fmac_f32_e32 v5, v26, v4
	v_dual_add_f32 v27, v2, v23 :: v_dual_add_f32 v28, v3, v5
	ds_load_b128 v[2:5], v8 offset:160
	ds_load_2addr_b64 v[23:26], v21 offset0:128 offset1:160
	;; [unrolled: 16-line block ×3, first 2 shown]
	s_waitcnt lgkmcnt(0)
	v_mul_f32_e32 v29, v24, v3
	v_mul_f32_e32 v3, v23, v3
	s_delay_alu instid0(VALU_DEP_2) | instskip(NEXT) | instid1(VALU_DEP_2)
	v_fma_f32 v29, v23, v2, -v29
	v_fmac_f32_e32 v3, v24, v2
	v_mul_f32_e32 v23, v26, v5
	v_mul_f32_e32 v5, v25, v5
	s_delay_alu instid0(VALU_DEP_3) | instskip(NEXT) | instid1(VALU_DEP_3)
	v_dual_add_f32 v2, v27, v29 :: v_dual_add_f32 v3, v28, v3
	v_fma_f32 v23, v25, v4, -v23
	s_delay_alu instid0(VALU_DEP_3) | instskip(NEXT) | instid1(VALU_DEP_1)
	v_fmac_f32_e32 v5, v26, v4
	v_dual_add_f32 v27, v2, v23 :: v_dual_add_f32 v28, v3, v5
	ds_load_b128 v[2:5], v8 offset:192
	ds_load_2addr_b64 v[23:26], v22 offset1:32
	s_waitcnt lgkmcnt(0)
	v_mul_f32_e32 v29, v24, v3
	v_mul_f32_e32 v3, v23, v3
	s_delay_alu instid0(VALU_DEP_2) | instskip(NEXT) | instid1(VALU_DEP_2)
	v_fma_f32 v29, v23, v2, -v29
	v_fmac_f32_e32 v3, v24, v2
	v_mul_f32_e32 v23, v26, v5
	v_mul_f32_e32 v5, v25, v5
	s_delay_alu instid0(VALU_DEP_3) | instskip(NEXT) | instid1(VALU_DEP_3)
	v_dual_add_f32 v2, v27, v29 :: v_dual_add_f32 v3, v28, v3
	v_fma_f32 v23, v25, v4, -v23
	s_delay_alu instid0(VALU_DEP_3) | instskip(NEXT) | instid1(VALU_DEP_1)
	v_fmac_f32_e32 v5, v26, v4
	v_dual_add_f32 v27, v2, v23 :: v_dual_add_f32 v28, v3, v5
	ds_load_b128 v[2:5], v8 offset:208
	ds_load_2addr_b64 v[23:26], v22 offset0:64 offset1:96
	s_waitcnt lgkmcnt(0)
	v_mul_f32_e32 v29, v24, v3
	v_mul_f32_e32 v3, v23, v3
	s_delay_alu instid0(VALU_DEP_2) | instskip(NEXT) | instid1(VALU_DEP_2)
	v_fma_f32 v29, v23, v2, -v29
	v_fmac_f32_e32 v3, v24, v2
	v_mul_f32_e32 v23, v26, v5
	v_mul_f32_e32 v5, v25, v5
	s_delay_alu instid0(VALU_DEP_3) | instskip(NEXT) | instid1(VALU_DEP_3)
	v_dual_add_f32 v2, v27, v29 :: v_dual_add_f32 v3, v28, v3
	v_fma_f32 v23, v25, v4, -v23
	s_delay_alu instid0(VALU_DEP_3) | instskip(NEXT) | instid1(VALU_DEP_1)
	v_fmac_f32_e32 v5, v26, v4
	v_dual_add_f32 v27, v2, v23 :: v_dual_add_f32 v28, v3, v5
	ds_load_b128 v[2:5], v8 offset:224
	ds_load_2addr_b64 v[23:26], v22 offset0:128 offset1:160
	;; [unrolled: 16-line block ×3, first 2 shown]
	s_waitcnt lgkmcnt(0)
	v_mul_f32_e32 v29, v24, v3
	v_mul_f32_e32 v3, v23, v3
	s_delay_alu instid0(VALU_DEP_2) | instskip(NEXT) | instid1(VALU_DEP_2)
	v_fma_f32 v29, v23, v2, -v29
	v_fmac_f32_e32 v3, v24, v2
	v_mul_f32_e32 v23, v26, v5
	v_mul_f32_e32 v5, v25, v5
	s_delay_alu instid0(VALU_DEP_3) | instskip(NEXT) | instid1(VALU_DEP_3)
	v_dual_add_f32 v2, v27, v29 :: v_dual_add_f32 v3, v28, v3
	v_fma_f32 v23, v25, v4, -v23
	s_delay_alu instid0(VALU_DEP_3) | instskip(NEXT) | instid1(VALU_DEP_1)
	v_fmac_f32_e32 v5, v26, v4
	v_dual_add_f32 v4, v2, v23 :: v_dual_add_f32 v3, v3, v5
	s_delay_alu instid0(VALU_DEP_1) | instskip(SKIP_1) | instid1(VALU_DEP_2)
	v_mul_f32_e32 v2, s5, v3
	v_mul_f32_e32 v3, s4, v3
	v_fma_f32 v2, s4, v4, -v2
	s_delay_alu instid0(VALU_DEP_2)
	v_fmac_f32_e32 v3, s5, v4
	global_load_b64 v[4:5], v[0:1], off
	s_waitcnt vmcnt(0)
	v_dual_add_f32 v2, v4, v2 :: v_dual_add_f32 v3, v5, v3
	global_store_b64 v[0:1], v[2:3], off
.LBB1864_11:                            ;   in Loop: Header=BB1864_5 Depth=1
	s_or_b32 exec_lo, exec_lo, s19
	v_dual_mov_b32 v3, 0 :: v_dual_mov_b32 v4, 0
	v_mov_b32_e32 v5, 0
	s_waitcnt_vscnt null, 0x0
	s_barrier
	buffer_gl0_inv
	s_and_saveexec_b32 s19, s17
	s_cbranch_execz .LBB1864_13
; %bb.12:                               ;   in Loop: Header=BB1864_5 Depth=1
	v_add_co_u32 v4, vcc_lo, s12, v14
	v_add_co_ci_u32_e32 v5, vcc_lo, s13, v15, vcc_lo
	global_load_b64 v[4:5], v[4:5], off
.LBB1864_13:                            ;   in Loop: Header=BB1864_5 Depth=1
	s_or_b32 exec_lo, exec_lo, s19
	v_mov_b32_e32 v2, 0
	s_waitcnt vmcnt(0)
	ds_store_b64 v10, v[4:5]
	s_and_saveexec_b32 s17, s18
	s_cbranch_execz .LBB1864_15
; %bb.14:                               ;   in Loop: Header=BB1864_5 Depth=1
	v_add_co_u32 v2, vcc_lo, s15, v16
	v_add_co_ci_u32_e32 v3, vcc_lo, s16, v17, vcc_lo
	global_load_b64 v[2:3], v[2:3], off offset:-4
	s_waitcnt vmcnt(0)
	v_xor_b32_e32 v3, 0x80000000, v3
.LBB1864_15:                            ;   in Loop: Header=BB1864_5 Depth=1
	s_or_b32 exec_lo, exec_lo, s17
	ds_store_b64 v11, v[2:3]
	s_waitcnt lgkmcnt(0)
	s_barrier
	buffer_gl0_inv
	s_and_saveexec_b32 s17, s14
	s_cbranch_execz .LBB1864_4
; %bb.16:                               ;   in Loop: Header=BB1864_5 Depth=1
	ds_load_b128 v[2:5], v8
	ds_load_b128 v[23:26], v8 offset:16
	ds_load_b128 v[27:30], v8 offset:32
	ds_load_b128 v[31:34], v8 offset:48
	ds_load_2addr_b64 v[35:38], v9 offset1:32
	s_waitcnt lgkmcnt(0)
	v_mul_f32_e32 v39, v36, v3
	v_mul_f32_e32 v3, v35, v3
	s_delay_alu instid0(VALU_DEP_2) | instskip(NEXT) | instid1(VALU_DEP_2)
	v_fma_f32 v39, v35, v2, -v39
	v_fmac_f32_e32 v3, v36, v2
	v_mul_f32_e32 v35, v38, v5
	s_delay_alu instid0(VALU_DEP_3) | instskip(NEXT) | instid1(VALU_DEP_3)
	v_dual_mul_f32 v5, v37, v5 :: v_dual_add_f32 v2, 0, v39
	v_add_f32_e32 v3, 0, v3
	s_delay_alu instid0(VALU_DEP_3) | instskip(NEXT) | instid1(VALU_DEP_3)
	v_fma_f32 v35, v37, v4, -v35
	v_fmac_f32_e32 v5, v38, v4
	s_delay_alu instid0(VALU_DEP_1) | instskip(SKIP_3) | instid1(VALU_DEP_1)
	v_dual_add_f32 v35, v2, v35 :: v_dual_add_f32 v36, v3, v5
	ds_load_2addr_b64 v[2:5], v9 offset0:64 offset1:96
	s_waitcnt lgkmcnt(0)
	v_mul_f32_e32 v37, v3, v24
	v_fma_f32 v37, v2, v23, -v37
	v_mul_f32_e32 v2, v2, v24
	s_delay_alu instid0(VALU_DEP_1) | instskip(NEXT) | instid1(VALU_DEP_1)
	v_dual_fmac_f32 v2, v3, v23 :: v_dual_mul_f32 v23, v5, v26
	v_add_f32_e32 v2, v36, v2
	s_delay_alu instid0(VALU_DEP_2) | instskip(SKIP_1) | instid1(VALU_DEP_1)
	v_fma_f32 v23, v4, v25, -v23
	v_mul_f32_e32 v4, v4, v26
	v_fmac_f32_e32 v4, v5, v25
	s_delay_alu instid0(VALU_DEP_1) | instskip(NEXT) | instid1(VALU_DEP_1)
	v_dual_add_f32 v3, v35, v37 :: v_dual_add_f32 v24, v2, v4
	v_add_f32_e32 v23, v3, v23
	ds_load_2addr_b64 v[2:5], v9 offset0:128 offset1:160
	s_waitcnt lgkmcnt(0)
	v_mul_f32_e32 v25, v3, v28
	s_delay_alu instid0(VALU_DEP_1) | instskip(SKIP_1) | instid1(VALU_DEP_1)
	v_fma_f32 v25, v2, v27, -v25
	v_mul_f32_e32 v2, v2, v28
	v_fmac_f32_e32 v2, v3, v27
	s_delay_alu instid0(VALU_DEP_1) | instskip(SKIP_1) | instid1(VALU_DEP_1)
	v_dual_add_f32 v2, v24, v2 :: v_dual_add_f32 v3, v23, v25
	v_mul_f32_e32 v23, v5, v30
	v_fma_f32 v23, v4, v29, -v23
	v_mul_f32_e32 v4, v4, v30
	s_delay_alu instid0(VALU_DEP_1) | instskip(NEXT) | instid1(VALU_DEP_1)
	v_fmac_f32_e32 v4, v5, v29
	v_dual_add_f32 v24, v2, v4 :: v_dual_add_f32 v23, v3, v23
	ds_load_2addr_b64 v[2:5], v9 offset0:192 offset1:224
	s_waitcnt lgkmcnt(0)
	v_mul_f32_e32 v25, v3, v32
	s_delay_alu instid0(VALU_DEP_1) | instskip(SKIP_1) | instid1(VALU_DEP_1)
	v_fma_f32 v25, v2, v31, -v25
	v_mul_f32_e32 v2, v2, v32
	v_fmac_f32_e32 v2, v3, v31
	s_delay_alu instid0(VALU_DEP_1) | instskip(SKIP_1) | instid1(VALU_DEP_1)
	v_dual_add_f32 v2, v24, v2 :: v_dual_add_f32 v3, v23, v25
	v_mul_f32_e32 v23, v5, v34
	v_fma_f32 v23, v4, v33, -v23
	v_mul_f32_e32 v4, v4, v34
	s_delay_alu instid0(VALU_DEP_1) | instskip(NEXT) | instid1(VALU_DEP_1)
	v_fmac_f32_e32 v4, v5, v33
	v_dual_add_f32 v28, v2, v4 :: v_dual_add_f32 v27, v3, v23
	ds_load_b128 v[2:5], v8 offset:64
	ds_load_2addr_b64 v[23:26], v20 offset1:32
	s_waitcnt lgkmcnt(0)
	v_mul_f32_e32 v29, v24, v3
	v_mul_f32_e32 v3, v23, v3
	s_delay_alu instid0(VALU_DEP_2) | instskip(SKIP_1) | instid1(VALU_DEP_3)
	v_fma_f32 v29, v23, v2, -v29
	v_mul_f32_e32 v23, v26, v5
	v_fmac_f32_e32 v3, v24, v2
	v_mul_f32_e32 v5, v25, v5
	s_delay_alu instid0(VALU_DEP_4) | instskip(NEXT) | instid1(VALU_DEP_4)
	v_add_f32_e32 v2, v27, v29
	v_fma_f32 v23, v25, v4, -v23
	s_delay_alu instid0(VALU_DEP_3) | instskip(NEXT) | instid1(VALU_DEP_2)
	v_fmac_f32_e32 v5, v26, v4
	v_add_f32_e32 v27, v2, v23
	v_add_f32_e32 v3, v28, v3
	s_delay_alu instid0(VALU_DEP_1)
	v_add_f32_e32 v28, v3, v5
	ds_load_b128 v[2:5], v8 offset:80
	ds_load_2addr_b64 v[23:26], v20 offset0:64 offset1:96
	s_waitcnt lgkmcnt(0)
	v_mul_f32_e32 v29, v24, v3
	v_mul_f32_e32 v3, v23, v3
	s_delay_alu instid0(VALU_DEP_2) | instskip(NEXT) | instid1(VALU_DEP_2)
	v_fma_f32 v29, v23, v2, -v29
	v_fmac_f32_e32 v3, v24, v2
	v_mul_f32_e32 v23, v26, v5
	v_mul_f32_e32 v5, v25, v5
	s_delay_alu instid0(VALU_DEP_3) | instskip(NEXT) | instid1(VALU_DEP_3)
	v_add_f32_e32 v3, v28, v3
	v_fma_f32 v23, v25, v4, -v23
	s_delay_alu instid0(VALU_DEP_3) | instskip(NEXT) | instid1(VALU_DEP_1)
	v_fmac_f32_e32 v5, v26, v4
	v_add_f32_e32 v28, v3, v5
	v_add_f32_e32 v2, v27, v29
	s_delay_alu instid0(VALU_DEP_1)
	v_add_f32_e32 v27, v2, v23
	ds_load_b128 v[2:5], v8 offset:96
	ds_load_2addr_b64 v[23:26], v20 offset0:128 offset1:160
	s_waitcnt lgkmcnt(0)
	v_mul_f32_e32 v29, v24, v3
	v_mul_f32_e32 v3, v23, v3
	s_delay_alu instid0(VALU_DEP_2) | instskip(NEXT) | instid1(VALU_DEP_2)
	v_fma_f32 v29, v23, v2, -v29
	v_fmac_f32_e32 v3, v24, v2
	v_mul_f32_e32 v23, v26, v5
	v_mul_f32_e32 v5, v25, v5
	s_delay_alu instid0(VALU_DEP_3) | instskip(NEXT) | instid1(VALU_DEP_3)
	v_dual_add_f32 v2, v27, v29 :: v_dual_add_f32 v3, v28, v3
	v_fma_f32 v23, v25, v4, -v23
	s_delay_alu instid0(VALU_DEP_3) | instskip(NEXT) | instid1(VALU_DEP_1)
	v_fmac_f32_e32 v5, v26, v4
	v_dual_add_f32 v27, v2, v23 :: v_dual_add_f32 v28, v3, v5
	ds_load_b128 v[2:5], v8 offset:112
	ds_load_2addr_b64 v[23:26], v20 offset0:192 offset1:224
	s_waitcnt lgkmcnt(0)
	v_mul_f32_e32 v29, v24, v3
	v_mul_f32_e32 v3, v23, v3
	s_delay_alu instid0(VALU_DEP_2) | instskip(NEXT) | instid1(VALU_DEP_2)
	v_fma_f32 v29, v23, v2, -v29
	v_fmac_f32_e32 v3, v24, v2
	v_mul_f32_e32 v23, v26, v5
	v_mul_f32_e32 v5, v25, v5
	s_delay_alu instid0(VALU_DEP_3) | instskip(NEXT) | instid1(VALU_DEP_3)
	v_dual_add_f32 v2, v27, v29 :: v_dual_add_f32 v3, v28, v3
	v_fma_f32 v23, v25, v4, -v23
	s_delay_alu instid0(VALU_DEP_3) | instskip(NEXT) | instid1(VALU_DEP_1)
	v_fmac_f32_e32 v5, v26, v4
	v_dual_add_f32 v27, v2, v23 :: v_dual_add_f32 v28, v3, v5
	ds_load_b128 v[2:5], v8 offset:128
	ds_load_2addr_b64 v[23:26], v21 offset1:32
	s_waitcnt lgkmcnt(0)
	v_mul_f32_e32 v29, v24, v3
	v_mul_f32_e32 v3, v23, v3
	s_delay_alu instid0(VALU_DEP_2) | instskip(NEXT) | instid1(VALU_DEP_2)
	v_fma_f32 v29, v23, v2, -v29
	v_fmac_f32_e32 v3, v24, v2
	v_mul_f32_e32 v23, v26, v5
	v_mul_f32_e32 v5, v25, v5
	s_delay_alu instid0(VALU_DEP_3) | instskip(NEXT) | instid1(VALU_DEP_3)
	v_dual_add_f32 v2, v27, v29 :: v_dual_add_f32 v3, v28, v3
	v_fma_f32 v23, v25, v4, -v23
	s_delay_alu instid0(VALU_DEP_3) | instskip(NEXT) | instid1(VALU_DEP_1)
	v_fmac_f32_e32 v5, v26, v4
	v_dual_add_f32 v27, v2, v23 :: v_dual_add_f32 v28, v3, v5
	ds_load_b128 v[2:5], v8 offset:144
	ds_load_2addr_b64 v[23:26], v21 offset0:64 offset1:96
	s_waitcnt lgkmcnt(0)
	v_mul_f32_e32 v29, v24, v3
	v_mul_f32_e32 v3, v23, v3
	s_delay_alu instid0(VALU_DEP_2) | instskip(NEXT) | instid1(VALU_DEP_2)
	v_fma_f32 v29, v23, v2, -v29
	v_fmac_f32_e32 v3, v24, v2
	v_mul_f32_e32 v23, v26, v5
	v_mul_f32_e32 v5, v25, v5
	s_delay_alu instid0(VALU_DEP_3) | instskip(NEXT) | instid1(VALU_DEP_3)
	v_dual_add_f32 v2, v27, v29 :: v_dual_add_f32 v3, v28, v3
	v_fma_f32 v23, v25, v4, -v23
	s_delay_alu instid0(VALU_DEP_3) | instskip(NEXT) | instid1(VALU_DEP_1)
	v_fmac_f32_e32 v5, v26, v4
	v_dual_add_f32 v27, v2, v23 :: v_dual_add_f32 v28, v3, v5
	ds_load_b128 v[2:5], v8 offset:160
	ds_load_2addr_b64 v[23:26], v21 offset0:128 offset1:160
	;; [unrolled: 16-line block ×3, first 2 shown]
	s_waitcnt lgkmcnt(0)
	v_mul_f32_e32 v29, v24, v3
	v_mul_f32_e32 v3, v23, v3
	s_delay_alu instid0(VALU_DEP_2) | instskip(NEXT) | instid1(VALU_DEP_2)
	v_fma_f32 v29, v23, v2, -v29
	v_fmac_f32_e32 v3, v24, v2
	v_mul_f32_e32 v23, v26, v5
	v_mul_f32_e32 v5, v25, v5
	s_delay_alu instid0(VALU_DEP_3) | instskip(NEXT) | instid1(VALU_DEP_3)
	v_dual_add_f32 v2, v27, v29 :: v_dual_add_f32 v3, v28, v3
	v_fma_f32 v23, v25, v4, -v23
	s_delay_alu instid0(VALU_DEP_3) | instskip(NEXT) | instid1(VALU_DEP_1)
	v_fmac_f32_e32 v5, v26, v4
	v_dual_add_f32 v27, v2, v23 :: v_dual_add_f32 v28, v3, v5
	ds_load_b128 v[2:5], v8 offset:192
	ds_load_2addr_b64 v[23:26], v22 offset1:32
	s_waitcnt lgkmcnt(0)
	v_mul_f32_e32 v29, v24, v3
	v_mul_f32_e32 v3, v23, v3
	s_delay_alu instid0(VALU_DEP_2) | instskip(NEXT) | instid1(VALU_DEP_2)
	v_fma_f32 v29, v23, v2, -v29
	v_fmac_f32_e32 v3, v24, v2
	v_mul_f32_e32 v23, v26, v5
	v_mul_f32_e32 v5, v25, v5
	s_delay_alu instid0(VALU_DEP_3) | instskip(NEXT) | instid1(VALU_DEP_3)
	v_dual_add_f32 v2, v27, v29 :: v_dual_add_f32 v3, v28, v3
	v_fma_f32 v23, v25, v4, -v23
	s_delay_alu instid0(VALU_DEP_3) | instskip(NEXT) | instid1(VALU_DEP_1)
	v_fmac_f32_e32 v5, v26, v4
	v_dual_add_f32 v27, v2, v23 :: v_dual_add_f32 v28, v3, v5
	ds_load_b128 v[2:5], v8 offset:208
	ds_load_2addr_b64 v[23:26], v22 offset0:64 offset1:96
	s_waitcnt lgkmcnt(0)
	v_mul_f32_e32 v29, v24, v3
	v_mul_f32_e32 v3, v23, v3
	s_delay_alu instid0(VALU_DEP_2) | instskip(NEXT) | instid1(VALU_DEP_2)
	v_fma_f32 v29, v23, v2, -v29
	v_fmac_f32_e32 v3, v24, v2
	v_mul_f32_e32 v23, v26, v5
	v_mul_f32_e32 v5, v25, v5
	s_delay_alu instid0(VALU_DEP_3) | instskip(NEXT) | instid1(VALU_DEP_3)
	v_dual_add_f32 v2, v27, v29 :: v_dual_add_f32 v3, v28, v3
	v_fma_f32 v23, v25, v4, -v23
	s_delay_alu instid0(VALU_DEP_3) | instskip(NEXT) | instid1(VALU_DEP_1)
	v_fmac_f32_e32 v5, v26, v4
	v_dual_add_f32 v27, v2, v23 :: v_dual_add_f32 v28, v3, v5
	ds_load_b128 v[2:5], v8 offset:224
	ds_load_2addr_b64 v[23:26], v22 offset0:128 offset1:160
	;; [unrolled: 16-line block ×3, first 2 shown]
	s_waitcnt lgkmcnt(0)
	v_mul_f32_e32 v29, v24, v3
	v_mul_f32_e32 v3, v23, v3
	s_delay_alu instid0(VALU_DEP_2) | instskip(SKIP_1) | instid1(VALU_DEP_3)
	v_fma_f32 v29, v23, v2, -v29
	v_mul_f32_e32 v23, v26, v5
	v_fmac_f32_e32 v3, v24, v2
	v_mul_f32_e32 v5, v25, v5
	s_delay_alu instid0(VALU_DEP_4) | instskip(NEXT) | instid1(VALU_DEP_4)
	v_add_f32_e32 v2, v27, v29
	v_fma_f32 v23, v25, v4, -v23
	s_delay_alu instid0(VALU_DEP_4) | instskip(NEXT) | instid1(VALU_DEP_4)
	v_add_f32_e32 v3, v28, v3
	v_fmac_f32_e32 v5, v26, v4
	s_delay_alu instid0(VALU_DEP_1) | instskip(NEXT) | instid1(VALU_DEP_1)
	v_dual_add_f32 v4, v2, v23 :: v_dual_add_f32 v3, v3, v5
	v_mul_f32_e32 v2, s4, v4
	v_mul_f32_e32 v4, s5, v4
	s_delay_alu instid0(VALU_DEP_2) | instskip(NEXT) | instid1(VALU_DEP_2)
	v_fmac_f32_e32 v2, s5, v3
	v_fma_f32 v3, s4, v3, -v4
	global_load_b64 v[4:5], v[0:1], off
	s_waitcnt vmcnt(0)
	v_dual_add_f32 v2, v4, v2 :: v_dual_add_f32 v3, v5, v3
	global_store_b64 v[0:1], v[2:3], off
	s_branch .LBB1864_4
.LBB1864_17:
	s_endpgm
	.section	.rodata,"a",@progbits
	.p2align	6, 0x0
	.amdhsa_kernel _ZL26rocblas_syr2k_her2k_kernelIlLb1ELb1ELb0ELi32E19rocblas_complex_numIfEPKS1_PS1_EvbiT_T4_T5_S5_lS7_S5_lT6_S5_li
		.amdhsa_group_segment_fixed_size 16384
		.amdhsa_private_segment_fixed_size 0
		.amdhsa_kernarg_size 100
		.amdhsa_user_sgpr_count 13
		.amdhsa_user_sgpr_dispatch_ptr 0
		.amdhsa_user_sgpr_queue_ptr 0
		.amdhsa_user_sgpr_kernarg_segment_ptr 1
		.amdhsa_user_sgpr_dispatch_id 0
		.amdhsa_user_sgpr_private_segment_size 0
		.amdhsa_wavefront_size32 1
		.amdhsa_uses_dynamic_stack 0
		.amdhsa_enable_private_segment 0
		.amdhsa_system_sgpr_workgroup_id_x 1
		.amdhsa_system_sgpr_workgroup_id_y 1
		.amdhsa_system_sgpr_workgroup_id_z 1
		.amdhsa_system_sgpr_workgroup_info 0
		.amdhsa_system_vgpr_workitem_id 1
		.amdhsa_next_free_vgpr 40
		.amdhsa_next_free_sgpr 32
		.amdhsa_reserve_vcc 1
		.amdhsa_float_round_mode_32 0
		.amdhsa_float_round_mode_16_64 0
		.amdhsa_float_denorm_mode_32 3
		.amdhsa_float_denorm_mode_16_64 3
		.amdhsa_dx10_clamp 1
		.amdhsa_ieee_mode 1
		.amdhsa_fp16_overflow 0
		.amdhsa_workgroup_processor_mode 1
		.amdhsa_memory_ordered 1
		.amdhsa_forward_progress 0
		.amdhsa_shared_vgpr_count 0
		.amdhsa_exception_fp_ieee_invalid_op 0
		.amdhsa_exception_fp_denorm_src 0
		.amdhsa_exception_fp_ieee_div_zero 0
		.amdhsa_exception_fp_ieee_overflow 0
		.amdhsa_exception_fp_ieee_underflow 0
		.amdhsa_exception_fp_ieee_inexact 0
		.amdhsa_exception_int_div_zero 0
	.end_amdhsa_kernel
	.section	.text._ZL26rocblas_syr2k_her2k_kernelIlLb1ELb1ELb0ELi32E19rocblas_complex_numIfEPKS1_PS1_EvbiT_T4_T5_S5_lS7_S5_lT6_S5_li,"axG",@progbits,_ZL26rocblas_syr2k_her2k_kernelIlLb1ELb1ELb0ELi32E19rocblas_complex_numIfEPKS1_PS1_EvbiT_T4_T5_S5_lS7_S5_lT6_S5_li,comdat
.Lfunc_end1864:
	.size	_ZL26rocblas_syr2k_her2k_kernelIlLb1ELb1ELb0ELi32E19rocblas_complex_numIfEPKS1_PS1_EvbiT_T4_T5_S5_lS7_S5_lT6_S5_li, .Lfunc_end1864-_ZL26rocblas_syr2k_her2k_kernelIlLb1ELb1ELb0ELi32E19rocblas_complex_numIfEPKS1_PS1_EvbiT_T4_T5_S5_lS7_S5_lT6_S5_li
                                        ; -- End function
	.section	.AMDGPU.csdata,"",@progbits
; Kernel info:
; codeLenInByte = 4088
; NumSgprs: 34
; NumVgprs: 40
; ScratchSize: 0
; MemoryBound: 0
; FloatMode: 240
; IeeeMode: 1
; LDSByteSize: 16384 bytes/workgroup (compile time only)
; SGPRBlocks: 4
; VGPRBlocks: 4
; NumSGPRsForWavesPerEU: 34
; NumVGPRsForWavesPerEU: 40
; Occupancy: 16
; WaveLimiterHint : 0
; COMPUTE_PGM_RSRC2:SCRATCH_EN: 0
; COMPUTE_PGM_RSRC2:USER_SGPR: 13
; COMPUTE_PGM_RSRC2:TRAP_HANDLER: 0
; COMPUTE_PGM_RSRC2:TGID_X_EN: 1
; COMPUTE_PGM_RSRC2:TGID_Y_EN: 1
; COMPUTE_PGM_RSRC2:TGID_Z_EN: 1
; COMPUTE_PGM_RSRC2:TIDIG_COMP_CNT: 1
	.section	.text._ZL26rocblas_syr2k_her2k_kernelIlLb1ELb1ELb1ELi32E19rocblas_complex_numIfEPKS1_PS1_EvbiT_T4_T5_S5_lS7_S5_lT6_S5_li,"axG",@progbits,_ZL26rocblas_syr2k_her2k_kernelIlLb1ELb1ELb1ELi32E19rocblas_complex_numIfEPKS1_PS1_EvbiT_T4_T5_S5_lS7_S5_lT6_S5_li,comdat
	.globl	_ZL26rocblas_syr2k_her2k_kernelIlLb1ELb1ELb1ELi32E19rocblas_complex_numIfEPKS1_PS1_EvbiT_T4_T5_S5_lS7_S5_lT6_S5_li ; -- Begin function _ZL26rocblas_syr2k_her2k_kernelIlLb1ELb1ELb1ELi32E19rocblas_complex_numIfEPKS1_PS1_EvbiT_T4_T5_S5_lS7_S5_lT6_S5_li
	.p2align	8
	.type	_ZL26rocblas_syr2k_her2k_kernelIlLb1ELb1ELb1ELi32E19rocblas_complex_numIfEPKS1_PS1_EvbiT_T4_T5_S5_lS7_S5_lT6_S5_li,@function
_ZL26rocblas_syr2k_her2k_kernelIlLb1ELb1ELb1ELi32E19rocblas_complex_numIfEPKS1_PS1_EvbiT_T4_T5_S5_lS7_S5_lT6_S5_li: ; @_ZL26rocblas_syr2k_her2k_kernelIlLb1ELb1ELb1ELi32E19rocblas_complex_numIfEPKS1_PS1_EvbiT_T4_T5_S5_lS7_S5_lT6_S5_li
; %bb.0:
	s_load_b64 s[4:5], s[0:1], 0x10
	s_waitcnt lgkmcnt(0)
	v_cmp_eq_f32_e64 s2, s4, 0
	v_cmp_eq_f32_e64 s3, s5, 0
	s_delay_alu instid0(VALU_DEP_1) | instskip(NEXT) | instid1(SALU_CYCLE_1)
	s_and_b32 s2, s2, s3
	s_and_b32 vcc_lo, exec_lo, s2
	s_cbranch_vccnz .LBB1865_17
; %bb.1:
	s_load_b64 s[2:3], s[0:1], 0x0
	s_lshl_b32 s8, s14, 5
	s_lshl_b32 s9, s13, 5
	s_waitcnt lgkmcnt(0)
	s_and_b32 s2, 1, s2
	s_delay_alu instid0(SALU_CYCLE_1) | instskip(SKIP_1) | instid1(SALU_CYCLE_1)
	s_cmp_eq_u32 s2, 1
	s_cselect_b32 s2, -1, 0
	s_and_b32 s6, s2, exec_lo
	s_cselect_b32 s6, s9, s8
	s_cselect_b32 s7, s8, s9
	s_delay_alu instid0(SALU_CYCLE_1)
	s_cmp_gt_i32 s6, s7
	s_cbranch_scc1 .LBB1865_17
; %bb.2:
	s_load_b64 s[6:7], s[0:1], 0x8
	s_waitcnt lgkmcnt(0)
	v_cmp_lt_i64_e64 s10, s[6:7], 1
	s_delay_alu instid0(VALU_DEP_1)
	s_and_b32 vcc_lo, exec_lo, s10
	s_cbranch_vccnz .LBB1865_17
; %bb.3:
	s_clause 0x1
	s_load_b64 s[10:11], s[0:1], 0x58
	s_load_b512 s[16:31], s[0:1], 0x18
	v_bfe_u32 v6, v0, 10, 10
	v_mov_b32_e32 v3, 0
	v_and_b32_e32 v7, 0x3ff, v0
	s_delay_alu instid0(VALU_DEP_2) | instskip(NEXT) | instid1(VALU_DEP_2)
	v_dual_mov_b32 v5, v3 :: v_dual_add_nc_u32 v4, s8, v6
	v_add_nc_u32_e32 v2, s9, v7
	s_mov_b32 s8, s3
	v_lshlrev_b32_e32 v23, 3, v7
	s_delay_alu instid0(VALU_DEP_3) | instskip(NEXT) | instid1(VALU_DEP_3)
	v_ashrrev_i32_e32 v0, 31, v4
	v_cndmask_b32_e64 v14, v2, v4, s2
	v_cndmask_b32_e64 v15, v4, v2, s2
	s_waitcnt lgkmcnt(0)
	s_mul_i32 s1, s15, s11
	v_mul_lo_u32 v11, v0, s30
	v_mul_lo_u32 v16, v4, s31
	v_mad_u64_u32 v[0:1], null, v4, s30, 0
	s_mul_hi_u32 s2, s15, s10
	v_mad_u64_u32 v[12:13], null, s24, v4, 0
	s_mul_i32 s0, s15, s10
	s_add_i32 s1, s2, s1
	v_lshlrev_b32_e32 v22, 3, v6
	s_lshl_b64 s[0:1], s[0:1], 3
	s_delay_alu instid0(VALU_DEP_3)
	v_add3_u32 v1, v1, v16, v11
	s_add_u32 s10, s28, s0
	s_addc_u32 s11, s29, s1
	s_ashr_i32 s9, s3, 31
	v_cmp_le_i32_e64 s2, v15, v14
	v_cmp_gt_i64_e64 s0, s[8:9], v[2:3]
	v_max_i32_e32 v3, v2, v4
	v_cmp_gt_i64_e64 s1, s[8:9], v[4:5]
	v_mov_b32_e32 v5, v13
	v_lshlrev_b64 v[0:1], 3, v[0:1]
	s_mul_i32 s8, s27, s15
	v_cmp_gt_i32_e32 vcc_lo, s3, v3
	v_ashrrev_i32_e32 v3, 31, v2
	v_mad_u64_u32 v[13:14], null, s25, v4, v[5:6]
	v_mad_u64_u32 v[14:15], null, s24, v2, 0
	v_add_co_u32 v5, s3, s10, v0
	s_delay_alu instid0(VALU_DEP_1)
	v_add_co_ci_u32_e64 v16, s3, s11, v1, s3
	v_lshlrev_b64 v[0:1], 3, v[2:3]
	s_mul_hi_u32 s9, s26, s15
	v_lshlrev_b64 v[12:13], 3, v[12:13]
	v_dual_mov_b32 v3, v15 :: v_dual_lshlrev_b32 v8, 8, v7
	s_add_i32 s9, s9, s8
	s_mul_i32 s8, s26, s15
	v_add_co_u32 v0, s3, v5, v0
	s_lshl_b64 s[8:9], s[8:9], 3
	v_add_co_ci_u32_e64 v1, s3, v16, v1, s3
	v_mad_u64_u32 v[15:16], null, s25, v2, v[3:4]
	v_add_co_u32 v3, s3, s8, v12
	v_mad_u64_u32 v[16:17], null, s18, v4, 0
	v_add_co_ci_u32_e64 v5, s3, s9, v13, s3
	s_delay_alu instid0(VALU_DEP_3) | instskip(SKIP_1) | instid1(VALU_DEP_3)
	v_add_co_u32 v3, s3, v3, v23
	v_add_nc_u32_e32 v10, v8, v22
	v_add_co_ci_u32_e64 v5, s3, 0, v5, s3
	s_delay_alu instid0(VALU_DEP_3) | instskip(SKIP_4) | instid1(VALU_DEP_4)
	v_add_co_u32 v12, s3, v3, s22
	v_mov_b32_e32 v3, v17
	v_mad_u64_u32 v[18:19], null, s18, v2, 0
	v_or_b32_e32 v9, 0x2000, v22
	v_add_co_ci_u32_e64 v5, s3, s23, v5, s3
	v_mad_u64_u32 v[20:21], null, s19, v4, v[3:4]
	v_lshlrev_b64 v[14:15], 3, v[14:15]
	v_mov_b32_e32 v3, v19
	v_add_co_u32 v12, s3, v12, 4
	s_delay_alu instid0(VALU_DEP_1) | instskip(SKIP_1) | instid1(VALU_DEP_4)
	v_add_co_ci_u32_e64 v13, s3, 0, v5, s3
	v_dual_mov_b32 v17, v20 :: v_dual_add_nc_u32 v20, 0x800, v9
	v_mad_u64_u32 v[4:5], null, s19, v2, v[3:4]
	v_add_co_u32 v14, s3, s8, v14
	s_delay_alu instid0(VALU_DEP_1) | instskip(SKIP_1) | instid1(VALU_DEP_2)
	v_add_co_ci_u32_e64 v15, s3, s9, v15, s3
	s_mul_i32 s8, s21, s15
	v_add_co_u32 v5, s3, v14, v22
	s_delay_alu instid0(VALU_DEP_4)
	v_mov_b32_e32 v19, v4
	s_mul_hi_u32 s9, s20, s15
	v_add_co_ci_u32_e64 v15, s3, 0, v15, s3
	v_lshlrev_b64 v[2:3], 3, v[16:17]
	s_add_i32 s9, s9, s8
	s_mul_i32 s8, s20, s15
	v_add_co_u32 v14, s3, s22, v5
	v_lshlrev_b64 v[4:5], 3, v[18:19]
	s_lshl_b64 s[8:9], s[8:9], 3
	v_add_co_ci_u32_e64 v15, s3, s23, v15, s3
	v_add_co_u32 v2, s3, s8, v2
	s_delay_alu instid0(VALU_DEP_1) | instskip(NEXT) | instid1(VALU_DEP_4)
	v_add_co_ci_u32_e64 v3, s3, s9, v3, s3
	v_add_co_u32 v4, s3, s8, v4
	s_delay_alu instid0(VALU_DEP_1) | instskip(NEXT) | instid1(VALU_DEP_4)
	;; [unrolled: 3-line block ×3, first 2 shown]
	v_add_co_ci_u32_e64 v3, s3, 0, v3, s3
	v_add_co_u32 v4, s3, v4, v22
	v_add_nc_u32_e32 v22, 0x1800, v9
	v_add_co_ci_u32_e64 v5, s3, 0, v5, s3
	v_add_co_u32 v2, s3, v2, s16
	s_delay_alu instid0(VALU_DEP_1) | instskip(SKIP_1) | instid1(VALU_DEP_1)
	v_add_co_ci_u32_e64 v3, s3, s17, v3, s3
	v_add_co_u32 v4, s3, v4, s16
	v_add_co_ci_u32_e64 v5, s3, s17, v5, s3
	s_delay_alu instid0(VALU_DEP_4) | instskip(NEXT) | instid1(VALU_DEP_1)
	v_add_co_u32 v16, s3, v2, 4
	v_add_co_ci_u32_e64 v17, s3, 0, v3, s3
	s_delay_alu instid0(VALU_DEP_4)
	v_add_co_u32 v18, s3, v4, 4
	v_add_nc_u32_e32 v11, v9, v8
	v_add_co_ci_u32_e64 v19, s3, 0, v5, s3
	v_add_nc_u32_e32 v21, 0x1000, v9
	s_and_b32 s10, s2, vcc_lo
	s_mov_b64 s[2:3], 0
	s_mov_b64 s[8:9], 0
	s_branch .LBB1865_5
.LBB1865_4:                             ;   in Loop: Header=BB1865_5 Depth=1
	s_or_b32 exec_lo, exec_lo, s11
	s_add_u32 s8, s8, 32
	s_addc_u32 s9, s9, 0
	s_add_u32 s2, s2, 0x100
	v_cmp_lt_i64_e64 s11, s[8:9], s[6:7]
	s_addc_u32 s3, s3, 0
	s_waitcnt_vscnt null, 0x0
	s_barrier
	buffer_gl0_inv
	s_and_b32 vcc_lo, exec_lo, s11
	s_cbranch_vccz .LBB1865_17
.LBB1865_5:                             ; =>This Inner Loop Header: Depth=1
	v_add_co_u32 v2, s11, v6, s8
	s_delay_alu instid0(VALU_DEP_1) | instskip(NEXT) | instid1(VALU_DEP_1)
	v_add_co_ci_u32_e64 v3, null, 0, s9, s11
	v_cmp_gt_i64_e32 vcc_lo, s[6:7], v[2:3]
	v_dual_mov_b32 v2, 0 :: v_dual_mov_b32 v3, 0
	s_and_b32 s11, s0, vcc_lo
	s_delay_alu instid0(SALU_CYCLE_1)
	s_and_saveexec_b32 s12, s11
	s_cbranch_execz .LBB1865_7
; %bb.6:                                ;   in Loop: Header=BB1865_5 Depth=1
	v_add_co_u32 v2, vcc_lo, v18, s2
	v_add_co_ci_u32_e32 v3, vcc_lo, s3, v19, vcc_lo
	global_load_b64 v[2:3], v[2:3], off offset:-4
	s_waitcnt vmcnt(0)
	v_xor_b32_e32 v3, 0x80000000, v3
.LBB1865_7:                             ;   in Loop: Header=BB1865_5 Depth=1
	s_or_b32 exec_lo, exec_lo, s12
	v_add_co_u32 v4, s12, v7, s8
	s_delay_alu instid0(VALU_DEP_1) | instskip(SKIP_4) | instid1(SALU_CYCLE_1)
	v_add_co_ci_u32_e64 v5, null, 0, s9, s12
	ds_store_b64 v10, v[2:3]
	v_cmp_gt_i64_e32 vcc_lo, s[6:7], v[4:5]
	v_dual_mov_b32 v4, 0 :: v_dual_mov_b32 v5, 0
	s_and_b32 s12, s1, vcc_lo
	s_and_saveexec_b32 s13, s12
	s_cbranch_execz .LBB1865_9
; %bb.8:                                ;   in Loop: Header=BB1865_5 Depth=1
	v_add_co_u32 v2, vcc_lo, v12, s2
	v_add_co_ci_u32_e32 v3, vcc_lo, s3, v13, vcc_lo
	global_load_b64 v[4:5], v[2:3], off offset:-4
.LBB1865_9:                             ;   in Loop: Header=BB1865_5 Depth=1
	s_or_b32 exec_lo, exec_lo, s13
	s_waitcnt vmcnt(0)
	ds_store_b64 v11, v[4:5]
	s_waitcnt lgkmcnt(0)
	s_barrier
	buffer_gl0_inv
	s_and_saveexec_b32 s13, s10
	s_cbranch_execz .LBB1865_11
; %bb.10:                               ;   in Loop: Header=BB1865_5 Depth=1
	ds_load_b128 v[2:5], v8
	ds_load_b128 v[23:26], v8 offset:16
	ds_load_b128 v[27:30], v8 offset:32
	;; [unrolled: 1-line block ×3, first 2 shown]
	ds_load_2addr_b64 v[35:38], v9 offset1:32
	s_waitcnt lgkmcnt(0)
	v_mul_f32_e32 v39, v36, v3
	v_mul_f32_e32 v3, v35, v3
	s_delay_alu instid0(VALU_DEP_2) | instskip(NEXT) | instid1(VALU_DEP_2)
	v_fma_f32 v39, v35, v2, -v39
	v_fmac_f32_e32 v3, v36, v2
	v_mul_f32_e32 v35, v38, v5
	s_delay_alu instid0(VALU_DEP_3) | instskip(NEXT) | instid1(VALU_DEP_3)
	v_dual_mul_f32 v5, v37, v5 :: v_dual_add_f32 v2, 0, v39
	v_add_f32_e32 v3, 0, v3
	s_delay_alu instid0(VALU_DEP_3) | instskip(NEXT) | instid1(VALU_DEP_3)
	v_fma_f32 v35, v37, v4, -v35
	v_fmac_f32_e32 v5, v38, v4
	s_delay_alu instid0(VALU_DEP_1) | instskip(SKIP_3) | instid1(VALU_DEP_1)
	v_dual_add_f32 v35, v2, v35 :: v_dual_add_f32 v36, v3, v5
	ds_load_2addr_b64 v[2:5], v9 offset0:64 offset1:96
	s_waitcnt lgkmcnt(0)
	v_mul_f32_e32 v37, v3, v24
	v_fma_f32 v37, v2, v23, -v37
	v_mul_f32_e32 v2, v2, v24
	s_delay_alu instid0(VALU_DEP_1) | instskip(NEXT) | instid1(VALU_DEP_1)
	v_dual_fmac_f32 v2, v3, v23 :: v_dual_mul_f32 v23, v5, v26
	v_add_f32_e32 v2, v36, v2
	s_delay_alu instid0(VALU_DEP_2) | instskip(SKIP_1) | instid1(VALU_DEP_1)
	v_fma_f32 v23, v4, v25, -v23
	v_mul_f32_e32 v4, v4, v26
	v_fmac_f32_e32 v4, v5, v25
	s_delay_alu instid0(VALU_DEP_1) | instskip(NEXT) | instid1(VALU_DEP_1)
	v_dual_add_f32 v3, v35, v37 :: v_dual_add_f32 v24, v2, v4
	v_add_f32_e32 v23, v3, v23
	ds_load_2addr_b64 v[2:5], v9 offset0:128 offset1:160
	s_waitcnt lgkmcnt(0)
	v_mul_f32_e32 v25, v3, v28
	s_delay_alu instid0(VALU_DEP_1) | instskip(SKIP_1) | instid1(VALU_DEP_1)
	v_fma_f32 v25, v2, v27, -v25
	v_mul_f32_e32 v2, v2, v28
	v_fmac_f32_e32 v2, v3, v27
	s_delay_alu instid0(VALU_DEP_1) | instskip(SKIP_1) | instid1(VALU_DEP_1)
	v_dual_add_f32 v2, v24, v2 :: v_dual_add_f32 v3, v23, v25
	v_mul_f32_e32 v23, v5, v30
	v_fma_f32 v23, v4, v29, -v23
	v_mul_f32_e32 v4, v4, v30
	s_delay_alu instid0(VALU_DEP_1) | instskip(NEXT) | instid1(VALU_DEP_1)
	v_fmac_f32_e32 v4, v5, v29
	v_dual_add_f32 v24, v2, v4 :: v_dual_add_f32 v23, v3, v23
	ds_load_2addr_b64 v[2:5], v9 offset0:192 offset1:224
	s_waitcnt lgkmcnt(0)
	v_mul_f32_e32 v25, v3, v32
	s_delay_alu instid0(VALU_DEP_1) | instskip(SKIP_1) | instid1(VALU_DEP_1)
	v_fma_f32 v25, v2, v31, -v25
	v_mul_f32_e32 v2, v2, v32
	v_fmac_f32_e32 v2, v3, v31
	s_delay_alu instid0(VALU_DEP_1) | instskip(SKIP_1) | instid1(VALU_DEP_1)
	v_dual_add_f32 v2, v24, v2 :: v_dual_add_f32 v3, v23, v25
	v_mul_f32_e32 v23, v5, v34
	v_fma_f32 v23, v4, v33, -v23
	v_mul_f32_e32 v4, v4, v34
	s_delay_alu instid0(VALU_DEP_1) | instskip(NEXT) | instid1(VALU_DEP_1)
	v_fmac_f32_e32 v4, v5, v33
	v_dual_add_f32 v28, v2, v4 :: v_dual_add_f32 v27, v3, v23
	ds_load_b128 v[2:5], v8 offset:64
	ds_load_2addr_b64 v[23:26], v20 offset1:32
	s_waitcnt lgkmcnt(0)
	v_mul_f32_e32 v29, v24, v3
	v_mul_f32_e32 v3, v23, v3
	s_delay_alu instid0(VALU_DEP_2) | instskip(SKIP_1) | instid1(VALU_DEP_3)
	v_fma_f32 v29, v23, v2, -v29
	v_mul_f32_e32 v23, v26, v5
	v_fmac_f32_e32 v3, v24, v2
	v_mul_f32_e32 v5, v25, v5
	s_delay_alu instid0(VALU_DEP_4) | instskip(NEXT) | instid1(VALU_DEP_4)
	v_add_f32_e32 v2, v27, v29
	v_fma_f32 v23, v25, v4, -v23
	s_delay_alu instid0(VALU_DEP_3) | instskip(NEXT) | instid1(VALU_DEP_2)
	v_fmac_f32_e32 v5, v26, v4
	v_add_f32_e32 v27, v2, v23
	v_add_f32_e32 v3, v28, v3
	s_delay_alu instid0(VALU_DEP_1)
	v_add_f32_e32 v28, v3, v5
	ds_load_b128 v[2:5], v8 offset:80
	ds_load_2addr_b64 v[23:26], v20 offset0:64 offset1:96
	s_waitcnt lgkmcnt(0)
	v_mul_f32_e32 v29, v24, v3
	v_mul_f32_e32 v3, v23, v3
	s_delay_alu instid0(VALU_DEP_2) | instskip(NEXT) | instid1(VALU_DEP_2)
	v_fma_f32 v29, v23, v2, -v29
	v_fmac_f32_e32 v3, v24, v2
	v_mul_f32_e32 v23, v26, v5
	v_mul_f32_e32 v5, v25, v5
	s_delay_alu instid0(VALU_DEP_3) | instskip(NEXT) | instid1(VALU_DEP_3)
	v_add_f32_e32 v3, v28, v3
	v_fma_f32 v23, v25, v4, -v23
	s_delay_alu instid0(VALU_DEP_3) | instskip(NEXT) | instid1(VALU_DEP_1)
	v_fmac_f32_e32 v5, v26, v4
	v_add_f32_e32 v28, v3, v5
	v_add_f32_e32 v2, v27, v29
	s_delay_alu instid0(VALU_DEP_1)
	v_add_f32_e32 v27, v2, v23
	ds_load_b128 v[2:5], v8 offset:96
	ds_load_2addr_b64 v[23:26], v20 offset0:128 offset1:160
	s_waitcnt lgkmcnt(0)
	v_mul_f32_e32 v29, v24, v3
	v_mul_f32_e32 v3, v23, v3
	s_delay_alu instid0(VALU_DEP_2) | instskip(NEXT) | instid1(VALU_DEP_2)
	v_fma_f32 v29, v23, v2, -v29
	v_fmac_f32_e32 v3, v24, v2
	v_mul_f32_e32 v23, v26, v5
	v_mul_f32_e32 v5, v25, v5
	s_delay_alu instid0(VALU_DEP_3) | instskip(NEXT) | instid1(VALU_DEP_3)
	v_dual_add_f32 v2, v27, v29 :: v_dual_add_f32 v3, v28, v3
	v_fma_f32 v23, v25, v4, -v23
	s_delay_alu instid0(VALU_DEP_3) | instskip(NEXT) | instid1(VALU_DEP_1)
	v_fmac_f32_e32 v5, v26, v4
	v_dual_add_f32 v27, v2, v23 :: v_dual_add_f32 v28, v3, v5
	ds_load_b128 v[2:5], v8 offset:112
	ds_load_2addr_b64 v[23:26], v20 offset0:192 offset1:224
	s_waitcnt lgkmcnt(0)
	v_mul_f32_e32 v29, v24, v3
	v_mul_f32_e32 v3, v23, v3
	s_delay_alu instid0(VALU_DEP_2) | instskip(NEXT) | instid1(VALU_DEP_2)
	v_fma_f32 v29, v23, v2, -v29
	v_fmac_f32_e32 v3, v24, v2
	v_mul_f32_e32 v23, v26, v5
	v_mul_f32_e32 v5, v25, v5
	s_delay_alu instid0(VALU_DEP_3) | instskip(NEXT) | instid1(VALU_DEP_3)
	v_dual_add_f32 v2, v27, v29 :: v_dual_add_f32 v3, v28, v3
	v_fma_f32 v23, v25, v4, -v23
	s_delay_alu instid0(VALU_DEP_3) | instskip(NEXT) | instid1(VALU_DEP_1)
	v_fmac_f32_e32 v5, v26, v4
	v_dual_add_f32 v27, v2, v23 :: v_dual_add_f32 v28, v3, v5
	ds_load_b128 v[2:5], v8 offset:128
	ds_load_2addr_b64 v[23:26], v21 offset1:32
	s_waitcnt lgkmcnt(0)
	v_mul_f32_e32 v29, v24, v3
	v_mul_f32_e32 v3, v23, v3
	s_delay_alu instid0(VALU_DEP_2) | instskip(NEXT) | instid1(VALU_DEP_2)
	v_fma_f32 v29, v23, v2, -v29
	v_fmac_f32_e32 v3, v24, v2
	v_mul_f32_e32 v23, v26, v5
	v_mul_f32_e32 v5, v25, v5
	s_delay_alu instid0(VALU_DEP_3) | instskip(NEXT) | instid1(VALU_DEP_3)
	v_dual_add_f32 v2, v27, v29 :: v_dual_add_f32 v3, v28, v3
	v_fma_f32 v23, v25, v4, -v23
	s_delay_alu instid0(VALU_DEP_3) | instskip(NEXT) | instid1(VALU_DEP_1)
	v_fmac_f32_e32 v5, v26, v4
	v_dual_add_f32 v27, v2, v23 :: v_dual_add_f32 v28, v3, v5
	ds_load_b128 v[2:5], v8 offset:144
	ds_load_2addr_b64 v[23:26], v21 offset0:64 offset1:96
	s_waitcnt lgkmcnt(0)
	v_mul_f32_e32 v29, v24, v3
	v_mul_f32_e32 v3, v23, v3
	s_delay_alu instid0(VALU_DEP_2) | instskip(NEXT) | instid1(VALU_DEP_2)
	v_fma_f32 v29, v23, v2, -v29
	v_fmac_f32_e32 v3, v24, v2
	v_mul_f32_e32 v23, v26, v5
	v_mul_f32_e32 v5, v25, v5
	s_delay_alu instid0(VALU_DEP_3) | instskip(NEXT) | instid1(VALU_DEP_3)
	v_dual_add_f32 v2, v27, v29 :: v_dual_add_f32 v3, v28, v3
	v_fma_f32 v23, v25, v4, -v23
	s_delay_alu instid0(VALU_DEP_3) | instskip(NEXT) | instid1(VALU_DEP_1)
	v_fmac_f32_e32 v5, v26, v4
	v_dual_add_f32 v27, v2, v23 :: v_dual_add_f32 v28, v3, v5
	ds_load_b128 v[2:5], v8 offset:160
	ds_load_2addr_b64 v[23:26], v21 offset0:128 offset1:160
	;; [unrolled: 16-line block ×3, first 2 shown]
	s_waitcnt lgkmcnt(0)
	v_mul_f32_e32 v29, v24, v3
	v_mul_f32_e32 v3, v23, v3
	s_delay_alu instid0(VALU_DEP_2) | instskip(NEXT) | instid1(VALU_DEP_2)
	v_fma_f32 v29, v23, v2, -v29
	v_fmac_f32_e32 v3, v24, v2
	v_mul_f32_e32 v23, v26, v5
	v_mul_f32_e32 v5, v25, v5
	s_delay_alu instid0(VALU_DEP_3) | instskip(NEXT) | instid1(VALU_DEP_3)
	v_dual_add_f32 v2, v27, v29 :: v_dual_add_f32 v3, v28, v3
	v_fma_f32 v23, v25, v4, -v23
	s_delay_alu instid0(VALU_DEP_3) | instskip(NEXT) | instid1(VALU_DEP_1)
	v_fmac_f32_e32 v5, v26, v4
	v_dual_add_f32 v27, v2, v23 :: v_dual_add_f32 v28, v3, v5
	ds_load_b128 v[2:5], v8 offset:192
	ds_load_2addr_b64 v[23:26], v22 offset1:32
	s_waitcnt lgkmcnt(0)
	v_mul_f32_e32 v29, v24, v3
	v_mul_f32_e32 v3, v23, v3
	s_delay_alu instid0(VALU_DEP_2) | instskip(NEXT) | instid1(VALU_DEP_2)
	v_fma_f32 v29, v23, v2, -v29
	v_fmac_f32_e32 v3, v24, v2
	v_mul_f32_e32 v23, v26, v5
	v_mul_f32_e32 v5, v25, v5
	s_delay_alu instid0(VALU_DEP_3) | instskip(NEXT) | instid1(VALU_DEP_3)
	v_dual_add_f32 v2, v27, v29 :: v_dual_add_f32 v3, v28, v3
	v_fma_f32 v23, v25, v4, -v23
	s_delay_alu instid0(VALU_DEP_3) | instskip(NEXT) | instid1(VALU_DEP_1)
	v_fmac_f32_e32 v5, v26, v4
	v_dual_add_f32 v27, v2, v23 :: v_dual_add_f32 v28, v3, v5
	ds_load_b128 v[2:5], v8 offset:208
	ds_load_2addr_b64 v[23:26], v22 offset0:64 offset1:96
	s_waitcnt lgkmcnt(0)
	v_mul_f32_e32 v29, v24, v3
	v_mul_f32_e32 v3, v23, v3
	s_delay_alu instid0(VALU_DEP_2) | instskip(NEXT) | instid1(VALU_DEP_2)
	v_fma_f32 v29, v23, v2, -v29
	v_fmac_f32_e32 v3, v24, v2
	v_mul_f32_e32 v23, v26, v5
	v_mul_f32_e32 v5, v25, v5
	s_delay_alu instid0(VALU_DEP_3) | instskip(NEXT) | instid1(VALU_DEP_3)
	v_dual_add_f32 v2, v27, v29 :: v_dual_add_f32 v3, v28, v3
	v_fma_f32 v23, v25, v4, -v23
	s_delay_alu instid0(VALU_DEP_3) | instskip(NEXT) | instid1(VALU_DEP_1)
	v_fmac_f32_e32 v5, v26, v4
	v_dual_add_f32 v27, v2, v23 :: v_dual_add_f32 v28, v3, v5
	ds_load_b128 v[2:5], v8 offset:224
	ds_load_2addr_b64 v[23:26], v22 offset0:128 offset1:160
	s_waitcnt lgkmcnt(0)
	v_mul_f32_e32 v29, v24, v3
	v_mul_f32_e32 v3, v23, v3
	s_delay_alu instid0(VALU_DEP_2) | instskip(NEXT) | instid1(VALU_DEP_2)
	v_fma_f32 v29, v23, v2, -v29
	v_fmac_f32_e32 v3, v24, v2
	v_mul_f32_e32 v23, v26, v5
	v_mul_f32_e32 v5, v25, v5
	s_delay_alu instid0(VALU_DEP_3) | instskip(NEXT) | instid1(VALU_DEP_3)
	v_dual_add_f32 v2, v27, v29 :: v_dual_add_f32 v3, v28, v3
	v_fma_f32 v23, v25, v4, -v23
	s_delay_alu instid0(VALU_DEP_3) | instskip(NEXT) | instid1(VALU_DEP_1)
	v_fmac_f32_e32 v5, v26, v4
	v_dual_add_f32 v27, v2, v23 :: v_dual_add_f32 v28, v3, v5
	ds_load_b128 v[2:5], v8 offset:240
	ds_load_2addr_b64 v[23:26], v22 offset0:192 offset1:224
	s_waitcnt lgkmcnt(0)
	v_mul_f32_e32 v29, v24, v3
	v_mul_f32_e32 v3, v23, v3
	s_delay_alu instid0(VALU_DEP_2) | instskip(NEXT) | instid1(VALU_DEP_2)
	v_fma_f32 v29, v23, v2, -v29
	v_fmac_f32_e32 v3, v24, v2
	v_mul_f32_e32 v23, v26, v5
	v_mul_f32_e32 v5, v25, v5
	s_delay_alu instid0(VALU_DEP_3) | instskip(NEXT) | instid1(VALU_DEP_3)
	v_dual_add_f32 v2, v27, v29 :: v_dual_add_f32 v3, v28, v3
	v_fma_f32 v23, v25, v4, -v23
	s_delay_alu instid0(VALU_DEP_3) | instskip(NEXT) | instid1(VALU_DEP_1)
	v_fmac_f32_e32 v5, v26, v4
	v_dual_add_f32 v4, v2, v23 :: v_dual_add_f32 v3, v3, v5
	s_delay_alu instid0(VALU_DEP_1) | instskip(SKIP_1) | instid1(VALU_DEP_2)
	v_mul_f32_e32 v2, s5, v3
	v_mul_f32_e32 v3, s4, v3
	v_fma_f32 v2, s4, v4, -v2
	s_delay_alu instid0(VALU_DEP_2)
	v_fmac_f32_e32 v3, s5, v4
	global_load_b64 v[4:5], v[0:1], off
	s_waitcnt vmcnt(0)
	v_dual_add_f32 v2, v4, v2 :: v_dual_add_f32 v3, v5, v3
	global_store_b64 v[0:1], v[2:3], off
.LBB1865_11:                            ;   in Loop: Header=BB1865_5 Depth=1
	s_or_b32 exec_lo, exec_lo, s13
	v_dual_mov_b32 v3, 0 :: v_dual_mov_b32 v4, 0
	v_mov_b32_e32 v5, 0
	s_waitcnt_vscnt null, 0x0
	s_barrier
	buffer_gl0_inv
	s_and_saveexec_b32 s13, s11
	s_cbranch_execz .LBB1865_13
; %bb.12:                               ;   in Loop: Header=BB1865_5 Depth=1
	v_add_co_u32 v4, vcc_lo, v14, s2
	v_add_co_ci_u32_e32 v5, vcc_lo, s3, v15, vcc_lo
	global_load_b64 v[4:5], v[4:5], off
	s_waitcnt vmcnt(0)
	v_xor_b32_e32 v5, 0x80000000, v5
.LBB1865_13:                            ;   in Loop: Header=BB1865_5 Depth=1
	s_or_b32 exec_lo, exec_lo, s13
	v_mov_b32_e32 v2, 0
	ds_store_b64 v10, v[4:5]
	s_and_saveexec_b32 s11, s12
	s_cbranch_execz .LBB1865_15
; %bb.14:                               ;   in Loop: Header=BB1865_5 Depth=1
	v_add_co_u32 v2, vcc_lo, v16, s2
	v_add_co_ci_u32_e32 v3, vcc_lo, s3, v17, vcc_lo
	global_load_b64 v[2:3], v[2:3], off offset:-4
.LBB1865_15:                            ;   in Loop: Header=BB1865_5 Depth=1
	s_or_b32 exec_lo, exec_lo, s11
	s_waitcnt vmcnt(0)
	ds_store_b64 v11, v[2:3]
	s_waitcnt lgkmcnt(0)
	s_barrier
	buffer_gl0_inv
	s_and_saveexec_b32 s11, s10
	s_cbranch_execz .LBB1865_4
; %bb.16:                               ;   in Loop: Header=BB1865_5 Depth=1
	ds_load_b128 v[2:5], v8
	ds_load_b128 v[23:26], v8 offset:16
	ds_load_b128 v[27:30], v8 offset:32
	;; [unrolled: 1-line block ×3, first 2 shown]
	ds_load_2addr_b64 v[35:38], v9 offset1:32
	s_waitcnt lgkmcnt(0)
	v_mul_f32_e32 v39, v36, v3
	v_mul_f32_e32 v3, v35, v3
	s_delay_alu instid0(VALU_DEP_2) | instskip(NEXT) | instid1(VALU_DEP_2)
	v_fma_f32 v39, v35, v2, -v39
	v_fmac_f32_e32 v3, v36, v2
	v_mul_f32_e32 v35, v38, v5
	s_delay_alu instid0(VALU_DEP_3) | instskip(NEXT) | instid1(VALU_DEP_3)
	v_dual_mul_f32 v5, v37, v5 :: v_dual_add_f32 v2, 0, v39
	v_add_f32_e32 v3, 0, v3
	s_delay_alu instid0(VALU_DEP_3) | instskip(NEXT) | instid1(VALU_DEP_3)
	v_fma_f32 v35, v37, v4, -v35
	v_fmac_f32_e32 v5, v38, v4
	s_delay_alu instid0(VALU_DEP_1) | instskip(SKIP_3) | instid1(VALU_DEP_1)
	v_dual_add_f32 v35, v2, v35 :: v_dual_add_f32 v36, v3, v5
	ds_load_2addr_b64 v[2:5], v9 offset0:64 offset1:96
	s_waitcnt lgkmcnt(0)
	v_mul_f32_e32 v37, v3, v24
	v_fma_f32 v37, v2, v23, -v37
	v_mul_f32_e32 v2, v2, v24
	s_delay_alu instid0(VALU_DEP_1) | instskip(NEXT) | instid1(VALU_DEP_1)
	v_dual_fmac_f32 v2, v3, v23 :: v_dual_mul_f32 v23, v5, v26
	v_add_f32_e32 v2, v36, v2
	s_delay_alu instid0(VALU_DEP_2) | instskip(SKIP_1) | instid1(VALU_DEP_1)
	v_fma_f32 v23, v4, v25, -v23
	v_mul_f32_e32 v4, v4, v26
	v_fmac_f32_e32 v4, v5, v25
	s_delay_alu instid0(VALU_DEP_1) | instskip(NEXT) | instid1(VALU_DEP_1)
	v_dual_add_f32 v3, v35, v37 :: v_dual_add_f32 v24, v2, v4
	v_add_f32_e32 v23, v3, v23
	ds_load_2addr_b64 v[2:5], v9 offset0:128 offset1:160
	s_waitcnt lgkmcnt(0)
	v_mul_f32_e32 v25, v3, v28
	s_delay_alu instid0(VALU_DEP_1) | instskip(SKIP_1) | instid1(VALU_DEP_1)
	v_fma_f32 v25, v2, v27, -v25
	v_mul_f32_e32 v2, v2, v28
	v_fmac_f32_e32 v2, v3, v27
	s_delay_alu instid0(VALU_DEP_1) | instskip(SKIP_1) | instid1(VALU_DEP_1)
	v_dual_add_f32 v2, v24, v2 :: v_dual_add_f32 v3, v23, v25
	v_mul_f32_e32 v23, v5, v30
	v_fma_f32 v23, v4, v29, -v23
	v_mul_f32_e32 v4, v4, v30
	s_delay_alu instid0(VALU_DEP_1) | instskip(NEXT) | instid1(VALU_DEP_1)
	v_fmac_f32_e32 v4, v5, v29
	v_dual_add_f32 v24, v2, v4 :: v_dual_add_f32 v23, v3, v23
	ds_load_2addr_b64 v[2:5], v9 offset0:192 offset1:224
	s_waitcnt lgkmcnt(0)
	v_mul_f32_e32 v25, v3, v32
	s_delay_alu instid0(VALU_DEP_1) | instskip(SKIP_1) | instid1(VALU_DEP_1)
	v_fma_f32 v25, v2, v31, -v25
	v_mul_f32_e32 v2, v2, v32
	v_fmac_f32_e32 v2, v3, v31
	s_delay_alu instid0(VALU_DEP_1) | instskip(SKIP_1) | instid1(VALU_DEP_1)
	v_dual_add_f32 v2, v24, v2 :: v_dual_add_f32 v3, v23, v25
	v_mul_f32_e32 v23, v5, v34
	v_fma_f32 v23, v4, v33, -v23
	v_mul_f32_e32 v4, v4, v34
	s_delay_alu instid0(VALU_DEP_1) | instskip(NEXT) | instid1(VALU_DEP_1)
	v_fmac_f32_e32 v4, v5, v33
	v_dual_add_f32 v28, v2, v4 :: v_dual_add_f32 v27, v3, v23
	ds_load_b128 v[2:5], v8 offset:64
	ds_load_2addr_b64 v[23:26], v20 offset1:32
	s_waitcnt lgkmcnt(0)
	v_mul_f32_e32 v29, v24, v3
	v_mul_f32_e32 v3, v23, v3
	s_delay_alu instid0(VALU_DEP_2) | instskip(SKIP_1) | instid1(VALU_DEP_3)
	v_fma_f32 v29, v23, v2, -v29
	v_mul_f32_e32 v23, v26, v5
	v_fmac_f32_e32 v3, v24, v2
	v_mul_f32_e32 v5, v25, v5
	s_delay_alu instid0(VALU_DEP_4) | instskip(NEXT) | instid1(VALU_DEP_4)
	v_add_f32_e32 v2, v27, v29
	v_fma_f32 v23, v25, v4, -v23
	s_delay_alu instid0(VALU_DEP_3) | instskip(NEXT) | instid1(VALU_DEP_2)
	v_fmac_f32_e32 v5, v26, v4
	v_add_f32_e32 v27, v2, v23
	v_add_f32_e32 v3, v28, v3
	s_delay_alu instid0(VALU_DEP_1)
	v_add_f32_e32 v28, v3, v5
	ds_load_b128 v[2:5], v8 offset:80
	ds_load_2addr_b64 v[23:26], v20 offset0:64 offset1:96
	s_waitcnt lgkmcnt(0)
	v_mul_f32_e32 v29, v24, v3
	v_mul_f32_e32 v3, v23, v3
	s_delay_alu instid0(VALU_DEP_2) | instskip(NEXT) | instid1(VALU_DEP_2)
	v_fma_f32 v29, v23, v2, -v29
	v_fmac_f32_e32 v3, v24, v2
	v_mul_f32_e32 v23, v26, v5
	v_mul_f32_e32 v5, v25, v5
	s_delay_alu instid0(VALU_DEP_3) | instskip(NEXT) | instid1(VALU_DEP_3)
	v_add_f32_e32 v3, v28, v3
	v_fma_f32 v23, v25, v4, -v23
	s_delay_alu instid0(VALU_DEP_3) | instskip(NEXT) | instid1(VALU_DEP_1)
	v_fmac_f32_e32 v5, v26, v4
	v_add_f32_e32 v28, v3, v5
	v_add_f32_e32 v2, v27, v29
	s_delay_alu instid0(VALU_DEP_1)
	v_add_f32_e32 v27, v2, v23
	ds_load_b128 v[2:5], v8 offset:96
	ds_load_2addr_b64 v[23:26], v20 offset0:128 offset1:160
	s_waitcnt lgkmcnt(0)
	v_mul_f32_e32 v29, v24, v3
	v_mul_f32_e32 v3, v23, v3
	s_delay_alu instid0(VALU_DEP_2) | instskip(NEXT) | instid1(VALU_DEP_2)
	v_fma_f32 v29, v23, v2, -v29
	v_fmac_f32_e32 v3, v24, v2
	v_mul_f32_e32 v23, v26, v5
	v_mul_f32_e32 v5, v25, v5
	s_delay_alu instid0(VALU_DEP_3) | instskip(NEXT) | instid1(VALU_DEP_3)
	v_dual_add_f32 v2, v27, v29 :: v_dual_add_f32 v3, v28, v3
	v_fma_f32 v23, v25, v4, -v23
	s_delay_alu instid0(VALU_DEP_3) | instskip(NEXT) | instid1(VALU_DEP_1)
	v_fmac_f32_e32 v5, v26, v4
	v_dual_add_f32 v27, v2, v23 :: v_dual_add_f32 v28, v3, v5
	ds_load_b128 v[2:5], v8 offset:112
	ds_load_2addr_b64 v[23:26], v20 offset0:192 offset1:224
	s_waitcnt lgkmcnt(0)
	v_mul_f32_e32 v29, v24, v3
	v_mul_f32_e32 v3, v23, v3
	s_delay_alu instid0(VALU_DEP_2) | instskip(NEXT) | instid1(VALU_DEP_2)
	v_fma_f32 v29, v23, v2, -v29
	v_fmac_f32_e32 v3, v24, v2
	v_mul_f32_e32 v23, v26, v5
	v_mul_f32_e32 v5, v25, v5
	s_delay_alu instid0(VALU_DEP_3) | instskip(NEXT) | instid1(VALU_DEP_3)
	v_dual_add_f32 v2, v27, v29 :: v_dual_add_f32 v3, v28, v3
	v_fma_f32 v23, v25, v4, -v23
	s_delay_alu instid0(VALU_DEP_3) | instskip(NEXT) | instid1(VALU_DEP_1)
	v_fmac_f32_e32 v5, v26, v4
	v_dual_add_f32 v27, v2, v23 :: v_dual_add_f32 v28, v3, v5
	ds_load_b128 v[2:5], v8 offset:128
	ds_load_2addr_b64 v[23:26], v21 offset1:32
	s_waitcnt lgkmcnt(0)
	v_mul_f32_e32 v29, v24, v3
	v_mul_f32_e32 v3, v23, v3
	s_delay_alu instid0(VALU_DEP_2) | instskip(NEXT) | instid1(VALU_DEP_2)
	v_fma_f32 v29, v23, v2, -v29
	v_fmac_f32_e32 v3, v24, v2
	v_mul_f32_e32 v23, v26, v5
	v_mul_f32_e32 v5, v25, v5
	s_delay_alu instid0(VALU_DEP_3) | instskip(NEXT) | instid1(VALU_DEP_3)
	v_dual_add_f32 v2, v27, v29 :: v_dual_add_f32 v3, v28, v3
	v_fma_f32 v23, v25, v4, -v23
	s_delay_alu instid0(VALU_DEP_3) | instskip(NEXT) | instid1(VALU_DEP_1)
	v_fmac_f32_e32 v5, v26, v4
	v_dual_add_f32 v27, v2, v23 :: v_dual_add_f32 v28, v3, v5
	ds_load_b128 v[2:5], v8 offset:144
	ds_load_2addr_b64 v[23:26], v21 offset0:64 offset1:96
	s_waitcnt lgkmcnt(0)
	v_mul_f32_e32 v29, v24, v3
	v_mul_f32_e32 v3, v23, v3
	s_delay_alu instid0(VALU_DEP_2) | instskip(NEXT) | instid1(VALU_DEP_2)
	v_fma_f32 v29, v23, v2, -v29
	v_fmac_f32_e32 v3, v24, v2
	v_mul_f32_e32 v23, v26, v5
	v_mul_f32_e32 v5, v25, v5
	s_delay_alu instid0(VALU_DEP_3) | instskip(NEXT) | instid1(VALU_DEP_3)
	v_dual_add_f32 v2, v27, v29 :: v_dual_add_f32 v3, v28, v3
	v_fma_f32 v23, v25, v4, -v23
	s_delay_alu instid0(VALU_DEP_3) | instskip(NEXT) | instid1(VALU_DEP_1)
	v_fmac_f32_e32 v5, v26, v4
	v_dual_add_f32 v27, v2, v23 :: v_dual_add_f32 v28, v3, v5
	ds_load_b128 v[2:5], v8 offset:160
	ds_load_2addr_b64 v[23:26], v21 offset0:128 offset1:160
	;; [unrolled: 16-line block ×3, first 2 shown]
	s_waitcnt lgkmcnt(0)
	v_mul_f32_e32 v29, v24, v3
	v_mul_f32_e32 v3, v23, v3
	s_delay_alu instid0(VALU_DEP_2) | instskip(NEXT) | instid1(VALU_DEP_2)
	v_fma_f32 v29, v23, v2, -v29
	v_fmac_f32_e32 v3, v24, v2
	v_mul_f32_e32 v23, v26, v5
	v_mul_f32_e32 v5, v25, v5
	s_delay_alu instid0(VALU_DEP_3) | instskip(NEXT) | instid1(VALU_DEP_3)
	v_dual_add_f32 v2, v27, v29 :: v_dual_add_f32 v3, v28, v3
	v_fma_f32 v23, v25, v4, -v23
	s_delay_alu instid0(VALU_DEP_3) | instskip(NEXT) | instid1(VALU_DEP_1)
	v_fmac_f32_e32 v5, v26, v4
	v_dual_add_f32 v27, v2, v23 :: v_dual_add_f32 v28, v3, v5
	ds_load_b128 v[2:5], v8 offset:192
	ds_load_2addr_b64 v[23:26], v22 offset1:32
	s_waitcnt lgkmcnt(0)
	v_mul_f32_e32 v29, v24, v3
	v_mul_f32_e32 v3, v23, v3
	s_delay_alu instid0(VALU_DEP_2) | instskip(NEXT) | instid1(VALU_DEP_2)
	v_fma_f32 v29, v23, v2, -v29
	v_fmac_f32_e32 v3, v24, v2
	v_mul_f32_e32 v23, v26, v5
	v_mul_f32_e32 v5, v25, v5
	s_delay_alu instid0(VALU_DEP_3) | instskip(NEXT) | instid1(VALU_DEP_3)
	v_dual_add_f32 v2, v27, v29 :: v_dual_add_f32 v3, v28, v3
	v_fma_f32 v23, v25, v4, -v23
	s_delay_alu instid0(VALU_DEP_3) | instskip(NEXT) | instid1(VALU_DEP_1)
	v_fmac_f32_e32 v5, v26, v4
	v_dual_add_f32 v27, v2, v23 :: v_dual_add_f32 v28, v3, v5
	ds_load_b128 v[2:5], v8 offset:208
	ds_load_2addr_b64 v[23:26], v22 offset0:64 offset1:96
	s_waitcnt lgkmcnt(0)
	v_mul_f32_e32 v29, v24, v3
	v_mul_f32_e32 v3, v23, v3
	s_delay_alu instid0(VALU_DEP_2) | instskip(NEXT) | instid1(VALU_DEP_2)
	v_fma_f32 v29, v23, v2, -v29
	v_fmac_f32_e32 v3, v24, v2
	v_mul_f32_e32 v23, v26, v5
	v_mul_f32_e32 v5, v25, v5
	s_delay_alu instid0(VALU_DEP_3) | instskip(NEXT) | instid1(VALU_DEP_3)
	v_dual_add_f32 v2, v27, v29 :: v_dual_add_f32 v3, v28, v3
	v_fma_f32 v23, v25, v4, -v23
	s_delay_alu instid0(VALU_DEP_3) | instskip(NEXT) | instid1(VALU_DEP_1)
	v_fmac_f32_e32 v5, v26, v4
	v_dual_add_f32 v27, v2, v23 :: v_dual_add_f32 v28, v3, v5
	ds_load_b128 v[2:5], v8 offset:224
	ds_load_2addr_b64 v[23:26], v22 offset0:128 offset1:160
	;; [unrolled: 16-line block ×3, first 2 shown]
	s_waitcnt lgkmcnt(0)
	v_mul_f32_e32 v29, v24, v3
	v_mul_f32_e32 v3, v23, v3
	s_delay_alu instid0(VALU_DEP_2) | instskip(SKIP_1) | instid1(VALU_DEP_3)
	v_fma_f32 v29, v23, v2, -v29
	v_mul_f32_e32 v23, v26, v5
	v_fmac_f32_e32 v3, v24, v2
	v_mul_f32_e32 v5, v25, v5
	s_delay_alu instid0(VALU_DEP_4) | instskip(NEXT) | instid1(VALU_DEP_4)
	v_add_f32_e32 v2, v27, v29
	v_fma_f32 v23, v25, v4, -v23
	s_delay_alu instid0(VALU_DEP_4) | instskip(NEXT) | instid1(VALU_DEP_4)
	v_add_f32_e32 v3, v28, v3
	v_fmac_f32_e32 v5, v26, v4
	s_delay_alu instid0(VALU_DEP_1) | instskip(NEXT) | instid1(VALU_DEP_1)
	v_dual_add_f32 v4, v2, v23 :: v_dual_add_f32 v3, v3, v5
	v_mul_f32_e32 v2, s4, v4
	v_mul_f32_e32 v4, s5, v4
	s_delay_alu instid0(VALU_DEP_2) | instskip(NEXT) | instid1(VALU_DEP_2)
	v_fmac_f32_e32 v2, s5, v3
	v_fma_f32 v3, s4, v3, -v4
	global_load_b64 v[4:5], v[0:1], off
	s_waitcnt vmcnt(0)
	v_dual_add_f32 v2, v4, v2 :: v_dual_add_f32 v3, v5, v3
	global_store_b64 v[0:1], v[2:3], off
	s_branch .LBB1865_4
.LBB1865_17:
	s_endpgm
	.section	.rodata,"a",@progbits
	.p2align	6, 0x0
	.amdhsa_kernel _ZL26rocblas_syr2k_her2k_kernelIlLb1ELb1ELb1ELi32E19rocblas_complex_numIfEPKS1_PS1_EvbiT_T4_T5_S5_lS7_S5_lT6_S5_li
		.amdhsa_group_segment_fixed_size 16384
		.amdhsa_private_segment_fixed_size 0
		.amdhsa_kernarg_size 100
		.amdhsa_user_sgpr_count 13
		.amdhsa_user_sgpr_dispatch_ptr 0
		.amdhsa_user_sgpr_queue_ptr 0
		.amdhsa_user_sgpr_kernarg_segment_ptr 1
		.amdhsa_user_sgpr_dispatch_id 0
		.amdhsa_user_sgpr_private_segment_size 0
		.amdhsa_wavefront_size32 1
		.amdhsa_uses_dynamic_stack 0
		.amdhsa_enable_private_segment 0
		.amdhsa_system_sgpr_workgroup_id_x 1
		.amdhsa_system_sgpr_workgroup_id_y 1
		.amdhsa_system_sgpr_workgroup_id_z 1
		.amdhsa_system_sgpr_workgroup_info 0
		.amdhsa_system_vgpr_workitem_id 1
		.amdhsa_next_free_vgpr 40
		.amdhsa_next_free_sgpr 32
		.amdhsa_reserve_vcc 1
		.amdhsa_float_round_mode_32 0
		.amdhsa_float_round_mode_16_64 0
		.amdhsa_float_denorm_mode_32 3
		.amdhsa_float_denorm_mode_16_64 3
		.amdhsa_dx10_clamp 1
		.amdhsa_ieee_mode 1
		.amdhsa_fp16_overflow 0
		.amdhsa_workgroup_processor_mode 1
		.amdhsa_memory_ordered 1
		.amdhsa_forward_progress 0
		.amdhsa_shared_vgpr_count 0
		.amdhsa_exception_fp_ieee_invalid_op 0
		.amdhsa_exception_fp_denorm_src 0
		.amdhsa_exception_fp_ieee_div_zero 0
		.amdhsa_exception_fp_ieee_overflow 0
		.amdhsa_exception_fp_ieee_underflow 0
		.amdhsa_exception_fp_ieee_inexact 0
		.amdhsa_exception_int_div_zero 0
	.end_amdhsa_kernel
	.section	.text._ZL26rocblas_syr2k_her2k_kernelIlLb1ELb1ELb1ELi32E19rocblas_complex_numIfEPKS1_PS1_EvbiT_T4_T5_S5_lS7_S5_lT6_S5_li,"axG",@progbits,_ZL26rocblas_syr2k_her2k_kernelIlLb1ELb1ELb1ELi32E19rocblas_complex_numIfEPKS1_PS1_EvbiT_T4_T5_S5_lS7_S5_lT6_S5_li,comdat
.Lfunc_end1865:
	.size	_ZL26rocblas_syr2k_her2k_kernelIlLb1ELb1ELb1ELi32E19rocblas_complex_numIfEPKS1_PS1_EvbiT_T4_T5_S5_lS7_S5_lT6_S5_li, .Lfunc_end1865-_ZL26rocblas_syr2k_her2k_kernelIlLb1ELb1ELb1ELi32E19rocblas_complex_numIfEPKS1_PS1_EvbiT_T4_T5_S5_lS7_S5_lT6_S5_li
                                        ; -- End function
	.section	.AMDGPU.csdata,"",@progbits
; Kernel info:
; codeLenInByte = 4260
; NumSgprs: 34
; NumVgprs: 40
; ScratchSize: 0
; MemoryBound: 0
; FloatMode: 240
; IeeeMode: 1
; LDSByteSize: 16384 bytes/workgroup (compile time only)
; SGPRBlocks: 4
; VGPRBlocks: 4
; NumSGPRsForWavesPerEU: 34
; NumVGPRsForWavesPerEU: 40
; Occupancy: 16
; WaveLimiterHint : 0
; COMPUTE_PGM_RSRC2:SCRATCH_EN: 0
; COMPUTE_PGM_RSRC2:USER_SGPR: 13
; COMPUTE_PGM_RSRC2:TRAP_HANDLER: 0
; COMPUTE_PGM_RSRC2:TGID_X_EN: 1
; COMPUTE_PGM_RSRC2:TGID_Y_EN: 1
; COMPUTE_PGM_RSRC2:TGID_Z_EN: 1
; COMPUTE_PGM_RSRC2:TIDIG_COMP_CNT: 1
	.section	.text._ZL26rocblas_syr2k_her2k_kernelIlLb1ELb1ELb0ELi32EPK19rocblas_complex_numIfES3_PS1_EvbiT_T4_T5_S5_lS7_S5_lT6_S5_li,"axG",@progbits,_ZL26rocblas_syr2k_her2k_kernelIlLb1ELb1ELb0ELi32EPK19rocblas_complex_numIfES3_PS1_EvbiT_T4_T5_S5_lS7_S5_lT6_S5_li,comdat
	.globl	_ZL26rocblas_syr2k_her2k_kernelIlLb1ELb1ELb0ELi32EPK19rocblas_complex_numIfES3_PS1_EvbiT_T4_T5_S5_lS7_S5_lT6_S5_li ; -- Begin function _ZL26rocblas_syr2k_her2k_kernelIlLb1ELb1ELb0ELi32EPK19rocblas_complex_numIfES3_PS1_EvbiT_T4_T5_S5_lS7_S5_lT6_S5_li
	.p2align	8
	.type	_ZL26rocblas_syr2k_her2k_kernelIlLb1ELb1ELb0ELi32EPK19rocblas_complex_numIfES3_PS1_EvbiT_T4_T5_S5_lS7_S5_lT6_S5_li,@function
_ZL26rocblas_syr2k_her2k_kernelIlLb1ELb1ELb0ELi32EPK19rocblas_complex_numIfES3_PS1_EvbiT_T4_T5_S5_lS7_S5_lT6_S5_li: ; @_ZL26rocblas_syr2k_her2k_kernelIlLb1ELb1ELb0ELi32EPK19rocblas_complex_numIfES3_PS1_EvbiT_T4_T5_S5_lS7_S5_lT6_S5_li
; %bb.0:
	s_load_b512 s[16:31], s[0:1], 0x8
	s_waitcnt lgkmcnt(0)
	s_load_b64 s[8:9], s[18:19], 0x0
	s_waitcnt lgkmcnt(0)
	v_cmp_eq_f32_e64 s2, s8, 0
	v_cmp_eq_f32_e64 s3, s9, 0
	s_delay_alu instid0(VALU_DEP_1) | instskip(NEXT) | instid1(SALU_CYCLE_1)
	s_and_b32 s2, s2, s3
	s_and_b32 vcc_lo, exec_lo, s2
	s_cbranch_vccnz .LBB1866_17
; %bb.1:
	s_load_b64 s[2:3], s[0:1], 0x0
	s_lshl_b32 s10, s14, 5
	s_lshl_b32 s11, s13, 5
	s_waitcnt lgkmcnt(0)
	s_and_b32 s2, 1, s2
	s_delay_alu instid0(SALU_CYCLE_1) | instskip(SKIP_1) | instid1(SALU_CYCLE_1)
	s_cmp_eq_u32 s2, 1
	s_cselect_b32 s2, -1, 0
	s_and_b32 s4, s2, exec_lo
	s_cselect_b32 s4, s11, s10
	s_cselect_b32 s5, s10, s11
	s_delay_alu instid0(SALU_CYCLE_1)
	s_cmp_gt_i32 s4, s5
	s_cbranch_scc1 .LBB1866_17
; %bb.2:
	v_cmp_lt_i64_e64 s4, s[16:17], 1
	s_delay_alu instid0(VALU_DEP_1)
	s_and_b32 vcc_lo, exec_lo, s4
	s_cbranch_vccnz .LBB1866_17
; %bb.3:
	s_clause 0x1
	s_load_b64 s[12:13], s[0:1], 0x58
	s_load_b128 s[4:7], s[0:1], 0x48
	v_bfe_u32 v6, v0, 10, 10
	v_and_b32_e32 v7, 0x3ff, v0
	v_mov_b32_e32 v3, 0
	s_mul_i32 s1, s15, s31
	s_mul_hi_u32 s14, s15, s30
	v_add_nc_u32_e32 v0, s10, v6
	v_mad_u64_u32 v[4:5], null, s28, v7, 0
	v_dual_mov_b32 v1, v3 :: v_dual_add_nc_u32 v2, s11, v7
	s_delay_alu instid0(VALU_DEP_3) | instskip(SKIP_2) | instid1(VALU_DEP_2)
	v_ashrrev_i32_e32 v9, 31, v0
	s_mul_i32 s0, s15, s30
	s_add_i32 s1, s14, s1
	v_cndmask_b32_e64 v11, v2, v0, s2
	s_delay_alu instid0(VALU_DEP_4)
	v_mad_u64_u32 v[14:15], null, s29, v7, v[5:6]
	s_lshl_b64 s[0:1], s[0:1], 3
	v_cndmask_b32_e64 v16, v0, v2, s2
	v_max_i32_e32 v17, v2, v0
	s_waitcnt lgkmcnt(0)
	v_mul_lo_u32 v18, v9, s6
	v_mul_lo_u32 v19, v0, s7
	v_mad_u64_u32 v[12:13], null, v0, s6, 0
	s_add_u32 s10, s26, s0
	s_addc_u32 s11, s27, s1
	s_mul_i32 s1, s15, s13
	s_mul_hi_u32 s13, s15, s12
	v_dual_mov_b32 v5, v14 :: v_dual_lshlrev_b32 v10, 3, v6
	s_delay_alu instid0(VALU_DEP_2)
	v_add3_u32 v13, v13, v19, v18
	s_mul_i32 s0, s15, s12
	s_add_i32 s1, s13, s1
	v_cmp_gt_i32_e32 vcc_lo, s3, v17
	v_cmp_le_i32_e64 s2, v16, v11
	v_mov_b32_e32 v14, v2
	v_lshlrev_b64 v[12:13], 3, v[12:13]
	v_mad_u64_u32 v[16:17], null, s28, v6, 0
	v_mad_u64_u32 v[18:19], null, s22, v7, 0
	s_lshl_b64 s[0:1], s[0:1], 3
	v_lshlrev_b32_e32 v8, 8, v7
	s_add_u32 s4, s4, s0
	s_addc_u32 s5, s5, s1
	s_and_b32 s12, s2, vcc_lo
	v_add_co_u32 v25, vcc_lo, s4, v12
	v_ashrrev_i32_e32 v15, 31, v2
	v_add_co_ci_u32_e32 v26, vcc_lo, s5, v13, vcc_lo
	v_dual_mov_b32 v13, v19 :: v_dual_mov_b32 v12, v17
	s_mov_b32 s18, s3
	s_ashr_i32 s19, s3, 31
	v_lshlrev_b64 v[20:21], 3, v[0:1]
	v_cmp_gt_i64_e64 s1, s[18:19], v[0:1]
	v_lshlrev_b64 v[0:1], 3, v[14:15]
	v_mad_u64_u32 v[14:15], null, s29, v6, v[12:13]
	v_lshlrev_b64 v[4:5], 3, v[4:5]
	v_or_b32_e32 v9, 0x2000, v10
	v_add_nc_u32_e32 v10, v8, v10
	v_cmp_gt_i64_e64 s0, s[18:19], v[2:3]
	v_lshlrev_b64 v[2:3], 3, v[2:3]
	s_mul_i32 s4, s25, s15
	v_mov_b32_e32 v17, v14
	v_mad_u64_u32 v[22:23], null, s23, v7, v[13:14]
	v_mad_u64_u32 v[23:24], null, s22, v6, 0
	v_add_co_u32 v4, vcc_lo, v4, v20
	v_add_nc_u32_e32 v11, v9, v8
	v_add_co_ci_u32_e32 v12, vcc_lo, v5, v21, vcc_lo
	s_delay_alu instid0(VALU_DEP_3) | instskip(SKIP_3) | instid1(VALU_DEP_2)
	v_or_b32_e32 v13, 4, v4
	v_dual_mov_b32 v4, v24 :: v_dual_mov_b32 v19, v22
	s_mul_hi_u32 s5, s24, s15
	v_add_co_u32 v0, s2, v25, v0
	v_mad_u64_u32 v[14:15], null, s23, v6, v[4:5]
	v_lshlrev_b64 v[4:5], 3, v[16:17]
	v_lshlrev_b64 v[16:17], 3, v[18:19]
	s_add_i32 s5, s5, s4
	s_mul_i32 s4, s24, s15
	v_add_co_ci_u32_e64 v1, s2, v26, v1, s2
	s_delay_alu instid0(VALU_DEP_4)
	v_mov_b32_e32 v24, v14
	v_add_co_u32 v14, vcc_lo, v4, v2
	v_add_co_ci_u32_e32 v15, vcc_lo, v5, v3, vcc_lo
	v_add_co_u32 v16, vcc_lo, v16, v20
	v_add_co_ci_u32_e32 v17, vcc_lo, v17, v21, vcc_lo
	v_add_nc_u32_e32 v21, 0x1000, v9
	v_lshlrev_b64 v[4:5], 3, v[23:24]
	s_lshl_b64 s[4:5], s[4:5], 3
	s_lshl_b64 s[2:3], s[28:29], 8
	s_add_u32 s4, s4, s20
	v_add_nc_u32_e32 v20, 0x800, v9
	v_add_nc_u32_e32 v22, 0x1800, v9
	v_add_co_u32 v18, vcc_lo, v4, v2
	v_add_co_ci_u32_e32 v19, vcc_lo, v5, v3, vcc_lo
	s_addc_u32 s5, s5, s21
	s_add_u32 s13, s4, 4
	s_addc_u32 s14, s5, 0
	s_lshl_b64 s[4:5], s[22:23], 8
	s_mov_b64 s[6:7], 0
	s_branch .LBB1866_5
.LBB1866_4:                             ;   in Loop: Header=BB1866_5 Depth=1
	s_or_b32 exec_lo, exec_lo, s15
	s_add_u32 s6, s6, 32
	s_addc_u32 s7, s7, 0
	s_add_u32 s10, s10, s2
	v_cmp_lt_i64_e64 s15, s[6:7], s[16:17]
	s_addc_u32 s11, s11, s3
	s_add_u32 s13, s13, s4
	s_addc_u32 s14, s14, s5
	s_waitcnt_vscnt null, 0x0
	s_barrier
	s_and_b32 vcc_lo, exec_lo, s15
	buffer_gl0_inv
	s_cbranch_vccz .LBB1866_17
.LBB1866_5:                             ; =>This Inner Loop Header: Depth=1
	v_add_co_u32 v2, s15, v6, s6
	s_delay_alu instid0(VALU_DEP_1) | instskip(NEXT) | instid1(VALU_DEP_1)
	v_add_co_ci_u32_e64 v3, null, 0, s7, s15
	v_cmp_gt_i64_e32 vcc_lo, s[16:17], v[2:3]
	v_dual_mov_b32 v2, 0 :: v_dual_mov_b32 v3, 0
	s_and_b32 s15, s0, vcc_lo
	s_delay_alu instid0(SALU_CYCLE_1)
	s_and_saveexec_b32 s18, s15
	s_cbranch_execz .LBB1866_7
; %bb.6:                                ;   in Loop: Header=BB1866_5 Depth=1
	v_add_co_u32 v2, vcc_lo, s13, v18
	v_add_co_ci_u32_e32 v3, vcc_lo, s14, v19, vcc_lo
	global_load_b64 v[2:3], v[2:3], off offset:-4
.LBB1866_7:                             ;   in Loop: Header=BB1866_5 Depth=1
	s_or_b32 exec_lo, exec_lo, s18
	v_add_co_u32 v4, s18, v7, s6
	s_delay_alu instid0(VALU_DEP_1)
	v_add_co_ci_u32_e64 v5, null, 0, s7, s18
	s_waitcnt vmcnt(0)
	ds_store_b64 v10, v[2:3]
	v_cmp_gt_i64_e32 vcc_lo, s[16:17], v[4:5]
	v_dual_mov_b32 v4, 0 :: v_dual_mov_b32 v5, 0
	s_and_b32 s18, s1, vcc_lo
	s_delay_alu instid0(SALU_CYCLE_1)
	s_and_saveexec_b32 s19, s18
	s_cbranch_execz .LBB1866_9
; %bb.8:                                ;   in Loop: Header=BB1866_5 Depth=1
	v_add_co_u32 v2, vcc_lo, s10, v13
	v_add_co_ci_u32_e32 v3, vcc_lo, s11, v12, vcc_lo
	global_load_b64 v[4:5], v[2:3], off offset:-4
	s_waitcnt vmcnt(0)
	v_xor_b32_e32 v5, 0x80000000, v5
.LBB1866_9:                             ;   in Loop: Header=BB1866_5 Depth=1
	s_or_b32 exec_lo, exec_lo, s19
	ds_store_b64 v11, v[4:5]
	s_waitcnt lgkmcnt(0)
	s_barrier
	buffer_gl0_inv
	s_and_saveexec_b32 s19, s12
	s_cbranch_execz .LBB1866_11
; %bb.10:                               ;   in Loop: Header=BB1866_5 Depth=1
	ds_load_b128 v[2:5], v8
	ds_load_b128 v[23:26], v8 offset:16
	ds_load_b128 v[27:30], v8 offset:32
	;; [unrolled: 1-line block ×3, first 2 shown]
	ds_load_2addr_b64 v[35:38], v9 offset1:32
	s_waitcnt lgkmcnt(0)
	v_mul_f32_e32 v39, v36, v3
	v_mul_f32_e32 v3, v35, v3
	s_delay_alu instid0(VALU_DEP_2) | instskip(NEXT) | instid1(VALU_DEP_2)
	v_fma_f32 v39, v35, v2, -v39
	v_fmac_f32_e32 v3, v36, v2
	v_mul_f32_e32 v35, v38, v5
	s_delay_alu instid0(VALU_DEP_3) | instskip(NEXT) | instid1(VALU_DEP_3)
	v_dual_mul_f32 v5, v37, v5 :: v_dual_add_f32 v2, 0, v39
	v_add_f32_e32 v3, 0, v3
	s_delay_alu instid0(VALU_DEP_3) | instskip(NEXT) | instid1(VALU_DEP_3)
	v_fma_f32 v35, v37, v4, -v35
	v_fmac_f32_e32 v5, v38, v4
	s_delay_alu instid0(VALU_DEP_1) | instskip(SKIP_3) | instid1(VALU_DEP_1)
	v_dual_add_f32 v35, v2, v35 :: v_dual_add_f32 v36, v3, v5
	ds_load_2addr_b64 v[2:5], v9 offset0:64 offset1:96
	s_waitcnt lgkmcnt(0)
	v_mul_f32_e32 v37, v3, v24
	v_fma_f32 v37, v2, v23, -v37
	v_mul_f32_e32 v2, v2, v24
	s_delay_alu instid0(VALU_DEP_1) | instskip(NEXT) | instid1(VALU_DEP_1)
	v_dual_fmac_f32 v2, v3, v23 :: v_dual_mul_f32 v23, v5, v26
	v_add_f32_e32 v2, v36, v2
	s_delay_alu instid0(VALU_DEP_2) | instskip(SKIP_1) | instid1(VALU_DEP_1)
	v_fma_f32 v23, v4, v25, -v23
	v_mul_f32_e32 v4, v4, v26
	v_fmac_f32_e32 v4, v5, v25
	s_delay_alu instid0(VALU_DEP_1) | instskip(NEXT) | instid1(VALU_DEP_1)
	v_dual_add_f32 v3, v35, v37 :: v_dual_add_f32 v24, v2, v4
	v_add_f32_e32 v23, v3, v23
	ds_load_2addr_b64 v[2:5], v9 offset0:128 offset1:160
	s_waitcnt lgkmcnt(0)
	v_mul_f32_e32 v25, v3, v28
	s_delay_alu instid0(VALU_DEP_1) | instskip(SKIP_1) | instid1(VALU_DEP_1)
	v_fma_f32 v25, v2, v27, -v25
	v_mul_f32_e32 v2, v2, v28
	v_fmac_f32_e32 v2, v3, v27
	s_delay_alu instid0(VALU_DEP_1) | instskip(SKIP_1) | instid1(VALU_DEP_1)
	v_dual_add_f32 v2, v24, v2 :: v_dual_add_f32 v3, v23, v25
	v_mul_f32_e32 v23, v5, v30
	v_fma_f32 v23, v4, v29, -v23
	v_mul_f32_e32 v4, v4, v30
	s_delay_alu instid0(VALU_DEP_1) | instskip(NEXT) | instid1(VALU_DEP_1)
	v_fmac_f32_e32 v4, v5, v29
	v_dual_add_f32 v24, v2, v4 :: v_dual_add_f32 v23, v3, v23
	ds_load_2addr_b64 v[2:5], v9 offset0:192 offset1:224
	s_waitcnt lgkmcnt(0)
	v_mul_f32_e32 v25, v3, v32
	s_delay_alu instid0(VALU_DEP_1) | instskip(SKIP_1) | instid1(VALU_DEP_1)
	v_fma_f32 v25, v2, v31, -v25
	v_mul_f32_e32 v2, v2, v32
	v_fmac_f32_e32 v2, v3, v31
	s_delay_alu instid0(VALU_DEP_1) | instskip(SKIP_1) | instid1(VALU_DEP_1)
	v_dual_add_f32 v2, v24, v2 :: v_dual_add_f32 v3, v23, v25
	v_mul_f32_e32 v23, v5, v34
	v_fma_f32 v23, v4, v33, -v23
	v_mul_f32_e32 v4, v4, v34
	s_delay_alu instid0(VALU_DEP_1) | instskip(NEXT) | instid1(VALU_DEP_1)
	v_fmac_f32_e32 v4, v5, v33
	v_dual_add_f32 v28, v2, v4 :: v_dual_add_f32 v27, v3, v23
	ds_load_b128 v[2:5], v8 offset:64
	ds_load_2addr_b64 v[23:26], v20 offset1:32
	s_waitcnt lgkmcnt(0)
	v_mul_f32_e32 v29, v24, v3
	v_mul_f32_e32 v3, v23, v3
	s_delay_alu instid0(VALU_DEP_2) | instskip(SKIP_1) | instid1(VALU_DEP_3)
	v_fma_f32 v29, v23, v2, -v29
	v_mul_f32_e32 v23, v26, v5
	v_fmac_f32_e32 v3, v24, v2
	v_mul_f32_e32 v5, v25, v5
	s_delay_alu instid0(VALU_DEP_4) | instskip(NEXT) | instid1(VALU_DEP_4)
	v_add_f32_e32 v2, v27, v29
	v_fma_f32 v23, v25, v4, -v23
	s_delay_alu instid0(VALU_DEP_3) | instskip(NEXT) | instid1(VALU_DEP_2)
	v_fmac_f32_e32 v5, v26, v4
	v_add_f32_e32 v27, v2, v23
	v_add_f32_e32 v3, v28, v3
	s_delay_alu instid0(VALU_DEP_1)
	v_add_f32_e32 v28, v3, v5
	ds_load_b128 v[2:5], v8 offset:80
	ds_load_2addr_b64 v[23:26], v20 offset0:64 offset1:96
	s_waitcnt lgkmcnt(0)
	v_mul_f32_e32 v29, v24, v3
	v_mul_f32_e32 v3, v23, v3
	s_delay_alu instid0(VALU_DEP_2) | instskip(NEXT) | instid1(VALU_DEP_2)
	v_fma_f32 v29, v23, v2, -v29
	v_fmac_f32_e32 v3, v24, v2
	v_mul_f32_e32 v23, v26, v5
	v_mul_f32_e32 v5, v25, v5
	s_delay_alu instid0(VALU_DEP_3) | instskip(NEXT) | instid1(VALU_DEP_3)
	v_add_f32_e32 v3, v28, v3
	v_fma_f32 v23, v25, v4, -v23
	s_delay_alu instid0(VALU_DEP_3) | instskip(NEXT) | instid1(VALU_DEP_1)
	v_fmac_f32_e32 v5, v26, v4
	v_add_f32_e32 v28, v3, v5
	v_add_f32_e32 v2, v27, v29
	s_delay_alu instid0(VALU_DEP_1)
	v_add_f32_e32 v27, v2, v23
	ds_load_b128 v[2:5], v8 offset:96
	ds_load_2addr_b64 v[23:26], v20 offset0:128 offset1:160
	s_waitcnt lgkmcnt(0)
	v_mul_f32_e32 v29, v24, v3
	v_mul_f32_e32 v3, v23, v3
	s_delay_alu instid0(VALU_DEP_2) | instskip(NEXT) | instid1(VALU_DEP_2)
	v_fma_f32 v29, v23, v2, -v29
	v_fmac_f32_e32 v3, v24, v2
	v_mul_f32_e32 v23, v26, v5
	v_mul_f32_e32 v5, v25, v5
	s_delay_alu instid0(VALU_DEP_3) | instskip(NEXT) | instid1(VALU_DEP_3)
	v_dual_add_f32 v2, v27, v29 :: v_dual_add_f32 v3, v28, v3
	v_fma_f32 v23, v25, v4, -v23
	s_delay_alu instid0(VALU_DEP_3) | instskip(NEXT) | instid1(VALU_DEP_1)
	v_fmac_f32_e32 v5, v26, v4
	v_dual_add_f32 v27, v2, v23 :: v_dual_add_f32 v28, v3, v5
	ds_load_b128 v[2:5], v8 offset:112
	ds_load_2addr_b64 v[23:26], v20 offset0:192 offset1:224
	s_waitcnt lgkmcnt(0)
	v_mul_f32_e32 v29, v24, v3
	v_mul_f32_e32 v3, v23, v3
	s_delay_alu instid0(VALU_DEP_2) | instskip(NEXT) | instid1(VALU_DEP_2)
	v_fma_f32 v29, v23, v2, -v29
	v_fmac_f32_e32 v3, v24, v2
	v_mul_f32_e32 v23, v26, v5
	v_mul_f32_e32 v5, v25, v5
	s_delay_alu instid0(VALU_DEP_3) | instskip(NEXT) | instid1(VALU_DEP_3)
	v_dual_add_f32 v2, v27, v29 :: v_dual_add_f32 v3, v28, v3
	v_fma_f32 v23, v25, v4, -v23
	s_delay_alu instid0(VALU_DEP_3) | instskip(NEXT) | instid1(VALU_DEP_1)
	v_fmac_f32_e32 v5, v26, v4
	v_dual_add_f32 v27, v2, v23 :: v_dual_add_f32 v28, v3, v5
	ds_load_b128 v[2:5], v8 offset:128
	ds_load_2addr_b64 v[23:26], v21 offset1:32
	s_waitcnt lgkmcnt(0)
	v_mul_f32_e32 v29, v24, v3
	v_mul_f32_e32 v3, v23, v3
	s_delay_alu instid0(VALU_DEP_2) | instskip(NEXT) | instid1(VALU_DEP_2)
	v_fma_f32 v29, v23, v2, -v29
	v_fmac_f32_e32 v3, v24, v2
	v_mul_f32_e32 v23, v26, v5
	v_mul_f32_e32 v5, v25, v5
	s_delay_alu instid0(VALU_DEP_3) | instskip(NEXT) | instid1(VALU_DEP_3)
	v_dual_add_f32 v2, v27, v29 :: v_dual_add_f32 v3, v28, v3
	v_fma_f32 v23, v25, v4, -v23
	s_delay_alu instid0(VALU_DEP_3) | instskip(NEXT) | instid1(VALU_DEP_1)
	v_fmac_f32_e32 v5, v26, v4
	v_dual_add_f32 v27, v2, v23 :: v_dual_add_f32 v28, v3, v5
	ds_load_b128 v[2:5], v8 offset:144
	ds_load_2addr_b64 v[23:26], v21 offset0:64 offset1:96
	s_waitcnt lgkmcnt(0)
	v_mul_f32_e32 v29, v24, v3
	v_mul_f32_e32 v3, v23, v3
	s_delay_alu instid0(VALU_DEP_2) | instskip(NEXT) | instid1(VALU_DEP_2)
	v_fma_f32 v29, v23, v2, -v29
	v_fmac_f32_e32 v3, v24, v2
	v_mul_f32_e32 v23, v26, v5
	v_mul_f32_e32 v5, v25, v5
	s_delay_alu instid0(VALU_DEP_3) | instskip(NEXT) | instid1(VALU_DEP_3)
	v_dual_add_f32 v2, v27, v29 :: v_dual_add_f32 v3, v28, v3
	v_fma_f32 v23, v25, v4, -v23
	s_delay_alu instid0(VALU_DEP_3) | instskip(NEXT) | instid1(VALU_DEP_1)
	v_fmac_f32_e32 v5, v26, v4
	v_dual_add_f32 v27, v2, v23 :: v_dual_add_f32 v28, v3, v5
	ds_load_b128 v[2:5], v8 offset:160
	ds_load_2addr_b64 v[23:26], v21 offset0:128 offset1:160
	;; [unrolled: 16-line block ×3, first 2 shown]
	s_waitcnt lgkmcnt(0)
	v_mul_f32_e32 v29, v24, v3
	v_mul_f32_e32 v3, v23, v3
	s_delay_alu instid0(VALU_DEP_2) | instskip(NEXT) | instid1(VALU_DEP_2)
	v_fma_f32 v29, v23, v2, -v29
	v_fmac_f32_e32 v3, v24, v2
	v_mul_f32_e32 v23, v26, v5
	v_mul_f32_e32 v5, v25, v5
	s_delay_alu instid0(VALU_DEP_3) | instskip(NEXT) | instid1(VALU_DEP_3)
	v_dual_add_f32 v2, v27, v29 :: v_dual_add_f32 v3, v28, v3
	v_fma_f32 v23, v25, v4, -v23
	s_delay_alu instid0(VALU_DEP_3) | instskip(NEXT) | instid1(VALU_DEP_1)
	v_fmac_f32_e32 v5, v26, v4
	v_dual_add_f32 v27, v2, v23 :: v_dual_add_f32 v28, v3, v5
	ds_load_b128 v[2:5], v8 offset:192
	ds_load_2addr_b64 v[23:26], v22 offset1:32
	s_waitcnt lgkmcnt(0)
	v_mul_f32_e32 v29, v24, v3
	v_mul_f32_e32 v3, v23, v3
	s_delay_alu instid0(VALU_DEP_2) | instskip(NEXT) | instid1(VALU_DEP_2)
	v_fma_f32 v29, v23, v2, -v29
	v_fmac_f32_e32 v3, v24, v2
	v_mul_f32_e32 v23, v26, v5
	v_mul_f32_e32 v5, v25, v5
	s_delay_alu instid0(VALU_DEP_3) | instskip(NEXT) | instid1(VALU_DEP_3)
	v_dual_add_f32 v2, v27, v29 :: v_dual_add_f32 v3, v28, v3
	v_fma_f32 v23, v25, v4, -v23
	s_delay_alu instid0(VALU_DEP_3) | instskip(NEXT) | instid1(VALU_DEP_1)
	v_fmac_f32_e32 v5, v26, v4
	v_dual_add_f32 v27, v2, v23 :: v_dual_add_f32 v28, v3, v5
	ds_load_b128 v[2:5], v8 offset:208
	ds_load_2addr_b64 v[23:26], v22 offset0:64 offset1:96
	s_waitcnt lgkmcnt(0)
	v_mul_f32_e32 v29, v24, v3
	v_mul_f32_e32 v3, v23, v3
	s_delay_alu instid0(VALU_DEP_2) | instskip(NEXT) | instid1(VALU_DEP_2)
	v_fma_f32 v29, v23, v2, -v29
	v_fmac_f32_e32 v3, v24, v2
	v_mul_f32_e32 v23, v26, v5
	v_mul_f32_e32 v5, v25, v5
	s_delay_alu instid0(VALU_DEP_3) | instskip(NEXT) | instid1(VALU_DEP_3)
	v_dual_add_f32 v2, v27, v29 :: v_dual_add_f32 v3, v28, v3
	v_fma_f32 v23, v25, v4, -v23
	s_delay_alu instid0(VALU_DEP_3) | instskip(NEXT) | instid1(VALU_DEP_1)
	v_fmac_f32_e32 v5, v26, v4
	v_dual_add_f32 v27, v2, v23 :: v_dual_add_f32 v28, v3, v5
	ds_load_b128 v[2:5], v8 offset:224
	ds_load_2addr_b64 v[23:26], v22 offset0:128 offset1:160
	;; [unrolled: 16-line block ×3, first 2 shown]
	s_waitcnt lgkmcnt(0)
	v_mul_f32_e32 v29, v24, v3
	v_mul_f32_e32 v3, v23, v3
	s_delay_alu instid0(VALU_DEP_2) | instskip(NEXT) | instid1(VALU_DEP_2)
	v_fma_f32 v29, v23, v2, -v29
	v_fmac_f32_e32 v3, v24, v2
	v_mul_f32_e32 v23, v26, v5
	v_mul_f32_e32 v5, v25, v5
	s_delay_alu instid0(VALU_DEP_3) | instskip(NEXT) | instid1(VALU_DEP_3)
	v_dual_add_f32 v2, v27, v29 :: v_dual_add_f32 v3, v28, v3
	v_fma_f32 v23, v25, v4, -v23
	s_delay_alu instid0(VALU_DEP_3) | instskip(NEXT) | instid1(VALU_DEP_1)
	v_fmac_f32_e32 v5, v26, v4
	v_dual_add_f32 v4, v2, v23 :: v_dual_add_f32 v3, v3, v5
	s_delay_alu instid0(VALU_DEP_1) | instskip(SKIP_1) | instid1(VALU_DEP_2)
	v_mul_f32_e32 v2, s9, v3
	v_mul_f32_e32 v3, s8, v3
	v_fma_f32 v2, s8, v4, -v2
	s_delay_alu instid0(VALU_DEP_2)
	v_fmac_f32_e32 v3, s9, v4
	global_load_b64 v[4:5], v[0:1], off
	s_waitcnt vmcnt(0)
	v_dual_add_f32 v2, v4, v2 :: v_dual_add_f32 v3, v5, v3
	global_store_b64 v[0:1], v[2:3], off
.LBB1866_11:                            ;   in Loop: Header=BB1866_5 Depth=1
	s_or_b32 exec_lo, exec_lo, s19
	v_dual_mov_b32 v3, 0 :: v_dual_mov_b32 v4, 0
	v_mov_b32_e32 v5, 0
	s_waitcnt_vscnt null, 0x0
	s_barrier
	buffer_gl0_inv
	s_and_saveexec_b32 s19, s15
	s_cbranch_execz .LBB1866_13
; %bb.12:                               ;   in Loop: Header=BB1866_5 Depth=1
	v_add_co_u32 v4, vcc_lo, s10, v14
	v_add_co_ci_u32_e32 v5, vcc_lo, s11, v15, vcc_lo
	global_load_b64 v[4:5], v[4:5], off
.LBB1866_13:                            ;   in Loop: Header=BB1866_5 Depth=1
	s_or_b32 exec_lo, exec_lo, s19
	v_mov_b32_e32 v2, 0
	s_waitcnt vmcnt(0)
	ds_store_b64 v10, v[4:5]
	s_and_saveexec_b32 s15, s18
	s_cbranch_execz .LBB1866_15
; %bb.14:                               ;   in Loop: Header=BB1866_5 Depth=1
	v_add_co_u32 v2, vcc_lo, s13, v16
	v_add_co_ci_u32_e32 v3, vcc_lo, s14, v17, vcc_lo
	global_load_b64 v[2:3], v[2:3], off offset:-4
	s_waitcnt vmcnt(0)
	v_xor_b32_e32 v3, 0x80000000, v3
.LBB1866_15:                            ;   in Loop: Header=BB1866_5 Depth=1
	s_or_b32 exec_lo, exec_lo, s15
	ds_store_b64 v11, v[2:3]
	s_waitcnt lgkmcnt(0)
	s_barrier
	buffer_gl0_inv
	s_and_saveexec_b32 s15, s12
	s_cbranch_execz .LBB1866_4
; %bb.16:                               ;   in Loop: Header=BB1866_5 Depth=1
	ds_load_b128 v[2:5], v8
	ds_load_b128 v[23:26], v8 offset:16
	ds_load_b128 v[27:30], v8 offset:32
	;; [unrolled: 1-line block ×3, first 2 shown]
	ds_load_2addr_b64 v[35:38], v9 offset1:32
	s_waitcnt lgkmcnt(0)
	v_mul_f32_e32 v39, v36, v3
	v_mul_f32_e32 v3, v35, v3
	s_delay_alu instid0(VALU_DEP_2) | instskip(NEXT) | instid1(VALU_DEP_2)
	v_fma_f32 v39, v35, v2, -v39
	v_fmac_f32_e32 v3, v36, v2
	v_mul_f32_e32 v35, v38, v5
	s_delay_alu instid0(VALU_DEP_3) | instskip(NEXT) | instid1(VALU_DEP_3)
	v_dual_mul_f32 v5, v37, v5 :: v_dual_add_f32 v2, 0, v39
	v_add_f32_e32 v3, 0, v3
	s_delay_alu instid0(VALU_DEP_3) | instskip(NEXT) | instid1(VALU_DEP_3)
	v_fma_f32 v35, v37, v4, -v35
	v_fmac_f32_e32 v5, v38, v4
	s_delay_alu instid0(VALU_DEP_1) | instskip(SKIP_3) | instid1(VALU_DEP_1)
	v_dual_add_f32 v35, v2, v35 :: v_dual_add_f32 v36, v3, v5
	ds_load_2addr_b64 v[2:5], v9 offset0:64 offset1:96
	s_waitcnt lgkmcnt(0)
	v_mul_f32_e32 v37, v3, v24
	v_fma_f32 v37, v2, v23, -v37
	v_mul_f32_e32 v2, v2, v24
	s_delay_alu instid0(VALU_DEP_1) | instskip(NEXT) | instid1(VALU_DEP_1)
	v_dual_fmac_f32 v2, v3, v23 :: v_dual_mul_f32 v23, v5, v26
	v_add_f32_e32 v2, v36, v2
	s_delay_alu instid0(VALU_DEP_2) | instskip(SKIP_1) | instid1(VALU_DEP_1)
	v_fma_f32 v23, v4, v25, -v23
	v_mul_f32_e32 v4, v4, v26
	v_fmac_f32_e32 v4, v5, v25
	s_delay_alu instid0(VALU_DEP_1) | instskip(NEXT) | instid1(VALU_DEP_1)
	v_dual_add_f32 v3, v35, v37 :: v_dual_add_f32 v24, v2, v4
	v_add_f32_e32 v23, v3, v23
	ds_load_2addr_b64 v[2:5], v9 offset0:128 offset1:160
	s_waitcnt lgkmcnt(0)
	v_mul_f32_e32 v25, v3, v28
	s_delay_alu instid0(VALU_DEP_1) | instskip(SKIP_1) | instid1(VALU_DEP_1)
	v_fma_f32 v25, v2, v27, -v25
	v_mul_f32_e32 v2, v2, v28
	v_fmac_f32_e32 v2, v3, v27
	s_delay_alu instid0(VALU_DEP_1) | instskip(SKIP_1) | instid1(VALU_DEP_1)
	v_dual_add_f32 v2, v24, v2 :: v_dual_add_f32 v3, v23, v25
	v_mul_f32_e32 v23, v5, v30
	v_fma_f32 v23, v4, v29, -v23
	v_mul_f32_e32 v4, v4, v30
	s_delay_alu instid0(VALU_DEP_1) | instskip(NEXT) | instid1(VALU_DEP_1)
	v_fmac_f32_e32 v4, v5, v29
	v_dual_add_f32 v24, v2, v4 :: v_dual_add_f32 v23, v3, v23
	ds_load_2addr_b64 v[2:5], v9 offset0:192 offset1:224
	s_waitcnt lgkmcnt(0)
	v_mul_f32_e32 v25, v3, v32
	s_delay_alu instid0(VALU_DEP_1) | instskip(SKIP_1) | instid1(VALU_DEP_1)
	v_fma_f32 v25, v2, v31, -v25
	v_mul_f32_e32 v2, v2, v32
	v_fmac_f32_e32 v2, v3, v31
	s_delay_alu instid0(VALU_DEP_1) | instskip(SKIP_1) | instid1(VALU_DEP_1)
	v_dual_add_f32 v2, v24, v2 :: v_dual_add_f32 v3, v23, v25
	v_mul_f32_e32 v23, v5, v34
	v_fma_f32 v23, v4, v33, -v23
	v_mul_f32_e32 v4, v4, v34
	s_delay_alu instid0(VALU_DEP_1) | instskip(NEXT) | instid1(VALU_DEP_1)
	v_fmac_f32_e32 v4, v5, v33
	v_dual_add_f32 v28, v2, v4 :: v_dual_add_f32 v27, v3, v23
	ds_load_b128 v[2:5], v8 offset:64
	ds_load_2addr_b64 v[23:26], v20 offset1:32
	s_waitcnt lgkmcnt(0)
	v_mul_f32_e32 v29, v24, v3
	v_mul_f32_e32 v3, v23, v3
	s_delay_alu instid0(VALU_DEP_2) | instskip(SKIP_1) | instid1(VALU_DEP_3)
	v_fma_f32 v29, v23, v2, -v29
	v_mul_f32_e32 v23, v26, v5
	v_fmac_f32_e32 v3, v24, v2
	v_mul_f32_e32 v5, v25, v5
	s_delay_alu instid0(VALU_DEP_4) | instskip(NEXT) | instid1(VALU_DEP_4)
	v_add_f32_e32 v2, v27, v29
	v_fma_f32 v23, v25, v4, -v23
	s_delay_alu instid0(VALU_DEP_3) | instskip(NEXT) | instid1(VALU_DEP_2)
	v_fmac_f32_e32 v5, v26, v4
	v_add_f32_e32 v27, v2, v23
	v_add_f32_e32 v3, v28, v3
	s_delay_alu instid0(VALU_DEP_1)
	v_add_f32_e32 v28, v3, v5
	ds_load_b128 v[2:5], v8 offset:80
	ds_load_2addr_b64 v[23:26], v20 offset0:64 offset1:96
	s_waitcnt lgkmcnt(0)
	v_mul_f32_e32 v29, v24, v3
	v_mul_f32_e32 v3, v23, v3
	s_delay_alu instid0(VALU_DEP_2) | instskip(NEXT) | instid1(VALU_DEP_2)
	v_fma_f32 v29, v23, v2, -v29
	v_fmac_f32_e32 v3, v24, v2
	v_mul_f32_e32 v23, v26, v5
	v_mul_f32_e32 v5, v25, v5
	s_delay_alu instid0(VALU_DEP_3) | instskip(NEXT) | instid1(VALU_DEP_3)
	v_add_f32_e32 v3, v28, v3
	v_fma_f32 v23, v25, v4, -v23
	s_delay_alu instid0(VALU_DEP_3) | instskip(NEXT) | instid1(VALU_DEP_1)
	v_fmac_f32_e32 v5, v26, v4
	v_add_f32_e32 v28, v3, v5
	v_add_f32_e32 v2, v27, v29
	s_delay_alu instid0(VALU_DEP_1)
	v_add_f32_e32 v27, v2, v23
	ds_load_b128 v[2:5], v8 offset:96
	ds_load_2addr_b64 v[23:26], v20 offset0:128 offset1:160
	s_waitcnt lgkmcnt(0)
	v_mul_f32_e32 v29, v24, v3
	v_mul_f32_e32 v3, v23, v3
	s_delay_alu instid0(VALU_DEP_2) | instskip(NEXT) | instid1(VALU_DEP_2)
	v_fma_f32 v29, v23, v2, -v29
	v_fmac_f32_e32 v3, v24, v2
	v_mul_f32_e32 v23, v26, v5
	v_mul_f32_e32 v5, v25, v5
	s_delay_alu instid0(VALU_DEP_3) | instskip(NEXT) | instid1(VALU_DEP_3)
	v_dual_add_f32 v2, v27, v29 :: v_dual_add_f32 v3, v28, v3
	v_fma_f32 v23, v25, v4, -v23
	s_delay_alu instid0(VALU_DEP_3) | instskip(NEXT) | instid1(VALU_DEP_1)
	v_fmac_f32_e32 v5, v26, v4
	v_dual_add_f32 v27, v2, v23 :: v_dual_add_f32 v28, v3, v5
	ds_load_b128 v[2:5], v8 offset:112
	ds_load_2addr_b64 v[23:26], v20 offset0:192 offset1:224
	s_waitcnt lgkmcnt(0)
	v_mul_f32_e32 v29, v24, v3
	v_mul_f32_e32 v3, v23, v3
	s_delay_alu instid0(VALU_DEP_2) | instskip(NEXT) | instid1(VALU_DEP_2)
	v_fma_f32 v29, v23, v2, -v29
	v_fmac_f32_e32 v3, v24, v2
	v_mul_f32_e32 v23, v26, v5
	v_mul_f32_e32 v5, v25, v5
	s_delay_alu instid0(VALU_DEP_3) | instskip(NEXT) | instid1(VALU_DEP_3)
	v_dual_add_f32 v2, v27, v29 :: v_dual_add_f32 v3, v28, v3
	v_fma_f32 v23, v25, v4, -v23
	s_delay_alu instid0(VALU_DEP_3) | instskip(NEXT) | instid1(VALU_DEP_1)
	v_fmac_f32_e32 v5, v26, v4
	v_dual_add_f32 v27, v2, v23 :: v_dual_add_f32 v28, v3, v5
	ds_load_b128 v[2:5], v8 offset:128
	ds_load_2addr_b64 v[23:26], v21 offset1:32
	s_waitcnt lgkmcnt(0)
	v_mul_f32_e32 v29, v24, v3
	v_mul_f32_e32 v3, v23, v3
	s_delay_alu instid0(VALU_DEP_2) | instskip(NEXT) | instid1(VALU_DEP_2)
	v_fma_f32 v29, v23, v2, -v29
	v_fmac_f32_e32 v3, v24, v2
	v_mul_f32_e32 v23, v26, v5
	v_mul_f32_e32 v5, v25, v5
	s_delay_alu instid0(VALU_DEP_3) | instskip(NEXT) | instid1(VALU_DEP_3)
	v_dual_add_f32 v2, v27, v29 :: v_dual_add_f32 v3, v28, v3
	v_fma_f32 v23, v25, v4, -v23
	s_delay_alu instid0(VALU_DEP_3) | instskip(NEXT) | instid1(VALU_DEP_1)
	v_fmac_f32_e32 v5, v26, v4
	v_dual_add_f32 v27, v2, v23 :: v_dual_add_f32 v28, v3, v5
	ds_load_b128 v[2:5], v8 offset:144
	ds_load_2addr_b64 v[23:26], v21 offset0:64 offset1:96
	s_waitcnt lgkmcnt(0)
	v_mul_f32_e32 v29, v24, v3
	v_mul_f32_e32 v3, v23, v3
	s_delay_alu instid0(VALU_DEP_2) | instskip(NEXT) | instid1(VALU_DEP_2)
	v_fma_f32 v29, v23, v2, -v29
	v_fmac_f32_e32 v3, v24, v2
	v_mul_f32_e32 v23, v26, v5
	v_mul_f32_e32 v5, v25, v5
	s_delay_alu instid0(VALU_DEP_3) | instskip(NEXT) | instid1(VALU_DEP_3)
	v_dual_add_f32 v2, v27, v29 :: v_dual_add_f32 v3, v28, v3
	v_fma_f32 v23, v25, v4, -v23
	s_delay_alu instid0(VALU_DEP_3) | instskip(NEXT) | instid1(VALU_DEP_1)
	v_fmac_f32_e32 v5, v26, v4
	v_dual_add_f32 v27, v2, v23 :: v_dual_add_f32 v28, v3, v5
	ds_load_b128 v[2:5], v8 offset:160
	ds_load_2addr_b64 v[23:26], v21 offset0:128 offset1:160
	s_waitcnt lgkmcnt(0)
	v_mul_f32_e32 v29, v24, v3
	v_mul_f32_e32 v3, v23, v3
	s_delay_alu instid0(VALU_DEP_2) | instskip(NEXT) | instid1(VALU_DEP_2)
	v_fma_f32 v29, v23, v2, -v29
	v_fmac_f32_e32 v3, v24, v2
	v_mul_f32_e32 v23, v26, v5
	v_mul_f32_e32 v5, v25, v5
	s_delay_alu instid0(VALU_DEP_3) | instskip(NEXT) | instid1(VALU_DEP_3)
	v_dual_add_f32 v2, v27, v29 :: v_dual_add_f32 v3, v28, v3
	v_fma_f32 v23, v25, v4, -v23
	s_delay_alu instid0(VALU_DEP_3) | instskip(NEXT) | instid1(VALU_DEP_1)
	v_fmac_f32_e32 v5, v26, v4
	v_dual_add_f32 v27, v2, v23 :: v_dual_add_f32 v28, v3, v5
	ds_load_b128 v[2:5], v8 offset:176
	ds_load_2addr_b64 v[23:26], v21 offset0:192 offset1:224
	s_waitcnt lgkmcnt(0)
	v_mul_f32_e32 v29, v24, v3
	v_mul_f32_e32 v3, v23, v3
	s_delay_alu instid0(VALU_DEP_2) | instskip(NEXT) | instid1(VALU_DEP_2)
	v_fma_f32 v29, v23, v2, -v29
	v_fmac_f32_e32 v3, v24, v2
	v_mul_f32_e32 v23, v26, v5
	v_mul_f32_e32 v5, v25, v5
	s_delay_alu instid0(VALU_DEP_3) | instskip(NEXT) | instid1(VALU_DEP_3)
	v_dual_add_f32 v2, v27, v29 :: v_dual_add_f32 v3, v28, v3
	v_fma_f32 v23, v25, v4, -v23
	s_delay_alu instid0(VALU_DEP_3) | instskip(NEXT) | instid1(VALU_DEP_1)
	v_fmac_f32_e32 v5, v26, v4
	v_dual_add_f32 v27, v2, v23 :: v_dual_add_f32 v28, v3, v5
	ds_load_b128 v[2:5], v8 offset:192
	ds_load_2addr_b64 v[23:26], v22 offset1:32
	s_waitcnt lgkmcnt(0)
	v_mul_f32_e32 v29, v24, v3
	v_mul_f32_e32 v3, v23, v3
	s_delay_alu instid0(VALU_DEP_2) | instskip(NEXT) | instid1(VALU_DEP_2)
	v_fma_f32 v29, v23, v2, -v29
	v_fmac_f32_e32 v3, v24, v2
	v_mul_f32_e32 v23, v26, v5
	v_mul_f32_e32 v5, v25, v5
	s_delay_alu instid0(VALU_DEP_3) | instskip(NEXT) | instid1(VALU_DEP_3)
	v_dual_add_f32 v2, v27, v29 :: v_dual_add_f32 v3, v28, v3
	v_fma_f32 v23, v25, v4, -v23
	s_delay_alu instid0(VALU_DEP_3) | instskip(NEXT) | instid1(VALU_DEP_1)
	v_fmac_f32_e32 v5, v26, v4
	v_dual_add_f32 v27, v2, v23 :: v_dual_add_f32 v28, v3, v5
	ds_load_b128 v[2:5], v8 offset:208
	ds_load_2addr_b64 v[23:26], v22 offset0:64 offset1:96
	s_waitcnt lgkmcnt(0)
	v_mul_f32_e32 v29, v24, v3
	v_mul_f32_e32 v3, v23, v3
	s_delay_alu instid0(VALU_DEP_2) | instskip(NEXT) | instid1(VALU_DEP_2)
	v_fma_f32 v29, v23, v2, -v29
	v_fmac_f32_e32 v3, v24, v2
	v_mul_f32_e32 v23, v26, v5
	v_mul_f32_e32 v5, v25, v5
	s_delay_alu instid0(VALU_DEP_3) | instskip(NEXT) | instid1(VALU_DEP_3)
	v_dual_add_f32 v2, v27, v29 :: v_dual_add_f32 v3, v28, v3
	v_fma_f32 v23, v25, v4, -v23
	s_delay_alu instid0(VALU_DEP_3) | instskip(NEXT) | instid1(VALU_DEP_1)
	v_fmac_f32_e32 v5, v26, v4
	v_dual_add_f32 v27, v2, v23 :: v_dual_add_f32 v28, v3, v5
	ds_load_b128 v[2:5], v8 offset:224
	ds_load_2addr_b64 v[23:26], v22 offset0:128 offset1:160
	;; [unrolled: 16-line block ×3, first 2 shown]
	s_waitcnt lgkmcnt(0)
	v_mul_f32_e32 v29, v24, v3
	v_mul_f32_e32 v3, v23, v3
	s_delay_alu instid0(VALU_DEP_2) | instskip(SKIP_1) | instid1(VALU_DEP_3)
	v_fma_f32 v29, v23, v2, -v29
	v_mul_f32_e32 v23, v26, v5
	v_fmac_f32_e32 v3, v24, v2
	v_mul_f32_e32 v5, v25, v5
	s_delay_alu instid0(VALU_DEP_4) | instskip(NEXT) | instid1(VALU_DEP_4)
	v_add_f32_e32 v2, v27, v29
	v_fma_f32 v23, v25, v4, -v23
	s_delay_alu instid0(VALU_DEP_4) | instskip(NEXT) | instid1(VALU_DEP_4)
	v_add_f32_e32 v3, v28, v3
	v_fmac_f32_e32 v5, v26, v4
	s_delay_alu instid0(VALU_DEP_1) | instskip(NEXT) | instid1(VALU_DEP_1)
	v_dual_add_f32 v4, v2, v23 :: v_dual_add_f32 v3, v3, v5
	v_mul_f32_e32 v2, s8, v4
	v_mul_f32_e32 v4, s9, v4
	s_delay_alu instid0(VALU_DEP_2) | instskip(NEXT) | instid1(VALU_DEP_2)
	v_fmac_f32_e32 v2, s9, v3
	v_fma_f32 v3, s8, v3, -v4
	global_load_b64 v[4:5], v[0:1], off
	s_waitcnt vmcnt(0)
	v_dual_add_f32 v2, v4, v2 :: v_dual_add_f32 v3, v5, v3
	global_store_b64 v[0:1], v[2:3], off
	s_branch .LBB1866_4
.LBB1866_17:
	s_endpgm
	.section	.rodata,"a",@progbits
	.p2align	6, 0x0
	.amdhsa_kernel _ZL26rocblas_syr2k_her2k_kernelIlLb1ELb1ELb0ELi32EPK19rocblas_complex_numIfES3_PS1_EvbiT_T4_T5_S5_lS7_S5_lT6_S5_li
		.amdhsa_group_segment_fixed_size 16384
		.amdhsa_private_segment_fixed_size 0
		.amdhsa_kernarg_size 100
		.amdhsa_user_sgpr_count 13
		.amdhsa_user_sgpr_dispatch_ptr 0
		.amdhsa_user_sgpr_queue_ptr 0
		.amdhsa_user_sgpr_kernarg_segment_ptr 1
		.amdhsa_user_sgpr_dispatch_id 0
		.amdhsa_user_sgpr_private_segment_size 0
		.amdhsa_wavefront_size32 1
		.amdhsa_uses_dynamic_stack 0
		.amdhsa_enable_private_segment 0
		.amdhsa_system_sgpr_workgroup_id_x 1
		.amdhsa_system_sgpr_workgroup_id_y 1
		.amdhsa_system_sgpr_workgroup_id_z 1
		.amdhsa_system_sgpr_workgroup_info 0
		.amdhsa_system_vgpr_workitem_id 1
		.amdhsa_next_free_vgpr 40
		.amdhsa_next_free_sgpr 32
		.amdhsa_reserve_vcc 1
		.amdhsa_float_round_mode_32 0
		.amdhsa_float_round_mode_16_64 0
		.amdhsa_float_denorm_mode_32 3
		.amdhsa_float_denorm_mode_16_64 3
		.amdhsa_dx10_clamp 1
		.amdhsa_ieee_mode 1
		.amdhsa_fp16_overflow 0
		.amdhsa_workgroup_processor_mode 1
		.amdhsa_memory_ordered 1
		.amdhsa_forward_progress 0
		.amdhsa_shared_vgpr_count 0
		.amdhsa_exception_fp_ieee_invalid_op 0
		.amdhsa_exception_fp_denorm_src 0
		.amdhsa_exception_fp_ieee_div_zero 0
		.amdhsa_exception_fp_ieee_overflow 0
		.amdhsa_exception_fp_ieee_underflow 0
		.amdhsa_exception_fp_ieee_inexact 0
		.amdhsa_exception_int_div_zero 0
	.end_amdhsa_kernel
	.section	.text._ZL26rocblas_syr2k_her2k_kernelIlLb1ELb1ELb0ELi32EPK19rocblas_complex_numIfES3_PS1_EvbiT_T4_T5_S5_lS7_S5_lT6_S5_li,"axG",@progbits,_ZL26rocblas_syr2k_her2k_kernelIlLb1ELb1ELb0ELi32EPK19rocblas_complex_numIfES3_PS1_EvbiT_T4_T5_S5_lS7_S5_lT6_S5_li,comdat
.Lfunc_end1866:
	.size	_ZL26rocblas_syr2k_her2k_kernelIlLb1ELb1ELb0ELi32EPK19rocblas_complex_numIfES3_PS1_EvbiT_T4_T5_S5_lS7_S5_lT6_S5_li, .Lfunc_end1866-_ZL26rocblas_syr2k_her2k_kernelIlLb1ELb1ELb0ELi32EPK19rocblas_complex_numIfES3_PS1_EvbiT_T4_T5_S5_lS7_S5_lT6_S5_li
                                        ; -- End function
	.section	.AMDGPU.csdata,"",@progbits
; Kernel info:
; codeLenInByte = 4084
; NumSgprs: 34
; NumVgprs: 40
; ScratchSize: 0
; MemoryBound: 0
; FloatMode: 240
; IeeeMode: 1
; LDSByteSize: 16384 bytes/workgroup (compile time only)
; SGPRBlocks: 4
; VGPRBlocks: 4
; NumSGPRsForWavesPerEU: 34
; NumVGPRsForWavesPerEU: 40
; Occupancy: 16
; WaveLimiterHint : 0
; COMPUTE_PGM_RSRC2:SCRATCH_EN: 0
; COMPUTE_PGM_RSRC2:USER_SGPR: 13
; COMPUTE_PGM_RSRC2:TRAP_HANDLER: 0
; COMPUTE_PGM_RSRC2:TGID_X_EN: 1
; COMPUTE_PGM_RSRC2:TGID_Y_EN: 1
; COMPUTE_PGM_RSRC2:TGID_Z_EN: 1
; COMPUTE_PGM_RSRC2:TIDIG_COMP_CNT: 1
	.section	.text._ZL26rocblas_syr2k_her2k_kernelIlLb1ELb1ELb1ELi32EPK19rocblas_complex_numIfES3_PS1_EvbiT_T4_T5_S5_lS7_S5_lT6_S5_li,"axG",@progbits,_ZL26rocblas_syr2k_her2k_kernelIlLb1ELb1ELb1ELi32EPK19rocblas_complex_numIfES3_PS1_EvbiT_T4_T5_S5_lS7_S5_lT6_S5_li,comdat
	.globl	_ZL26rocblas_syr2k_her2k_kernelIlLb1ELb1ELb1ELi32EPK19rocblas_complex_numIfES3_PS1_EvbiT_T4_T5_S5_lS7_S5_lT6_S5_li ; -- Begin function _ZL26rocblas_syr2k_her2k_kernelIlLb1ELb1ELb1ELi32EPK19rocblas_complex_numIfES3_PS1_EvbiT_T4_T5_S5_lS7_S5_lT6_S5_li
	.p2align	8
	.type	_ZL26rocblas_syr2k_her2k_kernelIlLb1ELb1ELb1ELi32EPK19rocblas_complex_numIfES3_PS1_EvbiT_T4_T5_S5_lS7_S5_lT6_S5_li,@function
_ZL26rocblas_syr2k_her2k_kernelIlLb1ELb1ELb1ELi32EPK19rocblas_complex_numIfES3_PS1_EvbiT_T4_T5_S5_lS7_S5_lT6_S5_li: ; @_ZL26rocblas_syr2k_her2k_kernelIlLb1ELb1ELb1ELi32EPK19rocblas_complex_numIfES3_PS1_EvbiT_T4_T5_S5_lS7_S5_lT6_S5_li
; %bb.0:
	s_load_b512 s[16:31], s[0:1], 0x8
	s_waitcnt lgkmcnt(0)
	s_load_b64 s[8:9], s[18:19], 0x0
	s_waitcnt lgkmcnt(0)
	v_cmp_eq_f32_e64 s2, s8, 0
	v_cmp_eq_f32_e64 s3, s9, 0
	s_delay_alu instid0(VALU_DEP_1) | instskip(NEXT) | instid1(SALU_CYCLE_1)
	s_and_b32 s2, s2, s3
	s_and_b32 vcc_lo, exec_lo, s2
	s_cbranch_vccnz .LBB1867_17
; %bb.1:
	s_load_b64 s[2:3], s[0:1], 0x0
	s_lshl_b32 s10, s14, 5
	s_lshl_b32 s11, s13, 5
	s_waitcnt lgkmcnt(0)
	s_and_b32 s2, 1, s2
	s_delay_alu instid0(SALU_CYCLE_1) | instskip(SKIP_1) | instid1(SALU_CYCLE_1)
	s_cmp_eq_u32 s2, 1
	s_cselect_b32 s2, -1, 0
	s_and_b32 s4, s2, exec_lo
	s_cselect_b32 s4, s11, s10
	s_cselect_b32 s5, s10, s11
	s_delay_alu instid0(SALU_CYCLE_1)
	s_cmp_gt_i32 s4, s5
	s_cbranch_scc1 .LBB1867_17
; %bb.2:
	v_cmp_lt_i64_e64 s4, s[16:17], 1
	s_delay_alu instid0(VALU_DEP_1)
	s_and_b32 vcc_lo, exec_lo, s4
	s_cbranch_vccnz .LBB1867_17
; %bb.3:
	s_clause 0x1
	s_load_b64 s[12:13], s[0:1], 0x58
	s_load_b128 s[4:7], s[0:1], 0x48
	v_bfe_u32 v6, v0, 10, 10
	v_mov_b32_e32 v3, 0
	v_and_b32_e32 v7, 0x3ff, v0
	s_delay_alu instid0(VALU_DEP_2) | instskip(NEXT) | instid1(VALU_DEP_2)
	v_dual_mov_b32 v5, v3 :: v_dual_add_nc_u32 v4, s10, v6
	v_add_nc_u32_e32 v2, s11, v7
	s_mov_b32 s10, s3
	v_lshlrev_b32_e32 v23, 3, v7
	s_delay_alu instid0(VALU_DEP_3)
	v_ashrrev_i32_e32 v0, 31, v4
	v_mad_u64_u32 v[12:13], null, s28, v4, 0
	v_cndmask_b32_e64 v14, v2, v4, s2
	v_cndmask_b32_e64 v15, v4, v2, s2
	v_lshlrev_b32_e32 v22, 3, v6
	v_mad_u64_u32 v[18:19], null, s22, v2, 0
	s_waitcnt lgkmcnt(0)
	s_mul_i32 s1, s15, s13
	v_mul_lo_u32 v11, v0, s6
	v_mul_lo_u32 v16, v4, s7
	v_mad_u64_u32 v[0:1], null, v4, s6, 0
	s_mul_hi_u32 s2, s15, s12
	s_mul_i32 s0, s15, s12
	s_add_i32 s1, s2, s1
	v_cmp_le_i32_e64 s2, v15, v14
	s_lshl_b64 s[0:1], s[0:1], 3
	s_delay_alu instid0(SALU_CYCLE_1) | instskip(NEXT) | instid1(VALU_DEP_2)
	s_add_u32 s4, s4, s0
	v_add3_u32 v1, v1, v16, v11
	s_addc_u32 s5, s5, s1
	s_ashr_i32 s11, s3, 31
	s_delay_alu instid0(SALU_CYCLE_1)
	v_cmp_gt_i64_e64 s0, s[10:11], v[2:3]
	v_max_i32_e32 v3, v2, v4
	v_cmp_gt_i64_e64 s1, s[10:11], v[4:5]
	v_mov_b32_e32 v5, v13
	v_lshlrev_b64 v[0:1], 3, v[0:1]
	v_or_b32_e32 v9, 0x2000, v22
	v_cmp_gt_i32_e32 vcc_lo, s3, v3
	v_ashrrev_i32_e32 v3, 31, v2
	v_mad_u64_u32 v[13:14], null, s29, v4, v[5:6]
	v_mad_u64_u32 v[14:15], null, s28, v2, 0
	v_add_co_u32 v5, s3, s4, v0
	s_delay_alu instid0(VALU_DEP_1)
	v_add_co_ci_u32_e64 v16, s3, s5, v1, s3
	v_lshlrev_b64 v[0:1], 3, v[2:3]
	s_mul_i32 s4, s31, s15
	s_mul_hi_u32 s5, s30, s15
	v_lshlrev_b64 v[12:13], 3, v[12:13]
	v_dual_mov_b32 v3, v15 :: v_dual_lshlrev_b32 v8, 8, v7
	s_add_i32 s5, s5, s4
	s_mul_i32 s4, s30, s15
	v_add_co_u32 v0, s3, v5, v0
	s_lshl_b64 s[4:5], s[4:5], 3
	v_add_co_ci_u32_e64 v1, s3, v16, v1, s3
	v_mad_u64_u32 v[15:16], null, s29, v2, v[3:4]
	v_add_co_u32 v3, s3, s4, v12
	v_mad_u64_u32 v[16:17], null, s22, v4, 0
	v_add_co_ci_u32_e64 v5, s3, s5, v13, s3
	s_delay_alu instid0(VALU_DEP_3) | instskip(SKIP_1) | instid1(VALU_DEP_3)
	v_add_co_u32 v3, s3, v3, v23
	v_add_nc_u32_e32 v10, v8, v22
	v_add_co_ci_u32_e64 v5, s3, 0, v5, s3
	s_delay_alu instid0(VALU_DEP_3) | instskip(SKIP_1) | instid1(VALU_DEP_3)
	v_add_co_u32 v12, s3, v3, s26
	v_mov_b32_e32 v3, v17
	v_add_co_ci_u32_e64 v5, s3, s27, v5, s3
	v_lshlrev_b64 v[14:15], 3, v[14:15]
	s_delay_alu instid0(VALU_DEP_4) | instskip(NEXT) | instid1(VALU_DEP_4)
	v_add_co_u32 v12, s3, v12, 4
	v_mad_u64_u32 v[20:21], null, s23, v4, v[3:4]
	v_mov_b32_e32 v3, v19
	v_add_co_ci_u32_e64 v13, s3, 0, v5, s3
	v_add_co_u32 v14, s3, s4, v14
	s_delay_alu instid0(VALU_DEP_1) | instskip(SKIP_2) | instid1(VALU_DEP_4)
	v_add_co_ci_u32_e64 v15, s3, s5, v15, s3
	v_dual_mov_b32 v17, v20 :: v_dual_add_nc_u32 v20, 0x800, v9
	v_mad_u64_u32 v[4:5], null, s23, v2, v[3:4]
	v_add_co_u32 v5, s3, v14, v22
	s_mul_i32 s4, s25, s15
	s_mul_hi_u32 s5, s24, s15
	v_add_co_ci_u32_e64 v15, s3, 0, v15, s3
	s_delay_alu instid0(VALU_DEP_3)
	v_mov_b32_e32 v19, v4
	v_lshlrev_b64 v[2:3], 3, v[16:17]
	s_add_i32 s5, s5, s4
	s_mul_i32 s4, s24, s15
	v_add_co_u32 v14, s3, s26, v5
	v_lshlrev_b64 v[4:5], 3, v[18:19]
	s_lshl_b64 s[4:5], s[4:5], 3
	v_add_co_ci_u32_e64 v15, s3, s27, v15, s3
	v_add_co_u32 v2, s3, s4, v2
	s_delay_alu instid0(VALU_DEP_1) | instskip(NEXT) | instid1(VALU_DEP_4)
	v_add_co_ci_u32_e64 v3, s3, s5, v3, s3
	v_add_co_u32 v4, s3, s4, v4
	s_delay_alu instid0(VALU_DEP_1) | instskip(NEXT) | instid1(VALU_DEP_4)
	;; [unrolled: 3-line block ×3, first 2 shown]
	v_add_co_ci_u32_e64 v3, s3, 0, v3, s3
	v_add_co_u32 v4, s3, v4, v22
	v_add_nc_u32_e32 v22, 0x1800, v9
	v_add_co_ci_u32_e64 v5, s3, 0, v5, s3
	v_add_co_u32 v2, s3, v2, s20
	s_delay_alu instid0(VALU_DEP_1) | instskip(SKIP_1) | instid1(VALU_DEP_1)
	v_add_co_ci_u32_e64 v3, s3, s21, v3, s3
	v_add_co_u32 v4, s3, v4, s20
	v_add_co_ci_u32_e64 v5, s3, s21, v5, s3
	s_delay_alu instid0(VALU_DEP_4) | instskip(NEXT) | instid1(VALU_DEP_1)
	v_add_co_u32 v16, s3, v2, 4
	v_add_co_ci_u32_e64 v17, s3, 0, v3, s3
	s_delay_alu instid0(VALU_DEP_4)
	v_add_co_u32 v18, s3, v4, 4
	v_add_nc_u32_e32 v11, v9, v8
	v_add_co_ci_u32_e64 v19, s3, 0, v5, s3
	v_add_nc_u32_e32 v21, 0x1000, v9
	s_and_b32 s6, s2, vcc_lo
	s_mov_b64 s[2:3], 0
	s_mov_b64 s[4:5], 0
	s_branch .LBB1867_5
.LBB1867_4:                             ;   in Loop: Header=BB1867_5 Depth=1
	s_or_b32 exec_lo, exec_lo, s7
	s_add_u32 s4, s4, 32
	s_addc_u32 s5, s5, 0
	s_add_u32 s2, s2, 0x100
	v_cmp_lt_i64_e64 s7, s[4:5], s[16:17]
	s_addc_u32 s3, s3, 0
	s_waitcnt_vscnt null, 0x0
	s_barrier
	buffer_gl0_inv
	s_and_b32 vcc_lo, exec_lo, s7
	s_cbranch_vccz .LBB1867_17
.LBB1867_5:                             ; =>This Inner Loop Header: Depth=1
	v_add_co_u32 v2, s7, v6, s4
	s_delay_alu instid0(VALU_DEP_1) | instskip(NEXT) | instid1(VALU_DEP_1)
	v_add_co_ci_u32_e64 v3, null, 0, s5, s7
	v_cmp_gt_i64_e32 vcc_lo, s[16:17], v[2:3]
	v_dual_mov_b32 v2, 0 :: v_dual_mov_b32 v3, 0
	s_and_b32 s7, s0, vcc_lo
	s_delay_alu instid0(SALU_CYCLE_1)
	s_and_saveexec_b32 s10, s7
	s_cbranch_execz .LBB1867_7
; %bb.6:                                ;   in Loop: Header=BB1867_5 Depth=1
	v_add_co_u32 v2, vcc_lo, v18, s2
	v_add_co_ci_u32_e32 v3, vcc_lo, s3, v19, vcc_lo
	global_load_b64 v[2:3], v[2:3], off offset:-4
	s_waitcnt vmcnt(0)
	v_xor_b32_e32 v3, 0x80000000, v3
.LBB1867_7:                             ;   in Loop: Header=BB1867_5 Depth=1
	s_or_b32 exec_lo, exec_lo, s10
	v_add_co_u32 v4, s10, v7, s4
	s_delay_alu instid0(VALU_DEP_1) | instskip(SKIP_4) | instid1(SALU_CYCLE_1)
	v_add_co_ci_u32_e64 v5, null, 0, s5, s10
	ds_store_b64 v10, v[2:3]
	v_cmp_gt_i64_e32 vcc_lo, s[16:17], v[4:5]
	v_dual_mov_b32 v4, 0 :: v_dual_mov_b32 v5, 0
	s_and_b32 s10, s1, vcc_lo
	s_and_saveexec_b32 s11, s10
	s_cbranch_execz .LBB1867_9
; %bb.8:                                ;   in Loop: Header=BB1867_5 Depth=1
	v_add_co_u32 v2, vcc_lo, v12, s2
	v_add_co_ci_u32_e32 v3, vcc_lo, s3, v13, vcc_lo
	global_load_b64 v[4:5], v[2:3], off offset:-4
.LBB1867_9:                             ;   in Loop: Header=BB1867_5 Depth=1
	s_or_b32 exec_lo, exec_lo, s11
	s_waitcnt vmcnt(0)
	ds_store_b64 v11, v[4:5]
	s_waitcnt lgkmcnt(0)
	s_barrier
	buffer_gl0_inv
	s_and_saveexec_b32 s11, s6
	s_cbranch_execz .LBB1867_11
; %bb.10:                               ;   in Loop: Header=BB1867_5 Depth=1
	ds_load_b128 v[2:5], v8
	ds_load_b128 v[23:26], v8 offset:16
	ds_load_b128 v[27:30], v8 offset:32
	;; [unrolled: 1-line block ×3, first 2 shown]
	ds_load_2addr_b64 v[35:38], v9 offset1:32
	s_waitcnt lgkmcnt(0)
	v_mul_f32_e32 v39, v36, v3
	v_mul_f32_e32 v3, v35, v3
	s_delay_alu instid0(VALU_DEP_2) | instskip(NEXT) | instid1(VALU_DEP_2)
	v_fma_f32 v39, v35, v2, -v39
	v_fmac_f32_e32 v3, v36, v2
	v_mul_f32_e32 v35, v38, v5
	s_delay_alu instid0(VALU_DEP_3) | instskip(NEXT) | instid1(VALU_DEP_3)
	v_dual_mul_f32 v5, v37, v5 :: v_dual_add_f32 v2, 0, v39
	v_add_f32_e32 v3, 0, v3
	s_delay_alu instid0(VALU_DEP_3) | instskip(NEXT) | instid1(VALU_DEP_3)
	v_fma_f32 v35, v37, v4, -v35
	v_fmac_f32_e32 v5, v38, v4
	s_delay_alu instid0(VALU_DEP_1) | instskip(SKIP_3) | instid1(VALU_DEP_1)
	v_dual_add_f32 v35, v2, v35 :: v_dual_add_f32 v36, v3, v5
	ds_load_2addr_b64 v[2:5], v9 offset0:64 offset1:96
	s_waitcnt lgkmcnt(0)
	v_mul_f32_e32 v37, v3, v24
	v_fma_f32 v37, v2, v23, -v37
	v_mul_f32_e32 v2, v2, v24
	s_delay_alu instid0(VALU_DEP_1) | instskip(NEXT) | instid1(VALU_DEP_1)
	v_dual_fmac_f32 v2, v3, v23 :: v_dual_mul_f32 v23, v5, v26
	v_add_f32_e32 v2, v36, v2
	s_delay_alu instid0(VALU_DEP_2) | instskip(SKIP_1) | instid1(VALU_DEP_1)
	v_fma_f32 v23, v4, v25, -v23
	v_mul_f32_e32 v4, v4, v26
	v_fmac_f32_e32 v4, v5, v25
	s_delay_alu instid0(VALU_DEP_1) | instskip(NEXT) | instid1(VALU_DEP_1)
	v_dual_add_f32 v3, v35, v37 :: v_dual_add_f32 v24, v2, v4
	v_add_f32_e32 v23, v3, v23
	ds_load_2addr_b64 v[2:5], v9 offset0:128 offset1:160
	s_waitcnt lgkmcnt(0)
	v_mul_f32_e32 v25, v3, v28
	s_delay_alu instid0(VALU_DEP_1) | instskip(SKIP_1) | instid1(VALU_DEP_1)
	v_fma_f32 v25, v2, v27, -v25
	v_mul_f32_e32 v2, v2, v28
	v_fmac_f32_e32 v2, v3, v27
	s_delay_alu instid0(VALU_DEP_1) | instskip(SKIP_1) | instid1(VALU_DEP_1)
	v_dual_add_f32 v2, v24, v2 :: v_dual_add_f32 v3, v23, v25
	v_mul_f32_e32 v23, v5, v30
	v_fma_f32 v23, v4, v29, -v23
	v_mul_f32_e32 v4, v4, v30
	s_delay_alu instid0(VALU_DEP_1) | instskip(NEXT) | instid1(VALU_DEP_1)
	v_fmac_f32_e32 v4, v5, v29
	v_dual_add_f32 v24, v2, v4 :: v_dual_add_f32 v23, v3, v23
	ds_load_2addr_b64 v[2:5], v9 offset0:192 offset1:224
	s_waitcnt lgkmcnt(0)
	v_mul_f32_e32 v25, v3, v32
	s_delay_alu instid0(VALU_DEP_1) | instskip(SKIP_1) | instid1(VALU_DEP_1)
	v_fma_f32 v25, v2, v31, -v25
	v_mul_f32_e32 v2, v2, v32
	v_fmac_f32_e32 v2, v3, v31
	s_delay_alu instid0(VALU_DEP_1) | instskip(SKIP_1) | instid1(VALU_DEP_1)
	v_dual_add_f32 v2, v24, v2 :: v_dual_add_f32 v3, v23, v25
	v_mul_f32_e32 v23, v5, v34
	v_fma_f32 v23, v4, v33, -v23
	v_mul_f32_e32 v4, v4, v34
	s_delay_alu instid0(VALU_DEP_1) | instskip(NEXT) | instid1(VALU_DEP_1)
	v_fmac_f32_e32 v4, v5, v33
	v_dual_add_f32 v28, v2, v4 :: v_dual_add_f32 v27, v3, v23
	ds_load_b128 v[2:5], v8 offset:64
	ds_load_2addr_b64 v[23:26], v20 offset1:32
	s_waitcnt lgkmcnt(0)
	v_mul_f32_e32 v29, v24, v3
	v_mul_f32_e32 v3, v23, v3
	s_delay_alu instid0(VALU_DEP_2) | instskip(SKIP_1) | instid1(VALU_DEP_3)
	v_fma_f32 v29, v23, v2, -v29
	v_mul_f32_e32 v23, v26, v5
	v_fmac_f32_e32 v3, v24, v2
	v_mul_f32_e32 v5, v25, v5
	s_delay_alu instid0(VALU_DEP_4) | instskip(NEXT) | instid1(VALU_DEP_4)
	v_add_f32_e32 v2, v27, v29
	v_fma_f32 v23, v25, v4, -v23
	s_delay_alu instid0(VALU_DEP_3) | instskip(NEXT) | instid1(VALU_DEP_2)
	v_fmac_f32_e32 v5, v26, v4
	v_add_f32_e32 v27, v2, v23
	v_add_f32_e32 v3, v28, v3
	s_delay_alu instid0(VALU_DEP_1)
	v_add_f32_e32 v28, v3, v5
	ds_load_b128 v[2:5], v8 offset:80
	ds_load_2addr_b64 v[23:26], v20 offset0:64 offset1:96
	s_waitcnt lgkmcnt(0)
	v_mul_f32_e32 v29, v24, v3
	v_mul_f32_e32 v3, v23, v3
	s_delay_alu instid0(VALU_DEP_2) | instskip(NEXT) | instid1(VALU_DEP_2)
	v_fma_f32 v29, v23, v2, -v29
	v_fmac_f32_e32 v3, v24, v2
	v_mul_f32_e32 v23, v26, v5
	v_mul_f32_e32 v5, v25, v5
	s_delay_alu instid0(VALU_DEP_3) | instskip(NEXT) | instid1(VALU_DEP_3)
	v_add_f32_e32 v3, v28, v3
	v_fma_f32 v23, v25, v4, -v23
	s_delay_alu instid0(VALU_DEP_3) | instskip(NEXT) | instid1(VALU_DEP_1)
	v_fmac_f32_e32 v5, v26, v4
	v_add_f32_e32 v28, v3, v5
	v_add_f32_e32 v2, v27, v29
	s_delay_alu instid0(VALU_DEP_1)
	v_add_f32_e32 v27, v2, v23
	ds_load_b128 v[2:5], v8 offset:96
	ds_load_2addr_b64 v[23:26], v20 offset0:128 offset1:160
	s_waitcnt lgkmcnt(0)
	v_mul_f32_e32 v29, v24, v3
	v_mul_f32_e32 v3, v23, v3
	s_delay_alu instid0(VALU_DEP_2) | instskip(NEXT) | instid1(VALU_DEP_2)
	v_fma_f32 v29, v23, v2, -v29
	v_fmac_f32_e32 v3, v24, v2
	v_mul_f32_e32 v23, v26, v5
	v_mul_f32_e32 v5, v25, v5
	s_delay_alu instid0(VALU_DEP_3) | instskip(NEXT) | instid1(VALU_DEP_3)
	v_dual_add_f32 v2, v27, v29 :: v_dual_add_f32 v3, v28, v3
	v_fma_f32 v23, v25, v4, -v23
	s_delay_alu instid0(VALU_DEP_3) | instskip(NEXT) | instid1(VALU_DEP_1)
	v_fmac_f32_e32 v5, v26, v4
	v_dual_add_f32 v27, v2, v23 :: v_dual_add_f32 v28, v3, v5
	ds_load_b128 v[2:5], v8 offset:112
	ds_load_2addr_b64 v[23:26], v20 offset0:192 offset1:224
	s_waitcnt lgkmcnt(0)
	v_mul_f32_e32 v29, v24, v3
	v_mul_f32_e32 v3, v23, v3
	s_delay_alu instid0(VALU_DEP_2) | instskip(NEXT) | instid1(VALU_DEP_2)
	v_fma_f32 v29, v23, v2, -v29
	v_fmac_f32_e32 v3, v24, v2
	v_mul_f32_e32 v23, v26, v5
	v_mul_f32_e32 v5, v25, v5
	s_delay_alu instid0(VALU_DEP_3) | instskip(NEXT) | instid1(VALU_DEP_3)
	v_dual_add_f32 v2, v27, v29 :: v_dual_add_f32 v3, v28, v3
	v_fma_f32 v23, v25, v4, -v23
	s_delay_alu instid0(VALU_DEP_3) | instskip(NEXT) | instid1(VALU_DEP_1)
	v_fmac_f32_e32 v5, v26, v4
	v_dual_add_f32 v27, v2, v23 :: v_dual_add_f32 v28, v3, v5
	ds_load_b128 v[2:5], v8 offset:128
	ds_load_2addr_b64 v[23:26], v21 offset1:32
	s_waitcnt lgkmcnt(0)
	v_mul_f32_e32 v29, v24, v3
	v_mul_f32_e32 v3, v23, v3
	s_delay_alu instid0(VALU_DEP_2) | instskip(NEXT) | instid1(VALU_DEP_2)
	v_fma_f32 v29, v23, v2, -v29
	v_fmac_f32_e32 v3, v24, v2
	v_mul_f32_e32 v23, v26, v5
	v_mul_f32_e32 v5, v25, v5
	s_delay_alu instid0(VALU_DEP_3) | instskip(NEXT) | instid1(VALU_DEP_3)
	v_dual_add_f32 v2, v27, v29 :: v_dual_add_f32 v3, v28, v3
	v_fma_f32 v23, v25, v4, -v23
	s_delay_alu instid0(VALU_DEP_3) | instskip(NEXT) | instid1(VALU_DEP_1)
	v_fmac_f32_e32 v5, v26, v4
	v_dual_add_f32 v27, v2, v23 :: v_dual_add_f32 v28, v3, v5
	ds_load_b128 v[2:5], v8 offset:144
	ds_load_2addr_b64 v[23:26], v21 offset0:64 offset1:96
	s_waitcnt lgkmcnt(0)
	v_mul_f32_e32 v29, v24, v3
	v_mul_f32_e32 v3, v23, v3
	s_delay_alu instid0(VALU_DEP_2) | instskip(NEXT) | instid1(VALU_DEP_2)
	v_fma_f32 v29, v23, v2, -v29
	v_fmac_f32_e32 v3, v24, v2
	v_mul_f32_e32 v23, v26, v5
	v_mul_f32_e32 v5, v25, v5
	s_delay_alu instid0(VALU_DEP_3) | instskip(NEXT) | instid1(VALU_DEP_3)
	v_dual_add_f32 v2, v27, v29 :: v_dual_add_f32 v3, v28, v3
	v_fma_f32 v23, v25, v4, -v23
	s_delay_alu instid0(VALU_DEP_3) | instskip(NEXT) | instid1(VALU_DEP_1)
	v_fmac_f32_e32 v5, v26, v4
	v_dual_add_f32 v27, v2, v23 :: v_dual_add_f32 v28, v3, v5
	ds_load_b128 v[2:5], v8 offset:160
	ds_load_2addr_b64 v[23:26], v21 offset0:128 offset1:160
	;; [unrolled: 16-line block ×3, first 2 shown]
	s_waitcnt lgkmcnt(0)
	v_mul_f32_e32 v29, v24, v3
	v_mul_f32_e32 v3, v23, v3
	s_delay_alu instid0(VALU_DEP_2) | instskip(NEXT) | instid1(VALU_DEP_2)
	v_fma_f32 v29, v23, v2, -v29
	v_fmac_f32_e32 v3, v24, v2
	v_mul_f32_e32 v23, v26, v5
	v_mul_f32_e32 v5, v25, v5
	s_delay_alu instid0(VALU_DEP_3) | instskip(NEXT) | instid1(VALU_DEP_3)
	v_dual_add_f32 v2, v27, v29 :: v_dual_add_f32 v3, v28, v3
	v_fma_f32 v23, v25, v4, -v23
	s_delay_alu instid0(VALU_DEP_3) | instskip(NEXT) | instid1(VALU_DEP_1)
	v_fmac_f32_e32 v5, v26, v4
	v_dual_add_f32 v27, v2, v23 :: v_dual_add_f32 v28, v3, v5
	ds_load_b128 v[2:5], v8 offset:192
	ds_load_2addr_b64 v[23:26], v22 offset1:32
	s_waitcnt lgkmcnt(0)
	v_mul_f32_e32 v29, v24, v3
	v_mul_f32_e32 v3, v23, v3
	s_delay_alu instid0(VALU_DEP_2) | instskip(NEXT) | instid1(VALU_DEP_2)
	v_fma_f32 v29, v23, v2, -v29
	v_fmac_f32_e32 v3, v24, v2
	v_mul_f32_e32 v23, v26, v5
	v_mul_f32_e32 v5, v25, v5
	s_delay_alu instid0(VALU_DEP_3) | instskip(NEXT) | instid1(VALU_DEP_3)
	v_dual_add_f32 v2, v27, v29 :: v_dual_add_f32 v3, v28, v3
	v_fma_f32 v23, v25, v4, -v23
	s_delay_alu instid0(VALU_DEP_3) | instskip(NEXT) | instid1(VALU_DEP_1)
	v_fmac_f32_e32 v5, v26, v4
	v_dual_add_f32 v27, v2, v23 :: v_dual_add_f32 v28, v3, v5
	ds_load_b128 v[2:5], v8 offset:208
	ds_load_2addr_b64 v[23:26], v22 offset0:64 offset1:96
	s_waitcnt lgkmcnt(0)
	v_mul_f32_e32 v29, v24, v3
	v_mul_f32_e32 v3, v23, v3
	s_delay_alu instid0(VALU_DEP_2) | instskip(NEXT) | instid1(VALU_DEP_2)
	v_fma_f32 v29, v23, v2, -v29
	v_fmac_f32_e32 v3, v24, v2
	v_mul_f32_e32 v23, v26, v5
	v_mul_f32_e32 v5, v25, v5
	s_delay_alu instid0(VALU_DEP_3) | instskip(NEXT) | instid1(VALU_DEP_3)
	v_dual_add_f32 v2, v27, v29 :: v_dual_add_f32 v3, v28, v3
	v_fma_f32 v23, v25, v4, -v23
	s_delay_alu instid0(VALU_DEP_3) | instskip(NEXT) | instid1(VALU_DEP_1)
	v_fmac_f32_e32 v5, v26, v4
	v_dual_add_f32 v27, v2, v23 :: v_dual_add_f32 v28, v3, v5
	ds_load_b128 v[2:5], v8 offset:224
	ds_load_2addr_b64 v[23:26], v22 offset0:128 offset1:160
	;; [unrolled: 16-line block ×3, first 2 shown]
	s_waitcnt lgkmcnt(0)
	v_mul_f32_e32 v29, v24, v3
	v_mul_f32_e32 v3, v23, v3
	s_delay_alu instid0(VALU_DEP_2) | instskip(NEXT) | instid1(VALU_DEP_2)
	v_fma_f32 v29, v23, v2, -v29
	v_fmac_f32_e32 v3, v24, v2
	v_mul_f32_e32 v23, v26, v5
	v_mul_f32_e32 v5, v25, v5
	s_delay_alu instid0(VALU_DEP_3) | instskip(NEXT) | instid1(VALU_DEP_3)
	v_dual_add_f32 v2, v27, v29 :: v_dual_add_f32 v3, v28, v3
	v_fma_f32 v23, v25, v4, -v23
	s_delay_alu instid0(VALU_DEP_3) | instskip(NEXT) | instid1(VALU_DEP_1)
	v_fmac_f32_e32 v5, v26, v4
	v_dual_add_f32 v4, v2, v23 :: v_dual_add_f32 v3, v3, v5
	s_delay_alu instid0(VALU_DEP_1) | instskip(SKIP_1) | instid1(VALU_DEP_2)
	v_mul_f32_e32 v2, s9, v3
	v_mul_f32_e32 v3, s8, v3
	v_fma_f32 v2, s8, v4, -v2
	s_delay_alu instid0(VALU_DEP_2)
	v_fmac_f32_e32 v3, s9, v4
	global_load_b64 v[4:5], v[0:1], off
	s_waitcnt vmcnt(0)
	v_dual_add_f32 v2, v4, v2 :: v_dual_add_f32 v3, v5, v3
	global_store_b64 v[0:1], v[2:3], off
.LBB1867_11:                            ;   in Loop: Header=BB1867_5 Depth=1
	s_or_b32 exec_lo, exec_lo, s11
	v_dual_mov_b32 v3, 0 :: v_dual_mov_b32 v4, 0
	v_mov_b32_e32 v5, 0
	s_waitcnt_vscnt null, 0x0
	s_barrier
	buffer_gl0_inv
	s_and_saveexec_b32 s11, s7
	s_cbranch_execz .LBB1867_13
; %bb.12:                               ;   in Loop: Header=BB1867_5 Depth=1
	v_add_co_u32 v4, vcc_lo, v14, s2
	v_add_co_ci_u32_e32 v5, vcc_lo, s3, v15, vcc_lo
	global_load_b64 v[4:5], v[4:5], off
	s_waitcnt vmcnt(0)
	v_xor_b32_e32 v5, 0x80000000, v5
.LBB1867_13:                            ;   in Loop: Header=BB1867_5 Depth=1
	s_or_b32 exec_lo, exec_lo, s11
	v_mov_b32_e32 v2, 0
	ds_store_b64 v10, v[4:5]
	s_and_saveexec_b32 s7, s10
	s_cbranch_execz .LBB1867_15
; %bb.14:                               ;   in Loop: Header=BB1867_5 Depth=1
	v_add_co_u32 v2, vcc_lo, v16, s2
	v_add_co_ci_u32_e32 v3, vcc_lo, s3, v17, vcc_lo
	global_load_b64 v[2:3], v[2:3], off offset:-4
.LBB1867_15:                            ;   in Loop: Header=BB1867_5 Depth=1
	s_or_b32 exec_lo, exec_lo, s7
	s_waitcnt vmcnt(0)
	ds_store_b64 v11, v[2:3]
	s_waitcnt lgkmcnt(0)
	s_barrier
	buffer_gl0_inv
	s_and_saveexec_b32 s7, s6
	s_cbranch_execz .LBB1867_4
; %bb.16:                               ;   in Loop: Header=BB1867_5 Depth=1
	ds_load_b128 v[2:5], v8
	ds_load_b128 v[23:26], v8 offset:16
	ds_load_b128 v[27:30], v8 offset:32
	;; [unrolled: 1-line block ×3, first 2 shown]
	ds_load_2addr_b64 v[35:38], v9 offset1:32
	s_waitcnt lgkmcnt(0)
	v_mul_f32_e32 v39, v36, v3
	v_mul_f32_e32 v3, v35, v3
	s_delay_alu instid0(VALU_DEP_2) | instskip(NEXT) | instid1(VALU_DEP_2)
	v_fma_f32 v39, v35, v2, -v39
	v_fmac_f32_e32 v3, v36, v2
	v_mul_f32_e32 v35, v38, v5
	s_delay_alu instid0(VALU_DEP_3) | instskip(NEXT) | instid1(VALU_DEP_3)
	v_dual_mul_f32 v5, v37, v5 :: v_dual_add_f32 v2, 0, v39
	v_add_f32_e32 v3, 0, v3
	s_delay_alu instid0(VALU_DEP_3) | instskip(NEXT) | instid1(VALU_DEP_3)
	v_fma_f32 v35, v37, v4, -v35
	v_fmac_f32_e32 v5, v38, v4
	s_delay_alu instid0(VALU_DEP_1) | instskip(SKIP_3) | instid1(VALU_DEP_1)
	v_dual_add_f32 v35, v2, v35 :: v_dual_add_f32 v36, v3, v5
	ds_load_2addr_b64 v[2:5], v9 offset0:64 offset1:96
	s_waitcnt lgkmcnt(0)
	v_mul_f32_e32 v37, v3, v24
	v_fma_f32 v37, v2, v23, -v37
	v_mul_f32_e32 v2, v2, v24
	s_delay_alu instid0(VALU_DEP_1) | instskip(NEXT) | instid1(VALU_DEP_1)
	v_dual_fmac_f32 v2, v3, v23 :: v_dual_mul_f32 v23, v5, v26
	v_add_f32_e32 v2, v36, v2
	s_delay_alu instid0(VALU_DEP_2) | instskip(SKIP_1) | instid1(VALU_DEP_1)
	v_fma_f32 v23, v4, v25, -v23
	v_mul_f32_e32 v4, v4, v26
	v_fmac_f32_e32 v4, v5, v25
	s_delay_alu instid0(VALU_DEP_1) | instskip(NEXT) | instid1(VALU_DEP_1)
	v_dual_add_f32 v3, v35, v37 :: v_dual_add_f32 v24, v2, v4
	v_add_f32_e32 v23, v3, v23
	ds_load_2addr_b64 v[2:5], v9 offset0:128 offset1:160
	s_waitcnt lgkmcnt(0)
	v_mul_f32_e32 v25, v3, v28
	s_delay_alu instid0(VALU_DEP_1) | instskip(SKIP_1) | instid1(VALU_DEP_1)
	v_fma_f32 v25, v2, v27, -v25
	v_mul_f32_e32 v2, v2, v28
	v_fmac_f32_e32 v2, v3, v27
	s_delay_alu instid0(VALU_DEP_1) | instskip(SKIP_1) | instid1(VALU_DEP_1)
	v_dual_add_f32 v2, v24, v2 :: v_dual_add_f32 v3, v23, v25
	v_mul_f32_e32 v23, v5, v30
	v_fma_f32 v23, v4, v29, -v23
	v_mul_f32_e32 v4, v4, v30
	s_delay_alu instid0(VALU_DEP_1) | instskip(NEXT) | instid1(VALU_DEP_1)
	v_fmac_f32_e32 v4, v5, v29
	v_dual_add_f32 v24, v2, v4 :: v_dual_add_f32 v23, v3, v23
	ds_load_2addr_b64 v[2:5], v9 offset0:192 offset1:224
	s_waitcnt lgkmcnt(0)
	v_mul_f32_e32 v25, v3, v32
	s_delay_alu instid0(VALU_DEP_1) | instskip(SKIP_1) | instid1(VALU_DEP_1)
	v_fma_f32 v25, v2, v31, -v25
	v_mul_f32_e32 v2, v2, v32
	v_fmac_f32_e32 v2, v3, v31
	s_delay_alu instid0(VALU_DEP_1) | instskip(SKIP_1) | instid1(VALU_DEP_1)
	v_dual_add_f32 v2, v24, v2 :: v_dual_add_f32 v3, v23, v25
	v_mul_f32_e32 v23, v5, v34
	v_fma_f32 v23, v4, v33, -v23
	v_mul_f32_e32 v4, v4, v34
	s_delay_alu instid0(VALU_DEP_1) | instskip(NEXT) | instid1(VALU_DEP_1)
	v_fmac_f32_e32 v4, v5, v33
	v_dual_add_f32 v28, v2, v4 :: v_dual_add_f32 v27, v3, v23
	ds_load_b128 v[2:5], v8 offset:64
	ds_load_2addr_b64 v[23:26], v20 offset1:32
	s_waitcnt lgkmcnt(0)
	v_mul_f32_e32 v29, v24, v3
	v_mul_f32_e32 v3, v23, v3
	s_delay_alu instid0(VALU_DEP_2) | instskip(SKIP_1) | instid1(VALU_DEP_3)
	v_fma_f32 v29, v23, v2, -v29
	v_mul_f32_e32 v23, v26, v5
	v_fmac_f32_e32 v3, v24, v2
	v_mul_f32_e32 v5, v25, v5
	s_delay_alu instid0(VALU_DEP_4) | instskip(NEXT) | instid1(VALU_DEP_4)
	v_add_f32_e32 v2, v27, v29
	v_fma_f32 v23, v25, v4, -v23
	s_delay_alu instid0(VALU_DEP_3) | instskip(NEXT) | instid1(VALU_DEP_2)
	v_fmac_f32_e32 v5, v26, v4
	v_add_f32_e32 v27, v2, v23
	v_add_f32_e32 v3, v28, v3
	s_delay_alu instid0(VALU_DEP_1)
	v_add_f32_e32 v28, v3, v5
	ds_load_b128 v[2:5], v8 offset:80
	ds_load_2addr_b64 v[23:26], v20 offset0:64 offset1:96
	s_waitcnt lgkmcnt(0)
	v_mul_f32_e32 v29, v24, v3
	v_mul_f32_e32 v3, v23, v3
	s_delay_alu instid0(VALU_DEP_2) | instskip(NEXT) | instid1(VALU_DEP_2)
	v_fma_f32 v29, v23, v2, -v29
	v_fmac_f32_e32 v3, v24, v2
	v_mul_f32_e32 v23, v26, v5
	v_mul_f32_e32 v5, v25, v5
	s_delay_alu instid0(VALU_DEP_3) | instskip(NEXT) | instid1(VALU_DEP_3)
	v_add_f32_e32 v3, v28, v3
	v_fma_f32 v23, v25, v4, -v23
	s_delay_alu instid0(VALU_DEP_3) | instskip(NEXT) | instid1(VALU_DEP_1)
	v_fmac_f32_e32 v5, v26, v4
	v_add_f32_e32 v28, v3, v5
	v_add_f32_e32 v2, v27, v29
	s_delay_alu instid0(VALU_DEP_1)
	v_add_f32_e32 v27, v2, v23
	ds_load_b128 v[2:5], v8 offset:96
	ds_load_2addr_b64 v[23:26], v20 offset0:128 offset1:160
	s_waitcnt lgkmcnt(0)
	v_mul_f32_e32 v29, v24, v3
	v_mul_f32_e32 v3, v23, v3
	s_delay_alu instid0(VALU_DEP_2) | instskip(NEXT) | instid1(VALU_DEP_2)
	v_fma_f32 v29, v23, v2, -v29
	v_fmac_f32_e32 v3, v24, v2
	v_mul_f32_e32 v23, v26, v5
	v_mul_f32_e32 v5, v25, v5
	s_delay_alu instid0(VALU_DEP_3) | instskip(NEXT) | instid1(VALU_DEP_3)
	v_dual_add_f32 v2, v27, v29 :: v_dual_add_f32 v3, v28, v3
	v_fma_f32 v23, v25, v4, -v23
	s_delay_alu instid0(VALU_DEP_3) | instskip(NEXT) | instid1(VALU_DEP_1)
	v_fmac_f32_e32 v5, v26, v4
	v_dual_add_f32 v27, v2, v23 :: v_dual_add_f32 v28, v3, v5
	ds_load_b128 v[2:5], v8 offset:112
	ds_load_2addr_b64 v[23:26], v20 offset0:192 offset1:224
	s_waitcnt lgkmcnt(0)
	v_mul_f32_e32 v29, v24, v3
	v_mul_f32_e32 v3, v23, v3
	s_delay_alu instid0(VALU_DEP_2) | instskip(NEXT) | instid1(VALU_DEP_2)
	v_fma_f32 v29, v23, v2, -v29
	v_fmac_f32_e32 v3, v24, v2
	v_mul_f32_e32 v23, v26, v5
	v_mul_f32_e32 v5, v25, v5
	s_delay_alu instid0(VALU_DEP_3) | instskip(NEXT) | instid1(VALU_DEP_3)
	v_dual_add_f32 v2, v27, v29 :: v_dual_add_f32 v3, v28, v3
	v_fma_f32 v23, v25, v4, -v23
	s_delay_alu instid0(VALU_DEP_3) | instskip(NEXT) | instid1(VALU_DEP_1)
	v_fmac_f32_e32 v5, v26, v4
	v_dual_add_f32 v27, v2, v23 :: v_dual_add_f32 v28, v3, v5
	ds_load_b128 v[2:5], v8 offset:128
	ds_load_2addr_b64 v[23:26], v21 offset1:32
	s_waitcnt lgkmcnt(0)
	v_mul_f32_e32 v29, v24, v3
	v_mul_f32_e32 v3, v23, v3
	s_delay_alu instid0(VALU_DEP_2) | instskip(NEXT) | instid1(VALU_DEP_2)
	v_fma_f32 v29, v23, v2, -v29
	v_fmac_f32_e32 v3, v24, v2
	v_mul_f32_e32 v23, v26, v5
	v_mul_f32_e32 v5, v25, v5
	s_delay_alu instid0(VALU_DEP_3) | instskip(NEXT) | instid1(VALU_DEP_3)
	v_dual_add_f32 v2, v27, v29 :: v_dual_add_f32 v3, v28, v3
	v_fma_f32 v23, v25, v4, -v23
	s_delay_alu instid0(VALU_DEP_3) | instskip(NEXT) | instid1(VALU_DEP_1)
	v_fmac_f32_e32 v5, v26, v4
	v_dual_add_f32 v27, v2, v23 :: v_dual_add_f32 v28, v3, v5
	ds_load_b128 v[2:5], v8 offset:144
	ds_load_2addr_b64 v[23:26], v21 offset0:64 offset1:96
	s_waitcnt lgkmcnt(0)
	v_mul_f32_e32 v29, v24, v3
	v_mul_f32_e32 v3, v23, v3
	s_delay_alu instid0(VALU_DEP_2) | instskip(NEXT) | instid1(VALU_DEP_2)
	v_fma_f32 v29, v23, v2, -v29
	v_fmac_f32_e32 v3, v24, v2
	v_mul_f32_e32 v23, v26, v5
	v_mul_f32_e32 v5, v25, v5
	s_delay_alu instid0(VALU_DEP_3) | instskip(NEXT) | instid1(VALU_DEP_3)
	v_dual_add_f32 v2, v27, v29 :: v_dual_add_f32 v3, v28, v3
	v_fma_f32 v23, v25, v4, -v23
	s_delay_alu instid0(VALU_DEP_3) | instskip(NEXT) | instid1(VALU_DEP_1)
	v_fmac_f32_e32 v5, v26, v4
	v_dual_add_f32 v27, v2, v23 :: v_dual_add_f32 v28, v3, v5
	ds_load_b128 v[2:5], v8 offset:160
	ds_load_2addr_b64 v[23:26], v21 offset0:128 offset1:160
	;; [unrolled: 16-line block ×3, first 2 shown]
	s_waitcnt lgkmcnt(0)
	v_mul_f32_e32 v29, v24, v3
	v_mul_f32_e32 v3, v23, v3
	s_delay_alu instid0(VALU_DEP_2) | instskip(NEXT) | instid1(VALU_DEP_2)
	v_fma_f32 v29, v23, v2, -v29
	v_fmac_f32_e32 v3, v24, v2
	v_mul_f32_e32 v23, v26, v5
	v_mul_f32_e32 v5, v25, v5
	s_delay_alu instid0(VALU_DEP_3) | instskip(NEXT) | instid1(VALU_DEP_3)
	v_dual_add_f32 v2, v27, v29 :: v_dual_add_f32 v3, v28, v3
	v_fma_f32 v23, v25, v4, -v23
	s_delay_alu instid0(VALU_DEP_3) | instskip(NEXT) | instid1(VALU_DEP_1)
	v_fmac_f32_e32 v5, v26, v4
	v_dual_add_f32 v27, v2, v23 :: v_dual_add_f32 v28, v3, v5
	ds_load_b128 v[2:5], v8 offset:192
	ds_load_2addr_b64 v[23:26], v22 offset1:32
	s_waitcnt lgkmcnt(0)
	v_mul_f32_e32 v29, v24, v3
	v_mul_f32_e32 v3, v23, v3
	s_delay_alu instid0(VALU_DEP_2) | instskip(NEXT) | instid1(VALU_DEP_2)
	v_fma_f32 v29, v23, v2, -v29
	v_fmac_f32_e32 v3, v24, v2
	v_mul_f32_e32 v23, v26, v5
	v_mul_f32_e32 v5, v25, v5
	s_delay_alu instid0(VALU_DEP_3) | instskip(NEXT) | instid1(VALU_DEP_3)
	v_dual_add_f32 v2, v27, v29 :: v_dual_add_f32 v3, v28, v3
	v_fma_f32 v23, v25, v4, -v23
	s_delay_alu instid0(VALU_DEP_3) | instskip(NEXT) | instid1(VALU_DEP_1)
	v_fmac_f32_e32 v5, v26, v4
	v_dual_add_f32 v27, v2, v23 :: v_dual_add_f32 v28, v3, v5
	ds_load_b128 v[2:5], v8 offset:208
	ds_load_2addr_b64 v[23:26], v22 offset0:64 offset1:96
	s_waitcnt lgkmcnt(0)
	v_mul_f32_e32 v29, v24, v3
	v_mul_f32_e32 v3, v23, v3
	s_delay_alu instid0(VALU_DEP_2) | instskip(NEXT) | instid1(VALU_DEP_2)
	v_fma_f32 v29, v23, v2, -v29
	v_fmac_f32_e32 v3, v24, v2
	v_mul_f32_e32 v23, v26, v5
	v_mul_f32_e32 v5, v25, v5
	s_delay_alu instid0(VALU_DEP_3) | instskip(NEXT) | instid1(VALU_DEP_3)
	v_dual_add_f32 v2, v27, v29 :: v_dual_add_f32 v3, v28, v3
	v_fma_f32 v23, v25, v4, -v23
	s_delay_alu instid0(VALU_DEP_3) | instskip(NEXT) | instid1(VALU_DEP_1)
	v_fmac_f32_e32 v5, v26, v4
	v_dual_add_f32 v27, v2, v23 :: v_dual_add_f32 v28, v3, v5
	ds_load_b128 v[2:5], v8 offset:224
	ds_load_2addr_b64 v[23:26], v22 offset0:128 offset1:160
	;; [unrolled: 16-line block ×3, first 2 shown]
	s_waitcnt lgkmcnt(0)
	v_mul_f32_e32 v29, v24, v3
	v_mul_f32_e32 v3, v23, v3
	s_delay_alu instid0(VALU_DEP_2) | instskip(SKIP_1) | instid1(VALU_DEP_3)
	v_fma_f32 v29, v23, v2, -v29
	v_mul_f32_e32 v23, v26, v5
	v_fmac_f32_e32 v3, v24, v2
	v_mul_f32_e32 v5, v25, v5
	s_delay_alu instid0(VALU_DEP_4) | instskip(NEXT) | instid1(VALU_DEP_4)
	v_add_f32_e32 v2, v27, v29
	v_fma_f32 v23, v25, v4, -v23
	s_delay_alu instid0(VALU_DEP_4) | instskip(NEXT) | instid1(VALU_DEP_4)
	v_add_f32_e32 v3, v28, v3
	v_fmac_f32_e32 v5, v26, v4
	s_delay_alu instid0(VALU_DEP_1) | instskip(NEXT) | instid1(VALU_DEP_1)
	v_dual_add_f32 v4, v2, v23 :: v_dual_add_f32 v3, v3, v5
	v_mul_f32_e32 v2, s8, v4
	v_mul_f32_e32 v4, s9, v4
	s_delay_alu instid0(VALU_DEP_2) | instskip(NEXT) | instid1(VALU_DEP_2)
	v_fmac_f32_e32 v2, s9, v3
	v_fma_f32 v3, s8, v3, -v4
	global_load_b64 v[4:5], v[0:1], off
	s_waitcnt vmcnt(0)
	v_dual_add_f32 v2, v4, v2 :: v_dual_add_f32 v3, v5, v3
	global_store_b64 v[0:1], v[2:3], off
	s_branch .LBB1867_4
.LBB1867_17:
	s_endpgm
	.section	.rodata,"a",@progbits
	.p2align	6, 0x0
	.amdhsa_kernel _ZL26rocblas_syr2k_her2k_kernelIlLb1ELb1ELb1ELi32EPK19rocblas_complex_numIfES3_PS1_EvbiT_T4_T5_S5_lS7_S5_lT6_S5_li
		.amdhsa_group_segment_fixed_size 16384
		.amdhsa_private_segment_fixed_size 0
		.amdhsa_kernarg_size 100
		.amdhsa_user_sgpr_count 13
		.amdhsa_user_sgpr_dispatch_ptr 0
		.amdhsa_user_sgpr_queue_ptr 0
		.amdhsa_user_sgpr_kernarg_segment_ptr 1
		.amdhsa_user_sgpr_dispatch_id 0
		.amdhsa_user_sgpr_private_segment_size 0
		.amdhsa_wavefront_size32 1
		.amdhsa_uses_dynamic_stack 0
		.amdhsa_enable_private_segment 0
		.amdhsa_system_sgpr_workgroup_id_x 1
		.amdhsa_system_sgpr_workgroup_id_y 1
		.amdhsa_system_sgpr_workgroup_id_z 1
		.amdhsa_system_sgpr_workgroup_info 0
		.amdhsa_system_vgpr_workitem_id 1
		.amdhsa_next_free_vgpr 40
		.amdhsa_next_free_sgpr 32
		.amdhsa_reserve_vcc 1
		.amdhsa_float_round_mode_32 0
		.amdhsa_float_round_mode_16_64 0
		.amdhsa_float_denorm_mode_32 3
		.amdhsa_float_denorm_mode_16_64 3
		.amdhsa_dx10_clamp 1
		.amdhsa_ieee_mode 1
		.amdhsa_fp16_overflow 0
		.amdhsa_workgroup_processor_mode 1
		.amdhsa_memory_ordered 1
		.amdhsa_forward_progress 0
		.amdhsa_shared_vgpr_count 0
		.amdhsa_exception_fp_ieee_invalid_op 0
		.amdhsa_exception_fp_denorm_src 0
		.amdhsa_exception_fp_ieee_div_zero 0
		.amdhsa_exception_fp_ieee_overflow 0
		.amdhsa_exception_fp_ieee_underflow 0
		.amdhsa_exception_fp_ieee_inexact 0
		.amdhsa_exception_int_div_zero 0
	.end_amdhsa_kernel
	.section	.text._ZL26rocblas_syr2k_her2k_kernelIlLb1ELb1ELb1ELi32EPK19rocblas_complex_numIfES3_PS1_EvbiT_T4_T5_S5_lS7_S5_lT6_S5_li,"axG",@progbits,_ZL26rocblas_syr2k_her2k_kernelIlLb1ELb1ELb1ELi32EPK19rocblas_complex_numIfES3_PS1_EvbiT_T4_T5_S5_lS7_S5_lT6_S5_li,comdat
.Lfunc_end1867:
	.size	_ZL26rocblas_syr2k_her2k_kernelIlLb1ELb1ELb1ELi32EPK19rocblas_complex_numIfES3_PS1_EvbiT_T4_T5_S5_lS7_S5_lT6_S5_li, .Lfunc_end1867-_ZL26rocblas_syr2k_her2k_kernelIlLb1ELb1ELb1ELi32EPK19rocblas_complex_numIfES3_PS1_EvbiT_T4_T5_S5_lS7_S5_lT6_S5_li
                                        ; -- End function
	.section	.AMDGPU.csdata,"",@progbits
; Kernel info:
; codeLenInByte = 4264
; NumSgprs: 34
; NumVgprs: 40
; ScratchSize: 0
; MemoryBound: 0
; FloatMode: 240
; IeeeMode: 1
; LDSByteSize: 16384 bytes/workgroup (compile time only)
; SGPRBlocks: 4
; VGPRBlocks: 4
; NumSGPRsForWavesPerEU: 34
; NumVGPRsForWavesPerEU: 40
; Occupancy: 16
; WaveLimiterHint : 0
; COMPUTE_PGM_RSRC2:SCRATCH_EN: 0
; COMPUTE_PGM_RSRC2:USER_SGPR: 13
; COMPUTE_PGM_RSRC2:TRAP_HANDLER: 0
; COMPUTE_PGM_RSRC2:TGID_X_EN: 1
; COMPUTE_PGM_RSRC2:TGID_Y_EN: 1
; COMPUTE_PGM_RSRC2:TGID_Z_EN: 1
; COMPUTE_PGM_RSRC2:TIDIG_COMP_CNT: 1
	.section	.text._ZL26rocblas_syr2k_her2k_kernelIlLb1ELb1ELb0ELi32E19rocblas_complex_numIdEPKS1_PS1_EvbiT_T4_T5_S5_lS7_S5_lT6_S5_li,"axG",@progbits,_ZL26rocblas_syr2k_her2k_kernelIlLb1ELb1ELb0ELi32E19rocblas_complex_numIdEPKS1_PS1_EvbiT_T4_T5_S5_lS7_S5_lT6_S5_li,comdat
	.globl	_ZL26rocblas_syr2k_her2k_kernelIlLb1ELb1ELb0ELi32E19rocblas_complex_numIdEPKS1_PS1_EvbiT_T4_T5_S5_lS7_S5_lT6_S5_li ; -- Begin function _ZL26rocblas_syr2k_her2k_kernelIlLb1ELb1ELb0ELi32E19rocblas_complex_numIdEPKS1_PS1_EvbiT_T4_T5_S5_lS7_S5_lT6_S5_li
	.p2align	8
	.type	_ZL26rocblas_syr2k_her2k_kernelIlLb1ELb1ELb0ELi32E19rocblas_complex_numIdEPKS1_PS1_EvbiT_T4_T5_S5_lS7_S5_lT6_S5_li,@function
_ZL26rocblas_syr2k_her2k_kernelIlLb1ELb1ELb0ELi32E19rocblas_complex_numIdEPKS1_PS1_EvbiT_T4_T5_S5_lS7_S5_lT6_S5_li: ; @_ZL26rocblas_syr2k_her2k_kernelIlLb1ELb1ELb0ELi32E19rocblas_complex_numIdEPKS1_PS1_EvbiT_T4_T5_S5_lS7_S5_lT6_S5_li
; %bb.0:
	s_load_b512 s[16:31], s[0:1], 0x8
	s_waitcnt lgkmcnt(0)
	v_cmp_eq_f64_e64 s2, s[18:19], 0
	v_cmp_eq_f64_e64 s3, s[20:21], 0
	s_delay_alu instid0(VALU_DEP_1) | instskip(NEXT) | instid1(SALU_CYCLE_1)
	s_and_b32 s2, s2, s3
	s_and_b32 vcc_lo, exec_lo, s2
	s_cbranch_vccnz .LBB1868_17
; %bb.1:
	s_load_b64 s[2:3], s[0:1], 0x0
	s_lshl_b32 s12, s14, 5
	s_lshl_b32 s13, s13, 5
	s_waitcnt lgkmcnt(0)
	s_and_b32 s2, 1, s2
	s_delay_alu instid0(SALU_CYCLE_1) | instskip(SKIP_1) | instid1(SALU_CYCLE_1)
	s_cmp_eq_u32 s2, 1
	s_cselect_b32 s2, -1, 0
	s_and_b32 s4, s2, exec_lo
	s_cselect_b32 s4, s13, s12
	s_cselect_b32 s5, s12, s13
	s_delay_alu instid0(SALU_CYCLE_1)
	s_cmp_gt_i32 s4, s5
	s_cbranch_scc1 .LBB1868_17
; %bb.2:
	v_cmp_lt_i64_e64 s4, s[16:17], 1
	s_delay_alu instid0(VALU_DEP_1)
	s_and_b32 vcc_lo, exec_lo, s4
	s_cbranch_vccnz .LBB1868_17
; %bb.3:
	s_load_b256 s[4:11], s[0:1], 0x48
	v_bfe_u32 v10, v0, 10, 10
	v_mov_b32_e32 v1, 0
	v_and_b32_e32 v11, 0x3ff, v0
	s_mov_b32 s34, s3
	s_delay_alu instid0(VALU_DEP_2) | instskip(NEXT) | instid1(VALU_DEP_2)
	v_dual_mov_b32 v3, v1 :: v_dual_add_nc_u32 v2, s12, v10
	v_mad_u64_u32 v[4:5], null, s30, v11, 0
	v_add_nc_u32_e32 v0, s13, v11
	s_delay_alu instid0(VALU_DEP_3) | instskip(NEXT) | instid1(VALU_DEP_2)
	v_ashrrev_i32_e32 v6, 31, v2
	v_cndmask_b32_e64 v15, v0, v2, s2
	v_cndmask_b32_e64 v16, v2, v0, s2
	v_max_i32_e32 v17, v0, v2
	s_waitcnt lgkmcnt(0)
	v_mul_lo_u32 v18, v6, s8
	v_mad_u64_u32 v[6:7], null, v2, s8, 0
	v_mul_lo_u32 v19, v2, s9
	s_mul_i32 s1, s15, s5
	s_mul_hi_u32 s2, s15, s4
	s_mul_i32 s0, s15, s4
	s_add_i32 s1, s2, s1
	s_mul_i32 s5, s15, s11
	s_delay_alu instid0(VALU_DEP_2) | instskip(NEXT) | instid1(VALU_DEP_2)
	v_mad_u64_u32 v[8:9], null, s31, v11, v[5:6]
	v_add3_u32 v7, v7, v19, v18
	s_lshl_b64 s[0:1], s[0:1], 4
	v_lshlrev_b32_e32 v14, 4, v10
	s_mul_hi_u32 s2, s15, s10
	s_mul_i32 s4, s15, s10
	s_add_u32 s10, s28, s0
	s_delay_alu instid0(VALU_DEP_3)
	v_mov_b32_e32 v5, v8
	s_addc_u32 s11, s29, s1
	s_add_i32 s5, s2, s5
	v_mov_b32_e32 v8, v0
	v_lshlrev_b64 v[6:7], 4, v[6:7]
	v_mad_u64_u32 v[18:19], null, s30, v10, 0
	v_mad_u64_u32 v[20:21], null, s24, v11, 0
	v_cmp_gt_i32_e32 vcc_lo, s3, v17
	v_cmp_le_i32_e64 s2, v16, v15
	s_lshl_b64 s[0:1], s[4:5], 4
	v_lshlrev_b32_e32 v12, 9, v11
	v_or_b32_e32 v13, 0x4000, v14
	v_ashrrev_i32_e32 v9, 31, v0
	s_add_u32 s4, s6, s0
	s_addc_u32 s5, s7, s1
	s_and_b32 s8, s2, vcc_lo
	v_add_co_u32 v16, vcc_lo, s4, v6
	v_add_co_ci_u32_e32 v17, vcc_lo, s5, v7, vcc_lo
	v_lshlrev_b64 v[6:7], 4, v[8:9]
	v_mov_b32_e32 v9, v21
	v_dual_mov_b32 v8, v19 :: v_dual_add_nc_u32 v15, v13, v12
	s_ashr_i32 s35, s3, 31
	v_lshlrev_b64 v[4:5], 4, v[4:5]
	v_cmp_gt_i64_e64 s1, s[34:35], v[2:3]
	v_lshlrev_b64 v[2:3], 4, v[2:3]
	v_mad_u64_u32 v[21:22], null, s31, v10, v[8:9]
	v_mad_u64_u32 v[22:23], null, s25, v11, v[9:10]
	;; [unrolled: 1-line block ×3, first 2 shown]
	s_delay_alu instid0(VALU_DEP_4) | instskip(SKIP_1) | instid1(VALU_DEP_1)
	v_add_co_u32 v4, vcc_lo, v4, v2
	v_add_co_u32 v8, s2, v16, v6
	v_add_co_ci_u32_e64 v9, s2, v17, v7, s2
	s_delay_alu instid0(VALU_DEP_3) | instskip(SKIP_4) | instid1(VALU_DEP_4)
	v_or_b32_e32 v17, 8, v4
	v_mov_b32_e32 v4, v24
	v_dual_mov_b32 v19, v21 :: v_dual_add_nc_u32 v14, v12, v14
	v_add_co_ci_u32_e32 v16, vcc_lo, v5, v3, vcc_lo
	v_mov_b32_e32 v21, v22
	v_mad_u64_u32 v[5:6], null, s25, v10, v[4:5]
	v_cmp_gt_i64_e64 s0, s[34:35], v[0:1]
	v_lshlrev_b64 v[6:7], 4, v[18:19]
	v_lshlrev_b64 v[0:1], 4, v[0:1]
	v_lshlrev_b64 v[20:21], 4, v[20:21]
	s_mul_i32 s4, s27, s15
	s_mul_hi_u32 s5, s26, s15
	v_mov_b32_e32 v24, v5
	s_add_i32 s5, s5, s4
	v_add_co_u32 v18, vcc_lo, v6, v0
	v_add_co_ci_u32_e32 v19, vcc_lo, v7, v1, vcc_lo
	s_delay_alu instid0(VALU_DEP_3) | instskip(SKIP_4) | instid1(VALU_DEP_3)
	v_lshlrev_b64 v[4:5], 4, v[23:24]
	v_add_co_u32 v20, vcc_lo, v20, v2
	s_mul_i32 s4, s26, s15
	v_add_co_ci_u32_e32 v21, vcc_lo, v21, v3, vcc_lo
	s_lshl_b64 s[4:5], s[4:5], 4
	v_add_co_u32 v22, vcc_lo, v4, v0
	s_lshl_b64 s[2:3], s[30:31], 9
	s_add_u32 s4, s4, s22
	v_add_co_ci_u32_e32 v23, vcc_lo, v5, v1, vcc_lo
	s_addc_u32 s5, s5, s23
	s_add_u32 s9, s4, 8
	s_addc_u32 s12, s5, 0
	s_lshl_b64 s[4:5], s[24:25], 9
	s_mov_b64 s[6:7], 0
	s_branch .LBB1868_5
.LBB1868_4:                             ;   in Loop: Header=BB1868_5 Depth=1
	s_or_b32 exec_lo, exec_lo, s13
	s_add_u32 s6, s6, 32
	s_addc_u32 s7, s7, 0
	s_add_u32 s10, s10, s2
	v_cmp_lt_i64_e64 s13, s[6:7], s[16:17]
	s_addc_u32 s11, s11, s3
	s_add_u32 s9, s9, s4
	s_addc_u32 s12, s12, s5
	s_waitcnt_vscnt null, 0x0
	s_barrier
	s_and_b32 vcc_lo, exec_lo, s13
	buffer_gl0_inv
	s_cbranch_vccz .LBB1868_17
.LBB1868_5:                             ; =>This Inner Loop Header: Depth=1
	v_add_co_u32 v2, s13, v10, s6
	s_delay_alu instid0(VALU_DEP_1) | instskip(SKIP_2) | instid1(VALU_DEP_3)
	v_add_co_ci_u32_e64 v3, null, 0, s7, s13
	v_mov_b32_e32 v0, 0
	v_mov_b32_e32 v1, 0
	v_cmp_gt_i64_e32 vcc_lo, s[16:17], v[2:3]
	s_delay_alu instid0(VALU_DEP_2) | instskip(SKIP_2) | instid1(SALU_CYCLE_1)
	v_dual_mov_b32 v5, v1 :: v_dual_mov_b32 v4, v0
	v_dual_mov_b32 v7, v1 :: v_dual_mov_b32 v6, v0
	s_and_b32 s13, s0, vcc_lo
	s_and_saveexec_b32 s14, s13
	s_cbranch_execz .LBB1868_7
; %bb.6:                                ;   in Loop: Header=BB1868_5 Depth=1
	v_add_co_u32 v2, vcc_lo, s9, v22
	v_add_co_ci_u32_e32 v3, vcc_lo, s12, v23, vcc_lo
	global_load_b128 v[4:7], v[2:3], off offset:-8
.LBB1868_7:                             ;   in Loop: Header=BB1868_5 Depth=1
	s_or_b32 exec_lo, exec_lo, s14
	v_add_co_u32 v2, s14, v11, s6
	s_delay_alu instid0(VALU_DEP_1)
	v_add_co_ci_u32_e64 v3, null, 0, s7, s14
	s_waitcnt vmcnt(0)
	ds_store_b128 v14, v[4:7]
	v_cmp_gt_i64_e32 vcc_lo, s[16:17], v[2:3]
	v_dual_mov_b32 v3, v1 :: v_dual_mov_b32 v2, v0
	s_and_b32 s14, s1, vcc_lo
	s_delay_alu instid0(SALU_CYCLE_1)
	s_and_saveexec_b32 s15, s14
	s_cbranch_execz .LBB1868_9
; %bb.8:                                ;   in Loop: Header=BB1868_5 Depth=1
	v_add_co_u32 v0, vcc_lo, s10, v17
	v_add_co_ci_u32_e32 v1, vcc_lo, s11, v16, vcc_lo
	global_load_b128 v[0:3], v[0:1], off offset:-8
	s_waitcnt vmcnt(0)
	v_xor_b32_e32 v3, 0x80000000, v3
.LBB1868_9:                             ;   in Loop: Header=BB1868_5 Depth=1
	s_or_b32 exec_lo, exec_lo, s15
	ds_store_b128 v15, v[0:3]
	s_waitcnt lgkmcnt(0)
	s_barrier
	buffer_gl0_inv
	s_and_saveexec_b32 s15, s8
	s_cbranch_execz .LBB1868_11
; %bb.10:                               ;   in Loop: Header=BB1868_5 Depth=1
	ds_load_b128 v[0:3], v13
	ds_load_b128 v[4:7], v12
	ds_load_b128 v[24:27], v12 offset:16
	ds_load_b128 v[28:31], v13 offset:512
	s_waitcnt lgkmcnt(2)
	v_mul_f64 v[32:33], v[0:1], v[6:7]
	v_mul_f64 v[6:7], v[2:3], v[6:7]
	s_waitcnt lgkmcnt(0)
	v_mul_f64 v[48:49], v[28:29], v[26:27]
	v_mul_f64 v[26:27], v[30:31], v[26:27]
	s_delay_alu instid0(VALU_DEP_4)
	v_fma_f64 v[2:3], v[2:3], v[4:5], v[32:33]
	ds_load_b128 v[32:35], v13 offset:1024
	ds_load_b128 v[36:39], v12 offset:32
	;; [unrolled: 1-line block ×4, first 2 shown]
	v_fma_f64 v[0:1], v[0:1], v[4:5], -v[6:7]
	v_fma_f64 v[4:5], v[30:31], v[24:25], v[48:49]
	v_fma_f64 v[52:53], v[28:29], v[24:25], -v[26:27]
	s_waitcnt lgkmcnt(2)
	v_mul_f64 v[50:51], v[32:33], v[38:39]
	v_mul_f64 v[38:39], v[34:35], v[38:39]
	s_waitcnt lgkmcnt(0)
	v_mul_f64 v[48:49], v[44:45], v[42:43]
	v_mul_f64 v[42:43], v[46:47], v[42:43]
	v_add_f64 v[2:3], v[2:3], 0
	v_fma_f64 v[34:35], v[34:35], v[36:37], v[50:51]
	v_add_f64 v[50:51], v[0:1], 0
	v_fma_f64 v[32:33], v[32:33], v[36:37], -v[38:39]
	v_fma_f64 v[36:37], v[46:47], v[40:41], v[48:49]
	v_add_f64 v[54:55], v[2:3], v[4:5]
	ds_load_b128 v[0:3], v12 offset:64
	ds_load_b128 v[4:7], v13 offset:2048
	ds_load_b128 v[24:27], v13 offset:2560
	ds_load_b128 v[28:31], v12 offset:80
	s_waitcnt lgkmcnt(2)
	v_mul_f64 v[56:57], v[4:5], v[2:3]
	v_add_f64 v[38:39], v[50:51], v[52:53]
	v_mul_f64 v[2:3], v[6:7], v[2:3]
	s_waitcnt lgkmcnt(0)
	v_mul_f64 v[48:49], v[24:25], v[30:31]
	v_fma_f64 v[50:51], v[44:45], v[40:41], -v[42:43]
	v_mul_f64 v[30:31], v[26:27], v[30:31]
	v_add_f64 v[34:35], v[54:55], v[34:35]
	v_fma_f64 v[6:7], v[6:7], v[0:1], v[56:57]
	v_add_f64 v[52:53], v[38:39], v[32:33]
	v_fma_f64 v[0:1], v[4:5], v[0:1], -v[2:3]
	v_fma_f64 v[2:3], v[26:27], v[28:29], v[48:49]
	v_add_f64 v[54:55], v[34:35], v[36:37]
	ds_load_b128 v[32:35], v12 offset:96
	ds_load_b128 v[36:39], v13 offset:3072
	ds_load_b128 v[40:43], v13 offset:3584
	ds_load_b128 v[44:47], v12 offset:112
	s_waitcnt lgkmcnt(2)
	v_mul_f64 v[56:57], v[36:37], v[34:35]
	v_add_f64 v[4:5], v[52:53], v[50:51]
	v_mul_f64 v[34:35], v[38:39], v[34:35]
	s_waitcnt lgkmcnt(0)
	v_mul_f64 v[48:49], v[40:41], v[46:47]
	v_fma_f64 v[50:51], v[24:25], v[28:29], -v[30:31]
	;; [unrolled: 18-line block ×11, first 2 shown]
	v_mul_f64 v[30:31], v[26:27], v[30:31]
	v_add_f64 v[38:39], v[54:55], v[38:39]
	v_fma_f64 v[6:7], v[6:7], v[0:1], v[56:57]
	v_add_f64 v[52:53], v[36:37], v[32:33]
	v_fma_f64 v[0:1], v[4:5], v[0:1], -v[2:3]
	v_fma_f64 v[2:3], v[26:27], v[28:29], v[48:49]
	v_add_f64 v[54:55], v[38:39], v[34:35]
	ds_load_b128 v[32:35], v12 offset:416
	ds_load_b128 v[36:39], v13 offset:13312
	;; [unrolled: 1-line block ×4, first 2 shown]
	s_waitcnt lgkmcnt(2)
	v_mul_f64 v[56:57], v[36:37], v[34:35]
	v_add_f64 v[4:5], v[52:53], v[50:51]
	v_mul_f64 v[34:35], v[38:39], v[34:35]
	s_waitcnt lgkmcnt(0)
	v_mul_f64 v[52:53], v[40:41], v[46:47]
	v_mul_f64 v[46:47], v[42:43], v[46:47]
	v_add_f64 v[6:7], v[54:55], v[6:7]
	v_fma_f64 v[54:55], v[24:25], v[28:29], -v[30:31]
	v_fma_f64 v[38:39], v[38:39], v[32:33], v[56:57]
	v_add_f64 v[56:57], v[4:5], v[0:1]
	v_fma_f64 v[32:33], v[36:37], v[32:33], -v[34:35]
	v_fma_f64 v[34:35], v[42:43], v[44:45], v[52:53]
	v_add_f64 v[58:59], v[6:7], v[2:3]
	ds_load_b128 v[0:3], v12 offset:448
	ds_load_b128 v[4:7], v13 offset:14336
	global_load_b128 v[24:27], v[8:9], off
	ds_load_b128 v[28:31], v13 offset:14848
	ds_load_b128 v[48:51], v12 offset:464
	v_add_f64 v[36:37], v[56:57], v[54:55]
	s_waitcnt lgkmcnt(2)
	v_mul_f64 v[60:61], v[4:5], v[2:3]
	v_mul_f64 v[2:3], v[6:7], v[2:3]
	s_waitcnt lgkmcnt(0)
	v_mul_f64 v[52:53], v[28:29], v[50:51]
	v_fma_f64 v[54:55], v[40:41], v[44:45], -v[46:47]
	v_mul_f64 v[50:51], v[30:31], v[50:51]
	v_add_f64 v[38:39], v[58:59], v[38:39]
	v_add_f64 v[56:57], v[36:37], v[32:33]
	v_fma_f64 v[6:7], v[6:7], v[0:1], v[60:61]
	v_fma_f64 v[0:1], v[4:5], v[0:1], -v[2:3]
	v_fma_f64 v[2:3], v[30:31], v[48:49], v[52:53]
	v_fma_f64 v[28:29], v[28:29], v[48:49], -v[50:51]
	v_add_f64 v[58:59], v[38:39], v[34:35]
	ds_load_b128 v[32:35], v12 offset:480
	ds_load_b128 v[36:39], v13 offset:15360
	;; [unrolled: 1-line block ×4, first 2 shown]
	s_waitcnt lgkmcnt(2)
	v_mul_f64 v[60:61], v[36:37], v[34:35]
	v_add_f64 v[4:5], v[56:57], v[54:55]
	v_mul_f64 v[30:31], v[38:39], v[34:35]
	s_waitcnt lgkmcnt(0)
	v_mul_f64 v[34:35], v[40:41], v[46:47]
	v_add_f64 v[6:7], v[58:59], v[6:7]
	v_fma_f64 v[38:39], v[38:39], v[32:33], v[60:61]
	v_add_f64 v[0:1], v[4:5], v[0:1]
	v_mul_f64 v[4:5], v[42:43], v[46:47]
	s_delay_alu instid0(VALU_DEP_4)
	v_add_f64 v[2:3], v[6:7], v[2:3]
	v_fma_f64 v[6:7], v[36:37], v[32:33], -v[30:31]
	v_fma_f64 v[30:31], v[42:43], v[44:45], v[34:35]
	v_add_f64 v[0:1], v[0:1], v[28:29]
	v_fma_f64 v[4:5], v[40:41], v[44:45], -v[4:5]
	v_add_f64 v[2:3], v[2:3], v[38:39]
	s_delay_alu instid0(VALU_DEP_3) | instskip(NEXT) | instid1(VALU_DEP_2)
	v_add_f64 v[0:1], v[0:1], v[6:7]
	v_add_f64 v[2:3], v[2:3], v[30:31]
	s_delay_alu instid0(VALU_DEP_2) | instskip(NEXT) | instid1(VALU_DEP_2)
	v_add_f64 v[0:1], v[0:1], v[4:5]
	v_mul_f64 v[4:5], s[20:21], v[2:3]
	v_mul_f64 v[2:3], s[18:19], v[2:3]
	s_delay_alu instid0(VALU_DEP_2) | instskip(NEXT) | instid1(VALU_DEP_2)
	v_fma_f64 v[4:5], s[18:19], v[0:1], -v[4:5]
	v_fma_f64 v[2:3], s[20:21], v[0:1], v[2:3]
	s_waitcnt vmcnt(0)
	s_delay_alu instid0(VALU_DEP_2) | instskip(NEXT) | instid1(VALU_DEP_2)
	v_add_f64 v[0:1], v[24:25], v[4:5]
	v_add_f64 v[2:3], v[26:27], v[2:3]
	global_store_b128 v[8:9], v[0:3], off
.LBB1868_11:                            ;   in Loop: Header=BB1868_5 Depth=1
	s_or_b32 exec_lo, exec_lo, s15
	v_mov_b32_e32 v2, 0
	v_mov_b32_e32 v3, 0
	s_waitcnt_vscnt null, 0x0
	s_barrier
	buffer_gl0_inv
	v_dual_mov_b32 v7, v3 :: v_dual_mov_b32 v6, v2
	v_dual_mov_b32 v5, v3 :: v_dual_mov_b32 v4, v2
	s_and_saveexec_b32 s15, s13
	s_cbranch_execz .LBB1868_13
; %bb.12:                               ;   in Loop: Header=BB1868_5 Depth=1
	v_add_co_u32 v0, vcc_lo, s10, v18
	v_add_co_ci_u32_e32 v1, vcc_lo, s11, v19, vcc_lo
	global_load_b128 v[4:7], v[0:1], off
.LBB1868_13:                            ;   in Loop: Header=BB1868_5 Depth=1
	s_or_b32 exec_lo, exec_lo, s15
	v_dual_mov_b32 v0, v2 :: v_dual_mov_b32 v1, v3
	s_waitcnt vmcnt(0)
	ds_store_b128 v14, v[4:7]
	s_and_saveexec_b32 s13, s14
	s_cbranch_execz .LBB1868_15
; %bb.14:                               ;   in Loop: Header=BB1868_5 Depth=1
	v_add_co_u32 v0, vcc_lo, s9, v20
	v_add_co_ci_u32_e32 v1, vcc_lo, s12, v21, vcc_lo
	global_load_b128 v[0:3], v[0:1], off offset:-8
	s_waitcnt vmcnt(0)
	v_xor_b32_e32 v3, 0x80000000, v3
.LBB1868_15:                            ;   in Loop: Header=BB1868_5 Depth=1
	s_or_b32 exec_lo, exec_lo, s13
	ds_store_b128 v15, v[0:3]
	s_waitcnt lgkmcnt(0)
	s_barrier
	buffer_gl0_inv
	s_and_saveexec_b32 s13, s8
	s_cbranch_execz .LBB1868_4
; %bb.16:                               ;   in Loop: Header=BB1868_5 Depth=1
	ds_load_b128 v[0:3], v13
	ds_load_b128 v[4:7], v12
	ds_load_b128 v[24:27], v12 offset:16
	ds_load_b128 v[28:31], v13 offset:512
	s_waitcnt lgkmcnt(2)
	v_mul_f64 v[32:33], v[2:3], v[6:7]
	v_mul_f64 v[6:7], v[0:1], v[6:7]
	s_waitcnt lgkmcnt(0)
	v_mul_f64 v[48:49], v[30:31], v[26:27]
	v_mul_f64 v[26:27], v[28:29], v[26:27]
	s_delay_alu instid0(VALU_DEP_4)
	v_fma_f64 v[0:1], v[0:1], v[4:5], -v[32:33]
	ds_load_b128 v[32:35], v13 offset:1024
	ds_load_b128 v[36:39], v12 offset:32
	;; [unrolled: 1-line block ×4, first 2 shown]
	v_fma_f64 v[2:3], v[2:3], v[4:5], v[6:7]
	v_fma_f64 v[4:5], v[28:29], v[24:25], -v[48:49]
	v_fma_f64 v[52:53], v[30:31], v[24:25], v[26:27]
	s_waitcnt lgkmcnt(2)
	v_mul_f64 v[50:51], v[34:35], v[38:39]
	v_mul_f64 v[38:39], v[32:33], v[38:39]
	s_waitcnt lgkmcnt(0)
	v_mul_f64 v[48:49], v[46:47], v[42:43]
	v_mul_f64 v[42:43], v[44:45], v[42:43]
	v_add_f64 v[0:1], v[0:1], 0
	v_fma_f64 v[32:33], v[32:33], v[36:37], -v[50:51]
	v_add_f64 v[50:51], v[2:3], 0
	v_fma_f64 v[34:35], v[34:35], v[36:37], v[38:39]
	v_fma_f64 v[36:37], v[44:45], v[40:41], -v[48:49]
	v_fma_f64 v[46:47], v[46:47], v[40:41], v[42:43]
	v_add_f64 v[54:55], v[0:1], v[4:5]
	ds_load_b128 v[0:3], v12 offset:64
	ds_load_b128 v[4:7], v13 offset:2048
	;; [unrolled: 1-line block ×4, first 2 shown]
	s_waitcnt lgkmcnt(2)
	v_mul_f64 v[56:57], v[6:7], v[2:3]
	v_add_f64 v[38:39], v[50:51], v[52:53]
	v_mul_f64 v[44:45], v[4:5], v[2:3]
	s_waitcnt lgkmcnt(0)
	v_mul_f64 v[48:49], v[26:27], v[30:31]
	v_mul_f64 v[30:31], v[24:25], v[30:31]
	v_add_f64 v[32:33], v[54:55], v[32:33]
	v_fma_f64 v[50:51], v[4:5], v[0:1], -v[56:57]
	v_add_f64 v[52:53], v[38:39], v[34:35]
	v_fma_f64 v[0:1], v[6:7], v[0:1], v[44:45]
	v_fma_f64 v[6:7], v[24:25], v[28:29], -v[48:49]
	v_add_f64 v[54:55], v[32:33], v[36:37]
	ds_load_b128 v[2:5], v12 offset:96
	ds_load_b128 v[32:35], v13 offset:3072
	;; [unrolled: 1-line block ×4, first 2 shown]
	s_waitcnt lgkmcnt(2)
	v_mul_f64 v[56:57], v[34:35], v[4:5]
	v_add_f64 v[24:25], v[52:53], v[46:47]
	v_mul_f64 v[48:49], v[32:33], v[4:5]
	v_fma_f64 v[52:53], v[26:27], v[28:29], v[30:31]
	v_add_f64 v[44:45], v[54:55], v[50:51]
	s_waitcnt lgkmcnt(0)
	v_mul_f64 v[50:51], v[38:39], v[42:43]
	v_mul_f64 v[42:43], v[36:37], v[42:43]
	v_fma_f64 v[32:33], v[32:33], v[2:3], -v[56:57]
	v_add_f64 v[0:1], v[24:25], v[0:1]
	v_fma_f64 v[2:3], v[34:35], v[2:3], v[48:49]
	v_add_f64 v[54:55], v[44:45], v[6:7]
	ds_load_b128 v[4:7], v12 offset:128
	ds_load_b128 v[24:27], v13 offset:4096
	;; [unrolled: 1-line block ×4, first 2 shown]
	v_fma_f64 v[34:35], v[36:37], v[40:41], -v[50:51]
	v_fma_f64 v[50:51], v[38:39], v[40:41], v[42:43]
	s_waitcnt lgkmcnt(2)
	v_mul_f64 v[56:57], v[26:27], v[6:7]
	v_add_f64 v[0:1], v[0:1], v[52:53]
	v_mul_f64 v[6:7], v[24:25], v[6:7]
	s_waitcnt lgkmcnt(0)
	v_mul_f64 v[48:49], v[30:31], v[46:47]
	v_mul_f64 v[46:47], v[28:29], v[46:47]
	v_add_f64 v[32:33], v[54:55], v[32:33]
	v_fma_f64 v[24:25], v[24:25], v[4:5], -v[56:57]
	v_add_f64 v[52:53], v[0:1], v[2:3]
	v_fma_f64 v[4:5], v[26:27], v[4:5], v[6:7]
	v_fma_f64 v[6:7], v[28:29], v[44:45], -v[48:49]
	v_add_f64 v[54:55], v[32:33], v[34:35]
	ds_load_b128 v[0:3], v12 offset:160
	ds_load_b128 v[32:35], v13 offset:5120
	;; [unrolled: 1-line block ×4, first 2 shown]
	s_waitcnt lgkmcnt(2)
	v_mul_f64 v[56:57], v[34:35], v[2:3]
	v_add_f64 v[26:27], v[52:53], v[50:51]
	v_mul_f64 v[48:49], v[32:33], v[2:3]
	s_waitcnt lgkmcnt(0)
	v_mul_f64 v[50:51], v[38:39], v[42:43]
	v_fma_f64 v[52:53], v[30:31], v[44:45], v[46:47]
	v_mul_f64 v[42:43], v[36:37], v[42:43]
	v_add_f64 v[24:25], v[54:55], v[24:25]
	v_fma_f64 v[32:33], v[32:33], v[0:1], -v[56:57]
	v_add_f64 v[54:55], v[26:27], v[4:5]
	v_fma_f64 v[0:1], v[34:35], v[0:1], v[48:49]
	v_fma_f64 v[34:35], v[36:37], v[40:41], -v[50:51]
	v_add_f64 v[6:7], v[24:25], v[6:7]
	ds_load_b128 v[2:5], v12 offset:192
	ds_load_b128 v[24:27], v13 offset:6144
	;; [unrolled: 1-line block ×4, first 2 shown]
	s_waitcnt lgkmcnt(2)
	v_mul_f64 v[56:57], v[26:27], v[4:5]
	v_add_f64 v[36:37], v[54:55], v[52:53]
	v_mul_f64 v[48:49], v[24:25], v[4:5]
	s_waitcnt lgkmcnt(0)
	v_mul_f64 v[50:51], v[30:31], v[46:47]
	v_fma_f64 v[52:53], v[38:39], v[40:41], v[42:43]
	v_mul_f64 v[46:47], v[28:29], v[46:47]
	v_add_f64 v[6:7], v[6:7], v[32:33]
	v_fma_f64 v[24:25], v[24:25], v[2:3], -v[56:57]
	v_add_f64 v[0:1], v[36:37], v[0:1]
	v_fma_f64 v[2:3], v[26:27], v[2:3], v[48:49]
	v_fma_f64 v[26:27], v[28:29], v[44:45], -v[50:51]
	v_fma_f64 v[50:51], v[30:31], v[44:45], v[46:47]
	v_add_f64 v[54:55], v[6:7], v[34:35]
	ds_load_b128 v[4:7], v12 offset:224
	ds_load_b128 v[32:35], v13 offset:7168
	;; [unrolled: 1-line block ×4, first 2 shown]
	s_waitcnt lgkmcnt(2)
	v_mul_f64 v[56:57], v[34:35], v[6:7]
	v_add_f64 v[0:1], v[0:1], v[52:53]
	v_mul_f64 v[6:7], v[32:33], v[6:7]
	s_waitcnt lgkmcnt(0)
	v_mul_f64 v[48:49], v[38:39], v[42:43]
	v_mul_f64 v[42:43], v[36:37], v[42:43]
	v_add_f64 v[24:25], v[54:55], v[24:25]
	v_fma_f64 v[32:33], v[32:33], v[4:5], -v[56:57]
	v_add_f64 v[52:53], v[0:1], v[2:3]
	v_fma_f64 v[4:5], v[34:35], v[4:5], v[6:7]
	v_fma_f64 v[6:7], v[36:37], v[40:41], -v[48:49]
	v_add_f64 v[54:55], v[24:25], v[26:27]
	ds_load_b128 v[0:3], v12 offset:256
	ds_load_b128 v[24:27], v13 offset:8192
	;; [unrolled: 1-line block ×4, first 2 shown]
	s_waitcnt lgkmcnt(2)
	v_mul_f64 v[56:57], v[26:27], v[2:3]
	v_add_f64 v[34:35], v[52:53], v[50:51]
	v_mul_f64 v[48:49], v[24:25], v[2:3]
	s_waitcnt lgkmcnt(0)
	v_mul_f64 v[50:51], v[30:31], v[46:47]
	v_fma_f64 v[52:53], v[38:39], v[40:41], v[42:43]
	v_mul_f64 v[46:47], v[28:29], v[46:47]
	v_add_f64 v[32:33], v[54:55], v[32:33]
	v_fma_f64 v[24:25], v[24:25], v[0:1], -v[56:57]
	v_add_f64 v[54:55], v[34:35], v[4:5]
	v_fma_f64 v[0:1], v[26:27], v[0:1], v[48:49]
	v_fma_f64 v[26:27], v[28:29], v[44:45], -v[50:51]
	v_add_f64 v[6:7], v[32:33], v[6:7]
	ds_load_b128 v[2:5], v12 offset:288
	ds_load_b128 v[32:35], v13 offset:9216
	;; [unrolled: 1-line block ×4, first 2 shown]
	s_waitcnt lgkmcnt(2)
	v_mul_f64 v[56:57], v[34:35], v[4:5]
	v_add_f64 v[28:29], v[54:55], v[52:53]
	v_mul_f64 v[48:49], v[32:33], v[4:5]
	s_waitcnt lgkmcnt(0)
	v_mul_f64 v[50:51], v[38:39], v[42:43]
	v_fma_f64 v[52:53], v[30:31], v[44:45], v[46:47]
	v_mul_f64 v[42:43], v[36:37], v[42:43]
	v_add_f64 v[6:7], v[6:7], v[24:25]
	v_fma_f64 v[32:33], v[32:33], v[2:3], -v[56:57]
	v_add_f64 v[0:1], v[28:29], v[0:1]
	v_fma_f64 v[2:3], v[34:35], v[2:3], v[48:49]
	v_fma_f64 v[34:35], v[36:37], v[40:41], -v[50:51]
	v_fma_f64 v[50:51], v[38:39], v[40:41], v[42:43]
	v_add_f64 v[54:55], v[6:7], v[26:27]
	ds_load_b128 v[4:7], v12 offset:320
	ds_load_b128 v[24:27], v13 offset:10240
	;; [unrolled: 1-line block ×4, first 2 shown]
	s_waitcnt lgkmcnt(2)
	v_mul_f64 v[56:57], v[26:27], v[6:7]
	v_add_f64 v[0:1], v[0:1], v[52:53]
	v_mul_f64 v[6:7], v[24:25], v[6:7]
	s_waitcnt lgkmcnt(0)
	v_mul_f64 v[48:49], v[30:31], v[46:47]
	v_mul_f64 v[46:47], v[28:29], v[46:47]
	v_add_f64 v[32:33], v[54:55], v[32:33]
	v_fma_f64 v[24:25], v[24:25], v[4:5], -v[56:57]
	v_add_f64 v[52:53], v[0:1], v[2:3]
	v_fma_f64 v[4:5], v[26:27], v[4:5], v[6:7]
	v_fma_f64 v[6:7], v[28:29], v[44:45], -v[48:49]
	v_add_f64 v[54:55], v[32:33], v[34:35]
	ds_load_b128 v[0:3], v12 offset:352
	ds_load_b128 v[32:35], v13 offset:11264
	ds_load_b128 v[36:39], v13 offset:11776
	ds_load_b128 v[40:43], v12 offset:368
	s_waitcnt lgkmcnt(2)
	v_mul_f64 v[56:57], v[34:35], v[2:3]
	v_add_f64 v[26:27], v[52:53], v[50:51]
	v_mul_f64 v[48:49], v[32:33], v[2:3]
	s_waitcnt lgkmcnt(0)
	v_mul_f64 v[50:51], v[38:39], v[42:43]
	v_fma_f64 v[52:53], v[30:31], v[44:45], v[46:47]
	v_mul_f64 v[42:43], v[36:37], v[42:43]
	v_add_f64 v[24:25], v[54:55], v[24:25]
	v_fma_f64 v[32:33], v[32:33], v[0:1], -v[56:57]
	v_add_f64 v[54:55], v[26:27], v[4:5]
	v_fma_f64 v[0:1], v[34:35], v[0:1], v[48:49]
	v_fma_f64 v[34:35], v[36:37], v[40:41], -v[50:51]
	v_add_f64 v[6:7], v[24:25], v[6:7]
	ds_load_b128 v[2:5], v12 offset:384
	ds_load_b128 v[24:27], v13 offset:12288
	;; [unrolled: 1-line block ×4, first 2 shown]
	s_waitcnt lgkmcnt(2)
	v_mul_f64 v[56:57], v[26:27], v[4:5]
	v_add_f64 v[36:37], v[54:55], v[52:53]
	v_mul_f64 v[48:49], v[24:25], v[4:5]
	s_waitcnt lgkmcnt(0)
	v_mul_f64 v[50:51], v[30:31], v[46:47]
	v_fma_f64 v[52:53], v[38:39], v[40:41], v[42:43]
	v_mul_f64 v[46:47], v[28:29], v[46:47]
	v_add_f64 v[6:7], v[6:7], v[32:33]
	v_fma_f64 v[24:25], v[24:25], v[2:3], -v[56:57]
	v_add_f64 v[0:1], v[36:37], v[0:1]
	v_fma_f64 v[2:3], v[26:27], v[2:3], v[48:49]
	v_fma_f64 v[26:27], v[28:29], v[44:45], -v[50:51]
	v_add_f64 v[54:55], v[6:7], v[34:35]
	ds_load_b128 v[4:7], v12 offset:416
	ds_load_b128 v[32:35], v13 offset:13312
	;; [unrolled: 1-line block ×4, first 2 shown]
	s_waitcnt lgkmcnt(2)
	v_mul_f64 v[56:57], v[34:35], v[6:7]
	v_add_f64 v[0:1], v[0:1], v[52:53]
	v_mul_f64 v[6:7], v[32:33], v[6:7]
	s_waitcnt lgkmcnt(0)
	v_mul_f64 v[52:53], v[38:39], v[42:43]
	v_mul_f64 v[42:43], v[36:37], v[42:43]
	v_add_f64 v[24:25], v[54:55], v[24:25]
	v_fma_f64 v[54:55], v[30:31], v[44:45], v[46:47]
	v_fma_f64 v[32:33], v[32:33], v[4:5], -v[56:57]
	v_add_f64 v[56:57], v[0:1], v[2:3]
	v_fma_f64 v[4:5], v[34:35], v[4:5], v[6:7]
	v_fma_f64 v[6:7], v[36:37], v[40:41], -v[52:53]
	v_add_f64 v[58:59], v[24:25], v[26:27]
	ds_load_b128 v[0:3], v12 offset:448
	ds_load_b128 v[24:27], v13 offset:14336
	global_load_b128 v[28:31], v[8:9], off
	ds_load_b128 v[44:47], v13 offset:14848
	ds_load_b128 v[48:51], v12 offset:464
	v_add_f64 v[34:35], v[56:57], v[54:55]
	s_waitcnt lgkmcnt(2)
	v_mul_f64 v[60:61], v[26:27], v[2:3]
	v_mul_f64 v[52:53], v[24:25], v[2:3]
	s_waitcnt lgkmcnt(0)
	v_mul_f64 v[54:55], v[46:47], v[50:51]
	v_fma_f64 v[56:57], v[38:39], v[40:41], v[42:43]
	v_mul_f64 v[50:51], v[44:45], v[50:51]
	v_add_f64 v[32:33], v[58:59], v[32:33]
	v_add_f64 v[58:59], v[34:35], v[4:5]
	v_fma_f64 v[24:25], v[24:25], v[0:1], -v[60:61]
	v_fma_f64 v[0:1], v[26:27], v[0:1], v[52:53]
	v_fma_f64 v[26:27], v[44:45], v[48:49], -v[54:55]
	v_fma_f64 v[46:47], v[46:47], v[48:49], v[50:51]
	v_add_f64 v[6:7], v[32:33], v[6:7]
	ds_load_b128 v[2:5], v12 offset:480
	ds_load_b128 v[32:35], v13 offset:15360
	;; [unrolled: 1-line block ×4, first 2 shown]
	s_waitcnt lgkmcnt(2)
	v_mul_f64 v[60:61], v[34:35], v[4:5]
	v_add_f64 v[44:45], v[58:59], v[56:57]
	v_mul_f64 v[4:5], v[32:33], v[4:5]
	v_add_f64 v[6:7], v[6:7], v[24:25]
	s_waitcnt lgkmcnt(0)
	v_mul_f64 v[24:25], v[38:39], v[42:43]
	v_fma_f64 v[32:33], v[32:33], v[2:3], -v[60:61]
	v_add_f64 v[0:1], v[44:45], v[0:1]
	v_fma_f64 v[2:3], v[34:35], v[2:3], v[4:5]
	v_add_f64 v[6:7], v[6:7], v[26:27]
	v_mul_f64 v[26:27], v[36:37], v[42:43]
	v_fma_f64 v[4:5], v[36:37], v[40:41], -v[24:25]
	v_add_f64 v[0:1], v[0:1], v[46:47]
	s_delay_alu instid0(VALU_DEP_4) | instskip(NEXT) | instid1(VALU_DEP_4)
	v_add_f64 v[6:7], v[6:7], v[32:33]
	v_fma_f64 v[24:25], v[38:39], v[40:41], v[26:27]
	s_delay_alu instid0(VALU_DEP_3) | instskip(NEXT) | instid1(VALU_DEP_3)
	v_add_f64 v[0:1], v[0:1], v[2:3]
	v_add_f64 v[2:3], v[6:7], v[4:5]
	s_delay_alu instid0(VALU_DEP_2) | instskip(NEXT) | instid1(VALU_DEP_2)
	v_add_f64 v[0:1], v[0:1], v[24:25]
	v_mul_f64 v[4:5], s[18:19], v[2:3]
	v_mul_f64 v[2:3], s[20:21], v[2:3]
	s_delay_alu instid0(VALU_DEP_2) | instskip(NEXT) | instid1(VALU_DEP_2)
	v_fma_f64 v[4:5], s[20:21], v[0:1], v[4:5]
	v_fma_f64 v[2:3], s[18:19], v[0:1], -v[2:3]
	s_waitcnt vmcnt(0)
	s_delay_alu instid0(VALU_DEP_2) | instskip(NEXT) | instid1(VALU_DEP_2)
	v_add_f64 v[0:1], v[28:29], v[4:5]
	v_add_f64 v[2:3], v[30:31], v[2:3]
	global_store_b128 v[8:9], v[0:3], off
	s_branch .LBB1868_4
.LBB1868_17:
	s_endpgm
	.section	.rodata,"a",@progbits
	.p2align	6, 0x0
	.amdhsa_kernel _ZL26rocblas_syr2k_her2k_kernelIlLb1ELb1ELb0ELi32E19rocblas_complex_numIdEPKS1_PS1_EvbiT_T4_T5_S5_lS7_S5_lT6_S5_li
		.amdhsa_group_segment_fixed_size 32768
		.amdhsa_private_segment_fixed_size 0
		.amdhsa_kernarg_size 108
		.amdhsa_user_sgpr_count 13
		.amdhsa_user_sgpr_dispatch_ptr 0
		.amdhsa_user_sgpr_queue_ptr 0
		.amdhsa_user_sgpr_kernarg_segment_ptr 1
		.amdhsa_user_sgpr_dispatch_id 0
		.amdhsa_user_sgpr_private_segment_size 0
		.amdhsa_wavefront_size32 1
		.amdhsa_uses_dynamic_stack 0
		.amdhsa_enable_private_segment 0
		.amdhsa_system_sgpr_workgroup_id_x 1
		.amdhsa_system_sgpr_workgroup_id_y 1
		.amdhsa_system_sgpr_workgroup_id_z 1
		.amdhsa_system_sgpr_workgroup_info 0
		.amdhsa_system_vgpr_workitem_id 1
		.amdhsa_next_free_vgpr 62
		.amdhsa_next_free_sgpr 36
		.amdhsa_reserve_vcc 1
		.amdhsa_float_round_mode_32 0
		.amdhsa_float_round_mode_16_64 0
		.amdhsa_float_denorm_mode_32 3
		.amdhsa_float_denorm_mode_16_64 3
		.amdhsa_dx10_clamp 1
		.amdhsa_ieee_mode 1
		.amdhsa_fp16_overflow 0
		.amdhsa_workgroup_processor_mode 1
		.amdhsa_memory_ordered 1
		.amdhsa_forward_progress 0
		.amdhsa_shared_vgpr_count 0
		.amdhsa_exception_fp_ieee_invalid_op 0
		.amdhsa_exception_fp_denorm_src 0
		.amdhsa_exception_fp_ieee_div_zero 0
		.amdhsa_exception_fp_ieee_overflow 0
		.amdhsa_exception_fp_ieee_underflow 0
		.amdhsa_exception_fp_ieee_inexact 0
		.amdhsa_exception_int_div_zero 0
	.end_amdhsa_kernel
	.section	.text._ZL26rocblas_syr2k_her2k_kernelIlLb1ELb1ELb0ELi32E19rocblas_complex_numIdEPKS1_PS1_EvbiT_T4_T5_S5_lS7_S5_lT6_S5_li,"axG",@progbits,_ZL26rocblas_syr2k_her2k_kernelIlLb1ELb1ELb0ELi32E19rocblas_complex_numIdEPKS1_PS1_EvbiT_T4_T5_S5_lS7_S5_lT6_S5_li,comdat
.Lfunc_end1868:
	.size	_ZL26rocblas_syr2k_her2k_kernelIlLb1ELb1ELb0ELi32E19rocblas_complex_numIdEPKS1_PS1_EvbiT_T4_T5_S5_lS7_S5_lT6_S5_li, .Lfunc_end1868-_ZL26rocblas_syr2k_her2k_kernelIlLb1ELb1ELb0ELi32E19rocblas_complex_numIdEPKS1_PS1_EvbiT_T4_T5_S5_lS7_S5_lT6_S5_li
                                        ; -- End function
	.section	.AMDGPU.csdata,"",@progbits
; Kernel info:
; codeLenInByte = 5660
; NumSgprs: 38
; NumVgprs: 62
; ScratchSize: 0
; MemoryBound: 1
; FloatMode: 240
; IeeeMode: 1
; LDSByteSize: 32768 bytes/workgroup (compile time only)
; SGPRBlocks: 4
; VGPRBlocks: 7
; NumSGPRsForWavesPerEU: 38
; NumVGPRsForWavesPerEU: 62
; Occupancy: 16
; WaveLimiterHint : 0
; COMPUTE_PGM_RSRC2:SCRATCH_EN: 0
; COMPUTE_PGM_RSRC2:USER_SGPR: 13
; COMPUTE_PGM_RSRC2:TRAP_HANDLER: 0
; COMPUTE_PGM_RSRC2:TGID_X_EN: 1
; COMPUTE_PGM_RSRC2:TGID_Y_EN: 1
; COMPUTE_PGM_RSRC2:TGID_Z_EN: 1
; COMPUTE_PGM_RSRC2:TIDIG_COMP_CNT: 1
	.section	.text._ZL26rocblas_syr2k_her2k_kernelIlLb1ELb1ELb1ELi32E19rocblas_complex_numIdEPKS1_PS1_EvbiT_T4_T5_S5_lS7_S5_lT6_S5_li,"axG",@progbits,_ZL26rocblas_syr2k_her2k_kernelIlLb1ELb1ELb1ELi32E19rocblas_complex_numIdEPKS1_PS1_EvbiT_T4_T5_S5_lS7_S5_lT6_S5_li,comdat
	.globl	_ZL26rocblas_syr2k_her2k_kernelIlLb1ELb1ELb1ELi32E19rocblas_complex_numIdEPKS1_PS1_EvbiT_T4_T5_S5_lS7_S5_lT6_S5_li ; -- Begin function _ZL26rocblas_syr2k_her2k_kernelIlLb1ELb1ELb1ELi32E19rocblas_complex_numIdEPKS1_PS1_EvbiT_T4_T5_S5_lS7_S5_lT6_S5_li
	.p2align	8
	.type	_ZL26rocblas_syr2k_her2k_kernelIlLb1ELb1ELb1ELi32E19rocblas_complex_numIdEPKS1_PS1_EvbiT_T4_T5_S5_lS7_S5_lT6_S5_li,@function
_ZL26rocblas_syr2k_her2k_kernelIlLb1ELb1ELb1ELi32E19rocblas_complex_numIdEPKS1_PS1_EvbiT_T4_T5_S5_lS7_S5_lT6_S5_li: ; @_ZL26rocblas_syr2k_her2k_kernelIlLb1ELb1ELb1ELi32E19rocblas_complex_numIdEPKS1_PS1_EvbiT_T4_T5_S5_lS7_S5_lT6_S5_li
; %bb.0:
	s_load_b512 s[16:31], s[0:1], 0x8
	s_waitcnt lgkmcnt(0)
	v_cmp_eq_f64_e64 s2, s[18:19], 0
	v_cmp_eq_f64_e64 s3, s[20:21], 0
	s_delay_alu instid0(VALU_DEP_1) | instskip(NEXT) | instid1(SALU_CYCLE_1)
	s_and_b32 s2, s2, s3
	s_and_b32 vcc_lo, exec_lo, s2
	s_cbranch_vccnz .LBB1869_17
; %bb.1:
	s_load_b64 s[2:3], s[0:1], 0x0
	s_lshl_b32 s12, s14, 5
	s_lshl_b32 s13, s13, 5
	s_waitcnt lgkmcnt(0)
	s_and_b32 s2, 1, s2
	s_delay_alu instid0(SALU_CYCLE_1) | instskip(SKIP_1) | instid1(SALU_CYCLE_1)
	s_cmp_eq_u32 s2, 1
	s_cselect_b32 s2, -1, 0
	s_and_b32 s4, s2, exec_lo
	s_cselect_b32 s4, s13, s12
	s_cselect_b32 s5, s12, s13
	s_delay_alu instid0(SALU_CYCLE_1)
	s_cmp_gt_i32 s4, s5
	s_cbranch_scc1 .LBB1869_17
; %bb.2:
	v_cmp_lt_i64_e64 s4, s[16:17], 1
	s_delay_alu instid0(VALU_DEP_1)
	s_and_b32 vcc_lo, exec_lo, s4
	s_cbranch_vccnz .LBB1869_17
; %bb.3:
	s_load_b256 s[4:11], s[0:1], 0x48
	v_bfe_u32 v10, v0, 10, 10
	v_mov_b32_e32 v1, 0
	v_and_b32_e32 v11, 0x3ff, v0
	s_delay_alu instid0(VALU_DEP_2) | instskip(NEXT) | instid1(VALU_DEP_2)
	v_dual_mov_b32 v3, v1 :: v_dual_add_nc_u32 v2, s12, v10
	v_add_nc_u32_e32 v0, s13, v11
	s_mov_b32 s12, s3
	s_delay_alu instid0(VALU_DEP_2) | instskip(SKIP_1) | instid1(VALU_DEP_3)
	v_ashrrev_i32_e32 v4, 31, v2
	v_mad_u64_u32 v[6:7], null, s30, v2, 0
	v_cndmask_b32_e64 v8, v0, v2, s2
	v_cndmask_b32_e64 v9, v2, v0, s2
	v_lshlrev_b32_e32 v22, 4, v10
	v_max_i32_e32 v17, v0, v2
	v_mad_u64_u32 v[20:21], null, s24, v0, 0
	s_waitcnt lgkmcnt(0)
	v_mul_lo_u32 v15, v4, s8
	v_mul_lo_u32 v16, v2, s9
	v_mad_u64_u32 v[4:5], null, v2, s8, 0
	s_mul_i32 s1, s15, s11
	s_mul_hi_u32 s2, s15, s10
	s_mul_i32 s0, s15, s10
	s_add_i32 s1, s2, s1
	v_cmp_le_i32_e64 s2, v9, v8
	s_lshl_b64 s[0:1], s[0:1], 4
	s_delay_alu instid0(VALU_DEP_2)
	v_add3_u32 v5, v5, v16, v15
	s_add_u32 s6, s6, s0
	s_addc_u32 s7, s7, s1
	s_ashr_i32 s13, s3, 31
	v_cmp_gt_i32_e32 vcc_lo, s3, v17
	v_lshlrev_b64 v[4:5], 4, v[4:5]
	v_cmp_gt_i64_e64 s1, s[12:13], v[2:3]
	v_mov_b32_e32 v3, v7
	v_cmp_gt_i64_e64 s0, s[12:13], v[0:1]
	v_ashrrev_i32_e32 v1, 31, v0
	v_mad_u64_u32 v[16:17], null, s30, v0, 0
	s_delay_alu instid0(VALU_DEP_4) | instskip(SKIP_1) | instid1(VALU_DEP_4)
	v_mad_u64_u32 v[7:8], null, s31, v2, v[3:4]
	v_add_co_u32 v8, s3, s6, v4
	v_lshlrev_b64 v[3:4], 4, v[0:1]
	v_add_co_ci_u32_e64 v5, s3, s7, v5, s3
	s_mul_i32 s5, s5, s15
	s_mul_hi_u32 s6, s4, s15
	v_mov_b32_e32 v1, v17
	s_delay_alu instid0(VALU_DEP_3) | instskip(NEXT) | instid1(VALU_DEP_1)
	v_add_co_u32 v8, s3, v8, v3
	v_add_co_ci_u32_e64 v9, s3, v5, v4, s3
	v_lshlrev_b64 v[3:4], 4, v[6:7]
	s_add_i32 s5, s6, s5
	s_mul_i32 s4, s4, s15
	v_lshlrev_b32_e32 v7, 4, v11
	s_lshl_b64 s[4:5], s[4:5], 4
	v_mad_u64_u32 v[5:6], null, s31, v0, v[1:2]
	v_add_co_u32 v1, s3, s4, v3
	s_delay_alu instid0(VALU_DEP_1) | instskip(SKIP_1) | instid1(VALU_DEP_3)
	v_add_co_ci_u32_e64 v6, s3, s5, v4, s3
	v_mad_u64_u32 v[3:4], null, s24, v2, 0
	v_add_co_u32 v1, s3, v1, v7
	s_delay_alu instid0(VALU_DEP_1) | instskip(SKIP_1) | instid1(VALU_DEP_3)
	v_add_co_ci_u32_e64 v6, s3, 0, v6, s3
	v_mov_b32_e32 v17, v5
	v_add_co_u32 v18, s3, v1, s28
	s_delay_alu instid0(VALU_DEP_1) | instskip(SKIP_1) | instid1(VALU_DEP_4)
	v_add_co_ci_u32_e64 v19, s3, s29, v6, s3
	v_mov_b32_e32 v1, v4
	v_lshlrev_b64 v[5:6], 4, v[16:17]
	s_delay_alu instid0(VALU_DEP_4) | instskip(NEXT) | instid1(VALU_DEP_1)
	v_add_co_u32 v16, s3, v18, 8
	v_add_co_ci_u32_e64 v17, s3, 0, v19, s3
	s_delay_alu instid0(VALU_DEP_4) | instskip(NEXT) | instid1(VALU_DEP_4)
	v_mad_u64_u32 v[18:19], null, s25, v2, v[1:2]
	v_add_co_u32 v2, s3, s4, v5
	v_mov_b32_e32 v1, v21
	v_add_co_ci_u32_e64 v19, s3, s5, v6, s3
	s_mul_i32 s4, s27, s15
	s_delay_alu instid0(VALU_DEP_4) | instskip(SKIP_3) | instid1(VALU_DEP_3)
	v_mov_b32_e32 v4, v18
	v_lshlrev_b32_e32 v12, 9, v11
	v_mad_u64_u32 v[5:6], null, s25, v0, v[1:2]
	v_add_co_u32 v2, s3, v2, v22
	v_add_nc_u32_e32 v14, v12, v22
	s_mul_hi_u32 s5, s26, s15
	v_add_co_ci_u32_e64 v6, s3, 0, v19, s3
	s_delay_alu instid0(VALU_DEP_4)
	v_mov_b32_e32 v21, v5
	v_lshlrev_b64 v[0:1], 4, v[3:4]
	s_add_i32 s5, s5, s4
	s_mul_i32 s4, s26, s15
	v_add_co_u32 v18, s3, s28, v2
	v_lshlrev_b64 v[2:3], 4, v[20:21]
	s_lshl_b64 s[4:5], s[4:5], 4
	v_add_co_ci_u32_e64 v19, s3, s29, v6, s3
	v_add_co_u32 v0, s3, s4, v0
	s_delay_alu instid0(VALU_DEP_1) | instskip(NEXT) | instid1(VALU_DEP_4)
	v_add_co_ci_u32_e64 v1, s3, s5, v1, s3
	v_add_co_u32 v2, s3, s4, v2
	s_delay_alu instid0(VALU_DEP_1) | instskip(NEXT) | instid1(VALU_DEP_4)
	;; [unrolled: 3-line block ×5, first 2 shown]
	v_add_co_ci_u32_e64 v1, s3, s23, v1, s3
	v_add_co_u32 v2, s3, v2, s22
	s_delay_alu instid0(VALU_DEP_1) | instskip(SKIP_2) | instid1(VALU_DEP_1)
	v_add_co_ci_u32_e64 v3, s3, s23, v3, s3
	v_or_b32_e32 v13, 0x4000, v22
	v_add_co_u32 v20, s3, v0, 8
	v_add_co_ci_u32_e64 v21, s3, 0, v1, s3
	v_add_co_u32 v22, s3, v2, 8
	s_delay_alu instid0(VALU_DEP_4)
	v_add_nc_u32_e32 v15, v13, v12
	v_add_co_ci_u32_e64 v23, s3, 0, v3, s3
	s_and_b32 s6, s2, vcc_lo
	s_mov_b64 s[2:3], 0
	s_mov_b64 s[4:5], 0
	s_branch .LBB1869_5
.LBB1869_4:                             ;   in Loop: Header=BB1869_5 Depth=1
	s_or_b32 exec_lo, exec_lo, s7
	s_add_u32 s4, s4, 32
	s_addc_u32 s5, s5, 0
	s_add_u32 s2, s2, 0x200
	v_cmp_lt_i64_e64 s7, s[4:5], s[16:17]
	s_addc_u32 s3, s3, 0
	s_waitcnt_vscnt null, 0x0
	s_barrier
	buffer_gl0_inv
	s_and_b32 vcc_lo, exec_lo, s7
	s_cbranch_vccz .LBB1869_17
.LBB1869_5:                             ; =>This Inner Loop Header: Depth=1
	v_add_co_u32 v2, s7, v10, s4
	s_delay_alu instid0(VALU_DEP_1) | instskip(SKIP_2) | instid1(VALU_DEP_3)
	v_add_co_ci_u32_e64 v3, null, 0, s5, s7
	v_mov_b32_e32 v0, 0
	v_mov_b32_e32 v1, 0
	v_cmp_gt_i64_e32 vcc_lo, s[16:17], v[2:3]
	s_delay_alu instid0(VALU_DEP_2) | instskip(SKIP_2) | instid1(SALU_CYCLE_1)
	v_dual_mov_b32 v5, v1 :: v_dual_mov_b32 v4, v0
	v_dual_mov_b32 v7, v1 :: v_dual_mov_b32 v6, v0
	s_and_b32 s7, s0, vcc_lo
	s_and_saveexec_b32 s8, s7
	s_cbranch_execz .LBB1869_7
; %bb.6:                                ;   in Loop: Header=BB1869_5 Depth=1
	v_add_co_u32 v2, vcc_lo, v22, s2
	v_add_co_ci_u32_e32 v3, vcc_lo, s3, v23, vcc_lo
	global_load_b128 v[4:7], v[2:3], off offset:-8
	s_waitcnt vmcnt(0)
	v_xor_b32_e32 v7, 0x80000000, v7
.LBB1869_7:                             ;   in Loop: Header=BB1869_5 Depth=1
	s_or_b32 exec_lo, exec_lo, s8
	v_add_co_u32 v2, s8, v11, s4
	s_delay_alu instid0(VALU_DEP_1) | instskip(SKIP_4) | instid1(SALU_CYCLE_1)
	v_add_co_ci_u32_e64 v3, null, 0, s5, s8
	ds_store_b128 v14, v[4:7]
	v_cmp_gt_i64_e32 vcc_lo, s[16:17], v[2:3]
	v_dual_mov_b32 v3, v1 :: v_dual_mov_b32 v2, v0
	s_and_b32 s8, s1, vcc_lo
	s_and_saveexec_b32 s9, s8
	s_cbranch_execz .LBB1869_9
; %bb.8:                                ;   in Loop: Header=BB1869_5 Depth=1
	v_add_co_u32 v0, vcc_lo, v16, s2
	v_add_co_ci_u32_e32 v1, vcc_lo, s3, v17, vcc_lo
	global_load_b128 v[0:3], v[0:1], off offset:-8
.LBB1869_9:                             ;   in Loop: Header=BB1869_5 Depth=1
	s_or_b32 exec_lo, exec_lo, s9
	s_waitcnt vmcnt(0)
	ds_store_b128 v15, v[0:3]
	s_waitcnt lgkmcnt(0)
	s_barrier
	buffer_gl0_inv
	s_and_saveexec_b32 s9, s6
	s_cbranch_execz .LBB1869_11
; %bb.10:                               ;   in Loop: Header=BB1869_5 Depth=1
	ds_load_b128 v[0:3], v13
	ds_load_b128 v[4:7], v12
	ds_load_b128 v[24:27], v12 offset:16
	ds_load_b128 v[28:31], v13 offset:512
	s_waitcnt lgkmcnt(2)
	v_mul_f64 v[32:33], v[0:1], v[6:7]
	v_mul_f64 v[6:7], v[2:3], v[6:7]
	s_waitcnt lgkmcnt(0)
	v_mul_f64 v[48:49], v[28:29], v[26:27]
	v_mul_f64 v[26:27], v[30:31], v[26:27]
	s_delay_alu instid0(VALU_DEP_4)
	v_fma_f64 v[2:3], v[2:3], v[4:5], v[32:33]
	ds_load_b128 v[32:35], v13 offset:1024
	ds_load_b128 v[36:39], v12 offset:32
	;; [unrolled: 1-line block ×4, first 2 shown]
	v_fma_f64 v[0:1], v[0:1], v[4:5], -v[6:7]
	v_fma_f64 v[4:5], v[30:31], v[24:25], v[48:49]
	v_fma_f64 v[52:53], v[28:29], v[24:25], -v[26:27]
	s_waitcnt lgkmcnt(2)
	v_mul_f64 v[50:51], v[32:33], v[38:39]
	v_mul_f64 v[38:39], v[34:35], v[38:39]
	s_waitcnt lgkmcnt(0)
	v_mul_f64 v[48:49], v[44:45], v[42:43]
	v_mul_f64 v[42:43], v[46:47], v[42:43]
	v_add_f64 v[2:3], v[2:3], 0
	v_fma_f64 v[34:35], v[34:35], v[36:37], v[50:51]
	v_add_f64 v[50:51], v[0:1], 0
	v_fma_f64 v[32:33], v[32:33], v[36:37], -v[38:39]
	v_fma_f64 v[36:37], v[46:47], v[40:41], v[48:49]
	v_add_f64 v[54:55], v[2:3], v[4:5]
	ds_load_b128 v[0:3], v12 offset:64
	ds_load_b128 v[4:7], v13 offset:2048
	ds_load_b128 v[24:27], v13 offset:2560
	ds_load_b128 v[28:31], v12 offset:80
	s_waitcnt lgkmcnt(2)
	v_mul_f64 v[56:57], v[4:5], v[2:3]
	v_add_f64 v[38:39], v[50:51], v[52:53]
	v_mul_f64 v[2:3], v[6:7], v[2:3]
	s_waitcnt lgkmcnt(0)
	v_mul_f64 v[48:49], v[24:25], v[30:31]
	v_fma_f64 v[50:51], v[44:45], v[40:41], -v[42:43]
	v_mul_f64 v[30:31], v[26:27], v[30:31]
	v_add_f64 v[34:35], v[54:55], v[34:35]
	v_fma_f64 v[6:7], v[6:7], v[0:1], v[56:57]
	v_add_f64 v[52:53], v[38:39], v[32:33]
	v_fma_f64 v[0:1], v[4:5], v[0:1], -v[2:3]
	v_fma_f64 v[2:3], v[26:27], v[28:29], v[48:49]
	v_add_f64 v[54:55], v[34:35], v[36:37]
	ds_load_b128 v[32:35], v12 offset:96
	ds_load_b128 v[36:39], v13 offset:3072
	ds_load_b128 v[40:43], v13 offset:3584
	ds_load_b128 v[44:47], v12 offset:112
	s_waitcnt lgkmcnt(2)
	v_mul_f64 v[56:57], v[36:37], v[34:35]
	v_add_f64 v[4:5], v[52:53], v[50:51]
	v_mul_f64 v[34:35], v[38:39], v[34:35]
	s_waitcnt lgkmcnt(0)
	v_mul_f64 v[48:49], v[40:41], v[46:47]
	v_fma_f64 v[50:51], v[24:25], v[28:29], -v[30:31]
	;; [unrolled: 18-line block ×11, first 2 shown]
	v_mul_f64 v[30:31], v[26:27], v[30:31]
	v_add_f64 v[38:39], v[54:55], v[38:39]
	v_fma_f64 v[6:7], v[6:7], v[0:1], v[56:57]
	v_add_f64 v[52:53], v[36:37], v[32:33]
	v_fma_f64 v[0:1], v[4:5], v[0:1], -v[2:3]
	v_fma_f64 v[2:3], v[26:27], v[28:29], v[48:49]
	v_add_f64 v[54:55], v[38:39], v[34:35]
	ds_load_b128 v[32:35], v12 offset:416
	ds_load_b128 v[36:39], v13 offset:13312
	;; [unrolled: 1-line block ×4, first 2 shown]
	s_waitcnt lgkmcnt(2)
	v_mul_f64 v[56:57], v[36:37], v[34:35]
	v_add_f64 v[4:5], v[52:53], v[50:51]
	v_mul_f64 v[34:35], v[38:39], v[34:35]
	s_waitcnt lgkmcnt(0)
	v_mul_f64 v[52:53], v[40:41], v[46:47]
	v_mul_f64 v[46:47], v[42:43], v[46:47]
	v_add_f64 v[6:7], v[54:55], v[6:7]
	v_fma_f64 v[54:55], v[24:25], v[28:29], -v[30:31]
	v_fma_f64 v[38:39], v[38:39], v[32:33], v[56:57]
	v_add_f64 v[56:57], v[4:5], v[0:1]
	v_fma_f64 v[32:33], v[36:37], v[32:33], -v[34:35]
	v_fma_f64 v[34:35], v[42:43], v[44:45], v[52:53]
	v_add_f64 v[58:59], v[6:7], v[2:3]
	ds_load_b128 v[0:3], v12 offset:448
	ds_load_b128 v[4:7], v13 offset:14336
	global_load_b128 v[24:27], v[8:9], off
	ds_load_b128 v[28:31], v13 offset:14848
	ds_load_b128 v[48:51], v12 offset:464
	v_add_f64 v[36:37], v[56:57], v[54:55]
	s_waitcnt lgkmcnt(2)
	v_mul_f64 v[60:61], v[4:5], v[2:3]
	v_mul_f64 v[2:3], v[6:7], v[2:3]
	s_waitcnt lgkmcnt(0)
	v_mul_f64 v[52:53], v[28:29], v[50:51]
	v_fma_f64 v[54:55], v[40:41], v[44:45], -v[46:47]
	v_mul_f64 v[50:51], v[30:31], v[50:51]
	v_add_f64 v[38:39], v[58:59], v[38:39]
	v_add_f64 v[56:57], v[36:37], v[32:33]
	v_fma_f64 v[6:7], v[6:7], v[0:1], v[60:61]
	v_fma_f64 v[0:1], v[4:5], v[0:1], -v[2:3]
	v_fma_f64 v[2:3], v[30:31], v[48:49], v[52:53]
	v_fma_f64 v[28:29], v[28:29], v[48:49], -v[50:51]
	v_add_f64 v[58:59], v[38:39], v[34:35]
	ds_load_b128 v[32:35], v12 offset:480
	ds_load_b128 v[36:39], v13 offset:15360
	ds_load_b128 v[40:43], v13 offset:15872
	ds_load_b128 v[44:47], v12 offset:496
	s_waitcnt lgkmcnt(2)
	v_mul_f64 v[60:61], v[36:37], v[34:35]
	v_add_f64 v[4:5], v[56:57], v[54:55]
	v_mul_f64 v[30:31], v[38:39], v[34:35]
	s_waitcnt lgkmcnt(0)
	v_mul_f64 v[34:35], v[40:41], v[46:47]
	v_add_f64 v[6:7], v[58:59], v[6:7]
	v_fma_f64 v[38:39], v[38:39], v[32:33], v[60:61]
	v_add_f64 v[0:1], v[4:5], v[0:1]
	v_mul_f64 v[4:5], v[42:43], v[46:47]
	s_delay_alu instid0(VALU_DEP_4)
	v_add_f64 v[2:3], v[6:7], v[2:3]
	v_fma_f64 v[6:7], v[36:37], v[32:33], -v[30:31]
	v_fma_f64 v[30:31], v[42:43], v[44:45], v[34:35]
	v_add_f64 v[0:1], v[0:1], v[28:29]
	v_fma_f64 v[4:5], v[40:41], v[44:45], -v[4:5]
	v_add_f64 v[2:3], v[2:3], v[38:39]
	s_delay_alu instid0(VALU_DEP_3) | instskip(NEXT) | instid1(VALU_DEP_2)
	v_add_f64 v[0:1], v[0:1], v[6:7]
	v_add_f64 v[2:3], v[2:3], v[30:31]
	s_delay_alu instid0(VALU_DEP_2) | instskip(NEXT) | instid1(VALU_DEP_2)
	v_add_f64 v[0:1], v[0:1], v[4:5]
	v_mul_f64 v[4:5], s[20:21], v[2:3]
	v_mul_f64 v[2:3], s[18:19], v[2:3]
	s_delay_alu instid0(VALU_DEP_2) | instskip(NEXT) | instid1(VALU_DEP_2)
	v_fma_f64 v[4:5], s[18:19], v[0:1], -v[4:5]
	v_fma_f64 v[2:3], s[20:21], v[0:1], v[2:3]
	s_waitcnt vmcnt(0)
	s_delay_alu instid0(VALU_DEP_2) | instskip(NEXT) | instid1(VALU_DEP_2)
	v_add_f64 v[0:1], v[24:25], v[4:5]
	v_add_f64 v[2:3], v[26:27], v[2:3]
	global_store_b128 v[8:9], v[0:3], off
.LBB1869_11:                            ;   in Loop: Header=BB1869_5 Depth=1
	s_or_b32 exec_lo, exec_lo, s9
	v_mov_b32_e32 v2, 0
	v_mov_b32_e32 v3, 0
	s_waitcnt_vscnt null, 0x0
	s_barrier
	buffer_gl0_inv
	v_dual_mov_b32 v7, v3 :: v_dual_mov_b32 v6, v2
	v_dual_mov_b32 v5, v3 :: v_dual_mov_b32 v4, v2
	s_and_saveexec_b32 s9, s7
	s_cbranch_execz .LBB1869_13
; %bb.12:                               ;   in Loop: Header=BB1869_5 Depth=1
	v_add_co_u32 v0, vcc_lo, v18, s2
	v_add_co_ci_u32_e32 v1, vcc_lo, s3, v19, vcc_lo
	global_load_b128 v[4:7], v[0:1], off
	s_waitcnt vmcnt(0)
	v_xor_b32_e32 v7, 0x80000000, v7
.LBB1869_13:                            ;   in Loop: Header=BB1869_5 Depth=1
	s_or_b32 exec_lo, exec_lo, s9
	v_dual_mov_b32 v0, v2 :: v_dual_mov_b32 v1, v3
	ds_store_b128 v14, v[4:7]
	s_and_saveexec_b32 s7, s8
	s_cbranch_execz .LBB1869_15
; %bb.14:                               ;   in Loop: Header=BB1869_5 Depth=1
	v_add_co_u32 v0, vcc_lo, v20, s2
	v_add_co_ci_u32_e32 v1, vcc_lo, s3, v21, vcc_lo
	global_load_b128 v[0:3], v[0:1], off offset:-8
.LBB1869_15:                            ;   in Loop: Header=BB1869_5 Depth=1
	s_or_b32 exec_lo, exec_lo, s7
	s_waitcnt vmcnt(0)
	ds_store_b128 v15, v[0:3]
	s_waitcnt lgkmcnt(0)
	s_barrier
	buffer_gl0_inv
	s_and_saveexec_b32 s7, s6
	s_cbranch_execz .LBB1869_4
; %bb.16:                               ;   in Loop: Header=BB1869_5 Depth=1
	ds_load_b128 v[0:3], v13
	ds_load_b128 v[4:7], v12
	ds_load_b128 v[24:27], v12 offset:16
	ds_load_b128 v[28:31], v13 offset:512
	s_waitcnt lgkmcnt(2)
	v_mul_f64 v[32:33], v[2:3], v[6:7]
	v_mul_f64 v[6:7], v[0:1], v[6:7]
	s_waitcnt lgkmcnt(0)
	v_mul_f64 v[48:49], v[30:31], v[26:27]
	v_mul_f64 v[26:27], v[28:29], v[26:27]
	s_delay_alu instid0(VALU_DEP_4)
	v_fma_f64 v[0:1], v[0:1], v[4:5], -v[32:33]
	ds_load_b128 v[32:35], v13 offset:1024
	ds_load_b128 v[36:39], v12 offset:32
	;; [unrolled: 1-line block ×4, first 2 shown]
	v_fma_f64 v[2:3], v[2:3], v[4:5], v[6:7]
	v_fma_f64 v[4:5], v[28:29], v[24:25], -v[48:49]
	v_fma_f64 v[52:53], v[30:31], v[24:25], v[26:27]
	s_waitcnt lgkmcnt(2)
	v_mul_f64 v[50:51], v[34:35], v[38:39]
	v_mul_f64 v[38:39], v[32:33], v[38:39]
	s_waitcnt lgkmcnt(0)
	v_mul_f64 v[48:49], v[46:47], v[42:43]
	v_mul_f64 v[42:43], v[44:45], v[42:43]
	v_add_f64 v[0:1], v[0:1], 0
	v_fma_f64 v[32:33], v[32:33], v[36:37], -v[50:51]
	v_add_f64 v[50:51], v[2:3], 0
	v_fma_f64 v[34:35], v[34:35], v[36:37], v[38:39]
	v_fma_f64 v[36:37], v[44:45], v[40:41], -v[48:49]
	v_fma_f64 v[46:47], v[46:47], v[40:41], v[42:43]
	v_add_f64 v[54:55], v[0:1], v[4:5]
	ds_load_b128 v[0:3], v12 offset:64
	ds_load_b128 v[4:7], v13 offset:2048
	;; [unrolled: 1-line block ×4, first 2 shown]
	s_waitcnt lgkmcnt(2)
	v_mul_f64 v[56:57], v[6:7], v[2:3]
	v_add_f64 v[38:39], v[50:51], v[52:53]
	v_mul_f64 v[44:45], v[4:5], v[2:3]
	s_waitcnt lgkmcnt(0)
	v_mul_f64 v[48:49], v[26:27], v[30:31]
	v_mul_f64 v[30:31], v[24:25], v[30:31]
	v_add_f64 v[32:33], v[54:55], v[32:33]
	v_fma_f64 v[50:51], v[4:5], v[0:1], -v[56:57]
	v_add_f64 v[52:53], v[38:39], v[34:35]
	v_fma_f64 v[0:1], v[6:7], v[0:1], v[44:45]
	v_fma_f64 v[6:7], v[24:25], v[28:29], -v[48:49]
	v_add_f64 v[54:55], v[32:33], v[36:37]
	ds_load_b128 v[2:5], v12 offset:96
	ds_load_b128 v[32:35], v13 offset:3072
	;; [unrolled: 1-line block ×4, first 2 shown]
	s_waitcnt lgkmcnt(2)
	v_mul_f64 v[56:57], v[34:35], v[4:5]
	v_add_f64 v[24:25], v[52:53], v[46:47]
	v_mul_f64 v[48:49], v[32:33], v[4:5]
	v_fma_f64 v[52:53], v[26:27], v[28:29], v[30:31]
	v_add_f64 v[44:45], v[54:55], v[50:51]
	s_waitcnt lgkmcnt(0)
	v_mul_f64 v[50:51], v[38:39], v[42:43]
	v_mul_f64 v[42:43], v[36:37], v[42:43]
	v_fma_f64 v[32:33], v[32:33], v[2:3], -v[56:57]
	v_add_f64 v[0:1], v[24:25], v[0:1]
	v_fma_f64 v[2:3], v[34:35], v[2:3], v[48:49]
	v_add_f64 v[54:55], v[44:45], v[6:7]
	ds_load_b128 v[4:7], v12 offset:128
	ds_load_b128 v[24:27], v13 offset:4096
	;; [unrolled: 1-line block ×4, first 2 shown]
	v_fma_f64 v[34:35], v[36:37], v[40:41], -v[50:51]
	v_fma_f64 v[50:51], v[38:39], v[40:41], v[42:43]
	s_waitcnt lgkmcnt(2)
	v_mul_f64 v[56:57], v[26:27], v[6:7]
	v_add_f64 v[0:1], v[0:1], v[52:53]
	v_mul_f64 v[6:7], v[24:25], v[6:7]
	s_waitcnt lgkmcnt(0)
	v_mul_f64 v[48:49], v[30:31], v[46:47]
	v_mul_f64 v[46:47], v[28:29], v[46:47]
	v_add_f64 v[32:33], v[54:55], v[32:33]
	v_fma_f64 v[24:25], v[24:25], v[4:5], -v[56:57]
	v_add_f64 v[52:53], v[0:1], v[2:3]
	v_fma_f64 v[4:5], v[26:27], v[4:5], v[6:7]
	v_fma_f64 v[6:7], v[28:29], v[44:45], -v[48:49]
	v_add_f64 v[54:55], v[32:33], v[34:35]
	ds_load_b128 v[0:3], v12 offset:160
	ds_load_b128 v[32:35], v13 offset:5120
	;; [unrolled: 1-line block ×4, first 2 shown]
	s_waitcnt lgkmcnt(2)
	v_mul_f64 v[56:57], v[34:35], v[2:3]
	v_add_f64 v[26:27], v[52:53], v[50:51]
	v_mul_f64 v[48:49], v[32:33], v[2:3]
	s_waitcnt lgkmcnt(0)
	v_mul_f64 v[50:51], v[38:39], v[42:43]
	v_fma_f64 v[52:53], v[30:31], v[44:45], v[46:47]
	v_mul_f64 v[42:43], v[36:37], v[42:43]
	v_add_f64 v[24:25], v[54:55], v[24:25]
	v_fma_f64 v[32:33], v[32:33], v[0:1], -v[56:57]
	v_add_f64 v[54:55], v[26:27], v[4:5]
	v_fma_f64 v[0:1], v[34:35], v[0:1], v[48:49]
	v_fma_f64 v[34:35], v[36:37], v[40:41], -v[50:51]
	v_add_f64 v[6:7], v[24:25], v[6:7]
	ds_load_b128 v[2:5], v12 offset:192
	ds_load_b128 v[24:27], v13 offset:6144
	ds_load_b128 v[28:31], v13 offset:6656
	ds_load_b128 v[44:47], v12 offset:208
	s_waitcnt lgkmcnt(2)
	v_mul_f64 v[56:57], v[26:27], v[4:5]
	v_add_f64 v[36:37], v[54:55], v[52:53]
	v_mul_f64 v[48:49], v[24:25], v[4:5]
	s_waitcnt lgkmcnt(0)
	v_mul_f64 v[50:51], v[30:31], v[46:47]
	v_fma_f64 v[52:53], v[38:39], v[40:41], v[42:43]
	v_mul_f64 v[46:47], v[28:29], v[46:47]
	v_add_f64 v[6:7], v[6:7], v[32:33]
	v_fma_f64 v[24:25], v[24:25], v[2:3], -v[56:57]
	v_add_f64 v[0:1], v[36:37], v[0:1]
	v_fma_f64 v[2:3], v[26:27], v[2:3], v[48:49]
	v_fma_f64 v[26:27], v[28:29], v[44:45], -v[50:51]
	v_fma_f64 v[50:51], v[30:31], v[44:45], v[46:47]
	v_add_f64 v[54:55], v[6:7], v[34:35]
	ds_load_b128 v[4:7], v12 offset:224
	ds_load_b128 v[32:35], v13 offset:7168
	;; [unrolled: 1-line block ×4, first 2 shown]
	s_waitcnt lgkmcnt(2)
	v_mul_f64 v[56:57], v[34:35], v[6:7]
	v_add_f64 v[0:1], v[0:1], v[52:53]
	v_mul_f64 v[6:7], v[32:33], v[6:7]
	s_waitcnt lgkmcnt(0)
	v_mul_f64 v[48:49], v[38:39], v[42:43]
	v_mul_f64 v[42:43], v[36:37], v[42:43]
	v_add_f64 v[24:25], v[54:55], v[24:25]
	v_fma_f64 v[32:33], v[32:33], v[4:5], -v[56:57]
	v_add_f64 v[52:53], v[0:1], v[2:3]
	v_fma_f64 v[4:5], v[34:35], v[4:5], v[6:7]
	v_fma_f64 v[6:7], v[36:37], v[40:41], -v[48:49]
	v_add_f64 v[54:55], v[24:25], v[26:27]
	ds_load_b128 v[0:3], v12 offset:256
	ds_load_b128 v[24:27], v13 offset:8192
	;; [unrolled: 1-line block ×4, first 2 shown]
	s_waitcnt lgkmcnt(2)
	v_mul_f64 v[56:57], v[26:27], v[2:3]
	v_add_f64 v[34:35], v[52:53], v[50:51]
	v_mul_f64 v[48:49], v[24:25], v[2:3]
	s_waitcnt lgkmcnt(0)
	v_mul_f64 v[50:51], v[30:31], v[46:47]
	v_fma_f64 v[52:53], v[38:39], v[40:41], v[42:43]
	v_mul_f64 v[46:47], v[28:29], v[46:47]
	v_add_f64 v[32:33], v[54:55], v[32:33]
	v_fma_f64 v[24:25], v[24:25], v[0:1], -v[56:57]
	v_add_f64 v[54:55], v[34:35], v[4:5]
	v_fma_f64 v[0:1], v[26:27], v[0:1], v[48:49]
	v_fma_f64 v[26:27], v[28:29], v[44:45], -v[50:51]
	v_add_f64 v[6:7], v[32:33], v[6:7]
	ds_load_b128 v[2:5], v12 offset:288
	ds_load_b128 v[32:35], v13 offset:9216
	ds_load_b128 v[36:39], v13 offset:9728
	ds_load_b128 v[40:43], v12 offset:304
	s_waitcnt lgkmcnt(2)
	v_mul_f64 v[56:57], v[34:35], v[4:5]
	v_add_f64 v[28:29], v[54:55], v[52:53]
	v_mul_f64 v[48:49], v[32:33], v[4:5]
	s_waitcnt lgkmcnt(0)
	v_mul_f64 v[50:51], v[38:39], v[42:43]
	v_fma_f64 v[52:53], v[30:31], v[44:45], v[46:47]
	v_mul_f64 v[42:43], v[36:37], v[42:43]
	v_add_f64 v[6:7], v[6:7], v[24:25]
	v_fma_f64 v[32:33], v[32:33], v[2:3], -v[56:57]
	v_add_f64 v[0:1], v[28:29], v[0:1]
	v_fma_f64 v[2:3], v[34:35], v[2:3], v[48:49]
	v_fma_f64 v[34:35], v[36:37], v[40:41], -v[50:51]
	v_fma_f64 v[50:51], v[38:39], v[40:41], v[42:43]
	v_add_f64 v[54:55], v[6:7], v[26:27]
	ds_load_b128 v[4:7], v12 offset:320
	ds_load_b128 v[24:27], v13 offset:10240
	;; [unrolled: 1-line block ×4, first 2 shown]
	s_waitcnt lgkmcnt(2)
	v_mul_f64 v[56:57], v[26:27], v[6:7]
	v_add_f64 v[0:1], v[0:1], v[52:53]
	v_mul_f64 v[6:7], v[24:25], v[6:7]
	s_waitcnt lgkmcnt(0)
	v_mul_f64 v[48:49], v[30:31], v[46:47]
	v_mul_f64 v[46:47], v[28:29], v[46:47]
	v_add_f64 v[32:33], v[54:55], v[32:33]
	v_fma_f64 v[24:25], v[24:25], v[4:5], -v[56:57]
	v_add_f64 v[52:53], v[0:1], v[2:3]
	v_fma_f64 v[4:5], v[26:27], v[4:5], v[6:7]
	v_fma_f64 v[6:7], v[28:29], v[44:45], -v[48:49]
	v_add_f64 v[54:55], v[32:33], v[34:35]
	ds_load_b128 v[0:3], v12 offset:352
	ds_load_b128 v[32:35], v13 offset:11264
	;; [unrolled: 1-line block ×4, first 2 shown]
	s_waitcnt lgkmcnt(2)
	v_mul_f64 v[56:57], v[34:35], v[2:3]
	v_add_f64 v[26:27], v[52:53], v[50:51]
	v_mul_f64 v[48:49], v[32:33], v[2:3]
	s_waitcnt lgkmcnt(0)
	v_mul_f64 v[50:51], v[38:39], v[42:43]
	v_fma_f64 v[52:53], v[30:31], v[44:45], v[46:47]
	v_mul_f64 v[42:43], v[36:37], v[42:43]
	v_add_f64 v[24:25], v[54:55], v[24:25]
	v_fma_f64 v[32:33], v[32:33], v[0:1], -v[56:57]
	v_add_f64 v[54:55], v[26:27], v[4:5]
	v_fma_f64 v[0:1], v[34:35], v[0:1], v[48:49]
	v_fma_f64 v[34:35], v[36:37], v[40:41], -v[50:51]
	v_add_f64 v[6:7], v[24:25], v[6:7]
	ds_load_b128 v[2:5], v12 offset:384
	ds_load_b128 v[24:27], v13 offset:12288
	;; [unrolled: 1-line block ×4, first 2 shown]
	s_waitcnt lgkmcnt(2)
	v_mul_f64 v[56:57], v[26:27], v[4:5]
	v_add_f64 v[36:37], v[54:55], v[52:53]
	v_mul_f64 v[48:49], v[24:25], v[4:5]
	s_waitcnt lgkmcnt(0)
	v_mul_f64 v[50:51], v[30:31], v[46:47]
	v_fma_f64 v[52:53], v[38:39], v[40:41], v[42:43]
	v_mul_f64 v[46:47], v[28:29], v[46:47]
	v_add_f64 v[6:7], v[6:7], v[32:33]
	v_fma_f64 v[24:25], v[24:25], v[2:3], -v[56:57]
	v_add_f64 v[0:1], v[36:37], v[0:1]
	v_fma_f64 v[2:3], v[26:27], v[2:3], v[48:49]
	v_fma_f64 v[26:27], v[28:29], v[44:45], -v[50:51]
	v_add_f64 v[54:55], v[6:7], v[34:35]
	ds_load_b128 v[4:7], v12 offset:416
	ds_load_b128 v[32:35], v13 offset:13312
	;; [unrolled: 1-line block ×4, first 2 shown]
	s_waitcnt lgkmcnt(2)
	v_mul_f64 v[56:57], v[34:35], v[6:7]
	v_add_f64 v[0:1], v[0:1], v[52:53]
	v_mul_f64 v[6:7], v[32:33], v[6:7]
	s_waitcnt lgkmcnt(0)
	v_mul_f64 v[52:53], v[38:39], v[42:43]
	v_mul_f64 v[42:43], v[36:37], v[42:43]
	v_add_f64 v[24:25], v[54:55], v[24:25]
	v_fma_f64 v[54:55], v[30:31], v[44:45], v[46:47]
	v_fma_f64 v[32:33], v[32:33], v[4:5], -v[56:57]
	v_add_f64 v[56:57], v[0:1], v[2:3]
	v_fma_f64 v[4:5], v[34:35], v[4:5], v[6:7]
	v_fma_f64 v[6:7], v[36:37], v[40:41], -v[52:53]
	v_add_f64 v[58:59], v[24:25], v[26:27]
	ds_load_b128 v[0:3], v12 offset:448
	ds_load_b128 v[24:27], v13 offset:14336
	global_load_b128 v[28:31], v[8:9], off
	ds_load_b128 v[44:47], v13 offset:14848
	ds_load_b128 v[48:51], v12 offset:464
	v_add_f64 v[34:35], v[56:57], v[54:55]
	s_waitcnt lgkmcnt(2)
	v_mul_f64 v[60:61], v[26:27], v[2:3]
	v_mul_f64 v[52:53], v[24:25], v[2:3]
	s_waitcnt lgkmcnt(0)
	v_mul_f64 v[54:55], v[46:47], v[50:51]
	v_fma_f64 v[56:57], v[38:39], v[40:41], v[42:43]
	v_mul_f64 v[50:51], v[44:45], v[50:51]
	v_add_f64 v[32:33], v[58:59], v[32:33]
	v_add_f64 v[58:59], v[34:35], v[4:5]
	v_fma_f64 v[24:25], v[24:25], v[0:1], -v[60:61]
	v_fma_f64 v[0:1], v[26:27], v[0:1], v[52:53]
	v_fma_f64 v[26:27], v[44:45], v[48:49], -v[54:55]
	v_fma_f64 v[46:47], v[46:47], v[48:49], v[50:51]
	v_add_f64 v[6:7], v[32:33], v[6:7]
	ds_load_b128 v[2:5], v12 offset:480
	ds_load_b128 v[32:35], v13 offset:15360
	;; [unrolled: 1-line block ×4, first 2 shown]
	s_waitcnt lgkmcnt(2)
	v_mul_f64 v[60:61], v[34:35], v[4:5]
	v_add_f64 v[44:45], v[58:59], v[56:57]
	v_mul_f64 v[4:5], v[32:33], v[4:5]
	v_add_f64 v[6:7], v[6:7], v[24:25]
	s_waitcnt lgkmcnt(0)
	v_mul_f64 v[24:25], v[38:39], v[42:43]
	v_fma_f64 v[32:33], v[32:33], v[2:3], -v[60:61]
	v_add_f64 v[0:1], v[44:45], v[0:1]
	v_fma_f64 v[2:3], v[34:35], v[2:3], v[4:5]
	v_add_f64 v[6:7], v[6:7], v[26:27]
	v_mul_f64 v[26:27], v[36:37], v[42:43]
	v_fma_f64 v[4:5], v[36:37], v[40:41], -v[24:25]
	v_add_f64 v[0:1], v[0:1], v[46:47]
	s_delay_alu instid0(VALU_DEP_4) | instskip(NEXT) | instid1(VALU_DEP_4)
	v_add_f64 v[6:7], v[6:7], v[32:33]
	v_fma_f64 v[24:25], v[38:39], v[40:41], v[26:27]
	s_delay_alu instid0(VALU_DEP_3) | instskip(NEXT) | instid1(VALU_DEP_3)
	v_add_f64 v[0:1], v[0:1], v[2:3]
	v_add_f64 v[2:3], v[6:7], v[4:5]
	s_delay_alu instid0(VALU_DEP_2) | instskip(NEXT) | instid1(VALU_DEP_2)
	v_add_f64 v[0:1], v[0:1], v[24:25]
	v_mul_f64 v[4:5], s[18:19], v[2:3]
	v_mul_f64 v[2:3], s[20:21], v[2:3]
	s_delay_alu instid0(VALU_DEP_2) | instskip(NEXT) | instid1(VALU_DEP_2)
	v_fma_f64 v[4:5], s[20:21], v[0:1], v[4:5]
	v_fma_f64 v[2:3], s[18:19], v[0:1], -v[2:3]
	s_waitcnt vmcnt(0)
	s_delay_alu instid0(VALU_DEP_2) | instskip(NEXT) | instid1(VALU_DEP_2)
	v_add_f64 v[0:1], v[28:29], v[4:5]
	v_add_f64 v[2:3], v[30:31], v[2:3]
	global_store_b128 v[8:9], v[0:3], off
	s_branch .LBB1869_4
.LBB1869_17:
	s_endpgm
	.section	.rodata,"a",@progbits
	.p2align	6, 0x0
	.amdhsa_kernel _ZL26rocblas_syr2k_her2k_kernelIlLb1ELb1ELb1ELi32E19rocblas_complex_numIdEPKS1_PS1_EvbiT_T4_T5_S5_lS7_S5_lT6_S5_li
		.amdhsa_group_segment_fixed_size 32768
		.amdhsa_private_segment_fixed_size 0
		.amdhsa_kernarg_size 108
		.amdhsa_user_sgpr_count 13
		.amdhsa_user_sgpr_dispatch_ptr 0
		.amdhsa_user_sgpr_queue_ptr 0
		.amdhsa_user_sgpr_kernarg_segment_ptr 1
		.amdhsa_user_sgpr_dispatch_id 0
		.amdhsa_user_sgpr_private_segment_size 0
		.amdhsa_wavefront_size32 1
		.amdhsa_uses_dynamic_stack 0
		.amdhsa_enable_private_segment 0
		.amdhsa_system_sgpr_workgroup_id_x 1
		.amdhsa_system_sgpr_workgroup_id_y 1
		.amdhsa_system_sgpr_workgroup_id_z 1
		.amdhsa_system_sgpr_workgroup_info 0
		.amdhsa_system_vgpr_workitem_id 1
		.amdhsa_next_free_vgpr 62
		.amdhsa_next_free_sgpr 32
		.amdhsa_reserve_vcc 1
		.amdhsa_float_round_mode_32 0
		.amdhsa_float_round_mode_16_64 0
		.amdhsa_float_denorm_mode_32 3
		.amdhsa_float_denorm_mode_16_64 3
		.amdhsa_dx10_clamp 1
		.amdhsa_ieee_mode 1
		.amdhsa_fp16_overflow 0
		.amdhsa_workgroup_processor_mode 1
		.amdhsa_memory_ordered 1
		.amdhsa_forward_progress 0
		.amdhsa_shared_vgpr_count 0
		.amdhsa_exception_fp_ieee_invalid_op 0
		.amdhsa_exception_fp_denorm_src 0
		.amdhsa_exception_fp_ieee_div_zero 0
		.amdhsa_exception_fp_ieee_overflow 0
		.amdhsa_exception_fp_ieee_underflow 0
		.amdhsa_exception_fp_ieee_inexact 0
		.amdhsa_exception_int_div_zero 0
	.end_amdhsa_kernel
	.section	.text._ZL26rocblas_syr2k_her2k_kernelIlLb1ELb1ELb1ELi32E19rocblas_complex_numIdEPKS1_PS1_EvbiT_T4_T5_S5_lS7_S5_lT6_S5_li,"axG",@progbits,_ZL26rocblas_syr2k_her2k_kernelIlLb1ELb1ELb1ELi32E19rocblas_complex_numIdEPKS1_PS1_EvbiT_T4_T5_S5_lS7_S5_lT6_S5_li,comdat
.Lfunc_end1869:
	.size	_ZL26rocblas_syr2k_her2k_kernelIlLb1ELb1ELb1ELi32E19rocblas_complex_numIdEPKS1_PS1_EvbiT_T4_T5_S5_lS7_S5_lT6_S5_li, .Lfunc_end1869-_ZL26rocblas_syr2k_her2k_kernelIlLb1ELb1ELb1ELi32E19rocblas_complex_numIdEPKS1_PS1_EvbiT_T4_T5_S5_lS7_S5_lT6_S5_li
                                        ; -- End function
	.section	.AMDGPU.csdata,"",@progbits
; Kernel info:
; codeLenInByte = 5848
; NumSgprs: 34
; NumVgprs: 62
; ScratchSize: 0
; MemoryBound: 1
; FloatMode: 240
; IeeeMode: 1
; LDSByteSize: 32768 bytes/workgroup (compile time only)
; SGPRBlocks: 4
; VGPRBlocks: 7
; NumSGPRsForWavesPerEU: 34
; NumVGPRsForWavesPerEU: 62
; Occupancy: 16
; WaveLimiterHint : 0
; COMPUTE_PGM_RSRC2:SCRATCH_EN: 0
; COMPUTE_PGM_RSRC2:USER_SGPR: 13
; COMPUTE_PGM_RSRC2:TRAP_HANDLER: 0
; COMPUTE_PGM_RSRC2:TGID_X_EN: 1
; COMPUTE_PGM_RSRC2:TGID_Y_EN: 1
; COMPUTE_PGM_RSRC2:TGID_Z_EN: 1
; COMPUTE_PGM_RSRC2:TIDIG_COMP_CNT: 1
	.section	.text._ZL26rocblas_syr2k_her2k_kernelIlLb1ELb1ELb0ELi32EPK19rocblas_complex_numIdES3_PS1_EvbiT_T4_T5_S5_lS7_S5_lT6_S5_li,"axG",@progbits,_ZL26rocblas_syr2k_her2k_kernelIlLb1ELb1ELb0ELi32EPK19rocblas_complex_numIdES3_PS1_EvbiT_T4_T5_S5_lS7_S5_lT6_S5_li,comdat
	.globl	_ZL26rocblas_syr2k_her2k_kernelIlLb1ELb1ELb0ELi32EPK19rocblas_complex_numIdES3_PS1_EvbiT_T4_T5_S5_lS7_S5_lT6_S5_li ; -- Begin function _ZL26rocblas_syr2k_her2k_kernelIlLb1ELb1ELb0ELi32EPK19rocblas_complex_numIdES3_PS1_EvbiT_T4_T5_S5_lS7_S5_lT6_S5_li
	.p2align	8
	.type	_ZL26rocblas_syr2k_her2k_kernelIlLb1ELb1ELb0ELi32EPK19rocblas_complex_numIdES3_PS1_EvbiT_T4_T5_S5_lS7_S5_lT6_S5_li,@function
_ZL26rocblas_syr2k_her2k_kernelIlLb1ELb1ELb0ELi32EPK19rocblas_complex_numIdES3_PS1_EvbiT_T4_T5_S5_lS7_S5_lT6_S5_li: ; @_ZL26rocblas_syr2k_her2k_kernelIlLb1ELb1ELb0ELi32EPK19rocblas_complex_numIdES3_PS1_EvbiT_T4_T5_S5_lS7_S5_lT6_S5_li
; %bb.0:
	s_load_b512 s[16:31], s[0:1], 0x8
	s_waitcnt lgkmcnt(0)
	s_load_b128 s[4:7], s[18:19], 0x0
	s_waitcnt lgkmcnt(0)
	v_cmp_eq_f64_e64 s2, s[4:5], 0
	v_cmp_eq_f64_e64 s3, s[6:7], 0
	s_delay_alu instid0(VALU_DEP_1) | instskip(NEXT) | instid1(SALU_CYCLE_1)
	s_and_b32 s2, s2, s3
	s_and_b32 vcc_lo, exec_lo, s2
	s_cbranch_vccnz .LBB1870_17
; %bb.1:
	s_load_b64 s[2:3], s[0:1], 0x0
	s_lshl_b32 s12, s14, 5
	s_lshl_b32 s13, s13, 5
	s_waitcnt lgkmcnt(0)
	s_and_b32 s2, 1, s2
	s_delay_alu instid0(SALU_CYCLE_1) | instskip(SKIP_1) | instid1(SALU_CYCLE_1)
	s_cmp_eq_u32 s2, 1
	s_cselect_b32 s2, -1, 0
	s_and_b32 s8, s2, exec_lo
	s_cselect_b32 s8, s13, s12
	s_cselect_b32 s9, s12, s13
	s_delay_alu instid0(SALU_CYCLE_1)
	s_cmp_gt_i32 s8, s9
	s_cbranch_scc1 .LBB1870_17
; %bb.2:
	v_cmp_lt_i64_e64 s8, s[16:17], 1
	s_delay_alu instid0(VALU_DEP_1)
	s_and_b32 vcc_lo, exec_lo, s8
	s_cbranch_vccnz .LBB1870_17
; %bb.3:
	s_clause 0x1
	s_load_b64 s[18:19], s[0:1], 0x58
	s_load_b128 s[8:11], s[0:1], 0x48
	v_bfe_u32 v10, v0, 10, 10
	v_mov_b32_e32 v1, 0
	v_and_b32_e32 v11, 0x3ff, v0
	s_mul_i32 s1, s15, s31
	s_mul_hi_u32 s14, s15, s30
	v_add_nc_u32_e32 v2, s12, v10
	s_mul_i32 s0, s15, s30
	v_mad_u64_u32 v[4:5], null, s28, v11, 0
	v_dual_mov_b32 v3, v1 :: v_dual_add_nc_u32 v0, s13, v11
	s_delay_alu instid0(VALU_DEP_3)
	v_ashrrev_i32_e32 v6, 31, v2
	s_add_i32 s1, s14, s1
	s_mov_b32 s30, s3
	s_lshl_b64 s[0:1], s[0:1], 4
	v_cndmask_b32_e64 v15, v0, v2, s2
	v_cndmask_b32_e64 v16, v2, v0, s2
	v_max_i32_e32 v17, v0, v2
	s_add_u32 s12, s26, s0
	s_waitcnt lgkmcnt(0)
	v_mul_lo_u32 v18, v6, s10
	v_mad_u64_u32 v[6:7], null, v2, s10, 0
	v_mul_lo_u32 v19, v2, s11
	s_addc_u32 s13, s27, s1
	s_mul_i32 s1, s15, s19
	s_mul_hi_u32 s14, s15, s18
	s_mul_i32 s0, s15, s18
	s_add_i32 s1, s14, s1
	s_delay_alu instid0(VALU_DEP_2) | instskip(NEXT) | instid1(VALU_DEP_2)
	v_mad_u64_u32 v[8:9], null, s29, v11, v[5:6]
	v_add3_u32 v7, v7, v19, v18
	v_lshlrev_b32_e32 v14, 4, v10
	v_mad_u64_u32 v[18:19], null, s28, v10, 0
	v_cmp_gt_i32_e32 vcc_lo, s3, v17
	s_delay_alu instid0(VALU_DEP_4)
	v_lshlrev_b64 v[6:7], 4, v[6:7]
	v_mov_b32_e32 v5, v8
	v_mov_b32_e32 v8, v0
	v_mad_u64_u32 v[20:21], null, s22, v11, 0
	v_cmp_le_i32_e64 s2, v16, v15
	s_lshl_b64 s[0:1], s[0:1], 4
	v_lshlrev_b32_e32 v12, 9, v11
	v_or_b32_e32 v13, 0x4000, v14
	v_ashrrev_i32_e32 v9, 31, v0
	s_add_u32 s8, s8, s0
	s_addc_u32 s9, s9, s1
	s_and_b32 s14, s2, vcc_lo
	v_add_co_u32 v16, vcc_lo, s8, v6
	v_add_co_ci_u32_e32 v17, vcc_lo, s9, v7, vcc_lo
	v_lshlrev_b64 v[6:7], 4, v[8:9]
	v_mov_b32_e32 v9, v21
	v_dual_mov_b32 v8, v19 :: v_dual_add_nc_u32 v15, v13, v12
	s_ashr_i32 s31, s3, 31
	v_lshlrev_b64 v[4:5], 4, v[4:5]
	v_cmp_gt_i64_e64 s1, s[30:31], v[2:3]
	v_lshlrev_b64 v[2:3], 4, v[2:3]
	v_mad_u64_u32 v[21:22], null, s29, v10, v[8:9]
	v_mad_u64_u32 v[22:23], null, s23, v11, v[9:10]
	;; [unrolled: 1-line block ×3, first 2 shown]
	s_delay_alu instid0(VALU_DEP_4) | instskip(SKIP_1) | instid1(VALU_DEP_1)
	v_add_co_u32 v4, vcc_lo, v4, v2
	v_add_co_u32 v8, s2, v16, v6
	v_add_co_ci_u32_e64 v9, s2, v17, v7, s2
	s_delay_alu instid0(VALU_DEP_3) | instskip(SKIP_4) | instid1(VALU_DEP_4)
	v_or_b32_e32 v17, 8, v4
	v_mov_b32_e32 v4, v24
	v_dual_mov_b32 v19, v21 :: v_dual_add_nc_u32 v14, v12, v14
	v_add_co_ci_u32_e32 v16, vcc_lo, v5, v3, vcc_lo
	v_mov_b32_e32 v21, v22
	v_mad_u64_u32 v[5:6], null, s23, v10, v[4:5]
	v_cmp_gt_i64_e64 s0, s[30:31], v[0:1]
	v_lshlrev_b64 v[6:7], 4, v[18:19]
	v_lshlrev_b64 v[0:1], 4, v[0:1]
	;; [unrolled: 1-line block ×3, first 2 shown]
	s_mul_i32 s8, s25, s15
	s_mul_hi_u32 s9, s24, s15
	v_mov_b32_e32 v24, v5
	s_add_i32 s9, s9, s8
	v_add_co_u32 v18, vcc_lo, v6, v0
	v_add_co_ci_u32_e32 v19, vcc_lo, v7, v1, vcc_lo
	s_delay_alu instid0(VALU_DEP_3) | instskip(SKIP_4) | instid1(VALU_DEP_3)
	v_lshlrev_b64 v[4:5], 4, v[23:24]
	v_add_co_u32 v20, vcc_lo, v20, v2
	s_mul_i32 s8, s24, s15
	v_add_co_ci_u32_e32 v21, vcc_lo, v21, v3, vcc_lo
	s_lshl_b64 s[8:9], s[8:9], 4
	v_add_co_u32 v22, vcc_lo, v4, v0
	s_lshl_b64 s[2:3], s[28:29], 9
	s_add_u32 s8, s8, s20
	v_add_co_ci_u32_e32 v23, vcc_lo, v5, v1, vcc_lo
	s_addc_u32 s9, s9, s21
	s_add_u32 s15, s8, 8
	s_addc_u32 s18, s9, 0
	s_lshl_b64 s[8:9], s[22:23], 9
	s_mov_b64 s[10:11], 0
	s_branch .LBB1870_5
.LBB1870_4:                             ;   in Loop: Header=BB1870_5 Depth=1
	s_or_b32 exec_lo, exec_lo, s19
	s_add_u32 s10, s10, 32
	s_addc_u32 s11, s11, 0
	s_add_u32 s12, s12, s2
	v_cmp_lt_i64_e64 s19, s[10:11], s[16:17]
	s_addc_u32 s13, s13, s3
	s_add_u32 s15, s15, s8
	s_addc_u32 s18, s18, s9
	s_waitcnt_vscnt null, 0x0
	s_barrier
	s_and_b32 vcc_lo, exec_lo, s19
	buffer_gl0_inv
	s_cbranch_vccz .LBB1870_17
.LBB1870_5:                             ; =>This Inner Loop Header: Depth=1
	v_add_co_u32 v2, s19, v10, s10
	s_delay_alu instid0(VALU_DEP_1) | instskip(SKIP_2) | instid1(VALU_DEP_3)
	v_add_co_ci_u32_e64 v3, null, 0, s11, s19
	v_mov_b32_e32 v0, 0
	v_mov_b32_e32 v1, 0
	v_cmp_gt_i64_e32 vcc_lo, s[16:17], v[2:3]
	s_delay_alu instid0(VALU_DEP_2) | instskip(SKIP_2) | instid1(SALU_CYCLE_1)
	v_dual_mov_b32 v5, v1 :: v_dual_mov_b32 v4, v0
	v_dual_mov_b32 v7, v1 :: v_dual_mov_b32 v6, v0
	s_and_b32 s19, s0, vcc_lo
	s_and_saveexec_b32 s20, s19
	s_cbranch_execz .LBB1870_7
; %bb.6:                                ;   in Loop: Header=BB1870_5 Depth=1
	v_add_co_u32 v2, vcc_lo, s15, v22
	v_add_co_ci_u32_e32 v3, vcc_lo, s18, v23, vcc_lo
	global_load_b128 v[4:7], v[2:3], off offset:-8
.LBB1870_7:                             ;   in Loop: Header=BB1870_5 Depth=1
	s_or_b32 exec_lo, exec_lo, s20
	v_add_co_u32 v2, s20, v11, s10
	s_delay_alu instid0(VALU_DEP_1)
	v_add_co_ci_u32_e64 v3, null, 0, s11, s20
	s_waitcnt vmcnt(0)
	ds_store_b128 v14, v[4:7]
	v_cmp_gt_i64_e32 vcc_lo, s[16:17], v[2:3]
	v_dual_mov_b32 v3, v1 :: v_dual_mov_b32 v2, v0
	s_and_b32 s20, s1, vcc_lo
	s_delay_alu instid0(SALU_CYCLE_1)
	s_and_saveexec_b32 s21, s20
	s_cbranch_execz .LBB1870_9
; %bb.8:                                ;   in Loop: Header=BB1870_5 Depth=1
	v_add_co_u32 v0, vcc_lo, s12, v17
	v_add_co_ci_u32_e32 v1, vcc_lo, s13, v16, vcc_lo
	global_load_b128 v[0:3], v[0:1], off offset:-8
	s_waitcnt vmcnt(0)
	v_xor_b32_e32 v3, 0x80000000, v3
.LBB1870_9:                             ;   in Loop: Header=BB1870_5 Depth=1
	s_or_b32 exec_lo, exec_lo, s21
	ds_store_b128 v15, v[0:3]
	s_waitcnt lgkmcnt(0)
	s_barrier
	buffer_gl0_inv
	s_and_saveexec_b32 s21, s14
	s_cbranch_execz .LBB1870_11
; %bb.10:                               ;   in Loop: Header=BB1870_5 Depth=1
	ds_load_b128 v[0:3], v13
	ds_load_b128 v[4:7], v12
	ds_load_b128 v[24:27], v12 offset:16
	ds_load_b128 v[28:31], v13 offset:512
	s_waitcnt lgkmcnt(2)
	v_mul_f64 v[32:33], v[0:1], v[6:7]
	v_mul_f64 v[6:7], v[2:3], v[6:7]
	s_waitcnt lgkmcnt(0)
	v_mul_f64 v[48:49], v[28:29], v[26:27]
	v_mul_f64 v[26:27], v[30:31], v[26:27]
	s_delay_alu instid0(VALU_DEP_4)
	v_fma_f64 v[2:3], v[2:3], v[4:5], v[32:33]
	ds_load_b128 v[32:35], v13 offset:1024
	ds_load_b128 v[36:39], v12 offset:32
	;; [unrolled: 1-line block ×4, first 2 shown]
	v_fma_f64 v[0:1], v[0:1], v[4:5], -v[6:7]
	v_fma_f64 v[4:5], v[30:31], v[24:25], v[48:49]
	v_fma_f64 v[52:53], v[28:29], v[24:25], -v[26:27]
	s_waitcnt lgkmcnt(2)
	v_mul_f64 v[50:51], v[32:33], v[38:39]
	v_mul_f64 v[38:39], v[34:35], v[38:39]
	s_waitcnt lgkmcnt(0)
	v_mul_f64 v[48:49], v[44:45], v[42:43]
	v_mul_f64 v[42:43], v[46:47], v[42:43]
	v_add_f64 v[2:3], v[2:3], 0
	v_fma_f64 v[34:35], v[34:35], v[36:37], v[50:51]
	v_add_f64 v[50:51], v[0:1], 0
	v_fma_f64 v[32:33], v[32:33], v[36:37], -v[38:39]
	v_fma_f64 v[36:37], v[46:47], v[40:41], v[48:49]
	v_add_f64 v[54:55], v[2:3], v[4:5]
	ds_load_b128 v[0:3], v12 offset:64
	ds_load_b128 v[4:7], v13 offset:2048
	ds_load_b128 v[24:27], v13 offset:2560
	ds_load_b128 v[28:31], v12 offset:80
	s_waitcnt lgkmcnt(2)
	v_mul_f64 v[56:57], v[4:5], v[2:3]
	v_add_f64 v[38:39], v[50:51], v[52:53]
	v_mul_f64 v[2:3], v[6:7], v[2:3]
	s_waitcnt lgkmcnt(0)
	v_mul_f64 v[48:49], v[24:25], v[30:31]
	v_fma_f64 v[50:51], v[44:45], v[40:41], -v[42:43]
	v_mul_f64 v[30:31], v[26:27], v[30:31]
	v_add_f64 v[34:35], v[54:55], v[34:35]
	v_fma_f64 v[6:7], v[6:7], v[0:1], v[56:57]
	v_add_f64 v[52:53], v[38:39], v[32:33]
	v_fma_f64 v[0:1], v[4:5], v[0:1], -v[2:3]
	v_fma_f64 v[2:3], v[26:27], v[28:29], v[48:49]
	v_add_f64 v[54:55], v[34:35], v[36:37]
	ds_load_b128 v[32:35], v12 offset:96
	ds_load_b128 v[36:39], v13 offset:3072
	ds_load_b128 v[40:43], v13 offset:3584
	ds_load_b128 v[44:47], v12 offset:112
	s_waitcnt lgkmcnt(2)
	v_mul_f64 v[56:57], v[36:37], v[34:35]
	v_add_f64 v[4:5], v[52:53], v[50:51]
	v_mul_f64 v[34:35], v[38:39], v[34:35]
	s_waitcnt lgkmcnt(0)
	v_mul_f64 v[48:49], v[40:41], v[46:47]
	v_fma_f64 v[50:51], v[24:25], v[28:29], -v[30:31]
	;; [unrolled: 18-line block ×11, first 2 shown]
	v_mul_f64 v[30:31], v[26:27], v[30:31]
	v_add_f64 v[38:39], v[54:55], v[38:39]
	v_fma_f64 v[6:7], v[6:7], v[0:1], v[56:57]
	v_add_f64 v[52:53], v[36:37], v[32:33]
	v_fma_f64 v[0:1], v[4:5], v[0:1], -v[2:3]
	v_fma_f64 v[2:3], v[26:27], v[28:29], v[48:49]
	v_add_f64 v[54:55], v[38:39], v[34:35]
	ds_load_b128 v[32:35], v12 offset:416
	ds_load_b128 v[36:39], v13 offset:13312
	;; [unrolled: 1-line block ×4, first 2 shown]
	s_waitcnt lgkmcnt(2)
	v_mul_f64 v[56:57], v[36:37], v[34:35]
	v_add_f64 v[4:5], v[52:53], v[50:51]
	v_mul_f64 v[34:35], v[38:39], v[34:35]
	s_waitcnt lgkmcnt(0)
	v_mul_f64 v[52:53], v[40:41], v[46:47]
	v_mul_f64 v[46:47], v[42:43], v[46:47]
	v_add_f64 v[6:7], v[54:55], v[6:7]
	v_fma_f64 v[54:55], v[24:25], v[28:29], -v[30:31]
	v_fma_f64 v[38:39], v[38:39], v[32:33], v[56:57]
	v_add_f64 v[56:57], v[4:5], v[0:1]
	v_fma_f64 v[32:33], v[36:37], v[32:33], -v[34:35]
	v_fma_f64 v[34:35], v[42:43], v[44:45], v[52:53]
	v_add_f64 v[58:59], v[6:7], v[2:3]
	ds_load_b128 v[0:3], v12 offset:448
	ds_load_b128 v[4:7], v13 offset:14336
	global_load_b128 v[24:27], v[8:9], off
	ds_load_b128 v[28:31], v13 offset:14848
	ds_load_b128 v[48:51], v12 offset:464
	v_add_f64 v[36:37], v[56:57], v[54:55]
	s_waitcnt lgkmcnt(2)
	v_mul_f64 v[60:61], v[4:5], v[2:3]
	v_mul_f64 v[2:3], v[6:7], v[2:3]
	s_waitcnt lgkmcnt(0)
	v_mul_f64 v[52:53], v[28:29], v[50:51]
	v_fma_f64 v[54:55], v[40:41], v[44:45], -v[46:47]
	v_mul_f64 v[50:51], v[30:31], v[50:51]
	v_add_f64 v[38:39], v[58:59], v[38:39]
	v_add_f64 v[56:57], v[36:37], v[32:33]
	v_fma_f64 v[6:7], v[6:7], v[0:1], v[60:61]
	v_fma_f64 v[0:1], v[4:5], v[0:1], -v[2:3]
	v_fma_f64 v[2:3], v[30:31], v[48:49], v[52:53]
	v_fma_f64 v[28:29], v[28:29], v[48:49], -v[50:51]
	v_add_f64 v[58:59], v[38:39], v[34:35]
	ds_load_b128 v[32:35], v12 offset:480
	ds_load_b128 v[36:39], v13 offset:15360
	;; [unrolled: 1-line block ×4, first 2 shown]
	s_waitcnt lgkmcnt(2)
	v_mul_f64 v[60:61], v[36:37], v[34:35]
	v_add_f64 v[4:5], v[56:57], v[54:55]
	v_mul_f64 v[30:31], v[38:39], v[34:35]
	s_waitcnt lgkmcnt(0)
	v_mul_f64 v[34:35], v[40:41], v[46:47]
	v_add_f64 v[6:7], v[58:59], v[6:7]
	v_fma_f64 v[38:39], v[38:39], v[32:33], v[60:61]
	v_add_f64 v[0:1], v[4:5], v[0:1]
	v_mul_f64 v[4:5], v[42:43], v[46:47]
	s_delay_alu instid0(VALU_DEP_4)
	v_add_f64 v[2:3], v[6:7], v[2:3]
	v_fma_f64 v[6:7], v[36:37], v[32:33], -v[30:31]
	v_fma_f64 v[30:31], v[42:43], v[44:45], v[34:35]
	v_add_f64 v[0:1], v[0:1], v[28:29]
	v_fma_f64 v[4:5], v[40:41], v[44:45], -v[4:5]
	v_add_f64 v[2:3], v[2:3], v[38:39]
	s_delay_alu instid0(VALU_DEP_3) | instskip(NEXT) | instid1(VALU_DEP_2)
	v_add_f64 v[0:1], v[0:1], v[6:7]
	v_add_f64 v[2:3], v[2:3], v[30:31]
	s_delay_alu instid0(VALU_DEP_2) | instskip(NEXT) | instid1(VALU_DEP_2)
	v_add_f64 v[0:1], v[0:1], v[4:5]
	v_mul_f64 v[4:5], s[6:7], v[2:3]
	v_mul_f64 v[2:3], s[4:5], v[2:3]
	s_delay_alu instid0(VALU_DEP_2) | instskip(NEXT) | instid1(VALU_DEP_2)
	v_fma_f64 v[4:5], s[4:5], v[0:1], -v[4:5]
	v_fma_f64 v[2:3], s[6:7], v[0:1], v[2:3]
	s_waitcnt vmcnt(0)
	s_delay_alu instid0(VALU_DEP_2) | instskip(NEXT) | instid1(VALU_DEP_2)
	v_add_f64 v[0:1], v[24:25], v[4:5]
	v_add_f64 v[2:3], v[26:27], v[2:3]
	global_store_b128 v[8:9], v[0:3], off
.LBB1870_11:                            ;   in Loop: Header=BB1870_5 Depth=1
	s_or_b32 exec_lo, exec_lo, s21
	v_mov_b32_e32 v2, 0
	v_mov_b32_e32 v3, 0
	s_waitcnt_vscnt null, 0x0
	s_barrier
	buffer_gl0_inv
	v_dual_mov_b32 v7, v3 :: v_dual_mov_b32 v6, v2
	v_dual_mov_b32 v5, v3 :: v_dual_mov_b32 v4, v2
	s_and_saveexec_b32 s21, s19
	s_cbranch_execz .LBB1870_13
; %bb.12:                               ;   in Loop: Header=BB1870_5 Depth=1
	v_add_co_u32 v0, vcc_lo, s12, v18
	v_add_co_ci_u32_e32 v1, vcc_lo, s13, v19, vcc_lo
	global_load_b128 v[4:7], v[0:1], off
.LBB1870_13:                            ;   in Loop: Header=BB1870_5 Depth=1
	s_or_b32 exec_lo, exec_lo, s21
	v_dual_mov_b32 v0, v2 :: v_dual_mov_b32 v1, v3
	s_waitcnt vmcnt(0)
	ds_store_b128 v14, v[4:7]
	s_and_saveexec_b32 s19, s20
	s_cbranch_execz .LBB1870_15
; %bb.14:                               ;   in Loop: Header=BB1870_5 Depth=1
	v_add_co_u32 v0, vcc_lo, s15, v20
	v_add_co_ci_u32_e32 v1, vcc_lo, s18, v21, vcc_lo
	global_load_b128 v[0:3], v[0:1], off offset:-8
	s_waitcnt vmcnt(0)
	v_xor_b32_e32 v3, 0x80000000, v3
.LBB1870_15:                            ;   in Loop: Header=BB1870_5 Depth=1
	s_or_b32 exec_lo, exec_lo, s19
	ds_store_b128 v15, v[0:3]
	s_waitcnt lgkmcnt(0)
	s_barrier
	buffer_gl0_inv
	s_and_saveexec_b32 s19, s14
	s_cbranch_execz .LBB1870_4
; %bb.16:                               ;   in Loop: Header=BB1870_5 Depth=1
	ds_load_b128 v[0:3], v13
	ds_load_b128 v[4:7], v12
	ds_load_b128 v[24:27], v12 offset:16
	ds_load_b128 v[28:31], v13 offset:512
	s_waitcnt lgkmcnt(2)
	v_mul_f64 v[32:33], v[2:3], v[6:7]
	v_mul_f64 v[6:7], v[0:1], v[6:7]
	s_waitcnt lgkmcnt(0)
	v_mul_f64 v[48:49], v[30:31], v[26:27]
	v_mul_f64 v[26:27], v[28:29], v[26:27]
	s_delay_alu instid0(VALU_DEP_4)
	v_fma_f64 v[0:1], v[0:1], v[4:5], -v[32:33]
	ds_load_b128 v[32:35], v13 offset:1024
	ds_load_b128 v[36:39], v12 offset:32
	;; [unrolled: 1-line block ×4, first 2 shown]
	v_fma_f64 v[2:3], v[2:3], v[4:5], v[6:7]
	v_fma_f64 v[4:5], v[28:29], v[24:25], -v[48:49]
	v_fma_f64 v[52:53], v[30:31], v[24:25], v[26:27]
	s_waitcnt lgkmcnt(2)
	v_mul_f64 v[50:51], v[34:35], v[38:39]
	v_mul_f64 v[38:39], v[32:33], v[38:39]
	s_waitcnt lgkmcnt(0)
	v_mul_f64 v[48:49], v[46:47], v[42:43]
	v_mul_f64 v[42:43], v[44:45], v[42:43]
	v_add_f64 v[0:1], v[0:1], 0
	v_fma_f64 v[32:33], v[32:33], v[36:37], -v[50:51]
	v_add_f64 v[50:51], v[2:3], 0
	v_fma_f64 v[34:35], v[34:35], v[36:37], v[38:39]
	v_fma_f64 v[36:37], v[44:45], v[40:41], -v[48:49]
	v_fma_f64 v[46:47], v[46:47], v[40:41], v[42:43]
	v_add_f64 v[54:55], v[0:1], v[4:5]
	ds_load_b128 v[0:3], v12 offset:64
	ds_load_b128 v[4:7], v13 offset:2048
	;; [unrolled: 1-line block ×4, first 2 shown]
	s_waitcnt lgkmcnt(2)
	v_mul_f64 v[56:57], v[6:7], v[2:3]
	v_add_f64 v[38:39], v[50:51], v[52:53]
	v_mul_f64 v[44:45], v[4:5], v[2:3]
	s_waitcnt lgkmcnt(0)
	v_mul_f64 v[48:49], v[26:27], v[30:31]
	v_mul_f64 v[30:31], v[24:25], v[30:31]
	v_add_f64 v[32:33], v[54:55], v[32:33]
	v_fma_f64 v[50:51], v[4:5], v[0:1], -v[56:57]
	v_add_f64 v[52:53], v[38:39], v[34:35]
	v_fma_f64 v[0:1], v[6:7], v[0:1], v[44:45]
	v_fma_f64 v[6:7], v[24:25], v[28:29], -v[48:49]
	v_add_f64 v[54:55], v[32:33], v[36:37]
	ds_load_b128 v[2:5], v12 offset:96
	ds_load_b128 v[32:35], v13 offset:3072
	;; [unrolled: 1-line block ×4, first 2 shown]
	s_waitcnt lgkmcnt(2)
	v_mul_f64 v[56:57], v[34:35], v[4:5]
	v_add_f64 v[24:25], v[52:53], v[46:47]
	v_mul_f64 v[48:49], v[32:33], v[4:5]
	v_fma_f64 v[52:53], v[26:27], v[28:29], v[30:31]
	v_add_f64 v[44:45], v[54:55], v[50:51]
	s_waitcnt lgkmcnt(0)
	v_mul_f64 v[50:51], v[38:39], v[42:43]
	v_mul_f64 v[42:43], v[36:37], v[42:43]
	v_fma_f64 v[32:33], v[32:33], v[2:3], -v[56:57]
	v_add_f64 v[0:1], v[24:25], v[0:1]
	v_fma_f64 v[2:3], v[34:35], v[2:3], v[48:49]
	v_add_f64 v[54:55], v[44:45], v[6:7]
	ds_load_b128 v[4:7], v12 offset:128
	ds_load_b128 v[24:27], v13 offset:4096
	;; [unrolled: 1-line block ×4, first 2 shown]
	v_fma_f64 v[34:35], v[36:37], v[40:41], -v[50:51]
	v_fma_f64 v[50:51], v[38:39], v[40:41], v[42:43]
	s_waitcnt lgkmcnt(2)
	v_mul_f64 v[56:57], v[26:27], v[6:7]
	v_add_f64 v[0:1], v[0:1], v[52:53]
	v_mul_f64 v[6:7], v[24:25], v[6:7]
	s_waitcnt lgkmcnt(0)
	v_mul_f64 v[48:49], v[30:31], v[46:47]
	v_mul_f64 v[46:47], v[28:29], v[46:47]
	v_add_f64 v[32:33], v[54:55], v[32:33]
	v_fma_f64 v[24:25], v[24:25], v[4:5], -v[56:57]
	v_add_f64 v[52:53], v[0:1], v[2:3]
	v_fma_f64 v[4:5], v[26:27], v[4:5], v[6:7]
	v_fma_f64 v[6:7], v[28:29], v[44:45], -v[48:49]
	v_add_f64 v[54:55], v[32:33], v[34:35]
	ds_load_b128 v[0:3], v12 offset:160
	ds_load_b128 v[32:35], v13 offset:5120
	;; [unrolled: 1-line block ×4, first 2 shown]
	s_waitcnt lgkmcnt(2)
	v_mul_f64 v[56:57], v[34:35], v[2:3]
	v_add_f64 v[26:27], v[52:53], v[50:51]
	v_mul_f64 v[48:49], v[32:33], v[2:3]
	s_waitcnt lgkmcnt(0)
	v_mul_f64 v[50:51], v[38:39], v[42:43]
	v_fma_f64 v[52:53], v[30:31], v[44:45], v[46:47]
	v_mul_f64 v[42:43], v[36:37], v[42:43]
	v_add_f64 v[24:25], v[54:55], v[24:25]
	v_fma_f64 v[32:33], v[32:33], v[0:1], -v[56:57]
	v_add_f64 v[54:55], v[26:27], v[4:5]
	v_fma_f64 v[0:1], v[34:35], v[0:1], v[48:49]
	v_fma_f64 v[34:35], v[36:37], v[40:41], -v[50:51]
	v_add_f64 v[6:7], v[24:25], v[6:7]
	ds_load_b128 v[2:5], v12 offset:192
	ds_load_b128 v[24:27], v13 offset:6144
	;; [unrolled: 1-line block ×4, first 2 shown]
	s_waitcnt lgkmcnt(2)
	v_mul_f64 v[56:57], v[26:27], v[4:5]
	v_add_f64 v[36:37], v[54:55], v[52:53]
	v_mul_f64 v[48:49], v[24:25], v[4:5]
	s_waitcnt lgkmcnt(0)
	v_mul_f64 v[50:51], v[30:31], v[46:47]
	v_fma_f64 v[52:53], v[38:39], v[40:41], v[42:43]
	v_mul_f64 v[46:47], v[28:29], v[46:47]
	v_add_f64 v[6:7], v[6:7], v[32:33]
	v_fma_f64 v[24:25], v[24:25], v[2:3], -v[56:57]
	v_add_f64 v[0:1], v[36:37], v[0:1]
	v_fma_f64 v[2:3], v[26:27], v[2:3], v[48:49]
	v_fma_f64 v[26:27], v[28:29], v[44:45], -v[50:51]
	v_fma_f64 v[50:51], v[30:31], v[44:45], v[46:47]
	v_add_f64 v[54:55], v[6:7], v[34:35]
	ds_load_b128 v[4:7], v12 offset:224
	ds_load_b128 v[32:35], v13 offset:7168
	;; [unrolled: 1-line block ×4, first 2 shown]
	s_waitcnt lgkmcnt(2)
	v_mul_f64 v[56:57], v[34:35], v[6:7]
	v_add_f64 v[0:1], v[0:1], v[52:53]
	v_mul_f64 v[6:7], v[32:33], v[6:7]
	s_waitcnt lgkmcnt(0)
	v_mul_f64 v[48:49], v[38:39], v[42:43]
	v_mul_f64 v[42:43], v[36:37], v[42:43]
	v_add_f64 v[24:25], v[54:55], v[24:25]
	v_fma_f64 v[32:33], v[32:33], v[4:5], -v[56:57]
	v_add_f64 v[52:53], v[0:1], v[2:3]
	v_fma_f64 v[4:5], v[34:35], v[4:5], v[6:7]
	v_fma_f64 v[6:7], v[36:37], v[40:41], -v[48:49]
	v_add_f64 v[54:55], v[24:25], v[26:27]
	ds_load_b128 v[0:3], v12 offset:256
	ds_load_b128 v[24:27], v13 offset:8192
	;; [unrolled: 1-line block ×4, first 2 shown]
	s_waitcnt lgkmcnt(2)
	v_mul_f64 v[56:57], v[26:27], v[2:3]
	v_add_f64 v[34:35], v[52:53], v[50:51]
	v_mul_f64 v[48:49], v[24:25], v[2:3]
	s_waitcnt lgkmcnt(0)
	v_mul_f64 v[50:51], v[30:31], v[46:47]
	v_fma_f64 v[52:53], v[38:39], v[40:41], v[42:43]
	v_mul_f64 v[46:47], v[28:29], v[46:47]
	v_add_f64 v[32:33], v[54:55], v[32:33]
	v_fma_f64 v[24:25], v[24:25], v[0:1], -v[56:57]
	v_add_f64 v[54:55], v[34:35], v[4:5]
	v_fma_f64 v[0:1], v[26:27], v[0:1], v[48:49]
	v_fma_f64 v[26:27], v[28:29], v[44:45], -v[50:51]
	v_add_f64 v[6:7], v[32:33], v[6:7]
	ds_load_b128 v[2:5], v12 offset:288
	ds_load_b128 v[32:35], v13 offset:9216
	;; [unrolled: 1-line block ×4, first 2 shown]
	s_waitcnt lgkmcnt(2)
	v_mul_f64 v[56:57], v[34:35], v[4:5]
	v_add_f64 v[28:29], v[54:55], v[52:53]
	v_mul_f64 v[48:49], v[32:33], v[4:5]
	s_waitcnt lgkmcnt(0)
	v_mul_f64 v[50:51], v[38:39], v[42:43]
	v_fma_f64 v[52:53], v[30:31], v[44:45], v[46:47]
	v_mul_f64 v[42:43], v[36:37], v[42:43]
	v_add_f64 v[6:7], v[6:7], v[24:25]
	v_fma_f64 v[32:33], v[32:33], v[2:3], -v[56:57]
	v_add_f64 v[0:1], v[28:29], v[0:1]
	v_fma_f64 v[2:3], v[34:35], v[2:3], v[48:49]
	v_fma_f64 v[34:35], v[36:37], v[40:41], -v[50:51]
	v_fma_f64 v[50:51], v[38:39], v[40:41], v[42:43]
	v_add_f64 v[54:55], v[6:7], v[26:27]
	ds_load_b128 v[4:7], v12 offset:320
	ds_load_b128 v[24:27], v13 offset:10240
	;; [unrolled: 1-line block ×4, first 2 shown]
	s_waitcnt lgkmcnt(2)
	v_mul_f64 v[56:57], v[26:27], v[6:7]
	v_add_f64 v[0:1], v[0:1], v[52:53]
	v_mul_f64 v[6:7], v[24:25], v[6:7]
	s_waitcnt lgkmcnt(0)
	v_mul_f64 v[48:49], v[30:31], v[46:47]
	v_mul_f64 v[46:47], v[28:29], v[46:47]
	v_add_f64 v[32:33], v[54:55], v[32:33]
	v_fma_f64 v[24:25], v[24:25], v[4:5], -v[56:57]
	v_add_f64 v[52:53], v[0:1], v[2:3]
	v_fma_f64 v[4:5], v[26:27], v[4:5], v[6:7]
	v_fma_f64 v[6:7], v[28:29], v[44:45], -v[48:49]
	v_add_f64 v[54:55], v[32:33], v[34:35]
	ds_load_b128 v[0:3], v12 offset:352
	ds_load_b128 v[32:35], v13 offset:11264
	;; [unrolled: 1-line block ×4, first 2 shown]
	s_waitcnt lgkmcnt(2)
	v_mul_f64 v[56:57], v[34:35], v[2:3]
	v_add_f64 v[26:27], v[52:53], v[50:51]
	v_mul_f64 v[48:49], v[32:33], v[2:3]
	s_waitcnt lgkmcnt(0)
	v_mul_f64 v[50:51], v[38:39], v[42:43]
	v_fma_f64 v[52:53], v[30:31], v[44:45], v[46:47]
	v_mul_f64 v[42:43], v[36:37], v[42:43]
	v_add_f64 v[24:25], v[54:55], v[24:25]
	v_fma_f64 v[32:33], v[32:33], v[0:1], -v[56:57]
	v_add_f64 v[54:55], v[26:27], v[4:5]
	v_fma_f64 v[0:1], v[34:35], v[0:1], v[48:49]
	v_fma_f64 v[34:35], v[36:37], v[40:41], -v[50:51]
	v_add_f64 v[6:7], v[24:25], v[6:7]
	ds_load_b128 v[2:5], v12 offset:384
	ds_load_b128 v[24:27], v13 offset:12288
	;; [unrolled: 1-line block ×4, first 2 shown]
	s_waitcnt lgkmcnt(2)
	v_mul_f64 v[56:57], v[26:27], v[4:5]
	v_add_f64 v[36:37], v[54:55], v[52:53]
	v_mul_f64 v[48:49], v[24:25], v[4:5]
	s_waitcnt lgkmcnt(0)
	v_mul_f64 v[50:51], v[30:31], v[46:47]
	v_fma_f64 v[52:53], v[38:39], v[40:41], v[42:43]
	v_mul_f64 v[46:47], v[28:29], v[46:47]
	v_add_f64 v[6:7], v[6:7], v[32:33]
	v_fma_f64 v[24:25], v[24:25], v[2:3], -v[56:57]
	v_add_f64 v[0:1], v[36:37], v[0:1]
	v_fma_f64 v[2:3], v[26:27], v[2:3], v[48:49]
	v_fma_f64 v[26:27], v[28:29], v[44:45], -v[50:51]
	v_add_f64 v[54:55], v[6:7], v[34:35]
	ds_load_b128 v[4:7], v12 offset:416
	ds_load_b128 v[32:35], v13 offset:13312
	;; [unrolled: 1-line block ×4, first 2 shown]
	s_waitcnt lgkmcnt(2)
	v_mul_f64 v[56:57], v[34:35], v[6:7]
	v_add_f64 v[0:1], v[0:1], v[52:53]
	v_mul_f64 v[6:7], v[32:33], v[6:7]
	s_waitcnt lgkmcnt(0)
	v_mul_f64 v[52:53], v[38:39], v[42:43]
	v_mul_f64 v[42:43], v[36:37], v[42:43]
	v_add_f64 v[24:25], v[54:55], v[24:25]
	v_fma_f64 v[54:55], v[30:31], v[44:45], v[46:47]
	v_fma_f64 v[32:33], v[32:33], v[4:5], -v[56:57]
	v_add_f64 v[56:57], v[0:1], v[2:3]
	v_fma_f64 v[4:5], v[34:35], v[4:5], v[6:7]
	v_fma_f64 v[6:7], v[36:37], v[40:41], -v[52:53]
	v_add_f64 v[58:59], v[24:25], v[26:27]
	ds_load_b128 v[0:3], v12 offset:448
	ds_load_b128 v[24:27], v13 offset:14336
	global_load_b128 v[28:31], v[8:9], off
	ds_load_b128 v[44:47], v13 offset:14848
	ds_load_b128 v[48:51], v12 offset:464
	v_add_f64 v[34:35], v[56:57], v[54:55]
	s_waitcnt lgkmcnt(2)
	v_mul_f64 v[60:61], v[26:27], v[2:3]
	v_mul_f64 v[52:53], v[24:25], v[2:3]
	s_waitcnt lgkmcnt(0)
	v_mul_f64 v[54:55], v[46:47], v[50:51]
	v_fma_f64 v[56:57], v[38:39], v[40:41], v[42:43]
	v_mul_f64 v[50:51], v[44:45], v[50:51]
	v_add_f64 v[32:33], v[58:59], v[32:33]
	v_add_f64 v[58:59], v[34:35], v[4:5]
	v_fma_f64 v[24:25], v[24:25], v[0:1], -v[60:61]
	v_fma_f64 v[0:1], v[26:27], v[0:1], v[52:53]
	v_fma_f64 v[26:27], v[44:45], v[48:49], -v[54:55]
	v_fma_f64 v[46:47], v[46:47], v[48:49], v[50:51]
	v_add_f64 v[6:7], v[32:33], v[6:7]
	ds_load_b128 v[2:5], v12 offset:480
	ds_load_b128 v[32:35], v13 offset:15360
	;; [unrolled: 1-line block ×4, first 2 shown]
	s_waitcnt lgkmcnt(2)
	v_mul_f64 v[60:61], v[34:35], v[4:5]
	v_add_f64 v[44:45], v[58:59], v[56:57]
	v_mul_f64 v[4:5], v[32:33], v[4:5]
	v_add_f64 v[6:7], v[6:7], v[24:25]
	s_waitcnt lgkmcnt(0)
	v_mul_f64 v[24:25], v[38:39], v[42:43]
	v_fma_f64 v[32:33], v[32:33], v[2:3], -v[60:61]
	v_add_f64 v[0:1], v[44:45], v[0:1]
	v_fma_f64 v[2:3], v[34:35], v[2:3], v[4:5]
	v_add_f64 v[6:7], v[6:7], v[26:27]
	v_mul_f64 v[26:27], v[36:37], v[42:43]
	v_fma_f64 v[4:5], v[36:37], v[40:41], -v[24:25]
	v_add_f64 v[0:1], v[0:1], v[46:47]
	s_delay_alu instid0(VALU_DEP_4) | instskip(NEXT) | instid1(VALU_DEP_4)
	v_add_f64 v[6:7], v[6:7], v[32:33]
	v_fma_f64 v[24:25], v[38:39], v[40:41], v[26:27]
	s_delay_alu instid0(VALU_DEP_3) | instskip(NEXT) | instid1(VALU_DEP_3)
	v_add_f64 v[0:1], v[0:1], v[2:3]
	v_add_f64 v[2:3], v[6:7], v[4:5]
	s_delay_alu instid0(VALU_DEP_2) | instskip(NEXT) | instid1(VALU_DEP_2)
	v_add_f64 v[0:1], v[0:1], v[24:25]
	v_mul_f64 v[4:5], s[4:5], v[2:3]
	v_mul_f64 v[2:3], s[6:7], v[2:3]
	s_delay_alu instid0(VALU_DEP_2) | instskip(NEXT) | instid1(VALU_DEP_2)
	v_fma_f64 v[4:5], s[6:7], v[0:1], v[4:5]
	v_fma_f64 v[2:3], s[4:5], v[0:1], -v[2:3]
	s_waitcnt vmcnt(0)
	s_delay_alu instid0(VALU_DEP_2) | instskip(NEXT) | instid1(VALU_DEP_2)
	v_add_f64 v[0:1], v[28:29], v[4:5]
	v_add_f64 v[2:3], v[30:31], v[2:3]
	global_store_b128 v[8:9], v[0:3], off
	s_branch .LBB1870_4
.LBB1870_17:
	s_endpgm
	.section	.rodata,"a",@progbits
	.p2align	6, 0x0
	.amdhsa_kernel _ZL26rocblas_syr2k_her2k_kernelIlLb1ELb1ELb0ELi32EPK19rocblas_complex_numIdES3_PS1_EvbiT_T4_T5_S5_lS7_S5_lT6_S5_li
		.amdhsa_group_segment_fixed_size 32768
		.amdhsa_private_segment_fixed_size 0
		.amdhsa_kernarg_size 100
		.amdhsa_user_sgpr_count 13
		.amdhsa_user_sgpr_dispatch_ptr 0
		.amdhsa_user_sgpr_queue_ptr 0
		.amdhsa_user_sgpr_kernarg_segment_ptr 1
		.amdhsa_user_sgpr_dispatch_id 0
		.amdhsa_user_sgpr_private_segment_size 0
		.amdhsa_wavefront_size32 1
		.amdhsa_uses_dynamic_stack 0
		.amdhsa_enable_private_segment 0
		.amdhsa_system_sgpr_workgroup_id_x 1
		.amdhsa_system_sgpr_workgroup_id_y 1
		.amdhsa_system_sgpr_workgroup_id_z 1
		.amdhsa_system_sgpr_workgroup_info 0
		.amdhsa_system_vgpr_workitem_id 1
		.amdhsa_next_free_vgpr 62
		.amdhsa_next_free_sgpr 32
		.amdhsa_reserve_vcc 1
		.amdhsa_float_round_mode_32 0
		.amdhsa_float_round_mode_16_64 0
		.amdhsa_float_denorm_mode_32 3
		.amdhsa_float_denorm_mode_16_64 3
		.amdhsa_dx10_clamp 1
		.amdhsa_ieee_mode 1
		.amdhsa_fp16_overflow 0
		.amdhsa_workgroup_processor_mode 1
		.amdhsa_memory_ordered 1
		.amdhsa_forward_progress 0
		.amdhsa_shared_vgpr_count 0
		.amdhsa_exception_fp_ieee_invalid_op 0
		.amdhsa_exception_fp_denorm_src 0
		.amdhsa_exception_fp_ieee_div_zero 0
		.amdhsa_exception_fp_ieee_overflow 0
		.amdhsa_exception_fp_ieee_underflow 0
		.amdhsa_exception_fp_ieee_inexact 0
		.amdhsa_exception_int_div_zero 0
	.end_amdhsa_kernel
	.section	.text._ZL26rocblas_syr2k_her2k_kernelIlLb1ELb1ELb0ELi32EPK19rocblas_complex_numIdES3_PS1_EvbiT_T4_T5_S5_lS7_S5_lT6_S5_li,"axG",@progbits,_ZL26rocblas_syr2k_her2k_kernelIlLb1ELb1ELb0ELi32EPK19rocblas_complex_numIdES3_PS1_EvbiT_T4_T5_S5_lS7_S5_lT6_S5_li,comdat
.Lfunc_end1870:
	.size	_ZL26rocblas_syr2k_her2k_kernelIlLb1ELb1ELb0ELi32EPK19rocblas_complex_numIdES3_PS1_EvbiT_T4_T5_S5_lS7_S5_lT6_S5_li, .Lfunc_end1870-_ZL26rocblas_syr2k_her2k_kernelIlLb1ELb1ELb0ELi32EPK19rocblas_complex_numIdES3_PS1_EvbiT_T4_T5_S5_lS7_S5_lT6_S5_li
                                        ; -- End function
	.section	.AMDGPU.csdata,"",@progbits
; Kernel info:
; codeLenInByte = 5680
; NumSgprs: 34
; NumVgprs: 62
; ScratchSize: 0
; MemoryBound: 1
; FloatMode: 240
; IeeeMode: 1
; LDSByteSize: 32768 bytes/workgroup (compile time only)
; SGPRBlocks: 4
; VGPRBlocks: 7
; NumSGPRsForWavesPerEU: 34
; NumVGPRsForWavesPerEU: 62
; Occupancy: 16
; WaveLimiterHint : 0
; COMPUTE_PGM_RSRC2:SCRATCH_EN: 0
; COMPUTE_PGM_RSRC2:USER_SGPR: 13
; COMPUTE_PGM_RSRC2:TRAP_HANDLER: 0
; COMPUTE_PGM_RSRC2:TGID_X_EN: 1
; COMPUTE_PGM_RSRC2:TGID_Y_EN: 1
; COMPUTE_PGM_RSRC2:TGID_Z_EN: 1
; COMPUTE_PGM_RSRC2:TIDIG_COMP_CNT: 1
	.section	.text._ZL26rocblas_syr2k_her2k_kernelIlLb1ELb1ELb1ELi32EPK19rocblas_complex_numIdES3_PS1_EvbiT_T4_T5_S5_lS7_S5_lT6_S5_li,"axG",@progbits,_ZL26rocblas_syr2k_her2k_kernelIlLb1ELb1ELb1ELi32EPK19rocblas_complex_numIdES3_PS1_EvbiT_T4_T5_S5_lS7_S5_lT6_S5_li,comdat
	.globl	_ZL26rocblas_syr2k_her2k_kernelIlLb1ELb1ELb1ELi32EPK19rocblas_complex_numIdES3_PS1_EvbiT_T4_T5_S5_lS7_S5_lT6_S5_li ; -- Begin function _ZL26rocblas_syr2k_her2k_kernelIlLb1ELb1ELb1ELi32EPK19rocblas_complex_numIdES3_PS1_EvbiT_T4_T5_S5_lS7_S5_lT6_S5_li
	.p2align	8
	.type	_ZL26rocblas_syr2k_her2k_kernelIlLb1ELb1ELb1ELi32EPK19rocblas_complex_numIdES3_PS1_EvbiT_T4_T5_S5_lS7_S5_lT6_S5_li,@function
_ZL26rocblas_syr2k_her2k_kernelIlLb1ELb1ELb1ELi32EPK19rocblas_complex_numIdES3_PS1_EvbiT_T4_T5_S5_lS7_S5_lT6_S5_li: ; @_ZL26rocblas_syr2k_her2k_kernelIlLb1ELb1ELb1ELi32EPK19rocblas_complex_numIdES3_PS1_EvbiT_T4_T5_S5_lS7_S5_lT6_S5_li
; %bb.0:
	s_load_b512 s[16:31], s[0:1], 0x8
	s_waitcnt lgkmcnt(0)
	s_load_b128 s[4:7], s[18:19], 0x0
	s_waitcnt lgkmcnt(0)
	v_cmp_eq_f64_e64 s2, s[4:5], 0
	v_cmp_eq_f64_e64 s3, s[6:7], 0
	s_delay_alu instid0(VALU_DEP_1) | instskip(NEXT) | instid1(SALU_CYCLE_1)
	s_and_b32 s2, s2, s3
	s_and_b32 vcc_lo, exec_lo, s2
	s_cbranch_vccnz .LBB1871_17
; %bb.1:
	s_load_b64 s[2:3], s[0:1], 0x0
	s_lshl_b32 s12, s14, 5
	s_lshl_b32 s13, s13, 5
	s_waitcnt lgkmcnt(0)
	s_and_b32 s2, 1, s2
	s_delay_alu instid0(SALU_CYCLE_1) | instskip(SKIP_1) | instid1(SALU_CYCLE_1)
	s_cmp_eq_u32 s2, 1
	s_cselect_b32 s2, -1, 0
	s_and_b32 s8, s2, exec_lo
	s_cselect_b32 s8, s13, s12
	s_cselect_b32 s9, s12, s13
	s_delay_alu instid0(SALU_CYCLE_1)
	s_cmp_gt_i32 s8, s9
	s_cbranch_scc1 .LBB1871_17
; %bb.2:
	v_cmp_lt_i64_e64 s8, s[16:17], 1
	s_delay_alu instid0(VALU_DEP_1)
	s_and_b32 vcc_lo, exec_lo, s8
	s_cbranch_vccnz .LBB1871_17
; %bb.3:
	s_clause 0x1
	s_load_b64 s[18:19], s[0:1], 0x58
	s_load_b128 s[8:11], s[0:1], 0x48
	v_bfe_u32 v10, v0, 10, 10
	v_mov_b32_e32 v1, 0
	v_and_b32_e32 v11, 0x3ff, v0
	s_delay_alu instid0(VALU_DEP_2) | instskip(NEXT) | instid1(VALU_DEP_2)
	v_dual_mov_b32 v3, v1 :: v_dual_add_nc_u32 v2, s12, v10
	v_add_nc_u32_e32 v0, s13, v11
	s_mov_b32 s12, s3
	s_delay_alu instid0(VALU_DEP_2) | instskip(SKIP_1) | instid1(VALU_DEP_3)
	v_ashrrev_i32_e32 v4, 31, v2
	v_mad_u64_u32 v[6:7], null, s28, v2, 0
	v_cndmask_b32_e64 v8, v0, v2, s2
	v_cndmask_b32_e64 v9, v2, v0, s2
	v_lshlrev_b32_e32 v22, 4, v10
	v_mad_u64_u32 v[20:21], null, s22, v0, 0
	s_waitcnt lgkmcnt(0)
	s_mul_i32 s1, s15, s19
	v_mul_lo_u32 v15, v4, s10
	v_mul_lo_u32 v16, v2, s11
	v_mad_u64_u32 v[4:5], null, v2, s10, 0
	s_mul_hi_u32 s2, s15, s18
	s_mul_i32 s0, s15, s18
	s_add_i32 s1, s2, s1
	v_cmp_le_i32_e64 s2, v9, v8
	s_lshl_b64 s[0:1], s[0:1], 4
	s_delay_alu instid0(SALU_CYCLE_1)
	s_add_u32 s8, s8, s0
	s_addc_u32 s9, s9, s1
	s_ashr_i32 s13, s3, 31
	v_add3_u32 v5, v5, v16, v15
	v_cmp_gt_i64_e64 s0, s[12:13], v[0:1]
	v_max_i32_e32 v1, v0, v2
	v_cmp_gt_i64_e64 s1, s[12:13], v[2:3]
	v_mov_b32_e32 v3, v7
	v_lshlrev_b64 v[4:5], 4, v[4:5]
	v_mad_u64_u32 v[16:17], null, s28, v0, 0
	v_cmp_gt_i32_e32 vcc_lo, s3, v1
	v_ashrrev_i32_e32 v1, 31, v0
	v_or_b32_e32 v13, 0x4000, v22
	v_mad_u64_u32 v[7:8], null, s29, v2, v[3:4]
	v_add_co_u32 v8, s3, s8, v4
	s_delay_alu instid0(VALU_DEP_4) | instskip(SKIP_4) | instid1(VALU_DEP_3)
	v_lshlrev_b64 v[3:4], 4, v[0:1]
	v_add_co_ci_u32_e64 v5, s3, s9, v5, s3
	s_mul_i32 s8, s31, s15
	s_mul_hi_u32 s9, s30, s15
	v_mov_b32_e32 v1, v17
	v_add_co_u32 v8, s3, v8, v3
	s_delay_alu instid0(VALU_DEP_1)
	v_add_co_ci_u32_e64 v9, s3, v5, v4, s3
	v_lshlrev_b64 v[3:4], 4, v[6:7]
	s_add_i32 s9, s9, s8
	s_mul_i32 s8, s30, s15
	v_lshlrev_b32_e32 v7, 4, v11
	s_lshl_b64 s[8:9], s[8:9], 4
	v_mad_u64_u32 v[5:6], null, s29, v0, v[1:2]
	v_add_co_u32 v1, s3, s8, v3
	s_delay_alu instid0(VALU_DEP_1) | instskip(SKIP_1) | instid1(VALU_DEP_3)
	v_add_co_ci_u32_e64 v6, s3, s9, v4, s3
	v_mad_u64_u32 v[3:4], null, s22, v2, 0
	v_add_co_u32 v1, s3, v1, v7
	s_delay_alu instid0(VALU_DEP_1) | instskip(SKIP_1) | instid1(VALU_DEP_3)
	v_add_co_ci_u32_e64 v6, s3, 0, v6, s3
	v_mov_b32_e32 v17, v5
	v_add_co_u32 v18, s3, v1, s26
	s_delay_alu instid0(VALU_DEP_1) | instskip(SKIP_1) | instid1(VALU_DEP_4)
	v_add_co_ci_u32_e64 v19, s3, s27, v6, s3
	v_mov_b32_e32 v1, v4
	v_lshlrev_b64 v[5:6], 4, v[16:17]
	s_delay_alu instid0(VALU_DEP_4) | instskip(NEXT) | instid1(VALU_DEP_1)
	v_add_co_u32 v16, s3, v18, 8
	v_add_co_ci_u32_e64 v17, s3, 0, v19, s3
	s_delay_alu instid0(VALU_DEP_4) | instskip(NEXT) | instid1(VALU_DEP_4)
	v_mad_u64_u32 v[18:19], null, s23, v2, v[1:2]
	v_add_co_u32 v2, s3, s8, v5
	v_mov_b32_e32 v1, v21
	v_add_co_ci_u32_e64 v19, s3, s9, v6, s3
	s_mul_i32 s8, s25, s15
	s_delay_alu instid0(VALU_DEP_4) | instskip(SKIP_3) | instid1(VALU_DEP_3)
	v_mov_b32_e32 v4, v18
	v_lshlrev_b32_e32 v12, 9, v11
	v_mad_u64_u32 v[5:6], null, s23, v0, v[1:2]
	v_add_co_u32 v2, s3, v2, v22
	v_add_nc_u32_e32 v14, v12, v22
	s_mul_hi_u32 s9, s24, s15
	v_add_co_ci_u32_e64 v6, s3, 0, v19, s3
	s_delay_alu instid0(VALU_DEP_4)
	v_mov_b32_e32 v21, v5
	v_lshlrev_b64 v[0:1], 4, v[3:4]
	s_add_i32 s9, s9, s8
	s_mul_i32 s8, s24, s15
	v_add_co_u32 v18, s3, s26, v2
	v_lshlrev_b64 v[2:3], 4, v[20:21]
	s_lshl_b64 s[8:9], s[8:9], 4
	v_add_co_ci_u32_e64 v19, s3, s27, v6, s3
	v_add_co_u32 v0, s3, s8, v0
	s_delay_alu instid0(VALU_DEP_1) | instskip(NEXT) | instid1(VALU_DEP_4)
	v_add_co_ci_u32_e64 v1, s3, s9, v1, s3
	v_add_co_u32 v2, s3, s8, v2
	s_delay_alu instid0(VALU_DEP_1) | instskip(NEXT) | instid1(VALU_DEP_4)
	;; [unrolled: 3-line block ×7, first 2 shown]
	v_add_co_ci_u32_e64 v21, s3, 0, v1, s3
	v_add_co_u32 v22, s3, v2, 8
	v_add_nc_u32_e32 v15, v13, v12
	v_add_co_ci_u32_e64 v23, s3, 0, v3, s3
	s_and_b32 s10, s2, vcc_lo
	s_mov_b64 s[2:3], 0
	s_mov_b64 s[8:9], 0
	s_branch .LBB1871_5
.LBB1871_4:                             ;   in Loop: Header=BB1871_5 Depth=1
	s_or_b32 exec_lo, exec_lo, s11
	s_add_u32 s8, s8, 32
	s_addc_u32 s9, s9, 0
	s_add_u32 s2, s2, 0x200
	v_cmp_lt_i64_e64 s11, s[8:9], s[16:17]
	s_addc_u32 s3, s3, 0
	s_waitcnt_vscnt null, 0x0
	s_barrier
	buffer_gl0_inv
	s_and_b32 vcc_lo, exec_lo, s11
	s_cbranch_vccz .LBB1871_17
.LBB1871_5:                             ; =>This Inner Loop Header: Depth=1
	v_add_co_u32 v2, s11, v10, s8
	s_delay_alu instid0(VALU_DEP_1) | instskip(SKIP_2) | instid1(VALU_DEP_3)
	v_add_co_ci_u32_e64 v3, null, 0, s9, s11
	v_mov_b32_e32 v0, 0
	v_mov_b32_e32 v1, 0
	v_cmp_gt_i64_e32 vcc_lo, s[16:17], v[2:3]
	s_delay_alu instid0(VALU_DEP_2) | instskip(SKIP_2) | instid1(SALU_CYCLE_1)
	v_dual_mov_b32 v5, v1 :: v_dual_mov_b32 v4, v0
	v_dual_mov_b32 v7, v1 :: v_dual_mov_b32 v6, v0
	s_and_b32 s11, s0, vcc_lo
	s_and_saveexec_b32 s12, s11
	s_cbranch_execz .LBB1871_7
; %bb.6:                                ;   in Loop: Header=BB1871_5 Depth=1
	v_add_co_u32 v2, vcc_lo, v22, s2
	v_add_co_ci_u32_e32 v3, vcc_lo, s3, v23, vcc_lo
	global_load_b128 v[4:7], v[2:3], off offset:-8
	s_waitcnt vmcnt(0)
	v_xor_b32_e32 v7, 0x80000000, v7
.LBB1871_7:                             ;   in Loop: Header=BB1871_5 Depth=1
	s_or_b32 exec_lo, exec_lo, s12
	v_add_co_u32 v2, s12, v11, s8
	s_delay_alu instid0(VALU_DEP_1) | instskip(SKIP_4) | instid1(SALU_CYCLE_1)
	v_add_co_ci_u32_e64 v3, null, 0, s9, s12
	ds_store_b128 v14, v[4:7]
	v_cmp_gt_i64_e32 vcc_lo, s[16:17], v[2:3]
	v_dual_mov_b32 v3, v1 :: v_dual_mov_b32 v2, v0
	s_and_b32 s12, s1, vcc_lo
	s_and_saveexec_b32 s13, s12
	s_cbranch_execz .LBB1871_9
; %bb.8:                                ;   in Loop: Header=BB1871_5 Depth=1
	v_add_co_u32 v0, vcc_lo, v16, s2
	v_add_co_ci_u32_e32 v1, vcc_lo, s3, v17, vcc_lo
	global_load_b128 v[0:3], v[0:1], off offset:-8
.LBB1871_9:                             ;   in Loop: Header=BB1871_5 Depth=1
	s_or_b32 exec_lo, exec_lo, s13
	s_waitcnt vmcnt(0)
	ds_store_b128 v15, v[0:3]
	s_waitcnt lgkmcnt(0)
	s_barrier
	buffer_gl0_inv
	s_and_saveexec_b32 s13, s10
	s_cbranch_execz .LBB1871_11
; %bb.10:                               ;   in Loop: Header=BB1871_5 Depth=1
	ds_load_b128 v[0:3], v13
	ds_load_b128 v[4:7], v12
	ds_load_b128 v[24:27], v12 offset:16
	ds_load_b128 v[28:31], v13 offset:512
	s_waitcnt lgkmcnt(2)
	v_mul_f64 v[32:33], v[0:1], v[6:7]
	v_mul_f64 v[6:7], v[2:3], v[6:7]
	s_waitcnt lgkmcnt(0)
	v_mul_f64 v[48:49], v[28:29], v[26:27]
	v_mul_f64 v[26:27], v[30:31], v[26:27]
	s_delay_alu instid0(VALU_DEP_4)
	v_fma_f64 v[2:3], v[2:3], v[4:5], v[32:33]
	ds_load_b128 v[32:35], v13 offset:1024
	ds_load_b128 v[36:39], v12 offset:32
	;; [unrolled: 1-line block ×4, first 2 shown]
	v_fma_f64 v[0:1], v[0:1], v[4:5], -v[6:7]
	v_fma_f64 v[4:5], v[30:31], v[24:25], v[48:49]
	v_fma_f64 v[52:53], v[28:29], v[24:25], -v[26:27]
	s_waitcnt lgkmcnt(2)
	v_mul_f64 v[50:51], v[32:33], v[38:39]
	v_mul_f64 v[38:39], v[34:35], v[38:39]
	s_waitcnt lgkmcnt(0)
	v_mul_f64 v[48:49], v[44:45], v[42:43]
	v_mul_f64 v[42:43], v[46:47], v[42:43]
	v_add_f64 v[2:3], v[2:3], 0
	v_fma_f64 v[34:35], v[34:35], v[36:37], v[50:51]
	v_add_f64 v[50:51], v[0:1], 0
	v_fma_f64 v[32:33], v[32:33], v[36:37], -v[38:39]
	v_fma_f64 v[36:37], v[46:47], v[40:41], v[48:49]
	v_add_f64 v[54:55], v[2:3], v[4:5]
	ds_load_b128 v[0:3], v12 offset:64
	ds_load_b128 v[4:7], v13 offset:2048
	ds_load_b128 v[24:27], v13 offset:2560
	ds_load_b128 v[28:31], v12 offset:80
	s_waitcnt lgkmcnt(2)
	v_mul_f64 v[56:57], v[4:5], v[2:3]
	v_add_f64 v[38:39], v[50:51], v[52:53]
	v_mul_f64 v[2:3], v[6:7], v[2:3]
	s_waitcnt lgkmcnt(0)
	v_mul_f64 v[48:49], v[24:25], v[30:31]
	v_fma_f64 v[50:51], v[44:45], v[40:41], -v[42:43]
	v_mul_f64 v[30:31], v[26:27], v[30:31]
	v_add_f64 v[34:35], v[54:55], v[34:35]
	v_fma_f64 v[6:7], v[6:7], v[0:1], v[56:57]
	v_add_f64 v[52:53], v[38:39], v[32:33]
	v_fma_f64 v[0:1], v[4:5], v[0:1], -v[2:3]
	v_fma_f64 v[2:3], v[26:27], v[28:29], v[48:49]
	v_add_f64 v[54:55], v[34:35], v[36:37]
	ds_load_b128 v[32:35], v12 offset:96
	ds_load_b128 v[36:39], v13 offset:3072
	ds_load_b128 v[40:43], v13 offset:3584
	ds_load_b128 v[44:47], v12 offset:112
	s_waitcnt lgkmcnt(2)
	v_mul_f64 v[56:57], v[36:37], v[34:35]
	v_add_f64 v[4:5], v[52:53], v[50:51]
	v_mul_f64 v[34:35], v[38:39], v[34:35]
	s_waitcnt lgkmcnt(0)
	v_mul_f64 v[48:49], v[40:41], v[46:47]
	v_fma_f64 v[50:51], v[24:25], v[28:29], -v[30:31]
	;; [unrolled: 18-line block ×11, first 2 shown]
	v_mul_f64 v[30:31], v[26:27], v[30:31]
	v_add_f64 v[38:39], v[54:55], v[38:39]
	v_fma_f64 v[6:7], v[6:7], v[0:1], v[56:57]
	v_add_f64 v[52:53], v[36:37], v[32:33]
	v_fma_f64 v[0:1], v[4:5], v[0:1], -v[2:3]
	v_fma_f64 v[2:3], v[26:27], v[28:29], v[48:49]
	v_add_f64 v[54:55], v[38:39], v[34:35]
	ds_load_b128 v[32:35], v12 offset:416
	ds_load_b128 v[36:39], v13 offset:13312
	;; [unrolled: 1-line block ×4, first 2 shown]
	s_waitcnt lgkmcnt(2)
	v_mul_f64 v[56:57], v[36:37], v[34:35]
	v_add_f64 v[4:5], v[52:53], v[50:51]
	v_mul_f64 v[34:35], v[38:39], v[34:35]
	s_waitcnt lgkmcnt(0)
	v_mul_f64 v[52:53], v[40:41], v[46:47]
	v_mul_f64 v[46:47], v[42:43], v[46:47]
	v_add_f64 v[6:7], v[54:55], v[6:7]
	v_fma_f64 v[54:55], v[24:25], v[28:29], -v[30:31]
	v_fma_f64 v[38:39], v[38:39], v[32:33], v[56:57]
	v_add_f64 v[56:57], v[4:5], v[0:1]
	v_fma_f64 v[32:33], v[36:37], v[32:33], -v[34:35]
	v_fma_f64 v[34:35], v[42:43], v[44:45], v[52:53]
	v_add_f64 v[58:59], v[6:7], v[2:3]
	ds_load_b128 v[0:3], v12 offset:448
	ds_load_b128 v[4:7], v13 offset:14336
	global_load_b128 v[24:27], v[8:9], off
	ds_load_b128 v[28:31], v13 offset:14848
	ds_load_b128 v[48:51], v12 offset:464
	v_add_f64 v[36:37], v[56:57], v[54:55]
	s_waitcnt lgkmcnt(2)
	v_mul_f64 v[60:61], v[4:5], v[2:3]
	v_mul_f64 v[2:3], v[6:7], v[2:3]
	s_waitcnt lgkmcnt(0)
	v_mul_f64 v[52:53], v[28:29], v[50:51]
	v_fma_f64 v[54:55], v[40:41], v[44:45], -v[46:47]
	v_mul_f64 v[50:51], v[30:31], v[50:51]
	v_add_f64 v[38:39], v[58:59], v[38:39]
	v_add_f64 v[56:57], v[36:37], v[32:33]
	v_fma_f64 v[6:7], v[6:7], v[0:1], v[60:61]
	v_fma_f64 v[0:1], v[4:5], v[0:1], -v[2:3]
	v_fma_f64 v[2:3], v[30:31], v[48:49], v[52:53]
	v_fma_f64 v[28:29], v[28:29], v[48:49], -v[50:51]
	v_add_f64 v[58:59], v[38:39], v[34:35]
	ds_load_b128 v[32:35], v12 offset:480
	ds_load_b128 v[36:39], v13 offset:15360
	;; [unrolled: 1-line block ×4, first 2 shown]
	s_waitcnt lgkmcnt(2)
	v_mul_f64 v[60:61], v[36:37], v[34:35]
	v_add_f64 v[4:5], v[56:57], v[54:55]
	v_mul_f64 v[30:31], v[38:39], v[34:35]
	s_waitcnt lgkmcnt(0)
	v_mul_f64 v[34:35], v[40:41], v[46:47]
	v_add_f64 v[6:7], v[58:59], v[6:7]
	v_fma_f64 v[38:39], v[38:39], v[32:33], v[60:61]
	v_add_f64 v[0:1], v[4:5], v[0:1]
	v_mul_f64 v[4:5], v[42:43], v[46:47]
	s_delay_alu instid0(VALU_DEP_4)
	v_add_f64 v[2:3], v[6:7], v[2:3]
	v_fma_f64 v[6:7], v[36:37], v[32:33], -v[30:31]
	v_fma_f64 v[30:31], v[42:43], v[44:45], v[34:35]
	v_add_f64 v[0:1], v[0:1], v[28:29]
	v_fma_f64 v[4:5], v[40:41], v[44:45], -v[4:5]
	v_add_f64 v[2:3], v[2:3], v[38:39]
	s_delay_alu instid0(VALU_DEP_3) | instskip(NEXT) | instid1(VALU_DEP_2)
	v_add_f64 v[0:1], v[0:1], v[6:7]
	v_add_f64 v[2:3], v[2:3], v[30:31]
	s_delay_alu instid0(VALU_DEP_2) | instskip(NEXT) | instid1(VALU_DEP_2)
	v_add_f64 v[0:1], v[0:1], v[4:5]
	v_mul_f64 v[4:5], s[6:7], v[2:3]
	v_mul_f64 v[2:3], s[4:5], v[2:3]
	s_delay_alu instid0(VALU_DEP_2) | instskip(NEXT) | instid1(VALU_DEP_2)
	v_fma_f64 v[4:5], s[4:5], v[0:1], -v[4:5]
	v_fma_f64 v[2:3], s[6:7], v[0:1], v[2:3]
	s_waitcnt vmcnt(0)
	s_delay_alu instid0(VALU_DEP_2) | instskip(NEXT) | instid1(VALU_DEP_2)
	v_add_f64 v[0:1], v[24:25], v[4:5]
	v_add_f64 v[2:3], v[26:27], v[2:3]
	global_store_b128 v[8:9], v[0:3], off
.LBB1871_11:                            ;   in Loop: Header=BB1871_5 Depth=1
	s_or_b32 exec_lo, exec_lo, s13
	v_mov_b32_e32 v2, 0
	v_mov_b32_e32 v3, 0
	s_waitcnt_vscnt null, 0x0
	s_barrier
	buffer_gl0_inv
	v_dual_mov_b32 v7, v3 :: v_dual_mov_b32 v6, v2
	v_dual_mov_b32 v5, v3 :: v_dual_mov_b32 v4, v2
	s_and_saveexec_b32 s13, s11
	s_cbranch_execz .LBB1871_13
; %bb.12:                               ;   in Loop: Header=BB1871_5 Depth=1
	v_add_co_u32 v0, vcc_lo, v18, s2
	v_add_co_ci_u32_e32 v1, vcc_lo, s3, v19, vcc_lo
	global_load_b128 v[4:7], v[0:1], off
	s_waitcnt vmcnt(0)
	v_xor_b32_e32 v7, 0x80000000, v7
.LBB1871_13:                            ;   in Loop: Header=BB1871_5 Depth=1
	s_or_b32 exec_lo, exec_lo, s13
	v_dual_mov_b32 v0, v2 :: v_dual_mov_b32 v1, v3
	ds_store_b128 v14, v[4:7]
	s_and_saveexec_b32 s11, s12
	s_cbranch_execz .LBB1871_15
; %bb.14:                               ;   in Loop: Header=BB1871_5 Depth=1
	v_add_co_u32 v0, vcc_lo, v20, s2
	v_add_co_ci_u32_e32 v1, vcc_lo, s3, v21, vcc_lo
	global_load_b128 v[0:3], v[0:1], off offset:-8
.LBB1871_15:                            ;   in Loop: Header=BB1871_5 Depth=1
	s_or_b32 exec_lo, exec_lo, s11
	s_waitcnt vmcnt(0)
	ds_store_b128 v15, v[0:3]
	s_waitcnt lgkmcnt(0)
	s_barrier
	buffer_gl0_inv
	s_and_saveexec_b32 s11, s10
	s_cbranch_execz .LBB1871_4
; %bb.16:                               ;   in Loop: Header=BB1871_5 Depth=1
	ds_load_b128 v[0:3], v13
	ds_load_b128 v[4:7], v12
	ds_load_b128 v[24:27], v12 offset:16
	ds_load_b128 v[28:31], v13 offset:512
	s_waitcnt lgkmcnt(2)
	v_mul_f64 v[32:33], v[2:3], v[6:7]
	v_mul_f64 v[6:7], v[0:1], v[6:7]
	s_waitcnt lgkmcnt(0)
	v_mul_f64 v[48:49], v[30:31], v[26:27]
	v_mul_f64 v[26:27], v[28:29], v[26:27]
	s_delay_alu instid0(VALU_DEP_4)
	v_fma_f64 v[0:1], v[0:1], v[4:5], -v[32:33]
	ds_load_b128 v[32:35], v13 offset:1024
	ds_load_b128 v[36:39], v12 offset:32
	;; [unrolled: 1-line block ×4, first 2 shown]
	v_fma_f64 v[2:3], v[2:3], v[4:5], v[6:7]
	v_fma_f64 v[4:5], v[28:29], v[24:25], -v[48:49]
	v_fma_f64 v[52:53], v[30:31], v[24:25], v[26:27]
	s_waitcnt lgkmcnt(2)
	v_mul_f64 v[50:51], v[34:35], v[38:39]
	v_mul_f64 v[38:39], v[32:33], v[38:39]
	s_waitcnt lgkmcnt(0)
	v_mul_f64 v[48:49], v[46:47], v[42:43]
	v_mul_f64 v[42:43], v[44:45], v[42:43]
	v_add_f64 v[0:1], v[0:1], 0
	v_fma_f64 v[32:33], v[32:33], v[36:37], -v[50:51]
	v_add_f64 v[50:51], v[2:3], 0
	v_fma_f64 v[34:35], v[34:35], v[36:37], v[38:39]
	v_fma_f64 v[36:37], v[44:45], v[40:41], -v[48:49]
	v_fma_f64 v[46:47], v[46:47], v[40:41], v[42:43]
	v_add_f64 v[54:55], v[0:1], v[4:5]
	ds_load_b128 v[0:3], v12 offset:64
	ds_load_b128 v[4:7], v13 offset:2048
	;; [unrolled: 1-line block ×4, first 2 shown]
	s_waitcnt lgkmcnt(2)
	v_mul_f64 v[56:57], v[6:7], v[2:3]
	v_add_f64 v[38:39], v[50:51], v[52:53]
	v_mul_f64 v[44:45], v[4:5], v[2:3]
	s_waitcnt lgkmcnt(0)
	v_mul_f64 v[48:49], v[26:27], v[30:31]
	v_mul_f64 v[30:31], v[24:25], v[30:31]
	v_add_f64 v[32:33], v[54:55], v[32:33]
	v_fma_f64 v[50:51], v[4:5], v[0:1], -v[56:57]
	v_add_f64 v[52:53], v[38:39], v[34:35]
	v_fma_f64 v[0:1], v[6:7], v[0:1], v[44:45]
	v_fma_f64 v[6:7], v[24:25], v[28:29], -v[48:49]
	v_add_f64 v[54:55], v[32:33], v[36:37]
	ds_load_b128 v[2:5], v12 offset:96
	ds_load_b128 v[32:35], v13 offset:3072
	;; [unrolled: 1-line block ×4, first 2 shown]
	s_waitcnt lgkmcnt(2)
	v_mul_f64 v[56:57], v[34:35], v[4:5]
	v_add_f64 v[24:25], v[52:53], v[46:47]
	v_mul_f64 v[48:49], v[32:33], v[4:5]
	v_fma_f64 v[52:53], v[26:27], v[28:29], v[30:31]
	v_add_f64 v[44:45], v[54:55], v[50:51]
	s_waitcnt lgkmcnt(0)
	v_mul_f64 v[50:51], v[38:39], v[42:43]
	v_mul_f64 v[42:43], v[36:37], v[42:43]
	v_fma_f64 v[32:33], v[32:33], v[2:3], -v[56:57]
	v_add_f64 v[0:1], v[24:25], v[0:1]
	v_fma_f64 v[2:3], v[34:35], v[2:3], v[48:49]
	v_add_f64 v[54:55], v[44:45], v[6:7]
	ds_load_b128 v[4:7], v12 offset:128
	ds_load_b128 v[24:27], v13 offset:4096
	ds_load_b128 v[28:31], v13 offset:4608
	ds_load_b128 v[44:47], v12 offset:144
	v_fma_f64 v[34:35], v[36:37], v[40:41], -v[50:51]
	v_fma_f64 v[50:51], v[38:39], v[40:41], v[42:43]
	s_waitcnt lgkmcnt(2)
	v_mul_f64 v[56:57], v[26:27], v[6:7]
	v_add_f64 v[0:1], v[0:1], v[52:53]
	v_mul_f64 v[6:7], v[24:25], v[6:7]
	s_waitcnt lgkmcnt(0)
	v_mul_f64 v[48:49], v[30:31], v[46:47]
	v_mul_f64 v[46:47], v[28:29], v[46:47]
	v_add_f64 v[32:33], v[54:55], v[32:33]
	v_fma_f64 v[24:25], v[24:25], v[4:5], -v[56:57]
	v_add_f64 v[52:53], v[0:1], v[2:3]
	v_fma_f64 v[4:5], v[26:27], v[4:5], v[6:7]
	v_fma_f64 v[6:7], v[28:29], v[44:45], -v[48:49]
	v_add_f64 v[54:55], v[32:33], v[34:35]
	ds_load_b128 v[0:3], v12 offset:160
	ds_load_b128 v[32:35], v13 offset:5120
	;; [unrolled: 1-line block ×4, first 2 shown]
	s_waitcnt lgkmcnt(2)
	v_mul_f64 v[56:57], v[34:35], v[2:3]
	v_add_f64 v[26:27], v[52:53], v[50:51]
	v_mul_f64 v[48:49], v[32:33], v[2:3]
	s_waitcnt lgkmcnt(0)
	v_mul_f64 v[50:51], v[38:39], v[42:43]
	v_fma_f64 v[52:53], v[30:31], v[44:45], v[46:47]
	v_mul_f64 v[42:43], v[36:37], v[42:43]
	v_add_f64 v[24:25], v[54:55], v[24:25]
	v_fma_f64 v[32:33], v[32:33], v[0:1], -v[56:57]
	v_add_f64 v[54:55], v[26:27], v[4:5]
	v_fma_f64 v[0:1], v[34:35], v[0:1], v[48:49]
	v_fma_f64 v[34:35], v[36:37], v[40:41], -v[50:51]
	v_add_f64 v[6:7], v[24:25], v[6:7]
	ds_load_b128 v[2:5], v12 offset:192
	ds_load_b128 v[24:27], v13 offset:6144
	;; [unrolled: 1-line block ×4, first 2 shown]
	s_waitcnt lgkmcnt(2)
	v_mul_f64 v[56:57], v[26:27], v[4:5]
	v_add_f64 v[36:37], v[54:55], v[52:53]
	v_mul_f64 v[48:49], v[24:25], v[4:5]
	s_waitcnt lgkmcnt(0)
	v_mul_f64 v[50:51], v[30:31], v[46:47]
	v_fma_f64 v[52:53], v[38:39], v[40:41], v[42:43]
	v_mul_f64 v[46:47], v[28:29], v[46:47]
	v_add_f64 v[6:7], v[6:7], v[32:33]
	v_fma_f64 v[24:25], v[24:25], v[2:3], -v[56:57]
	v_add_f64 v[0:1], v[36:37], v[0:1]
	v_fma_f64 v[2:3], v[26:27], v[2:3], v[48:49]
	v_fma_f64 v[26:27], v[28:29], v[44:45], -v[50:51]
	v_fma_f64 v[50:51], v[30:31], v[44:45], v[46:47]
	v_add_f64 v[54:55], v[6:7], v[34:35]
	ds_load_b128 v[4:7], v12 offset:224
	ds_load_b128 v[32:35], v13 offset:7168
	;; [unrolled: 1-line block ×4, first 2 shown]
	s_waitcnt lgkmcnt(2)
	v_mul_f64 v[56:57], v[34:35], v[6:7]
	v_add_f64 v[0:1], v[0:1], v[52:53]
	v_mul_f64 v[6:7], v[32:33], v[6:7]
	s_waitcnt lgkmcnt(0)
	v_mul_f64 v[48:49], v[38:39], v[42:43]
	v_mul_f64 v[42:43], v[36:37], v[42:43]
	v_add_f64 v[24:25], v[54:55], v[24:25]
	v_fma_f64 v[32:33], v[32:33], v[4:5], -v[56:57]
	v_add_f64 v[52:53], v[0:1], v[2:3]
	v_fma_f64 v[4:5], v[34:35], v[4:5], v[6:7]
	v_fma_f64 v[6:7], v[36:37], v[40:41], -v[48:49]
	v_add_f64 v[54:55], v[24:25], v[26:27]
	ds_load_b128 v[0:3], v12 offset:256
	ds_load_b128 v[24:27], v13 offset:8192
	;; [unrolled: 1-line block ×4, first 2 shown]
	s_waitcnt lgkmcnt(2)
	v_mul_f64 v[56:57], v[26:27], v[2:3]
	v_add_f64 v[34:35], v[52:53], v[50:51]
	v_mul_f64 v[48:49], v[24:25], v[2:3]
	s_waitcnt lgkmcnt(0)
	v_mul_f64 v[50:51], v[30:31], v[46:47]
	v_fma_f64 v[52:53], v[38:39], v[40:41], v[42:43]
	v_mul_f64 v[46:47], v[28:29], v[46:47]
	v_add_f64 v[32:33], v[54:55], v[32:33]
	v_fma_f64 v[24:25], v[24:25], v[0:1], -v[56:57]
	v_add_f64 v[54:55], v[34:35], v[4:5]
	v_fma_f64 v[0:1], v[26:27], v[0:1], v[48:49]
	v_fma_f64 v[26:27], v[28:29], v[44:45], -v[50:51]
	v_add_f64 v[6:7], v[32:33], v[6:7]
	ds_load_b128 v[2:5], v12 offset:288
	ds_load_b128 v[32:35], v13 offset:9216
	;; [unrolled: 1-line block ×4, first 2 shown]
	s_waitcnt lgkmcnt(2)
	v_mul_f64 v[56:57], v[34:35], v[4:5]
	v_add_f64 v[28:29], v[54:55], v[52:53]
	v_mul_f64 v[48:49], v[32:33], v[4:5]
	s_waitcnt lgkmcnt(0)
	v_mul_f64 v[50:51], v[38:39], v[42:43]
	v_fma_f64 v[52:53], v[30:31], v[44:45], v[46:47]
	v_mul_f64 v[42:43], v[36:37], v[42:43]
	v_add_f64 v[6:7], v[6:7], v[24:25]
	v_fma_f64 v[32:33], v[32:33], v[2:3], -v[56:57]
	v_add_f64 v[0:1], v[28:29], v[0:1]
	v_fma_f64 v[2:3], v[34:35], v[2:3], v[48:49]
	v_fma_f64 v[34:35], v[36:37], v[40:41], -v[50:51]
	v_fma_f64 v[50:51], v[38:39], v[40:41], v[42:43]
	v_add_f64 v[54:55], v[6:7], v[26:27]
	ds_load_b128 v[4:7], v12 offset:320
	ds_load_b128 v[24:27], v13 offset:10240
	;; [unrolled: 1-line block ×4, first 2 shown]
	s_waitcnt lgkmcnt(2)
	v_mul_f64 v[56:57], v[26:27], v[6:7]
	v_add_f64 v[0:1], v[0:1], v[52:53]
	v_mul_f64 v[6:7], v[24:25], v[6:7]
	s_waitcnt lgkmcnt(0)
	v_mul_f64 v[48:49], v[30:31], v[46:47]
	v_mul_f64 v[46:47], v[28:29], v[46:47]
	v_add_f64 v[32:33], v[54:55], v[32:33]
	v_fma_f64 v[24:25], v[24:25], v[4:5], -v[56:57]
	v_add_f64 v[52:53], v[0:1], v[2:3]
	v_fma_f64 v[4:5], v[26:27], v[4:5], v[6:7]
	v_fma_f64 v[6:7], v[28:29], v[44:45], -v[48:49]
	v_add_f64 v[54:55], v[32:33], v[34:35]
	ds_load_b128 v[0:3], v12 offset:352
	ds_load_b128 v[32:35], v13 offset:11264
	;; [unrolled: 1-line block ×4, first 2 shown]
	s_waitcnt lgkmcnt(2)
	v_mul_f64 v[56:57], v[34:35], v[2:3]
	v_add_f64 v[26:27], v[52:53], v[50:51]
	v_mul_f64 v[48:49], v[32:33], v[2:3]
	s_waitcnt lgkmcnt(0)
	v_mul_f64 v[50:51], v[38:39], v[42:43]
	v_fma_f64 v[52:53], v[30:31], v[44:45], v[46:47]
	v_mul_f64 v[42:43], v[36:37], v[42:43]
	v_add_f64 v[24:25], v[54:55], v[24:25]
	v_fma_f64 v[32:33], v[32:33], v[0:1], -v[56:57]
	v_add_f64 v[54:55], v[26:27], v[4:5]
	v_fma_f64 v[0:1], v[34:35], v[0:1], v[48:49]
	v_fma_f64 v[34:35], v[36:37], v[40:41], -v[50:51]
	v_add_f64 v[6:7], v[24:25], v[6:7]
	ds_load_b128 v[2:5], v12 offset:384
	ds_load_b128 v[24:27], v13 offset:12288
	;; [unrolled: 1-line block ×4, first 2 shown]
	s_waitcnt lgkmcnt(2)
	v_mul_f64 v[56:57], v[26:27], v[4:5]
	v_add_f64 v[36:37], v[54:55], v[52:53]
	v_mul_f64 v[48:49], v[24:25], v[4:5]
	s_waitcnt lgkmcnt(0)
	v_mul_f64 v[50:51], v[30:31], v[46:47]
	v_fma_f64 v[52:53], v[38:39], v[40:41], v[42:43]
	v_mul_f64 v[46:47], v[28:29], v[46:47]
	v_add_f64 v[6:7], v[6:7], v[32:33]
	v_fma_f64 v[24:25], v[24:25], v[2:3], -v[56:57]
	v_add_f64 v[0:1], v[36:37], v[0:1]
	v_fma_f64 v[2:3], v[26:27], v[2:3], v[48:49]
	v_fma_f64 v[26:27], v[28:29], v[44:45], -v[50:51]
	v_add_f64 v[54:55], v[6:7], v[34:35]
	ds_load_b128 v[4:7], v12 offset:416
	ds_load_b128 v[32:35], v13 offset:13312
	;; [unrolled: 1-line block ×4, first 2 shown]
	s_waitcnt lgkmcnt(2)
	v_mul_f64 v[56:57], v[34:35], v[6:7]
	v_add_f64 v[0:1], v[0:1], v[52:53]
	v_mul_f64 v[6:7], v[32:33], v[6:7]
	s_waitcnt lgkmcnt(0)
	v_mul_f64 v[52:53], v[38:39], v[42:43]
	v_mul_f64 v[42:43], v[36:37], v[42:43]
	v_add_f64 v[24:25], v[54:55], v[24:25]
	v_fma_f64 v[54:55], v[30:31], v[44:45], v[46:47]
	v_fma_f64 v[32:33], v[32:33], v[4:5], -v[56:57]
	v_add_f64 v[56:57], v[0:1], v[2:3]
	v_fma_f64 v[4:5], v[34:35], v[4:5], v[6:7]
	v_fma_f64 v[6:7], v[36:37], v[40:41], -v[52:53]
	v_add_f64 v[58:59], v[24:25], v[26:27]
	ds_load_b128 v[0:3], v12 offset:448
	ds_load_b128 v[24:27], v13 offset:14336
	global_load_b128 v[28:31], v[8:9], off
	ds_load_b128 v[44:47], v13 offset:14848
	ds_load_b128 v[48:51], v12 offset:464
	v_add_f64 v[34:35], v[56:57], v[54:55]
	s_waitcnt lgkmcnt(2)
	v_mul_f64 v[60:61], v[26:27], v[2:3]
	v_mul_f64 v[52:53], v[24:25], v[2:3]
	s_waitcnt lgkmcnt(0)
	v_mul_f64 v[54:55], v[46:47], v[50:51]
	v_fma_f64 v[56:57], v[38:39], v[40:41], v[42:43]
	v_mul_f64 v[50:51], v[44:45], v[50:51]
	v_add_f64 v[32:33], v[58:59], v[32:33]
	v_add_f64 v[58:59], v[34:35], v[4:5]
	v_fma_f64 v[24:25], v[24:25], v[0:1], -v[60:61]
	v_fma_f64 v[0:1], v[26:27], v[0:1], v[52:53]
	v_fma_f64 v[26:27], v[44:45], v[48:49], -v[54:55]
	v_fma_f64 v[46:47], v[46:47], v[48:49], v[50:51]
	v_add_f64 v[6:7], v[32:33], v[6:7]
	ds_load_b128 v[2:5], v12 offset:480
	ds_load_b128 v[32:35], v13 offset:15360
	;; [unrolled: 1-line block ×4, first 2 shown]
	s_waitcnt lgkmcnt(2)
	v_mul_f64 v[60:61], v[34:35], v[4:5]
	v_add_f64 v[44:45], v[58:59], v[56:57]
	v_mul_f64 v[4:5], v[32:33], v[4:5]
	v_add_f64 v[6:7], v[6:7], v[24:25]
	s_waitcnt lgkmcnt(0)
	v_mul_f64 v[24:25], v[38:39], v[42:43]
	v_fma_f64 v[32:33], v[32:33], v[2:3], -v[60:61]
	v_add_f64 v[0:1], v[44:45], v[0:1]
	v_fma_f64 v[2:3], v[34:35], v[2:3], v[4:5]
	v_add_f64 v[6:7], v[6:7], v[26:27]
	v_mul_f64 v[26:27], v[36:37], v[42:43]
	v_fma_f64 v[4:5], v[36:37], v[40:41], -v[24:25]
	v_add_f64 v[0:1], v[0:1], v[46:47]
	s_delay_alu instid0(VALU_DEP_4) | instskip(NEXT) | instid1(VALU_DEP_4)
	v_add_f64 v[6:7], v[6:7], v[32:33]
	v_fma_f64 v[24:25], v[38:39], v[40:41], v[26:27]
	s_delay_alu instid0(VALU_DEP_3) | instskip(NEXT) | instid1(VALU_DEP_3)
	v_add_f64 v[0:1], v[0:1], v[2:3]
	v_add_f64 v[2:3], v[6:7], v[4:5]
	s_delay_alu instid0(VALU_DEP_2) | instskip(NEXT) | instid1(VALU_DEP_2)
	v_add_f64 v[0:1], v[0:1], v[24:25]
	v_mul_f64 v[4:5], s[4:5], v[2:3]
	v_mul_f64 v[2:3], s[6:7], v[2:3]
	s_delay_alu instid0(VALU_DEP_2) | instskip(NEXT) | instid1(VALU_DEP_2)
	v_fma_f64 v[4:5], s[6:7], v[0:1], v[4:5]
	v_fma_f64 v[2:3], s[4:5], v[0:1], -v[2:3]
	s_waitcnt vmcnt(0)
	s_delay_alu instid0(VALU_DEP_2) | instskip(NEXT) | instid1(VALU_DEP_2)
	v_add_f64 v[0:1], v[28:29], v[4:5]
	v_add_f64 v[2:3], v[30:31], v[2:3]
	global_store_b128 v[8:9], v[0:3], off
	s_branch .LBB1871_4
.LBB1871_17:
	s_endpgm
	.section	.rodata,"a",@progbits
	.p2align	6, 0x0
	.amdhsa_kernel _ZL26rocblas_syr2k_her2k_kernelIlLb1ELb1ELb1ELi32EPK19rocblas_complex_numIdES3_PS1_EvbiT_T4_T5_S5_lS7_S5_lT6_S5_li
		.amdhsa_group_segment_fixed_size 32768
		.amdhsa_private_segment_fixed_size 0
		.amdhsa_kernarg_size 100
		.amdhsa_user_sgpr_count 13
		.amdhsa_user_sgpr_dispatch_ptr 0
		.amdhsa_user_sgpr_queue_ptr 0
		.amdhsa_user_sgpr_kernarg_segment_ptr 1
		.amdhsa_user_sgpr_dispatch_id 0
		.amdhsa_user_sgpr_private_segment_size 0
		.amdhsa_wavefront_size32 1
		.amdhsa_uses_dynamic_stack 0
		.amdhsa_enable_private_segment 0
		.amdhsa_system_sgpr_workgroup_id_x 1
		.amdhsa_system_sgpr_workgroup_id_y 1
		.amdhsa_system_sgpr_workgroup_id_z 1
		.amdhsa_system_sgpr_workgroup_info 0
		.amdhsa_system_vgpr_workitem_id 1
		.amdhsa_next_free_vgpr 62
		.amdhsa_next_free_sgpr 32
		.amdhsa_reserve_vcc 1
		.amdhsa_float_round_mode_32 0
		.amdhsa_float_round_mode_16_64 0
		.amdhsa_float_denorm_mode_32 3
		.amdhsa_float_denorm_mode_16_64 3
		.amdhsa_dx10_clamp 1
		.amdhsa_ieee_mode 1
		.amdhsa_fp16_overflow 0
		.amdhsa_workgroup_processor_mode 1
		.amdhsa_memory_ordered 1
		.amdhsa_forward_progress 0
		.amdhsa_shared_vgpr_count 0
		.amdhsa_exception_fp_ieee_invalid_op 0
		.amdhsa_exception_fp_denorm_src 0
		.amdhsa_exception_fp_ieee_div_zero 0
		.amdhsa_exception_fp_ieee_overflow 0
		.amdhsa_exception_fp_ieee_underflow 0
		.amdhsa_exception_fp_ieee_inexact 0
		.amdhsa_exception_int_div_zero 0
	.end_amdhsa_kernel
	.section	.text._ZL26rocblas_syr2k_her2k_kernelIlLb1ELb1ELb1ELi32EPK19rocblas_complex_numIdES3_PS1_EvbiT_T4_T5_S5_lS7_S5_lT6_S5_li,"axG",@progbits,_ZL26rocblas_syr2k_her2k_kernelIlLb1ELb1ELb1ELi32EPK19rocblas_complex_numIdES3_PS1_EvbiT_T4_T5_S5_lS7_S5_lT6_S5_li,comdat
.Lfunc_end1871:
	.size	_ZL26rocblas_syr2k_her2k_kernelIlLb1ELb1ELb1ELi32EPK19rocblas_complex_numIdES3_PS1_EvbiT_T4_T5_S5_lS7_S5_lT6_S5_li, .Lfunc_end1871-_ZL26rocblas_syr2k_her2k_kernelIlLb1ELb1ELb1ELi32EPK19rocblas_complex_numIdES3_PS1_EvbiT_T4_T5_S5_lS7_S5_lT6_S5_li
                                        ; -- End function
	.section	.AMDGPU.csdata,"",@progbits
; Kernel info:
; codeLenInByte = 5872
; NumSgprs: 34
; NumVgprs: 62
; ScratchSize: 0
; MemoryBound: 1
; FloatMode: 240
; IeeeMode: 1
; LDSByteSize: 32768 bytes/workgroup (compile time only)
; SGPRBlocks: 4
; VGPRBlocks: 7
; NumSGPRsForWavesPerEU: 34
; NumVGPRsForWavesPerEU: 62
; Occupancy: 16
; WaveLimiterHint : 0
; COMPUTE_PGM_RSRC2:SCRATCH_EN: 0
; COMPUTE_PGM_RSRC2:USER_SGPR: 13
; COMPUTE_PGM_RSRC2:TRAP_HANDLER: 0
; COMPUTE_PGM_RSRC2:TGID_X_EN: 1
; COMPUTE_PGM_RSRC2:TGID_Y_EN: 1
; COMPUTE_PGM_RSRC2:TGID_Z_EN: 1
; COMPUTE_PGM_RSRC2:TIDIG_COMP_CNT: 1
	.section	.text._ZL26rocblas_syr2k_her2k_kernelIlLb1ELb0ELb0ELi32EfPKPKfPKPfEvbiT_T4_T5_S7_lS9_S7_lT6_S7_li,"axG",@progbits,_ZL26rocblas_syr2k_her2k_kernelIlLb1ELb0ELb0ELi32EfPKPKfPKPfEvbiT_T4_T5_S7_lS9_S7_lT6_S7_li,comdat
	.globl	_ZL26rocblas_syr2k_her2k_kernelIlLb1ELb0ELb0ELi32EfPKPKfPKPfEvbiT_T4_T5_S7_lS9_S7_lT6_S7_li ; -- Begin function _ZL26rocblas_syr2k_her2k_kernelIlLb1ELb0ELb0ELi32EfPKPKfPKPfEvbiT_T4_T5_S7_lS9_S7_lT6_S7_li
	.p2align	8
	.type	_ZL26rocblas_syr2k_her2k_kernelIlLb1ELb0ELb0ELi32EfPKPKfPKPfEvbiT_T4_T5_S7_lS9_S7_lT6_S7_li,@function
_ZL26rocblas_syr2k_her2k_kernelIlLb1ELb0ELb0ELi32EfPKPKfPKPfEvbiT_T4_T5_S7_lS9_S7_lT6_S7_li: ; @_ZL26rocblas_syr2k_her2k_kernelIlLb1ELb0ELb0ELi32EfPKPKfPKPfEvbiT_T4_T5_S7_lS9_S7_lT6_S7_li
; %bb.0:
	s_load_b32 s24, s[0:1], 0x10
	s_waitcnt lgkmcnt(0)
	v_cmp_eq_f32_e64 s2, s24, 0
	s_delay_alu instid0(VALU_DEP_1)
	s_and_b32 vcc_lo, exec_lo, s2
	s_cbranch_vccnz .LBB1872_17
; %bb.1:
	s_load_b64 s[2:3], s[0:1], 0x0
	s_lshl_b32 s25, s14, 5
	s_lshl_b32 s26, s13, 5
	s_waitcnt lgkmcnt(0)
	s_and_b32 s2, 1, s2
	s_delay_alu instid0(SALU_CYCLE_1) | instskip(SKIP_1) | instid1(SALU_CYCLE_1)
	s_cmp_eq_u32 s2, 1
	s_cselect_b32 s2, -1, 0
	s_and_b32 s4, s2, exec_lo
	s_cselect_b32 s4, s26, s25
	s_cselect_b32 s5, s25, s26
	s_delay_alu instid0(SALU_CYCLE_1)
	s_cmp_gt_i32 s4, s5
	s_cbranch_scc1 .LBB1872_17
; %bb.2:
	s_load_b64 s[20:21], s[0:1], 0x8
	s_waitcnt lgkmcnt(0)
	v_cmp_lt_i64_e64 s4, s[20:21], 1
	s_delay_alu instid0(VALU_DEP_1)
	s_and_b32 vcc_lo, exec_lo, s4
	s_cbranch_vccnz .LBB1872_17
; %bb.3:
	s_mov_b32 s22, s15
	s_load_b512 s[4:19], s[0:1], 0x18
	v_bfe_u32 v2, v0, 10, 10
	v_and_b32_e32 v3, 0x3ff, v0
	s_mov_b32 s23, 0
	s_load_b64 s[28:29], s[0:1], 0x58
	s_lshl_b64 s[0:1], s[22:23], 3
	v_dual_mov_b32 v11, 0 :: v_dual_add_nc_u32 v8, s25, v2
	v_add_nc_u32_e32 v10, s26, v3
	v_lshlrev_b32_e32 v0, 2, v2
	s_delay_alu instid0(VALU_DEP_3) | instskip(NEXT) | instid1(VALU_DEP_4)
	v_dual_mov_b32 v9, v11 :: v_dual_lshlrev_b32 v4, 7, v3
	v_ashrrev_i32_e32 v13, 31, v8
	s_delay_alu instid0(VALU_DEP_4) | instskip(SKIP_1) | instid1(VALU_DEP_4)
	v_cndmask_b32_e64 v1, v10, v8, s2
	v_cndmask_b32_e64 v12, v8, v10, s2
	v_add_nc_u32_e32 v5, v4, v0
	v_or_b32_e32 v6, 0x1000, v0
	v_max_i32_e32 v0, v10, v8
	s_mov_b32 s30, s3
	s_waitcnt lgkmcnt(0)
	s_add_u32 s4, s4, s0
	s_addc_u32 s5, s5, s1
	s_add_u32 s10, s10, s0
	s_load_b64 s[4:5], s[4:5], 0x0
	s_addc_u32 s11, s11, s1
	s_add_u32 s0, s16, s0
	s_load_b64 s[10:11], s[10:11], 0x0
	s_addc_u32 s1, s17, s1
	v_cmp_gt_i32_e32 vcc_lo, s3, v0
	s_load_b64 s[16:17], s[0:1], 0x0
	v_cmp_le_i32_e64 s0, v12, v1
	v_mul_lo_u32 v16, v13, s18
	v_mul_lo_u32 v17, v8, s19
	v_mad_u64_u32 v[0:1], null, v8, s18, 0
	s_lshl_b64 s[8:9], s[8:9], 2
	s_delay_alu instid0(VALU_DEP_1)
	v_add3_u32 v1, v1, v17, v16
	v_mov_b32_e32 v16, v10
	v_mad_u64_u32 v[12:13], null, s12, v3, 0
	v_mad_u64_u32 v[14:15], null, s6, v3, 0
	s_waitcnt lgkmcnt(0)
	s_add_u32 s8, s4, s8
	s_addc_u32 s9, s5, s9
	s_lshl_b64 s[4:5], s[14:15], 2
	v_lshlrev_b64 v[0:1], 2, v[0:1]
	s_add_u32 s10, s10, s4
	s_addc_u32 s11, s11, s5
	v_mad_u64_u32 v[18:19], null, s13, v3, v[13:14]
	s_lshl_b64 s[4:5], s[28:29], 2
	v_ashrrev_i32_e32 v17, 31, v10
	v_mad_u64_u32 v[19:20], null, s6, v2, 0
	v_mad_u64_u32 v[21:22], null, s7, v3, v[15:16]
	s_add_u32 s2, s16, s4
	s_addc_u32 s4, s17, s5
	s_and_b32 s14, s0, vcc_lo
	v_add_co_u32 v22, vcc_lo, s2, v0
	v_add_co_ci_u32_e32 v23, vcc_lo, s4, v1, vcc_lo
	v_lshlrev_b64 v[0:1], 2, v[16:17]
	v_mov_b32_e32 v13, v18
	v_mad_u64_u32 v[17:18], null, s12, v2, 0
	v_dual_mov_b32 v16, v20 :: v_dual_mov_b32 v15, v21
	v_add_nc_u32_e32 v7, v6, v4
	v_add_co_u32 v0, vcc_lo, v22, v0
	v_add_co_ci_u32_e32 v1, vcc_lo, v23, v1, vcc_lo
	s_delay_alu instid0(VALU_DEP_4)
	v_mad_u64_u32 v[20:21], null, s7, v2, v[16:17]
	v_mov_b32_e32 v16, v18
	v_lshlrev_b64 v[12:13], 2, v[12:13]
	v_lshlrev_b64 v[21:22], 2, v[8:9]
	;; [unrolled: 1-line block ×3, first 2 shown]
	s_ashr_i32 s31, s3, 31
	v_mad_u64_u32 v[23:24], null, s13, v2, v[16:17]
	v_cmp_gt_i64_e64 s1, s[30:31], v[8:9]
	s_delay_alu instid0(VALU_DEP_4)
	v_add_co_u32 v8, vcc_lo, v12, v21
	v_add_co_ci_u32_e32 v9, vcc_lo, v13, v22, vcc_lo
	v_lshlrev_b64 v[12:13], 2, v[19:20]
	v_mov_b32_e32 v18, v23
	v_lshlrev_b64 v[19:20], 2, v[10:11]
	v_cmp_gt_i64_e64 s0, s[30:31], v[10:11]
	v_add_co_u32 v10, vcc_lo, v14, v21
	v_add_co_ci_u32_e32 v11, vcc_lo, v15, v22, vcc_lo
	v_lshlrev_b64 v[14:15], 2, v[17:18]
	v_add_nc_u32_e32 v17, 0x800, v6
	v_add_co_u32 v12, vcc_lo, v12, v19
	v_add_co_ci_u32_e32 v13, vcc_lo, v13, v20, vcc_lo
	s_delay_alu instid0(VALU_DEP_4)
	v_add_co_u32 v14, vcc_lo, v14, v19
	v_add_co_ci_u32_e32 v15, vcc_lo, v15, v20, vcc_lo
	v_add_nc_u32_e32 v16, 0x400, v6
	v_add_nc_u32_e32 v18, 0xc00, v6
	s_lshl_b64 s[2:3], s[12:13], 7
	s_lshl_b64 s[4:5], s[6:7], 7
	s_mov_b64 s[6:7], 0
	s_branch .LBB1872_5
.LBB1872_4:                             ;   in Loop: Header=BB1872_5 Depth=1
	s_or_b32 exec_lo, exec_lo, s12
	s_add_u32 s6, s6, 32
	s_addc_u32 s7, s7, 0
	s_add_u32 s10, s10, s2
	v_cmp_lt_i64_e64 s12, s[6:7], s[20:21]
	s_addc_u32 s11, s11, s3
	s_add_u32 s8, s8, s4
	s_addc_u32 s9, s9, s5
	s_waitcnt_vscnt null, 0x0
	s_barrier
	s_and_b32 vcc_lo, exec_lo, s12
	buffer_gl0_inv
	s_cbranch_vccz .LBB1872_17
.LBB1872_5:                             ; =>This Inner Loop Header: Depth=1
	v_add_co_u32 v19, s12, v2, s6
	s_delay_alu instid0(VALU_DEP_1) | instskip(NEXT) | instid1(VALU_DEP_1)
	v_add_co_ci_u32_e64 v20, null, 0, s7, s12
	v_cmp_gt_i64_e32 vcc_lo, s[20:21], v[19:20]
	v_mov_b32_e32 v19, 0
	s_and_b32 s12, s0, vcc_lo
	s_delay_alu instid0(SALU_CYCLE_1)
	s_and_saveexec_b32 s13, s12
	s_cbranch_execz .LBB1872_7
; %bb.6:                                ;   in Loop: Header=BB1872_5 Depth=1
	v_add_co_u32 v19, vcc_lo, s8, v12
	v_add_co_ci_u32_e32 v20, vcc_lo, s9, v13, vcc_lo
	global_load_b32 v19, v[19:20], off
.LBB1872_7:                             ;   in Loop: Header=BB1872_5 Depth=1
	s_or_b32 exec_lo, exec_lo, s13
	v_add_co_u32 v20, s13, v3, s6
	s_delay_alu instid0(VALU_DEP_1)
	v_add_co_ci_u32_e64 v21, null, 0, s7, s13
	s_waitcnt vmcnt(0)
	ds_store_b32 v5, v19
	v_cmp_gt_i64_e32 vcc_lo, s[20:21], v[20:21]
	v_mov_b32_e32 v20, 0
	s_and_b32 s13, s1, vcc_lo
	s_delay_alu instid0(SALU_CYCLE_1)
	s_and_saveexec_b32 s15, s13
	s_cbranch_execz .LBB1872_9
; %bb.8:                                ;   in Loop: Header=BB1872_5 Depth=1
	v_add_co_u32 v19, vcc_lo, s10, v8
	v_add_co_ci_u32_e32 v20, vcc_lo, s11, v9, vcc_lo
	global_load_b32 v20, v[19:20], off
.LBB1872_9:                             ;   in Loop: Header=BB1872_5 Depth=1
	s_or_b32 exec_lo, exec_lo, s15
	s_waitcnt vmcnt(0)
	ds_store_b32 v7, v20
	s_waitcnt lgkmcnt(0)
	s_barrier
	buffer_gl0_inv
	s_and_saveexec_b32 s15, s14
	s_cbranch_execz .LBB1872_11
; %bb.10:                               ;   in Loop: Header=BB1872_5 Depth=1
	global_load_b32 v33, v[0:1], off
	ds_load_2addr_b32 v[27:28], v6 offset1:32
	ds_load_b128 v[19:22], v4
	ds_load_2addr_b32 v[29:30], v6 offset0:64 offset1:96
	ds_load_b128 v[23:26], v4 offset:16
	ds_load_2addr_b32 v[31:32], v6 offset0:128 offset1:160
	s_waitcnt lgkmcnt(3)
	v_fma_f32 v34, v19, v27, 0
	s_delay_alu instid0(VALU_DEP_1) | instskip(SKIP_3) | instid1(VALU_DEP_1)
	v_fmac_f32_e32 v34, v20, v28
	ds_load_2addr_b32 v[27:28], v6 offset0:192 offset1:224
	s_waitcnt lgkmcnt(3)
	v_fmac_f32_e32 v34, v21, v29
	v_fmac_f32_e32 v34, v22, v30
	ds_load_2addr_b32 v[29:30], v16 offset1:32
	ds_load_b128 v[19:22], v4 offset:32
	s_waitcnt lgkmcnt(3)
	v_fmac_f32_e32 v34, v23, v31
	s_delay_alu instid0(VALU_DEP_1) | instskip(SKIP_3) | instid1(VALU_DEP_1)
	v_fmac_f32_e32 v34, v24, v32
	ds_load_2addr_b32 v[31:32], v16 offset0:64 offset1:96
	s_waitcnt lgkmcnt(3)
	v_fmac_f32_e32 v34, v25, v27
	v_fmac_f32_e32 v34, v26, v28
	ds_load_b128 v[23:26], v4 offset:48
	ds_load_2addr_b32 v[27:28], v16 offset0:128 offset1:160
	s_waitcnt lgkmcnt(3)
	v_fmac_f32_e32 v34, v19, v29
	s_delay_alu instid0(VALU_DEP_1) | instskip(SKIP_3) | instid1(VALU_DEP_1)
	v_fmac_f32_e32 v34, v20, v30
	ds_load_2addr_b32 v[29:30], v16 offset0:192 offset1:224
	s_waitcnt lgkmcnt(3)
	v_fmac_f32_e32 v34, v21, v31
	v_fmac_f32_e32 v34, v22, v32
	ds_load_2addr_b32 v[31:32], v17 offset1:32
	ds_load_b128 v[19:22], v4 offset:64
	s_waitcnt lgkmcnt(3)
	v_fmac_f32_e32 v34, v23, v27
	s_delay_alu instid0(VALU_DEP_1) | instskip(SKIP_3) | instid1(VALU_DEP_1)
	v_fmac_f32_e32 v34, v24, v28
	ds_load_2addr_b32 v[27:28], v17 offset0:64 offset1:96
	s_waitcnt lgkmcnt(3)
	v_fmac_f32_e32 v34, v25, v29
	v_fmac_f32_e32 v34, v26, v30
	ds_load_b128 v[23:26], v4 offset:80
	ds_load_2addr_b32 v[29:30], v17 offset0:128 offset1:160
	s_waitcnt lgkmcnt(3)
	v_fmac_f32_e32 v34, v19, v31
	;; [unrolled: 20-line block ×3, first 2 shown]
	s_delay_alu instid0(VALU_DEP_1) | instskip(SKIP_3) | instid1(VALU_DEP_1)
	v_fmac_f32_e32 v34, v20, v28
	ds_load_2addr_b32 v[19:20], v18 offset0:192 offset1:224
	s_waitcnt lgkmcnt(3)
	v_fmac_f32_e32 v34, v21, v29
	v_fmac_f32_e32 v34, v22, v30
	s_waitcnt lgkmcnt(1)
	s_delay_alu instid0(VALU_DEP_1) | instskip(NEXT) | instid1(VALU_DEP_1)
	v_fmac_f32_e32 v34, v23, v31
	v_fmac_f32_e32 v34, v24, v32
	s_waitcnt lgkmcnt(0)
	s_delay_alu instid0(VALU_DEP_1) | instskip(NEXT) | instid1(VALU_DEP_1)
	v_fmac_f32_e32 v34, v25, v19
	v_fmac_f32_e32 v34, v26, v20
	s_waitcnt vmcnt(0)
	s_delay_alu instid0(VALU_DEP_1)
	v_fmac_f32_e32 v33, s24, v34
	global_store_b32 v[0:1], v33, off
.LBB1872_11:                            ;   in Loop: Header=BB1872_5 Depth=1
	s_or_b32 exec_lo, exec_lo, s15
	v_dual_mov_b32 v19, 0 :: v_dual_mov_b32 v20, 0
	s_waitcnt_vscnt null, 0x0
	s_barrier
	buffer_gl0_inv
	s_and_saveexec_b32 s15, s12
	s_cbranch_execz .LBB1872_13
; %bb.12:                               ;   in Loop: Header=BB1872_5 Depth=1
	v_add_co_u32 v20, vcc_lo, s10, v14
	v_add_co_ci_u32_e32 v21, vcc_lo, s11, v15, vcc_lo
	global_load_b32 v20, v[20:21], off
.LBB1872_13:                            ;   in Loop: Header=BB1872_5 Depth=1
	s_or_b32 exec_lo, exec_lo, s15
	s_waitcnt vmcnt(0)
	ds_store_b32 v5, v20
	s_and_saveexec_b32 s12, s13
	s_cbranch_execz .LBB1872_15
; %bb.14:                               ;   in Loop: Header=BB1872_5 Depth=1
	v_add_co_u32 v19, vcc_lo, s8, v10
	v_add_co_ci_u32_e32 v20, vcc_lo, s9, v11, vcc_lo
	global_load_b32 v19, v[19:20], off
.LBB1872_15:                            ;   in Loop: Header=BB1872_5 Depth=1
	s_or_b32 exec_lo, exec_lo, s12
	s_waitcnt vmcnt(0)
	ds_store_b32 v7, v19
	s_waitcnt lgkmcnt(0)
	s_barrier
	buffer_gl0_inv
	s_and_saveexec_b32 s12, s14
	s_cbranch_execz .LBB1872_4
; %bb.16:                               ;   in Loop: Header=BB1872_5 Depth=1
	global_load_b32 v33, v[0:1], off
	ds_load_2addr_b32 v[27:28], v6 offset1:32
	ds_load_b128 v[19:22], v4
	ds_load_2addr_b32 v[29:30], v6 offset0:64 offset1:96
	ds_load_b128 v[23:26], v4 offset:16
	ds_load_2addr_b32 v[31:32], v6 offset0:128 offset1:160
	s_waitcnt lgkmcnt(3)
	v_fma_f32 v34, v19, v27, 0
	s_delay_alu instid0(VALU_DEP_1) | instskip(SKIP_3) | instid1(VALU_DEP_1)
	v_fmac_f32_e32 v34, v20, v28
	ds_load_2addr_b32 v[27:28], v6 offset0:192 offset1:224
	s_waitcnt lgkmcnt(3)
	v_fmac_f32_e32 v34, v21, v29
	v_fmac_f32_e32 v34, v22, v30
	ds_load_2addr_b32 v[29:30], v16 offset1:32
	ds_load_b128 v[19:22], v4 offset:32
	s_waitcnt lgkmcnt(3)
	v_fmac_f32_e32 v34, v23, v31
	s_delay_alu instid0(VALU_DEP_1) | instskip(SKIP_3) | instid1(VALU_DEP_1)
	v_fmac_f32_e32 v34, v24, v32
	ds_load_2addr_b32 v[31:32], v16 offset0:64 offset1:96
	s_waitcnt lgkmcnt(3)
	v_fmac_f32_e32 v34, v25, v27
	v_fmac_f32_e32 v34, v26, v28
	ds_load_b128 v[23:26], v4 offset:48
	ds_load_2addr_b32 v[27:28], v16 offset0:128 offset1:160
	s_waitcnt lgkmcnt(3)
	v_fmac_f32_e32 v34, v19, v29
	s_delay_alu instid0(VALU_DEP_1) | instskip(SKIP_3) | instid1(VALU_DEP_1)
	v_fmac_f32_e32 v34, v20, v30
	ds_load_2addr_b32 v[29:30], v16 offset0:192 offset1:224
	s_waitcnt lgkmcnt(3)
	v_fmac_f32_e32 v34, v21, v31
	v_fmac_f32_e32 v34, v22, v32
	ds_load_2addr_b32 v[31:32], v17 offset1:32
	ds_load_b128 v[19:22], v4 offset:64
	s_waitcnt lgkmcnt(3)
	v_fmac_f32_e32 v34, v23, v27
	s_delay_alu instid0(VALU_DEP_1) | instskip(SKIP_3) | instid1(VALU_DEP_1)
	v_fmac_f32_e32 v34, v24, v28
	ds_load_2addr_b32 v[27:28], v17 offset0:64 offset1:96
	s_waitcnt lgkmcnt(3)
	v_fmac_f32_e32 v34, v25, v29
	v_fmac_f32_e32 v34, v26, v30
	ds_load_b128 v[23:26], v4 offset:80
	ds_load_2addr_b32 v[29:30], v17 offset0:128 offset1:160
	s_waitcnt lgkmcnt(3)
	v_fmac_f32_e32 v34, v19, v31
	;; [unrolled: 20-line block ×3, first 2 shown]
	s_delay_alu instid0(VALU_DEP_1) | instskip(SKIP_3) | instid1(VALU_DEP_1)
	v_fmac_f32_e32 v34, v20, v28
	ds_load_2addr_b32 v[19:20], v18 offset0:192 offset1:224
	s_waitcnt lgkmcnt(3)
	v_fmac_f32_e32 v34, v21, v29
	v_fmac_f32_e32 v34, v22, v30
	s_waitcnt lgkmcnt(1)
	s_delay_alu instid0(VALU_DEP_1) | instskip(NEXT) | instid1(VALU_DEP_1)
	v_fmac_f32_e32 v34, v23, v31
	v_fmac_f32_e32 v34, v24, v32
	s_waitcnt lgkmcnt(0)
	s_delay_alu instid0(VALU_DEP_1) | instskip(NEXT) | instid1(VALU_DEP_1)
	v_fmac_f32_e32 v34, v25, v19
	v_fmac_f32_e32 v34, v26, v20
	s_waitcnt vmcnt(0)
	s_delay_alu instid0(VALU_DEP_1)
	v_fmac_f32_e32 v33, s24, v34
	global_store_b32 v[0:1], v33, off
	s_branch .LBB1872_4
.LBB1872_17:
	s_endpgm
	.section	.rodata,"a",@progbits
	.p2align	6, 0x0
	.amdhsa_kernel _ZL26rocblas_syr2k_her2k_kernelIlLb1ELb0ELb0ELi32EfPKPKfPKPfEvbiT_T4_T5_S7_lS9_S7_lT6_S7_li
		.amdhsa_group_segment_fixed_size 8192
		.amdhsa_private_segment_fixed_size 0
		.amdhsa_kernarg_size 100
		.amdhsa_user_sgpr_count 13
		.amdhsa_user_sgpr_dispatch_ptr 0
		.amdhsa_user_sgpr_queue_ptr 0
		.amdhsa_user_sgpr_kernarg_segment_ptr 1
		.amdhsa_user_sgpr_dispatch_id 0
		.amdhsa_user_sgpr_private_segment_size 0
		.amdhsa_wavefront_size32 1
		.amdhsa_uses_dynamic_stack 0
		.amdhsa_enable_private_segment 0
		.amdhsa_system_sgpr_workgroup_id_x 1
		.amdhsa_system_sgpr_workgroup_id_y 1
		.amdhsa_system_sgpr_workgroup_id_z 1
		.amdhsa_system_sgpr_workgroup_info 0
		.amdhsa_system_vgpr_workitem_id 1
		.amdhsa_next_free_vgpr 35
		.amdhsa_next_free_sgpr 32
		.amdhsa_reserve_vcc 1
		.amdhsa_float_round_mode_32 0
		.amdhsa_float_round_mode_16_64 0
		.amdhsa_float_denorm_mode_32 3
		.amdhsa_float_denorm_mode_16_64 3
		.amdhsa_dx10_clamp 1
		.amdhsa_ieee_mode 1
		.amdhsa_fp16_overflow 0
		.amdhsa_workgroup_processor_mode 1
		.amdhsa_memory_ordered 1
		.amdhsa_forward_progress 0
		.amdhsa_shared_vgpr_count 0
		.amdhsa_exception_fp_ieee_invalid_op 0
		.amdhsa_exception_fp_denorm_src 0
		.amdhsa_exception_fp_ieee_div_zero 0
		.amdhsa_exception_fp_ieee_overflow 0
		.amdhsa_exception_fp_ieee_underflow 0
		.amdhsa_exception_fp_ieee_inexact 0
		.amdhsa_exception_int_div_zero 0
	.end_amdhsa_kernel
	.section	.text._ZL26rocblas_syr2k_her2k_kernelIlLb1ELb0ELb0ELi32EfPKPKfPKPfEvbiT_T4_T5_S7_lS9_S7_lT6_S7_li,"axG",@progbits,_ZL26rocblas_syr2k_her2k_kernelIlLb1ELb0ELb0ELi32EfPKPKfPKPfEvbiT_T4_T5_S7_lS9_S7_lT6_S7_li,comdat
.Lfunc_end1872:
	.size	_ZL26rocblas_syr2k_her2k_kernelIlLb1ELb0ELb0ELi32EfPKPKfPKPfEvbiT_T4_T5_S7_lS9_S7_lT6_S7_li, .Lfunc_end1872-_ZL26rocblas_syr2k_her2k_kernelIlLb1ELb0ELb0ELi32EfPKPKfPKPfEvbiT_T4_T5_S7_lS9_S7_lT6_S7_li
                                        ; -- End function
	.section	.AMDGPU.csdata,"",@progbits
; Kernel info:
; codeLenInByte = 1984
; NumSgprs: 34
; NumVgprs: 35
; ScratchSize: 0
; MemoryBound: 0
; FloatMode: 240
; IeeeMode: 1
; LDSByteSize: 8192 bytes/workgroup (compile time only)
; SGPRBlocks: 4
; VGPRBlocks: 4
; NumSGPRsForWavesPerEU: 34
; NumVGPRsForWavesPerEU: 35
; Occupancy: 16
; WaveLimiterHint : 1
; COMPUTE_PGM_RSRC2:SCRATCH_EN: 0
; COMPUTE_PGM_RSRC2:USER_SGPR: 13
; COMPUTE_PGM_RSRC2:TRAP_HANDLER: 0
; COMPUTE_PGM_RSRC2:TGID_X_EN: 1
; COMPUTE_PGM_RSRC2:TGID_Y_EN: 1
; COMPUTE_PGM_RSRC2:TGID_Z_EN: 1
; COMPUTE_PGM_RSRC2:TIDIG_COMP_CNT: 1
	.section	.text._ZL26rocblas_syr2k_her2k_kernelIlLb1ELb0ELb1ELi32EfPKPKfPKPfEvbiT_T4_T5_S7_lS9_S7_lT6_S7_li,"axG",@progbits,_ZL26rocblas_syr2k_her2k_kernelIlLb1ELb0ELb1ELi32EfPKPKfPKPfEvbiT_T4_T5_S7_lS9_S7_lT6_S7_li,comdat
	.globl	_ZL26rocblas_syr2k_her2k_kernelIlLb1ELb0ELb1ELi32EfPKPKfPKPfEvbiT_T4_T5_S7_lS9_S7_lT6_S7_li ; -- Begin function _ZL26rocblas_syr2k_her2k_kernelIlLb1ELb0ELb1ELi32EfPKPKfPKPfEvbiT_T4_T5_S7_lS9_S7_lT6_S7_li
	.p2align	8
	.type	_ZL26rocblas_syr2k_her2k_kernelIlLb1ELb0ELb1ELi32EfPKPKfPKPfEvbiT_T4_T5_S7_lS9_S7_lT6_S7_li,@function
_ZL26rocblas_syr2k_her2k_kernelIlLb1ELb0ELb1ELi32EfPKPKfPKPfEvbiT_T4_T5_S7_lS9_S7_lT6_S7_li: ; @_ZL26rocblas_syr2k_her2k_kernelIlLb1ELb0ELb1ELi32EfPKPKfPKPfEvbiT_T4_T5_S7_lS9_S7_lT6_S7_li
; %bb.0:
	s_load_b32 s24, s[0:1], 0x10
	s_waitcnt lgkmcnt(0)
	v_cmp_eq_f32_e64 s2, s24, 0
	s_delay_alu instid0(VALU_DEP_1)
	s_and_b32 vcc_lo, exec_lo, s2
	s_cbranch_vccnz .LBB1873_17
; %bb.1:
	s_load_b64 s[2:3], s[0:1], 0x0
	s_lshl_b32 s25, s14, 5
	s_lshl_b32 s26, s13, 5
	s_waitcnt lgkmcnt(0)
	s_and_b32 s2, 1, s2
	s_delay_alu instid0(SALU_CYCLE_1) | instskip(SKIP_1) | instid1(SALU_CYCLE_1)
	s_cmp_eq_u32 s2, 1
	s_cselect_b32 s2, -1, 0
	s_and_b32 s4, s2, exec_lo
	s_cselect_b32 s4, s26, s25
	s_cselect_b32 s5, s25, s26
	s_delay_alu instid0(SALU_CYCLE_1)
	s_cmp_gt_i32 s4, s5
	s_cbranch_scc1 .LBB1873_17
; %bb.2:
	s_load_b64 s[20:21], s[0:1], 0x8
	s_waitcnt lgkmcnt(0)
	v_cmp_lt_i64_e64 s4, s[20:21], 1
	s_delay_alu instid0(VALU_DEP_1)
	s_and_b32 vcc_lo, exec_lo, s4
	s_cbranch_vccnz .LBB1873_17
; %bb.3:
	s_mov_b32 s22, s15
	s_load_b512 s[4:19], s[0:1], 0x18
	s_mov_b32 s23, 0
	v_bfe_u32 v2, v0, 10, 10
	s_lshl_b64 s[22:23], s[22:23], 3
	s_load_b64 s[0:1], s[0:1], 0x58
	v_mov_b32_e32 v11, 0
	v_and_b32_e32 v3, 0x3ff, v0
	v_add_nc_u32_e32 v8, s25, v2
	s_mov_b32 s28, s3
	s_delay_alu instid0(VALU_DEP_2) | instskip(NEXT) | instid1(VALU_DEP_2)
	v_dual_mov_b32 v9, v11 :: v_dual_add_nc_u32 v10, s26, v3
	v_ashrrev_i32_e32 v12, 31, v8
	v_lshlrev_b32_e32 v22, 2, v3
	s_delay_alu instid0(VALU_DEP_3)
	v_cndmask_b32_e64 v14, v10, v8, s2
	v_cndmask_b32_e64 v15, v8, v10, s2
	v_max_i32_e32 v16, v10, v8
	s_waitcnt lgkmcnt(0)
	s_add_u32 s4, s4, s22
	s_addc_u32 s5, s5, s23
	s_add_u32 s10, s10, s22
	s_addc_u32 s11, s11, s23
	;; [unrolled: 2-line block ×3, first 2 shown]
	v_mad_u64_u32 v[0:1], null, s12, v8, 0
	s_load_b64 s[16:17], s[16:17], 0x0
	v_mul_lo_u32 v17, v12, s18
	v_mul_lo_u32 v18, v8, s19
	v_mad_u64_u32 v[12:13], null, v8, s18, 0
	v_cmp_le_i32_e64 s2, v15, v14
	v_mad_u64_u32 v[14:15], null, s13, v8, v[1:2]
	s_lshl_b64 s[0:1], s[0:1], 2
	v_cmp_gt_i32_e32 vcc_lo, s3, v16
	v_mad_u64_u32 v[15:16], null, s6, v8, 0
	v_add3_u32 v13, v13, v18, v17
	s_load_b64 s[4:5], s[4:5], 0x0
	s_load_b64 s[10:11], s[10:11], 0x0
	s_delay_alu instid0(VALU_DEP_4) | instskip(NEXT) | instid1(VALU_DEP_2)
	v_mov_b32_e32 v1, v14
	v_lshlrev_b64 v[12:13], 2, v[12:13]
	s_delay_alu instid0(VALU_DEP_2)
	v_lshlrev_b64 v[17:18], 2, v[0:1]
	s_waitcnt lgkmcnt(0)
	s_add_u32 s16, s16, s0
	s_addc_u32 s17, s17, s1
	s_ashr_i32 s29, s3, 31
	s_lshl_b64 s[14:15], s[14:15], 2
	v_cmp_gt_i64_e64 s0, s[28:29], v[10:11]
	v_ashrrev_i32_e32 v11, 31, v10
	s_delay_alu instid0(VALU_DEP_1) | instskip(SKIP_1) | instid1(VALU_DEP_1)
	v_lshlrev_b64 v[0:1], 2, v[10:11]
	v_add_co_u32 v11, s1, s16, v12
	v_add_co_ci_u32_e64 v12, s1, s17, v13, s1
	v_cmp_gt_i64_e64 s1, s[28:29], v[8:9]
	v_mov_b32_e32 v9, v16
	s_delay_alu instid0(VALU_DEP_4) | instskip(NEXT) | instid1(VALU_DEP_1)
	v_add_co_u32 v0, s3, v11, v0
	v_add_co_ci_u32_e64 v1, s3, v12, v1, s3
	s_delay_alu instid0(VALU_DEP_3) | instskip(SKIP_4) | instid1(VALU_DEP_4)
	v_mad_u64_u32 v[11:12], null, s7, v8, v[9:10]
	v_add_co_u32 v14, s3, v17, s14
	v_mad_u64_u32 v[12:13], null, s6, v10, 0
	v_add_co_ci_u32_e64 v16, s3, s15, v18, s3
	v_mad_u64_u32 v[17:18], null, s12, v10, 0
	v_add_co_u32 v8, s3, v14, v22
	s_delay_alu instid0(VALU_DEP_1) | instskip(SKIP_2) | instid1(VALU_DEP_4)
	v_add_co_ci_u32_e64 v9, s3, 0, v16, s3
	v_mov_b32_e32 v16, v11
	v_dual_mov_b32 v11, v13 :: v_dual_lshlrev_b32 v4, 7, v3
	v_add_co_u32 v8, s3, s10, v8
	s_delay_alu instid0(VALU_DEP_3) | instskip(SKIP_1) | instid1(VALU_DEP_4)
	v_lshlrev_b64 v[13:14], 2, v[15:16]
	v_mov_b32_e32 v15, v18
	v_mad_u64_u32 v[18:19], null, s7, v10, v[11:12]
	s_lshl_b64 s[6:7], s[8:9], 2
	v_add_co_ci_u32_e64 v9, s3, s11, v9, s3
	s_delay_alu instid0(VALU_DEP_3) | instskip(SKIP_1) | instid1(VALU_DEP_1)
	v_mad_u64_u32 v[19:20], null, s13, v10, v[15:16]
	v_add_co_u32 v10, s3, v13, s6
	v_add_co_ci_u32_e64 v11, s3, s7, v14, s3
	v_mov_b32_e32 v13, v18
	s_delay_alu instid0(VALU_DEP_4) | instskip(NEXT) | instid1(VALU_DEP_4)
	v_dual_mov_b32 v18, v19 :: v_dual_lshlrev_b32 v21, 2, v2
	v_add_co_u32 v10, s3, v10, v22
	s_delay_alu instid0(VALU_DEP_1) | instskip(NEXT) | instid1(VALU_DEP_4)
	v_add_co_ci_u32_e64 v11, s3, 0, v11, s3
	v_lshlrev_b64 v[12:13], 2, v[12:13]
	s_delay_alu instid0(VALU_DEP_3) | instskip(SKIP_1) | instid1(VALU_DEP_4)
	v_add_co_u32 v10, s3, s4, v10
	v_lshlrev_b64 v[14:15], 2, v[17:18]
	v_add_co_ci_u32_e64 v11, s3, s5, v11, s3
	s_delay_alu instid0(VALU_DEP_4) | instskip(NEXT) | instid1(VALU_DEP_1)
	v_add_co_u32 v12, s3, v12, s6
	v_add_co_ci_u32_e64 v13, s3, s7, v13, s3
	s_delay_alu instid0(VALU_DEP_4) | instskip(NEXT) | instid1(VALU_DEP_1)
	v_add_co_u32 v14, s3, v14, s14
	;; [unrolled: 3-line block ×4, first 2 shown]
	v_add_co_ci_u32_e64 v15, s3, 0, v15, s3
	v_or_b32_e32 v5, 0x1000, v21
	v_add_co_u32 v12, s3, s4, v12
	s_delay_alu instid0(VALU_DEP_1)
	v_add_co_ci_u32_e64 v13, s3, s5, v13, s3
	v_add_co_u32 v14, s3, s10, v14
	v_add_nc_u32_e32 v6, v4, v21
	v_add_nc_u32_e32 v7, v5, v4
	v_add_co_ci_u32_e64 v15, s3, s11, v15, s3
	v_add_nc_u32_e32 v16, 0x400, v5
	v_add_nc_u32_e32 v17, 0x800, v5
	;; [unrolled: 1-line block ×3, first 2 shown]
	s_and_b32 s6, s2, vcc_lo
	s_mov_b64 s[2:3], 0
	s_mov_b64 s[4:5], 0
	s_branch .LBB1873_5
.LBB1873_4:                             ;   in Loop: Header=BB1873_5 Depth=1
	s_or_b32 exec_lo, exec_lo, s7
	s_add_u32 s4, s4, 32
	s_addc_u32 s5, s5, 0
	s_add_u32 s2, s2, 0x80
	v_cmp_lt_i64_e64 s7, s[4:5], s[20:21]
	s_addc_u32 s3, s3, 0
	s_waitcnt_vscnt null, 0x0
	s_barrier
	buffer_gl0_inv
	s_and_b32 vcc_lo, exec_lo, s7
	s_cbranch_vccz .LBB1873_17
.LBB1873_5:                             ; =>This Inner Loop Header: Depth=1
	v_add_co_u32 v19, s7, v2, s4
	s_delay_alu instid0(VALU_DEP_1) | instskip(NEXT) | instid1(VALU_DEP_1)
	v_add_co_ci_u32_e64 v20, null, 0, s5, s7
	v_cmp_gt_i64_e32 vcc_lo, s[20:21], v[19:20]
	v_mov_b32_e32 v19, 0
	s_and_b32 s7, s0, vcc_lo
	s_delay_alu instid0(SALU_CYCLE_1)
	s_and_saveexec_b32 s8, s7
	s_cbranch_execz .LBB1873_7
; %bb.6:                                ;   in Loop: Header=BB1873_5 Depth=1
	v_add_co_u32 v19, vcc_lo, v12, s2
	v_add_co_ci_u32_e32 v20, vcc_lo, s3, v13, vcc_lo
	global_load_b32 v19, v[19:20], off
.LBB1873_7:                             ;   in Loop: Header=BB1873_5 Depth=1
	s_or_b32 exec_lo, exec_lo, s8
	v_add_co_u32 v20, s8, v3, s4
	s_delay_alu instid0(VALU_DEP_1)
	v_add_co_ci_u32_e64 v21, null, 0, s5, s8
	s_waitcnt vmcnt(0)
	ds_store_b32 v6, v19
	v_cmp_gt_i64_e32 vcc_lo, s[20:21], v[20:21]
	v_mov_b32_e32 v20, 0
	s_and_b32 s8, s1, vcc_lo
	s_delay_alu instid0(SALU_CYCLE_1)
	s_and_saveexec_b32 s9, s8
	s_cbranch_execz .LBB1873_9
; %bb.8:                                ;   in Loop: Header=BB1873_5 Depth=1
	v_add_co_u32 v19, vcc_lo, v8, s2
	v_add_co_ci_u32_e32 v20, vcc_lo, s3, v9, vcc_lo
	global_load_b32 v20, v[19:20], off
.LBB1873_9:                             ;   in Loop: Header=BB1873_5 Depth=1
	s_or_b32 exec_lo, exec_lo, s9
	s_waitcnt vmcnt(0)
	ds_store_b32 v7, v20
	s_waitcnt lgkmcnt(0)
	s_barrier
	buffer_gl0_inv
	s_and_saveexec_b32 s9, s6
	s_cbranch_execz .LBB1873_11
; %bb.10:                               ;   in Loop: Header=BB1873_5 Depth=1
	global_load_b32 v33, v[0:1], off
	ds_load_2addr_b32 v[27:28], v5 offset1:32
	ds_load_b128 v[19:22], v4
	ds_load_2addr_b32 v[29:30], v5 offset0:64 offset1:96
	ds_load_b128 v[23:26], v4 offset:16
	ds_load_2addr_b32 v[31:32], v5 offset0:128 offset1:160
	s_waitcnt lgkmcnt(3)
	v_fma_f32 v34, v19, v27, 0
	s_delay_alu instid0(VALU_DEP_1) | instskip(SKIP_3) | instid1(VALU_DEP_1)
	v_fmac_f32_e32 v34, v20, v28
	ds_load_2addr_b32 v[27:28], v5 offset0:192 offset1:224
	s_waitcnt lgkmcnt(3)
	v_fmac_f32_e32 v34, v21, v29
	v_fmac_f32_e32 v34, v22, v30
	ds_load_2addr_b32 v[29:30], v16 offset1:32
	ds_load_b128 v[19:22], v4 offset:32
	s_waitcnt lgkmcnt(3)
	v_fmac_f32_e32 v34, v23, v31
	s_delay_alu instid0(VALU_DEP_1) | instskip(SKIP_3) | instid1(VALU_DEP_1)
	v_fmac_f32_e32 v34, v24, v32
	ds_load_2addr_b32 v[31:32], v16 offset0:64 offset1:96
	s_waitcnt lgkmcnt(3)
	v_fmac_f32_e32 v34, v25, v27
	v_fmac_f32_e32 v34, v26, v28
	ds_load_b128 v[23:26], v4 offset:48
	ds_load_2addr_b32 v[27:28], v16 offset0:128 offset1:160
	s_waitcnt lgkmcnt(3)
	v_fmac_f32_e32 v34, v19, v29
	s_delay_alu instid0(VALU_DEP_1) | instskip(SKIP_3) | instid1(VALU_DEP_1)
	v_fmac_f32_e32 v34, v20, v30
	ds_load_2addr_b32 v[29:30], v16 offset0:192 offset1:224
	s_waitcnt lgkmcnt(3)
	v_fmac_f32_e32 v34, v21, v31
	v_fmac_f32_e32 v34, v22, v32
	ds_load_2addr_b32 v[31:32], v17 offset1:32
	ds_load_b128 v[19:22], v4 offset:64
	s_waitcnt lgkmcnt(3)
	v_fmac_f32_e32 v34, v23, v27
	s_delay_alu instid0(VALU_DEP_1) | instskip(SKIP_3) | instid1(VALU_DEP_1)
	v_fmac_f32_e32 v34, v24, v28
	ds_load_2addr_b32 v[27:28], v17 offset0:64 offset1:96
	s_waitcnt lgkmcnt(3)
	v_fmac_f32_e32 v34, v25, v29
	v_fmac_f32_e32 v34, v26, v30
	ds_load_b128 v[23:26], v4 offset:80
	ds_load_2addr_b32 v[29:30], v17 offset0:128 offset1:160
	s_waitcnt lgkmcnt(3)
	v_fmac_f32_e32 v34, v19, v31
	;; [unrolled: 20-line block ×3, first 2 shown]
	s_delay_alu instid0(VALU_DEP_1) | instskip(SKIP_3) | instid1(VALU_DEP_1)
	v_fmac_f32_e32 v34, v20, v28
	ds_load_2addr_b32 v[19:20], v18 offset0:192 offset1:224
	s_waitcnt lgkmcnt(3)
	v_fmac_f32_e32 v34, v21, v29
	v_fmac_f32_e32 v34, v22, v30
	s_waitcnt lgkmcnt(1)
	s_delay_alu instid0(VALU_DEP_1) | instskip(NEXT) | instid1(VALU_DEP_1)
	v_fmac_f32_e32 v34, v23, v31
	v_fmac_f32_e32 v34, v24, v32
	s_waitcnt lgkmcnt(0)
	s_delay_alu instid0(VALU_DEP_1) | instskip(NEXT) | instid1(VALU_DEP_1)
	v_fmac_f32_e32 v34, v25, v19
	v_fmac_f32_e32 v34, v26, v20
	s_waitcnt vmcnt(0)
	s_delay_alu instid0(VALU_DEP_1)
	v_fmac_f32_e32 v33, s24, v34
	global_store_b32 v[0:1], v33, off
.LBB1873_11:                            ;   in Loop: Header=BB1873_5 Depth=1
	s_or_b32 exec_lo, exec_lo, s9
	v_dual_mov_b32 v19, 0 :: v_dual_mov_b32 v20, 0
	s_waitcnt_vscnt null, 0x0
	s_barrier
	buffer_gl0_inv
	s_and_saveexec_b32 s9, s7
	s_cbranch_execz .LBB1873_13
; %bb.12:                               ;   in Loop: Header=BB1873_5 Depth=1
	v_add_co_u32 v20, vcc_lo, v14, s2
	v_add_co_ci_u32_e32 v21, vcc_lo, s3, v15, vcc_lo
	global_load_b32 v20, v[20:21], off
.LBB1873_13:                            ;   in Loop: Header=BB1873_5 Depth=1
	s_or_b32 exec_lo, exec_lo, s9
	s_waitcnt vmcnt(0)
	ds_store_b32 v6, v20
	s_and_saveexec_b32 s7, s8
	s_cbranch_execz .LBB1873_15
; %bb.14:                               ;   in Loop: Header=BB1873_5 Depth=1
	v_add_co_u32 v19, vcc_lo, v10, s2
	v_add_co_ci_u32_e32 v20, vcc_lo, s3, v11, vcc_lo
	global_load_b32 v19, v[19:20], off
.LBB1873_15:                            ;   in Loop: Header=BB1873_5 Depth=1
	s_or_b32 exec_lo, exec_lo, s7
	s_waitcnt vmcnt(0)
	ds_store_b32 v7, v19
	s_waitcnt lgkmcnt(0)
	s_barrier
	buffer_gl0_inv
	s_and_saveexec_b32 s7, s6
	s_cbranch_execz .LBB1873_4
; %bb.16:                               ;   in Loop: Header=BB1873_5 Depth=1
	global_load_b32 v33, v[0:1], off
	ds_load_2addr_b32 v[27:28], v5 offset1:32
	ds_load_b128 v[19:22], v4
	ds_load_2addr_b32 v[29:30], v5 offset0:64 offset1:96
	ds_load_b128 v[23:26], v4 offset:16
	ds_load_2addr_b32 v[31:32], v5 offset0:128 offset1:160
	s_waitcnt lgkmcnt(3)
	v_fma_f32 v34, v19, v27, 0
	s_delay_alu instid0(VALU_DEP_1) | instskip(SKIP_3) | instid1(VALU_DEP_1)
	v_fmac_f32_e32 v34, v20, v28
	ds_load_2addr_b32 v[27:28], v5 offset0:192 offset1:224
	s_waitcnt lgkmcnt(3)
	v_fmac_f32_e32 v34, v21, v29
	v_fmac_f32_e32 v34, v22, v30
	ds_load_2addr_b32 v[29:30], v16 offset1:32
	ds_load_b128 v[19:22], v4 offset:32
	s_waitcnt lgkmcnt(3)
	v_fmac_f32_e32 v34, v23, v31
	s_delay_alu instid0(VALU_DEP_1) | instskip(SKIP_3) | instid1(VALU_DEP_1)
	v_fmac_f32_e32 v34, v24, v32
	ds_load_2addr_b32 v[31:32], v16 offset0:64 offset1:96
	s_waitcnt lgkmcnt(3)
	v_fmac_f32_e32 v34, v25, v27
	v_fmac_f32_e32 v34, v26, v28
	ds_load_b128 v[23:26], v4 offset:48
	ds_load_2addr_b32 v[27:28], v16 offset0:128 offset1:160
	s_waitcnt lgkmcnt(3)
	v_fmac_f32_e32 v34, v19, v29
	s_delay_alu instid0(VALU_DEP_1) | instskip(SKIP_3) | instid1(VALU_DEP_1)
	v_fmac_f32_e32 v34, v20, v30
	ds_load_2addr_b32 v[29:30], v16 offset0:192 offset1:224
	s_waitcnt lgkmcnt(3)
	v_fmac_f32_e32 v34, v21, v31
	v_fmac_f32_e32 v34, v22, v32
	ds_load_2addr_b32 v[31:32], v17 offset1:32
	ds_load_b128 v[19:22], v4 offset:64
	s_waitcnt lgkmcnt(3)
	v_fmac_f32_e32 v34, v23, v27
	s_delay_alu instid0(VALU_DEP_1) | instskip(SKIP_3) | instid1(VALU_DEP_1)
	v_fmac_f32_e32 v34, v24, v28
	ds_load_2addr_b32 v[27:28], v17 offset0:64 offset1:96
	s_waitcnt lgkmcnt(3)
	v_fmac_f32_e32 v34, v25, v29
	v_fmac_f32_e32 v34, v26, v30
	ds_load_b128 v[23:26], v4 offset:80
	ds_load_2addr_b32 v[29:30], v17 offset0:128 offset1:160
	s_waitcnt lgkmcnt(3)
	v_fmac_f32_e32 v34, v19, v31
	;; [unrolled: 20-line block ×3, first 2 shown]
	s_delay_alu instid0(VALU_DEP_1) | instskip(SKIP_3) | instid1(VALU_DEP_1)
	v_fmac_f32_e32 v34, v20, v28
	ds_load_2addr_b32 v[19:20], v18 offset0:192 offset1:224
	s_waitcnt lgkmcnt(3)
	v_fmac_f32_e32 v34, v21, v29
	v_fmac_f32_e32 v34, v22, v30
	s_waitcnt lgkmcnt(1)
	s_delay_alu instid0(VALU_DEP_1) | instskip(NEXT) | instid1(VALU_DEP_1)
	v_fmac_f32_e32 v34, v23, v31
	v_fmac_f32_e32 v34, v24, v32
	s_waitcnt lgkmcnt(0)
	s_delay_alu instid0(VALU_DEP_1) | instskip(NEXT) | instid1(VALU_DEP_1)
	v_fmac_f32_e32 v34, v25, v19
	v_fmac_f32_e32 v34, v26, v20
	s_waitcnt vmcnt(0)
	s_delay_alu instid0(VALU_DEP_1)
	v_fmac_f32_e32 v33, s24, v34
	global_store_b32 v[0:1], v33, off
	s_branch .LBB1873_4
.LBB1873_17:
	s_endpgm
	.section	.rodata,"a",@progbits
	.p2align	6, 0x0
	.amdhsa_kernel _ZL26rocblas_syr2k_her2k_kernelIlLb1ELb0ELb1ELi32EfPKPKfPKPfEvbiT_T4_T5_S7_lS9_S7_lT6_S7_li
		.amdhsa_group_segment_fixed_size 8192
		.amdhsa_private_segment_fixed_size 0
		.amdhsa_kernarg_size 100
		.amdhsa_user_sgpr_count 13
		.amdhsa_user_sgpr_dispatch_ptr 0
		.amdhsa_user_sgpr_queue_ptr 0
		.amdhsa_user_sgpr_kernarg_segment_ptr 1
		.amdhsa_user_sgpr_dispatch_id 0
		.amdhsa_user_sgpr_private_segment_size 0
		.amdhsa_wavefront_size32 1
		.amdhsa_uses_dynamic_stack 0
		.amdhsa_enable_private_segment 0
		.amdhsa_system_sgpr_workgroup_id_x 1
		.amdhsa_system_sgpr_workgroup_id_y 1
		.amdhsa_system_sgpr_workgroup_id_z 1
		.amdhsa_system_sgpr_workgroup_info 0
		.amdhsa_system_vgpr_workitem_id 1
		.amdhsa_next_free_vgpr 35
		.amdhsa_next_free_sgpr 30
		.amdhsa_reserve_vcc 1
		.amdhsa_float_round_mode_32 0
		.amdhsa_float_round_mode_16_64 0
		.amdhsa_float_denorm_mode_32 3
		.amdhsa_float_denorm_mode_16_64 3
		.amdhsa_dx10_clamp 1
		.amdhsa_ieee_mode 1
		.amdhsa_fp16_overflow 0
		.amdhsa_workgroup_processor_mode 1
		.amdhsa_memory_ordered 1
		.amdhsa_forward_progress 0
		.amdhsa_shared_vgpr_count 0
		.amdhsa_exception_fp_ieee_invalid_op 0
		.amdhsa_exception_fp_denorm_src 0
		.amdhsa_exception_fp_ieee_div_zero 0
		.amdhsa_exception_fp_ieee_overflow 0
		.amdhsa_exception_fp_ieee_underflow 0
		.amdhsa_exception_fp_ieee_inexact 0
		.amdhsa_exception_int_div_zero 0
	.end_amdhsa_kernel
	.section	.text._ZL26rocblas_syr2k_her2k_kernelIlLb1ELb0ELb1ELi32EfPKPKfPKPfEvbiT_T4_T5_S7_lS9_S7_lT6_S7_li,"axG",@progbits,_ZL26rocblas_syr2k_her2k_kernelIlLb1ELb0ELb1ELi32EfPKPKfPKPfEvbiT_T4_T5_S7_lS9_S7_lT6_S7_li,comdat
.Lfunc_end1873:
	.size	_ZL26rocblas_syr2k_her2k_kernelIlLb1ELb0ELb1ELi32EfPKPKfPKPfEvbiT_T4_T5_S7_lS9_S7_lT6_S7_li, .Lfunc_end1873-_ZL26rocblas_syr2k_her2k_kernelIlLb1ELb0ELb1ELi32EfPKPKfPKPfEvbiT_T4_T5_S7_lS9_S7_lT6_S7_li
                                        ; -- End function
	.section	.AMDGPU.csdata,"",@progbits
; Kernel info:
; codeLenInByte = 2152
; NumSgprs: 32
; NumVgprs: 35
; ScratchSize: 0
; MemoryBound: 0
; FloatMode: 240
; IeeeMode: 1
; LDSByteSize: 8192 bytes/workgroup (compile time only)
; SGPRBlocks: 3
; VGPRBlocks: 4
; NumSGPRsForWavesPerEU: 32
; NumVGPRsForWavesPerEU: 35
; Occupancy: 16
; WaveLimiterHint : 1
; COMPUTE_PGM_RSRC2:SCRATCH_EN: 0
; COMPUTE_PGM_RSRC2:USER_SGPR: 13
; COMPUTE_PGM_RSRC2:TRAP_HANDLER: 0
; COMPUTE_PGM_RSRC2:TGID_X_EN: 1
; COMPUTE_PGM_RSRC2:TGID_Y_EN: 1
; COMPUTE_PGM_RSRC2:TGID_Z_EN: 1
; COMPUTE_PGM_RSRC2:TIDIG_COMP_CNT: 1
	.section	.text._ZL26rocblas_syr2k_her2k_kernelIlLb1ELb0ELb0ELi32EPKfPKS1_PKPfEvbiT_T4_T5_S7_lS9_S7_lT6_S7_li,"axG",@progbits,_ZL26rocblas_syr2k_her2k_kernelIlLb1ELb0ELb0ELi32EPKfPKS1_PKPfEvbiT_T4_T5_S7_lS9_S7_lT6_S7_li,comdat
	.globl	_ZL26rocblas_syr2k_her2k_kernelIlLb1ELb0ELb0ELi32EPKfPKS1_PKPfEvbiT_T4_T5_S7_lS9_S7_lT6_S7_li ; -- Begin function _ZL26rocblas_syr2k_her2k_kernelIlLb1ELb0ELb0ELi32EPKfPKS1_PKPfEvbiT_T4_T5_S7_lS9_S7_lT6_S7_li
	.p2align	8
	.type	_ZL26rocblas_syr2k_her2k_kernelIlLb1ELb0ELb0ELi32EPKfPKS1_PKPfEvbiT_T4_T5_S7_lS9_S7_lT6_S7_li,@function
_ZL26rocblas_syr2k_her2k_kernelIlLb1ELb0ELb0ELi32EPKfPKS1_PKPfEvbiT_T4_T5_S7_lS9_S7_lT6_S7_li: ; @_ZL26rocblas_syr2k_her2k_kernelIlLb1ELb0ELb0ELi32EPKfPKS1_PKPfEvbiT_T4_T5_S7_lS9_S7_lT6_S7_li
; %bb.0:
	s_load_b512 s[16:31], s[0:1], 0x8
	s_waitcnt lgkmcnt(0)
	s_load_b32 s10, s[18:19], 0x0
	s_waitcnt lgkmcnt(0)
	v_cmp_eq_f32_e64 s2, s10, 0
	s_delay_alu instid0(VALU_DEP_1)
	s_and_b32 vcc_lo, exec_lo, s2
	s_cbranch_vccnz .LBB1874_17
; %bb.1:
	s_load_b64 s[2:3], s[0:1], 0x0
	s_lshl_b32 s11, s14, 5
	s_lshl_b32 s12, s13, 5
	s_waitcnt lgkmcnt(0)
	s_and_b32 s2, 1, s2
	s_delay_alu instid0(SALU_CYCLE_1) | instskip(SKIP_1) | instid1(SALU_CYCLE_1)
	s_cmp_eq_u32 s2, 1
	s_cselect_b32 s2, -1, 0
	s_and_b32 s4, s2, exec_lo
	s_cselect_b32 s4, s12, s11
	s_cselect_b32 s5, s11, s12
	s_delay_alu instid0(SALU_CYCLE_1)
	s_cmp_gt_i32 s4, s5
	s_cbranch_scc1 .LBB1874_17
; %bb.2:
	v_cmp_lt_i64_e64 s4, s[16:17], 1
	s_delay_alu instid0(VALU_DEP_1)
	s_and_b32 vcc_lo, exec_lo, s4
	s_cbranch_vccnz .LBB1874_17
; %bb.3:
	s_clause 0x1
	s_load_b128 s[4:7], s[0:1], 0x48
	s_load_b64 s[0:1], s[0:1], 0x58
	v_bfe_u32 v2, v0, 10, 10
	s_mov_b32 s8, s15
	s_mov_b32 s9, 0
	v_and_b32_e32 v3, 0x3ff, v0
	s_lshl_b64 s[8:9], s[8:9], 3
	v_dual_mov_b32 v11, 0 :: v_dual_add_nc_u32 v8, s11, v2
	s_add_u32 s18, s20, s8
	s_addc_u32 s19, s21, s9
	s_delay_alu instid0(VALU_DEP_1)
	v_dual_mov_b32 v9, v11 :: v_dual_add_nc_u32 v10, s12, v3
	s_load_b64 s[12:13], s[18:19], 0x0
	s_add_u32 s18, s26, s8
	s_addc_u32 s19, s27, s9
	v_lshlrev_b32_e32 v0, 2, v2
	v_lshlrev_b32_e32 v4, 7, v3
	v_ashrrev_i32_e32 v1, 31, v8
	s_load_b64 s[18:19], s[18:19], 0x0
	s_waitcnt lgkmcnt(0)
	s_add_u32 s4, s4, s8
	s_addc_u32 s5, s5, s9
	v_add_nc_u32_e32 v5, v4, v0
	s_load_b64 s[4:5], s[4:5], 0x0
	v_or_b32_e32 v6, 0x1000, v0
	v_mul_lo_u32 v16, v1, s6
	v_mul_lo_u32 v17, v8, s7
	v_mad_u64_u32 v[0:1], null, v8, s6, 0
	v_cndmask_b32_e64 v7, v10, v8, s2
	v_cndmask_b32_e64 v14, v8, v10, s2
	v_max_i32_e32 v15, v10, v8
	s_lshl_b64 s[8:9], s[24:25], 2
	s_mov_b32 s14, s3
	s_add_u32 s8, s12, s8
	v_cmp_le_i32_e64 s2, v14, v7
	v_cmp_gt_i32_e32 vcc_lo, s3, v15
	v_add3_u32 v1, v1, v17, v16
	v_mov_b32_e32 v16, v10
	v_mad_u64_u32 v[12:13], null, s28, v3, 0
	v_mad_u64_u32 v[14:15], null, s22, v3, 0
	s_addc_u32 s9, s13, s9
	s_lshl_b64 s[12:13], s[30:31], 2
	v_lshlrev_b64 v[0:1], 2, v[0:1]
	s_add_u32 s11, s18, s12
	s_addc_u32 s12, s19, s13
	s_lshl_b64 s[0:1], s[0:1], 2
	s_delay_alu instid0(VALU_DEP_2)
	v_mad_u64_u32 v[18:19], null, s29, v3, v[13:14]
	v_ashrrev_i32_e32 v17, 31, v10
	v_mad_u64_u32 v[19:20], null, s22, v2, 0
	v_mad_u64_u32 v[21:22], null, s23, v3, v[15:16]
	s_waitcnt lgkmcnt(0)
	s_add_u32 s4, s4, s0
	s_addc_u32 s5, s5, s1
	s_and_b32 s13, s2, vcc_lo
	v_add_co_u32 v22, vcc_lo, s4, v0
	v_add_co_ci_u32_e32 v23, vcc_lo, s5, v1, vcc_lo
	v_lshlrev_b64 v[0:1], 2, v[16:17]
	v_mov_b32_e32 v13, v18
	v_mad_u64_u32 v[17:18], null, s28, v2, 0
	v_dual_mov_b32 v16, v20 :: v_dual_mov_b32 v15, v21
	v_add_nc_u32_e32 v7, v6, v4
	v_add_co_u32 v0, vcc_lo, v22, v0
	v_add_co_ci_u32_e32 v1, vcc_lo, v23, v1, vcc_lo
	s_delay_alu instid0(VALU_DEP_4)
	v_mad_u64_u32 v[20:21], null, s23, v2, v[16:17]
	v_mov_b32_e32 v16, v18
	v_lshlrev_b64 v[12:13], 2, v[12:13]
	v_lshlrev_b64 v[21:22], 2, v[8:9]
	;; [unrolled: 1-line block ×3, first 2 shown]
	s_ashr_i32 s15, s3, 31
	v_mad_u64_u32 v[23:24], null, s29, v2, v[16:17]
	v_cmp_gt_i64_e64 s1, s[14:15], v[8:9]
	s_delay_alu instid0(VALU_DEP_4)
	v_add_co_u32 v8, vcc_lo, v12, v21
	v_add_co_ci_u32_e32 v9, vcc_lo, v13, v22, vcc_lo
	v_lshlrev_b64 v[12:13], 2, v[19:20]
	v_mov_b32_e32 v18, v23
	v_lshlrev_b64 v[19:20], 2, v[10:11]
	v_cmp_gt_i64_e64 s0, s[14:15], v[10:11]
	v_add_co_u32 v10, vcc_lo, v14, v21
	v_add_co_ci_u32_e32 v11, vcc_lo, v15, v22, vcc_lo
	v_lshlrev_b64 v[14:15], 2, v[17:18]
	v_add_nc_u32_e32 v17, 0x800, v6
	v_add_co_u32 v12, vcc_lo, v12, v19
	v_add_co_ci_u32_e32 v13, vcc_lo, v13, v20, vcc_lo
	s_delay_alu instid0(VALU_DEP_4)
	v_add_co_u32 v14, vcc_lo, v14, v19
	v_add_co_ci_u32_e32 v15, vcc_lo, v15, v20, vcc_lo
	v_add_nc_u32_e32 v16, 0x400, v6
	v_add_nc_u32_e32 v18, 0xc00, v6
	s_lshl_b64 s[2:3], s[28:29], 7
	s_lshl_b64 s[4:5], s[22:23], 7
	s_mov_b64 s[6:7], 0
	s_branch .LBB1874_5
.LBB1874_4:                             ;   in Loop: Header=BB1874_5 Depth=1
	s_or_b32 exec_lo, exec_lo, s14
	s_add_u32 s6, s6, 32
	s_addc_u32 s7, s7, 0
	s_add_u32 s11, s11, s2
	v_cmp_lt_i64_e64 s14, s[6:7], s[16:17]
	s_addc_u32 s12, s12, s3
	s_add_u32 s8, s8, s4
	s_addc_u32 s9, s9, s5
	s_waitcnt_vscnt null, 0x0
	s_barrier
	s_and_b32 vcc_lo, exec_lo, s14
	buffer_gl0_inv
	s_cbranch_vccz .LBB1874_17
.LBB1874_5:                             ; =>This Inner Loop Header: Depth=1
	v_add_co_u32 v19, s14, v2, s6
	s_delay_alu instid0(VALU_DEP_1) | instskip(NEXT) | instid1(VALU_DEP_1)
	v_add_co_ci_u32_e64 v20, null, 0, s7, s14
	v_cmp_gt_i64_e32 vcc_lo, s[16:17], v[19:20]
	v_mov_b32_e32 v19, 0
	s_and_b32 s14, s0, vcc_lo
	s_delay_alu instid0(SALU_CYCLE_1)
	s_and_saveexec_b32 s15, s14
	s_cbranch_execz .LBB1874_7
; %bb.6:                                ;   in Loop: Header=BB1874_5 Depth=1
	v_add_co_u32 v19, vcc_lo, s8, v12
	v_add_co_ci_u32_e32 v20, vcc_lo, s9, v13, vcc_lo
	global_load_b32 v19, v[19:20], off
.LBB1874_7:                             ;   in Loop: Header=BB1874_5 Depth=1
	s_or_b32 exec_lo, exec_lo, s15
	v_add_co_u32 v20, s15, v3, s6
	s_delay_alu instid0(VALU_DEP_1)
	v_add_co_ci_u32_e64 v21, null, 0, s7, s15
	s_waitcnt vmcnt(0)
	ds_store_b32 v5, v19
	v_cmp_gt_i64_e32 vcc_lo, s[16:17], v[20:21]
	v_mov_b32_e32 v20, 0
	s_and_b32 s15, s1, vcc_lo
	s_delay_alu instid0(SALU_CYCLE_1)
	s_and_saveexec_b32 s18, s15
	s_cbranch_execz .LBB1874_9
; %bb.8:                                ;   in Loop: Header=BB1874_5 Depth=1
	v_add_co_u32 v19, vcc_lo, s11, v8
	v_add_co_ci_u32_e32 v20, vcc_lo, s12, v9, vcc_lo
	global_load_b32 v20, v[19:20], off
.LBB1874_9:                             ;   in Loop: Header=BB1874_5 Depth=1
	s_or_b32 exec_lo, exec_lo, s18
	s_waitcnt vmcnt(0)
	ds_store_b32 v7, v20
	s_waitcnt lgkmcnt(0)
	s_barrier
	buffer_gl0_inv
	s_and_saveexec_b32 s18, s13
	s_cbranch_execz .LBB1874_11
; %bb.10:                               ;   in Loop: Header=BB1874_5 Depth=1
	global_load_b32 v33, v[0:1], off
	ds_load_2addr_b32 v[27:28], v6 offset1:32
	ds_load_b128 v[19:22], v4
	ds_load_2addr_b32 v[29:30], v6 offset0:64 offset1:96
	ds_load_b128 v[23:26], v4 offset:16
	ds_load_2addr_b32 v[31:32], v6 offset0:128 offset1:160
	s_waitcnt lgkmcnt(3)
	v_fma_f32 v34, v19, v27, 0
	s_delay_alu instid0(VALU_DEP_1) | instskip(SKIP_3) | instid1(VALU_DEP_1)
	v_fmac_f32_e32 v34, v20, v28
	ds_load_2addr_b32 v[27:28], v6 offset0:192 offset1:224
	s_waitcnt lgkmcnt(3)
	v_fmac_f32_e32 v34, v21, v29
	v_fmac_f32_e32 v34, v22, v30
	ds_load_2addr_b32 v[29:30], v16 offset1:32
	ds_load_b128 v[19:22], v4 offset:32
	s_waitcnt lgkmcnt(3)
	v_fmac_f32_e32 v34, v23, v31
	s_delay_alu instid0(VALU_DEP_1) | instskip(SKIP_3) | instid1(VALU_DEP_1)
	v_fmac_f32_e32 v34, v24, v32
	ds_load_2addr_b32 v[31:32], v16 offset0:64 offset1:96
	s_waitcnt lgkmcnt(3)
	v_fmac_f32_e32 v34, v25, v27
	v_fmac_f32_e32 v34, v26, v28
	ds_load_b128 v[23:26], v4 offset:48
	ds_load_2addr_b32 v[27:28], v16 offset0:128 offset1:160
	s_waitcnt lgkmcnt(3)
	v_fmac_f32_e32 v34, v19, v29
	s_delay_alu instid0(VALU_DEP_1) | instskip(SKIP_3) | instid1(VALU_DEP_1)
	v_fmac_f32_e32 v34, v20, v30
	ds_load_2addr_b32 v[29:30], v16 offset0:192 offset1:224
	s_waitcnt lgkmcnt(3)
	v_fmac_f32_e32 v34, v21, v31
	v_fmac_f32_e32 v34, v22, v32
	ds_load_2addr_b32 v[31:32], v17 offset1:32
	ds_load_b128 v[19:22], v4 offset:64
	s_waitcnt lgkmcnt(3)
	v_fmac_f32_e32 v34, v23, v27
	s_delay_alu instid0(VALU_DEP_1) | instskip(SKIP_3) | instid1(VALU_DEP_1)
	v_fmac_f32_e32 v34, v24, v28
	ds_load_2addr_b32 v[27:28], v17 offset0:64 offset1:96
	s_waitcnt lgkmcnt(3)
	v_fmac_f32_e32 v34, v25, v29
	v_fmac_f32_e32 v34, v26, v30
	ds_load_b128 v[23:26], v4 offset:80
	ds_load_2addr_b32 v[29:30], v17 offset0:128 offset1:160
	s_waitcnt lgkmcnt(3)
	v_fmac_f32_e32 v34, v19, v31
	;; [unrolled: 20-line block ×3, first 2 shown]
	s_delay_alu instid0(VALU_DEP_1) | instskip(SKIP_3) | instid1(VALU_DEP_1)
	v_fmac_f32_e32 v34, v20, v28
	ds_load_2addr_b32 v[19:20], v18 offset0:192 offset1:224
	s_waitcnt lgkmcnt(3)
	v_fmac_f32_e32 v34, v21, v29
	v_fmac_f32_e32 v34, v22, v30
	s_waitcnt lgkmcnt(1)
	s_delay_alu instid0(VALU_DEP_1) | instskip(NEXT) | instid1(VALU_DEP_1)
	v_fmac_f32_e32 v34, v23, v31
	v_fmac_f32_e32 v34, v24, v32
	s_waitcnt lgkmcnt(0)
	s_delay_alu instid0(VALU_DEP_1) | instskip(NEXT) | instid1(VALU_DEP_1)
	v_fmac_f32_e32 v34, v25, v19
	v_fmac_f32_e32 v34, v26, v20
	s_waitcnt vmcnt(0)
	s_delay_alu instid0(VALU_DEP_1)
	v_fmac_f32_e32 v33, s10, v34
	global_store_b32 v[0:1], v33, off
.LBB1874_11:                            ;   in Loop: Header=BB1874_5 Depth=1
	s_or_b32 exec_lo, exec_lo, s18
	v_dual_mov_b32 v19, 0 :: v_dual_mov_b32 v20, 0
	s_waitcnt_vscnt null, 0x0
	s_barrier
	buffer_gl0_inv
	s_and_saveexec_b32 s18, s14
	s_cbranch_execz .LBB1874_13
; %bb.12:                               ;   in Loop: Header=BB1874_5 Depth=1
	v_add_co_u32 v20, vcc_lo, s11, v14
	v_add_co_ci_u32_e32 v21, vcc_lo, s12, v15, vcc_lo
	global_load_b32 v20, v[20:21], off
.LBB1874_13:                            ;   in Loop: Header=BB1874_5 Depth=1
	s_or_b32 exec_lo, exec_lo, s18
	s_waitcnt vmcnt(0)
	ds_store_b32 v5, v20
	s_and_saveexec_b32 s14, s15
	s_cbranch_execz .LBB1874_15
; %bb.14:                               ;   in Loop: Header=BB1874_5 Depth=1
	v_add_co_u32 v19, vcc_lo, s8, v10
	v_add_co_ci_u32_e32 v20, vcc_lo, s9, v11, vcc_lo
	global_load_b32 v19, v[19:20], off
.LBB1874_15:                            ;   in Loop: Header=BB1874_5 Depth=1
	s_or_b32 exec_lo, exec_lo, s14
	s_waitcnt vmcnt(0)
	ds_store_b32 v7, v19
	s_waitcnt lgkmcnt(0)
	s_barrier
	buffer_gl0_inv
	s_and_saveexec_b32 s14, s13
	s_cbranch_execz .LBB1874_4
; %bb.16:                               ;   in Loop: Header=BB1874_5 Depth=1
	global_load_b32 v33, v[0:1], off
	ds_load_2addr_b32 v[27:28], v6 offset1:32
	ds_load_b128 v[19:22], v4
	ds_load_2addr_b32 v[29:30], v6 offset0:64 offset1:96
	ds_load_b128 v[23:26], v4 offset:16
	ds_load_2addr_b32 v[31:32], v6 offset0:128 offset1:160
	s_waitcnt lgkmcnt(3)
	v_fma_f32 v34, v19, v27, 0
	s_delay_alu instid0(VALU_DEP_1) | instskip(SKIP_3) | instid1(VALU_DEP_1)
	v_fmac_f32_e32 v34, v20, v28
	ds_load_2addr_b32 v[27:28], v6 offset0:192 offset1:224
	s_waitcnt lgkmcnt(3)
	v_fmac_f32_e32 v34, v21, v29
	v_fmac_f32_e32 v34, v22, v30
	ds_load_2addr_b32 v[29:30], v16 offset1:32
	ds_load_b128 v[19:22], v4 offset:32
	s_waitcnt lgkmcnt(3)
	v_fmac_f32_e32 v34, v23, v31
	s_delay_alu instid0(VALU_DEP_1) | instskip(SKIP_3) | instid1(VALU_DEP_1)
	v_fmac_f32_e32 v34, v24, v32
	ds_load_2addr_b32 v[31:32], v16 offset0:64 offset1:96
	s_waitcnt lgkmcnt(3)
	v_fmac_f32_e32 v34, v25, v27
	v_fmac_f32_e32 v34, v26, v28
	ds_load_b128 v[23:26], v4 offset:48
	ds_load_2addr_b32 v[27:28], v16 offset0:128 offset1:160
	s_waitcnt lgkmcnt(3)
	v_fmac_f32_e32 v34, v19, v29
	s_delay_alu instid0(VALU_DEP_1) | instskip(SKIP_3) | instid1(VALU_DEP_1)
	v_fmac_f32_e32 v34, v20, v30
	ds_load_2addr_b32 v[29:30], v16 offset0:192 offset1:224
	s_waitcnt lgkmcnt(3)
	v_fmac_f32_e32 v34, v21, v31
	v_fmac_f32_e32 v34, v22, v32
	ds_load_2addr_b32 v[31:32], v17 offset1:32
	ds_load_b128 v[19:22], v4 offset:64
	s_waitcnt lgkmcnt(3)
	v_fmac_f32_e32 v34, v23, v27
	s_delay_alu instid0(VALU_DEP_1) | instskip(SKIP_3) | instid1(VALU_DEP_1)
	v_fmac_f32_e32 v34, v24, v28
	ds_load_2addr_b32 v[27:28], v17 offset0:64 offset1:96
	s_waitcnt lgkmcnt(3)
	v_fmac_f32_e32 v34, v25, v29
	v_fmac_f32_e32 v34, v26, v30
	ds_load_b128 v[23:26], v4 offset:80
	ds_load_2addr_b32 v[29:30], v17 offset0:128 offset1:160
	s_waitcnt lgkmcnt(3)
	v_fmac_f32_e32 v34, v19, v31
	;; [unrolled: 20-line block ×3, first 2 shown]
	s_delay_alu instid0(VALU_DEP_1) | instskip(SKIP_3) | instid1(VALU_DEP_1)
	v_fmac_f32_e32 v34, v20, v28
	ds_load_2addr_b32 v[19:20], v18 offset0:192 offset1:224
	s_waitcnt lgkmcnt(3)
	v_fmac_f32_e32 v34, v21, v29
	v_fmac_f32_e32 v34, v22, v30
	s_waitcnt lgkmcnt(1)
	s_delay_alu instid0(VALU_DEP_1) | instskip(NEXT) | instid1(VALU_DEP_1)
	v_fmac_f32_e32 v34, v23, v31
	v_fmac_f32_e32 v34, v24, v32
	s_waitcnt lgkmcnt(0)
	s_delay_alu instid0(VALU_DEP_1) | instskip(NEXT) | instid1(VALU_DEP_1)
	v_fmac_f32_e32 v34, v25, v19
	v_fmac_f32_e32 v34, v26, v20
	s_waitcnt vmcnt(0)
	s_delay_alu instid0(VALU_DEP_1)
	v_fmac_f32_e32 v33, s10, v34
	global_store_b32 v[0:1], v33, off
	s_branch .LBB1874_4
.LBB1874_17:
	s_endpgm
	.section	.rodata,"a",@progbits
	.p2align	6, 0x0
	.amdhsa_kernel _ZL26rocblas_syr2k_her2k_kernelIlLb1ELb0ELb0ELi32EPKfPKS1_PKPfEvbiT_T4_T5_S7_lS9_S7_lT6_S7_li
		.amdhsa_group_segment_fixed_size 8192
		.amdhsa_private_segment_fixed_size 0
		.amdhsa_kernarg_size 100
		.amdhsa_user_sgpr_count 13
		.amdhsa_user_sgpr_dispatch_ptr 0
		.amdhsa_user_sgpr_queue_ptr 0
		.amdhsa_user_sgpr_kernarg_segment_ptr 1
		.amdhsa_user_sgpr_dispatch_id 0
		.amdhsa_user_sgpr_private_segment_size 0
		.amdhsa_wavefront_size32 1
		.amdhsa_uses_dynamic_stack 0
		.amdhsa_enable_private_segment 0
		.amdhsa_system_sgpr_workgroup_id_x 1
		.amdhsa_system_sgpr_workgroup_id_y 1
		.amdhsa_system_sgpr_workgroup_id_z 1
		.amdhsa_system_sgpr_workgroup_info 0
		.amdhsa_system_vgpr_workitem_id 1
		.amdhsa_next_free_vgpr 35
		.amdhsa_next_free_sgpr 32
		.amdhsa_reserve_vcc 1
		.amdhsa_float_round_mode_32 0
		.amdhsa_float_round_mode_16_64 0
		.amdhsa_float_denorm_mode_32 3
		.amdhsa_float_denorm_mode_16_64 3
		.amdhsa_dx10_clamp 1
		.amdhsa_ieee_mode 1
		.amdhsa_fp16_overflow 0
		.amdhsa_workgroup_processor_mode 1
		.amdhsa_memory_ordered 1
		.amdhsa_forward_progress 0
		.amdhsa_shared_vgpr_count 0
		.amdhsa_exception_fp_ieee_invalid_op 0
		.amdhsa_exception_fp_denorm_src 0
		.amdhsa_exception_fp_ieee_div_zero 0
		.amdhsa_exception_fp_ieee_overflow 0
		.amdhsa_exception_fp_ieee_underflow 0
		.amdhsa_exception_fp_ieee_inexact 0
		.amdhsa_exception_int_div_zero 0
	.end_amdhsa_kernel
	.section	.text._ZL26rocblas_syr2k_her2k_kernelIlLb1ELb0ELb0ELi32EPKfPKS1_PKPfEvbiT_T4_T5_S7_lS9_S7_lT6_S7_li,"axG",@progbits,_ZL26rocblas_syr2k_her2k_kernelIlLb1ELb0ELb0ELi32EPKfPKS1_PKPfEvbiT_T4_T5_S7_lS9_S7_lT6_S7_li,comdat
.Lfunc_end1874:
	.size	_ZL26rocblas_syr2k_her2k_kernelIlLb1ELb0ELb0ELi32EPKfPKS1_PKPfEvbiT_T4_T5_S7_lS9_S7_lT6_S7_li, .Lfunc_end1874-_ZL26rocblas_syr2k_her2k_kernelIlLb1ELb0ELb0ELi32EPKfPKS1_PKPfEvbiT_T4_T5_S7_lS9_S7_lT6_S7_li
                                        ; -- End function
	.section	.AMDGPU.csdata,"",@progbits
; Kernel info:
; codeLenInByte = 1984
; NumSgprs: 34
; NumVgprs: 35
; ScratchSize: 0
; MemoryBound: 0
; FloatMode: 240
; IeeeMode: 1
; LDSByteSize: 8192 bytes/workgroup (compile time only)
; SGPRBlocks: 4
; VGPRBlocks: 4
; NumSGPRsForWavesPerEU: 34
; NumVGPRsForWavesPerEU: 35
; Occupancy: 16
; WaveLimiterHint : 1
; COMPUTE_PGM_RSRC2:SCRATCH_EN: 0
; COMPUTE_PGM_RSRC2:USER_SGPR: 13
; COMPUTE_PGM_RSRC2:TRAP_HANDLER: 0
; COMPUTE_PGM_RSRC2:TGID_X_EN: 1
; COMPUTE_PGM_RSRC2:TGID_Y_EN: 1
; COMPUTE_PGM_RSRC2:TGID_Z_EN: 1
; COMPUTE_PGM_RSRC2:TIDIG_COMP_CNT: 1
	.section	.text._ZL26rocblas_syr2k_her2k_kernelIlLb1ELb0ELb1ELi32EPKfPKS1_PKPfEvbiT_T4_T5_S7_lS9_S7_lT6_S7_li,"axG",@progbits,_ZL26rocblas_syr2k_her2k_kernelIlLb1ELb0ELb1ELi32EPKfPKS1_PKPfEvbiT_T4_T5_S7_lS9_S7_lT6_S7_li,comdat
	.globl	_ZL26rocblas_syr2k_her2k_kernelIlLb1ELb0ELb1ELi32EPKfPKS1_PKPfEvbiT_T4_T5_S7_lS9_S7_lT6_S7_li ; -- Begin function _ZL26rocblas_syr2k_her2k_kernelIlLb1ELb0ELb1ELi32EPKfPKS1_PKPfEvbiT_T4_T5_S7_lS9_S7_lT6_S7_li
	.p2align	8
	.type	_ZL26rocblas_syr2k_her2k_kernelIlLb1ELb0ELb1ELi32EPKfPKS1_PKPfEvbiT_T4_T5_S7_lS9_S7_lT6_S7_li,@function
_ZL26rocblas_syr2k_her2k_kernelIlLb1ELb0ELb1ELi32EPKfPKS1_PKPfEvbiT_T4_T5_S7_lS9_S7_lT6_S7_li: ; @_ZL26rocblas_syr2k_her2k_kernelIlLb1ELb0ELb1ELi32EPKfPKS1_PKPfEvbiT_T4_T5_S7_lS9_S7_lT6_S7_li
; %bb.0:
	s_load_b512 s[16:31], s[0:1], 0x8
	s_waitcnt lgkmcnt(0)
	s_load_b32 s10, s[18:19], 0x0
	s_waitcnt lgkmcnt(0)
	v_cmp_eq_f32_e64 s2, s10, 0
	s_delay_alu instid0(VALU_DEP_1)
	s_and_b32 vcc_lo, exec_lo, s2
	s_cbranch_vccnz .LBB1875_17
; %bb.1:
	s_load_b64 s[2:3], s[0:1], 0x0
	s_lshl_b32 s11, s14, 5
	s_lshl_b32 s12, s13, 5
	s_waitcnt lgkmcnt(0)
	s_and_b32 s2, 1, s2
	s_delay_alu instid0(SALU_CYCLE_1) | instskip(SKIP_1) | instid1(SALU_CYCLE_1)
	s_cmp_eq_u32 s2, 1
	s_cselect_b32 s2, -1, 0
	s_and_b32 s4, s2, exec_lo
	s_cselect_b32 s4, s12, s11
	s_cselect_b32 s5, s11, s12
	s_delay_alu instid0(SALU_CYCLE_1)
	s_cmp_gt_i32 s4, s5
	s_cbranch_scc1 .LBB1875_17
; %bb.2:
	v_cmp_lt_i64_e64 s4, s[16:17], 1
	s_delay_alu instid0(VALU_DEP_1)
	s_and_b32 vcc_lo, exec_lo, s4
	s_cbranch_vccnz .LBB1875_17
; %bb.3:
	s_clause 0x1
	s_load_b128 s[4:7], s[0:1], 0x48
	s_load_b64 s[0:1], s[0:1], 0x58
	s_mov_b32 s8, s15
	s_mov_b32 s9, 0
	v_bfe_u32 v2, v0, 10, 10
	v_and_b32_e32 v3, 0x3ff, v0
	s_lshl_b64 s[8:9], s[8:9], 3
	v_mov_b32_e32 v11, 0
	s_add_u32 s18, s20, s8
	v_add_nc_u32_e32 v8, s11, v2
	s_addc_u32 s19, s21, s9
	s_delay_alu instid0(VALU_DEP_2)
	v_dual_mov_b32 v9, v11 :: v_dual_add_nc_u32 v10, s12, v3
	s_add_u32 s12, s26, s8
	s_addc_u32 s13, s27, s9
	v_ashrrev_i32_e32 v12, 31, v8
	v_mad_u64_u32 v[0:1], null, s28, v8, 0
	v_max_i32_e32 v14, v10, v8
	s_mov_b32 s14, s3
	s_waitcnt lgkmcnt(0)
	s_add_u32 s8, s4, s8
	s_addc_u32 s9, s5, s9
	s_load_b64 s[4:5], s[18:19], 0x0
	s_load_b64 s[18:19], s[8:9], 0x0
	;; [unrolled: 1-line block ×3, first 2 shown]
	v_mul_lo_u32 v18, v12, s6
	v_mul_lo_u32 v19, v8, s7
	v_mad_u64_u32 v[12:13], null, v8, s6, 0
	v_cmp_gt_i32_e32 vcc_lo, s3, v14
	s_lshl_b64 s[0:1], s[0:1], 2
	v_mad_u64_u32 v[14:15], null, s29, v8, v[1:2]
	v_cndmask_b32_e64 v16, v10, v8, s2
	v_cndmask_b32_e64 v17, v8, v10, s2
	v_add3_u32 v13, v13, v19, v18
	v_lshlrev_b32_e32 v4, 7, v3
	v_lshlrev_b32_e32 v21, 2, v2
	v_mov_b32_e32 v1, v14
	s_delay_alu instid0(VALU_DEP_4)
	v_lshlrev_b64 v[12:13], 2, v[12:13]
	v_cmp_le_i32_e64 s2, v17, v16
	v_mad_u64_u32 v[16:17], null, s22, v8, 0
	s_waitcnt lgkmcnt(0)
	s_add_u32 s6, s18, s0
	s_addc_u32 s7, s19, s1
	s_ashr_i32 s15, s3, 31
	v_add_nc_u32_e32 v6, v4, v21
	v_cmp_gt_i64_e64 s0, s[14:15], v[10:11]
	v_ashrrev_i32_e32 v11, 31, v10
	v_cmp_gt_i64_e64 s1, s[14:15], v[8:9]
	v_add_co_u32 v9, s3, s6, v12
	s_delay_alu instid0(VALU_DEP_1) | instskip(NEXT) | instid1(VALU_DEP_4)
	v_add_co_ci_u32_e64 v13, s3, s7, v13, s3
	v_lshlrev_b64 v[14:15], 2, v[10:11]
	v_lshlrev_b64 v[11:12], 2, v[0:1]
	s_lshl_b64 s[6:7], s[30:31], 2
	v_or_b32_e32 v5, 0x1000, v21
	s_lshl_b64 s[12:13], s[24:25], 2
	s_delay_alu instid0(VALU_DEP_3) | instskip(SKIP_3) | instid1(VALU_DEP_1)
	v_add_co_u32 v0, s3, v9, v14
	v_mov_b32_e32 v9, v17
	v_add_co_ci_u32_e64 v1, s3, v13, v15, s3
	v_add_co_u32 v14, s3, v11, s6
	v_add_co_ci_u32_e64 v15, s3, s7, v12, s3
	s_delay_alu instid0(VALU_DEP_4) | instskip(SKIP_3) | instid1(VALU_DEP_4)
	v_mad_u64_u32 v[11:12], null, s23, v8, v[9:10]
	v_lshlrev_b32_e32 v22, 2, v3
	v_mad_u64_u32 v[12:13], null, s22, v10, 0
	v_add_nc_u32_e32 v7, v5, v4
	v_mov_b32_e32 v17, v11
	s_delay_alu instid0(VALU_DEP_4) | instskip(NEXT) | instid1(VALU_DEP_1)
	v_add_co_u32 v8, s3, v14, v22
	v_add_co_ci_u32_e64 v9, s3, 0, v15, s3
	v_mad_u64_u32 v[14:15], null, s28, v10, 0
	v_mov_b32_e32 v11, v13
	v_lshlrev_b64 v[16:17], 2, v[16:17]
	v_add_co_u32 v8, s3, s8, v8
	s_delay_alu instid0(VALU_DEP_1) | instskip(SKIP_2) | instid1(VALU_DEP_2)
	v_add_co_ci_u32_e64 v9, s3, s9, v9, s3
	v_mov_b32_e32 v13, v15
	v_mad_u64_u32 v[18:19], null, s23, v10, v[11:12]
	v_mad_u64_u32 v[19:20], null, s29, v10, v[13:14]
	v_add_co_u32 v10, s3, v16, s12
	s_delay_alu instid0(VALU_DEP_1) | instskip(NEXT) | instid1(VALU_DEP_4)
	v_add_co_ci_u32_e64 v11, s3, s13, v17, s3
	v_dual_mov_b32 v13, v18 :: v_dual_add_nc_u32 v18, 0xc00, v5
	s_delay_alu instid0(VALU_DEP_3) | instskip(SKIP_1) | instid1(VALU_DEP_4)
	v_add_co_u32 v10, s3, v10, v22
	v_mov_b32_e32 v15, v19
	v_add_co_ci_u32_e64 v11, s3, 0, v11, s3
	s_delay_alu instid0(VALU_DEP_4) | instskip(NEXT) | instid1(VALU_DEP_4)
	v_lshlrev_b64 v[12:13], 2, v[12:13]
	v_add_co_u32 v10, s3, s4, v10
	s_delay_alu instid0(VALU_DEP_4) | instskip(NEXT) | instid1(VALU_DEP_4)
	v_lshlrev_b64 v[14:15], 2, v[14:15]
	v_add_co_ci_u32_e64 v11, s3, s5, v11, s3
	s_delay_alu instid0(VALU_DEP_4) | instskip(NEXT) | instid1(VALU_DEP_1)
	v_add_co_u32 v12, s3, v12, s12
	v_add_co_ci_u32_e64 v13, s3, s13, v13, s3
	s_delay_alu instid0(VALU_DEP_4) | instskip(NEXT) | instid1(VALU_DEP_1)
	v_add_co_u32 v14, s3, v14, s6
	;; [unrolled: 3-line block ×6, first 2 shown]
	v_add_co_ci_u32_e64 v15, s3, s9, v15, s3
	v_add_nc_u32_e32 v16, 0x400, v5
	v_add_nc_u32_e32 v17, 0x800, v5
	s_and_b32 s6, s2, vcc_lo
	s_mov_b64 s[2:3], 0
	s_mov_b64 s[4:5], 0
	s_branch .LBB1875_5
.LBB1875_4:                             ;   in Loop: Header=BB1875_5 Depth=1
	s_or_b32 exec_lo, exec_lo, s7
	s_add_u32 s4, s4, 32
	s_addc_u32 s5, s5, 0
	s_add_u32 s2, s2, 0x80
	v_cmp_lt_i64_e64 s7, s[4:5], s[16:17]
	s_addc_u32 s3, s3, 0
	s_waitcnt_vscnt null, 0x0
	s_barrier
	buffer_gl0_inv
	s_and_b32 vcc_lo, exec_lo, s7
	s_cbranch_vccz .LBB1875_17
.LBB1875_5:                             ; =>This Inner Loop Header: Depth=1
	v_add_co_u32 v19, s7, v2, s4
	s_delay_alu instid0(VALU_DEP_1) | instskip(NEXT) | instid1(VALU_DEP_1)
	v_add_co_ci_u32_e64 v20, null, 0, s5, s7
	v_cmp_gt_i64_e32 vcc_lo, s[16:17], v[19:20]
	v_mov_b32_e32 v19, 0
	s_and_b32 s7, s0, vcc_lo
	s_delay_alu instid0(SALU_CYCLE_1)
	s_and_saveexec_b32 s8, s7
	s_cbranch_execz .LBB1875_7
; %bb.6:                                ;   in Loop: Header=BB1875_5 Depth=1
	v_add_co_u32 v19, vcc_lo, v12, s2
	v_add_co_ci_u32_e32 v20, vcc_lo, s3, v13, vcc_lo
	global_load_b32 v19, v[19:20], off
.LBB1875_7:                             ;   in Loop: Header=BB1875_5 Depth=1
	s_or_b32 exec_lo, exec_lo, s8
	v_add_co_u32 v20, s8, v3, s4
	s_delay_alu instid0(VALU_DEP_1)
	v_add_co_ci_u32_e64 v21, null, 0, s5, s8
	s_waitcnt vmcnt(0)
	ds_store_b32 v6, v19
	v_cmp_gt_i64_e32 vcc_lo, s[16:17], v[20:21]
	v_mov_b32_e32 v20, 0
	s_and_b32 s8, s1, vcc_lo
	s_delay_alu instid0(SALU_CYCLE_1)
	s_and_saveexec_b32 s9, s8
	s_cbranch_execz .LBB1875_9
; %bb.8:                                ;   in Loop: Header=BB1875_5 Depth=1
	v_add_co_u32 v19, vcc_lo, v8, s2
	v_add_co_ci_u32_e32 v20, vcc_lo, s3, v9, vcc_lo
	global_load_b32 v20, v[19:20], off
.LBB1875_9:                             ;   in Loop: Header=BB1875_5 Depth=1
	s_or_b32 exec_lo, exec_lo, s9
	s_waitcnt vmcnt(0)
	ds_store_b32 v7, v20
	s_waitcnt lgkmcnt(0)
	s_barrier
	buffer_gl0_inv
	s_and_saveexec_b32 s9, s6
	s_cbranch_execz .LBB1875_11
; %bb.10:                               ;   in Loop: Header=BB1875_5 Depth=1
	global_load_b32 v33, v[0:1], off
	ds_load_2addr_b32 v[27:28], v5 offset1:32
	ds_load_b128 v[19:22], v4
	ds_load_2addr_b32 v[29:30], v5 offset0:64 offset1:96
	ds_load_b128 v[23:26], v4 offset:16
	ds_load_2addr_b32 v[31:32], v5 offset0:128 offset1:160
	s_waitcnt lgkmcnt(3)
	v_fma_f32 v34, v19, v27, 0
	s_delay_alu instid0(VALU_DEP_1) | instskip(SKIP_3) | instid1(VALU_DEP_1)
	v_fmac_f32_e32 v34, v20, v28
	ds_load_2addr_b32 v[27:28], v5 offset0:192 offset1:224
	s_waitcnt lgkmcnt(3)
	v_fmac_f32_e32 v34, v21, v29
	v_fmac_f32_e32 v34, v22, v30
	ds_load_2addr_b32 v[29:30], v16 offset1:32
	ds_load_b128 v[19:22], v4 offset:32
	s_waitcnt lgkmcnt(3)
	v_fmac_f32_e32 v34, v23, v31
	s_delay_alu instid0(VALU_DEP_1) | instskip(SKIP_3) | instid1(VALU_DEP_1)
	v_fmac_f32_e32 v34, v24, v32
	ds_load_2addr_b32 v[31:32], v16 offset0:64 offset1:96
	s_waitcnt lgkmcnt(3)
	v_fmac_f32_e32 v34, v25, v27
	v_fmac_f32_e32 v34, v26, v28
	ds_load_b128 v[23:26], v4 offset:48
	ds_load_2addr_b32 v[27:28], v16 offset0:128 offset1:160
	s_waitcnt lgkmcnt(3)
	v_fmac_f32_e32 v34, v19, v29
	s_delay_alu instid0(VALU_DEP_1) | instskip(SKIP_3) | instid1(VALU_DEP_1)
	v_fmac_f32_e32 v34, v20, v30
	ds_load_2addr_b32 v[29:30], v16 offset0:192 offset1:224
	s_waitcnt lgkmcnt(3)
	v_fmac_f32_e32 v34, v21, v31
	v_fmac_f32_e32 v34, v22, v32
	ds_load_2addr_b32 v[31:32], v17 offset1:32
	ds_load_b128 v[19:22], v4 offset:64
	s_waitcnt lgkmcnt(3)
	v_fmac_f32_e32 v34, v23, v27
	s_delay_alu instid0(VALU_DEP_1) | instskip(SKIP_3) | instid1(VALU_DEP_1)
	v_fmac_f32_e32 v34, v24, v28
	ds_load_2addr_b32 v[27:28], v17 offset0:64 offset1:96
	s_waitcnt lgkmcnt(3)
	v_fmac_f32_e32 v34, v25, v29
	v_fmac_f32_e32 v34, v26, v30
	ds_load_b128 v[23:26], v4 offset:80
	ds_load_2addr_b32 v[29:30], v17 offset0:128 offset1:160
	s_waitcnt lgkmcnt(3)
	v_fmac_f32_e32 v34, v19, v31
	;; [unrolled: 20-line block ×3, first 2 shown]
	s_delay_alu instid0(VALU_DEP_1) | instskip(SKIP_3) | instid1(VALU_DEP_1)
	v_fmac_f32_e32 v34, v20, v28
	ds_load_2addr_b32 v[19:20], v18 offset0:192 offset1:224
	s_waitcnt lgkmcnt(3)
	v_fmac_f32_e32 v34, v21, v29
	v_fmac_f32_e32 v34, v22, v30
	s_waitcnt lgkmcnt(1)
	s_delay_alu instid0(VALU_DEP_1) | instskip(NEXT) | instid1(VALU_DEP_1)
	v_fmac_f32_e32 v34, v23, v31
	v_fmac_f32_e32 v34, v24, v32
	s_waitcnt lgkmcnt(0)
	s_delay_alu instid0(VALU_DEP_1) | instskip(NEXT) | instid1(VALU_DEP_1)
	v_fmac_f32_e32 v34, v25, v19
	v_fmac_f32_e32 v34, v26, v20
	s_waitcnt vmcnt(0)
	s_delay_alu instid0(VALU_DEP_1)
	v_fmac_f32_e32 v33, s10, v34
	global_store_b32 v[0:1], v33, off
.LBB1875_11:                            ;   in Loop: Header=BB1875_5 Depth=1
	s_or_b32 exec_lo, exec_lo, s9
	v_dual_mov_b32 v19, 0 :: v_dual_mov_b32 v20, 0
	s_waitcnt_vscnt null, 0x0
	s_barrier
	buffer_gl0_inv
	s_and_saveexec_b32 s9, s7
	s_cbranch_execz .LBB1875_13
; %bb.12:                               ;   in Loop: Header=BB1875_5 Depth=1
	v_add_co_u32 v20, vcc_lo, v14, s2
	v_add_co_ci_u32_e32 v21, vcc_lo, s3, v15, vcc_lo
	global_load_b32 v20, v[20:21], off
.LBB1875_13:                            ;   in Loop: Header=BB1875_5 Depth=1
	s_or_b32 exec_lo, exec_lo, s9
	s_waitcnt vmcnt(0)
	ds_store_b32 v6, v20
	s_and_saveexec_b32 s7, s8
	s_cbranch_execz .LBB1875_15
; %bb.14:                               ;   in Loop: Header=BB1875_5 Depth=1
	v_add_co_u32 v19, vcc_lo, v10, s2
	v_add_co_ci_u32_e32 v20, vcc_lo, s3, v11, vcc_lo
	global_load_b32 v19, v[19:20], off
.LBB1875_15:                            ;   in Loop: Header=BB1875_5 Depth=1
	s_or_b32 exec_lo, exec_lo, s7
	s_waitcnt vmcnt(0)
	ds_store_b32 v7, v19
	s_waitcnt lgkmcnt(0)
	s_barrier
	buffer_gl0_inv
	s_and_saveexec_b32 s7, s6
	s_cbranch_execz .LBB1875_4
; %bb.16:                               ;   in Loop: Header=BB1875_5 Depth=1
	global_load_b32 v33, v[0:1], off
	ds_load_2addr_b32 v[27:28], v5 offset1:32
	ds_load_b128 v[19:22], v4
	ds_load_2addr_b32 v[29:30], v5 offset0:64 offset1:96
	ds_load_b128 v[23:26], v4 offset:16
	ds_load_2addr_b32 v[31:32], v5 offset0:128 offset1:160
	s_waitcnt lgkmcnt(3)
	v_fma_f32 v34, v19, v27, 0
	s_delay_alu instid0(VALU_DEP_1) | instskip(SKIP_3) | instid1(VALU_DEP_1)
	v_fmac_f32_e32 v34, v20, v28
	ds_load_2addr_b32 v[27:28], v5 offset0:192 offset1:224
	s_waitcnt lgkmcnt(3)
	v_fmac_f32_e32 v34, v21, v29
	v_fmac_f32_e32 v34, v22, v30
	ds_load_2addr_b32 v[29:30], v16 offset1:32
	ds_load_b128 v[19:22], v4 offset:32
	s_waitcnt lgkmcnt(3)
	v_fmac_f32_e32 v34, v23, v31
	s_delay_alu instid0(VALU_DEP_1) | instskip(SKIP_3) | instid1(VALU_DEP_1)
	v_fmac_f32_e32 v34, v24, v32
	ds_load_2addr_b32 v[31:32], v16 offset0:64 offset1:96
	s_waitcnt lgkmcnt(3)
	v_fmac_f32_e32 v34, v25, v27
	v_fmac_f32_e32 v34, v26, v28
	ds_load_b128 v[23:26], v4 offset:48
	ds_load_2addr_b32 v[27:28], v16 offset0:128 offset1:160
	s_waitcnt lgkmcnt(3)
	v_fmac_f32_e32 v34, v19, v29
	s_delay_alu instid0(VALU_DEP_1) | instskip(SKIP_3) | instid1(VALU_DEP_1)
	v_fmac_f32_e32 v34, v20, v30
	ds_load_2addr_b32 v[29:30], v16 offset0:192 offset1:224
	s_waitcnt lgkmcnt(3)
	v_fmac_f32_e32 v34, v21, v31
	v_fmac_f32_e32 v34, v22, v32
	ds_load_2addr_b32 v[31:32], v17 offset1:32
	ds_load_b128 v[19:22], v4 offset:64
	s_waitcnt lgkmcnt(3)
	v_fmac_f32_e32 v34, v23, v27
	s_delay_alu instid0(VALU_DEP_1) | instskip(SKIP_3) | instid1(VALU_DEP_1)
	v_fmac_f32_e32 v34, v24, v28
	ds_load_2addr_b32 v[27:28], v17 offset0:64 offset1:96
	s_waitcnt lgkmcnt(3)
	v_fmac_f32_e32 v34, v25, v29
	v_fmac_f32_e32 v34, v26, v30
	ds_load_b128 v[23:26], v4 offset:80
	ds_load_2addr_b32 v[29:30], v17 offset0:128 offset1:160
	s_waitcnt lgkmcnt(3)
	v_fmac_f32_e32 v34, v19, v31
	;; [unrolled: 20-line block ×3, first 2 shown]
	s_delay_alu instid0(VALU_DEP_1) | instskip(SKIP_3) | instid1(VALU_DEP_1)
	v_fmac_f32_e32 v34, v20, v28
	ds_load_2addr_b32 v[19:20], v18 offset0:192 offset1:224
	s_waitcnt lgkmcnt(3)
	v_fmac_f32_e32 v34, v21, v29
	v_fmac_f32_e32 v34, v22, v30
	s_waitcnt lgkmcnt(1)
	s_delay_alu instid0(VALU_DEP_1) | instskip(NEXT) | instid1(VALU_DEP_1)
	v_fmac_f32_e32 v34, v23, v31
	v_fmac_f32_e32 v34, v24, v32
	s_waitcnt lgkmcnt(0)
	s_delay_alu instid0(VALU_DEP_1) | instskip(NEXT) | instid1(VALU_DEP_1)
	v_fmac_f32_e32 v34, v25, v19
	v_fmac_f32_e32 v34, v26, v20
	s_waitcnt vmcnt(0)
	s_delay_alu instid0(VALU_DEP_1)
	v_fmac_f32_e32 v33, s10, v34
	global_store_b32 v[0:1], v33, off
	s_branch .LBB1875_4
.LBB1875_17:
	s_endpgm
	.section	.rodata,"a",@progbits
	.p2align	6, 0x0
	.amdhsa_kernel _ZL26rocblas_syr2k_her2k_kernelIlLb1ELb0ELb1ELi32EPKfPKS1_PKPfEvbiT_T4_T5_S7_lS9_S7_lT6_S7_li
		.amdhsa_group_segment_fixed_size 8192
		.amdhsa_private_segment_fixed_size 0
		.amdhsa_kernarg_size 100
		.amdhsa_user_sgpr_count 13
		.amdhsa_user_sgpr_dispatch_ptr 0
		.amdhsa_user_sgpr_queue_ptr 0
		.amdhsa_user_sgpr_kernarg_segment_ptr 1
		.amdhsa_user_sgpr_dispatch_id 0
		.amdhsa_user_sgpr_private_segment_size 0
		.amdhsa_wavefront_size32 1
		.amdhsa_uses_dynamic_stack 0
		.amdhsa_enable_private_segment 0
		.amdhsa_system_sgpr_workgroup_id_x 1
		.amdhsa_system_sgpr_workgroup_id_y 1
		.amdhsa_system_sgpr_workgroup_id_z 1
		.amdhsa_system_sgpr_workgroup_info 0
		.amdhsa_system_vgpr_workitem_id 1
		.amdhsa_next_free_vgpr 35
		.amdhsa_next_free_sgpr 32
		.amdhsa_reserve_vcc 1
		.amdhsa_float_round_mode_32 0
		.amdhsa_float_round_mode_16_64 0
		.amdhsa_float_denorm_mode_32 3
		.amdhsa_float_denorm_mode_16_64 3
		.amdhsa_dx10_clamp 1
		.amdhsa_ieee_mode 1
		.amdhsa_fp16_overflow 0
		.amdhsa_workgroup_processor_mode 1
		.amdhsa_memory_ordered 1
		.amdhsa_forward_progress 0
		.amdhsa_shared_vgpr_count 0
		.amdhsa_exception_fp_ieee_invalid_op 0
		.amdhsa_exception_fp_denorm_src 0
		.amdhsa_exception_fp_ieee_div_zero 0
		.amdhsa_exception_fp_ieee_overflow 0
		.amdhsa_exception_fp_ieee_underflow 0
		.amdhsa_exception_fp_ieee_inexact 0
		.amdhsa_exception_int_div_zero 0
	.end_amdhsa_kernel
	.section	.text._ZL26rocblas_syr2k_her2k_kernelIlLb1ELb0ELb1ELi32EPKfPKS1_PKPfEvbiT_T4_T5_S7_lS9_S7_lT6_S7_li,"axG",@progbits,_ZL26rocblas_syr2k_her2k_kernelIlLb1ELb0ELb1ELi32EPKfPKS1_PKPfEvbiT_T4_T5_S7_lS9_S7_lT6_S7_li,comdat
.Lfunc_end1875:
	.size	_ZL26rocblas_syr2k_her2k_kernelIlLb1ELb0ELb1ELi32EPKfPKS1_PKPfEvbiT_T4_T5_S7_lS9_S7_lT6_S7_li, .Lfunc_end1875-_ZL26rocblas_syr2k_her2k_kernelIlLb1ELb0ELb1ELi32EPKfPKS1_PKPfEvbiT_T4_T5_S7_lS9_S7_lT6_S7_li
                                        ; -- End function
	.section	.AMDGPU.csdata,"",@progbits
; Kernel info:
; codeLenInByte = 2152
; NumSgprs: 34
; NumVgprs: 35
; ScratchSize: 0
; MemoryBound: 0
; FloatMode: 240
; IeeeMode: 1
; LDSByteSize: 8192 bytes/workgroup (compile time only)
; SGPRBlocks: 4
; VGPRBlocks: 4
; NumSGPRsForWavesPerEU: 34
; NumVGPRsForWavesPerEU: 35
; Occupancy: 16
; WaveLimiterHint : 1
; COMPUTE_PGM_RSRC2:SCRATCH_EN: 0
; COMPUTE_PGM_RSRC2:USER_SGPR: 13
; COMPUTE_PGM_RSRC2:TRAP_HANDLER: 0
; COMPUTE_PGM_RSRC2:TGID_X_EN: 1
; COMPUTE_PGM_RSRC2:TGID_Y_EN: 1
; COMPUTE_PGM_RSRC2:TGID_Z_EN: 1
; COMPUTE_PGM_RSRC2:TIDIG_COMP_CNT: 1
	.section	.text._ZL26rocblas_syr2k_her2k_kernelIlLb1ELb0ELb0ELi32EdPKPKdPKPdEvbiT_T4_T5_S7_lS9_S7_lT6_S7_li,"axG",@progbits,_ZL26rocblas_syr2k_her2k_kernelIlLb1ELb0ELb0ELi32EdPKPKdPKPdEvbiT_T4_T5_S7_lS9_S7_lT6_S7_li,comdat
	.globl	_ZL26rocblas_syr2k_her2k_kernelIlLb1ELb0ELb0ELi32EdPKPKdPKPdEvbiT_T4_T5_S7_lS9_S7_lT6_S7_li ; -- Begin function _ZL26rocblas_syr2k_her2k_kernelIlLb1ELb0ELb0ELi32EdPKPKdPKPdEvbiT_T4_T5_S7_lS9_S7_lT6_S7_li
	.p2align	8
	.type	_ZL26rocblas_syr2k_her2k_kernelIlLb1ELb0ELb0ELi32EdPKPKdPKPdEvbiT_T4_T5_S7_lS9_S7_lT6_S7_li,@function
_ZL26rocblas_syr2k_her2k_kernelIlLb1ELb0ELb0ELi32EdPKPKdPKPdEvbiT_T4_T5_S7_lS9_S7_lT6_S7_li: ; @_ZL26rocblas_syr2k_her2k_kernelIlLb1ELb0ELb0ELi32EdPKPKdPKPdEvbiT_T4_T5_S7_lS9_S7_lT6_S7_li
; %bb.0:
	s_load_b512 s[16:31], s[0:1], 0x8
	s_waitcnt lgkmcnt(0)
	v_cmp_eq_f64_e64 s2, s[18:19], 0
	s_delay_alu instid0(VALU_DEP_1)
	s_and_b32 vcc_lo, exec_lo, s2
	s_cbranch_vccnz .LBB1876_17
; %bb.1:
	s_load_b64 s[2:3], s[0:1], 0x0
	s_lshl_b32 s10, s14, 5
	s_lshl_b32 s11, s13, 5
	s_waitcnt lgkmcnt(0)
	s_and_b32 s2, 1, s2
	s_delay_alu instid0(SALU_CYCLE_1) | instskip(SKIP_1) | instid1(SALU_CYCLE_1)
	s_cmp_eq_u32 s2, 1
	s_cselect_b32 s2, -1, 0
	s_and_b32 s4, s2, exec_lo
	s_cselect_b32 s4, s11, s10
	s_cselect_b32 s5, s10, s11
	s_delay_alu instid0(SALU_CYCLE_1)
	s_cmp_gt_i32 s4, s5
	s_cbranch_scc1 .LBB1876_17
; %bb.2:
	v_cmp_lt_i64_e64 s4, s[16:17], 1
	s_delay_alu instid0(VALU_DEP_1)
	s_and_b32 vcc_lo, exec_lo, s4
	s_cbranch_vccnz .LBB1876_17
; %bb.3:
	s_clause 0x1
	s_load_b128 s[4:7], s[0:1], 0x48
	s_load_b64 s[0:1], s[0:1], 0x58
	v_bfe_u32 v6, v0, 10, 10
	s_mov_b32 s8, s15
	s_mov_b32 s9, 0
	v_and_b32_e32 v7, 0x3ff, v0
	s_lshl_b64 s[8:9], s[8:9], 3
	v_dual_mov_b32 v3, 0 :: v_dual_add_nc_u32 v4, s10, v6
	s_add_u32 s14, s20, s8
	s_addc_u32 s15, s21, s9
	s_delay_alu instid0(VALU_DEP_1)
	v_dual_mov_b32 v5, v3 :: v_dual_add_nc_u32 v2, s11, v7
	s_load_b64 s[10:11], s[14:15], 0x0
	s_add_u32 s14, s26, s8
	s_addc_u32 s15, s27, s9
	v_lshlrev_b32_e32 v0, 3, v6
	v_lshlrev_b32_e32 v8, 8, v7
	v_ashrrev_i32_e32 v1, 31, v4
	s_load_b64 s[14:15], s[14:15], 0x0
	s_waitcnt lgkmcnt(0)
	s_add_u32 s4, s4, s8
	s_addc_u32 s5, s5, s9
	v_add_nc_u32_e32 v9, v8, v0
	s_load_b64 s[4:5], s[4:5], 0x0
	v_or_b32_e32 v10, 0x2000, v0
	v_mul_lo_u32 v16, v1, s6
	v_mul_lo_u32 v17, v4, s7
	v_mad_u64_u32 v[0:1], null, v4, s6, 0
	v_cndmask_b32_e64 v11, v2, v4, s2
	v_cndmask_b32_e64 v14, v4, v2, s2
	v_max_i32_e32 v15, v2, v4
	s_lshl_b64 s[8:9], s[24:25], 3
	s_mov_b32 s12, s3
	s_add_u32 s8, s10, s8
	v_cmp_le_i32_e64 s2, v14, v11
	v_cmp_gt_i32_e32 vcc_lo, s3, v15
	v_add3_u32 v1, v1, v17, v16
	v_mov_b32_e32 v16, v2
	v_mad_u64_u32 v[12:13], null, s28, v7, 0
	v_mad_u64_u32 v[14:15], null, s22, v7, 0
	s_addc_u32 s9, s11, s9
	s_lshl_b64 s[10:11], s[30:31], 3
	v_lshlrev_b64 v[0:1], 3, v[0:1]
	s_add_u32 s10, s14, s10
	s_addc_u32 s11, s15, s11
	s_lshl_b64 s[0:1], s[0:1], 3
	s_delay_alu instid0(VALU_DEP_2)
	v_mad_u64_u32 v[18:19], null, s29, v7, v[13:14]
	s_waitcnt lgkmcnt(0)
	s_add_u32 s4, s4, s0
	v_ashrrev_i32_e32 v17, 31, v2
	v_mad_u64_u32 v[19:20], null, s22, v6, 0
	v_mad_u64_u32 v[21:22], null, s23, v7, v[15:16]
	s_addc_u32 s5, s5, s1
	s_ashr_i32 s13, s3, 31
	v_mov_b32_e32 v13, v18
	v_cmp_gt_i64_e64 s0, s[12:13], v[2:3]
	v_cmp_gt_i64_e64 s1, s[12:13], v[4:5]
	s_and_b32 s12, s2, vcc_lo
	v_add_co_u32 v22, vcc_lo, s4, v0
	v_add_co_ci_u32_e32 v23, vcc_lo, s5, v1, vcc_lo
	v_lshlrev_b64 v[0:1], 3, v[16:17]
	v_mad_u64_u32 v[17:18], null, s28, v6, 0
	v_dual_mov_b32 v16, v20 :: v_dual_mov_b32 v15, v21
	v_add_nc_u32_e32 v11, v10, v8
	s_delay_alu instid0(VALU_DEP_4) | instskip(SKIP_1) | instid1(VALU_DEP_4)
	v_add_co_u32 v0, vcc_lo, v22, v0
	v_lshlrev_b64 v[12:13], 3, v[12:13]
	v_mad_u64_u32 v[20:21], null, s23, v6, v[16:17]
	v_mov_b32_e32 v16, v18
	v_lshlrev_b64 v[4:5], 3, v[4:5]
	v_lshlrev_b64 v[14:15], 3, v[14:15]
	v_add_co_ci_u32_e32 v1, vcc_lo, v23, v1, vcc_lo
	s_delay_alu instid0(VALU_DEP_4) | instskip(NEXT) | instid1(VALU_DEP_4)
	v_mad_u64_u32 v[21:22], null, s29, v6, v[16:17]
	v_add_co_u32 v12, vcc_lo, v12, v4
	v_add_co_ci_u32_e32 v13, vcc_lo, v13, v5, vcc_lo
	v_lshlrev_b64 v[19:20], 3, v[19:20]
	v_lshlrev_b64 v[2:3], 3, v[2:3]
	v_dual_mov_b32 v18, v21 :: v_dual_add_nc_u32 v21, 0x1000, v10
	v_add_co_u32 v14, vcc_lo, v14, v4
	v_add_co_ci_u32_e32 v15, vcc_lo, v15, v5, vcc_lo
	s_delay_alu instid0(VALU_DEP_3) | instskip(SKIP_3) | instid1(VALU_DEP_4)
	v_lshlrev_b64 v[4:5], 3, v[17:18]
	v_add_co_u32 v16, vcc_lo, v19, v2
	v_add_co_ci_u32_e32 v17, vcc_lo, v20, v3, vcc_lo
	v_add_nc_u32_e32 v20, 0x800, v10
	v_add_co_u32 v18, vcc_lo, v4, v2
	v_add_co_ci_u32_e32 v19, vcc_lo, v5, v3, vcc_lo
	v_add_nc_u32_e32 v22, 0x1800, v10
	s_lshl_b64 s[2:3], s[28:29], 8
	s_lshl_b64 s[4:5], s[22:23], 8
	s_mov_b64 s[6:7], 0
	s_branch .LBB1876_5
.LBB1876_4:                             ;   in Loop: Header=BB1876_5 Depth=1
	s_or_b32 exec_lo, exec_lo, s13
	s_add_u32 s6, s6, 32
	s_addc_u32 s7, s7, 0
	s_add_u32 s10, s10, s2
	v_cmp_lt_i64_e64 s13, s[6:7], s[16:17]
	s_addc_u32 s11, s11, s3
	s_add_u32 s8, s8, s4
	s_addc_u32 s9, s9, s5
	s_waitcnt_vscnt null, 0x0
	s_barrier
	s_and_b32 vcc_lo, exec_lo, s13
	buffer_gl0_inv
	s_cbranch_vccz .LBB1876_17
.LBB1876_5:                             ; =>This Inner Loop Header: Depth=1
	v_add_co_u32 v4, s13, v6, s6
	s_delay_alu instid0(VALU_DEP_1) | instskip(SKIP_2) | instid1(VALU_DEP_3)
	v_add_co_ci_u32_e64 v5, null, 0, s7, s13
	v_mov_b32_e32 v2, 0
	v_mov_b32_e32 v3, 0
	v_cmp_gt_i64_e32 vcc_lo, s[16:17], v[4:5]
	s_delay_alu instid0(VALU_DEP_2) | instskip(SKIP_1) | instid1(SALU_CYCLE_1)
	v_dual_mov_b32 v5, v3 :: v_dual_mov_b32 v4, v2
	s_and_b32 s13, s0, vcc_lo
	s_and_saveexec_b32 s14, s13
	s_cbranch_execz .LBB1876_7
; %bb.6:                                ;   in Loop: Header=BB1876_5 Depth=1
	v_add_co_u32 v4, vcc_lo, s8, v16
	v_add_co_ci_u32_e32 v5, vcc_lo, s9, v17, vcc_lo
	global_load_b64 v[4:5], v[4:5], off
.LBB1876_7:                             ;   in Loop: Header=BB1876_5 Depth=1
	s_or_b32 exec_lo, exec_lo, s14
	v_add_co_u32 v23, s14, v7, s6
	s_delay_alu instid0(VALU_DEP_1) | instskip(SKIP_4) | instid1(SALU_CYCLE_1)
	v_add_co_ci_u32_e64 v24, null, 0, s7, s14
	s_waitcnt vmcnt(0)
	ds_store_b64 v9, v[4:5]
	v_cmp_gt_i64_e32 vcc_lo, s[16:17], v[23:24]
	s_and_b32 s14, s1, vcc_lo
	s_and_saveexec_b32 s15, s14
	s_cbranch_execz .LBB1876_9
; %bb.8:                                ;   in Loop: Header=BB1876_5 Depth=1
	v_add_co_u32 v2, vcc_lo, s10, v12
	v_add_co_ci_u32_e32 v3, vcc_lo, s11, v13, vcc_lo
	global_load_b64 v[2:3], v[2:3], off
.LBB1876_9:                             ;   in Loop: Header=BB1876_5 Depth=1
	s_or_b32 exec_lo, exec_lo, s15
	s_waitcnt vmcnt(0)
	ds_store_b64 v11, v[2:3]
	s_waitcnt lgkmcnt(0)
	s_barrier
	buffer_gl0_inv
	s_and_saveexec_b32 s15, s12
	s_cbranch_execz .LBB1876_11
; %bb.10:                               ;   in Loop: Header=BB1876_5 Depth=1
	ds_load_2addr_b64 v[2:5], v10 offset1:32
	ds_load_b128 v[23:26], v8
	ds_load_b128 v[27:30], v8 offset:16
	s_waitcnt lgkmcnt(1)
	v_fma_f64 v[2:3], v[23:24], v[2:3], 0
	s_delay_alu instid0(VALU_DEP_1) | instskip(SKIP_3) | instid1(VALU_DEP_1)
	v_fma_f64 v[23:24], v[25:26], v[4:5], v[2:3]
	ds_load_2addr_b64 v[2:5], v10 offset0:64 offset1:96
	s_waitcnt lgkmcnt(0)
	v_fma_f64 v[2:3], v[27:28], v[2:3], v[23:24]
	v_fma_f64 v[31:32], v[29:30], v[4:5], v[2:3]
	ds_load_2addr_b64 v[2:5], v10 offset0:128 offset1:160
	ds_load_b128 v[23:26], v8 offset:32
	ds_load_b128 v[27:30], v8 offset:48
	s_waitcnt lgkmcnt(1)
	v_fma_f64 v[2:3], v[23:24], v[2:3], v[31:32]
	s_delay_alu instid0(VALU_DEP_1) | instskip(SKIP_3) | instid1(VALU_DEP_1)
	v_fma_f64 v[23:24], v[25:26], v[4:5], v[2:3]
	ds_load_2addr_b64 v[2:5], v10 offset0:192 offset1:224
	s_waitcnt lgkmcnt(0)
	v_fma_f64 v[2:3], v[27:28], v[2:3], v[23:24]
	v_fma_f64 v[31:32], v[29:30], v[4:5], v[2:3]
	ds_load_2addr_b64 v[2:5], v20 offset1:32
	ds_load_b128 v[23:26], v8 offset:64
	ds_load_b128 v[27:30], v8 offset:80
	s_waitcnt lgkmcnt(1)
	v_fma_f64 v[2:3], v[23:24], v[2:3], v[31:32]
	s_delay_alu instid0(VALU_DEP_1) | instskip(SKIP_3) | instid1(VALU_DEP_1)
	v_fma_f64 v[23:24], v[25:26], v[4:5], v[2:3]
	ds_load_2addr_b64 v[2:5], v20 offset0:64 offset1:96
	s_waitcnt lgkmcnt(0)
	v_fma_f64 v[2:3], v[27:28], v[2:3], v[23:24]
	v_fma_f64 v[31:32], v[29:30], v[4:5], v[2:3]
	ds_load_2addr_b64 v[2:5], v20 offset0:128 offset1:160
	ds_load_b128 v[23:26], v8 offset:96
	ds_load_b128 v[27:30], v8 offset:112
	s_waitcnt lgkmcnt(1)
	v_fma_f64 v[2:3], v[23:24], v[2:3], v[31:32]
	s_delay_alu instid0(VALU_DEP_1) | instskip(SKIP_3) | instid1(VALU_DEP_1)
	v_fma_f64 v[23:24], v[25:26], v[4:5], v[2:3]
	ds_load_2addr_b64 v[2:5], v20 offset0:192 offset1:224
	s_waitcnt lgkmcnt(0)
	v_fma_f64 v[2:3], v[27:28], v[2:3], v[23:24]
	v_fma_f64 v[31:32], v[29:30], v[4:5], v[2:3]
	ds_load_2addr_b64 v[2:5], v21 offset1:32
	ds_load_b128 v[23:26], v8 offset:128
	;; [unrolled: 22-line block ×3, first 2 shown]
	global_load_b64 v[33:34], v[0:1], off
	ds_load_b128 v[27:30], v8 offset:208
	s_waitcnt lgkmcnt(1)
	v_fma_f64 v[2:3], v[23:24], v[2:3], v[31:32]
	s_delay_alu instid0(VALU_DEP_1) | instskip(SKIP_3) | instid1(VALU_DEP_1)
	v_fma_f64 v[23:24], v[25:26], v[4:5], v[2:3]
	ds_load_2addr_b64 v[2:5], v22 offset0:64 offset1:96
	s_waitcnt lgkmcnt(0)
	v_fma_f64 v[2:3], v[27:28], v[2:3], v[23:24]
	v_fma_f64 v[31:32], v[29:30], v[4:5], v[2:3]
	ds_load_2addr_b64 v[2:5], v22 offset0:128 offset1:160
	ds_load_b128 v[23:26], v8 offset:224
	ds_load_b128 v[27:30], v8 offset:240
	s_waitcnt lgkmcnt(1)
	v_fma_f64 v[2:3], v[23:24], v[2:3], v[31:32]
	s_delay_alu instid0(VALU_DEP_1) | instskip(SKIP_3) | instid1(VALU_DEP_1)
	v_fma_f64 v[23:24], v[25:26], v[4:5], v[2:3]
	ds_load_2addr_b64 v[2:5], v22 offset0:192 offset1:224
	s_waitcnt lgkmcnt(0)
	v_fma_f64 v[2:3], v[27:28], v[2:3], v[23:24]
	v_fma_f64 v[2:3], v[29:30], v[4:5], v[2:3]
	s_waitcnt vmcnt(0)
	s_delay_alu instid0(VALU_DEP_1)
	v_fma_f64 v[2:3], v[2:3], s[18:19], v[33:34]
	global_store_b64 v[0:1], v[2:3], off
.LBB1876_11:                            ;   in Loop: Header=BB1876_5 Depth=1
	s_or_b32 exec_lo, exec_lo, s15
	v_mov_b32_e32 v2, 0
	v_mov_b32_e32 v3, 0
	s_waitcnt_vscnt null, 0x0
	s_barrier
	buffer_gl0_inv
	v_dual_mov_b32 v5, v3 :: v_dual_mov_b32 v4, v2
	s_and_saveexec_b32 s15, s13
	s_cbranch_execz .LBB1876_13
; %bb.12:                               ;   in Loop: Header=BB1876_5 Depth=1
	v_add_co_u32 v4, vcc_lo, s10, v18
	v_add_co_ci_u32_e32 v5, vcc_lo, s11, v19, vcc_lo
	global_load_b64 v[4:5], v[4:5], off
.LBB1876_13:                            ;   in Loop: Header=BB1876_5 Depth=1
	s_or_b32 exec_lo, exec_lo, s15
	s_waitcnt vmcnt(0)
	ds_store_b64 v9, v[4:5]
	s_and_saveexec_b32 s13, s14
	s_cbranch_execz .LBB1876_15
; %bb.14:                               ;   in Loop: Header=BB1876_5 Depth=1
	v_add_co_u32 v2, vcc_lo, s8, v14
	v_add_co_ci_u32_e32 v3, vcc_lo, s9, v15, vcc_lo
	global_load_b64 v[2:3], v[2:3], off
.LBB1876_15:                            ;   in Loop: Header=BB1876_5 Depth=1
	s_or_b32 exec_lo, exec_lo, s13
	s_waitcnt vmcnt(0)
	ds_store_b64 v11, v[2:3]
	s_waitcnt lgkmcnt(0)
	s_barrier
	buffer_gl0_inv
	s_and_saveexec_b32 s13, s12
	s_cbranch_execz .LBB1876_4
; %bb.16:                               ;   in Loop: Header=BB1876_5 Depth=1
	ds_load_2addr_b64 v[2:5], v10 offset1:32
	ds_load_b128 v[23:26], v8
	ds_load_b128 v[27:30], v8 offset:16
	s_waitcnt lgkmcnt(1)
	v_fma_f64 v[2:3], v[23:24], v[2:3], 0
	s_delay_alu instid0(VALU_DEP_1) | instskip(SKIP_3) | instid1(VALU_DEP_1)
	v_fma_f64 v[23:24], v[25:26], v[4:5], v[2:3]
	ds_load_2addr_b64 v[2:5], v10 offset0:64 offset1:96
	s_waitcnt lgkmcnt(0)
	v_fma_f64 v[2:3], v[27:28], v[2:3], v[23:24]
	v_fma_f64 v[31:32], v[29:30], v[4:5], v[2:3]
	ds_load_2addr_b64 v[2:5], v10 offset0:128 offset1:160
	ds_load_b128 v[23:26], v8 offset:32
	ds_load_b128 v[27:30], v8 offset:48
	s_waitcnt lgkmcnt(1)
	v_fma_f64 v[2:3], v[23:24], v[2:3], v[31:32]
	s_delay_alu instid0(VALU_DEP_1) | instskip(SKIP_3) | instid1(VALU_DEP_1)
	v_fma_f64 v[23:24], v[25:26], v[4:5], v[2:3]
	ds_load_2addr_b64 v[2:5], v10 offset0:192 offset1:224
	s_waitcnt lgkmcnt(0)
	v_fma_f64 v[2:3], v[27:28], v[2:3], v[23:24]
	v_fma_f64 v[31:32], v[29:30], v[4:5], v[2:3]
	ds_load_2addr_b64 v[2:5], v20 offset1:32
	ds_load_b128 v[23:26], v8 offset:64
	ds_load_b128 v[27:30], v8 offset:80
	s_waitcnt lgkmcnt(1)
	v_fma_f64 v[2:3], v[23:24], v[2:3], v[31:32]
	s_delay_alu instid0(VALU_DEP_1) | instskip(SKIP_3) | instid1(VALU_DEP_1)
	v_fma_f64 v[23:24], v[25:26], v[4:5], v[2:3]
	ds_load_2addr_b64 v[2:5], v20 offset0:64 offset1:96
	s_waitcnt lgkmcnt(0)
	v_fma_f64 v[2:3], v[27:28], v[2:3], v[23:24]
	v_fma_f64 v[31:32], v[29:30], v[4:5], v[2:3]
	ds_load_2addr_b64 v[2:5], v20 offset0:128 offset1:160
	ds_load_b128 v[23:26], v8 offset:96
	ds_load_b128 v[27:30], v8 offset:112
	s_waitcnt lgkmcnt(1)
	v_fma_f64 v[2:3], v[23:24], v[2:3], v[31:32]
	s_delay_alu instid0(VALU_DEP_1) | instskip(SKIP_3) | instid1(VALU_DEP_1)
	v_fma_f64 v[23:24], v[25:26], v[4:5], v[2:3]
	ds_load_2addr_b64 v[2:5], v20 offset0:192 offset1:224
	s_waitcnt lgkmcnt(0)
	v_fma_f64 v[2:3], v[27:28], v[2:3], v[23:24]
	v_fma_f64 v[31:32], v[29:30], v[4:5], v[2:3]
	ds_load_2addr_b64 v[2:5], v21 offset1:32
	ds_load_b128 v[23:26], v8 offset:128
	;; [unrolled: 22-line block ×3, first 2 shown]
	global_load_b64 v[33:34], v[0:1], off
	ds_load_b128 v[27:30], v8 offset:208
	s_waitcnt lgkmcnt(1)
	v_fma_f64 v[2:3], v[23:24], v[2:3], v[31:32]
	s_delay_alu instid0(VALU_DEP_1) | instskip(SKIP_3) | instid1(VALU_DEP_1)
	v_fma_f64 v[23:24], v[25:26], v[4:5], v[2:3]
	ds_load_2addr_b64 v[2:5], v22 offset0:64 offset1:96
	s_waitcnt lgkmcnt(0)
	v_fma_f64 v[2:3], v[27:28], v[2:3], v[23:24]
	v_fma_f64 v[31:32], v[29:30], v[4:5], v[2:3]
	ds_load_2addr_b64 v[2:5], v22 offset0:128 offset1:160
	ds_load_b128 v[23:26], v8 offset:224
	ds_load_b128 v[27:30], v8 offset:240
	s_waitcnt lgkmcnt(1)
	v_fma_f64 v[2:3], v[23:24], v[2:3], v[31:32]
	s_delay_alu instid0(VALU_DEP_1) | instskip(SKIP_3) | instid1(VALU_DEP_1)
	v_fma_f64 v[23:24], v[25:26], v[4:5], v[2:3]
	ds_load_2addr_b64 v[2:5], v22 offset0:192 offset1:224
	s_waitcnt lgkmcnt(0)
	v_fma_f64 v[2:3], v[27:28], v[2:3], v[23:24]
	v_fma_f64 v[2:3], v[29:30], v[4:5], v[2:3]
	s_waitcnt vmcnt(0)
	s_delay_alu instid0(VALU_DEP_1)
	v_fma_f64 v[2:3], v[2:3], s[18:19], v[33:34]
	global_store_b64 v[0:1], v[2:3], off
	s_branch .LBB1876_4
.LBB1876_17:
	s_endpgm
	.section	.rodata,"a",@progbits
	.p2align	6, 0x0
	.amdhsa_kernel _ZL26rocblas_syr2k_her2k_kernelIlLb1ELb0ELb0ELi32EdPKPKdPKPdEvbiT_T4_T5_S7_lS9_S7_lT6_S7_li
		.amdhsa_group_segment_fixed_size 16384
		.amdhsa_private_segment_fixed_size 0
		.amdhsa_kernarg_size 100
		.amdhsa_user_sgpr_count 13
		.amdhsa_user_sgpr_dispatch_ptr 0
		.amdhsa_user_sgpr_queue_ptr 0
		.amdhsa_user_sgpr_kernarg_segment_ptr 1
		.amdhsa_user_sgpr_dispatch_id 0
		.amdhsa_user_sgpr_private_segment_size 0
		.amdhsa_wavefront_size32 1
		.amdhsa_uses_dynamic_stack 0
		.amdhsa_enable_private_segment 0
		.amdhsa_system_sgpr_workgroup_id_x 1
		.amdhsa_system_sgpr_workgroup_id_y 1
		.amdhsa_system_sgpr_workgroup_id_z 1
		.amdhsa_system_sgpr_workgroup_info 0
		.amdhsa_system_vgpr_workitem_id 1
		.amdhsa_next_free_vgpr 35
		.amdhsa_next_free_sgpr 32
		.amdhsa_reserve_vcc 1
		.amdhsa_float_round_mode_32 0
		.amdhsa_float_round_mode_16_64 0
		.amdhsa_float_denorm_mode_32 3
		.amdhsa_float_denorm_mode_16_64 3
		.amdhsa_dx10_clamp 1
		.amdhsa_ieee_mode 1
		.amdhsa_fp16_overflow 0
		.amdhsa_workgroup_processor_mode 1
		.amdhsa_memory_ordered 1
		.amdhsa_forward_progress 0
		.amdhsa_shared_vgpr_count 0
		.amdhsa_exception_fp_ieee_invalid_op 0
		.amdhsa_exception_fp_denorm_src 0
		.amdhsa_exception_fp_ieee_div_zero 0
		.amdhsa_exception_fp_ieee_overflow 0
		.amdhsa_exception_fp_ieee_underflow 0
		.amdhsa_exception_fp_ieee_inexact 0
		.amdhsa_exception_int_div_zero 0
	.end_amdhsa_kernel
	.section	.text._ZL26rocblas_syr2k_her2k_kernelIlLb1ELb0ELb0ELi32EdPKPKdPKPdEvbiT_T4_T5_S7_lS9_S7_lT6_S7_li,"axG",@progbits,_ZL26rocblas_syr2k_her2k_kernelIlLb1ELb0ELb0ELi32EdPKPKdPKPdEvbiT_T4_T5_S7_lS9_S7_lT6_S7_li,comdat
.Lfunc_end1876:
	.size	_ZL26rocblas_syr2k_her2k_kernelIlLb1ELb0ELb0ELi32EdPKPKdPKPdEvbiT_T4_T5_S7_lS9_S7_lT6_S7_li, .Lfunc_end1876-_ZL26rocblas_syr2k_her2k_kernelIlLb1ELb0ELb0ELi32EdPKPKdPKPdEvbiT_T4_T5_S7_lS9_S7_lT6_S7_li
                                        ; -- End function
	.section	.AMDGPU.csdata,"",@progbits
; Kernel info:
; codeLenInByte = 2360
; NumSgprs: 34
; NumVgprs: 35
; ScratchSize: 0
; MemoryBound: 0
; FloatMode: 240
; IeeeMode: 1
; LDSByteSize: 16384 bytes/workgroup (compile time only)
; SGPRBlocks: 4
; VGPRBlocks: 4
; NumSGPRsForWavesPerEU: 34
; NumVGPRsForWavesPerEU: 35
; Occupancy: 16
; WaveLimiterHint : 1
; COMPUTE_PGM_RSRC2:SCRATCH_EN: 0
; COMPUTE_PGM_RSRC2:USER_SGPR: 13
; COMPUTE_PGM_RSRC2:TRAP_HANDLER: 0
; COMPUTE_PGM_RSRC2:TGID_X_EN: 1
; COMPUTE_PGM_RSRC2:TGID_Y_EN: 1
; COMPUTE_PGM_RSRC2:TGID_Z_EN: 1
; COMPUTE_PGM_RSRC2:TIDIG_COMP_CNT: 1
	.section	.text._ZL26rocblas_syr2k_her2k_kernelIlLb1ELb0ELb1ELi32EdPKPKdPKPdEvbiT_T4_T5_S7_lS9_S7_lT6_S7_li,"axG",@progbits,_ZL26rocblas_syr2k_her2k_kernelIlLb1ELb0ELb1ELi32EdPKPKdPKPdEvbiT_T4_T5_S7_lS9_S7_lT6_S7_li,comdat
	.globl	_ZL26rocblas_syr2k_her2k_kernelIlLb1ELb0ELb1ELi32EdPKPKdPKPdEvbiT_T4_T5_S7_lS9_S7_lT6_S7_li ; -- Begin function _ZL26rocblas_syr2k_her2k_kernelIlLb1ELb0ELb1ELi32EdPKPKdPKPdEvbiT_T4_T5_S7_lS9_S7_lT6_S7_li
	.p2align	8
	.type	_ZL26rocblas_syr2k_her2k_kernelIlLb1ELb0ELb1ELi32EdPKPKdPKPdEvbiT_T4_T5_S7_lS9_S7_lT6_S7_li,@function
_ZL26rocblas_syr2k_her2k_kernelIlLb1ELb0ELb1ELi32EdPKPKdPKPdEvbiT_T4_T5_S7_lS9_S7_lT6_S7_li: ; @_ZL26rocblas_syr2k_her2k_kernelIlLb1ELb0ELb1ELi32EdPKPKdPKPdEvbiT_T4_T5_S7_lS9_S7_lT6_S7_li
; %bb.0:
	s_load_b512 s[16:31], s[0:1], 0x8
	s_waitcnt lgkmcnt(0)
	v_cmp_eq_f64_e64 s2, s[18:19], 0
	s_delay_alu instid0(VALU_DEP_1)
	s_and_b32 vcc_lo, exec_lo, s2
	s_cbranch_vccnz .LBB1877_17
; %bb.1:
	s_load_b64 s[2:3], s[0:1], 0x0
	s_lshl_b32 s10, s14, 5
	s_lshl_b32 s11, s13, 5
	s_waitcnt lgkmcnt(0)
	s_and_b32 s2, 1, s2
	s_delay_alu instid0(SALU_CYCLE_1) | instskip(SKIP_1) | instid1(SALU_CYCLE_1)
	s_cmp_eq_u32 s2, 1
	s_cselect_b32 s2, -1, 0
	s_and_b32 s4, s2, exec_lo
	s_cselect_b32 s4, s11, s10
	s_cselect_b32 s5, s10, s11
	s_delay_alu instid0(SALU_CYCLE_1)
	s_cmp_gt_i32 s4, s5
	s_cbranch_scc1 .LBB1877_17
; %bb.2:
	v_cmp_lt_i64_e64 s4, s[16:17], 1
	s_delay_alu instid0(VALU_DEP_1)
	s_and_b32 vcc_lo, exec_lo, s4
	s_cbranch_vccnz .LBB1877_17
; %bb.3:
	s_clause 0x1
	s_load_b128 s[4:7], s[0:1], 0x48
	s_load_b64 s[0:1], s[0:1], 0x58
	s_mov_b32 s8, s15
	s_mov_b32 s9, 0
	v_bfe_u32 v6, v0, 10, 10
	v_and_b32_e32 v7, 0x3ff, v0
	s_lshl_b64 s[8:9], s[8:9], 3
	v_mov_b32_e32 v3, 0
	s_add_u32 s14, s20, s8
	v_add_nc_u32_e32 v4, s10, v6
	s_addc_u32 s15, s21, s9
	s_add_u32 s10, s26, s8
	v_dual_mov_b32 v5, v3 :: v_dual_add_nc_u32 v2, s11, v7
	s_addc_u32 s11, s27, s9
	v_ashrrev_i32_e32 v12, 31, v4
	v_mad_u64_u32 v[0:1], null, s28, v4, 0
	s_delay_alu instid0(VALU_DEP_3)
	v_max_i32_e32 v14, v2, v4
	s_mov_b32 s12, s3
	s_waitcnt lgkmcnt(0)
	s_add_u32 s8, s4, s8
	s_addc_u32 s9, s5, s9
	s_load_b64 s[4:5], s[14:15], 0x0
	s_load_b64 s[14:15], s[8:9], 0x0
	;; [unrolled: 1-line block ×3, first 2 shown]
	v_mul_lo_u32 v18, v12, s6
	v_mul_lo_u32 v19, v4, s7
	v_mad_u64_u32 v[12:13], null, v4, s6, 0
	v_cmp_gt_i32_e32 vcc_lo, s3, v14
	s_lshl_b64 s[0:1], s[0:1], 3
	v_mad_u64_u32 v[14:15], null, s29, v4, v[1:2]
	v_cndmask_b32_e64 v16, v2, v4, s2
	v_cndmask_b32_e64 v17, v4, v2, s2
	v_add3_u32 v13, v13, v19, v18
	v_lshlrev_b32_e32 v21, 3, v6
	v_lshlrev_b32_e32 v22, 3, v7
	v_mad_u64_u32 v[18:19], null, s28, v2, 0
	s_delay_alu instid0(VALU_DEP_4)
	v_lshlrev_b64 v[12:13], 3, v[12:13]
	v_cmp_le_i32_e64 s2, v17, v16
	v_mov_b32_e32 v1, v14
	s_waitcnt lgkmcnt(0)
	s_add_u32 s6, s14, s0
	s_addc_u32 s7, s15, s1
	s_ashr_i32 s13, s3, 31
	v_mad_u64_u32 v[16:17], null, s22, v4, 0
	v_cmp_gt_i64_e64 s0, s[12:13], v[2:3]
	v_ashrrev_i32_e32 v3, 31, v2
	v_cmp_gt_i64_e64 s1, s[12:13], v[4:5]
	v_or_b32_e32 v9, 0x2000, v21
	s_lshl_b64 s[10:11], s[24:25], 3
	s_delay_alu instid0(VALU_DEP_3) | instskip(SKIP_1) | instid1(VALU_DEP_1)
	v_lshlrev_b64 v[14:15], 3, v[2:3]
	v_add_co_u32 v3, s3, s6, v12
	v_add_co_ci_u32_e64 v5, s3, s7, v13, s3
	v_lshlrev_b64 v[12:13], 3, v[0:1]
	s_delay_alu instid0(VALU_DEP_3) | instskip(SKIP_3) | instid1(VALU_DEP_4)
	v_add_co_u32 v0, s3, v3, v14
	v_mov_b32_e32 v3, v17
	s_lshl_b64 s[6:7], s[30:31], 3
	v_add_co_ci_u32_e64 v1, s3, v5, v15, s3
	v_add_co_u32 v5, s3, v12, s6
	s_delay_alu instid0(VALU_DEP_1) | instskip(SKIP_1) | instid1(VALU_DEP_3)
	v_add_co_ci_u32_e64 v14, s3, s7, v13, s3
	v_mad_u64_u32 v[12:13], null, s23, v4, v[3:4]
	v_add_co_u32 v5, s3, v5, v22
	v_mad_u64_u32 v[3:4], null, s22, v2, 0
	s_delay_alu instid0(VALU_DEP_4) | instskip(NEXT) | instid1(VALU_DEP_4)
	v_add_co_ci_u32_e64 v13, s3, 0, v14, s3
	v_mov_b32_e32 v17, v12
	s_delay_alu instid0(VALU_DEP_4) | instskip(SKIP_1) | instid1(VALU_DEP_4)
	v_add_co_u32 v12, s3, s8, v5
	v_mov_b32_e32 v5, v19
	v_add_co_ci_u32_e64 v13, s3, s9, v13, s3
	s_delay_alu instid0(VALU_DEP_4) | instskip(NEXT) | instid1(VALU_DEP_3)
	v_lshlrev_b64 v[14:15], 3, v[16:17]
	v_mad_u64_u32 v[16:17], null, s23, v2, v[4:5]
	v_mad_u64_u32 v[19:20], null, s29, v2, v[5:6]
	s_delay_alu instid0(VALU_DEP_3) | instskip(NEXT) | instid1(VALU_DEP_1)
	v_add_co_u32 v2, s3, v14, s10
	v_add_co_ci_u32_e64 v5, s3, s11, v15, s3
	s_delay_alu instid0(VALU_DEP_4) | instskip(NEXT) | instid1(VALU_DEP_3)
	v_mov_b32_e32 v4, v16
	v_add_co_u32 v14, s3, v2, v22
	v_add_nc_u32_e32 v22, 0x1800, v9
	s_delay_alu instid0(VALU_DEP_4) | instskip(NEXT) | instid1(VALU_DEP_4)
	v_add_co_ci_u32_e64 v5, s3, 0, v5, s3
	v_lshlrev_b64 v[2:3], 3, v[3:4]
	s_delay_alu instid0(VALU_DEP_4) | instskip(NEXT) | instid1(VALU_DEP_1)
	v_add_co_u32 v14, s3, s4, v14
	v_add_co_ci_u32_e64 v15, s3, s5, v5, s3
	v_lshlrev_b64 v[4:5], 3, v[18:19]
	s_delay_alu instid0(VALU_DEP_4) | instskip(NEXT) | instid1(VALU_DEP_1)
	v_add_co_u32 v2, s3, v2, s10
	v_add_co_ci_u32_e64 v3, s3, s11, v3, s3
	v_lshlrev_b32_e32 v8, 8, v7
	s_delay_alu instid0(VALU_DEP_4) | instskip(NEXT) | instid1(VALU_DEP_1)
	v_add_co_u32 v4, s3, v4, s6
	v_add_co_ci_u32_e64 v5, s3, s7, v5, s3
	v_add_co_u32 v2, s3, v2, v21
	s_delay_alu instid0(VALU_DEP_1) | instskip(NEXT) | instid1(VALU_DEP_4)
	v_add_co_ci_u32_e64 v3, s3, 0, v3, s3
	v_add_co_u32 v4, s3, v4, v21
	s_delay_alu instid0(VALU_DEP_1) | instskip(NEXT) | instid1(VALU_DEP_4)
	;; [unrolled: 3-line block ×3, first 2 shown]
	v_add_co_ci_u32_e64 v17, s3, s5, v3, s3
	v_add_co_u32 v18, s3, s8, v4
	v_add_nc_u32_e32 v10, v8, v21
	v_add_nc_u32_e32 v11, v9, v8
	v_add_co_ci_u32_e64 v19, s3, s9, v5, s3
	v_add_nc_u32_e32 v20, 0x800, v9
	v_add_nc_u32_e32 v21, 0x1000, v9
	s_and_b32 s6, s2, vcc_lo
	s_mov_b64 s[2:3], 0
	s_mov_b64 s[4:5], 0
	s_branch .LBB1877_5
.LBB1877_4:                             ;   in Loop: Header=BB1877_5 Depth=1
	s_or_b32 exec_lo, exec_lo, s7
	s_add_u32 s4, s4, 32
	s_addc_u32 s5, s5, 0
	s_add_u32 s2, s2, 0x100
	v_cmp_lt_i64_e64 s7, s[4:5], s[16:17]
	s_addc_u32 s3, s3, 0
	s_waitcnt_vscnt null, 0x0
	s_barrier
	buffer_gl0_inv
	s_and_b32 vcc_lo, exec_lo, s7
	s_cbranch_vccz .LBB1877_17
.LBB1877_5:                             ; =>This Inner Loop Header: Depth=1
	v_add_co_u32 v4, s7, v6, s4
	s_delay_alu instid0(VALU_DEP_1) | instskip(SKIP_2) | instid1(VALU_DEP_3)
	v_add_co_ci_u32_e64 v5, null, 0, s5, s7
	v_mov_b32_e32 v2, 0
	v_mov_b32_e32 v3, 0
	v_cmp_gt_i64_e32 vcc_lo, s[16:17], v[4:5]
	s_delay_alu instid0(VALU_DEP_2) | instskip(SKIP_1) | instid1(SALU_CYCLE_1)
	v_dual_mov_b32 v5, v3 :: v_dual_mov_b32 v4, v2
	s_and_b32 s7, s0, vcc_lo
	s_and_saveexec_b32 s8, s7
	s_cbranch_execz .LBB1877_7
; %bb.6:                                ;   in Loop: Header=BB1877_5 Depth=1
	v_add_co_u32 v4, vcc_lo, v16, s2
	v_add_co_ci_u32_e32 v5, vcc_lo, s3, v17, vcc_lo
	global_load_b64 v[4:5], v[4:5], off
.LBB1877_7:                             ;   in Loop: Header=BB1877_5 Depth=1
	s_or_b32 exec_lo, exec_lo, s8
	v_add_co_u32 v23, s8, v7, s4
	s_delay_alu instid0(VALU_DEP_1) | instskip(SKIP_4) | instid1(SALU_CYCLE_1)
	v_add_co_ci_u32_e64 v24, null, 0, s5, s8
	s_waitcnt vmcnt(0)
	ds_store_b64 v10, v[4:5]
	v_cmp_gt_i64_e32 vcc_lo, s[16:17], v[23:24]
	s_and_b32 s8, s1, vcc_lo
	s_and_saveexec_b32 s9, s8
	s_cbranch_execz .LBB1877_9
; %bb.8:                                ;   in Loop: Header=BB1877_5 Depth=1
	v_add_co_u32 v2, vcc_lo, v12, s2
	v_add_co_ci_u32_e32 v3, vcc_lo, s3, v13, vcc_lo
	global_load_b64 v[2:3], v[2:3], off
.LBB1877_9:                             ;   in Loop: Header=BB1877_5 Depth=1
	s_or_b32 exec_lo, exec_lo, s9
	s_waitcnt vmcnt(0)
	ds_store_b64 v11, v[2:3]
	s_waitcnt lgkmcnt(0)
	s_barrier
	buffer_gl0_inv
	s_and_saveexec_b32 s9, s6
	s_cbranch_execz .LBB1877_11
; %bb.10:                               ;   in Loop: Header=BB1877_5 Depth=1
	ds_load_2addr_b64 v[2:5], v9 offset1:32
	ds_load_b128 v[23:26], v8
	ds_load_b128 v[27:30], v8 offset:16
	s_waitcnt lgkmcnt(1)
	v_fma_f64 v[2:3], v[23:24], v[2:3], 0
	s_delay_alu instid0(VALU_DEP_1) | instskip(SKIP_3) | instid1(VALU_DEP_1)
	v_fma_f64 v[23:24], v[25:26], v[4:5], v[2:3]
	ds_load_2addr_b64 v[2:5], v9 offset0:64 offset1:96
	s_waitcnt lgkmcnt(0)
	v_fma_f64 v[2:3], v[27:28], v[2:3], v[23:24]
	v_fma_f64 v[31:32], v[29:30], v[4:5], v[2:3]
	ds_load_2addr_b64 v[2:5], v9 offset0:128 offset1:160
	ds_load_b128 v[23:26], v8 offset:32
	ds_load_b128 v[27:30], v8 offset:48
	s_waitcnt lgkmcnt(1)
	v_fma_f64 v[2:3], v[23:24], v[2:3], v[31:32]
	s_delay_alu instid0(VALU_DEP_1) | instskip(SKIP_3) | instid1(VALU_DEP_1)
	v_fma_f64 v[23:24], v[25:26], v[4:5], v[2:3]
	ds_load_2addr_b64 v[2:5], v9 offset0:192 offset1:224
	s_waitcnt lgkmcnt(0)
	v_fma_f64 v[2:3], v[27:28], v[2:3], v[23:24]
	v_fma_f64 v[31:32], v[29:30], v[4:5], v[2:3]
	ds_load_2addr_b64 v[2:5], v20 offset1:32
	ds_load_b128 v[23:26], v8 offset:64
	ds_load_b128 v[27:30], v8 offset:80
	s_waitcnt lgkmcnt(1)
	v_fma_f64 v[2:3], v[23:24], v[2:3], v[31:32]
	s_delay_alu instid0(VALU_DEP_1) | instskip(SKIP_3) | instid1(VALU_DEP_1)
	v_fma_f64 v[23:24], v[25:26], v[4:5], v[2:3]
	ds_load_2addr_b64 v[2:5], v20 offset0:64 offset1:96
	s_waitcnt lgkmcnt(0)
	v_fma_f64 v[2:3], v[27:28], v[2:3], v[23:24]
	v_fma_f64 v[31:32], v[29:30], v[4:5], v[2:3]
	ds_load_2addr_b64 v[2:5], v20 offset0:128 offset1:160
	ds_load_b128 v[23:26], v8 offset:96
	ds_load_b128 v[27:30], v8 offset:112
	s_waitcnt lgkmcnt(1)
	v_fma_f64 v[2:3], v[23:24], v[2:3], v[31:32]
	s_delay_alu instid0(VALU_DEP_1) | instskip(SKIP_3) | instid1(VALU_DEP_1)
	v_fma_f64 v[23:24], v[25:26], v[4:5], v[2:3]
	ds_load_2addr_b64 v[2:5], v20 offset0:192 offset1:224
	s_waitcnt lgkmcnt(0)
	v_fma_f64 v[2:3], v[27:28], v[2:3], v[23:24]
	v_fma_f64 v[31:32], v[29:30], v[4:5], v[2:3]
	ds_load_2addr_b64 v[2:5], v21 offset1:32
	ds_load_b128 v[23:26], v8 offset:128
	;; [unrolled: 22-line block ×3, first 2 shown]
	global_load_b64 v[33:34], v[0:1], off
	ds_load_b128 v[27:30], v8 offset:208
	s_waitcnt lgkmcnt(1)
	v_fma_f64 v[2:3], v[23:24], v[2:3], v[31:32]
	s_delay_alu instid0(VALU_DEP_1) | instskip(SKIP_3) | instid1(VALU_DEP_1)
	v_fma_f64 v[23:24], v[25:26], v[4:5], v[2:3]
	ds_load_2addr_b64 v[2:5], v22 offset0:64 offset1:96
	s_waitcnt lgkmcnt(0)
	v_fma_f64 v[2:3], v[27:28], v[2:3], v[23:24]
	v_fma_f64 v[31:32], v[29:30], v[4:5], v[2:3]
	ds_load_2addr_b64 v[2:5], v22 offset0:128 offset1:160
	ds_load_b128 v[23:26], v8 offset:224
	ds_load_b128 v[27:30], v8 offset:240
	s_waitcnt lgkmcnt(1)
	v_fma_f64 v[2:3], v[23:24], v[2:3], v[31:32]
	s_delay_alu instid0(VALU_DEP_1) | instskip(SKIP_3) | instid1(VALU_DEP_1)
	v_fma_f64 v[23:24], v[25:26], v[4:5], v[2:3]
	ds_load_2addr_b64 v[2:5], v22 offset0:192 offset1:224
	s_waitcnt lgkmcnt(0)
	v_fma_f64 v[2:3], v[27:28], v[2:3], v[23:24]
	v_fma_f64 v[2:3], v[29:30], v[4:5], v[2:3]
	s_waitcnt vmcnt(0)
	s_delay_alu instid0(VALU_DEP_1)
	v_fma_f64 v[2:3], v[2:3], s[18:19], v[33:34]
	global_store_b64 v[0:1], v[2:3], off
.LBB1877_11:                            ;   in Loop: Header=BB1877_5 Depth=1
	s_or_b32 exec_lo, exec_lo, s9
	v_mov_b32_e32 v2, 0
	v_mov_b32_e32 v3, 0
	s_waitcnt_vscnt null, 0x0
	s_barrier
	buffer_gl0_inv
	v_dual_mov_b32 v5, v3 :: v_dual_mov_b32 v4, v2
	s_and_saveexec_b32 s9, s7
	s_cbranch_execz .LBB1877_13
; %bb.12:                               ;   in Loop: Header=BB1877_5 Depth=1
	v_add_co_u32 v4, vcc_lo, v18, s2
	v_add_co_ci_u32_e32 v5, vcc_lo, s3, v19, vcc_lo
	global_load_b64 v[4:5], v[4:5], off
.LBB1877_13:                            ;   in Loop: Header=BB1877_5 Depth=1
	s_or_b32 exec_lo, exec_lo, s9
	s_waitcnt vmcnt(0)
	ds_store_b64 v10, v[4:5]
	s_and_saveexec_b32 s7, s8
	s_cbranch_execz .LBB1877_15
; %bb.14:                               ;   in Loop: Header=BB1877_5 Depth=1
	v_add_co_u32 v2, vcc_lo, v14, s2
	v_add_co_ci_u32_e32 v3, vcc_lo, s3, v15, vcc_lo
	global_load_b64 v[2:3], v[2:3], off
.LBB1877_15:                            ;   in Loop: Header=BB1877_5 Depth=1
	s_or_b32 exec_lo, exec_lo, s7
	s_waitcnt vmcnt(0)
	ds_store_b64 v11, v[2:3]
	s_waitcnt lgkmcnt(0)
	s_barrier
	buffer_gl0_inv
	s_and_saveexec_b32 s7, s6
	s_cbranch_execz .LBB1877_4
; %bb.16:                               ;   in Loop: Header=BB1877_5 Depth=1
	ds_load_2addr_b64 v[2:5], v9 offset1:32
	ds_load_b128 v[23:26], v8
	ds_load_b128 v[27:30], v8 offset:16
	s_waitcnt lgkmcnt(1)
	v_fma_f64 v[2:3], v[23:24], v[2:3], 0
	s_delay_alu instid0(VALU_DEP_1) | instskip(SKIP_3) | instid1(VALU_DEP_1)
	v_fma_f64 v[23:24], v[25:26], v[4:5], v[2:3]
	ds_load_2addr_b64 v[2:5], v9 offset0:64 offset1:96
	s_waitcnt lgkmcnt(0)
	v_fma_f64 v[2:3], v[27:28], v[2:3], v[23:24]
	v_fma_f64 v[31:32], v[29:30], v[4:5], v[2:3]
	ds_load_2addr_b64 v[2:5], v9 offset0:128 offset1:160
	ds_load_b128 v[23:26], v8 offset:32
	ds_load_b128 v[27:30], v8 offset:48
	s_waitcnt lgkmcnt(1)
	v_fma_f64 v[2:3], v[23:24], v[2:3], v[31:32]
	s_delay_alu instid0(VALU_DEP_1) | instskip(SKIP_3) | instid1(VALU_DEP_1)
	v_fma_f64 v[23:24], v[25:26], v[4:5], v[2:3]
	ds_load_2addr_b64 v[2:5], v9 offset0:192 offset1:224
	s_waitcnt lgkmcnt(0)
	v_fma_f64 v[2:3], v[27:28], v[2:3], v[23:24]
	v_fma_f64 v[31:32], v[29:30], v[4:5], v[2:3]
	ds_load_2addr_b64 v[2:5], v20 offset1:32
	ds_load_b128 v[23:26], v8 offset:64
	ds_load_b128 v[27:30], v8 offset:80
	s_waitcnt lgkmcnt(1)
	v_fma_f64 v[2:3], v[23:24], v[2:3], v[31:32]
	s_delay_alu instid0(VALU_DEP_1) | instskip(SKIP_3) | instid1(VALU_DEP_1)
	v_fma_f64 v[23:24], v[25:26], v[4:5], v[2:3]
	ds_load_2addr_b64 v[2:5], v20 offset0:64 offset1:96
	s_waitcnt lgkmcnt(0)
	v_fma_f64 v[2:3], v[27:28], v[2:3], v[23:24]
	v_fma_f64 v[31:32], v[29:30], v[4:5], v[2:3]
	ds_load_2addr_b64 v[2:5], v20 offset0:128 offset1:160
	ds_load_b128 v[23:26], v8 offset:96
	ds_load_b128 v[27:30], v8 offset:112
	s_waitcnt lgkmcnt(1)
	v_fma_f64 v[2:3], v[23:24], v[2:3], v[31:32]
	s_delay_alu instid0(VALU_DEP_1) | instskip(SKIP_3) | instid1(VALU_DEP_1)
	v_fma_f64 v[23:24], v[25:26], v[4:5], v[2:3]
	ds_load_2addr_b64 v[2:5], v20 offset0:192 offset1:224
	s_waitcnt lgkmcnt(0)
	v_fma_f64 v[2:3], v[27:28], v[2:3], v[23:24]
	v_fma_f64 v[31:32], v[29:30], v[4:5], v[2:3]
	ds_load_2addr_b64 v[2:5], v21 offset1:32
	ds_load_b128 v[23:26], v8 offset:128
	;; [unrolled: 22-line block ×3, first 2 shown]
	global_load_b64 v[33:34], v[0:1], off
	ds_load_b128 v[27:30], v8 offset:208
	s_waitcnt lgkmcnt(1)
	v_fma_f64 v[2:3], v[23:24], v[2:3], v[31:32]
	s_delay_alu instid0(VALU_DEP_1) | instskip(SKIP_3) | instid1(VALU_DEP_1)
	v_fma_f64 v[23:24], v[25:26], v[4:5], v[2:3]
	ds_load_2addr_b64 v[2:5], v22 offset0:64 offset1:96
	s_waitcnt lgkmcnt(0)
	v_fma_f64 v[2:3], v[27:28], v[2:3], v[23:24]
	v_fma_f64 v[31:32], v[29:30], v[4:5], v[2:3]
	ds_load_2addr_b64 v[2:5], v22 offset0:128 offset1:160
	ds_load_b128 v[23:26], v8 offset:224
	ds_load_b128 v[27:30], v8 offset:240
	s_waitcnt lgkmcnt(1)
	v_fma_f64 v[2:3], v[23:24], v[2:3], v[31:32]
	s_delay_alu instid0(VALU_DEP_1) | instskip(SKIP_3) | instid1(VALU_DEP_1)
	v_fma_f64 v[23:24], v[25:26], v[4:5], v[2:3]
	ds_load_2addr_b64 v[2:5], v22 offset0:192 offset1:224
	s_waitcnt lgkmcnt(0)
	v_fma_f64 v[2:3], v[27:28], v[2:3], v[23:24]
	v_fma_f64 v[2:3], v[29:30], v[4:5], v[2:3]
	s_waitcnt vmcnt(0)
	s_delay_alu instid0(VALU_DEP_1)
	v_fma_f64 v[2:3], v[2:3], s[18:19], v[33:34]
	global_store_b64 v[0:1], v[2:3], off
	s_branch .LBB1877_4
.LBB1877_17:
	s_endpgm
	.section	.rodata,"a",@progbits
	.p2align	6, 0x0
	.amdhsa_kernel _ZL26rocblas_syr2k_her2k_kernelIlLb1ELb0ELb1ELi32EdPKPKdPKPdEvbiT_T4_T5_S7_lS9_S7_lT6_S7_li
		.amdhsa_group_segment_fixed_size 16384
		.amdhsa_private_segment_fixed_size 0
		.amdhsa_kernarg_size 100
		.amdhsa_user_sgpr_count 13
		.amdhsa_user_sgpr_dispatch_ptr 0
		.amdhsa_user_sgpr_queue_ptr 0
		.amdhsa_user_sgpr_kernarg_segment_ptr 1
		.amdhsa_user_sgpr_dispatch_id 0
		.amdhsa_user_sgpr_private_segment_size 0
		.amdhsa_wavefront_size32 1
		.amdhsa_uses_dynamic_stack 0
		.amdhsa_enable_private_segment 0
		.amdhsa_system_sgpr_workgroup_id_x 1
		.amdhsa_system_sgpr_workgroup_id_y 1
		.amdhsa_system_sgpr_workgroup_id_z 1
		.amdhsa_system_sgpr_workgroup_info 0
		.amdhsa_system_vgpr_workitem_id 1
		.amdhsa_next_free_vgpr 35
		.amdhsa_next_free_sgpr 32
		.amdhsa_reserve_vcc 1
		.amdhsa_float_round_mode_32 0
		.amdhsa_float_round_mode_16_64 0
		.amdhsa_float_denorm_mode_32 3
		.amdhsa_float_denorm_mode_16_64 3
		.amdhsa_dx10_clamp 1
		.amdhsa_ieee_mode 1
		.amdhsa_fp16_overflow 0
		.amdhsa_workgroup_processor_mode 1
		.amdhsa_memory_ordered 1
		.amdhsa_forward_progress 0
		.amdhsa_shared_vgpr_count 0
		.amdhsa_exception_fp_ieee_invalid_op 0
		.amdhsa_exception_fp_denorm_src 0
		.amdhsa_exception_fp_ieee_div_zero 0
		.amdhsa_exception_fp_ieee_overflow 0
		.amdhsa_exception_fp_ieee_underflow 0
		.amdhsa_exception_fp_ieee_inexact 0
		.amdhsa_exception_int_div_zero 0
	.end_amdhsa_kernel
	.section	.text._ZL26rocblas_syr2k_her2k_kernelIlLb1ELb0ELb1ELi32EdPKPKdPKPdEvbiT_T4_T5_S7_lS9_S7_lT6_S7_li,"axG",@progbits,_ZL26rocblas_syr2k_her2k_kernelIlLb1ELb0ELb1ELi32EdPKPKdPKPdEvbiT_T4_T5_S7_lS9_S7_lT6_S7_li,comdat
.Lfunc_end1877:
	.size	_ZL26rocblas_syr2k_her2k_kernelIlLb1ELb0ELb1ELi32EdPKPKdPKPdEvbiT_T4_T5_S7_lS9_S7_lT6_S7_li, .Lfunc_end1877-_ZL26rocblas_syr2k_her2k_kernelIlLb1ELb0ELb1ELi32EdPKPKdPKPdEvbiT_T4_T5_S7_lS9_S7_lT6_S7_li
                                        ; -- End function
	.section	.AMDGPU.csdata,"",@progbits
; Kernel info:
; codeLenInByte = 2520
; NumSgprs: 34
; NumVgprs: 35
; ScratchSize: 0
; MemoryBound: 0
; FloatMode: 240
; IeeeMode: 1
; LDSByteSize: 16384 bytes/workgroup (compile time only)
; SGPRBlocks: 4
; VGPRBlocks: 4
; NumSGPRsForWavesPerEU: 34
; NumVGPRsForWavesPerEU: 35
; Occupancy: 16
; WaveLimiterHint : 1
; COMPUTE_PGM_RSRC2:SCRATCH_EN: 0
; COMPUTE_PGM_RSRC2:USER_SGPR: 13
; COMPUTE_PGM_RSRC2:TRAP_HANDLER: 0
; COMPUTE_PGM_RSRC2:TGID_X_EN: 1
; COMPUTE_PGM_RSRC2:TGID_Y_EN: 1
; COMPUTE_PGM_RSRC2:TGID_Z_EN: 1
; COMPUTE_PGM_RSRC2:TIDIG_COMP_CNT: 1
	.section	.text._ZL26rocblas_syr2k_her2k_kernelIlLb1ELb0ELb0ELi32EPKdPKS1_PKPdEvbiT_T4_T5_S7_lS9_S7_lT6_S7_li,"axG",@progbits,_ZL26rocblas_syr2k_her2k_kernelIlLb1ELb0ELb0ELi32EPKdPKS1_PKPdEvbiT_T4_T5_S7_lS9_S7_lT6_S7_li,comdat
	.globl	_ZL26rocblas_syr2k_her2k_kernelIlLb1ELb0ELb0ELi32EPKdPKS1_PKPdEvbiT_T4_T5_S7_lS9_S7_lT6_S7_li ; -- Begin function _ZL26rocblas_syr2k_her2k_kernelIlLb1ELb0ELb0ELi32EPKdPKS1_PKPdEvbiT_T4_T5_S7_lS9_S7_lT6_S7_li
	.p2align	8
	.type	_ZL26rocblas_syr2k_her2k_kernelIlLb1ELb0ELb0ELi32EPKdPKS1_PKPdEvbiT_T4_T5_S7_lS9_S7_lT6_S7_li,@function
_ZL26rocblas_syr2k_her2k_kernelIlLb1ELb0ELb0ELi32EPKdPKS1_PKPdEvbiT_T4_T5_S7_lS9_S7_lT6_S7_li: ; @_ZL26rocblas_syr2k_her2k_kernelIlLb1ELb0ELb0ELi32EPKdPKS1_PKPdEvbiT_T4_T5_S7_lS9_S7_lT6_S7_li
; %bb.0:
	s_load_b512 s[16:31], s[0:1], 0x8
	s_waitcnt lgkmcnt(0)
	s_load_b64 s[8:9], s[18:19], 0x0
	s_waitcnt lgkmcnt(0)
	v_cmp_eq_f64_e64 s2, s[8:9], 0
	s_delay_alu instid0(VALU_DEP_1)
	s_and_b32 vcc_lo, exec_lo, s2
	s_cbranch_vccnz .LBB1878_17
; %bb.1:
	s_load_b64 s[2:3], s[0:1], 0x0
	s_lshl_b32 s12, s14, 5
	s_lshl_b32 s13, s13, 5
	s_waitcnt lgkmcnt(0)
	s_and_b32 s2, 1, s2
	s_delay_alu instid0(SALU_CYCLE_1) | instskip(SKIP_1) | instid1(SALU_CYCLE_1)
	s_cmp_eq_u32 s2, 1
	s_cselect_b32 s2, -1, 0
	s_and_b32 s4, s2, exec_lo
	s_cselect_b32 s4, s13, s12
	s_cselect_b32 s5, s12, s13
	s_delay_alu instid0(SALU_CYCLE_1)
	s_cmp_gt_i32 s4, s5
	s_cbranch_scc1 .LBB1878_17
; %bb.2:
	v_cmp_lt_i64_e64 s4, s[16:17], 1
	s_delay_alu instid0(VALU_DEP_1)
	s_and_b32 vcc_lo, exec_lo, s4
	s_cbranch_vccnz .LBB1878_17
; %bb.3:
	s_clause 0x1
	s_load_b128 s[4:7], s[0:1], 0x48
	s_load_b64 s[0:1], s[0:1], 0x58
	v_bfe_u32 v6, v0, 10, 10
	s_mov_b32 s10, s15
	s_mov_b32 s11, 0
	v_and_b32_e32 v7, 0x3ff, v0
	s_lshl_b64 s[10:11], s[10:11], 3
	v_dual_mov_b32 v3, 0 :: v_dual_add_nc_u32 v4, s12, v6
	s_add_u32 s18, s20, s10
	s_addc_u32 s19, s21, s11
	s_delay_alu instid0(VALU_DEP_1)
	v_dual_mov_b32 v5, v3 :: v_dual_add_nc_u32 v2, s13, v7
	s_load_b64 s[12:13], s[18:19], 0x0
	s_add_u32 s18, s26, s10
	s_addc_u32 s19, s27, s11
	v_lshlrev_b32_e32 v0, 3, v6
	v_lshlrev_b32_e32 v8, 8, v7
	v_ashrrev_i32_e32 v1, 31, v4
	s_load_b64 s[18:19], s[18:19], 0x0
	s_waitcnt lgkmcnt(0)
	s_add_u32 s4, s4, s10
	s_addc_u32 s5, s5, s11
	v_add_nc_u32_e32 v9, v8, v0
	s_load_b64 s[4:5], s[4:5], 0x0
	v_or_b32_e32 v10, 0x2000, v0
	v_mul_lo_u32 v16, v1, s6
	v_mul_lo_u32 v17, v4, s7
	v_mad_u64_u32 v[0:1], null, v4, s6, 0
	v_cndmask_b32_e64 v11, v2, v4, s2
	v_cndmask_b32_e64 v14, v4, v2, s2
	v_max_i32_e32 v15, v2, v4
	s_lshl_b64 s[10:11], s[24:25], 3
	s_mov_b32 s14, s3
	s_add_u32 s10, s12, s10
	v_cmp_le_i32_e64 s2, v14, v11
	v_cmp_gt_i32_e32 vcc_lo, s3, v15
	v_add3_u32 v1, v1, v17, v16
	v_mov_b32_e32 v16, v2
	v_mad_u64_u32 v[12:13], null, s28, v7, 0
	v_mad_u64_u32 v[14:15], null, s22, v7, 0
	s_addc_u32 s11, s13, s11
	s_lshl_b64 s[12:13], s[30:31], 3
	v_lshlrev_b64 v[0:1], 3, v[0:1]
	s_add_u32 s12, s18, s12
	s_addc_u32 s13, s19, s13
	s_lshl_b64 s[0:1], s[0:1], 3
	s_delay_alu instid0(VALU_DEP_2)
	v_mad_u64_u32 v[18:19], null, s29, v7, v[13:14]
	s_waitcnt lgkmcnt(0)
	s_add_u32 s4, s4, s0
	v_ashrrev_i32_e32 v17, 31, v2
	v_mad_u64_u32 v[19:20], null, s22, v6, 0
	v_mad_u64_u32 v[21:22], null, s23, v7, v[15:16]
	s_addc_u32 s5, s5, s1
	s_ashr_i32 s15, s3, 31
	v_mov_b32_e32 v13, v18
	v_cmp_gt_i64_e64 s0, s[14:15], v[2:3]
	v_cmp_gt_i64_e64 s1, s[14:15], v[4:5]
	s_and_b32 s14, s2, vcc_lo
	v_add_co_u32 v22, vcc_lo, s4, v0
	v_add_co_ci_u32_e32 v23, vcc_lo, s5, v1, vcc_lo
	v_lshlrev_b64 v[0:1], 3, v[16:17]
	v_mad_u64_u32 v[17:18], null, s28, v6, 0
	v_dual_mov_b32 v16, v20 :: v_dual_mov_b32 v15, v21
	v_add_nc_u32_e32 v11, v10, v8
	s_delay_alu instid0(VALU_DEP_4) | instskip(SKIP_1) | instid1(VALU_DEP_4)
	v_add_co_u32 v0, vcc_lo, v22, v0
	v_lshlrev_b64 v[12:13], 3, v[12:13]
	v_mad_u64_u32 v[20:21], null, s23, v6, v[16:17]
	v_mov_b32_e32 v16, v18
	v_lshlrev_b64 v[4:5], 3, v[4:5]
	v_lshlrev_b64 v[14:15], 3, v[14:15]
	v_add_co_ci_u32_e32 v1, vcc_lo, v23, v1, vcc_lo
	s_delay_alu instid0(VALU_DEP_4) | instskip(NEXT) | instid1(VALU_DEP_4)
	v_mad_u64_u32 v[21:22], null, s29, v6, v[16:17]
	v_add_co_u32 v12, vcc_lo, v12, v4
	v_add_co_ci_u32_e32 v13, vcc_lo, v13, v5, vcc_lo
	v_lshlrev_b64 v[19:20], 3, v[19:20]
	v_lshlrev_b64 v[2:3], 3, v[2:3]
	v_dual_mov_b32 v18, v21 :: v_dual_add_nc_u32 v21, 0x1000, v10
	v_add_co_u32 v14, vcc_lo, v14, v4
	v_add_co_ci_u32_e32 v15, vcc_lo, v15, v5, vcc_lo
	s_delay_alu instid0(VALU_DEP_3) | instskip(SKIP_3) | instid1(VALU_DEP_4)
	v_lshlrev_b64 v[4:5], 3, v[17:18]
	v_add_co_u32 v16, vcc_lo, v19, v2
	v_add_co_ci_u32_e32 v17, vcc_lo, v20, v3, vcc_lo
	v_add_nc_u32_e32 v20, 0x800, v10
	v_add_co_u32 v18, vcc_lo, v4, v2
	v_add_co_ci_u32_e32 v19, vcc_lo, v5, v3, vcc_lo
	v_add_nc_u32_e32 v22, 0x1800, v10
	s_lshl_b64 s[2:3], s[28:29], 8
	s_lshl_b64 s[4:5], s[22:23], 8
	s_mov_b64 s[6:7], 0
	s_branch .LBB1878_5
.LBB1878_4:                             ;   in Loop: Header=BB1878_5 Depth=1
	s_or_b32 exec_lo, exec_lo, s15
	s_add_u32 s6, s6, 32
	s_addc_u32 s7, s7, 0
	s_add_u32 s12, s12, s2
	v_cmp_lt_i64_e64 s15, s[6:7], s[16:17]
	s_addc_u32 s13, s13, s3
	s_add_u32 s10, s10, s4
	s_addc_u32 s11, s11, s5
	s_waitcnt_vscnt null, 0x0
	s_barrier
	s_and_b32 vcc_lo, exec_lo, s15
	buffer_gl0_inv
	s_cbranch_vccz .LBB1878_17
.LBB1878_5:                             ; =>This Inner Loop Header: Depth=1
	v_add_co_u32 v4, s15, v6, s6
	s_delay_alu instid0(VALU_DEP_1) | instskip(SKIP_2) | instid1(VALU_DEP_3)
	v_add_co_ci_u32_e64 v5, null, 0, s7, s15
	v_mov_b32_e32 v2, 0
	v_mov_b32_e32 v3, 0
	v_cmp_gt_i64_e32 vcc_lo, s[16:17], v[4:5]
	s_delay_alu instid0(VALU_DEP_2) | instskip(SKIP_1) | instid1(SALU_CYCLE_1)
	v_dual_mov_b32 v5, v3 :: v_dual_mov_b32 v4, v2
	s_and_b32 s15, s0, vcc_lo
	s_and_saveexec_b32 s18, s15
	s_cbranch_execz .LBB1878_7
; %bb.6:                                ;   in Loop: Header=BB1878_5 Depth=1
	v_add_co_u32 v4, vcc_lo, s10, v16
	v_add_co_ci_u32_e32 v5, vcc_lo, s11, v17, vcc_lo
	global_load_b64 v[4:5], v[4:5], off
.LBB1878_7:                             ;   in Loop: Header=BB1878_5 Depth=1
	s_or_b32 exec_lo, exec_lo, s18
	v_add_co_u32 v23, s18, v7, s6
	s_delay_alu instid0(VALU_DEP_1) | instskip(SKIP_4) | instid1(SALU_CYCLE_1)
	v_add_co_ci_u32_e64 v24, null, 0, s7, s18
	s_waitcnt vmcnt(0)
	ds_store_b64 v9, v[4:5]
	v_cmp_gt_i64_e32 vcc_lo, s[16:17], v[23:24]
	s_and_b32 s18, s1, vcc_lo
	s_and_saveexec_b32 s19, s18
	s_cbranch_execz .LBB1878_9
; %bb.8:                                ;   in Loop: Header=BB1878_5 Depth=1
	v_add_co_u32 v2, vcc_lo, s12, v12
	v_add_co_ci_u32_e32 v3, vcc_lo, s13, v13, vcc_lo
	global_load_b64 v[2:3], v[2:3], off
.LBB1878_9:                             ;   in Loop: Header=BB1878_5 Depth=1
	s_or_b32 exec_lo, exec_lo, s19
	s_waitcnt vmcnt(0)
	ds_store_b64 v11, v[2:3]
	s_waitcnt lgkmcnt(0)
	s_barrier
	buffer_gl0_inv
	s_and_saveexec_b32 s19, s14
	s_cbranch_execz .LBB1878_11
; %bb.10:                               ;   in Loop: Header=BB1878_5 Depth=1
	ds_load_2addr_b64 v[2:5], v10 offset1:32
	ds_load_b128 v[23:26], v8
	ds_load_b128 v[27:30], v8 offset:16
	s_waitcnt lgkmcnt(1)
	v_fma_f64 v[2:3], v[23:24], v[2:3], 0
	s_delay_alu instid0(VALU_DEP_1) | instskip(SKIP_3) | instid1(VALU_DEP_1)
	v_fma_f64 v[23:24], v[25:26], v[4:5], v[2:3]
	ds_load_2addr_b64 v[2:5], v10 offset0:64 offset1:96
	s_waitcnt lgkmcnt(0)
	v_fma_f64 v[2:3], v[27:28], v[2:3], v[23:24]
	v_fma_f64 v[31:32], v[29:30], v[4:5], v[2:3]
	ds_load_2addr_b64 v[2:5], v10 offset0:128 offset1:160
	ds_load_b128 v[23:26], v8 offset:32
	ds_load_b128 v[27:30], v8 offset:48
	s_waitcnt lgkmcnt(1)
	v_fma_f64 v[2:3], v[23:24], v[2:3], v[31:32]
	s_delay_alu instid0(VALU_DEP_1) | instskip(SKIP_3) | instid1(VALU_DEP_1)
	v_fma_f64 v[23:24], v[25:26], v[4:5], v[2:3]
	ds_load_2addr_b64 v[2:5], v10 offset0:192 offset1:224
	s_waitcnt lgkmcnt(0)
	v_fma_f64 v[2:3], v[27:28], v[2:3], v[23:24]
	v_fma_f64 v[31:32], v[29:30], v[4:5], v[2:3]
	ds_load_2addr_b64 v[2:5], v20 offset1:32
	ds_load_b128 v[23:26], v8 offset:64
	ds_load_b128 v[27:30], v8 offset:80
	s_waitcnt lgkmcnt(1)
	v_fma_f64 v[2:3], v[23:24], v[2:3], v[31:32]
	s_delay_alu instid0(VALU_DEP_1) | instskip(SKIP_3) | instid1(VALU_DEP_1)
	v_fma_f64 v[23:24], v[25:26], v[4:5], v[2:3]
	ds_load_2addr_b64 v[2:5], v20 offset0:64 offset1:96
	s_waitcnt lgkmcnt(0)
	v_fma_f64 v[2:3], v[27:28], v[2:3], v[23:24]
	v_fma_f64 v[31:32], v[29:30], v[4:5], v[2:3]
	ds_load_2addr_b64 v[2:5], v20 offset0:128 offset1:160
	ds_load_b128 v[23:26], v8 offset:96
	ds_load_b128 v[27:30], v8 offset:112
	s_waitcnt lgkmcnt(1)
	v_fma_f64 v[2:3], v[23:24], v[2:3], v[31:32]
	s_delay_alu instid0(VALU_DEP_1) | instskip(SKIP_3) | instid1(VALU_DEP_1)
	v_fma_f64 v[23:24], v[25:26], v[4:5], v[2:3]
	ds_load_2addr_b64 v[2:5], v20 offset0:192 offset1:224
	s_waitcnt lgkmcnt(0)
	v_fma_f64 v[2:3], v[27:28], v[2:3], v[23:24]
	v_fma_f64 v[31:32], v[29:30], v[4:5], v[2:3]
	ds_load_2addr_b64 v[2:5], v21 offset1:32
	ds_load_b128 v[23:26], v8 offset:128
	;; [unrolled: 22-line block ×3, first 2 shown]
	global_load_b64 v[33:34], v[0:1], off
	ds_load_b128 v[27:30], v8 offset:208
	s_waitcnt lgkmcnt(1)
	v_fma_f64 v[2:3], v[23:24], v[2:3], v[31:32]
	s_delay_alu instid0(VALU_DEP_1) | instskip(SKIP_3) | instid1(VALU_DEP_1)
	v_fma_f64 v[23:24], v[25:26], v[4:5], v[2:3]
	ds_load_2addr_b64 v[2:5], v22 offset0:64 offset1:96
	s_waitcnt lgkmcnt(0)
	v_fma_f64 v[2:3], v[27:28], v[2:3], v[23:24]
	v_fma_f64 v[31:32], v[29:30], v[4:5], v[2:3]
	ds_load_2addr_b64 v[2:5], v22 offset0:128 offset1:160
	ds_load_b128 v[23:26], v8 offset:224
	ds_load_b128 v[27:30], v8 offset:240
	s_waitcnt lgkmcnt(1)
	v_fma_f64 v[2:3], v[23:24], v[2:3], v[31:32]
	s_delay_alu instid0(VALU_DEP_1) | instskip(SKIP_3) | instid1(VALU_DEP_1)
	v_fma_f64 v[23:24], v[25:26], v[4:5], v[2:3]
	ds_load_2addr_b64 v[2:5], v22 offset0:192 offset1:224
	s_waitcnt lgkmcnt(0)
	v_fma_f64 v[2:3], v[27:28], v[2:3], v[23:24]
	v_fma_f64 v[2:3], v[29:30], v[4:5], v[2:3]
	s_waitcnt vmcnt(0)
	s_delay_alu instid0(VALU_DEP_1)
	v_fma_f64 v[2:3], s[8:9], v[2:3], v[33:34]
	global_store_b64 v[0:1], v[2:3], off
.LBB1878_11:                            ;   in Loop: Header=BB1878_5 Depth=1
	s_or_b32 exec_lo, exec_lo, s19
	v_mov_b32_e32 v2, 0
	v_mov_b32_e32 v3, 0
	s_waitcnt_vscnt null, 0x0
	s_barrier
	buffer_gl0_inv
	v_dual_mov_b32 v5, v3 :: v_dual_mov_b32 v4, v2
	s_and_saveexec_b32 s19, s15
	s_cbranch_execz .LBB1878_13
; %bb.12:                               ;   in Loop: Header=BB1878_5 Depth=1
	v_add_co_u32 v4, vcc_lo, s12, v18
	v_add_co_ci_u32_e32 v5, vcc_lo, s13, v19, vcc_lo
	global_load_b64 v[4:5], v[4:5], off
.LBB1878_13:                            ;   in Loop: Header=BB1878_5 Depth=1
	s_or_b32 exec_lo, exec_lo, s19
	s_waitcnt vmcnt(0)
	ds_store_b64 v9, v[4:5]
	s_and_saveexec_b32 s15, s18
	s_cbranch_execz .LBB1878_15
; %bb.14:                               ;   in Loop: Header=BB1878_5 Depth=1
	v_add_co_u32 v2, vcc_lo, s10, v14
	v_add_co_ci_u32_e32 v3, vcc_lo, s11, v15, vcc_lo
	global_load_b64 v[2:3], v[2:3], off
.LBB1878_15:                            ;   in Loop: Header=BB1878_5 Depth=1
	s_or_b32 exec_lo, exec_lo, s15
	s_waitcnt vmcnt(0)
	ds_store_b64 v11, v[2:3]
	s_waitcnt lgkmcnt(0)
	s_barrier
	buffer_gl0_inv
	s_and_saveexec_b32 s15, s14
	s_cbranch_execz .LBB1878_4
; %bb.16:                               ;   in Loop: Header=BB1878_5 Depth=1
	ds_load_2addr_b64 v[2:5], v10 offset1:32
	ds_load_b128 v[23:26], v8
	ds_load_b128 v[27:30], v8 offset:16
	s_waitcnt lgkmcnt(1)
	v_fma_f64 v[2:3], v[23:24], v[2:3], 0
	s_delay_alu instid0(VALU_DEP_1) | instskip(SKIP_3) | instid1(VALU_DEP_1)
	v_fma_f64 v[23:24], v[25:26], v[4:5], v[2:3]
	ds_load_2addr_b64 v[2:5], v10 offset0:64 offset1:96
	s_waitcnt lgkmcnt(0)
	v_fma_f64 v[2:3], v[27:28], v[2:3], v[23:24]
	v_fma_f64 v[31:32], v[29:30], v[4:5], v[2:3]
	ds_load_2addr_b64 v[2:5], v10 offset0:128 offset1:160
	ds_load_b128 v[23:26], v8 offset:32
	ds_load_b128 v[27:30], v8 offset:48
	s_waitcnt lgkmcnt(1)
	v_fma_f64 v[2:3], v[23:24], v[2:3], v[31:32]
	s_delay_alu instid0(VALU_DEP_1) | instskip(SKIP_3) | instid1(VALU_DEP_1)
	v_fma_f64 v[23:24], v[25:26], v[4:5], v[2:3]
	ds_load_2addr_b64 v[2:5], v10 offset0:192 offset1:224
	s_waitcnt lgkmcnt(0)
	v_fma_f64 v[2:3], v[27:28], v[2:3], v[23:24]
	v_fma_f64 v[31:32], v[29:30], v[4:5], v[2:3]
	ds_load_2addr_b64 v[2:5], v20 offset1:32
	ds_load_b128 v[23:26], v8 offset:64
	ds_load_b128 v[27:30], v8 offset:80
	s_waitcnt lgkmcnt(1)
	v_fma_f64 v[2:3], v[23:24], v[2:3], v[31:32]
	s_delay_alu instid0(VALU_DEP_1) | instskip(SKIP_3) | instid1(VALU_DEP_1)
	v_fma_f64 v[23:24], v[25:26], v[4:5], v[2:3]
	ds_load_2addr_b64 v[2:5], v20 offset0:64 offset1:96
	s_waitcnt lgkmcnt(0)
	v_fma_f64 v[2:3], v[27:28], v[2:3], v[23:24]
	v_fma_f64 v[31:32], v[29:30], v[4:5], v[2:3]
	ds_load_2addr_b64 v[2:5], v20 offset0:128 offset1:160
	ds_load_b128 v[23:26], v8 offset:96
	ds_load_b128 v[27:30], v8 offset:112
	s_waitcnt lgkmcnt(1)
	v_fma_f64 v[2:3], v[23:24], v[2:3], v[31:32]
	s_delay_alu instid0(VALU_DEP_1) | instskip(SKIP_3) | instid1(VALU_DEP_1)
	v_fma_f64 v[23:24], v[25:26], v[4:5], v[2:3]
	ds_load_2addr_b64 v[2:5], v20 offset0:192 offset1:224
	s_waitcnt lgkmcnt(0)
	v_fma_f64 v[2:3], v[27:28], v[2:3], v[23:24]
	v_fma_f64 v[31:32], v[29:30], v[4:5], v[2:3]
	ds_load_2addr_b64 v[2:5], v21 offset1:32
	ds_load_b128 v[23:26], v8 offset:128
	;; [unrolled: 22-line block ×3, first 2 shown]
	global_load_b64 v[33:34], v[0:1], off
	ds_load_b128 v[27:30], v8 offset:208
	s_waitcnt lgkmcnt(1)
	v_fma_f64 v[2:3], v[23:24], v[2:3], v[31:32]
	s_delay_alu instid0(VALU_DEP_1) | instskip(SKIP_3) | instid1(VALU_DEP_1)
	v_fma_f64 v[23:24], v[25:26], v[4:5], v[2:3]
	ds_load_2addr_b64 v[2:5], v22 offset0:64 offset1:96
	s_waitcnt lgkmcnt(0)
	v_fma_f64 v[2:3], v[27:28], v[2:3], v[23:24]
	v_fma_f64 v[31:32], v[29:30], v[4:5], v[2:3]
	ds_load_2addr_b64 v[2:5], v22 offset0:128 offset1:160
	ds_load_b128 v[23:26], v8 offset:224
	ds_load_b128 v[27:30], v8 offset:240
	s_waitcnt lgkmcnt(1)
	v_fma_f64 v[2:3], v[23:24], v[2:3], v[31:32]
	s_delay_alu instid0(VALU_DEP_1) | instskip(SKIP_3) | instid1(VALU_DEP_1)
	v_fma_f64 v[23:24], v[25:26], v[4:5], v[2:3]
	ds_load_2addr_b64 v[2:5], v22 offset0:192 offset1:224
	s_waitcnt lgkmcnt(0)
	v_fma_f64 v[2:3], v[27:28], v[2:3], v[23:24]
	v_fma_f64 v[2:3], v[29:30], v[4:5], v[2:3]
	s_waitcnt vmcnt(0)
	s_delay_alu instid0(VALU_DEP_1)
	v_fma_f64 v[2:3], s[8:9], v[2:3], v[33:34]
	global_store_b64 v[0:1], v[2:3], off
	s_branch .LBB1878_4
.LBB1878_17:
	s_endpgm
	.section	.rodata,"a",@progbits
	.p2align	6, 0x0
	.amdhsa_kernel _ZL26rocblas_syr2k_her2k_kernelIlLb1ELb0ELb0ELi32EPKdPKS1_PKPdEvbiT_T4_T5_S7_lS9_S7_lT6_S7_li
		.amdhsa_group_segment_fixed_size 16384
		.amdhsa_private_segment_fixed_size 0
		.amdhsa_kernarg_size 100
		.amdhsa_user_sgpr_count 13
		.amdhsa_user_sgpr_dispatch_ptr 0
		.amdhsa_user_sgpr_queue_ptr 0
		.amdhsa_user_sgpr_kernarg_segment_ptr 1
		.amdhsa_user_sgpr_dispatch_id 0
		.amdhsa_user_sgpr_private_segment_size 0
		.amdhsa_wavefront_size32 1
		.amdhsa_uses_dynamic_stack 0
		.amdhsa_enable_private_segment 0
		.amdhsa_system_sgpr_workgroup_id_x 1
		.amdhsa_system_sgpr_workgroup_id_y 1
		.amdhsa_system_sgpr_workgroup_id_z 1
		.amdhsa_system_sgpr_workgroup_info 0
		.amdhsa_system_vgpr_workitem_id 1
		.amdhsa_next_free_vgpr 35
		.amdhsa_next_free_sgpr 32
		.amdhsa_reserve_vcc 1
		.amdhsa_float_round_mode_32 0
		.amdhsa_float_round_mode_16_64 0
		.amdhsa_float_denorm_mode_32 3
		.amdhsa_float_denorm_mode_16_64 3
		.amdhsa_dx10_clamp 1
		.amdhsa_ieee_mode 1
		.amdhsa_fp16_overflow 0
		.amdhsa_workgroup_processor_mode 1
		.amdhsa_memory_ordered 1
		.amdhsa_forward_progress 0
		.amdhsa_shared_vgpr_count 0
		.amdhsa_exception_fp_ieee_invalid_op 0
		.amdhsa_exception_fp_denorm_src 0
		.amdhsa_exception_fp_ieee_div_zero 0
		.amdhsa_exception_fp_ieee_overflow 0
		.amdhsa_exception_fp_ieee_underflow 0
		.amdhsa_exception_fp_ieee_inexact 0
		.amdhsa_exception_int_div_zero 0
	.end_amdhsa_kernel
	.section	.text._ZL26rocblas_syr2k_her2k_kernelIlLb1ELb0ELb0ELi32EPKdPKS1_PKPdEvbiT_T4_T5_S7_lS9_S7_lT6_S7_li,"axG",@progbits,_ZL26rocblas_syr2k_her2k_kernelIlLb1ELb0ELb0ELi32EPKdPKS1_PKPdEvbiT_T4_T5_S7_lS9_S7_lT6_S7_li,comdat
.Lfunc_end1878:
	.size	_ZL26rocblas_syr2k_her2k_kernelIlLb1ELb0ELb0ELi32EPKdPKS1_PKPdEvbiT_T4_T5_S7_lS9_S7_lT6_S7_li, .Lfunc_end1878-_ZL26rocblas_syr2k_her2k_kernelIlLb1ELb0ELb0ELi32EPKdPKS1_PKPdEvbiT_T4_T5_S7_lS9_S7_lT6_S7_li
                                        ; -- End function
	.section	.AMDGPU.csdata,"",@progbits
; Kernel info:
; codeLenInByte = 2372
; NumSgprs: 34
; NumVgprs: 35
; ScratchSize: 0
; MemoryBound: 0
; FloatMode: 240
; IeeeMode: 1
; LDSByteSize: 16384 bytes/workgroup (compile time only)
; SGPRBlocks: 4
; VGPRBlocks: 4
; NumSGPRsForWavesPerEU: 34
; NumVGPRsForWavesPerEU: 35
; Occupancy: 16
; WaveLimiterHint : 1
; COMPUTE_PGM_RSRC2:SCRATCH_EN: 0
; COMPUTE_PGM_RSRC2:USER_SGPR: 13
; COMPUTE_PGM_RSRC2:TRAP_HANDLER: 0
; COMPUTE_PGM_RSRC2:TGID_X_EN: 1
; COMPUTE_PGM_RSRC2:TGID_Y_EN: 1
; COMPUTE_PGM_RSRC2:TGID_Z_EN: 1
; COMPUTE_PGM_RSRC2:TIDIG_COMP_CNT: 1
	.section	.text._ZL26rocblas_syr2k_her2k_kernelIlLb1ELb0ELb1ELi32EPKdPKS1_PKPdEvbiT_T4_T5_S7_lS9_S7_lT6_S7_li,"axG",@progbits,_ZL26rocblas_syr2k_her2k_kernelIlLb1ELb0ELb1ELi32EPKdPKS1_PKPdEvbiT_T4_T5_S7_lS9_S7_lT6_S7_li,comdat
	.globl	_ZL26rocblas_syr2k_her2k_kernelIlLb1ELb0ELb1ELi32EPKdPKS1_PKPdEvbiT_T4_T5_S7_lS9_S7_lT6_S7_li ; -- Begin function _ZL26rocblas_syr2k_her2k_kernelIlLb1ELb0ELb1ELi32EPKdPKS1_PKPdEvbiT_T4_T5_S7_lS9_S7_lT6_S7_li
	.p2align	8
	.type	_ZL26rocblas_syr2k_her2k_kernelIlLb1ELb0ELb1ELi32EPKdPKS1_PKPdEvbiT_T4_T5_S7_lS9_S7_lT6_S7_li,@function
_ZL26rocblas_syr2k_her2k_kernelIlLb1ELb0ELb1ELi32EPKdPKS1_PKPdEvbiT_T4_T5_S7_lS9_S7_lT6_S7_li: ; @_ZL26rocblas_syr2k_her2k_kernelIlLb1ELb0ELb1ELi32EPKdPKS1_PKPdEvbiT_T4_T5_S7_lS9_S7_lT6_S7_li
; %bb.0:
	s_load_b512 s[16:31], s[0:1], 0x8
	s_waitcnt lgkmcnt(0)
	s_load_b64 s[8:9], s[18:19], 0x0
	s_waitcnt lgkmcnt(0)
	v_cmp_eq_f64_e64 s2, s[8:9], 0
	s_delay_alu instid0(VALU_DEP_1)
	s_and_b32 vcc_lo, exec_lo, s2
	s_cbranch_vccnz .LBB1879_17
; %bb.1:
	s_load_b64 s[2:3], s[0:1], 0x0
	s_lshl_b32 s12, s14, 5
	s_lshl_b32 s13, s13, 5
	s_waitcnt lgkmcnt(0)
	s_and_b32 s2, 1, s2
	s_delay_alu instid0(SALU_CYCLE_1) | instskip(SKIP_1) | instid1(SALU_CYCLE_1)
	s_cmp_eq_u32 s2, 1
	s_cselect_b32 s2, -1, 0
	s_and_b32 s4, s2, exec_lo
	s_cselect_b32 s4, s13, s12
	s_cselect_b32 s5, s12, s13
	s_delay_alu instid0(SALU_CYCLE_1)
	s_cmp_gt_i32 s4, s5
	s_cbranch_scc1 .LBB1879_17
; %bb.2:
	v_cmp_lt_i64_e64 s4, s[16:17], 1
	s_delay_alu instid0(VALU_DEP_1)
	s_and_b32 vcc_lo, exec_lo, s4
	s_cbranch_vccnz .LBB1879_17
; %bb.3:
	s_clause 0x1
	s_load_b128 s[4:7], s[0:1], 0x48
	s_load_b64 s[0:1], s[0:1], 0x58
	s_mov_b32 s10, s15
	s_mov_b32 s11, 0
	v_bfe_u32 v6, v0, 10, 10
	v_and_b32_e32 v7, 0x3ff, v0
	s_lshl_b64 s[10:11], s[10:11], 3
	v_mov_b32_e32 v3, 0
	s_add_u32 s18, s20, s10
	v_add_nc_u32_e32 v4, s12, v6
	s_addc_u32 s19, s21, s11
	s_add_u32 s12, s26, s10
	v_dual_mov_b32 v5, v3 :: v_dual_add_nc_u32 v2, s13, v7
	s_addc_u32 s13, s27, s11
	v_ashrrev_i32_e32 v12, 31, v4
	v_mad_u64_u32 v[0:1], null, s28, v4, 0
	s_delay_alu instid0(VALU_DEP_3)
	v_max_i32_e32 v14, v2, v4
	s_mov_b32 s14, s3
	s_waitcnt lgkmcnt(0)
	s_add_u32 s10, s4, s10
	s_addc_u32 s11, s5, s11
	s_load_b64 s[4:5], s[18:19], 0x0
	s_load_b64 s[18:19], s[10:11], 0x0
	;; [unrolled: 1-line block ×3, first 2 shown]
	v_mul_lo_u32 v18, v12, s6
	v_mul_lo_u32 v19, v4, s7
	v_mad_u64_u32 v[12:13], null, v4, s6, 0
	v_cmp_gt_i32_e32 vcc_lo, s3, v14
	s_lshl_b64 s[0:1], s[0:1], 3
	v_mad_u64_u32 v[14:15], null, s29, v4, v[1:2]
	v_cndmask_b32_e64 v16, v2, v4, s2
	v_cndmask_b32_e64 v17, v4, v2, s2
	v_add3_u32 v13, v13, v19, v18
	v_lshlrev_b32_e32 v21, 3, v6
	v_lshlrev_b32_e32 v22, 3, v7
	v_mad_u64_u32 v[18:19], null, s28, v2, 0
	s_delay_alu instid0(VALU_DEP_4)
	v_lshlrev_b64 v[12:13], 3, v[12:13]
	v_cmp_le_i32_e64 s2, v17, v16
	v_mov_b32_e32 v1, v14
	s_waitcnt lgkmcnt(0)
	s_add_u32 s6, s18, s0
	s_addc_u32 s7, s19, s1
	s_ashr_i32 s15, s3, 31
	v_mad_u64_u32 v[16:17], null, s22, v4, 0
	v_cmp_gt_i64_e64 s0, s[14:15], v[2:3]
	v_ashrrev_i32_e32 v3, 31, v2
	v_cmp_gt_i64_e64 s1, s[14:15], v[4:5]
	v_or_b32_e32 v9, 0x2000, v21
	s_lshl_b64 s[12:13], s[24:25], 3
	s_delay_alu instid0(VALU_DEP_3) | instskip(SKIP_1) | instid1(VALU_DEP_1)
	v_lshlrev_b64 v[14:15], 3, v[2:3]
	v_add_co_u32 v3, s3, s6, v12
	v_add_co_ci_u32_e64 v5, s3, s7, v13, s3
	v_lshlrev_b64 v[12:13], 3, v[0:1]
	s_delay_alu instid0(VALU_DEP_3) | instskip(SKIP_3) | instid1(VALU_DEP_4)
	v_add_co_u32 v0, s3, v3, v14
	v_mov_b32_e32 v3, v17
	s_lshl_b64 s[6:7], s[30:31], 3
	v_add_co_ci_u32_e64 v1, s3, v5, v15, s3
	v_add_co_u32 v5, s3, v12, s6
	s_delay_alu instid0(VALU_DEP_1) | instskip(SKIP_1) | instid1(VALU_DEP_3)
	v_add_co_ci_u32_e64 v14, s3, s7, v13, s3
	v_mad_u64_u32 v[12:13], null, s23, v4, v[3:4]
	v_add_co_u32 v5, s3, v5, v22
	v_mad_u64_u32 v[3:4], null, s22, v2, 0
	s_delay_alu instid0(VALU_DEP_4) | instskip(NEXT) | instid1(VALU_DEP_4)
	v_add_co_ci_u32_e64 v13, s3, 0, v14, s3
	v_mov_b32_e32 v17, v12
	s_delay_alu instid0(VALU_DEP_4) | instskip(SKIP_1) | instid1(VALU_DEP_4)
	v_add_co_u32 v12, s3, s10, v5
	v_mov_b32_e32 v5, v19
	v_add_co_ci_u32_e64 v13, s3, s11, v13, s3
	s_delay_alu instid0(VALU_DEP_4) | instskip(NEXT) | instid1(VALU_DEP_3)
	v_lshlrev_b64 v[14:15], 3, v[16:17]
	v_mad_u64_u32 v[16:17], null, s23, v2, v[4:5]
	v_mad_u64_u32 v[19:20], null, s29, v2, v[5:6]
	s_delay_alu instid0(VALU_DEP_3) | instskip(NEXT) | instid1(VALU_DEP_1)
	v_add_co_u32 v2, s3, v14, s12
	v_add_co_ci_u32_e64 v5, s3, s13, v15, s3
	s_delay_alu instid0(VALU_DEP_4) | instskip(NEXT) | instid1(VALU_DEP_3)
	v_mov_b32_e32 v4, v16
	v_add_co_u32 v14, s3, v2, v22
	v_add_nc_u32_e32 v22, 0x1800, v9
	s_delay_alu instid0(VALU_DEP_4) | instskip(NEXT) | instid1(VALU_DEP_4)
	v_add_co_ci_u32_e64 v5, s3, 0, v5, s3
	v_lshlrev_b64 v[2:3], 3, v[3:4]
	s_delay_alu instid0(VALU_DEP_4) | instskip(NEXT) | instid1(VALU_DEP_1)
	v_add_co_u32 v14, s3, s4, v14
	v_add_co_ci_u32_e64 v15, s3, s5, v5, s3
	v_lshlrev_b64 v[4:5], 3, v[18:19]
	s_delay_alu instid0(VALU_DEP_4) | instskip(NEXT) | instid1(VALU_DEP_1)
	v_add_co_u32 v2, s3, v2, s12
	v_add_co_ci_u32_e64 v3, s3, s13, v3, s3
	v_lshlrev_b32_e32 v8, 8, v7
	s_delay_alu instid0(VALU_DEP_4) | instskip(NEXT) | instid1(VALU_DEP_1)
	v_add_co_u32 v4, s3, v4, s6
	v_add_co_ci_u32_e64 v5, s3, s7, v5, s3
	v_add_co_u32 v2, s3, v2, v21
	s_delay_alu instid0(VALU_DEP_1) | instskip(NEXT) | instid1(VALU_DEP_4)
	v_add_co_ci_u32_e64 v3, s3, 0, v3, s3
	v_add_co_u32 v4, s3, v4, v21
	s_delay_alu instid0(VALU_DEP_1) | instskip(NEXT) | instid1(VALU_DEP_4)
	;; [unrolled: 3-line block ×3, first 2 shown]
	v_add_co_ci_u32_e64 v17, s3, s5, v3, s3
	v_add_co_u32 v18, s3, s10, v4
	v_add_nc_u32_e32 v10, v8, v21
	v_add_nc_u32_e32 v11, v9, v8
	v_add_co_ci_u32_e64 v19, s3, s11, v5, s3
	v_add_nc_u32_e32 v20, 0x800, v9
	v_add_nc_u32_e32 v21, 0x1000, v9
	s_and_b32 s6, s2, vcc_lo
	s_mov_b64 s[2:3], 0
	s_mov_b64 s[4:5], 0
	s_branch .LBB1879_5
.LBB1879_4:                             ;   in Loop: Header=BB1879_5 Depth=1
	s_or_b32 exec_lo, exec_lo, s7
	s_add_u32 s4, s4, 32
	s_addc_u32 s5, s5, 0
	s_add_u32 s2, s2, 0x100
	v_cmp_lt_i64_e64 s7, s[4:5], s[16:17]
	s_addc_u32 s3, s3, 0
	s_waitcnt_vscnt null, 0x0
	s_barrier
	buffer_gl0_inv
	s_and_b32 vcc_lo, exec_lo, s7
	s_cbranch_vccz .LBB1879_17
.LBB1879_5:                             ; =>This Inner Loop Header: Depth=1
	v_add_co_u32 v4, s7, v6, s4
	s_delay_alu instid0(VALU_DEP_1) | instskip(SKIP_2) | instid1(VALU_DEP_3)
	v_add_co_ci_u32_e64 v5, null, 0, s5, s7
	v_mov_b32_e32 v2, 0
	v_mov_b32_e32 v3, 0
	v_cmp_gt_i64_e32 vcc_lo, s[16:17], v[4:5]
	s_delay_alu instid0(VALU_DEP_2) | instskip(SKIP_1) | instid1(SALU_CYCLE_1)
	v_dual_mov_b32 v5, v3 :: v_dual_mov_b32 v4, v2
	s_and_b32 s7, s0, vcc_lo
	s_and_saveexec_b32 s10, s7
	s_cbranch_execz .LBB1879_7
; %bb.6:                                ;   in Loop: Header=BB1879_5 Depth=1
	v_add_co_u32 v4, vcc_lo, v16, s2
	v_add_co_ci_u32_e32 v5, vcc_lo, s3, v17, vcc_lo
	global_load_b64 v[4:5], v[4:5], off
.LBB1879_7:                             ;   in Loop: Header=BB1879_5 Depth=1
	s_or_b32 exec_lo, exec_lo, s10
	v_add_co_u32 v23, s10, v7, s4
	s_delay_alu instid0(VALU_DEP_1) | instskip(SKIP_4) | instid1(SALU_CYCLE_1)
	v_add_co_ci_u32_e64 v24, null, 0, s5, s10
	s_waitcnt vmcnt(0)
	ds_store_b64 v10, v[4:5]
	v_cmp_gt_i64_e32 vcc_lo, s[16:17], v[23:24]
	s_and_b32 s10, s1, vcc_lo
	s_and_saveexec_b32 s11, s10
	s_cbranch_execz .LBB1879_9
; %bb.8:                                ;   in Loop: Header=BB1879_5 Depth=1
	v_add_co_u32 v2, vcc_lo, v12, s2
	v_add_co_ci_u32_e32 v3, vcc_lo, s3, v13, vcc_lo
	global_load_b64 v[2:3], v[2:3], off
.LBB1879_9:                             ;   in Loop: Header=BB1879_5 Depth=1
	s_or_b32 exec_lo, exec_lo, s11
	s_waitcnt vmcnt(0)
	ds_store_b64 v11, v[2:3]
	s_waitcnt lgkmcnt(0)
	s_barrier
	buffer_gl0_inv
	s_and_saveexec_b32 s11, s6
	s_cbranch_execz .LBB1879_11
; %bb.10:                               ;   in Loop: Header=BB1879_5 Depth=1
	ds_load_2addr_b64 v[2:5], v9 offset1:32
	ds_load_b128 v[23:26], v8
	ds_load_b128 v[27:30], v8 offset:16
	s_waitcnt lgkmcnt(1)
	v_fma_f64 v[2:3], v[23:24], v[2:3], 0
	s_delay_alu instid0(VALU_DEP_1) | instskip(SKIP_3) | instid1(VALU_DEP_1)
	v_fma_f64 v[23:24], v[25:26], v[4:5], v[2:3]
	ds_load_2addr_b64 v[2:5], v9 offset0:64 offset1:96
	s_waitcnt lgkmcnt(0)
	v_fma_f64 v[2:3], v[27:28], v[2:3], v[23:24]
	v_fma_f64 v[31:32], v[29:30], v[4:5], v[2:3]
	ds_load_2addr_b64 v[2:5], v9 offset0:128 offset1:160
	ds_load_b128 v[23:26], v8 offset:32
	ds_load_b128 v[27:30], v8 offset:48
	s_waitcnt lgkmcnt(1)
	v_fma_f64 v[2:3], v[23:24], v[2:3], v[31:32]
	s_delay_alu instid0(VALU_DEP_1) | instskip(SKIP_3) | instid1(VALU_DEP_1)
	v_fma_f64 v[23:24], v[25:26], v[4:5], v[2:3]
	ds_load_2addr_b64 v[2:5], v9 offset0:192 offset1:224
	s_waitcnt lgkmcnt(0)
	v_fma_f64 v[2:3], v[27:28], v[2:3], v[23:24]
	v_fma_f64 v[31:32], v[29:30], v[4:5], v[2:3]
	ds_load_2addr_b64 v[2:5], v20 offset1:32
	ds_load_b128 v[23:26], v8 offset:64
	ds_load_b128 v[27:30], v8 offset:80
	s_waitcnt lgkmcnt(1)
	v_fma_f64 v[2:3], v[23:24], v[2:3], v[31:32]
	s_delay_alu instid0(VALU_DEP_1) | instskip(SKIP_3) | instid1(VALU_DEP_1)
	v_fma_f64 v[23:24], v[25:26], v[4:5], v[2:3]
	ds_load_2addr_b64 v[2:5], v20 offset0:64 offset1:96
	s_waitcnt lgkmcnt(0)
	v_fma_f64 v[2:3], v[27:28], v[2:3], v[23:24]
	v_fma_f64 v[31:32], v[29:30], v[4:5], v[2:3]
	ds_load_2addr_b64 v[2:5], v20 offset0:128 offset1:160
	ds_load_b128 v[23:26], v8 offset:96
	ds_load_b128 v[27:30], v8 offset:112
	s_waitcnt lgkmcnt(1)
	v_fma_f64 v[2:3], v[23:24], v[2:3], v[31:32]
	s_delay_alu instid0(VALU_DEP_1) | instskip(SKIP_3) | instid1(VALU_DEP_1)
	v_fma_f64 v[23:24], v[25:26], v[4:5], v[2:3]
	ds_load_2addr_b64 v[2:5], v20 offset0:192 offset1:224
	s_waitcnt lgkmcnt(0)
	v_fma_f64 v[2:3], v[27:28], v[2:3], v[23:24]
	v_fma_f64 v[31:32], v[29:30], v[4:5], v[2:3]
	ds_load_2addr_b64 v[2:5], v21 offset1:32
	ds_load_b128 v[23:26], v8 offset:128
	;; [unrolled: 22-line block ×3, first 2 shown]
	global_load_b64 v[33:34], v[0:1], off
	ds_load_b128 v[27:30], v8 offset:208
	s_waitcnt lgkmcnt(1)
	v_fma_f64 v[2:3], v[23:24], v[2:3], v[31:32]
	s_delay_alu instid0(VALU_DEP_1) | instskip(SKIP_3) | instid1(VALU_DEP_1)
	v_fma_f64 v[23:24], v[25:26], v[4:5], v[2:3]
	ds_load_2addr_b64 v[2:5], v22 offset0:64 offset1:96
	s_waitcnt lgkmcnt(0)
	v_fma_f64 v[2:3], v[27:28], v[2:3], v[23:24]
	v_fma_f64 v[31:32], v[29:30], v[4:5], v[2:3]
	ds_load_2addr_b64 v[2:5], v22 offset0:128 offset1:160
	ds_load_b128 v[23:26], v8 offset:224
	ds_load_b128 v[27:30], v8 offset:240
	s_waitcnt lgkmcnt(1)
	v_fma_f64 v[2:3], v[23:24], v[2:3], v[31:32]
	s_delay_alu instid0(VALU_DEP_1) | instskip(SKIP_3) | instid1(VALU_DEP_1)
	v_fma_f64 v[23:24], v[25:26], v[4:5], v[2:3]
	ds_load_2addr_b64 v[2:5], v22 offset0:192 offset1:224
	s_waitcnt lgkmcnt(0)
	v_fma_f64 v[2:3], v[27:28], v[2:3], v[23:24]
	v_fma_f64 v[2:3], v[29:30], v[4:5], v[2:3]
	s_waitcnt vmcnt(0)
	s_delay_alu instid0(VALU_DEP_1)
	v_fma_f64 v[2:3], s[8:9], v[2:3], v[33:34]
	global_store_b64 v[0:1], v[2:3], off
.LBB1879_11:                            ;   in Loop: Header=BB1879_5 Depth=1
	s_or_b32 exec_lo, exec_lo, s11
	v_mov_b32_e32 v2, 0
	v_mov_b32_e32 v3, 0
	s_waitcnt_vscnt null, 0x0
	s_barrier
	buffer_gl0_inv
	v_dual_mov_b32 v5, v3 :: v_dual_mov_b32 v4, v2
	s_and_saveexec_b32 s11, s7
	s_cbranch_execz .LBB1879_13
; %bb.12:                               ;   in Loop: Header=BB1879_5 Depth=1
	v_add_co_u32 v4, vcc_lo, v18, s2
	v_add_co_ci_u32_e32 v5, vcc_lo, s3, v19, vcc_lo
	global_load_b64 v[4:5], v[4:5], off
.LBB1879_13:                            ;   in Loop: Header=BB1879_5 Depth=1
	s_or_b32 exec_lo, exec_lo, s11
	s_waitcnt vmcnt(0)
	ds_store_b64 v10, v[4:5]
	s_and_saveexec_b32 s7, s10
	s_cbranch_execz .LBB1879_15
; %bb.14:                               ;   in Loop: Header=BB1879_5 Depth=1
	v_add_co_u32 v2, vcc_lo, v14, s2
	v_add_co_ci_u32_e32 v3, vcc_lo, s3, v15, vcc_lo
	global_load_b64 v[2:3], v[2:3], off
.LBB1879_15:                            ;   in Loop: Header=BB1879_5 Depth=1
	s_or_b32 exec_lo, exec_lo, s7
	s_waitcnt vmcnt(0)
	ds_store_b64 v11, v[2:3]
	s_waitcnt lgkmcnt(0)
	s_barrier
	buffer_gl0_inv
	s_and_saveexec_b32 s7, s6
	s_cbranch_execz .LBB1879_4
; %bb.16:                               ;   in Loop: Header=BB1879_5 Depth=1
	ds_load_2addr_b64 v[2:5], v9 offset1:32
	ds_load_b128 v[23:26], v8
	ds_load_b128 v[27:30], v8 offset:16
	s_waitcnt lgkmcnt(1)
	v_fma_f64 v[2:3], v[23:24], v[2:3], 0
	s_delay_alu instid0(VALU_DEP_1) | instskip(SKIP_3) | instid1(VALU_DEP_1)
	v_fma_f64 v[23:24], v[25:26], v[4:5], v[2:3]
	ds_load_2addr_b64 v[2:5], v9 offset0:64 offset1:96
	s_waitcnt lgkmcnt(0)
	v_fma_f64 v[2:3], v[27:28], v[2:3], v[23:24]
	v_fma_f64 v[31:32], v[29:30], v[4:5], v[2:3]
	ds_load_2addr_b64 v[2:5], v9 offset0:128 offset1:160
	ds_load_b128 v[23:26], v8 offset:32
	ds_load_b128 v[27:30], v8 offset:48
	s_waitcnt lgkmcnt(1)
	v_fma_f64 v[2:3], v[23:24], v[2:3], v[31:32]
	s_delay_alu instid0(VALU_DEP_1) | instskip(SKIP_3) | instid1(VALU_DEP_1)
	v_fma_f64 v[23:24], v[25:26], v[4:5], v[2:3]
	ds_load_2addr_b64 v[2:5], v9 offset0:192 offset1:224
	s_waitcnt lgkmcnt(0)
	v_fma_f64 v[2:3], v[27:28], v[2:3], v[23:24]
	v_fma_f64 v[31:32], v[29:30], v[4:5], v[2:3]
	ds_load_2addr_b64 v[2:5], v20 offset1:32
	ds_load_b128 v[23:26], v8 offset:64
	ds_load_b128 v[27:30], v8 offset:80
	s_waitcnt lgkmcnt(1)
	v_fma_f64 v[2:3], v[23:24], v[2:3], v[31:32]
	s_delay_alu instid0(VALU_DEP_1) | instskip(SKIP_3) | instid1(VALU_DEP_1)
	v_fma_f64 v[23:24], v[25:26], v[4:5], v[2:3]
	ds_load_2addr_b64 v[2:5], v20 offset0:64 offset1:96
	s_waitcnt lgkmcnt(0)
	v_fma_f64 v[2:3], v[27:28], v[2:3], v[23:24]
	v_fma_f64 v[31:32], v[29:30], v[4:5], v[2:3]
	ds_load_2addr_b64 v[2:5], v20 offset0:128 offset1:160
	ds_load_b128 v[23:26], v8 offset:96
	ds_load_b128 v[27:30], v8 offset:112
	s_waitcnt lgkmcnt(1)
	v_fma_f64 v[2:3], v[23:24], v[2:3], v[31:32]
	s_delay_alu instid0(VALU_DEP_1) | instskip(SKIP_3) | instid1(VALU_DEP_1)
	v_fma_f64 v[23:24], v[25:26], v[4:5], v[2:3]
	ds_load_2addr_b64 v[2:5], v20 offset0:192 offset1:224
	s_waitcnt lgkmcnt(0)
	v_fma_f64 v[2:3], v[27:28], v[2:3], v[23:24]
	v_fma_f64 v[31:32], v[29:30], v[4:5], v[2:3]
	ds_load_2addr_b64 v[2:5], v21 offset1:32
	ds_load_b128 v[23:26], v8 offset:128
	;; [unrolled: 22-line block ×3, first 2 shown]
	global_load_b64 v[33:34], v[0:1], off
	ds_load_b128 v[27:30], v8 offset:208
	s_waitcnt lgkmcnt(1)
	v_fma_f64 v[2:3], v[23:24], v[2:3], v[31:32]
	s_delay_alu instid0(VALU_DEP_1) | instskip(SKIP_3) | instid1(VALU_DEP_1)
	v_fma_f64 v[23:24], v[25:26], v[4:5], v[2:3]
	ds_load_2addr_b64 v[2:5], v22 offset0:64 offset1:96
	s_waitcnt lgkmcnt(0)
	v_fma_f64 v[2:3], v[27:28], v[2:3], v[23:24]
	v_fma_f64 v[31:32], v[29:30], v[4:5], v[2:3]
	ds_load_2addr_b64 v[2:5], v22 offset0:128 offset1:160
	ds_load_b128 v[23:26], v8 offset:224
	ds_load_b128 v[27:30], v8 offset:240
	s_waitcnt lgkmcnt(1)
	v_fma_f64 v[2:3], v[23:24], v[2:3], v[31:32]
	s_delay_alu instid0(VALU_DEP_1) | instskip(SKIP_3) | instid1(VALU_DEP_1)
	v_fma_f64 v[23:24], v[25:26], v[4:5], v[2:3]
	ds_load_2addr_b64 v[2:5], v22 offset0:192 offset1:224
	s_waitcnt lgkmcnt(0)
	v_fma_f64 v[2:3], v[27:28], v[2:3], v[23:24]
	v_fma_f64 v[2:3], v[29:30], v[4:5], v[2:3]
	s_waitcnt vmcnt(0)
	s_delay_alu instid0(VALU_DEP_1)
	v_fma_f64 v[2:3], s[8:9], v[2:3], v[33:34]
	global_store_b64 v[0:1], v[2:3], off
	s_branch .LBB1879_4
.LBB1879_17:
	s_endpgm
	.section	.rodata,"a",@progbits
	.p2align	6, 0x0
	.amdhsa_kernel _ZL26rocblas_syr2k_her2k_kernelIlLb1ELb0ELb1ELi32EPKdPKS1_PKPdEvbiT_T4_T5_S7_lS9_S7_lT6_S7_li
		.amdhsa_group_segment_fixed_size 16384
		.amdhsa_private_segment_fixed_size 0
		.amdhsa_kernarg_size 100
		.amdhsa_user_sgpr_count 13
		.amdhsa_user_sgpr_dispatch_ptr 0
		.amdhsa_user_sgpr_queue_ptr 0
		.amdhsa_user_sgpr_kernarg_segment_ptr 1
		.amdhsa_user_sgpr_dispatch_id 0
		.amdhsa_user_sgpr_private_segment_size 0
		.amdhsa_wavefront_size32 1
		.amdhsa_uses_dynamic_stack 0
		.amdhsa_enable_private_segment 0
		.amdhsa_system_sgpr_workgroup_id_x 1
		.amdhsa_system_sgpr_workgroup_id_y 1
		.amdhsa_system_sgpr_workgroup_id_z 1
		.amdhsa_system_sgpr_workgroup_info 0
		.amdhsa_system_vgpr_workitem_id 1
		.amdhsa_next_free_vgpr 35
		.amdhsa_next_free_sgpr 32
		.amdhsa_reserve_vcc 1
		.amdhsa_float_round_mode_32 0
		.amdhsa_float_round_mode_16_64 0
		.amdhsa_float_denorm_mode_32 3
		.amdhsa_float_denorm_mode_16_64 3
		.amdhsa_dx10_clamp 1
		.amdhsa_ieee_mode 1
		.amdhsa_fp16_overflow 0
		.amdhsa_workgroup_processor_mode 1
		.amdhsa_memory_ordered 1
		.amdhsa_forward_progress 0
		.amdhsa_shared_vgpr_count 0
		.amdhsa_exception_fp_ieee_invalid_op 0
		.amdhsa_exception_fp_denorm_src 0
		.amdhsa_exception_fp_ieee_div_zero 0
		.amdhsa_exception_fp_ieee_overflow 0
		.amdhsa_exception_fp_ieee_underflow 0
		.amdhsa_exception_fp_ieee_inexact 0
		.amdhsa_exception_int_div_zero 0
	.end_amdhsa_kernel
	.section	.text._ZL26rocblas_syr2k_her2k_kernelIlLb1ELb0ELb1ELi32EPKdPKS1_PKPdEvbiT_T4_T5_S7_lS9_S7_lT6_S7_li,"axG",@progbits,_ZL26rocblas_syr2k_her2k_kernelIlLb1ELb0ELb1ELi32EPKdPKS1_PKPdEvbiT_T4_T5_S7_lS9_S7_lT6_S7_li,comdat
.Lfunc_end1879:
	.size	_ZL26rocblas_syr2k_her2k_kernelIlLb1ELb0ELb1ELi32EPKdPKS1_PKPdEvbiT_T4_T5_S7_lS9_S7_lT6_S7_li, .Lfunc_end1879-_ZL26rocblas_syr2k_her2k_kernelIlLb1ELb0ELb1ELi32EPKdPKS1_PKPdEvbiT_T4_T5_S7_lS9_S7_lT6_S7_li
                                        ; -- End function
	.section	.AMDGPU.csdata,"",@progbits
; Kernel info:
; codeLenInByte = 2532
; NumSgprs: 34
; NumVgprs: 35
; ScratchSize: 0
; MemoryBound: 0
; FloatMode: 240
; IeeeMode: 1
; LDSByteSize: 16384 bytes/workgroup (compile time only)
; SGPRBlocks: 4
; VGPRBlocks: 4
; NumSGPRsForWavesPerEU: 34
; NumVGPRsForWavesPerEU: 35
; Occupancy: 16
; WaveLimiterHint : 1
; COMPUTE_PGM_RSRC2:SCRATCH_EN: 0
; COMPUTE_PGM_RSRC2:USER_SGPR: 13
; COMPUTE_PGM_RSRC2:TRAP_HANDLER: 0
; COMPUTE_PGM_RSRC2:TGID_X_EN: 1
; COMPUTE_PGM_RSRC2:TGID_Y_EN: 1
; COMPUTE_PGM_RSRC2:TGID_Z_EN: 1
; COMPUTE_PGM_RSRC2:TIDIG_COMP_CNT: 1
	.section	.text._ZL26rocblas_syr2k_her2k_kernelIlLb1ELb0ELb0ELi32E19rocblas_complex_numIfEPKPKS1_PKPS1_EvbiT_T4_T5_S9_lSB_S9_lT6_S9_li,"axG",@progbits,_ZL26rocblas_syr2k_her2k_kernelIlLb1ELb0ELb0ELi32E19rocblas_complex_numIfEPKPKS1_PKPS1_EvbiT_T4_T5_S9_lSB_S9_lT6_S9_li,comdat
	.globl	_ZL26rocblas_syr2k_her2k_kernelIlLb1ELb0ELb0ELi32E19rocblas_complex_numIfEPKPKS1_PKPS1_EvbiT_T4_T5_S9_lSB_S9_lT6_S9_li ; -- Begin function _ZL26rocblas_syr2k_her2k_kernelIlLb1ELb0ELb0ELi32E19rocblas_complex_numIfEPKPKS1_PKPS1_EvbiT_T4_T5_S9_lSB_S9_lT6_S9_li
	.p2align	8
	.type	_ZL26rocblas_syr2k_her2k_kernelIlLb1ELb0ELb0ELi32E19rocblas_complex_numIfEPKPKS1_PKPS1_EvbiT_T4_T5_S9_lSB_S9_lT6_S9_li,@function
_ZL26rocblas_syr2k_her2k_kernelIlLb1ELb0ELb0ELi32E19rocblas_complex_numIfEPKPKS1_PKPS1_EvbiT_T4_T5_S9_lSB_S9_lT6_S9_li: ; @_ZL26rocblas_syr2k_her2k_kernelIlLb1ELb0ELb0ELi32E19rocblas_complex_numIfEPKPKS1_PKPS1_EvbiT_T4_T5_S9_lSB_S9_lT6_S9_li
; %bb.0:
	s_load_b64 s[20:21], s[0:1], 0x10
	s_waitcnt lgkmcnt(0)
	v_cmp_eq_f32_e64 s2, s20, 0
	v_cmp_eq_f32_e64 s3, s21, 0
	s_delay_alu instid0(VALU_DEP_1) | instskip(NEXT) | instid1(SALU_CYCLE_1)
	s_and_b32 s2, s2, s3
	s_and_b32 vcc_lo, exec_lo, s2
	s_cbranch_vccnz .LBB1880_17
; %bb.1:
	s_load_b64 s[2:3], s[0:1], 0x0
	s_lshl_b32 s26, s14, 5
	s_lshl_b32 s27, s13, 5
	s_waitcnt lgkmcnt(0)
	s_and_b32 s2, 1, s2
	s_delay_alu instid0(SALU_CYCLE_1) | instskip(SKIP_1) | instid1(SALU_CYCLE_1)
	s_cmp_eq_u32 s2, 1
	s_cselect_b32 s2, -1, 0
	s_and_b32 s4, s2, exec_lo
	s_cselect_b32 s4, s27, s26
	s_cselect_b32 s5, s26, s27
	s_delay_alu instid0(SALU_CYCLE_1)
	s_cmp_gt_i32 s4, s5
	s_cbranch_scc1 .LBB1880_17
; %bb.2:
	s_load_b64 s[22:23], s[0:1], 0x8
	s_waitcnt lgkmcnt(0)
	v_cmp_lt_i64_e64 s4, s[22:23], 1
	s_delay_alu instid0(VALU_DEP_1)
	s_and_b32 vcc_lo, exec_lo, s4
	s_cbranch_vccnz .LBB1880_17
; %bb.3:
	s_mov_b32 s24, s15
	s_load_b512 s[4:19], s[0:1], 0x18
	s_mov_b32 s25, 0
	v_bfe_u32 v6, v0, 10, 10
	s_load_b64 s[28:29], s[0:1], 0x58
	s_lshl_b64 s[0:1], s[24:25], 3
	v_and_b32_e32 v7, 0x3ff, v0
	s_delay_alu instid0(VALU_DEP_2) | instskip(SKIP_1) | instid1(VALU_DEP_1)
	v_dual_mov_b32 v3, 0 :: v_dual_add_nc_u32 v4, s26, v6
	s_mov_b32 s30, s3
	v_dual_mov_b32 v5, v3 :: v_dual_add_nc_u32 v2, s27, v7
	v_lshlrev_b32_e32 v0, 3, v6
	v_lshlrev_b32_e32 v8, 8, v7
	v_ashrrev_i32_e32 v1, 31, v4
	s_delay_alu instid0(VALU_DEP_4)
	v_cndmask_b32_e64 v15, v2, v4, s2
	v_cndmask_b32_e64 v16, v4, v2, s2
	v_or_b32_e32 v10, 0x2000, v0
	v_add_nc_u32_e32 v9, v8, v0
	v_max_i32_e32 v17, v2, v4
	s_waitcnt lgkmcnt(0)
	s_add_u32 s4, s4, s0
	s_addc_u32 s5, s5, s1
	s_add_u32 s10, s10, s0
	s_addc_u32 s11, s11, s1
	s_add_u32 s0, s16, s0
	s_load_b64 s[10:11], s[10:11], 0x0
	s_addc_u32 s1, s17, s1
	v_mul_lo_u32 v18, v1, s18
	s_load_b64 s[16:17], s[0:1], 0x0
	v_mul_lo_u32 v19, v4, s19
	v_mad_u64_u32 v[0:1], null, v4, s18, 0
	v_mad_u64_u32 v[12:13], null, s12, v7, 0
	v_ashrrev_i32_e32 v14, 31, v2
	s_lshl_b64 s[14:15], s[14:15], 3
	v_cmp_le_i32_e64 s0, v16, v15
	v_mad_u64_u32 v[15:16], null, s12, v6, 0
	v_add3_u32 v1, v1, v19, v18
	v_cmp_gt_i32_e32 vcc_lo, s3, v17
	v_mad_u64_u32 v[17:18], null, s13, v7, v[13:14]
	v_mov_b32_e32 v13, v2
	s_delay_alu instid0(VALU_DEP_4)
	v_lshlrev_b64 v[0:1], 3, v[0:1]
	s_waitcnt lgkmcnt(0)
	s_add_u32 s10, s10, s14
	s_addc_u32 s11, s11, s15
	s_lshl_b64 s[14:15], s[28:29], 3
	s_load_b64 s[4:5], s[4:5], 0x0
	s_add_u32 s2, s16, s14
	s_addc_u32 s15, s17, s15
	s_and_b32 s14, s0, vcc_lo
	v_add_co_u32 v22, vcc_lo, s2, v0
	v_add_co_ci_u32_e32 v23, vcc_lo, s15, v1, vcc_lo
	v_lshlrev_b64 v[0:1], 3, v[13:14]
	v_dual_mov_b32 v14, v16 :: v_dual_mov_b32 v13, v17
	v_mad_u64_u32 v[17:18], null, s6, v7, 0
	s_ashr_i32 s31, s3, 31
	s_delay_alu instid0(VALU_DEP_2) | instskip(SKIP_2) | instid1(VALU_DEP_4)
	v_mad_u64_u32 v[19:20], null, s13, v6, v[14:15]
	v_mad_u64_u32 v[20:21], null, s6, v6, 0
	v_add_nc_u32_e32 v11, v10, v8
	v_mov_b32_e32 v14, v18
	v_add_co_u32 v0, vcc_lo, v22, v0
	v_add_co_ci_u32_e32 v1, vcc_lo, v23, v1, vcc_lo
	v_mov_b32_e32 v18, v21
	s_delay_alu instid0(VALU_DEP_4) | instskip(SKIP_2) | instid1(VALU_DEP_4)
	v_mad_u64_u32 v[21:22], null, s7, v7, v[14:15]
	v_cmp_gt_i64_e64 s1, s[30:31], v[4:5]
	v_lshlrev_b64 v[12:13], 3, v[12:13]
	v_mad_u64_u32 v[22:23], null, s7, v6, v[18:19]
	v_lshlrev_b64 v[4:5], 3, v[4:5]
	v_mov_b32_e32 v16, v19
	v_mov_b32_e32 v18, v21
	v_cmp_gt_i64_e64 s0, s[30:31], v[2:3]
	v_lshlrev_b64 v[2:3], 3, v[2:3]
	s_lshl_b64 s[8:9], s[8:9], 3
	v_mov_b32_e32 v21, v22
	v_lshlrev_b64 v[14:15], 3, v[15:16]
	v_add_co_u32 v19, vcc_lo, v12, v4
	v_lshlrev_b64 v[16:17], 3, v[17:18]
	v_add_co_ci_u32_e32 v12, vcc_lo, v13, v5, vcc_lo
	s_delay_alu instid0(VALU_DEP_3)
	v_or_b32_e32 v13, 4, v19
	v_add_co_u32 v14, vcc_lo, v14, v2
	v_lshlrev_b64 v[18:19], 3, v[20:21]
	v_add_nc_u32_e32 v21, 0x1000, v10
	v_add_co_ci_u32_e32 v15, vcc_lo, v15, v3, vcc_lo
	v_add_co_u32 v16, vcc_lo, v16, v4
	v_add_co_ci_u32_e32 v17, vcc_lo, v17, v5, vcc_lo
	v_add_co_u32 v18, vcc_lo, v18, v2
	s_lshl_b64 s[2:3], s[12:13], 8
	s_waitcnt lgkmcnt(0)
	s_add_u32 s4, s8, s4
	v_add_co_ci_u32_e32 v19, vcc_lo, v19, v3, vcc_lo
	v_add_nc_u32_e32 v20, 0x800, v10
	v_add_nc_u32_e32 v22, 0x1800, v10
	s_addc_u32 s5, s9, s5
	s_add_u32 s8, s4, 4
	s_addc_u32 s9, s5, 0
	s_lshl_b64 s[4:5], s[6:7], 8
	s_mov_b64 s[6:7], 0
	s_branch .LBB1880_5
.LBB1880_4:                             ;   in Loop: Header=BB1880_5 Depth=1
	s_or_b32 exec_lo, exec_lo, s12
	s_add_u32 s6, s6, 32
	s_addc_u32 s7, s7, 0
	s_add_u32 s10, s10, s2
	v_cmp_lt_i64_e64 s12, s[6:7], s[22:23]
	s_addc_u32 s11, s11, s3
	s_add_u32 s8, s8, s4
	s_addc_u32 s9, s9, s5
	s_waitcnt_vscnt null, 0x0
	s_barrier
	s_and_b32 vcc_lo, exec_lo, s12
	buffer_gl0_inv
	s_cbranch_vccz .LBB1880_17
.LBB1880_5:                             ; =>This Inner Loop Header: Depth=1
	v_add_co_u32 v2, s12, v6, s6
	s_delay_alu instid0(VALU_DEP_1) | instskip(NEXT) | instid1(VALU_DEP_1)
	v_add_co_ci_u32_e64 v3, null, 0, s7, s12
	v_cmp_gt_i64_e32 vcc_lo, s[22:23], v[2:3]
	v_dual_mov_b32 v2, 0 :: v_dual_mov_b32 v3, 0
	s_and_b32 s12, s0, vcc_lo
	s_delay_alu instid0(SALU_CYCLE_1)
	s_and_saveexec_b32 s13, s12
	s_cbranch_execz .LBB1880_7
; %bb.6:                                ;   in Loop: Header=BB1880_5 Depth=1
	v_add_co_u32 v2, vcc_lo, s8, v18
	v_add_co_ci_u32_e32 v3, vcc_lo, s9, v19, vcc_lo
	global_load_b64 v[2:3], v[2:3], off offset:-4
.LBB1880_7:                             ;   in Loop: Header=BB1880_5 Depth=1
	s_or_b32 exec_lo, exec_lo, s13
	v_add_co_u32 v4, s13, v7, s6
	s_delay_alu instid0(VALU_DEP_1)
	v_add_co_ci_u32_e64 v5, null, 0, s7, s13
	s_waitcnt vmcnt(0)
	ds_store_b64 v9, v[2:3]
	v_cmp_gt_i64_e32 vcc_lo, s[22:23], v[4:5]
	v_dual_mov_b32 v4, 0 :: v_dual_mov_b32 v5, 0
	s_and_b32 s13, s1, vcc_lo
	s_delay_alu instid0(SALU_CYCLE_1)
	s_and_saveexec_b32 s15, s13
	s_cbranch_execz .LBB1880_9
; %bb.8:                                ;   in Loop: Header=BB1880_5 Depth=1
	v_add_co_u32 v2, vcc_lo, s10, v13
	v_add_co_ci_u32_e32 v3, vcc_lo, s11, v12, vcc_lo
	global_load_b64 v[4:5], v[2:3], off offset:-4
.LBB1880_9:                             ;   in Loop: Header=BB1880_5 Depth=1
	s_or_b32 exec_lo, exec_lo, s15
	s_waitcnt vmcnt(0)
	ds_store_b64 v11, v[4:5]
	s_waitcnt lgkmcnt(0)
	s_barrier
	buffer_gl0_inv
	s_and_saveexec_b32 s15, s14
	s_cbranch_execz .LBB1880_11
; %bb.10:                               ;   in Loop: Header=BB1880_5 Depth=1
	global_load_b64 v[143:144], v[0:1], off
	ds_load_2addr_b64 v[2:5], v10 offset1:32
	ds_load_b128 v[23:26], v8
	ds_load_b128 v[27:30], v8 offset:16
	ds_load_b128 v[31:34], v8 offset:32
	;; [unrolled: 1-line block ×3, first 2 shown]
	ds_load_2addr_b64 v[39:42], v10 offset0:64 offset1:96
	ds_load_2addr_b64 v[43:46], v10 offset0:128 offset1:160
	;; [unrolled: 1-line block ×3, first 2 shown]
	ds_load_2addr_b64 v[51:54], v20 offset1:32
	ds_load_b128 v[55:58], v8 offset:64
	ds_load_b128 v[59:62], v8 offset:80
	ds_load_2addr_b64 v[63:66], v20 offset0:64 offset1:96
	ds_load_2addr_b64 v[67:70], v20 offset0:128 offset1:160
	ds_load_b128 v[71:74], v8 offset:96
	ds_load_b128 v[75:78], v8 offset:112
	ds_load_2addr_b64 v[79:82], v20 offset0:192 offset1:224
	ds_load_2addr_b64 v[83:86], v21 offset1:32
	ds_load_b128 v[87:90], v8 offset:128
	ds_load_b128 v[91:94], v8 offset:144
	ds_load_2addr_b64 v[95:98], v21 offset0:64 offset1:96
	ds_load_2addr_b64 v[99:102], v21 offset0:128 offset1:160
	ds_load_b128 v[103:106], v8 offset:160
	ds_load_b128 v[107:110], v8 offset:176
	ds_load_2addr_b64 v[111:114], v21 offset0:192 offset1:224
	ds_load_2addr_b64 v[115:118], v22 offset1:32
	ds_load_b128 v[119:122], v8 offset:192
	ds_load_b128 v[123:126], v8 offset:208
	ds_load_2addr_b64 v[127:130], v22 offset0:64 offset1:96
	ds_load_2addr_b64 v[131:134], v22 offset0:128 offset1:160
	s_waitcnt lgkmcnt(27)
	v_dual_mul_f32 v145, v3, v24 :: v_dual_mul_f32 v146, v5, v26
	v_mul_f32_e32 v24, v2, v24
	v_mul_f32_e32 v26, v4, v26
	s_waitcnt lgkmcnt(22)
	v_mul_f32_e32 v147, v44, v32
	v_fma_f32 v145, v2, v23, -v145
	v_mul_f32_e32 v32, v43, v32
	v_fmac_f32_e32 v24, v3, v23
	v_fma_f32 v23, v4, v25, -v146
	v_dual_fmac_f32 v26, v5, v25 :: v_dual_mul_f32 v25, v40, v28
	v_mul_f32_e32 v28, v39, v28
	v_mul_f32_e32 v146, v42, v30
	;; [unrolled: 1-line block ×3, first 2 shown]
	v_fma_f32 v43, v43, v31, -v147
	v_fma_f32 v25, v39, v27, -v25
	s_waitcnt lgkmcnt(21)
	v_dual_mul_f32 v39, v50, v38 :: v_dual_fmac_f32 v28, v40, v27
	v_fma_f32 v27, v41, v29, -v146
	s_waitcnt lgkmcnt(19)
	v_mul_f32_e32 v40, v52, v56
	v_dual_mul_f32 v41, v51, v56 :: v_dual_add_f32 v56, 0, v145
	v_mul_f32_e32 v148, v46, v34
	v_dual_fmac_f32 v30, v42, v29 :: v_dual_mul_f32 v29, v45, v34
	v_fmac_f32_e32 v32, v44, v31
	s_delay_alu instid0(VALU_DEP_4) | instskip(NEXT) | instid1(VALU_DEP_4)
	v_add_f32_e32 v23, v56, v23
	v_fma_f32 v31, v45, v33, -v148
	s_delay_alu instid0(VALU_DEP_4) | instskip(SKIP_1) | instid1(VALU_DEP_4)
	v_dual_mul_f32 v38, v49, v38 :: v_dual_fmac_f32 v29, v46, v33
	v_mul_f32_e32 v33, v53, v58
	v_dual_add_f32 v23, v23, v25 :: v_dual_mul_f32 v34, v48, v36
	v_mul_f32_e32 v36, v47, v36
	s_waitcnt lgkmcnt(13)
	v_mul_f32_e32 v25, v79, v76
	v_fmac_f32_e32 v33, v54, v57
	v_dual_add_f32 v23, v23, v27 :: v_dual_mul_f32 v42, v54, v58
	v_fma_f32 v34, v47, v35, -v34
	s_waitcnt lgkmcnt(11)
	v_dual_mul_f32 v27, v84, v88 :: v_dual_fmac_f32 v38, v50, v37
	s_delay_alu instid0(VALU_DEP_3) | instskip(SKIP_3) | instid1(VALU_DEP_3)
	v_dual_add_f32 v23, v23, v43 :: v_dual_add_f32 v24, 0, v24
	s_waitcnt lgkmcnt(9)
	v_dual_mul_f32 v43, v95, v92 :: v_dual_mul_f32 v58, v65, v62
	v_fmac_f32_e32 v41, v52, v55
	v_dual_add_f32 v23, v23, v31 :: v_dual_add_f32 v24, v24, v26
	v_mul_f32_e32 v26, v68, v72
	v_fma_f32 v27, v83, v87, -v27
	v_dual_mul_f32 v44, v64, v60 :: v_dual_mul_f32 v47, v98, v94
	s_delay_alu instid0(VALU_DEP_4) | instskip(NEXT) | instid1(VALU_DEP_4)
	v_add_f32_e32 v23, v23, v34
	v_fma_f32 v26, v67, v71, -v26
	v_fmac_f32_e32 v36, v48, v35
	v_fma_f32 v35, v49, v37, -v39
	v_mul_f32_e32 v56, v70, v74
	v_mul_f32_e32 v39, v85, v90
	v_dual_mul_f32 v45, v63, v60 :: v_dual_mul_f32 v46, v66, v62
	s_delay_alu instid0(VALU_DEP_4) | instskip(NEXT) | instid1(VALU_DEP_2)
	v_dual_add_f32 v23, v23, v35 :: v_dual_add_f32 v24, v24, v28
	v_dual_mul_f32 v28, v69, v74 :: v_dual_fmac_f32 v45, v64, v59
	s_delay_alu instid0(VALU_DEP_4)
	v_dual_fmac_f32 v39, v86, v89 :: v_dual_mul_f32 v60, v67, v72
	s_waitcnt lgkmcnt(7)
	v_mul_f32_e32 v35, v102, v106
	v_add_f32_e32 v24, v24, v30
	v_fmac_f32_e32 v58, v66, v61
	v_mul_f32_e32 v62, v80, v76
	v_fmac_f32_e32 v28, v70, v73
	v_fma_f32 v35, v101, v105, -v35
	v_add_f32_e32 v24, v24, v32
	v_dual_mul_f32 v72, v81, v78 :: v_dual_fmac_f32 v25, v80, v75
	ds_load_b128 v[135:138], v8 offset:224
	ds_load_b128 v[139:142], v8 offset:240
	v_mul_f32_e32 v32, v83, v88
	v_add_f32_e32 v24, v24, v29
	v_dual_mul_f32 v29, v96, v92 :: v_dual_fmac_f32 v72, v82, v77
	v_mul_f32_e32 v37, v86, v90
	s_delay_alu instid0(VALU_DEP_3) | instskip(NEXT) | instid1(VALU_DEP_3)
	v_dual_mul_f32 v31, v97, v94 :: v_dual_add_f32 v24, v24, v36
	v_fma_f32 v29, v95, v91, -v29
	v_fmac_f32_e32 v60, v68, v71
	v_dual_mul_f32 v34, v99, v104 :: v_dual_fmac_f32 v43, v96, v91
	s_delay_alu instid0(VALU_DEP_4) | instskip(SKIP_4) | instid1(VALU_DEP_4)
	v_add_f32_e32 v24, v24, v38
	v_fma_f32 v38, v51, v55, -v40
	v_fma_f32 v40, v53, v57, -v42
	;; [unrolled: 1-line block ×3, first 2 shown]
	v_fmac_f32_e32 v31, v98, v93
	v_dual_add_f32 v24, v24, v41 :: v_dual_add_f32 v23, v23, v38
	v_fma_f32 v38, v63, v59, -v44
	v_fma_f32 v41, v65, v61, -v46
	ds_load_2addr_b64 v[2:5], v22 offset0:192 offset1:224
	v_dual_add_f32 v24, v24, v33 :: v_dual_add_f32 v23, v23, v40
	s_waitcnt lgkmcnt(8)
	v_dual_mul_f32 v33, v101, v106 :: v_dual_mul_f32 v40, v112, v108
	v_fmac_f32_e32 v34, v100, v103
	s_delay_alu instid0(VALU_DEP_3) | instskip(SKIP_1) | instid1(VALU_DEP_4)
	v_dual_add_f32 v24, v24, v45 :: v_dual_add_f32 v23, v23, v38
	v_mul_f32_e32 v30, v82, v78
	v_dual_fmac_f32 v33, v102, v105 :: v_dual_mul_f32 v38, v111, v108
	s_delay_alu instid0(VALU_DEP_3) | instskip(NEXT) | instid1(VALU_DEP_3)
	v_dual_add_f32 v24, v24, v58 :: v_dual_add_f32 v23, v23, v41
	v_fma_f32 v30, v81, v77, -v30
	v_dual_mul_f32 v41, v114, v110 :: v_dual_fmac_f32 v32, v84, v87
	s_delay_alu instid0(VALU_DEP_3) | instskip(SKIP_1) | instid1(VALU_DEP_2)
	v_dual_add_f32 v24, v24, v60 :: v_dual_add_f32 v23, v23, v26
	v_mul_f32_e32 v26, v113, v110
	v_add_f32_e32 v24, v24, v28
	v_fma_f32 v28, v79, v75, -v62
	s_delay_alu instid0(VALU_DEP_2) | instskip(SKIP_2) | instid1(VALU_DEP_2)
	v_dual_add_f32 v23, v23, v42 :: v_dual_add_f32 v24, v24, v25
	s_waitcnt lgkmcnt(6)
	v_mul_f32_e32 v25, v116, v120
	v_add_f32_e32 v23, v23, v28
	v_mul_f32_e32 v36, v100, v104
	s_delay_alu instid0(VALU_DEP_3) | instskip(NEXT) | instid1(VALU_DEP_3)
	v_fma_f32 v25, v115, v119, -v25
	v_add_f32_e32 v23, v23, v30
	s_delay_alu instid0(VALU_DEP_1) | instskip(SKIP_1) | instid1(VALU_DEP_1)
	v_dual_mul_f32 v30, v118, v122 :: v_dual_add_f32 v23, v23, v27
	v_dual_mul_f32 v27, v117, v122 :: v_dual_add_f32 v24, v24, v72
	v_dual_fmac_f32 v27, v118, v121 :: v_dual_add_f32 v24, v24, v32
	v_fma_f32 v32, v85, v89, -v37
	v_fma_f32 v37, v97, v93, -v47
	s_delay_alu instid0(VALU_DEP_2) | instskip(NEXT) | instid1(VALU_DEP_1)
	v_dual_add_f32 v24, v24, v39 :: v_dual_add_f32 v23, v23, v32
	v_dual_add_f32 v24, v24, v43 :: v_dual_add_f32 v23, v23, v29
	s_waitcnt lgkmcnt(4)
	v_mul_f32_e32 v29, v127, v124
	v_mul_f32_e32 v28, v115, v120
	s_delay_alu instid0(VALU_DEP_3)
	v_add_f32_e32 v24, v24, v31
	v_fma_f32 v31, v99, v103, -v36
	v_add_f32_e32 v23, v23, v37
	v_fmac_f32_e32 v29, v128, v123
	v_fmac_f32_e32 v28, v116, v119
	v_add_f32_e32 v24, v24, v34
	v_fma_f32 v36, v113, v109, -v41
	v_add_f32_e32 v23, v23, v31
	v_dual_mul_f32 v31, v129, v126 :: v_dual_fmac_f32 v38, v112, v107
	s_delay_alu instid0(VALU_DEP_4) | instskip(SKIP_1) | instid1(VALU_DEP_4)
	v_add_f32_e32 v24, v24, v33
	v_fma_f32 v33, v111, v107, -v40
	v_add_f32_e32 v23, v23, v35
	s_waitcnt lgkmcnt(2)
	v_dual_mul_f32 v35, v132, v136 :: v_dual_fmac_f32 v26, v114, v109
	v_dual_add_f32 v24, v24, v38 :: v_dual_fmac_f32 v31, v130, v125
	s_delay_alu instid0(VALU_DEP_1) | instskip(NEXT) | instid1(VALU_DEP_1)
	v_dual_add_f32 v23, v23, v33 :: v_dual_add_f32 v24, v24, v26
	v_add_f32_e32 v23, v23, v36
	s_delay_alu instid0(VALU_DEP_2) | instskip(NEXT) | instid1(VALU_DEP_2)
	v_add_f32_e32 v24, v24, v28
	v_dual_mul_f32 v28, v134, v138 :: v_dual_add_f32 v23, v23, v25
	s_delay_alu instid0(VALU_DEP_2) | instskip(NEXT) | instid1(VALU_DEP_2)
	v_dual_mul_f32 v25, v133, v138 :: v_dual_add_f32 v24, v24, v27
	v_fma_f32 v28, v133, v137, -v28
	s_delay_alu instid0(VALU_DEP_2) | instskip(SKIP_1) | instid1(VALU_DEP_3)
	v_dual_fmac_f32 v25, v134, v137 :: v_dual_mul_f32 v26, v131, v136
	s_waitcnt lgkmcnt(0)
	v_dual_add_f32 v24, v24, v29 :: v_dual_mul_f32 v29, v3, v140
	v_fma_f32 v30, v117, v121, -v30
	s_delay_alu instid0(VALU_DEP_3) | instskip(NEXT) | instid1(VALU_DEP_3)
	v_fmac_f32_e32 v26, v132, v135
	v_add_f32_e32 v24, v24, v31
	v_fma_f32 v31, v131, v135, -v35
	s_delay_alu instid0(VALU_DEP_4) | instskip(SKIP_1) | instid1(VALU_DEP_4)
	v_dual_add_f32 v23, v23, v30 :: v_dual_mul_f32 v32, v128, v124
	v_mul_f32_e32 v34, v130, v126
	v_add_f32_e32 v24, v24, v26
	v_mul_f32_e32 v26, v4, v142
	s_delay_alu instid0(VALU_DEP_4) | instskip(NEXT) | instid1(VALU_DEP_4)
	v_fma_f32 v27, v127, v123, -v32
	v_fma_f32 v30, v129, v125, -v34
	s_delay_alu instid0(VALU_DEP_2) | instskip(SKIP_2) | instid1(VALU_DEP_3)
	v_dual_fmac_f32 v26, v5, v141 :: v_dual_add_f32 v23, v23, v27
	v_mul_f32_e32 v27, v2, v140
	v_fma_f32 v2, v2, v139, -v29
	v_add_f32_e32 v23, v23, v30
	s_delay_alu instid0(VALU_DEP_3) | instskip(NEXT) | instid1(VALU_DEP_2)
	v_fmac_f32_e32 v27, v3, v139
	v_add_f32_e32 v3, v23, v31
	v_dual_add_f32 v23, v24, v25 :: v_dual_mul_f32 v24, v5, v142
	s_delay_alu instid0(VALU_DEP_2) | instskip(NEXT) | instid1(VALU_DEP_2)
	v_add_f32_e32 v3, v3, v28
	v_add_f32_e32 v5, v23, v27
	s_delay_alu instid0(VALU_DEP_3) | instskip(NEXT) | instid1(VALU_DEP_3)
	v_fma_f32 v4, v4, v141, -v24
	v_add_f32_e32 v2, v3, v2
	s_delay_alu instid0(VALU_DEP_1) | instskip(NEXT) | instid1(VALU_DEP_1)
	v_dual_add_f32 v3, v5, v26 :: v_dual_add_f32 v2, v2, v4
	v_mul_f32_e32 v4, s21, v3
	v_mul_f32_e32 v3, s20, v3
	s_delay_alu instid0(VALU_DEP_2) | instskip(SKIP_1) | instid1(VALU_DEP_1)
	v_fma_f32 v4, s20, v2, -v4
	s_waitcnt vmcnt(0)
	v_dual_fmac_f32 v3, s21, v2 :: v_dual_add_f32 v2, v143, v4
	s_delay_alu instid0(VALU_DEP_1)
	v_add_f32_e32 v3, v144, v3
	global_store_b64 v[0:1], v[2:3], off
.LBB1880_11:                            ;   in Loop: Header=BB1880_5 Depth=1
	s_or_b32 exec_lo, exec_lo, s15
	v_dual_mov_b32 v3, 0 :: v_dual_mov_b32 v4, 0
	v_mov_b32_e32 v5, 0
	s_waitcnt_vscnt null, 0x0
	s_barrier
	buffer_gl0_inv
	s_and_saveexec_b32 s15, s12
	s_cbranch_execz .LBB1880_13
; %bb.12:                               ;   in Loop: Header=BB1880_5 Depth=1
	v_add_co_u32 v4, vcc_lo, s10, v14
	v_add_co_ci_u32_e32 v5, vcc_lo, s11, v15, vcc_lo
	global_load_b64 v[4:5], v[4:5], off
.LBB1880_13:                            ;   in Loop: Header=BB1880_5 Depth=1
	s_or_b32 exec_lo, exec_lo, s15
	v_mov_b32_e32 v2, 0
	s_waitcnt vmcnt(0)
	ds_store_b64 v9, v[4:5]
	s_and_saveexec_b32 s12, s13
	s_cbranch_execz .LBB1880_15
; %bb.14:                               ;   in Loop: Header=BB1880_5 Depth=1
	v_add_co_u32 v2, vcc_lo, s8, v16
	v_add_co_ci_u32_e32 v3, vcc_lo, s9, v17, vcc_lo
	global_load_b64 v[2:3], v[2:3], off offset:-4
.LBB1880_15:                            ;   in Loop: Header=BB1880_5 Depth=1
	s_or_b32 exec_lo, exec_lo, s12
	s_waitcnt vmcnt(0)
	ds_store_b64 v11, v[2:3]
	s_waitcnt lgkmcnt(0)
	s_barrier
	buffer_gl0_inv
	s_and_saveexec_b32 s12, s14
	s_cbranch_execz .LBB1880_4
; %bb.16:                               ;   in Loop: Header=BB1880_5 Depth=1
	global_load_b64 v[147:148], v[0:1], off
	ds_load_b128 v[2:5], v8
	ds_load_b128 v[23:26], v8 offset:16
	ds_load_2addr_b64 v[27:30], v10 offset1:32
	ds_load_b128 v[31:34], v8 offset:32
	ds_load_b128 v[35:38], v8 offset:48
	ds_load_2addr_b64 v[39:42], v10 offset0:64 offset1:96
	ds_load_2addr_b64 v[43:46], v10 offset0:128 offset1:160
	;; [unrolled: 1-line block ×3, first 2 shown]
	ds_load_2addr_b64 v[51:54], v20 offset1:32
	ds_load_b128 v[55:58], v8 offset:64
	ds_load_b128 v[59:62], v8 offset:80
	ds_load_2addr_b64 v[63:66], v20 offset0:64 offset1:96
	ds_load_2addr_b64 v[67:70], v20 offset0:128 offset1:160
	ds_load_b128 v[71:74], v8 offset:96
	ds_load_b128 v[75:78], v8 offset:112
	ds_load_2addr_b64 v[79:82], v20 offset0:192 offset1:224
	ds_load_2addr_b64 v[83:86], v21 offset1:32
	ds_load_b128 v[87:90], v8 offset:128
	ds_load_b128 v[91:94], v8 offset:144
	ds_load_2addr_b64 v[95:98], v21 offset0:64 offset1:96
	ds_load_2addr_b64 v[99:102], v21 offset0:128 offset1:160
	ds_load_b128 v[103:106], v8 offset:160
	ds_load_b128 v[107:110], v8 offset:176
	ds_load_2addr_b64 v[111:114], v21 offset0:192 offset1:224
	;; [unrolled: 8-line block ×3, first 2 shown]
	s_waitcnt lgkmcnt(29)
	v_dual_mul_f32 v149, v28, v3 :: v_dual_mul_f32 v150, v30, v5
	s_waitcnt lgkmcnt(26)
	v_dual_mul_f32 v3, v27, v3 :: v_dual_mul_f32 v152, v42, v26
	v_mul_f32_e32 v5, v29, v5
	s_waitcnt lgkmcnt(25)
	v_dual_mul_f32 v153, v44, v32 :: v_dual_mul_f32 v154, v46, v34
	s_delay_alu instid0(VALU_DEP_3)
	v_dual_mul_f32 v32, v43, v32 :: v_dual_fmac_f32 v3, v28, v2
	v_fma_f32 v27, v27, v2, -v149
	v_dual_mul_f32 v151, v40, v24 :: v_dual_mul_f32 v26, v41, v26
	v_mul_f32_e32 v24, v39, v24
	s_waitcnt lgkmcnt(24)
	v_dual_mul_f32 v34, v45, v34 :: v_dual_mul_f32 v155, v48, v36
	v_dual_mul_f32 v36, v47, v36 :: v_dual_add_f32 v3, 0, v3
	s_waitcnt lgkmcnt(22)
	v_dual_mul_f32 v156, v50, v38 :: v_dual_mul_f32 v157, v52, v56
	v_dual_mul_f32 v56, v51, v56 :: v_dual_add_f32 v27, 0, v27
	s_waitcnt lgkmcnt(18)
	v_dual_mul_f32 v158, v54, v58 :: v_dual_mul_f32 v161, v68, v72
	v_dual_mul_f32 v58, v53, v58 :: v_dual_fmac_f32 v5, v30, v4
	v_fma_f32 v2, v29, v4, -v150
	v_dual_mul_f32 v38, v49, v38 :: v_dual_mul_f32 v159, v64, v60
	v_mul_f32_e32 v60, v63, v60
	s_waitcnt lgkmcnt(16)
	v_dual_mul_f32 v160, v66, v62 :: v_dual_mul_f32 v29, v79, v76
	v_dual_mul_f32 v62, v65, v62 :: v_dual_add_f32 v3, v3, v5
	s_waitcnt lgkmcnt(14)
	v_mul_f32_e32 v5, v85, v90
	v_fma_f32 v39, v39, v23, -v151
	v_dual_add_f32 v2, v27, v2 :: v_dual_fmac_f32 v29, v80, v75
	v_fma_f32 v27, v41, v25, -v152
	s_delay_alu instid0(VALU_DEP_4) | instskip(NEXT) | instid1(VALU_DEP_3)
	v_dual_fmac_f32 v56, v52, v55 :: v_dual_fmac_f32 v5, v86, v89
	v_add_f32_e32 v2, v2, v39
	v_fmac_f32_e32 v38, v50, v37
	v_fmac_f32_e32 v26, v42, v25
	v_fma_f32 v25, v43, v31, -v153
	v_fmac_f32_e32 v60, v64, v59
	v_add_f32_e32 v2, v2, v27
	v_fma_f32 v27, v45, v33, -v154
	v_fmac_f32_e32 v24, v40, v23
	v_fmac_f32_e32 v58, v54, v57
	;; [unrolled: 1-line block ×3, first 2 shown]
	v_add_f32_e32 v2, v2, v25
	v_fma_f32 v31, v47, v35, -v155
	s_waitcnt lgkmcnt(12)
	v_dual_mul_f32 v162, v70, v74 :: v_dual_mul_f32 v23, v96, v92
	v_dual_mul_f32 v72, v67, v72 :: v_dual_mul_f32 v25, v97, v94
	s_waitcnt lgkmcnt(10)
	v_dual_add_f32 v2, v2, v27 :: v_dual_mul_f32 v27, v100, v104
	s_delay_alu instid0(VALU_DEP_3) | instskip(NEXT) | instid1(VALU_DEP_3)
	v_fma_f32 v23, v95, v91, -v23
	v_dual_fmac_f32 v72, v68, v71 :: v_dual_fmac_f32 v25, v98, v93
	s_delay_alu instid0(VALU_DEP_3) | instskip(SKIP_2) | instid1(VALU_DEP_3)
	v_dual_add_f32 v2, v2, v31 :: v_dual_mul_f32 v31, v99, v104
	v_dual_mul_f32 v4, v69, v74 :: v_dual_add_f32 v3, v3, v24
	v_mul_f32_e32 v28, v80, v76
	v_dual_fmac_f32 v62, v66, v61 :: v_dual_fmac_f32 v31, v100, v103
	s_delay_alu instid0(VALU_DEP_3) | instskip(SKIP_3) | instid1(VALU_DEP_4)
	v_dual_fmac_f32 v34, v46, v33 :: v_dual_add_f32 v3, v3, v26
	v_mul_f32_e32 v30, v82, v78
	v_fmac_f32_e32 v4, v70, v73
	v_fmac_f32_e32 v36, v48, v35
	v_dual_mul_f32 v74, v81, v78 :: v_dual_add_f32 v3, v3, v32
	v_mul_f32_e32 v76, v84, v88
	v_mul_f32_e32 v78, v83, v88
	v_fma_f32 v32, v49, v37, -v156
	v_fma_f32 v33, v51, v55, -v157
	v_add_f32_e32 v3, v3, v34
	v_mul_f32_e32 v88, v86, v90
	v_fma_f32 v34, v53, v57, -v158
	v_add_f32_e32 v2, v2, v32
	v_fma_f32 v35, v63, v59, -v159
	v_add_f32_e32 v3, v3, v36
	v_fma_f32 v36, v65, v61, -v160
	v_fma_f32 v37, v67, v71, -v161
	v_dual_add_f32 v2, v2, v33 :: v_dual_mul_f32 v33, v101, v106
	s_delay_alu instid0(VALU_DEP_4) | instskip(SKIP_1) | instid1(VALU_DEP_3)
	v_dual_add_f32 v3, v3, v38 :: v_dual_fmac_f32 v74, v82, v77
	v_mul_f32_e32 v24, v95, v92
	v_add_f32_e32 v2, v2, v34
	s_delay_alu instid0(VALU_DEP_3)
	v_dual_mul_f32 v26, v98, v94 :: v_dual_add_f32 v3, v3, v56
	v_fmac_f32_e32 v33, v102, v105
	v_fma_f32 v38, v69, v73, -v162
	s_waitcnt lgkmcnt(8)
	v_dual_add_f32 v2, v2, v35 :: v_dual_mul_f32 v35, v111, v108
	v_add_f32_e32 v3, v3, v58
	v_fma_f32 v28, v79, v75, -v28
	v_fma_f32 v30, v81, v77, -v30
	s_delay_alu instid0(VALU_DEP_4) | instskip(SKIP_3) | instid1(VALU_DEP_4)
	v_add_f32_e32 v2, v2, v36
	v_dual_mul_f32 v36, v114, v110 :: v_dual_fmac_f32 v35, v112, v107
	v_add_f32_e32 v3, v3, v60
	v_fma_f32 v26, v97, v93, -v26
	v_dual_add_f32 v2, v2, v37 :: v_dual_mul_f32 v37, v113, v110
	s_delay_alu instid0(VALU_DEP_3) | instskip(NEXT) | instid1(VALU_DEP_2)
	v_dual_fmac_f32 v78, v84, v87 :: v_dual_add_f32 v3, v3, v62
	v_dual_fmac_f32 v24, v96, v91 :: v_dual_fmac_f32 v37, v114, v109
	s_delay_alu instid0(VALU_DEP_2) | instskip(NEXT) | instid1(VALU_DEP_1)
	v_add_f32_e32 v3, v3, v72
	v_add_f32_e32 v3, v3, v4
	s_waitcnt lgkmcnt(6)
	s_delay_alu instid0(VALU_DEP_1) | instskip(SKIP_1) | instid1(VALU_DEP_2)
	v_dual_mul_f32 v4, v116, v120 :: v_dual_add_f32 v3, v3, v29
	v_fma_f32 v29, v83, v87, -v76
	v_fma_f32 v4, v115, v119, -v4
	s_delay_alu instid0(VALU_DEP_3) | instskip(NEXT) | instid1(VALU_DEP_1)
	v_add_f32_e32 v3, v3, v74
	v_add_f32_e32 v3, v3, v78
	s_delay_alu instid0(VALU_DEP_1) | instskip(SKIP_2) | instid1(VALU_DEP_2)
	v_dual_mul_f32 v32, v102, v106 :: v_dual_add_f32 v3, v3, v5
	s_waitcnt lgkmcnt(4)
	v_mul_f32_e32 v5, v128, v124
	v_add_f32_e32 v3, v3, v24
	v_mul_f32_e32 v34, v112, v108
	v_fma_f32 v24, v99, v103, -v27
	s_delay_alu instid0(VALU_DEP_4) | instskip(NEXT) | instid1(VALU_DEP_4)
	v_fma_f32 v5, v127, v123, -v5
	v_add_f32_e32 v3, v3, v25
	s_delay_alu instid0(VALU_DEP_4) | instskip(SKIP_1) | instid1(VALU_DEP_3)
	v_fma_f32 v27, v111, v107, -v34
	v_mul_f32_e32 v25, v130, v126
	v_add_f32_e32 v3, v3, v31
	v_fma_f32 v31, v113, v109, -v36
	s_delay_alu instid0(VALU_DEP_3) | instskip(NEXT) | instid1(VALU_DEP_3)
	v_fma_f32 v25, v129, v125, -v25
	v_add_f32_e32 v3, v3, v33
	s_delay_alu instid0(VALU_DEP_1) | instskip(SKIP_1) | instid1(VALU_DEP_2)
	v_dual_add_f32 v3, v3, v35 :: v_dual_add_f32 v2, v2, v38
	v_fma_f32 v38, v85, v89, -v88
	v_dual_add_f32 v3, v3, v37 :: v_dual_add_f32 v2, v2, v28
	v_mul_f32_e32 v28, v115, v120
	s_delay_alu instid0(VALU_DEP_2) | instskip(NEXT) | instid1(VALU_DEP_1)
	v_add_f32_e32 v2, v2, v30
	v_dual_add_f32 v2, v2, v29 :: v_dual_mul_f32 v29, v117, v122
	s_delay_alu instid0(VALU_DEP_1) | instskip(NEXT) | instid1(VALU_DEP_2)
	v_add_f32_e32 v2, v2, v38
	v_fmac_f32_e32 v29, v118, v121
	s_delay_alu instid0(VALU_DEP_2) | instskip(NEXT) | instid1(VALU_DEP_1)
	v_dual_add_f32 v2, v2, v23 :: v_dual_mul_f32 v23, v127, v124
	v_add_f32_e32 v2, v2, v26
	v_fma_f32 v26, v101, v105, -v32
	s_delay_alu instid0(VALU_DEP_2) | instskip(NEXT) | instid1(VALU_DEP_1)
	v_dual_fmac_f32 v23, v128, v123 :: v_dual_add_f32 v2, v2, v24
	v_add_f32_e32 v2, v2, v26
	s_waitcnt lgkmcnt(2)
	v_mul_f32_e32 v26, v132, v136
	s_delay_alu instid0(VALU_DEP_2) | instskip(NEXT) | instid1(VALU_DEP_1)
	v_dual_add_f32 v2, v2, v27 :: v_dual_mul_f32 v27, v131, v136
	v_add_f32_e32 v2, v2, v31
	v_dual_mul_f32 v31, v134, v138 :: v_dual_fmac_f32 v28, v116, v119
	s_delay_alu instid0(VALU_DEP_2) | instskip(NEXT) | instid1(VALU_DEP_2)
	v_dual_fmac_f32 v27, v132, v135 :: v_dual_add_f32 v2, v2, v4
	v_dual_mul_f32 v4, v133, v138 :: v_dual_add_f32 v3, v3, v28
	s_waitcnt lgkmcnt(0)
	v_mul_f32_e32 v28, v144, v140
	s_delay_alu instid0(VALU_DEP_2) | instskip(NEXT) | instid1(VALU_DEP_3)
	v_fmac_f32_e32 v4, v134, v137
	v_dual_add_f32 v3, v3, v29 :: v_dual_mul_f32 v30, v118, v122
	s_delay_alu instid0(VALU_DEP_1) | instskip(NEXT) | instid1(VALU_DEP_2)
	v_add_f32_e32 v3, v3, v23
	v_fma_f32 v30, v117, v121, -v30
	v_fma_f32 v23, v131, v135, -v26
	;; [unrolled: 1-line block ×3, first 2 shown]
	s_delay_alu instid0(VALU_DEP_3) | instskip(NEXT) | instid1(VALU_DEP_1)
	v_add_f32_e32 v2, v2, v30
	v_dual_add_f32 v2, v2, v5 :: v_dual_mul_f32 v5, v143, v140
	v_mul_f32_e32 v24, v129, v126
	s_delay_alu instid0(VALU_DEP_2) | instskip(NEXT) | instid1(VALU_DEP_2)
	v_dual_add_f32 v2, v2, v25 :: v_dual_fmac_f32 v5, v144, v139
	v_fmac_f32_e32 v24, v130, v125
	v_fma_f32 v25, v133, v137, -v31
	s_delay_alu instid0(VALU_DEP_3) | instskip(NEXT) | instid1(VALU_DEP_3)
	v_dual_add_f32 v2, v2, v23 :: v_dual_mul_f32 v23, v145, v142
	v_dual_add_f32 v3, v3, v24 :: v_dual_mul_f32 v24, v146, v142
	s_delay_alu instid0(VALU_DEP_2) | instskip(NEXT) | instid1(VALU_DEP_3)
	v_add_f32_e32 v2, v2, v25
	v_fmac_f32_e32 v23, v146, v141
	s_delay_alu instid0(VALU_DEP_2) | instskip(NEXT) | instid1(VALU_DEP_1)
	v_dual_add_f32 v3, v3, v27 :: v_dual_add_f32 v2, v2, v26
	v_add_f32_e32 v3, v3, v4
	v_fma_f32 v4, v145, v141, -v24
	s_delay_alu instid0(VALU_DEP_1) | instskip(NEXT) | instid1(VALU_DEP_1)
	v_dual_add_f32 v3, v3, v5 :: v_dual_add_f32 v2, v2, v4
	v_add_f32_e32 v3, v3, v23
	s_delay_alu instid0(VALU_DEP_1) | instskip(NEXT) | instid1(VALU_DEP_1)
	v_dual_mul_f32 v5, s21, v2 :: v_dual_mul_f32 v4, s21, v3
	v_fmac_f32_e32 v5, s20, v3
	s_delay_alu instid0(VALU_DEP_2) | instskip(SKIP_1) | instid1(VALU_DEP_1)
	v_fma_f32 v2, s20, v2, -v4
	s_waitcnt vmcnt(0)
	v_dual_add_f32 v2, v147, v2 :: v_dual_add_f32 v3, v148, v5
	global_store_b64 v[0:1], v[2:3], off
	s_branch .LBB1880_4
.LBB1880_17:
	s_endpgm
	.section	.rodata,"a",@progbits
	.p2align	6, 0x0
	.amdhsa_kernel _ZL26rocblas_syr2k_her2k_kernelIlLb1ELb0ELb0ELi32E19rocblas_complex_numIfEPKPKS1_PKPS1_EvbiT_T4_T5_S9_lSB_S9_lT6_S9_li
		.amdhsa_group_segment_fixed_size 16384
		.amdhsa_private_segment_fixed_size 0
		.amdhsa_kernarg_size 100
		.amdhsa_user_sgpr_count 13
		.amdhsa_user_sgpr_dispatch_ptr 0
		.amdhsa_user_sgpr_queue_ptr 0
		.amdhsa_user_sgpr_kernarg_segment_ptr 1
		.amdhsa_user_sgpr_dispatch_id 0
		.amdhsa_user_sgpr_private_segment_size 0
		.amdhsa_wavefront_size32 1
		.amdhsa_uses_dynamic_stack 0
		.amdhsa_enable_private_segment 0
		.amdhsa_system_sgpr_workgroup_id_x 1
		.amdhsa_system_sgpr_workgroup_id_y 1
		.amdhsa_system_sgpr_workgroup_id_z 1
		.amdhsa_system_sgpr_workgroup_info 0
		.amdhsa_system_vgpr_workitem_id 1
		.amdhsa_next_free_vgpr 163
		.amdhsa_next_free_sgpr 32
		.amdhsa_reserve_vcc 1
		.amdhsa_float_round_mode_32 0
		.amdhsa_float_round_mode_16_64 0
		.amdhsa_float_denorm_mode_32 3
		.amdhsa_float_denorm_mode_16_64 3
		.amdhsa_dx10_clamp 1
		.amdhsa_ieee_mode 1
		.amdhsa_fp16_overflow 0
		.amdhsa_workgroup_processor_mode 1
		.amdhsa_memory_ordered 1
		.amdhsa_forward_progress 0
		.amdhsa_shared_vgpr_count 0
		.amdhsa_exception_fp_ieee_invalid_op 0
		.amdhsa_exception_fp_denorm_src 0
		.amdhsa_exception_fp_ieee_div_zero 0
		.amdhsa_exception_fp_ieee_overflow 0
		.amdhsa_exception_fp_ieee_underflow 0
		.amdhsa_exception_fp_ieee_inexact 0
		.amdhsa_exception_int_div_zero 0
	.end_amdhsa_kernel
	.section	.text._ZL26rocblas_syr2k_her2k_kernelIlLb1ELb0ELb0ELi32E19rocblas_complex_numIfEPKPKS1_PKPS1_EvbiT_T4_T5_S9_lSB_S9_lT6_S9_li,"axG",@progbits,_ZL26rocblas_syr2k_her2k_kernelIlLb1ELb0ELb0ELi32E19rocblas_complex_numIfEPKPKS1_PKPS1_EvbiT_T4_T5_S9_lSB_S9_lT6_S9_li,comdat
.Lfunc_end1880:
	.size	_ZL26rocblas_syr2k_her2k_kernelIlLb1ELb0ELb0ELi32E19rocblas_complex_numIfEPKPKS1_PKPS1_EvbiT_T4_T5_S9_lSB_S9_lT6_S9_li, .Lfunc_end1880-_ZL26rocblas_syr2k_her2k_kernelIlLb1ELb0ELb0ELi32E19rocblas_complex_numIfEPKPKS1_PKPS1_EvbiT_T4_T5_S9_lSB_S9_lT6_S9_li
                                        ; -- End function
	.section	.AMDGPU.csdata,"",@progbits
; Kernel info:
; codeLenInByte = 3900
; NumSgprs: 34
; NumVgprs: 163
; ScratchSize: 0
; MemoryBound: 0
; FloatMode: 240
; IeeeMode: 1
; LDSByteSize: 16384 bytes/workgroup (compile time only)
; SGPRBlocks: 4
; VGPRBlocks: 20
; NumSGPRsForWavesPerEU: 34
; NumVGPRsForWavesPerEU: 163
; Occupancy: 9
; WaveLimiterHint : 1
; COMPUTE_PGM_RSRC2:SCRATCH_EN: 0
; COMPUTE_PGM_RSRC2:USER_SGPR: 13
; COMPUTE_PGM_RSRC2:TRAP_HANDLER: 0
; COMPUTE_PGM_RSRC2:TGID_X_EN: 1
; COMPUTE_PGM_RSRC2:TGID_Y_EN: 1
; COMPUTE_PGM_RSRC2:TGID_Z_EN: 1
; COMPUTE_PGM_RSRC2:TIDIG_COMP_CNT: 1
	.section	.text._ZL26rocblas_syr2k_her2k_kernelIlLb1ELb0ELb1ELi32E19rocblas_complex_numIfEPKPKS1_PKPS1_EvbiT_T4_T5_S9_lSB_S9_lT6_S9_li,"axG",@progbits,_ZL26rocblas_syr2k_her2k_kernelIlLb1ELb0ELb1ELi32E19rocblas_complex_numIfEPKPKS1_PKPS1_EvbiT_T4_T5_S9_lSB_S9_lT6_S9_li,comdat
	.globl	_ZL26rocblas_syr2k_her2k_kernelIlLb1ELb0ELb1ELi32E19rocblas_complex_numIfEPKPKS1_PKPS1_EvbiT_T4_T5_S9_lSB_S9_lT6_S9_li ; -- Begin function _ZL26rocblas_syr2k_her2k_kernelIlLb1ELb0ELb1ELi32E19rocblas_complex_numIfEPKPKS1_PKPS1_EvbiT_T4_T5_S9_lSB_S9_lT6_S9_li
	.p2align	8
	.type	_ZL26rocblas_syr2k_her2k_kernelIlLb1ELb0ELb1ELi32E19rocblas_complex_numIfEPKPKS1_PKPS1_EvbiT_T4_T5_S9_lSB_S9_lT6_S9_li,@function
_ZL26rocblas_syr2k_her2k_kernelIlLb1ELb0ELb1ELi32E19rocblas_complex_numIfEPKPKS1_PKPS1_EvbiT_T4_T5_S9_lSB_S9_lT6_S9_li: ; @_ZL26rocblas_syr2k_her2k_kernelIlLb1ELb0ELb1ELi32E19rocblas_complex_numIfEPKPKS1_PKPS1_EvbiT_T4_T5_S9_lSB_S9_lT6_S9_li
; %bb.0:
	s_load_b64 s[20:21], s[0:1], 0x10
	s_waitcnt lgkmcnt(0)
	v_cmp_eq_f32_e64 s2, s20, 0
	v_cmp_eq_f32_e64 s3, s21, 0
	s_delay_alu instid0(VALU_DEP_1) | instskip(NEXT) | instid1(SALU_CYCLE_1)
	s_and_b32 s2, s2, s3
	s_and_b32 vcc_lo, exec_lo, s2
	s_cbranch_vccnz .LBB1881_17
; %bb.1:
	s_load_b64 s[2:3], s[0:1], 0x0
	s_lshl_b32 s26, s14, 5
	s_lshl_b32 s27, s13, 5
	s_waitcnt lgkmcnt(0)
	s_and_b32 s2, 1, s2
	s_delay_alu instid0(SALU_CYCLE_1) | instskip(SKIP_1) | instid1(SALU_CYCLE_1)
	s_cmp_eq_u32 s2, 1
	s_cselect_b32 s2, -1, 0
	s_and_b32 s4, s2, exec_lo
	s_cselect_b32 s4, s27, s26
	s_cselect_b32 s5, s26, s27
	s_delay_alu instid0(SALU_CYCLE_1)
	s_cmp_gt_i32 s4, s5
	s_cbranch_scc1 .LBB1881_17
; %bb.2:
	s_load_b64 s[22:23], s[0:1], 0x8
	s_waitcnt lgkmcnt(0)
	v_cmp_lt_i64_e64 s4, s[22:23], 1
	s_delay_alu instid0(VALU_DEP_1)
	s_and_b32 vcc_lo, exec_lo, s4
	s_cbranch_vccnz .LBB1881_17
; %bb.3:
	s_mov_b32 s24, s15
	s_load_b512 s[4:19], s[0:1], 0x18
	s_mov_b32 s25, 0
	v_bfe_u32 v6, v0, 10, 10
	s_lshl_b64 s[24:25], s[24:25], 3
	v_mov_b32_e32 v3, 0
	v_and_b32_e32 v7, 0x3ff, v0
	s_load_b64 s[0:1], s[0:1], 0x58
	v_add_nc_u32_e32 v4, s26, v6
	s_mov_b32 s28, s3
	s_delay_alu instid0(VALU_DEP_2) | instskip(SKIP_1) | instid1(VALU_DEP_3)
	v_dual_mov_b32 v5, v3 :: v_dual_add_nc_u32 v2, s27, v7
	v_lshlrev_b32_e32 v23, 3, v7
	v_ashrrev_i32_e32 v0, 31, v4
	s_delay_alu instid0(VALU_DEP_3)
	v_cndmask_b32_e64 v14, v2, v4, s2
	v_cndmask_b32_e64 v18, v4, v2, s2
	v_max_i32_e32 v17, v2, v4
	s_waitcnt lgkmcnt(0)
	s_add_u32 s4, s4, s24
	s_addc_u32 s5, s5, s25
	s_add_u32 s10, s10, s24
	s_addc_u32 s11, s11, s25
	;; [unrolled: 2-line block ×3, first 2 shown]
	v_mul_lo_u32 v15, v0, s18
	s_load_b64 s[16:17], s[16:17], 0x0
	v_mad_u64_u32 v[0:1], null, s12, v4, 0
	v_mul_lo_u32 v16, v4, s19
	v_mad_u64_u32 v[12:13], null, v4, s18, 0
	v_cmp_le_i32_e64 s2, v18, v14
	s_lshl_b64 s[0:1], s[0:1], 3
	v_cmp_gt_i32_e32 vcc_lo, s3, v17
	s_load_b64 s[4:5], s[4:5], 0x0
	s_load_b64 s[10:11], s[10:11], 0x0
	s_delay_alu instid0(VALU_DEP_3) | instskip(SKIP_2) | instid1(VALU_DEP_3)
	v_add3_u32 v13, v13, v16, v15
	v_mad_u64_u32 v[14:15], null, s13, v4, v[1:2]
	v_lshlrev_b32_e32 v22, 3, v6
	v_lshlrev_b64 v[12:13], 3, v[12:13]
	s_waitcnt lgkmcnt(0)
	s_add_u32 s16, s16, s0
	s_delay_alu instid0(VALU_DEP_3)
	v_mov_b32_e32 v1, v14
	v_mad_u64_u32 v[14:15], null, s12, v2, 0
	s_addc_u32 s17, s17, s1
	s_ashr_i32 s29, s3, 31
	v_lshlrev_b32_e32 v8, 8, v7
	v_cmp_gt_i64_e64 s0, s[28:29], v[2:3]
	v_ashrrev_i32_e32 v3, 31, v2
	v_cmp_gt_i64_e64 s1, s[28:29], v[4:5]
	v_add_co_u32 v5, s3, s16, v12
	s_delay_alu instid0(VALU_DEP_1) | instskip(NEXT) | instid1(VALU_DEP_4)
	v_add_co_ci_u32_e64 v18, s3, s17, v13, s3
	v_lshlrev_b64 v[12:13], 3, v[2:3]
	v_mov_b32_e32 v3, v15
	v_lshlrev_b64 v[0:1], 3, v[0:1]
	s_lshl_b64 s[14:15], s[14:15], 3
	v_or_b32_e32 v9, 0x2000, v22
	s_delay_alu instid0(VALU_DEP_3) | instskip(SKIP_1) | instid1(VALU_DEP_4)
	v_mad_u64_u32 v[15:16], null, s13, v2, v[3:4]
	v_mad_u64_u32 v[16:17], null, s6, v4, 0
	v_add_co_u32 v19, s3, v0, s14
	s_delay_alu instid0(VALU_DEP_1) | instskip(SKIP_1) | instid1(VALU_DEP_1)
	v_add_co_ci_u32_e64 v20, s3, s15, v1, s3
	v_add_co_u32 v0, s3, v5, v12
	v_add_co_ci_u32_e64 v1, s3, v18, v13, s3
	v_dual_mov_b32 v3, v17 :: v_dual_add_nc_u32 v10, v8, v22
	v_add_co_u32 v5, s3, v19, v23
	v_mad_u64_u32 v[18:19], null, s6, v2, 0
	v_add_co_ci_u32_e64 v12, s3, 0, v20, s3
	s_delay_alu instid0(VALU_DEP_4) | instskip(NEXT) | instid1(VALU_DEP_4)
	v_mad_u64_u32 v[20:21], null, s7, v4, v[3:4]
	v_add_co_u32 v5, s3, v5, s10
	s_delay_alu instid0(VALU_DEP_4) | instskip(NEXT) | instid1(VALU_DEP_4)
	v_mov_b32_e32 v3, v19
	v_add_co_ci_u32_e64 v13, s3, s11, v12, s3
	v_lshlrev_b64 v[14:15], 3, v[14:15]
	s_delay_alu instid0(VALU_DEP_4) | instskip(SKIP_4) | instid1(VALU_DEP_1)
	v_add_co_u32 v12, s3, v5, 4
	v_dual_mov_b32 v17, v20 :: v_dual_add_nc_u32 v20, 0x800, v9
	v_mad_u64_u32 v[4:5], null, s7, v2, v[3:4]
	v_add_co_ci_u32_e64 v13, s3, 0, v13, s3
	v_add_co_u32 v2, s3, v14, s14
	v_add_co_ci_u32_e64 v3, s3, s15, v15, s3
	s_delay_alu instid0(VALU_DEP_4) | instskip(NEXT) | instid1(VALU_DEP_3)
	v_mov_b32_e32 v19, v4
	v_add_co_u32 v5, s3, v2, v22
	s_delay_alu instid0(VALU_DEP_1) | instskip(SKIP_1) | instid1(VALU_DEP_3)
	v_add_co_ci_u32_e64 v15, s3, 0, v3, s3
	v_lshlrev_b64 v[2:3], 3, v[16:17]
	v_add_co_u32 v14, s3, s10, v5
	v_lshlrev_b64 v[4:5], 3, v[18:19]
	s_lshl_b64 s[6:7], s[8:9], 3
	v_add_co_ci_u32_e64 v15, s3, s11, v15, s3
	s_delay_alu instid0(VALU_DEP_4) | instskip(NEXT) | instid1(VALU_DEP_1)
	v_add_co_u32 v2, s3, v2, s6
	v_add_co_ci_u32_e64 v3, s3, s7, v3, s3
	s_delay_alu instid0(VALU_DEP_4) | instskip(NEXT) | instid1(VALU_DEP_1)
	v_add_co_u32 v4, s3, v4, s6
	;; [unrolled: 3-line block ×3, first 2 shown]
	v_add_co_ci_u32_e64 v3, s3, 0, v3, s3
	s_delay_alu instid0(VALU_DEP_4) | instskip(SKIP_3) | instid1(VALU_DEP_1)
	v_add_co_u32 v4, s3, v4, v22
	v_add_nc_u32_e32 v22, 0x1800, v9
	v_add_co_ci_u32_e64 v5, s3, 0, v5, s3
	v_add_co_u32 v2, s3, v2, s4
	v_add_co_ci_u32_e64 v3, s3, s5, v3, s3
	v_add_co_u32 v4, s3, v4, s4
	s_delay_alu instid0(VALU_DEP_1) | instskip(NEXT) | instid1(VALU_DEP_4)
	v_add_co_ci_u32_e64 v5, s3, s5, v5, s3
	v_add_co_u32 v16, s3, v2, 4
	s_delay_alu instid0(VALU_DEP_1) | instskip(NEXT) | instid1(VALU_DEP_4)
	v_add_co_ci_u32_e64 v17, s3, 0, v3, s3
	v_add_co_u32 v18, s3, v4, 4
	v_add_nc_u32_e32 v11, v9, v8
	v_add_co_ci_u32_e64 v19, s3, 0, v5, s3
	v_add_nc_u32_e32 v21, 0x1000, v9
	s_and_b32 s6, s2, vcc_lo
	s_mov_b64 s[2:3], 0
	s_mov_b64 s[4:5], 0
	s_branch .LBB1881_5
.LBB1881_4:                             ;   in Loop: Header=BB1881_5 Depth=1
	s_or_b32 exec_lo, exec_lo, s7
	s_add_u32 s4, s4, 32
	s_addc_u32 s5, s5, 0
	s_add_u32 s2, s2, 0x100
	v_cmp_lt_i64_e64 s7, s[4:5], s[22:23]
	s_addc_u32 s3, s3, 0
	s_waitcnt_vscnt null, 0x0
	s_barrier
	buffer_gl0_inv
	s_and_b32 vcc_lo, exec_lo, s7
	s_cbranch_vccz .LBB1881_17
.LBB1881_5:                             ; =>This Inner Loop Header: Depth=1
	v_add_co_u32 v2, s7, v6, s4
	s_delay_alu instid0(VALU_DEP_1) | instskip(NEXT) | instid1(VALU_DEP_1)
	v_add_co_ci_u32_e64 v3, null, 0, s5, s7
	v_cmp_gt_i64_e32 vcc_lo, s[22:23], v[2:3]
	v_dual_mov_b32 v2, 0 :: v_dual_mov_b32 v3, 0
	s_and_b32 s7, s0, vcc_lo
	s_delay_alu instid0(SALU_CYCLE_1)
	s_and_saveexec_b32 s8, s7
	s_cbranch_execz .LBB1881_7
; %bb.6:                                ;   in Loop: Header=BB1881_5 Depth=1
	v_add_co_u32 v2, vcc_lo, v18, s2
	v_add_co_ci_u32_e32 v3, vcc_lo, s3, v19, vcc_lo
	global_load_b64 v[2:3], v[2:3], off offset:-4
.LBB1881_7:                             ;   in Loop: Header=BB1881_5 Depth=1
	s_or_b32 exec_lo, exec_lo, s8
	v_add_co_u32 v4, s8, v7, s4
	s_delay_alu instid0(VALU_DEP_1)
	v_add_co_ci_u32_e64 v5, null, 0, s5, s8
	s_waitcnt vmcnt(0)
	ds_store_b64 v10, v[2:3]
	v_cmp_gt_i64_e32 vcc_lo, s[22:23], v[4:5]
	v_dual_mov_b32 v4, 0 :: v_dual_mov_b32 v5, 0
	s_and_b32 s8, s1, vcc_lo
	s_delay_alu instid0(SALU_CYCLE_1)
	s_and_saveexec_b32 s9, s8
	s_cbranch_execz .LBB1881_9
; %bb.8:                                ;   in Loop: Header=BB1881_5 Depth=1
	v_add_co_u32 v2, vcc_lo, v12, s2
	v_add_co_ci_u32_e32 v3, vcc_lo, s3, v13, vcc_lo
	global_load_b64 v[4:5], v[2:3], off offset:-4
.LBB1881_9:                             ;   in Loop: Header=BB1881_5 Depth=1
	s_or_b32 exec_lo, exec_lo, s9
	s_waitcnt vmcnt(0)
	ds_store_b64 v11, v[4:5]
	s_waitcnt lgkmcnt(0)
	s_barrier
	buffer_gl0_inv
	s_and_saveexec_b32 s9, s6
	s_cbranch_execz .LBB1881_11
; %bb.10:                               ;   in Loop: Header=BB1881_5 Depth=1
	global_load_b64 v[143:144], v[0:1], off
	ds_load_2addr_b64 v[2:5], v9 offset1:32
	ds_load_b128 v[23:26], v8
	ds_load_b128 v[27:30], v8 offset:16
	ds_load_b128 v[31:34], v8 offset:32
	;; [unrolled: 1-line block ×3, first 2 shown]
	ds_load_2addr_b64 v[39:42], v9 offset0:64 offset1:96
	ds_load_2addr_b64 v[43:46], v9 offset0:128 offset1:160
	;; [unrolled: 1-line block ×3, first 2 shown]
	ds_load_2addr_b64 v[51:54], v20 offset1:32
	ds_load_b128 v[55:58], v8 offset:64
	ds_load_b128 v[59:62], v8 offset:80
	ds_load_2addr_b64 v[63:66], v20 offset0:64 offset1:96
	ds_load_2addr_b64 v[67:70], v20 offset0:128 offset1:160
	ds_load_b128 v[71:74], v8 offset:96
	ds_load_b128 v[75:78], v8 offset:112
	ds_load_2addr_b64 v[79:82], v20 offset0:192 offset1:224
	ds_load_2addr_b64 v[83:86], v21 offset1:32
	ds_load_b128 v[87:90], v8 offset:128
	ds_load_b128 v[91:94], v8 offset:144
	ds_load_2addr_b64 v[95:98], v21 offset0:64 offset1:96
	ds_load_2addr_b64 v[99:102], v21 offset0:128 offset1:160
	ds_load_b128 v[103:106], v8 offset:160
	ds_load_b128 v[107:110], v8 offset:176
	ds_load_2addr_b64 v[111:114], v21 offset0:192 offset1:224
	ds_load_2addr_b64 v[115:118], v22 offset1:32
	ds_load_b128 v[119:122], v8 offset:192
	ds_load_b128 v[123:126], v8 offset:208
	ds_load_2addr_b64 v[127:130], v22 offset0:64 offset1:96
	ds_load_2addr_b64 v[131:134], v22 offset0:128 offset1:160
	s_waitcnt lgkmcnt(27)
	v_dual_mul_f32 v145, v3, v24 :: v_dual_mul_f32 v146, v5, v26
	v_mul_f32_e32 v24, v2, v24
	v_mul_f32_e32 v26, v4, v26
	s_waitcnt lgkmcnt(22)
	v_mul_f32_e32 v147, v44, v32
	v_fma_f32 v145, v2, v23, -v145
	v_mul_f32_e32 v32, v43, v32
	v_fmac_f32_e32 v24, v3, v23
	v_fma_f32 v23, v4, v25, -v146
	v_dual_fmac_f32 v26, v5, v25 :: v_dual_mul_f32 v25, v40, v28
	v_mul_f32_e32 v28, v39, v28
	v_mul_f32_e32 v146, v42, v30
	;; [unrolled: 1-line block ×3, first 2 shown]
	v_fma_f32 v43, v43, v31, -v147
	v_fma_f32 v25, v39, v27, -v25
	s_waitcnt lgkmcnt(21)
	v_dual_mul_f32 v39, v50, v38 :: v_dual_fmac_f32 v28, v40, v27
	v_fma_f32 v27, v41, v29, -v146
	s_waitcnt lgkmcnt(19)
	v_mul_f32_e32 v40, v52, v56
	v_dual_mul_f32 v41, v51, v56 :: v_dual_add_f32 v56, 0, v145
	v_mul_f32_e32 v148, v46, v34
	v_dual_fmac_f32 v30, v42, v29 :: v_dual_mul_f32 v29, v45, v34
	v_fmac_f32_e32 v32, v44, v31
	s_delay_alu instid0(VALU_DEP_4) | instskip(NEXT) | instid1(VALU_DEP_4)
	v_add_f32_e32 v23, v56, v23
	v_fma_f32 v31, v45, v33, -v148
	s_delay_alu instid0(VALU_DEP_4) | instskip(SKIP_1) | instid1(VALU_DEP_4)
	v_dual_mul_f32 v38, v49, v38 :: v_dual_fmac_f32 v29, v46, v33
	v_mul_f32_e32 v33, v53, v58
	v_dual_add_f32 v23, v23, v25 :: v_dual_mul_f32 v34, v48, v36
	v_mul_f32_e32 v36, v47, v36
	s_waitcnt lgkmcnt(13)
	v_mul_f32_e32 v25, v79, v76
	v_fmac_f32_e32 v33, v54, v57
	v_dual_add_f32 v23, v23, v27 :: v_dual_mul_f32 v42, v54, v58
	v_fma_f32 v34, v47, v35, -v34
	s_waitcnt lgkmcnt(11)
	v_dual_mul_f32 v27, v84, v88 :: v_dual_fmac_f32 v38, v50, v37
	s_delay_alu instid0(VALU_DEP_3) | instskip(SKIP_3) | instid1(VALU_DEP_3)
	v_dual_add_f32 v23, v23, v43 :: v_dual_add_f32 v24, 0, v24
	s_waitcnt lgkmcnt(9)
	v_dual_mul_f32 v43, v95, v92 :: v_dual_mul_f32 v58, v65, v62
	v_fmac_f32_e32 v41, v52, v55
	v_dual_add_f32 v23, v23, v31 :: v_dual_add_f32 v24, v24, v26
	v_mul_f32_e32 v26, v68, v72
	v_fma_f32 v27, v83, v87, -v27
	v_dual_mul_f32 v44, v64, v60 :: v_dual_mul_f32 v47, v98, v94
	s_delay_alu instid0(VALU_DEP_4) | instskip(NEXT) | instid1(VALU_DEP_4)
	v_add_f32_e32 v23, v23, v34
	v_fma_f32 v26, v67, v71, -v26
	v_fmac_f32_e32 v36, v48, v35
	v_fma_f32 v35, v49, v37, -v39
	v_mul_f32_e32 v56, v70, v74
	v_mul_f32_e32 v39, v85, v90
	v_dual_mul_f32 v45, v63, v60 :: v_dual_mul_f32 v46, v66, v62
	s_delay_alu instid0(VALU_DEP_4) | instskip(NEXT) | instid1(VALU_DEP_2)
	v_dual_add_f32 v23, v23, v35 :: v_dual_add_f32 v24, v24, v28
	v_dual_mul_f32 v28, v69, v74 :: v_dual_fmac_f32 v45, v64, v59
	s_delay_alu instid0(VALU_DEP_4)
	v_dual_fmac_f32 v39, v86, v89 :: v_dual_mul_f32 v60, v67, v72
	s_waitcnt lgkmcnt(7)
	v_mul_f32_e32 v35, v102, v106
	v_add_f32_e32 v24, v24, v30
	v_fmac_f32_e32 v58, v66, v61
	v_mul_f32_e32 v62, v80, v76
	v_fmac_f32_e32 v28, v70, v73
	v_fma_f32 v35, v101, v105, -v35
	v_add_f32_e32 v24, v24, v32
	v_dual_mul_f32 v72, v81, v78 :: v_dual_fmac_f32 v25, v80, v75
	ds_load_b128 v[135:138], v8 offset:224
	ds_load_b128 v[139:142], v8 offset:240
	v_mul_f32_e32 v32, v83, v88
	v_add_f32_e32 v24, v24, v29
	v_dual_mul_f32 v29, v96, v92 :: v_dual_fmac_f32 v72, v82, v77
	v_mul_f32_e32 v37, v86, v90
	s_delay_alu instid0(VALU_DEP_3) | instskip(NEXT) | instid1(VALU_DEP_3)
	v_dual_mul_f32 v31, v97, v94 :: v_dual_add_f32 v24, v24, v36
	v_fma_f32 v29, v95, v91, -v29
	v_fmac_f32_e32 v60, v68, v71
	v_dual_mul_f32 v34, v99, v104 :: v_dual_fmac_f32 v43, v96, v91
	s_delay_alu instid0(VALU_DEP_4) | instskip(SKIP_4) | instid1(VALU_DEP_4)
	v_add_f32_e32 v24, v24, v38
	v_fma_f32 v38, v51, v55, -v40
	v_fma_f32 v40, v53, v57, -v42
	v_fma_f32 v42, v69, v73, -v56
	v_fmac_f32_e32 v31, v98, v93
	v_dual_add_f32 v24, v24, v41 :: v_dual_add_f32 v23, v23, v38
	v_fma_f32 v38, v63, v59, -v44
	v_fma_f32 v41, v65, v61, -v46
	ds_load_2addr_b64 v[2:5], v22 offset0:192 offset1:224
	v_dual_add_f32 v24, v24, v33 :: v_dual_add_f32 v23, v23, v40
	s_waitcnt lgkmcnt(8)
	v_dual_mul_f32 v33, v101, v106 :: v_dual_mul_f32 v40, v112, v108
	v_fmac_f32_e32 v34, v100, v103
	s_delay_alu instid0(VALU_DEP_3) | instskip(SKIP_1) | instid1(VALU_DEP_4)
	v_dual_add_f32 v24, v24, v45 :: v_dual_add_f32 v23, v23, v38
	v_mul_f32_e32 v30, v82, v78
	v_dual_fmac_f32 v33, v102, v105 :: v_dual_mul_f32 v38, v111, v108
	s_delay_alu instid0(VALU_DEP_3) | instskip(NEXT) | instid1(VALU_DEP_3)
	v_dual_add_f32 v24, v24, v58 :: v_dual_add_f32 v23, v23, v41
	v_fma_f32 v30, v81, v77, -v30
	v_dual_mul_f32 v41, v114, v110 :: v_dual_fmac_f32 v32, v84, v87
	s_delay_alu instid0(VALU_DEP_3) | instskip(SKIP_1) | instid1(VALU_DEP_2)
	v_dual_add_f32 v24, v24, v60 :: v_dual_add_f32 v23, v23, v26
	v_mul_f32_e32 v26, v113, v110
	v_add_f32_e32 v24, v24, v28
	v_fma_f32 v28, v79, v75, -v62
	s_delay_alu instid0(VALU_DEP_2) | instskip(SKIP_2) | instid1(VALU_DEP_2)
	v_dual_add_f32 v23, v23, v42 :: v_dual_add_f32 v24, v24, v25
	s_waitcnt lgkmcnt(6)
	v_mul_f32_e32 v25, v116, v120
	v_add_f32_e32 v23, v23, v28
	v_mul_f32_e32 v36, v100, v104
	s_delay_alu instid0(VALU_DEP_3) | instskip(NEXT) | instid1(VALU_DEP_3)
	v_fma_f32 v25, v115, v119, -v25
	v_add_f32_e32 v23, v23, v30
	s_delay_alu instid0(VALU_DEP_1) | instskip(SKIP_1) | instid1(VALU_DEP_1)
	v_dual_mul_f32 v30, v118, v122 :: v_dual_add_f32 v23, v23, v27
	v_dual_mul_f32 v27, v117, v122 :: v_dual_add_f32 v24, v24, v72
	v_dual_fmac_f32 v27, v118, v121 :: v_dual_add_f32 v24, v24, v32
	v_fma_f32 v32, v85, v89, -v37
	v_fma_f32 v37, v97, v93, -v47
	s_delay_alu instid0(VALU_DEP_2) | instskip(NEXT) | instid1(VALU_DEP_1)
	v_dual_add_f32 v24, v24, v39 :: v_dual_add_f32 v23, v23, v32
	v_dual_add_f32 v24, v24, v43 :: v_dual_add_f32 v23, v23, v29
	s_waitcnt lgkmcnt(4)
	v_mul_f32_e32 v29, v127, v124
	v_mul_f32_e32 v28, v115, v120
	s_delay_alu instid0(VALU_DEP_3)
	v_add_f32_e32 v24, v24, v31
	v_fma_f32 v31, v99, v103, -v36
	v_add_f32_e32 v23, v23, v37
	v_fmac_f32_e32 v29, v128, v123
	v_fmac_f32_e32 v28, v116, v119
	v_add_f32_e32 v24, v24, v34
	v_fma_f32 v36, v113, v109, -v41
	v_add_f32_e32 v23, v23, v31
	v_dual_mul_f32 v31, v129, v126 :: v_dual_fmac_f32 v38, v112, v107
	s_delay_alu instid0(VALU_DEP_4) | instskip(SKIP_1) | instid1(VALU_DEP_4)
	v_add_f32_e32 v24, v24, v33
	v_fma_f32 v33, v111, v107, -v40
	v_add_f32_e32 v23, v23, v35
	s_waitcnt lgkmcnt(2)
	v_dual_mul_f32 v35, v132, v136 :: v_dual_fmac_f32 v26, v114, v109
	v_dual_add_f32 v24, v24, v38 :: v_dual_fmac_f32 v31, v130, v125
	s_delay_alu instid0(VALU_DEP_1) | instskip(NEXT) | instid1(VALU_DEP_1)
	v_dual_add_f32 v23, v23, v33 :: v_dual_add_f32 v24, v24, v26
	v_add_f32_e32 v23, v23, v36
	s_delay_alu instid0(VALU_DEP_2) | instskip(NEXT) | instid1(VALU_DEP_2)
	v_add_f32_e32 v24, v24, v28
	v_dual_mul_f32 v28, v134, v138 :: v_dual_add_f32 v23, v23, v25
	s_delay_alu instid0(VALU_DEP_2) | instskip(NEXT) | instid1(VALU_DEP_2)
	v_dual_mul_f32 v25, v133, v138 :: v_dual_add_f32 v24, v24, v27
	v_fma_f32 v28, v133, v137, -v28
	s_delay_alu instid0(VALU_DEP_2) | instskip(SKIP_1) | instid1(VALU_DEP_3)
	v_dual_fmac_f32 v25, v134, v137 :: v_dual_mul_f32 v26, v131, v136
	s_waitcnt lgkmcnt(0)
	v_dual_add_f32 v24, v24, v29 :: v_dual_mul_f32 v29, v3, v140
	v_fma_f32 v30, v117, v121, -v30
	s_delay_alu instid0(VALU_DEP_3) | instskip(NEXT) | instid1(VALU_DEP_3)
	v_fmac_f32_e32 v26, v132, v135
	v_add_f32_e32 v24, v24, v31
	v_fma_f32 v31, v131, v135, -v35
	s_delay_alu instid0(VALU_DEP_4) | instskip(SKIP_1) | instid1(VALU_DEP_4)
	v_dual_add_f32 v23, v23, v30 :: v_dual_mul_f32 v32, v128, v124
	v_mul_f32_e32 v34, v130, v126
	v_add_f32_e32 v24, v24, v26
	v_mul_f32_e32 v26, v4, v142
	s_delay_alu instid0(VALU_DEP_4) | instskip(NEXT) | instid1(VALU_DEP_4)
	v_fma_f32 v27, v127, v123, -v32
	v_fma_f32 v30, v129, v125, -v34
	s_delay_alu instid0(VALU_DEP_2) | instskip(SKIP_2) | instid1(VALU_DEP_3)
	v_dual_fmac_f32 v26, v5, v141 :: v_dual_add_f32 v23, v23, v27
	v_mul_f32_e32 v27, v2, v140
	v_fma_f32 v2, v2, v139, -v29
	v_add_f32_e32 v23, v23, v30
	s_delay_alu instid0(VALU_DEP_3) | instskip(NEXT) | instid1(VALU_DEP_2)
	v_fmac_f32_e32 v27, v3, v139
	v_add_f32_e32 v3, v23, v31
	v_dual_add_f32 v23, v24, v25 :: v_dual_mul_f32 v24, v5, v142
	s_delay_alu instid0(VALU_DEP_2) | instskip(NEXT) | instid1(VALU_DEP_2)
	v_add_f32_e32 v3, v3, v28
	v_add_f32_e32 v5, v23, v27
	s_delay_alu instid0(VALU_DEP_3) | instskip(NEXT) | instid1(VALU_DEP_3)
	v_fma_f32 v4, v4, v141, -v24
	v_add_f32_e32 v2, v3, v2
	s_delay_alu instid0(VALU_DEP_1) | instskip(NEXT) | instid1(VALU_DEP_1)
	v_dual_add_f32 v3, v5, v26 :: v_dual_add_f32 v2, v2, v4
	v_mul_f32_e32 v4, s21, v3
	v_mul_f32_e32 v3, s20, v3
	s_delay_alu instid0(VALU_DEP_2) | instskip(SKIP_1) | instid1(VALU_DEP_1)
	v_fma_f32 v4, s20, v2, -v4
	s_waitcnt vmcnt(0)
	v_dual_fmac_f32 v3, s21, v2 :: v_dual_add_f32 v2, v143, v4
	s_delay_alu instid0(VALU_DEP_1)
	v_add_f32_e32 v3, v144, v3
	global_store_b64 v[0:1], v[2:3], off
.LBB1881_11:                            ;   in Loop: Header=BB1881_5 Depth=1
	s_or_b32 exec_lo, exec_lo, s9
	v_dual_mov_b32 v3, 0 :: v_dual_mov_b32 v4, 0
	v_mov_b32_e32 v5, 0
	s_waitcnt_vscnt null, 0x0
	s_barrier
	buffer_gl0_inv
	s_and_saveexec_b32 s9, s7
	s_cbranch_execz .LBB1881_13
; %bb.12:                               ;   in Loop: Header=BB1881_5 Depth=1
	v_add_co_u32 v4, vcc_lo, v14, s2
	v_add_co_ci_u32_e32 v5, vcc_lo, s3, v15, vcc_lo
	global_load_b64 v[4:5], v[4:5], off
.LBB1881_13:                            ;   in Loop: Header=BB1881_5 Depth=1
	s_or_b32 exec_lo, exec_lo, s9
	v_mov_b32_e32 v2, 0
	s_waitcnt vmcnt(0)
	ds_store_b64 v10, v[4:5]
	s_and_saveexec_b32 s7, s8
	s_cbranch_execz .LBB1881_15
; %bb.14:                               ;   in Loop: Header=BB1881_5 Depth=1
	v_add_co_u32 v2, vcc_lo, v16, s2
	v_add_co_ci_u32_e32 v3, vcc_lo, s3, v17, vcc_lo
	global_load_b64 v[2:3], v[2:3], off offset:-4
.LBB1881_15:                            ;   in Loop: Header=BB1881_5 Depth=1
	s_or_b32 exec_lo, exec_lo, s7
	s_waitcnt vmcnt(0)
	ds_store_b64 v11, v[2:3]
	s_waitcnt lgkmcnt(0)
	s_barrier
	buffer_gl0_inv
	s_and_saveexec_b32 s7, s6
	s_cbranch_execz .LBB1881_4
; %bb.16:                               ;   in Loop: Header=BB1881_5 Depth=1
	global_load_b64 v[147:148], v[0:1], off
	ds_load_b128 v[2:5], v8
	ds_load_b128 v[23:26], v8 offset:16
	ds_load_2addr_b64 v[27:30], v9 offset1:32
	ds_load_b128 v[31:34], v8 offset:32
	ds_load_b128 v[35:38], v8 offset:48
	ds_load_2addr_b64 v[39:42], v9 offset0:64 offset1:96
	ds_load_2addr_b64 v[43:46], v9 offset0:128 offset1:160
	;; [unrolled: 1-line block ×3, first 2 shown]
	ds_load_2addr_b64 v[51:54], v20 offset1:32
	ds_load_b128 v[55:58], v8 offset:64
	ds_load_b128 v[59:62], v8 offset:80
	ds_load_2addr_b64 v[63:66], v20 offset0:64 offset1:96
	ds_load_2addr_b64 v[67:70], v20 offset0:128 offset1:160
	ds_load_b128 v[71:74], v8 offset:96
	ds_load_b128 v[75:78], v8 offset:112
	ds_load_2addr_b64 v[79:82], v20 offset0:192 offset1:224
	ds_load_2addr_b64 v[83:86], v21 offset1:32
	ds_load_b128 v[87:90], v8 offset:128
	ds_load_b128 v[91:94], v8 offset:144
	ds_load_2addr_b64 v[95:98], v21 offset0:64 offset1:96
	ds_load_2addr_b64 v[99:102], v21 offset0:128 offset1:160
	ds_load_b128 v[103:106], v8 offset:160
	ds_load_b128 v[107:110], v8 offset:176
	ds_load_2addr_b64 v[111:114], v21 offset0:192 offset1:224
	;; [unrolled: 8-line block ×3, first 2 shown]
	s_waitcnt lgkmcnt(29)
	v_dual_mul_f32 v149, v28, v3 :: v_dual_mul_f32 v150, v30, v5
	s_waitcnt lgkmcnt(26)
	v_dual_mul_f32 v3, v27, v3 :: v_dual_mul_f32 v152, v42, v26
	v_mul_f32_e32 v5, v29, v5
	s_waitcnt lgkmcnt(25)
	v_dual_mul_f32 v153, v44, v32 :: v_dual_mul_f32 v154, v46, v34
	s_delay_alu instid0(VALU_DEP_3)
	v_dual_mul_f32 v32, v43, v32 :: v_dual_fmac_f32 v3, v28, v2
	v_fma_f32 v27, v27, v2, -v149
	v_dual_mul_f32 v151, v40, v24 :: v_dual_mul_f32 v26, v41, v26
	v_mul_f32_e32 v24, v39, v24
	s_waitcnt lgkmcnt(24)
	v_dual_mul_f32 v34, v45, v34 :: v_dual_mul_f32 v155, v48, v36
	v_dual_mul_f32 v36, v47, v36 :: v_dual_add_f32 v3, 0, v3
	s_waitcnt lgkmcnt(22)
	v_dual_mul_f32 v156, v50, v38 :: v_dual_mul_f32 v157, v52, v56
	v_dual_mul_f32 v56, v51, v56 :: v_dual_add_f32 v27, 0, v27
	s_waitcnt lgkmcnt(18)
	v_dual_mul_f32 v158, v54, v58 :: v_dual_mul_f32 v161, v68, v72
	v_dual_mul_f32 v58, v53, v58 :: v_dual_fmac_f32 v5, v30, v4
	v_fma_f32 v2, v29, v4, -v150
	v_dual_mul_f32 v38, v49, v38 :: v_dual_mul_f32 v159, v64, v60
	v_mul_f32_e32 v60, v63, v60
	s_waitcnt lgkmcnt(16)
	v_dual_mul_f32 v160, v66, v62 :: v_dual_mul_f32 v29, v79, v76
	v_dual_mul_f32 v62, v65, v62 :: v_dual_add_f32 v3, v3, v5
	s_waitcnt lgkmcnt(14)
	v_mul_f32_e32 v5, v85, v90
	v_fma_f32 v39, v39, v23, -v151
	v_dual_add_f32 v2, v27, v2 :: v_dual_fmac_f32 v29, v80, v75
	v_fma_f32 v27, v41, v25, -v152
	s_delay_alu instid0(VALU_DEP_4) | instskip(NEXT) | instid1(VALU_DEP_3)
	v_dual_fmac_f32 v56, v52, v55 :: v_dual_fmac_f32 v5, v86, v89
	v_add_f32_e32 v2, v2, v39
	v_fmac_f32_e32 v38, v50, v37
	v_fmac_f32_e32 v26, v42, v25
	v_fma_f32 v25, v43, v31, -v153
	v_fmac_f32_e32 v60, v64, v59
	v_add_f32_e32 v2, v2, v27
	v_fma_f32 v27, v45, v33, -v154
	v_fmac_f32_e32 v24, v40, v23
	v_fmac_f32_e32 v58, v54, v57
	;; [unrolled: 1-line block ×3, first 2 shown]
	v_add_f32_e32 v2, v2, v25
	v_fma_f32 v31, v47, v35, -v155
	s_waitcnt lgkmcnt(12)
	v_dual_mul_f32 v162, v70, v74 :: v_dual_mul_f32 v23, v96, v92
	v_dual_mul_f32 v72, v67, v72 :: v_dual_mul_f32 v25, v97, v94
	s_waitcnt lgkmcnt(10)
	v_dual_add_f32 v2, v2, v27 :: v_dual_mul_f32 v27, v100, v104
	s_delay_alu instid0(VALU_DEP_3) | instskip(NEXT) | instid1(VALU_DEP_3)
	v_fma_f32 v23, v95, v91, -v23
	v_dual_fmac_f32 v72, v68, v71 :: v_dual_fmac_f32 v25, v98, v93
	s_delay_alu instid0(VALU_DEP_3) | instskip(SKIP_2) | instid1(VALU_DEP_3)
	v_dual_add_f32 v2, v2, v31 :: v_dual_mul_f32 v31, v99, v104
	v_dual_mul_f32 v4, v69, v74 :: v_dual_add_f32 v3, v3, v24
	v_mul_f32_e32 v28, v80, v76
	v_dual_fmac_f32 v62, v66, v61 :: v_dual_fmac_f32 v31, v100, v103
	s_delay_alu instid0(VALU_DEP_3) | instskip(SKIP_3) | instid1(VALU_DEP_4)
	v_dual_fmac_f32 v34, v46, v33 :: v_dual_add_f32 v3, v3, v26
	v_mul_f32_e32 v30, v82, v78
	v_fmac_f32_e32 v4, v70, v73
	v_fmac_f32_e32 v36, v48, v35
	v_dual_mul_f32 v74, v81, v78 :: v_dual_add_f32 v3, v3, v32
	v_mul_f32_e32 v76, v84, v88
	v_mul_f32_e32 v78, v83, v88
	v_fma_f32 v32, v49, v37, -v156
	v_fma_f32 v33, v51, v55, -v157
	v_add_f32_e32 v3, v3, v34
	v_mul_f32_e32 v88, v86, v90
	v_fma_f32 v34, v53, v57, -v158
	v_add_f32_e32 v2, v2, v32
	v_fma_f32 v35, v63, v59, -v159
	v_add_f32_e32 v3, v3, v36
	v_fma_f32 v36, v65, v61, -v160
	v_fma_f32 v37, v67, v71, -v161
	v_dual_add_f32 v2, v2, v33 :: v_dual_mul_f32 v33, v101, v106
	s_delay_alu instid0(VALU_DEP_4) | instskip(SKIP_1) | instid1(VALU_DEP_3)
	v_dual_add_f32 v3, v3, v38 :: v_dual_fmac_f32 v74, v82, v77
	v_mul_f32_e32 v24, v95, v92
	v_add_f32_e32 v2, v2, v34
	s_delay_alu instid0(VALU_DEP_3)
	v_dual_mul_f32 v26, v98, v94 :: v_dual_add_f32 v3, v3, v56
	v_fmac_f32_e32 v33, v102, v105
	v_fma_f32 v38, v69, v73, -v162
	s_waitcnt lgkmcnt(8)
	v_dual_add_f32 v2, v2, v35 :: v_dual_mul_f32 v35, v111, v108
	v_add_f32_e32 v3, v3, v58
	v_fma_f32 v28, v79, v75, -v28
	v_fma_f32 v30, v81, v77, -v30
	s_delay_alu instid0(VALU_DEP_4) | instskip(SKIP_3) | instid1(VALU_DEP_4)
	v_add_f32_e32 v2, v2, v36
	v_dual_mul_f32 v36, v114, v110 :: v_dual_fmac_f32 v35, v112, v107
	v_add_f32_e32 v3, v3, v60
	v_fma_f32 v26, v97, v93, -v26
	v_dual_add_f32 v2, v2, v37 :: v_dual_mul_f32 v37, v113, v110
	s_delay_alu instid0(VALU_DEP_3) | instskip(NEXT) | instid1(VALU_DEP_2)
	v_dual_fmac_f32 v78, v84, v87 :: v_dual_add_f32 v3, v3, v62
	v_dual_fmac_f32 v24, v96, v91 :: v_dual_fmac_f32 v37, v114, v109
	s_delay_alu instid0(VALU_DEP_2) | instskip(NEXT) | instid1(VALU_DEP_1)
	v_add_f32_e32 v3, v3, v72
	v_add_f32_e32 v3, v3, v4
	s_waitcnt lgkmcnt(6)
	s_delay_alu instid0(VALU_DEP_1) | instskip(SKIP_1) | instid1(VALU_DEP_2)
	v_dual_mul_f32 v4, v116, v120 :: v_dual_add_f32 v3, v3, v29
	v_fma_f32 v29, v83, v87, -v76
	v_fma_f32 v4, v115, v119, -v4
	s_delay_alu instid0(VALU_DEP_3) | instskip(NEXT) | instid1(VALU_DEP_1)
	v_add_f32_e32 v3, v3, v74
	v_add_f32_e32 v3, v3, v78
	s_delay_alu instid0(VALU_DEP_1) | instskip(SKIP_2) | instid1(VALU_DEP_2)
	v_dual_mul_f32 v32, v102, v106 :: v_dual_add_f32 v3, v3, v5
	s_waitcnt lgkmcnt(4)
	v_mul_f32_e32 v5, v128, v124
	v_add_f32_e32 v3, v3, v24
	v_mul_f32_e32 v34, v112, v108
	v_fma_f32 v24, v99, v103, -v27
	s_delay_alu instid0(VALU_DEP_4) | instskip(NEXT) | instid1(VALU_DEP_4)
	v_fma_f32 v5, v127, v123, -v5
	v_add_f32_e32 v3, v3, v25
	s_delay_alu instid0(VALU_DEP_4) | instskip(SKIP_1) | instid1(VALU_DEP_3)
	v_fma_f32 v27, v111, v107, -v34
	v_mul_f32_e32 v25, v130, v126
	v_add_f32_e32 v3, v3, v31
	v_fma_f32 v31, v113, v109, -v36
	s_delay_alu instid0(VALU_DEP_3) | instskip(NEXT) | instid1(VALU_DEP_3)
	v_fma_f32 v25, v129, v125, -v25
	v_add_f32_e32 v3, v3, v33
	s_delay_alu instid0(VALU_DEP_1) | instskip(SKIP_1) | instid1(VALU_DEP_2)
	v_dual_add_f32 v3, v3, v35 :: v_dual_add_f32 v2, v2, v38
	v_fma_f32 v38, v85, v89, -v88
	v_dual_add_f32 v3, v3, v37 :: v_dual_add_f32 v2, v2, v28
	v_mul_f32_e32 v28, v115, v120
	s_delay_alu instid0(VALU_DEP_2) | instskip(NEXT) | instid1(VALU_DEP_1)
	v_add_f32_e32 v2, v2, v30
	v_dual_add_f32 v2, v2, v29 :: v_dual_mul_f32 v29, v117, v122
	s_delay_alu instid0(VALU_DEP_1) | instskip(NEXT) | instid1(VALU_DEP_2)
	v_add_f32_e32 v2, v2, v38
	v_fmac_f32_e32 v29, v118, v121
	s_delay_alu instid0(VALU_DEP_2) | instskip(NEXT) | instid1(VALU_DEP_1)
	v_dual_add_f32 v2, v2, v23 :: v_dual_mul_f32 v23, v127, v124
	v_add_f32_e32 v2, v2, v26
	v_fma_f32 v26, v101, v105, -v32
	s_delay_alu instid0(VALU_DEP_2) | instskip(NEXT) | instid1(VALU_DEP_1)
	v_dual_fmac_f32 v23, v128, v123 :: v_dual_add_f32 v2, v2, v24
	v_add_f32_e32 v2, v2, v26
	s_waitcnt lgkmcnt(2)
	v_mul_f32_e32 v26, v132, v136
	s_delay_alu instid0(VALU_DEP_2) | instskip(NEXT) | instid1(VALU_DEP_1)
	v_dual_add_f32 v2, v2, v27 :: v_dual_mul_f32 v27, v131, v136
	v_add_f32_e32 v2, v2, v31
	v_dual_mul_f32 v31, v134, v138 :: v_dual_fmac_f32 v28, v116, v119
	s_delay_alu instid0(VALU_DEP_2) | instskip(NEXT) | instid1(VALU_DEP_2)
	v_dual_fmac_f32 v27, v132, v135 :: v_dual_add_f32 v2, v2, v4
	v_dual_mul_f32 v4, v133, v138 :: v_dual_add_f32 v3, v3, v28
	s_waitcnt lgkmcnt(0)
	v_mul_f32_e32 v28, v144, v140
	s_delay_alu instid0(VALU_DEP_2) | instskip(NEXT) | instid1(VALU_DEP_3)
	v_fmac_f32_e32 v4, v134, v137
	v_dual_add_f32 v3, v3, v29 :: v_dual_mul_f32 v30, v118, v122
	s_delay_alu instid0(VALU_DEP_1) | instskip(NEXT) | instid1(VALU_DEP_2)
	v_add_f32_e32 v3, v3, v23
	v_fma_f32 v30, v117, v121, -v30
	v_fma_f32 v23, v131, v135, -v26
	;; [unrolled: 1-line block ×3, first 2 shown]
	s_delay_alu instid0(VALU_DEP_3) | instskip(NEXT) | instid1(VALU_DEP_1)
	v_add_f32_e32 v2, v2, v30
	v_dual_add_f32 v2, v2, v5 :: v_dual_mul_f32 v5, v143, v140
	v_mul_f32_e32 v24, v129, v126
	s_delay_alu instid0(VALU_DEP_2) | instskip(NEXT) | instid1(VALU_DEP_2)
	v_dual_add_f32 v2, v2, v25 :: v_dual_fmac_f32 v5, v144, v139
	v_fmac_f32_e32 v24, v130, v125
	v_fma_f32 v25, v133, v137, -v31
	s_delay_alu instid0(VALU_DEP_3) | instskip(NEXT) | instid1(VALU_DEP_3)
	v_dual_add_f32 v2, v2, v23 :: v_dual_mul_f32 v23, v145, v142
	v_dual_add_f32 v3, v3, v24 :: v_dual_mul_f32 v24, v146, v142
	s_delay_alu instid0(VALU_DEP_2) | instskip(NEXT) | instid1(VALU_DEP_3)
	v_add_f32_e32 v2, v2, v25
	v_fmac_f32_e32 v23, v146, v141
	s_delay_alu instid0(VALU_DEP_2) | instskip(NEXT) | instid1(VALU_DEP_1)
	v_dual_add_f32 v3, v3, v27 :: v_dual_add_f32 v2, v2, v26
	v_add_f32_e32 v3, v3, v4
	v_fma_f32 v4, v145, v141, -v24
	s_delay_alu instid0(VALU_DEP_1) | instskip(NEXT) | instid1(VALU_DEP_1)
	v_dual_add_f32 v3, v3, v5 :: v_dual_add_f32 v2, v2, v4
	v_add_f32_e32 v3, v3, v23
	s_delay_alu instid0(VALU_DEP_1) | instskip(NEXT) | instid1(VALU_DEP_1)
	v_dual_mul_f32 v5, s21, v2 :: v_dual_mul_f32 v4, s21, v3
	v_fmac_f32_e32 v5, s20, v3
	s_delay_alu instid0(VALU_DEP_2) | instskip(SKIP_1) | instid1(VALU_DEP_1)
	v_fma_f32 v2, s20, v2, -v4
	s_waitcnt vmcnt(0)
	v_dual_add_f32 v2, v147, v2 :: v_dual_add_f32 v3, v148, v5
	global_store_b64 v[0:1], v[2:3], off
	s_branch .LBB1881_4
.LBB1881_17:
	s_endpgm
	.section	.rodata,"a",@progbits
	.p2align	6, 0x0
	.amdhsa_kernel _ZL26rocblas_syr2k_her2k_kernelIlLb1ELb0ELb1ELi32E19rocblas_complex_numIfEPKPKS1_PKPS1_EvbiT_T4_T5_S9_lSB_S9_lT6_S9_li
		.amdhsa_group_segment_fixed_size 16384
		.amdhsa_private_segment_fixed_size 0
		.amdhsa_kernarg_size 100
		.amdhsa_user_sgpr_count 13
		.amdhsa_user_sgpr_dispatch_ptr 0
		.amdhsa_user_sgpr_queue_ptr 0
		.amdhsa_user_sgpr_kernarg_segment_ptr 1
		.amdhsa_user_sgpr_dispatch_id 0
		.amdhsa_user_sgpr_private_segment_size 0
		.amdhsa_wavefront_size32 1
		.amdhsa_uses_dynamic_stack 0
		.amdhsa_enable_private_segment 0
		.amdhsa_system_sgpr_workgroup_id_x 1
		.amdhsa_system_sgpr_workgroup_id_y 1
		.amdhsa_system_sgpr_workgroup_id_z 1
		.amdhsa_system_sgpr_workgroup_info 0
		.amdhsa_system_vgpr_workitem_id 1
		.amdhsa_next_free_vgpr 163
		.amdhsa_next_free_sgpr 30
		.amdhsa_reserve_vcc 1
		.amdhsa_float_round_mode_32 0
		.amdhsa_float_round_mode_16_64 0
		.amdhsa_float_denorm_mode_32 3
		.amdhsa_float_denorm_mode_16_64 3
		.amdhsa_dx10_clamp 1
		.amdhsa_ieee_mode 1
		.amdhsa_fp16_overflow 0
		.amdhsa_workgroup_processor_mode 1
		.amdhsa_memory_ordered 1
		.amdhsa_forward_progress 0
		.amdhsa_shared_vgpr_count 0
		.amdhsa_exception_fp_ieee_invalid_op 0
		.amdhsa_exception_fp_denorm_src 0
		.amdhsa_exception_fp_ieee_div_zero 0
		.amdhsa_exception_fp_ieee_overflow 0
		.amdhsa_exception_fp_ieee_underflow 0
		.amdhsa_exception_fp_ieee_inexact 0
		.amdhsa_exception_int_div_zero 0
	.end_amdhsa_kernel
	.section	.text._ZL26rocblas_syr2k_her2k_kernelIlLb1ELb0ELb1ELi32E19rocblas_complex_numIfEPKPKS1_PKPS1_EvbiT_T4_T5_S9_lSB_S9_lT6_S9_li,"axG",@progbits,_ZL26rocblas_syr2k_her2k_kernelIlLb1ELb0ELb1ELi32E19rocblas_complex_numIfEPKPKS1_PKPS1_EvbiT_T4_T5_S9_lSB_S9_lT6_S9_li,comdat
.Lfunc_end1881:
	.size	_ZL26rocblas_syr2k_her2k_kernelIlLb1ELb0ELb1ELi32E19rocblas_complex_numIfEPKPKS1_PKPS1_EvbiT_T4_T5_S9_lSB_S9_lT6_S9_li, .Lfunc_end1881-_ZL26rocblas_syr2k_her2k_kernelIlLb1ELb0ELb1ELi32E19rocblas_complex_numIfEPKPKS1_PKPS1_EvbiT_T4_T5_S9_lSB_S9_lT6_S9_li
                                        ; -- End function
	.section	.AMDGPU.csdata,"",@progbits
; Kernel info:
; codeLenInByte = 4088
; NumSgprs: 32
; NumVgprs: 163
; ScratchSize: 0
; MemoryBound: 0
; FloatMode: 240
; IeeeMode: 1
; LDSByteSize: 16384 bytes/workgroup (compile time only)
; SGPRBlocks: 3
; VGPRBlocks: 20
; NumSGPRsForWavesPerEU: 32
; NumVGPRsForWavesPerEU: 163
; Occupancy: 9
; WaveLimiterHint : 1
; COMPUTE_PGM_RSRC2:SCRATCH_EN: 0
; COMPUTE_PGM_RSRC2:USER_SGPR: 13
; COMPUTE_PGM_RSRC2:TRAP_HANDLER: 0
; COMPUTE_PGM_RSRC2:TGID_X_EN: 1
; COMPUTE_PGM_RSRC2:TGID_Y_EN: 1
; COMPUTE_PGM_RSRC2:TGID_Z_EN: 1
; COMPUTE_PGM_RSRC2:TIDIG_COMP_CNT: 1
	.section	.text._ZL26rocblas_syr2k_her2k_kernelIlLb1ELb0ELb0ELi32EPK19rocblas_complex_numIfEPKS3_PKPS1_EvbiT_T4_T5_S9_lSB_S9_lT6_S9_li,"axG",@progbits,_ZL26rocblas_syr2k_her2k_kernelIlLb1ELb0ELb0ELi32EPK19rocblas_complex_numIfEPKS3_PKPS1_EvbiT_T4_T5_S9_lSB_S9_lT6_S9_li,comdat
	.globl	_ZL26rocblas_syr2k_her2k_kernelIlLb1ELb0ELb0ELi32EPK19rocblas_complex_numIfEPKS3_PKPS1_EvbiT_T4_T5_S9_lSB_S9_lT6_S9_li ; -- Begin function _ZL26rocblas_syr2k_her2k_kernelIlLb1ELb0ELb0ELi32EPK19rocblas_complex_numIfEPKS3_PKPS1_EvbiT_T4_T5_S9_lSB_S9_lT6_S9_li
	.p2align	8
	.type	_ZL26rocblas_syr2k_her2k_kernelIlLb1ELb0ELb0ELi32EPK19rocblas_complex_numIfEPKS3_PKPS1_EvbiT_T4_T5_S9_lSB_S9_lT6_S9_li,@function
_ZL26rocblas_syr2k_her2k_kernelIlLb1ELb0ELb0ELi32EPK19rocblas_complex_numIfEPKS3_PKPS1_EvbiT_T4_T5_S9_lSB_S9_lT6_S9_li: ; @_ZL26rocblas_syr2k_her2k_kernelIlLb1ELb0ELb0ELi32EPK19rocblas_complex_numIfEPKS3_PKPS1_EvbiT_T4_T5_S9_lSB_S9_lT6_S9_li
; %bb.0:
	s_load_b512 s[16:31], s[0:1], 0x8
	s_waitcnt lgkmcnt(0)
	s_load_b64 s[8:9], s[18:19], 0x0
	s_waitcnt lgkmcnt(0)
	v_cmp_eq_f32_e64 s2, s8, 0
	v_cmp_eq_f32_e64 s3, s9, 0
	s_delay_alu instid0(VALU_DEP_1) | instskip(NEXT) | instid1(SALU_CYCLE_1)
	s_and_b32 s2, s2, s3
	s_and_b32 vcc_lo, exec_lo, s2
	s_cbranch_vccnz .LBB1882_17
; %bb.1:
	s_load_b64 s[2:3], s[0:1], 0x0
	s_lshl_b32 s12, s14, 5
	s_lshl_b32 s13, s13, 5
	s_waitcnt lgkmcnt(0)
	s_and_b32 s2, 1, s2
	s_delay_alu instid0(SALU_CYCLE_1) | instskip(SKIP_1) | instid1(SALU_CYCLE_1)
	s_cmp_eq_u32 s2, 1
	s_cselect_b32 s2, -1, 0
	s_and_b32 s4, s2, exec_lo
	s_cselect_b32 s4, s13, s12
	s_cselect_b32 s5, s12, s13
	s_delay_alu instid0(SALU_CYCLE_1)
	s_cmp_gt_i32 s4, s5
	s_cbranch_scc1 .LBB1882_17
; %bb.2:
	v_cmp_lt_i64_e64 s4, s[16:17], 1
	s_delay_alu instid0(VALU_DEP_1)
	s_and_b32 vcc_lo, exec_lo, s4
	s_cbranch_vccnz .LBB1882_17
; %bb.3:
	s_clause 0x1
	s_load_b128 s[4:7], s[0:1], 0x48
	s_load_b64 s[0:1], s[0:1], 0x58
	s_mov_b32 s10, s15
	s_mov_b32 s11, 0
	v_bfe_u32 v6, v0, 10, 10
	v_and_b32_e32 v7, 0x3ff, v0
	s_lshl_b64 s[10:11], s[10:11], 3
	v_mov_b32_e32 v3, 0
	s_add_u32 s18, s20, s10
	v_add_nc_u32_e32 v4, s12, v6
	s_addc_u32 s19, s21, s11
	s_delay_alu instid0(VALU_DEP_2)
	v_dual_mov_b32 v5, v3 :: v_dual_add_nc_u32 v2, s13, v7
	s_add_u32 s12, s26, s10
	s_addc_u32 s13, s27, s11
	v_lshlrev_b32_e32 v0, 3, v6
	s_load_b64 s[12:13], s[12:13], 0x0
	v_lshlrev_b32_e32 v8, 8, v7
	v_max_i32_e32 v1, v2, v4
	v_ashrrev_i32_e32 v15, 31, v4
	s_waitcnt lgkmcnt(0)
	s_add_u32 s4, s4, s10
	s_addc_u32 s5, s5, s11
	v_or_b32_e32 v9, 0x2000, v0
	s_load_b64 s[4:5], s[4:5], 0x0
	v_add_nc_u32_e32 v10, v8, v0
	v_cmp_gt_i32_e32 vcc_lo, s3, v1
	v_mul_lo_u32 v15, v15, s6
	v_mul_lo_u32 v17, v4, s7
	v_mad_u64_u32 v[0:1], null, v4, s6, 0
	v_cndmask_b32_e64 v14, v2, v4, s2
	v_cndmask_b32_e64 v16, v4, v2, s2
	v_mad_u64_u32 v[12:13], null, s28, v7, 0
	s_lshl_b64 s[10:11], s[30:31], 3
	s_mov_b32 s14, s3
	s_delay_alu instid0(VALU_DEP_4) | instskip(SKIP_3) | instid1(VALU_DEP_4)
	v_add3_u32 v1, v1, v17, v15
	v_cmp_le_i32_e64 s2, v16, v14
	v_ashrrev_i32_e32 v14, 31, v2
	v_mad_u64_u32 v[15:16], null, s28, v6, 0
	v_lshlrev_b64 v[0:1], 3, v[0:1]
	s_add_u32 s10, s12, s10
	s_addc_u32 s11, s13, s11
	s_lshl_b64 s[0:1], s[0:1], 3
	v_mad_u64_u32 v[17:18], null, s29, v7, v[13:14]
	v_mov_b32_e32 v13, v2
	s_waitcnt lgkmcnt(0)
	s_add_u32 s4, s4, s0
	s_addc_u32 s5, s5, s1
	s_and_b32 s12, s2, vcc_lo
	v_add_co_u32 v22, vcc_lo, s4, v0
	v_add_co_ci_u32_e32 v23, vcc_lo, s5, v1, vcc_lo
	v_lshlrev_b64 v[0:1], 3, v[13:14]
	v_dual_mov_b32 v14, v16 :: v_dual_mov_b32 v13, v17
	v_mad_u64_u32 v[17:18], null, s22, v7, 0
	v_add_nc_u32_e32 v11, v9, v8
	s_delay_alu instid0(VALU_DEP_3)
	v_mad_u64_u32 v[19:20], null, s29, v6, v[14:15]
	v_mad_u64_u32 v[20:21], null, s22, v6, 0
	v_add_co_u32 v0, vcc_lo, v22, v0
	v_mov_b32_e32 v14, v18
	s_ashr_i32 s15, s3, 31
	v_add_co_ci_u32_e32 v1, vcc_lo, v23, v1, vcc_lo
	s_delay_alu instid0(VALU_DEP_4) | instskip(NEXT) | instid1(VALU_DEP_3)
	v_mov_b32_e32 v18, v21
	v_mad_u64_u32 v[21:22], null, s23, v7, v[14:15]
	s_load_b64 s[18:19], s[18:19], 0x0
	v_cmp_gt_i64_e64 s1, s[14:15], v[4:5]
	s_delay_alu instid0(VALU_DEP_3)
	v_mad_u64_u32 v[22:23], null, s23, v6, v[18:19]
	v_lshlrev_b64 v[12:13], 3, v[12:13]
	v_lshlrev_b64 v[4:5], 3, v[4:5]
	v_mov_b32_e32 v16, v19
	v_mov_b32_e32 v18, v21
	v_cmp_gt_i64_e64 s0, s[14:15], v[2:3]
	v_lshlrev_b64 v[2:3], 3, v[2:3]
	v_mov_b32_e32 v21, v22
	v_lshlrev_b64 v[14:15], 3, v[15:16]
	v_add_co_u32 v19, vcc_lo, v12, v4
	v_lshlrev_b64 v[16:17], 3, v[17:18]
	v_add_co_ci_u32_e32 v12, vcc_lo, v13, v5, vcc_lo
	s_delay_alu instid0(VALU_DEP_3)
	v_or_b32_e32 v13, 4, v19
	v_add_co_u32 v14, vcc_lo, v14, v2
	v_lshlrev_b64 v[18:19], 3, v[20:21]
	v_add_nc_u32_e32 v21, 0x1000, v9
	v_add_co_ci_u32_e32 v15, vcc_lo, v15, v3, vcc_lo
	v_add_co_u32 v16, vcc_lo, v16, v4
	v_add_co_ci_u32_e32 v17, vcc_lo, v17, v5, vcc_lo
	s_lshl_b64 s[4:5], s[24:25], 3
	v_add_co_u32 v18, vcc_lo, v18, v2
	s_lshl_b64 s[2:3], s[28:29], 8
	s_waitcnt lgkmcnt(0)
	s_add_u32 s4, s4, s18
	v_add_co_ci_u32_e32 v19, vcc_lo, v19, v3, vcc_lo
	v_add_nc_u32_e32 v20, 0x800, v9
	v_add_nc_u32_e32 v22, 0x1800, v9
	s_addc_u32 s5, s5, s19
	s_add_u32 s13, s4, 4
	s_addc_u32 s14, s5, 0
	s_lshl_b64 s[4:5], s[22:23], 8
	s_mov_b64 s[6:7], 0
	s_branch .LBB1882_5
.LBB1882_4:                             ;   in Loop: Header=BB1882_5 Depth=1
	s_or_b32 exec_lo, exec_lo, s15
	s_add_u32 s6, s6, 32
	s_addc_u32 s7, s7, 0
	s_add_u32 s10, s10, s2
	v_cmp_lt_i64_e64 s15, s[6:7], s[16:17]
	s_addc_u32 s11, s11, s3
	s_add_u32 s13, s13, s4
	s_addc_u32 s14, s14, s5
	s_waitcnt_vscnt null, 0x0
	s_barrier
	s_and_b32 vcc_lo, exec_lo, s15
	buffer_gl0_inv
	s_cbranch_vccz .LBB1882_17
.LBB1882_5:                             ; =>This Inner Loop Header: Depth=1
	v_add_co_u32 v2, s15, v6, s6
	s_delay_alu instid0(VALU_DEP_1) | instskip(NEXT) | instid1(VALU_DEP_1)
	v_add_co_ci_u32_e64 v3, null, 0, s7, s15
	v_cmp_gt_i64_e32 vcc_lo, s[16:17], v[2:3]
	v_dual_mov_b32 v2, 0 :: v_dual_mov_b32 v3, 0
	s_and_b32 s15, s0, vcc_lo
	s_delay_alu instid0(SALU_CYCLE_1)
	s_and_saveexec_b32 s18, s15
	s_cbranch_execz .LBB1882_7
; %bb.6:                                ;   in Loop: Header=BB1882_5 Depth=1
	v_add_co_u32 v2, vcc_lo, s13, v18
	v_add_co_ci_u32_e32 v3, vcc_lo, s14, v19, vcc_lo
	global_load_b64 v[2:3], v[2:3], off offset:-4
.LBB1882_7:                             ;   in Loop: Header=BB1882_5 Depth=1
	s_or_b32 exec_lo, exec_lo, s18
	v_add_co_u32 v4, s18, v7, s6
	s_delay_alu instid0(VALU_DEP_1)
	v_add_co_ci_u32_e64 v5, null, 0, s7, s18
	s_waitcnt vmcnt(0)
	ds_store_b64 v10, v[2:3]
	v_cmp_gt_i64_e32 vcc_lo, s[16:17], v[4:5]
	v_dual_mov_b32 v4, 0 :: v_dual_mov_b32 v5, 0
	s_and_b32 s18, s1, vcc_lo
	s_delay_alu instid0(SALU_CYCLE_1)
	s_and_saveexec_b32 s19, s18
	s_cbranch_execz .LBB1882_9
; %bb.8:                                ;   in Loop: Header=BB1882_5 Depth=1
	v_add_co_u32 v2, vcc_lo, s10, v13
	v_add_co_ci_u32_e32 v3, vcc_lo, s11, v12, vcc_lo
	global_load_b64 v[4:5], v[2:3], off offset:-4
.LBB1882_9:                             ;   in Loop: Header=BB1882_5 Depth=1
	s_or_b32 exec_lo, exec_lo, s19
	s_waitcnt vmcnt(0)
	ds_store_b64 v11, v[4:5]
	s_waitcnt lgkmcnt(0)
	s_barrier
	buffer_gl0_inv
	s_and_saveexec_b32 s19, s12
	s_cbranch_execz .LBB1882_11
; %bb.10:                               ;   in Loop: Header=BB1882_5 Depth=1
	global_load_b64 v[143:144], v[0:1], off
	ds_load_2addr_b64 v[2:5], v9 offset1:32
	ds_load_b128 v[23:26], v8
	ds_load_b128 v[27:30], v8 offset:16
	ds_load_b128 v[31:34], v8 offset:32
	;; [unrolled: 1-line block ×3, first 2 shown]
	ds_load_2addr_b64 v[39:42], v9 offset0:64 offset1:96
	ds_load_2addr_b64 v[43:46], v9 offset0:128 offset1:160
	;; [unrolled: 1-line block ×3, first 2 shown]
	ds_load_2addr_b64 v[51:54], v20 offset1:32
	ds_load_b128 v[55:58], v8 offset:64
	ds_load_b128 v[59:62], v8 offset:80
	ds_load_2addr_b64 v[63:66], v20 offset0:64 offset1:96
	ds_load_2addr_b64 v[67:70], v20 offset0:128 offset1:160
	ds_load_b128 v[71:74], v8 offset:96
	ds_load_b128 v[75:78], v8 offset:112
	ds_load_2addr_b64 v[79:82], v20 offset0:192 offset1:224
	ds_load_2addr_b64 v[83:86], v21 offset1:32
	ds_load_b128 v[87:90], v8 offset:128
	ds_load_b128 v[91:94], v8 offset:144
	ds_load_2addr_b64 v[95:98], v21 offset0:64 offset1:96
	ds_load_2addr_b64 v[99:102], v21 offset0:128 offset1:160
	ds_load_b128 v[103:106], v8 offset:160
	ds_load_b128 v[107:110], v8 offset:176
	ds_load_2addr_b64 v[111:114], v21 offset0:192 offset1:224
	ds_load_2addr_b64 v[115:118], v22 offset1:32
	ds_load_b128 v[119:122], v8 offset:192
	ds_load_b128 v[123:126], v8 offset:208
	ds_load_2addr_b64 v[127:130], v22 offset0:64 offset1:96
	ds_load_2addr_b64 v[131:134], v22 offset0:128 offset1:160
	s_waitcnt lgkmcnt(27)
	v_dual_mul_f32 v145, v3, v24 :: v_dual_mul_f32 v146, v5, v26
	v_mul_f32_e32 v24, v2, v24
	v_mul_f32_e32 v26, v4, v26
	s_waitcnt lgkmcnt(22)
	v_mul_f32_e32 v147, v44, v32
	v_fma_f32 v145, v2, v23, -v145
	v_mul_f32_e32 v32, v43, v32
	v_fmac_f32_e32 v24, v3, v23
	v_fma_f32 v23, v4, v25, -v146
	v_dual_fmac_f32 v26, v5, v25 :: v_dual_mul_f32 v25, v40, v28
	v_mul_f32_e32 v28, v39, v28
	v_mul_f32_e32 v146, v42, v30
	;; [unrolled: 1-line block ×3, first 2 shown]
	v_fma_f32 v43, v43, v31, -v147
	v_fma_f32 v25, v39, v27, -v25
	s_waitcnt lgkmcnt(21)
	v_dual_mul_f32 v39, v50, v38 :: v_dual_fmac_f32 v28, v40, v27
	v_fma_f32 v27, v41, v29, -v146
	s_waitcnt lgkmcnt(19)
	v_mul_f32_e32 v40, v52, v56
	v_dual_mul_f32 v41, v51, v56 :: v_dual_add_f32 v56, 0, v145
	v_mul_f32_e32 v148, v46, v34
	v_dual_fmac_f32 v30, v42, v29 :: v_dual_mul_f32 v29, v45, v34
	v_fmac_f32_e32 v32, v44, v31
	s_delay_alu instid0(VALU_DEP_4) | instskip(NEXT) | instid1(VALU_DEP_4)
	v_add_f32_e32 v23, v56, v23
	v_fma_f32 v31, v45, v33, -v148
	s_delay_alu instid0(VALU_DEP_4) | instskip(SKIP_1) | instid1(VALU_DEP_4)
	v_dual_mul_f32 v38, v49, v38 :: v_dual_fmac_f32 v29, v46, v33
	v_mul_f32_e32 v33, v53, v58
	v_dual_add_f32 v23, v23, v25 :: v_dual_mul_f32 v34, v48, v36
	v_mul_f32_e32 v36, v47, v36
	s_waitcnt lgkmcnt(13)
	v_mul_f32_e32 v25, v79, v76
	v_fmac_f32_e32 v33, v54, v57
	v_dual_add_f32 v23, v23, v27 :: v_dual_mul_f32 v42, v54, v58
	v_fma_f32 v34, v47, v35, -v34
	s_waitcnt lgkmcnt(11)
	v_dual_mul_f32 v27, v84, v88 :: v_dual_fmac_f32 v38, v50, v37
	s_delay_alu instid0(VALU_DEP_3) | instskip(SKIP_3) | instid1(VALU_DEP_3)
	v_dual_add_f32 v23, v23, v43 :: v_dual_add_f32 v24, 0, v24
	s_waitcnt lgkmcnt(9)
	v_dual_mul_f32 v43, v95, v92 :: v_dual_mul_f32 v58, v65, v62
	v_fmac_f32_e32 v41, v52, v55
	v_dual_add_f32 v23, v23, v31 :: v_dual_add_f32 v24, v24, v26
	v_mul_f32_e32 v26, v68, v72
	v_fma_f32 v27, v83, v87, -v27
	v_dual_mul_f32 v44, v64, v60 :: v_dual_mul_f32 v47, v98, v94
	s_delay_alu instid0(VALU_DEP_4) | instskip(NEXT) | instid1(VALU_DEP_4)
	v_add_f32_e32 v23, v23, v34
	v_fma_f32 v26, v67, v71, -v26
	v_fmac_f32_e32 v36, v48, v35
	v_fma_f32 v35, v49, v37, -v39
	v_mul_f32_e32 v56, v70, v74
	v_mul_f32_e32 v39, v85, v90
	v_dual_mul_f32 v45, v63, v60 :: v_dual_mul_f32 v46, v66, v62
	s_delay_alu instid0(VALU_DEP_4) | instskip(NEXT) | instid1(VALU_DEP_2)
	v_dual_add_f32 v23, v23, v35 :: v_dual_add_f32 v24, v24, v28
	v_dual_mul_f32 v28, v69, v74 :: v_dual_fmac_f32 v45, v64, v59
	s_delay_alu instid0(VALU_DEP_4)
	v_dual_fmac_f32 v39, v86, v89 :: v_dual_mul_f32 v60, v67, v72
	s_waitcnt lgkmcnt(7)
	v_mul_f32_e32 v35, v102, v106
	v_add_f32_e32 v24, v24, v30
	v_fmac_f32_e32 v58, v66, v61
	v_mul_f32_e32 v62, v80, v76
	v_fmac_f32_e32 v28, v70, v73
	v_fma_f32 v35, v101, v105, -v35
	v_add_f32_e32 v24, v24, v32
	v_dual_mul_f32 v72, v81, v78 :: v_dual_fmac_f32 v25, v80, v75
	ds_load_b128 v[135:138], v8 offset:224
	ds_load_b128 v[139:142], v8 offset:240
	v_mul_f32_e32 v32, v83, v88
	v_add_f32_e32 v24, v24, v29
	v_dual_mul_f32 v29, v96, v92 :: v_dual_fmac_f32 v72, v82, v77
	v_mul_f32_e32 v37, v86, v90
	s_delay_alu instid0(VALU_DEP_3) | instskip(NEXT) | instid1(VALU_DEP_3)
	v_dual_mul_f32 v31, v97, v94 :: v_dual_add_f32 v24, v24, v36
	v_fma_f32 v29, v95, v91, -v29
	v_fmac_f32_e32 v60, v68, v71
	v_dual_mul_f32 v34, v99, v104 :: v_dual_fmac_f32 v43, v96, v91
	s_delay_alu instid0(VALU_DEP_4) | instskip(SKIP_4) | instid1(VALU_DEP_4)
	v_add_f32_e32 v24, v24, v38
	v_fma_f32 v38, v51, v55, -v40
	v_fma_f32 v40, v53, v57, -v42
	;; [unrolled: 1-line block ×3, first 2 shown]
	v_fmac_f32_e32 v31, v98, v93
	v_dual_add_f32 v24, v24, v41 :: v_dual_add_f32 v23, v23, v38
	v_fma_f32 v38, v63, v59, -v44
	v_fma_f32 v41, v65, v61, -v46
	ds_load_2addr_b64 v[2:5], v22 offset0:192 offset1:224
	v_dual_add_f32 v24, v24, v33 :: v_dual_add_f32 v23, v23, v40
	s_waitcnt lgkmcnt(8)
	v_dual_mul_f32 v33, v101, v106 :: v_dual_mul_f32 v40, v112, v108
	v_fmac_f32_e32 v34, v100, v103
	s_delay_alu instid0(VALU_DEP_3) | instskip(SKIP_1) | instid1(VALU_DEP_4)
	v_dual_add_f32 v24, v24, v45 :: v_dual_add_f32 v23, v23, v38
	v_mul_f32_e32 v30, v82, v78
	v_dual_fmac_f32 v33, v102, v105 :: v_dual_mul_f32 v38, v111, v108
	s_delay_alu instid0(VALU_DEP_3) | instskip(NEXT) | instid1(VALU_DEP_3)
	v_dual_add_f32 v24, v24, v58 :: v_dual_add_f32 v23, v23, v41
	v_fma_f32 v30, v81, v77, -v30
	v_dual_mul_f32 v41, v114, v110 :: v_dual_fmac_f32 v32, v84, v87
	s_delay_alu instid0(VALU_DEP_3) | instskip(SKIP_1) | instid1(VALU_DEP_2)
	v_dual_add_f32 v24, v24, v60 :: v_dual_add_f32 v23, v23, v26
	v_mul_f32_e32 v26, v113, v110
	v_add_f32_e32 v24, v24, v28
	v_fma_f32 v28, v79, v75, -v62
	s_delay_alu instid0(VALU_DEP_2) | instskip(SKIP_2) | instid1(VALU_DEP_2)
	v_dual_add_f32 v23, v23, v42 :: v_dual_add_f32 v24, v24, v25
	s_waitcnt lgkmcnt(6)
	v_mul_f32_e32 v25, v116, v120
	v_add_f32_e32 v23, v23, v28
	v_mul_f32_e32 v36, v100, v104
	s_delay_alu instid0(VALU_DEP_3) | instskip(NEXT) | instid1(VALU_DEP_3)
	v_fma_f32 v25, v115, v119, -v25
	v_add_f32_e32 v23, v23, v30
	s_delay_alu instid0(VALU_DEP_1) | instskip(SKIP_1) | instid1(VALU_DEP_1)
	v_dual_mul_f32 v30, v118, v122 :: v_dual_add_f32 v23, v23, v27
	v_dual_mul_f32 v27, v117, v122 :: v_dual_add_f32 v24, v24, v72
	v_dual_fmac_f32 v27, v118, v121 :: v_dual_add_f32 v24, v24, v32
	v_fma_f32 v32, v85, v89, -v37
	v_fma_f32 v37, v97, v93, -v47
	s_delay_alu instid0(VALU_DEP_2) | instskip(NEXT) | instid1(VALU_DEP_1)
	v_dual_add_f32 v24, v24, v39 :: v_dual_add_f32 v23, v23, v32
	v_dual_add_f32 v24, v24, v43 :: v_dual_add_f32 v23, v23, v29
	s_waitcnt lgkmcnt(4)
	v_mul_f32_e32 v29, v127, v124
	v_mul_f32_e32 v28, v115, v120
	s_delay_alu instid0(VALU_DEP_3)
	v_add_f32_e32 v24, v24, v31
	v_fma_f32 v31, v99, v103, -v36
	v_add_f32_e32 v23, v23, v37
	v_fmac_f32_e32 v29, v128, v123
	v_fmac_f32_e32 v28, v116, v119
	v_add_f32_e32 v24, v24, v34
	v_fma_f32 v36, v113, v109, -v41
	v_add_f32_e32 v23, v23, v31
	v_dual_mul_f32 v31, v129, v126 :: v_dual_fmac_f32 v38, v112, v107
	s_delay_alu instid0(VALU_DEP_4) | instskip(SKIP_1) | instid1(VALU_DEP_4)
	v_add_f32_e32 v24, v24, v33
	v_fma_f32 v33, v111, v107, -v40
	v_add_f32_e32 v23, v23, v35
	s_waitcnt lgkmcnt(2)
	v_dual_mul_f32 v35, v132, v136 :: v_dual_fmac_f32 v26, v114, v109
	v_dual_add_f32 v24, v24, v38 :: v_dual_fmac_f32 v31, v130, v125
	s_delay_alu instid0(VALU_DEP_1) | instskip(NEXT) | instid1(VALU_DEP_1)
	v_dual_add_f32 v23, v23, v33 :: v_dual_add_f32 v24, v24, v26
	v_add_f32_e32 v23, v23, v36
	s_delay_alu instid0(VALU_DEP_2) | instskip(NEXT) | instid1(VALU_DEP_2)
	v_add_f32_e32 v24, v24, v28
	v_dual_mul_f32 v28, v134, v138 :: v_dual_add_f32 v23, v23, v25
	s_delay_alu instid0(VALU_DEP_2) | instskip(NEXT) | instid1(VALU_DEP_2)
	v_dual_mul_f32 v25, v133, v138 :: v_dual_add_f32 v24, v24, v27
	v_fma_f32 v28, v133, v137, -v28
	s_delay_alu instid0(VALU_DEP_2) | instskip(SKIP_1) | instid1(VALU_DEP_3)
	v_dual_fmac_f32 v25, v134, v137 :: v_dual_mul_f32 v26, v131, v136
	s_waitcnt lgkmcnt(0)
	v_dual_add_f32 v24, v24, v29 :: v_dual_mul_f32 v29, v3, v140
	v_fma_f32 v30, v117, v121, -v30
	s_delay_alu instid0(VALU_DEP_3) | instskip(NEXT) | instid1(VALU_DEP_3)
	v_fmac_f32_e32 v26, v132, v135
	v_add_f32_e32 v24, v24, v31
	v_fma_f32 v31, v131, v135, -v35
	s_delay_alu instid0(VALU_DEP_4) | instskip(SKIP_1) | instid1(VALU_DEP_4)
	v_dual_add_f32 v23, v23, v30 :: v_dual_mul_f32 v32, v128, v124
	v_mul_f32_e32 v34, v130, v126
	v_add_f32_e32 v24, v24, v26
	v_mul_f32_e32 v26, v4, v142
	s_delay_alu instid0(VALU_DEP_4) | instskip(NEXT) | instid1(VALU_DEP_4)
	v_fma_f32 v27, v127, v123, -v32
	v_fma_f32 v30, v129, v125, -v34
	s_delay_alu instid0(VALU_DEP_2) | instskip(SKIP_2) | instid1(VALU_DEP_3)
	v_dual_fmac_f32 v26, v5, v141 :: v_dual_add_f32 v23, v23, v27
	v_mul_f32_e32 v27, v2, v140
	v_fma_f32 v2, v2, v139, -v29
	v_add_f32_e32 v23, v23, v30
	s_delay_alu instid0(VALU_DEP_3) | instskip(NEXT) | instid1(VALU_DEP_2)
	v_fmac_f32_e32 v27, v3, v139
	v_add_f32_e32 v3, v23, v31
	v_dual_add_f32 v23, v24, v25 :: v_dual_mul_f32 v24, v5, v142
	s_delay_alu instid0(VALU_DEP_2) | instskip(NEXT) | instid1(VALU_DEP_2)
	v_add_f32_e32 v3, v3, v28
	v_add_f32_e32 v5, v23, v27
	s_delay_alu instid0(VALU_DEP_3) | instskip(NEXT) | instid1(VALU_DEP_3)
	v_fma_f32 v4, v4, v141, -v24
	v_add_f32_e32 v2, v3, v2
	s_delay_alu instid0(VALU_DEP_1) | instskip(NEXT) | instid1(VALU_DEP_1)
	v_dual_add_f32 v3, v5, v26 :: v_dual_add_f32 v2, v2, v4
	v_mul_f32_e32 v4, s9, v3
	v_mul_f32_e32 v3, s8, v3
	s_delay_alu instid0(VALU_DEP_2) | instskip(SKIP_1) | instid1(VALU_DEP_1)
	v_fma_f32 v4, s8, v2, -v4
	s_waitcnt vmcnt(0)
	v_dual_fmac_f32 v3, s9, v2 :: v_dual_add_f32 v2, v143, v4
	s_delay_alu instid0(VALU_DEP_1)
	v_add_f32_e32 v3, v144, v3
	global_store_b64 v[0:1], v[2:3], off
.LBB1882_11:                            ;   in Loop: Header=BB1882_5 Depth=1
	s_or_b32 exec_lo, exec_lo, s19
	v_dual_mov_b32 v3, 0 :: v_dual_mov_b32 v4, 0
	v_mov_b32_e32 v5, 0
	s_waitcnt_vscnt null, 0x0
	s_barrier
	buffer_gl0_inv
	s_and_saveexec_b32 s19, s15
	s_cbranch_execz .LBB1882_13
; %bb.12:                               ;   in Loop: Header=BB1882_5 Depth=1
	v_add_co_u32 v4, vcc_lo, s10, v14
	v_add_co_ci_u32_e32 v5, vcc_lo, s11, v15, vcc_lo
	global_load_b64 v[4:5], v[4:5], off
.LBB1882_13:                            ;   in Loop: Header=BB1882_5 Depth=1
	s_or_b32 exec_lo, exec_lo, s19
	v_mov_b32_e32 v2, 0
	s_waitcnt vmcnt(0)
	ds_store_b64 v10, v[4:5]
	s_and_saveexec_b32 s15, s18
	s_cbranch_execz .LBB1882_15
; %bb.14:                               ;   in Loop: Header=BB1882_5 Depth=1
	v_add_co_u32 v2, vcc_lo, s13, v16
	v_add_co_ci_u32_e32 v3, vcc_lo, s14, v17, vcc_lo
	global_load_b64 v[2:3], v[2:3], off offset:-4
.LBB1882_15:                            ;   in Loop: Header=BB1882_5 Depth=1
	s_or_b32 exec_lo, exec_lo, s15
	s_waitcnt vmcnt(0)
	ds_store_b64 v11, v[2:3]
	s_waitcnt lgkmcnt(0)
	s_barrier
	buffer_gl0_inv
	s_and_saveexec_b32 s15, s12
	s_cbranch_execz .LBB1882_4
; %bb.16:                               ;   in Loop: Header=BB1882_5 Depth=1
	global_load_b64 v[147:148], v[0:1], off
	ds_load_b128 v[2:5], v8
	ds_load_b128 v[23:26], v8 offset:16
	ds_load_2addr_b64 v[27:30], v9 offset1:32
	ds_load_b128 v[31:34], v8 offset:32
	ds_load_b128 v[35:38], v8 offset:48
	ds_load_2addr_b64 v[39:42], v9 offset0:64 offset1:96
	ds_load_2addr_b64 v[43:46], v9 offset0:128 offset1:160
	ds_load_2addr_b64 v[47:50], v9 offset0:192 offset1:224
	ds_load_2addr_b64 v[51:54], v20 offset1:32
	ds_load_b128 v[55:58], v8 offset:64
	ds_load_b128 v[59:62], v8 offset:80
	ds_load_2addr_b64 v[63:66], v20 offset0:64 offset1:96
	ds_load_2addr_b64 v[67:70], v20 offset0:128 offset1:160
	ds_load_b128 v[71:74], v8 offset:96
	ds_load_b128 v[75:78], v8 offset:112
	ds_load_2addr_b64 v[79:82], v20 offset0:192 offset1:224
	ds_load_2addr_b64 v[83:86], v21 offset1:32
	ds_load_b128 v[87:90], v8 offset:128
	ds_load_b128 v[91:94], v8 offset:144
	ds_load_2addr_b64 v[95:98], v21 offset0:64 offset1:96
	ds_load_2addr_b64 v[99:102], v21 offset0:128 offset1:160
	ds_load_b128 v[103:106], v8 offset:160
	ds_load_b128 v[107:110], v8 offset:176
	ds_load_2addr_b64 v[111:114], v21 offset0:192 offset1:224
	;; [unrolled: 8-line block ×3, first 2 shown]
	s_waitcnt lgkmcnt(29)
	v_dual_mul_f32 v149, v28, v3 :: v_dual_mul_f32 v150, v30, v5
	s_waitcnt lgkmcnt(26)
	v_dual_mul_f32 v3, v27, v3 :: v_dual_mul_f32 v152, v42, v26
	v_mul_f32_e32 v5, v29, v5
	s_waitcnt lgkmcnt(25)
	v_dual_mul_f32 v153, v44, v32 :: v_dual_mul_f32 v154, v46, v34
	s_delay_alu instid0(VALU_DEP_3)
	v_dual_mul_f32 v32, v43, v32 :: v_dual_fmac_f32 v3, v28, v2
	v_fma_f32 v27, v27, v2, -v149
	v_dual_mul_f32 v151, v40, v24 :: v_dual_mul_f32 v26, v41, v26
	v_mul_f32_e32 v24, v39, v24
	s_waitcnt lgkmcnt(24)
	v_dual_mul_f32 v34, v45, v34 :: v_dual_mul_f32 v155, v48, v36
	v_dual_mul_f32 v36, v47, v36 :: v_dual_add_f32 v3, 0, v3
	s_waitcnt lgkmcnt(22)
	v_dual_mul_f32 v156, v50, v38 :: v_dual_mul_f32 v157, v52, v56
	v_dual_mul_f32 v56, v51, v56 :: v_dual_add_f32 v27, 0, v27
	s_waitcnt lgkmcnt(18)
	v_dual_mul_f32 v158, v54, v58 :: v_dual_mul_f32 v161, v68, v72
	v_dual_mul_f32 v58, v53, v58 :: v_dual_fmac_f32 v5, v30, v4
	v_fma_f32 v2, v29, v4, -v150
	v_dual_mul_f32 v38, v49, v38 :: v_dual_mul_f32 v159, v64, v60
	v_mul_f32_e32 v60, v63, v60
	s_waitcnt lgkmcnt(16)
	v_dual_mul_f32 v160, v66, v62 :: v_dual_mul_f32 v29, v79, v76
	v_dual_mul_f32 v62, v65, v62 :: v_dual_add_f32 v3, v3, v5
	s_waitcnt lgkmcnt(14)
	v_mul_f32_e32 v5, v85, v90
	v_fma_f32 v39, v39, v23, -v151
	v_dual_add_f32 v2, v27, v2 :: v_dual_fmac_f32 v29, v80, v75
	v_fma_f32 v27, v41, v25, -v152
	s_delay_alu instid0(VALU_DEP_4) | instskip(NEXT) | instid1(VALU_DEP_3)
	v_dual_fmac_f32 v56, v52, v55 :: v_dual_fmac_f32 v5, v86, v89
	v_add_f32_e32 v2, v2, v39
	v_fmac_f32_e32 v38, v50, v37
	v_fmac_f32_e32 v26, v42, v25
	v_fma_f32 v25, v43, v31, -v153
	v_fmac_f32_e32 v60, v64, v59
	v_add_f32_e32 v2, v2, v27
	v_fma_f32 v27, v45, v33, -v154
	v_fmac_f32_e32 v24, v40, v23
	v_fmac_f32_e32 v58, v54, v57
	;; [unrolled: 1-line block ×3, first 2 shown]
	v_add_f32_e32 v2, v2, v25
	v_fma_f32 v31, v47, v35, -v155
	s_waitcnt lgkmcnt(12)
	v_dual_mul_f32 v162, v70, v74 :: v_dual_mul_f32 v23, v96, v92
	v_dual_mul_f32 v72, v67, v72 :: v_dual_mul_f32 v25, v97, v94
	s_waitcnt lgkmcnt(10)
	v_dual_add_f32 v2, v2, v27 :: v_dual_mul_f32 v27, v100, v104
	s_delay_alu instid0(VALU_DEP_3) | instskip(NEXT) | instid1(VALU_DEP_3)
	v_fma_f32 v23, v95, v91, -v23
	v_dual_fmac_f32 v72, v68, v71 :: v_dual_fmac_f32 v25, v98, v93
	s_delay_alu instid0(VALU_DEP_3) | instskip(SKIP_2) | instid1(VALU_DEP_3)
	v_dual_add_f32 v2, v2, v31 :: v_dual_mul_f32 v31, v99, v104
	v_dual_mul_f32 v4, v69, v74 :: v_dual_add_f32 v3, v3, v24
	v_mul_f32_e32 v28, v80, v76
	v_dual_fmac_f32 v62, v66, v61 :: v_dual_fmac_f32 v31, v100, v103
	s_delay_alu instid0(VALU_DEP_3) | instskip(SKIP_3) | instid1(VALU_DEP_4)
	v_dual_fmac_f32 v34, v46, v33 :: v_dual_add_f32 v3, v3, v26
	v_mul_f32_e32 v30, v82, v78
	v_fmac_f32_e32 v4, v70, v73
	v_fmac_f32_e32 v36, v48, v35
	v_dual_mul_f32 v74, v81, v78 :: v_dual_add_f32 v3, v3, v32
	v_mul_f32_e32 v76, v84, v88
	v_mul_f32_e32 v78, v83, v88
	v_fma_f32 v32, v49, v37, -v156
	v_fma_f32 v33, v51, v55, -v157
	v_add_f32_e32 v3, v3, v34
	v_mul_f32_e32 v88, v86, v90
	v_fma_f32 v34, v53, v57, -v158
	v_add_f32_e32 v2, v2, v32
	v_fma_f32 v35, v63, v59, -v159
	v_add_f32_e32 v3, v3, v36
	v_fma_f32 v36, v65, v61, -v160
	v_fma_f32 v37, v67, v71, -v161
	v_dual_add_f32 v2, v2, v33 :: v_dual_mul_f32 v33, v101, v106
	s_delay_alu instid0(VALU_DEP_4) | instskip(SKIP_1) | instid1(VALU_DEP_3)
	v_dual_add_f32 v3, v3, v38 :: v_dual_fmac_f32 v74, v82, v77
	v_mul_f32_e32 v24, v95, v92
	v_add_f32_e32 v2, v2, v34
	s_delay_alu instid0(VALU_DEP_3)
	v_dual_mul_f32 v26, v98, v94 :: v_dual_add_f32 v3, v3, v56
	v_fmac_f32_e32 v33, v102, v105
	v_fma_f32 v38, v69, v73, -v162
	s_waitcnt lgkmcnt(8)
	v_dual_add_f32 v2, v2, v35 :: v_dual_mul_f32 v35, v111, v108
	v_add_f32_e32 v3, v3, v58
	v_fma_f32 v28, v79, v75, -v28
	v_fma_f32 v30, v81, v77, -v30
	s_delay_alu instid0(VALU_DEP_4) | instskip(SKIP_3) | instid1(VALU_DEP_4)
	v_add_f32_e32 v2, v2, v36
	v_dual_mul_f32 v36, v114, v110 :: v_dual_fmac_f32 v35, v112, v107
	v_add_f32_e32 v3, v3, v60
	v_fma_f32 v26, v97, v93, -v26
	v_dual_add_f32 v2, v2, v37 :: v_dual_mul_f32 v37, v113, v110
	s_delay_alu instid0(VALU_DEP_3) | instskip(NEXT) | instid1(VALU_DEP_2)
	v_dual_fmac_f32 v78, v84, v87 :: v_dual_add_f32 v3, v3, v62
	v_dual_fmac_f32 v24, v96, v91 :: v_dual_fmac_f32 v37, v114, v109
	s_delay_alu instid0(VALU_DEP_2) | instskip(NEXT) | instid1(VALU_DEP_1)
	v_add_f32_e32 v3, v3, v72
	v_add_f32_e32 v3, v3, v4
	s_waitcnt lgkmcnt(6)
	s_delay_alu instid0(VALU_DEP_1) | instskip(SKIP_1) | instid1(VALU_DEP_2)
	v_dual_mul_f32 v4, v116, v120 :: v_dual_add_f32 v3, v3, v29
	v_fma_f32 v29, v83, v87, -v76
	v_fma_f32 v4, v115, v119, -v4
	s_delay_alu instid0(VALU_DEP_3) | instskip(NEXT) | instid1(VALU_DEP_1)
	v_add_f32_e32 v3, v3, v74
	v_add_f32_e32 v3, v3, v78
	s_delay_alu instid0(VALU_DEP_1) | instskip(SKIP_2) | instid1(VALU_DEP_2)
	v_dual_mul_f32 v32, v102, v106 :: v_dual_add_f32 v3, v3, v5
	s_waitcnt lgkmcnt(4)
	v_mul_f32_e32 v5, v128, v124
	v_add_f32_e32 v3, v3, v24
	v_mul_f32_e32 v34, v112, v108
	v_fma_f32 v24, v99, v103, -v27
	s_delay_alu instid0(VALU_DEP_4) | instskip(NEXT) | instid1(VALU_DEP_4)
	v_fma_f32 v5, v127, v123, -v5
	v_add_f32_e32 v3, v3, v25
	s_delay_alu instid0(VALU_DEP_4) | instskip(SKIP_1) | instid1(VALU_DEP_3)
	v_fma_f32 v27, v111, v107, -v34
	v_mul_f32_e32 v25, v130, v126
	v_add_f32_e32 v3, v3, v31
	v_fma_f32 v31, v113, v109, -v36
	s_delay_alu instid0(VALU_DEP_3) | instskip(NEXT) | instid1(VALU_DEP_3)
	v_fma_f32 v25, v129, v125, -v25
	v_add_f32_e32 v3, v3, v33
	s_delay_alu instid0(VALU_DEP_1) | instskip(SKIP_1) | instid1(VALU_DEP_2)
	v_dual_add_f32 v3, v3, v35 :: v_dual_add_f32 v2, v2, v38
	v_fma_f32 v38, v85, v89, -v88
	v_dual_add_f32 v3, v3, v37 :: v_dual_add_f32 v2, v2, v28
	v_mul_f32_e32 v28, v115, v120
	s_delay_alu instid0(VALU_DEP_2) | instskip(NEXT) | instid1(VALU_DEP_1)
	v_add_f32_e32 v2, v2, v30
	v_dual_add_f32 v2, v2, v29 :: v_dual_mul_f32 v29, v117, v122
	s_delay_alu instid0(VALU_DEP_1) | instskip(NEXT) | instid1(VALU_DEP_2)
	v_add_f32_e32 v2, v2, v38
	v_fmac_f32_e32 v29, v118, v121
	s_delay_alu instid0(VALU_DEP_2) | instskip(NEXT) | instid1(VALU_DEP_1)
	v_dual_add_f32 v2, v2, v23 :: v_dual_mul_f32 v23, v127, v124
	v_add_f32_e32 v2, v2, v26
	v_fma_f32 v26, v101, v105, -v32
	s_delay_alu instid0(VALU_DEP_2) | instskip(NEXT) | instid1(VALU_DEP_1)
	v_dual_fmac_f32 v23, v128, v123 :: v_dual_add_f32 v2, v2, v24
	v_add_f32_e32 v2, v2, v26
	s_waitcnt lgkmcnt(2)
	v_mul_f32_e32 v26, v132, v136
	s_delay_alu instid0(VALU_DEP_2) | instskip(NEXT) | instid1(VALU_DEP_1)
	v_dual_add_f32 v2, v2, v27 :: v_dual_mul_f32 v27, v131, v136
	v_add_f32_e32 v2, v2, v31
	v_dual_mul_f32 v31, v134, v138 :: v_dual_fmac_f32 v28, v116, v119
	s_delay_alu instid0(VALU_DEP_2) | instskip(NEXT) | instid1(VALU_DEP_2)
	v_dual_fmac_f32 v27, v132, v135 :: v_dual_add_f32 v2, v2, v4
	v_dual_mul_f32 v4, v133, v138 :: v_dual_add_f32 v3, v3, v28
	s_waitcnt lgkmcnt(0)
	v_mul_f32_e32 v28, v144, v140
	s_delay_alu instid0(VALU_DEP_2) | instskip(NEXT) | instid1(VALU_DEP_3)
	v_fmac_f32_e32 v4, v134, v137
	v_dual_add_f32 v3, v3, v29 :: v_dual_mul_f32 v30, v118, v122
	s_delay_alu instid0(VALU_DEP_1) | instskip(NEXT) | instid1(VALU_DEP_2)
	v_add_f32_e32 v3, v3, v23
	v_fma_f32 v30, v117, v121, -v30
	v_fma_f32 v23, v131, v135, -v26
	;; [unrolled: 1-line block ×3, first 2 shown]
	s_delay_alu instid0(VALU_DEP_3) | instskip(NEXT) | instid1(VALU_DEP_1)
	v_add_f32_e32 v2, v2, v30
	v_dual_add_f32 v2, v2, v5 :: v_dual_mul_f32 v5, v143, v140
	v_mul_f32_e32 v24, v129, v126
	s_delay_alu instid0(VALU_DEP_2) | instskip(NEXT) | instid1(VALU_DEP_2)
	v_dual_add_f32 v2, v2, v25 :: v_dual_fmac_f32 v5, v144, v139
	v_fmac_f32_e32 v24, v130, v125
	v_fma_f32 v25, v133, v137, -v31
	s_delay_alu instid0(VALU_DEP_3) | instskip(NEXT) | instid1(VALU_DEP_3)
	v_dual_add_f32 v2, v2, v23 :: v_dual_mul_f32 v23, v145, v142
	v_dual_add_f32 v3, v3, v24 :: v_dual_mul_f32 v24, v146, v142
	s_delay_alu instid0(VALU_DEP_2) | instskip(NEXT) | instid1(VALU_DEP_3)
	v_add_f32_e32 v2, v2, v25
	v_fmac_f32_e32 v23, v146, v141
	s_delay_alu instid0(VALU_DEP_2) | instskip(NEXT) | instid1(VALU_DEP_1)
	v_dual_add_f32 v3, v3, v27 :: v_dual_add_f32 v2, v2, v26
	v_add_f32_e32 v3, v3, v4
	v_fma_f32 v4, v145, v141, -v24
	s_delay_alu instid0(VALU_DEP_1) | instskip(NEXT) | instid1(VALU_DEP_1)
	v_dual_add_f32 v3, v3, v5 :: v_dual_add_f32 v2, v2, v4
	v_add_f32_e32 v3, v3, v23
	s_delay_alu instid0(VALU_DEP_1) | instskip(NEXT) | instid1(VALU_DEP_1)
	v_dual_mul_f32 v5, s9, v2 :: v_dual_mul_f32 v4, s9, v3
	v_fmac_f32_e32 v5, s8, v3
	s_delay_alu instid0(VALU_DEP_2) | instskip(SKIP_1) | instid1(VALU_DEP_1)
	v_fma_f32 v2, s8, v2, -v4
	s_waitcnt vmcnt(0)
	v_dual_add_f32 v2, v147, v2 :: v_dual_add_f32 v3, v148, v5
	global_store_b64 v[0:1], v[2:3], off
	s_branch .LBB1882_4
.LBB1882_17:
	s_endpgm
	.section	.rodata,"a",@progbits
	.p2align	6, 0x0
	.amdhsa_kernel _ZL26rocblas_syr2k_her2k_kernelIlLb1ELb0ELb0ELi32EPK19rocblas_complex_numIfEPKS3_PKPS1_EvbiT_T4_T5_S9_lSB_S9_lT6_S9_li
		.amdhsa_group_segment_fixed_size 16384
		.amdhsa_private_segment_fixed_size 0
		.amdhsa_kernarg_size 100
		.amdhsa_user_sgpr_count 13
		.amdhsa_user_sgpr_dispatch_ptr 0
		.amdhsa_user_sgpr_queue_ptr 0
		.amdhsa_user_sgpr_kernarg_segment_ptr 1
		.amdhsa_user_sgpr_dispatch_id 0
		.amdhsa_user_sgpr_private_segment_size 0
		.amdhsa_wavefront_size32 1
		.amdhsa_uses_dynamic_stack 0
		.amdhsa_enable_private_segment 0
		.amdhsa_system_sgpr_workgroup_id_x 1
		.amdhsa_system_sgpr_workgroup_id_y 1
		.amdhsa_system_sgpr_workgroup_id_z 1
		.amdhsa_system_sgpr_workgroup_info 0
		.amdhsa_system_vgpr_workitem_id 1
		.amdhsa_next_free_vgpr 163
		.amdhsa_next_free_sgpr 32
		.amdhsa_reserve_vcc 1
		.amdhsa_float_round_mode_32 0
		.amdhsa_float_round_mode_16_64 0
		.amdhsa_float_denorm_mode_32 3
		.amdhsa_float_denorm_mode_16_64 3
		.amdhsa_dx10_clamp 1
		.amdhsa_ieee_mode 1
		.amdhsa_fp16_overflow 0
		.amdhsa_workgroup_processor_mode 1
		.amdhsa_memory_ordered 1
		.amdhsa_forward_progress 0
		.amdhsa_shared_vgpr_count 0
		.amdhsa_exception_fp_ieee_invalid_op 0
		.amdhsa_exception_fp_denorm_src 0
		.amdhsa_exception_fp_ieee_div_zero 0
		.amdhsa_exception_fp_ieee_overflow 0
		.amdhsa_exception_fp_ieee_underflow 0
		.amdhsa_exception_fp_ieee_inexact 0
		.amdhsa_exception_int_div_zero 0
	.end_amdhsa_kernel
	.section	.text._ZL26rocblas_syr2k_her2k_kernelIlLb1ELb0ELb0ELi32EPK19rocblas_complex_numIfEPKS3_PKPS1_EvbiT_T4_T5_S9_lSB_S9_lT6_S9_li,"axG",@progbits,_ZL26rocblas_syr2k_her2k_kernelIlLb1ELb0ELb0ELi32EPK19rocblas_complex_numIfEPKS3_PKPS1_EvbiT_T4_T5_S9_lSB_S9_lT6_S9_li,comdat
.Lfunc_end1882:
	.size	_ZL26rocblas_syr2k_her2k_kernelIlLb1ELb0ELb0ELi32EPK19rocblas_complex_numIfEPKS3_PKPS1_EvbiT_T4_T5_S9_lSB_S9_lT6_S9_li, .Lfunc_end1882-_ZL26rocblas_syr2k_her2k_kernelIlLb1ELb0ELb0ELi32EPK19rocblas_complex_numIfEPKS3_PKPS1_EvbiT_T4_T5_S9_lSB_S9_lT6_S9_li
                                        ; -- End function
	.section	.AMDGPU.csdata,"",@progbits
; Kernel info:
; codeLenInByte = 3904
; NumSgprs: 34
; NumVgprs: 163
; ScratchSize: 0
; MemoryBound: 0
; FloatMode: 240
; IeeeMode: 1
; LDSByteSize: 16384 bytes/workgroup (compile time only)
; SGPRBlocks: 4
; VGPRBlocks: 20
; NumSGPRsForWavesPerEU: 34
; NumVGPRsForWavesPerEU: 163
; Occupancy: 9
; WaveLimiterHint : 1
; COMPUTE_PGM_RSRC2:SCRATCH_EN: 0
; COMPUTE_PGM_RSRC2:USER_SGPR: 13
; COMPUTE_PGM_RSRC2:TRAP_HANDLER: 0
; COMPUTE_PGM_RSRC2:TGID_X_EN: 1
; COMPUTE_PGM_RSRC2:TGID_Y_EN: 1
; COMPUTE_PGM_RSRC2:TGID_Z_EN: 1
; COMPUTE_PGM_RSRC2:TIDIG_COMP_CNT: 1
	.section	.text._ZL26rocblas_syr2k_her2k_kernelIlLb1ELb0ELb1ELi32EPK19rocblas_complex_numIfEPKS3_PKPS1_EvbiT_T4_T5_S9_lSB_S9_lT6_S9_li,"axG",@progbits,_ZL26rocblas_syr2k_her2k_kernelIlLb1ELb0ELb1ELi32EPK19rocblas_complex_numIfEPKS3_PKPS1_EvbiT_T4_T5_S9_lSB_S9_lT6_S9_li,comdat
	.globl	_ZL26rocblas_syr2k_her2k_kernelIlLb1ELb0ELb1ELi32EPK19rocblas_complex_numIfEPKS3_PKPS1_EvbiT_T4_T5_S9_lSB_S9_lT6_S9_li ; -- Begin function _ZL26rocblas_syr2k_her2k_kernelIlLb1ELb0ELb1ELi32EPK19rocblas_complex_numIfEPKS3_PKPS1_EvbiT_T4_T5_S9_lSB_S9_lT6_S9_li
	.p2align	8
	.type	_ZL26rocblas_syr2k_her2k_kernelIlLb1ELb0ELb1ELi32EPK19rocblas_complex_numIfEPKS3_PKPS1_EvbiT_T4_T5_S9_lSB_S9_lT6_S9_li,@function
_ZL26rocblas_syr2k_her2k_kernelIlLb1ELb0ELb1ELi32EPK19rocblas_complex_numIfEPKS3_PKPS1_EvbiT_T4_T5_S9_lSB_S9_lT6_S9_li: ; @_ZL26rocblas_syr2k_her2k_kernelIlLb1ELb0ELb1ELi32EPK19rocblas_complex_numIfEPKS3_PKPS1_EvbiT_T4_T5_S9_lSB_S9_lT6_S9_li
; %bb.0:
	s_load_b512 s[16:31], s[0:1], 0x8
	s_waitcnt lgkmcnt(0)
	s_load_b64 s[8:9], s[18:19], 0x0
	s_waitcnt lgkmcnt(0)
	v_cmp_eq_f32_e64 s2, s8, 0
	v_cmp_eq_f32_e64 s3, s9, 0
	s_delay_alu instid0(VALU_DEP_1) | instskip(NEXT) | instid1(SALU_CYCLE_1)
	s_and_b32 s2, s2, s3
	s_and_b32 vcc_lo, exec_lo, s2
	s_cbranch_vccnz .LBB1883_17
; %bb.1:
	s_load_b64 s[2:3], s[0:1], 0x0
	s_lshl_b32 s12, s14, 5
	s_lshl_b32 s13, s13, 5
	s_waitcnt lgkmcnt(0)
	s_and_b32 s2, 1, s2
	s_delay_alu instid0(SALU_CYCLE_1) | instskip(SKIP_1) | instid1(SALU_CYCLE_1)
	s_cmp_eq_u32 s2, 1
	s_cselect_b32 s2, -1, 0
	s_and_b32 s4, s2, exec_lo
	s_cselect_b32 s4, s13, s12
	s_cselect_b32 s5, s12, s13
	s_delay_alu instid0(SALU_CYCLE_1)
	s_cmp_gt_i32 s4, s5
	s_cbranch_scc1 .LBB1883_17
; %bb.2:
	v_cmp_lt_i64_e64 s4, s[16:17], 1
	s_delay_alu instid0(VALU_DEP_1)
	s_and_b32 vcc_lo, exec_lo, s4
	s_cbranch_vccnz .LBB1883_17
; %bb.3:
	s_clause 0x1
	s_load_b128 s[4:7], s[0:1], 0x48
	s_load_b64 s[0:1], s[0:1], 0x58
	s_mov_b32 s10, s15
	s_mov_b32 s11, 0
	v_bfe_u32 v6, v0, 10, 10
	v_and_b32_e32 v7, 0x3ff, v0
	s_lshl_b64 s[18:19], s[10:11], 3
	v_mov_b32_e32 v3, 0
	s_add_u32 s10, s20, s18
	v_add_nc_u32_e32 v4, s12, v6
	s_addc_u32 s11, s21, s19
	s_add_u32 s12, s26, s18
	v_dual_mov_b32 v5, v3 :: v_dual_add_nc_u32 v2, s13, v7
	s_addc_u32 s13, s27, s19
	s_load_b64 s[10:11], s[10:11], 0x0
	v_ashrrev_i32_e32 v10, 31, v4
	v_mad_u64_u32 v[0:1], null, s28, v4, 0
	v_max_i32_e32 v14, v2, v4
	s_waitcnt lgkmcnt(0)
	s_add_u32 s18, s4, s18
	s_addc_u32 s19, s5, s19
	s_load_b64 s[4:5], s[12:13], 0x0
	s_load_b64 s[12:13], s[18:19], 0x0
	v_mul_lo_u32 v18, v10, s6
	v_mul_lo_u32 v19, v4, s7
	v_mad_u64_u32 v[12:13], null, v4, s6, 0
	v_cmp_gt_i32_e32 vcc_lo, s3, v14
	v_mad_u64_u32 v[14:15], null, s29, v4, v[1:2]
	s_lshl_b64 s[0:1], s[0:1], 3
	v_lshlrev_b32_e32 v22, 3, v6
	s_mov_b32 s14, s3
	s_delay_alu instid0(VALU_DEP_4)
	v_add3_u32 v13, v13, v19, v18
	v_cndmask_b32_e64 v16, v2, v4, s2
	v_cndmask_b32_e64 v17, v4, v2, s2
	v_mov_b32_e32 v1, v14
	v_mad_u64_u32 v[14:15], null, s28, v2, 0
	v_lshlrev_b64 v[12:13], 3, v[12:13]
	v_lshlrev_b32_e32 v8, 8, v7
	s_delay_alu instid0(VALU_DEP_4)
	v_lshlrev_b64 v[0:1], 3, v[0:1]
	s_waitcnt lgkmcnt(0)
	s_add_u32 s6, s12, s0
	s_addc_u32 s7, s13, s1
	s_ashr_i32 s15, s3, 31
	v_cmp_le_i32_e64 s2, v17, v16
	v_cmp_gt_i64_e64 s0, s[14:15], v[2:3]
	v_ashrrev_i32_e32 v3, 31, v2
	v_cmp_gt_i64_e64 s1, s[14:15], v[4:5]
	v_add_co_u32 v5, s3, s6, v12
	s_delay_alu instid0(VALU_DEP_1) | instskip(NEXT) | instid1(VALU_DEP_4)
	v_add_co_ci_u32_e64 v18, s3, s7, v13, s3
	v_lshlrev_b64 v[12:13], 3, v[2:3]
	v_mov_b32_e32 v3, v15
	s_lshl_b64 s[6:7], s[30:31], 3
	v_lshlrev_b32_e32 v23, 3, v7
	v_add_co_u32 v19, s3, v0, s6
	s_delay_alu instid0(VALU_DEP_3) | instskip(SKIP_3) | instid1(VALU_DEP_1)
	v_mad_u64_u32 v[15:16], null, s29, v2, v[3:4]
	v_mad_u64_u32 v[16:17], null, s22, v4, 0
	v_add_co_ci_u32_e64 v20, s3, s7, v1, s3
	v_add_co_u32 v0, s3, v5, v12
	v_add_co_ci_u32_e64 v1, s3, v18, v13, s3
	s_delay_alu instid0(VALU_DEP_4) | instskip(SKIP_3) | instid1(VALU_DEP_4)
	v_dual_mov_b32 v3, v17 :: v_dual_add_nc_u32 v10, v8, v22
	v_add_co_u32 v5, s3, v19, v23
	v_mad_u64_u32 v[18:19], null, s22, v2, 0
	v_add_co_ci_u32_e64 v12, s3, 0, v20, s3
	v_mad_u64_u32 v[20:21], null, s23, v4, v[3:4]
	s_delay_alu instid0(VALU_DEP_4)
	v_add_co_u32 v5, s3, v5, s4
	v_or_b32_e32 v9, 0x2000, v22
	v_mov_b32_e32 v3, v19
	v_add_co_ci_u32_e64 v13, s3, s5, v12, s3
	v_lshlrev_b64 v[14:15], 3, v[14:15]
	v_add_co_u32 v12, s3, v5, 4
	v_dual_mov_b32 v17, v20 :: v_dual_add_nc_u32 v20, 0x800, v9
	v_mad_u64_u32 v[4:5], null, s23, v2, v[3:4]
	v_add_co_ci_u32_e64 v13, s3, 0, v13, s3
	v_add_co_u32 v2, s3, v14, s6
	s_delay_alu instid0(VALU_DEP_1) | instskip(NEXT) | instid1(VALU_DEP_4)
	v_add_co_ci_u32_e64 v3, s3, s7, v15, s3
	v_mov_b32_e32 v19, v4
	s_delay_alu instid0(VALU_DEP_3) | instskip(NEXT) | instid1(VALU_DEP_1)
	v_add_co_u32 v5, s3, v2, v22
	v_add_co_ci_u32_e64 v15, s3, 0, v3, s3
	v_lshlrev_b64 v[2:3], 3, v[16:17]
	s_delay_alu instid0(VALU_DEP_3) | instskip(SKIP_1) | instid1(VALU_DEP_4)
	v_add_co_u32 v14, s3, s4, v5
	v_lshlrev_b64 v[4:5], 3, v[18:19]
	v_add_co_ci_u32_e64 v15, s3, s5, v15, s3
	s_lshl_b64 s[4:5], s[24:25], 3
	v_add_nc_u32_e32 v11, v9, v8
	v_add_co_u32 v2, s3, v2, s4
	s_delay_alu instid0(VALU_DEP_1) | instskip(SKIP_1) | instid1(VALU_DEP_1)
	v_add_co_ci_u32_e64 v3, s3, s5, v3, s3
	v_add_co_u32 v4, s3, v4, s4
	v_add_co_ci_u32_e64 v5, s3, s5, v5, s3
	s_delay_alu instid0(VALU_DEP_4) | instskip(NEXT) | instid1(VALU_DEP_1)
	v_add_co_u32 v2, s3, v2, v23
	v_add_co_ci_u32_e64 v3, s3, 0, v3, s3
	s_delay_alu instid0(VALU_DEP_4) | instskip(SKIP_3) | instid1(VALU_DEP_1)
	v_add_co_u32 v4, s3, v4, v22
	v_add_nc_u32_e32 v22, 0x1800, v9
	v_add_co_ci_u32_e64 v5, s3, 0, v5, s3
	v_add_co_u32 v2, s3, v2, s10
	v_add_co_ci_u32_e64 v3, s3, s11, v3, s3
	v_add_co_u32 v4, s3, v4, s10
	s_delay_alu instid0(VALU_DEP_1) | instskip(NEXT) | instid1(VALU_DEP_4)
	v_add_co_ci_u32_e64 v5, s3, s11, v5, s3
	v_add_co_u32 v16, s3, v2, 4
	s_delay_alu instid0(VALU_DEP_1) | instskip(NEXT) | instid1(VALU_DEP_4)
	v_add_co_ci_u32_e64 v17, s3, 0, v3, s3
	v_add_co_u32 v18, s3, v4, 4
	s_delay_alu instid0(VALU_DEP_1)
	v_add_co_ci_u32_e64 v19, s3, 0, v5, s3
	v_add_nc_u32_e32 v21, 0x1000, v9
	s_and_b32 s6, s2, vcc_lo
	s_mov_b64 s[2:3], 0
	s_mov_b64 s[4:5], 0
	s_branch .LBB1883_5
.LBB1883_4:                             ;   in Loop: Header=BB1883_5 Depth=1
	s_or_b32 exec_lo, exec_lo, s7
	s_add_u32 s4, s4, 32
	s_addc_u32 s5, s5, 0
	s_add_u32 s2, s2, 0x100
	v_cmp_lt_i64_e64 s7, s[4:5], s[16:17]
	s_addc_u32 s3, s3, 0
	s_waitcnt_vscnt null, 0x0
	s_barrier
	buffer_gl0_inv
	s_and_b32 vcc_lo, exec_lo, s7
	s_cbranch_vccz .LBB1883_17
.LBB1883_5:                             ; =>This Inner Loop Header: Depth=1
	v_add_co_u32 v2, s7, v6, s4
	s_delay_alu instid0(VALU_DEP_1) | instskip(NEXT) | instid1(VALU_DEP_1)
	v_add_co_ci_u32_e64 v3, null, 0, s5, s7
	v_cmp_gt_i64_e32 vcc_lo, s[16:17], v[2:3]
	v_dual_mov_b32 v2, 0 :: v_dual_mov_b32 v3, 0
	s_and_b32 s7, s0, vcc_lo
	s_delay_alu instid0(SALU_CYCLE_1)
	s_and_saveexec_b32 s10, s7
	s_cbranch_execz .LBB1883_7
; %bb.6:                                ;   in Loop: Header=BB1883_5 Depth=1
	v_add_co_u32 v2, vcc_lo, v18, s2
	v_add_co_ci_u32_e32 v3, vcc_lo, s3, v19, vcc_lo
	global_load_b64 v[2:3], v[2:3], off offset:-4
.LBB1883_7:                             ;   in Loop: Header=BB1883_5 Depth=1
	s_or_b32 exec_lo, exec_lo, s10
	v_add_co_u32 v4, s10, v7, s4
	s_delay_alu instid0(VALU_DEP_1)
	v_add_co_ci_u32_e64 v5, null, 0, s5, s10
	s_waitcnt vmcnt(0)
	ds_store_b64 v10, v[2:3]
	v_cmp_gt_i64_e32 vcc_lo, s[16:17], v[4:5]
	v_dual_mov_b32 v4, 0 :: v_dual_mov_b32 v5, 0
	s_and_b32 s10, s1, vcc_lo
	s_delay_alu instid0(SALU_CYCLE_1)
	s_and_saveexec_b32 s11, s10
	s_cbranch_execz .LBB1883_9
; %bb.8:                                ;   in Loop: Header=BB1883_5 Depth=1
	v_add_co_u32 v2, vcc_lo, v12, s2
	v_add_co_ci_u32_e32 v3, vcc_lo, s3, v13, vcc_lo
	global_load_b64 v[4:5], v[2:3], off offset:-4
.LBB1883_9:                             ;   in Loop: Header=BB1883_5 Depth=1
	s_or_b32 exec_lo, exec_lo, s11
	s_waitcnt vmcnt(0)
	ds_store_b64 v11, v[4:5]
	s_waitcnt lgkmcnt(0)
	s_barrier
	buffer_gl0_inv
	s_and_saveexec_b32 s11, s6
	s_cbranch_execz .LBB1883_11
; %bb.10:                               ;   in Loop: Header=BB1883_5 Depth=1
	global_load_b64 v[143:144], v[0:1], off
	ds_load_2addr_b64 v[2:5], v9 offset1:32
	ds_load_b128 v[23:26], v8
	ds_load_b128 v[27:30], v8 offset:16
	ds_load_b128 v[31:34], v8 offset:32
	;; [unrolled: 1-line block ×3, first 2 shown]
	ds_load_2addr_b64 v[39:42], v9 offset0:64 offset1:96
	ds_load_2addr_b64 v[43:46], v9 offset0:128 offset1:160
	ds_load_2addr_b64 v[47:50], v9 offset0:192 offset1:224
	ds_load_2addr_b64 v[51:54], v20 offset1:32
	ds_load_b128 v[55:58], v8 offset:64
	ds_load_b128 v[59:62], v8 offset:80
	ds_load_2addr_b64 v[63:66], v20 offset0:64 offset1:96
	ds_load_2addr_b64 v[67:70], v20 offset0:128 offset1:160
	ds_load_b128 v[71:74], v8 offset:96
	ds_load_b128 v[75:78], v8 offset:112
	ds_load_2addr_b64 v[79:82], v20 offset0:192 offset1:224
	ds_load_2addr_b64 v[83:86], v21 offset1:32
	ds_load_b128 v[87:90], v8 offset:128
	ds_load_b128 v[91:94], v8 offset:144
	ds_load_2addr_b64 v[95:98], v21 offset0:64 offset1:96
	ds_load_2addr_b64 v[99:102], v21 offset0:128 offset1:160
	ds_load_b128 v[103:106], v8 offset:160
	ds_load_b128 v[107:110], v8 offset:176
	ds_load_2addr_b64 v[111:114], v21 offset0:192 offset1:224
	ds_load_2addr_b64 v[115:118], v22 offset1:32
	ds_load_b128 v[119:122], v8 offset:192
	ds_load_b128 v[123:126], v8 offset:208
	ds_load_2addr_b64 v[127:130], v22 offset0:64 offset1:96
	ds_load_2addr_b64 v[131:134], v22 offset0:128 offset1:160
	s_waitcnt lgkmcnt(27)
	v_dual_mul_f32 v145, v3, v24 :: v_dual_mul_f32 v146, v5, v26
	v_mul_f32_e32 v24, v2, v24
	v_mul_f32_e32 v26, v4, v26
	s_waitcnt lgkmcnt(22)
	v_mul_f32_e32 v147, v44, v32
	v_fma_f32 v145, v2, v23, -v145
	v_mul_f32_e32 v32, v43, v32
	v_fmac_f32_e32 v24, v3, v23
	v_fma_f32 v23, v4, v25, -v146
	v_dual_fmac_f32 v26, v5, v25 :: v_dual_mul_f32 v25, v40, v28
	v_mul_f32_e32 v28, v39, v28
	v_mul_f32_e32 v146, v42, v30
	;; [unrolled: 1-line block ×3, first 2 shown]
	v_fma_f32 v43, v43, v31, -v147
	v_fma_f32 v25, v39, v27, -v25
	s_waitcnt lgkmcnt(21)
	v_dual_mul_f32 v39, v50, v38 :: v_dual_fmac_f32 v28, v40, v27
	v_fma_f32 v27, v41, v29, -v146
	s_waitcnt lgkmcnt(19)
	v_mul_f32_e32 v40, v52, v56
	v_dual_mul_f32 v41, v51, v56 :: v_dual_add_f32 v56, 0, v145
	v_mul_f32_e32 v148, v46, v34
	v_dual_fmac_f32 v30, v42, v29 :: v_dual_mul_f32 v29, v45, v34
	v_fmac_f32_e32 v32, v44, v31
	s_delay_alu instid0(VALU_DEP_4) | instskip(NEXT) | instid1(VALU_DEP_4)
	v_add_f32_e32 v23, v56, v23
	v_fma_f32 v31, v45, v33, -v148
	s_delay_alu instid0(VALU_DEP_4) | instskip(SKIP_1) | instid1(VALU_DEP_4)
	v_dual_mul_f32 v38, v49, v38 :: v_dual_fmac_f32 v29, v46, v33
	v_mul_f32_e32 v33, v53, v58
	v_dual_add_f32 v23, v23, v25 :: v_dual_mul_f32 v34, v48, v36
	v_mul_f32_e32 v36, v47, v36
	s_waitcnt lgkmcnt(13)
	v_mul_f32_e32 v25, v79, v76
	v_fmac_f32_e32 v33, v54, v57
	v_dual_add_f32 v23, v23, v27 :: v_dual_mul_f32 v42, v54, v58
	v_fma_f32 v34, v47, v35, -v34
	s_waitcnt lgkmcnt(11)
	v_dual_mul_f32 v27, v84, v88 :: v_dual_fmac_f32 v38, v50, v37
	s_delay_alu instid0(VALU_DEP_3) | instskip(SKIP_3) | instid1(VALU_DEP_3)
	v_dual_add_f32 v23, v23, v43 :: v_dual_add_f32 v24, 0, v24
	s_waitcnt lgkmcnt(9)
	v_dual_mul_f32 v43, v95, v92 :: v_dual_mul_f32 v58, v65, v62
	v_fmac_f32_e32 v41, v52, v55
	v_dual_add_f32 v23, v23, v31 :: v_dual_add_f32 v24, v24, v26
	v_mul_f32_e32 v26, v68, v72
	v_fma_f32 v27, v83, v87, -v27
	v_dual_mul_f32 v44, v64, v60 :: v_dual_mul_f32 v47, v98, v94
	s_delay_alu instid0(VALU_DEP_4) | instskip(NEXT) | instid1(VALU_DEP_4)
	v_add_f32_e32 v23, v23, v34
	v_fma_f32 v26, v67, v71, -v26
	v_fmac_f32_e32 v36, v48, v35
	v_fma_f32 v35, v49, v37, -v39
	v_mul_f32_e32 v56, v70, v74
	v_mul_f32_e32 v39, v85, v90
	v_dual_mul_f32 v45, v63, v60 :: v_dual_mul_f32 v46, v66, v62
	s_delay_alu instid0(VALU_DEP_4) | instskip(NEXT) | instid1(VALU_DEP_2)
	v_dual_add_f32 v23, v23, v35 :: v_dual_add_f32 v24, v24, v28
	v_dual_mul_f32 v28, v69, v74 :: v_dual_fmac_f32 v45, v64, v59
	s_delay_alu instid0(VALU_DEP_4)
	v_dual_fmac_f32 v39, v86, v89 :: v_dual_mul_f32 v60, v67, v72
	s_waitcnt lgkmcnt(7)
	v_mul_f32_e32 v35, v102, v106
	v_add_f32_e32 v24, v24, v30
	v_fmac_f32_e32 v58, v66, v61
	v_mul_f32_e32 v62, v80, v76
	v_fmac_f32_e32 v28, v70, v73
	v_fma_f32 v35, v101, v105, -v35
	v_add_f32_e32 v24, v24, v32
	v_dual_mul_f32 v72, v81, v78 :: v_dual_fmac_f32 v25, v80, v75
	ds_load_b128 v[135:138], v8 offset:224
	ds_load_b128 v[139:142], v8 offset:240
	v_mul_f32_e32 v32, v83, v88
	v_add_f32_e32 v24, v24, v29
	v_dual_mul_f32 v29, v96, v92 :: v_dual_fmac_f32 v72, v82, v77
	v_mul_f32_e32 v37, v86, v90
	s_delay_alu instid0(VALU_DEP_3) | instskip(NEXT) | instid1(VALU_DEP_3)
	v_dual_mul_f32 v31, v97, v94 :: v_dual_add_f32 v24, v24, v36
	v_fma_f32 v29, v95, v91, -v29
	v_fmac_f32_e32 v60, v68, v71
	v_dual_mul_f32 v34, v99, v104 :: v_dual_fmac_f32 v43, v96, v91
	s_delay_alu instid0(VALU_DEP_4) | instskip(SKIP_4) | instid1(VALU_DEP_4)
	v_add_f32_e32 v24, v24, v38
	v_fma_f32 v38, v51, v55, -v40
	v_fma_f32 v40, v53, v57, -v42
	;; [unrolled: 1-line block ×3, first 2 shown]
	v_fmac_f32_e32 v31, v98, v93
	v_dual_add_f32 v24, v24, v41 :: v_dual_add_f32 v23, v23, v38
	v_fma_f32 v38, v63, v59, -v44
	v_fma_f32 v41, v65, v61, -v46
	ds_load_2addr_b64 v[2:5], v22 offset0:192 offset1:224
	v_dual_add_f32 v24, v24, v33 :: v_dual_add_f32 v23, v23, v40
	s_waitcnt lgkmcnt(8)
	v_dual_mul_f32 v33, v101, v106 :: v_dual_mul_f32 v40, v112, v108
	v_fmac_f32_e32 v34, v100, v103
	s_delay_alu instid0(VALU_DEP_3) | instskip(SKIP_1) | instid1(VALU_DEP_4)
	v_dual_add_f32 v24, v24, v45 :: v_dual_add_f32 v23, v23, v38
	v_mul_f32_e32 v30, v82, v78
	v_dual_fmac_f32 v33, v102, v105 :: v_dual_mul_f32 v38, v111, v108
	s_delay_alu instid0(VALU_DEP_3) | instskip(NEXT) | instid1(VALU_DEP_3)
	v_dual_add_f32 v24, v24, v58 :: v_dual_add_f32 v23, v23, v41
	v_fma_f32 v30, v81, v77, -v30
	v_dual_mul_f32 v41, v114, v110 :: v_dual_fmac_f32 v32, v84, v87
	s_delay_alu instid0(VALU_DEP_3) | instskip(SKIP_1) | instid1(VALU_DEP_2)
	v_dual_add_f32 v24, v24, v60 :: v_dual_add_f32 v23, v23, v26
	v_mul_f32_e32 v26, v113, v110
	v_add_f32_e32 v24, v24, v28
	v_fma_f32 v28, v79, v75, -v62
	s_delay_alu instid0(VALU_DEP_2) | instskip(SKIP_2) | instid1(VALU_DEP_2)
	v_dual_add_f32 v23, v23, v42 :: v_dual_add_f32 v24, v24, v25
	s_waitcnt lgkmcnt(6)
	v_mul_f32_e32 v25, v116, v120
	v_add_f32_e32 v23, v23, v28
	v_mul_f32_e32 v36, v100, v104
	s_delay_alu instid0(VALU_DEP_3) | instskip(NEXT) | instid1(VALU_DEP_3)
	v_fma_f32 v25, v115, v119, -v25
	v_add_f32_e32 v23, v23, v30
	s_delay_alu instid0(VALU_DEP_1) | instskip(SKIP_1) | instid1(VALU_DEP_1)
	v_dual_mul_f32 v30, v118, v122 :: v_dual_add_f32 v23, v23, v27
	v_dual_mul_f32 v27, v117, v122 :: v_dual_add_f32 v24, v24, v72
	v_dual_fmac_f32 v27, v118, v121 :: v_dual_add_f32 v24, v24, v32
	v_fma_f32 v32, v85, v89, -v37
	v_fma_f32 v37, v97, v93, -v47
	s_delay_alu instid0(VALU_DEP_2) | instskip(NEXT) | instid1(VALU_DEP_1)
	v_dual_add_f32 v24, v24, v39 :: v_dual_add_f32 v23, v23, v32
	v_dual_add_f32 v24, v24, v43 :: v_dual_add_f32 v23, v23, v29
	s_waitcnt lgkmcnt(4)
	v_mul_f32_e32 v29, v127, v124
	v_mul_f32_e32 v28, v115, v120
	s_delay_alu instid0(VALU_DEP_3)
	v_add_f32_e32 v24, v24, v31
	v_fma_f32 v31, v99, v103, -v36
	v_add_f32_e32 v23, v23, v37
	v_fmac_f32_e32 v29, v128, v123
	v_fmac_f32_e32 v28, v116, v119
	v_add_f32_e32 v24, v24, v34
	v_fma_f32 v36, v113, v109, -v41
	v_add_f32_e32 v23, v23, v31
	v_dual_mul_f32 v31, v129, v126 :: v_dual_fmac_f32 v38, v112, v107
	s_delay_alu instid0(VALU_DEP_4) | instskip(SKIP_1) | instid1(VALU_DEP_4)
	v_add_f32_e32 v24, v24, v33
	v_fma_f32 v33, v111, v107, -v40
	v_add_f32_e32 v23, v23, v35
	s_waitcnt lgkmcnt(2)
	v_dual_mul_f32 v35, v132, v136 :: v_dual_fmac_f32 v26, v114, v109
	v_dual_add_f32 v24, v24, v38 :: v_dual_fmac_f32 v31, v130, v125
	s_delay_alu instid0(VALU_DEP_1) | instskip(NEXT) | instid1(VALU_DEP_1)
	v_dual_add_f32 v23, v23, v33 :: v_dual_add_f32 v24, v24, v26
	v_add_f32_e32 v23, v23, v36
	s_delay_alu instid0(VALU_DEP_2) | instskip(NEXT) | instid1(VALU_DEP_2)
	v_add_f32_e32 v24, v24, v28
	v_dual_mul_f32 v28, v134, v138 :: v_dual_add_f32 v23, v23, v25
	s_delay_alu instid0(VALU_DEP_2) | instskip(NEXT) | instid1(VALU_DEP_2)
	v_dual_mul_f32 v25, v133, v138 :: v_dual_add_f32 v24, v24, v27
	v_fma_f32 v28, v133, v137, -v28
	s_delay_alu instid0(VALU_DEP_2) | instskip(SKIP_1) | instid1(VALU_DEP_3)
	v_dual_fmac_f32 v25, v134, v137 :: v_dual_mul_f32 v26, v131, v136
	s_waitcnt lgkmcnt(0)
	v_dual_add_f32 v24, v24, v29 :: v_dual_mul_f32 v29, v3, v140
	v_fma_f32 v30, v117, v121, -v30
	s_delay_alu instid0(VALU_DEP_3) | instskip(NEXT) | instid1(VALU_DEP_3)
	v_fmac_f32_e32 v26, v132, v135
	v_add_f32_e32 v24, v24, v31
	v_fma_f32 v31, v131, v135, -v35
	s_delay_alu instid0(VALU_DEP_4) | instskip(SKIP_1) | instid1(VALU_DEP_4)
	v_dual_add_f32 v23, v23, v30 :: v_dual_mul_f32 v32, v128, v124
	v_mul_f32_e32 v34, v130, v126
	v_add_f32_e32 v24, v24, v26
	v_mul_f32_e32 v26, v4, v142
	s_delay_alu instid0(VALU_DEP_4) | instskip(NEXT) | instid1(VALU_DEP_4)
	v_fma_f32 v27, v127, v123, -v32
	v_fma_f32 v30, v129, v125, -v34
	s_delay_alu instid0(VALU_DEP_2) | instskip(SKIP_2) | instid1(VALU_DEP_3)
	v_dual_fmac_f32 v26, v5, v141 :: v_dual_add_f32 v23, v23, v27
	v_mul_f32_e32 v27, v2, v140
	v_fma_f32 v2, v2, v139, -v29
	v_add_f32_e32 v23, v23, v30
	s_delay_alu instid0(VALU_DEP_3) | instskip(NEXT) | instid1(VALU_DEP_2)
	v_fmac_f32_e32 v27, v3, v139
	v_add_f32_e32 v3, v23, v31
	v_dual_add_f32 v23, v24, v25 :: v_dual_mul_f32 v24, v5, v142
	s_delay_alu instid0(VALU_DEP_2) | instskip(NEXT) | instid1(VALU_DEP_2)
	v_add_f32_e32 v3, v3, v28
	v_add_f32_e32 v5, v23, v27
	s_delay_alu instid0(VALU_DEP_3) | instskip(NEXT) | instid1(VALU_DEP_3)
	v_fma_f32 v4, v4, v141, -v24
	v_add_f32_e32 v2, v3, v2
	s_delay_alu instid0(VALU_DEP_1) | instskip(NEXT) | instid1(VALU_DEP_1)
	v_dual_add_f32 v3, v5, v26 :: v_dual_add_f32 v2, v2, v4
	v_mul_f32_e32 v4, s9, v3
	v_mul_f32_e32 v3, s8, v3
	s_delay_alu instid0(VALU_DEP_2) | instskip(SKIP_1) | instid1(VALU_DEP_1)
	v_fma_f32 v4, s8, v2, -v4
	s_waitcnt vmcnt(0)
	v_dual_fmac_f32 v3, s9, v2 :: v_dual_add_f32 v2, v143, v4
	s_delay_alu instid0(VALU_DEP_1)
	v_add_f32_e32 v3, v144, v3
	global_store_b64 v[0:1], v[2:3], off
.LBB1883_11:                            ;   in Loop: Header=BB1883_5 Depth=1
	s_or_b32 exec_lo, exec_lo, s11
	v_dual_mov_b32 v3, 0 :: v_dual_mov_b32 v4, 0
	v_mov_b32_e32 v5, 0
	s_waitcnt_vscnt null, 0x0
	s_barrier
	buffer_gl0_inv
	s_and_saveexec_b32 s11, s7
	s_cbranch_execz .LBB1883_13
; %bb.12:                               ;   in Loop: Header=BB1883_5 Depth=1
	v_add_co_u32 v4, vcc_lo, v14, s2
	v_add_co_ci_u32_e32 v5, vcc_lo, s3, v15, vcc_lo
	global_load_b64 v[4:5], v[4:5], off
.LBB1883_13:                            ;   in Loop: Header=BB1883_5 Depth=1
	s_or_b32 exec_lo, exec_lo, s11
	v_mov_b32_e32 v2, 0
	s_waitcnt vmcnt(0)
	ds_store_b64 v10, v[4:5]
	s_and_saveexec_b32 s7, s10
	s_cbranch_execz .LBB1883_15
; %bb.14:                               ;   in Loop: Header=BB1883_5 Depth=1
	v_add_co_u32 v2, vcc_lo, v16, s2
	v_add_co_ci_u32_e32 v3, vcc_lo, s3, v17, vcc_lo
	global_load_b64 v[2:3], v[2:3], off offset:-4
.LBB1883_15:                            ;   in Loop: Header=BB1883_5 Depth=1
	s_or_b32 exec_lo, exec_lo, s7
	s_waitcnt vmcnt(0)
	ds_store_b64 v11, v[2:3]
	s_waitcnt lgkmcnt(0)
	s_barrier
	buffer_gl0_inv
	s_and_saveexec_b32 s7, s6
	s_cbranch_execz .LBB1883_4
; %bb.16:                               ;   in Loop: Header=BB1883_5 Depth=1
	global_load_b64 v[147:148], v[0:1], off
	ds_load_b128 v[2:5], v8
	ds_load_b128 v[23:26], v8 offset:16
	ds_load_2addr_b64 v[27:30], v9 offset1:32
	ds_load_b128 v[31:34], v8 offset:32
	ds_load_b128 v[35:38], v8 offset:48
	ds_load_2addr_b64 v[39:42], v9 offset0:64 offset1:96
	ds_load_2addr_b64 v[43:46], v9 offset0:128 offset1:160
	;; [unrolled: 1-line block ×3, first 2 shown]
	ds_load_2addr_b64 v[51:54], v20 offset1:32
	ds_load_b128 v[55:58], v8 offset:64
	ds_load_b128 v[59:62], v8 offset:80
	ds_load_2addr_b64 v[63:66], v20 offset0:64 offset1:96
	ds_load_2addr_b64 v[67:70], v20 offset0:128 offset1:160
	ds_load_b128 v[71:74], v8 offset:96
	ds_load_b128 v[75:78], v8 offset:112
	ds_load_2addr_b64 v[79:82], v20 offset0:192 offset1:224
	ds_load_2addr_b64 v[83:86], v21 offset1:32
	ds_load_b128 v[87:90], v8 offset:128
	ds_load_b128 v[91:94], v8 offset:144
	ds_load_2addr_b64 v[95:98], v21 offset0:64 offset1:96
	ds_load_2addr_b64 v[99:102], v21 offset0:128 offset1:160
	ds_load_b128 v[103:106], v8 offset:160
	ds_load_b128 v[107:110], v8 offset:176
	ds_load_2addr_b64 v[111:114], v21 offset0:192 offset1:224
	;; [unrolled: 8-line block ×3, first 2 shown]
	s_waitcnt lgkmcnt(29)
	v_dual_mul_f32 v149, v28, v3 :: v_dual_mul_f32 v150, v30, v5
	s_waitcnt lgkmcnt(26)
	v_dual_mul_f32 v3, v27, v3 :: v_dual_mul_f32 v152, v42, v26
	v_mul_f32_e32 v5, v29, v5
	s_waitcnt lgkmcnt(25)
	v_dual_mul_f32 v153, v44, v32 :: v_dual_mul_f32 v154, v46, v34
	s_delay_alu instid0(VALU_DEP_3)
	v_dual_mul_f32 v32, v43, v32 :: v_dual_fmac_f32 v3, v28, v2
	v_fma_f32 v27, v27, v2, -v149
	v_dual_mul_f32 v151, v40, v24 :: v_dual_mul_f32 v26, v41, v26
	v_mul_f32_e32 v24, v39, v24
	s_waitcnt lgkmcnt(24)
	v_dual_mul_f32 v34, v45, v34 :: v_dual_mul_f32 v155, v48, v36
	v_dual_mul_f32 v36, v47, v36 :: v_dual_add_f32 v3, 0, v3
	s_waitcnt lgkmcnt(22)
	v_dual_mul_f32 v156, v50, v38 :: v_dual_mul_f32 v157, v52, v56
	v_dual_mul_f32 v56, v51, v56 :: v_dual_add_f32 v27, 0, v27
	s_waitcnt lgkmcnt(18)
	v_dual_mul_f32 v158, v54, v58 :: v_dual_mul_f32 v161, v68, v72
	v_dual_mul_f32 v58, v53, v58 :: v_dual_fmac_f32 v5, v30, v4
	v_fma_f32 v2, v29, v4, -v150
	v_dual_mul_f32 v38, v49, v38 :: v_dual_mul_f32 v159, v64, v60
	v_mul_f32_e32 v60, v63, v60
	s_waitcnt lgkmcnt(16)
	v_dual_mul_f32 v160, v66, v62 :: v_dual_mul_f32 v29, v79, v76
	v_dual_mul_f32 v62, v65, v62 :: v_dual_add_f32 v3, v3, v5
	s_waitcnt lgkmcnt(14)
	v_mul_f32_e32 v5, v85, v90
	v_fma_f32 v39, v39, v23, -v151
	v_dual_add_f32 v2, v27, v2 :: v_dual_fmac_f32 v29, v80, v75
	v_fma_f32 v27, v41, v25, -v152
	s_delay_alu instid0(VALU_DEP_4) | instskip(NEXT) | instid1(VALU_DEP_3)
	v_dual_fmac_f32 v56, v52, v55 :: v_dual_fmac_f32 v5, v86, v89
	v_add_f32_e32 v2, v2, v39
	v_fmac_f32_e32 v38, v50, v37
	v_fmac_f32_e32 v26, v42, v25
	v_fma_f32 v25, v43, v31, -v153
	v_fmac_f32_e32 v60, v64, v59
	v_add_f32_e32 v2, v2, v27
	v_fma_f32 v27, v45, v33, -v154
	v_fmac_f32_e32 v24, v40, v23
	v_fmac_f32_e32 v58, v54, v57
	v_fmac_f32_e32 v32, v44, v31
	v_add_f32_e32 v2, v2, v25
	v_fma_f32 v31, v47, v35, -v155
	s_waitcnt lgkmcnt(12)
	v_dual_mul_f32 v162, v70, v74 :: v_dual_mul_f32 v23, v96, v92
	v_dual_mul_f32 v72, v67, v72 :: v_dual_mul_f32 v25, v97, v94
	s_waitcnt lgkmcnt(10)
	v_dual_add_f32 v2, v2, v27 :: v_dual_mul_f32 v27, v100, v104
	s_delay_alu instid0(VALU_DEP_3) | instskip(NEXT) | instid1(VALU_DEP_3)
	v_fma_f32 v23, v95, v91, -v23
	v_dual_fmac_f32 v72, v68, v71 :: v_dual_fmac_f32 v25, v98, v93
	s_delay_alu instid0(VALU_DEP_3) | instskip(SKIP_2) | instid1(VALU_DEP_3)
	v_dual_add_f32 v2, v2, v31 :: v_dual_mul_f32 v31, v99, v104
	v_dual_mul_f32 v4, v69, v74 :: v_dual_add_f32 v3, v3, v24
	v_mul_f32_e32 v28, v80, v76
	v_dual_fmac_f32 v62, v66, v61 :: v_dual_fmac_f32 v31, v100, v103
	s_delay_alu instid0(VALU_DEP_3) | instskip(SKIP_3) | instid1(VALU_DEP_4)
	v_dual_fmac_f32 v34, v46, v33 :: v_dual_add_f32 v3, v3, v26
	v_mul_f32_e32 v30, v82, v78
	v_fmac_f32_e32 v4, v70, v73
	v_fmac_f32_e32 v36, v48, v35
	v_dual_mul_f32 v74, v81, v78 :: v_dual_add_f32 v3, v3, v32
	v_mul_f32_e32 v76, v84, v88
	v_mul_f32_e32 v78, v83, v88
	v_fma_f32 v32, v49, v37, -v156
	v_fma_f32 v33, v51, v55, -v157
	v_add_f32_e32 v3, v3, v34
	v_mul_f32_e32 v88, v86, v90
	v_fma_f32 v34, v53, v57, -v158
	v_add_f32_e32 v2, v2, v32
	v_fma_f32 v35, v63, v59, -v159
	v_add_f32_e32 v3, v3, v36
	v_fma_f32 v36, v65, v61, -v160
	v_fma_f32 v37, v67, v71, -v161
	v_dual_add_f32 v2, v2, v33 :: v_dual_mul_f32 v33, v101, v106
	s_delay_alu instid0(VALU_DEP_4) | instskip(SKIP_1) | instid1(VALU_DEP_3)
	v_dual_add_f32 v3, v3, v38 :: v_dual_fmac_f32 v74, v82, v77
	v_mul_f32_e32 v24, v95, v92
	v_add_f32_e32 v2, v2, v34
	s_delay_alu instid0(VALU_DEP_3)
	v_dual_mul_f32 v26, v98, v94 :: v_dual_add_f32 v3, v3, v56
	v_fmac_f32_e32 v33, v102, v105
	v_fma_f32 v38, v69, v73, -v162
	s_waitcnt lgkmcnt(8)
	v_dual_add_f32 v2, v2, v35 :: v_dual_mul_f32 v35, v111, v108
	v_add_f32_e32 v3, v3, v58
	v_fma_f32 v28, v79, v75, -v28
	v_fma_f32 v30, v81, v77, -v30
	s_delay_alu instid0(VALU_DEP_4) | instskip(SKIP_3) | instid1(VALU_DEP_4)
	v_add_f32_e32 v2, v2, v36
	v_dual_mul_f32 v36, v114, v110 :: v_dual_fmac_f32 v35, v112, v107
	v_add_f32_e32 v3, v3, v60
	v_fma_f32 v26, v97, v93, -v26
	v_dual_add_f32 v2, v2, v37 :: v_dual_mul_f32 v37, v113, v110
	s_delay_alu instid0(VALU_DEP_3) | instskip(NEXT) | instid1(VALU_DEP_2)
	v_dual_fmac_f32 v78, v84, v87 :: v_dual_add_f32 v3, v3, v62
	v_dual_fmac_f32 v24, v96, v91 :: v_dual_fmac_f32 v37, v114, v109
	s_delay_alu instid0(VALU_DEP_2) | instskip(NEXT) | instid1(VALU_DEP_1)
	v_add_f32_e32 v3, v3, v72
	v_add_f32_e32 v3, v3, v4
	s_waitcnt lgkmcnt(6)
	s_delay_alu instid0(VALU_DEP_1) | instskip(SKIP_1) | instid1(VALU_DEP_2)
	v_dual_mul_f32 v4, v116, v120 :: v_dual_add_f32 v3, v3, v29
	v_fma_f32 v29, v83, v87, -v76
	v_fma_f32 v4, v115, v119, -v4
	s_delay_alu instid0(VALU_DEP_3) | instskip(NEXT) | instid1(VALU_DEP_1)
	v_add_f32_e32 v3, v3, v74
	v_add_f32_e32 v3, v3, v78
	s_delay_alu instid0(VALU_DEP_1) | instskip(SKIP_2) | instid1(VALU_DEP_2)
	v_dual_mul_f32 v32, v102, v106 :: v_dual_add_f32 v3, v3, v5
	s_waitcnt lgkmcnt(4)
	v_mul_f32_e32 v5, v128, v124
	v_add_f32_e32 v3, v3, v24
	v_mul_f32_e32 v34, v112, v108
	v_fma_f32 v24, v99, v103, -v27
	s_delay_alu instid0(VALU_DEP_4) | instskip(NEXT) | instid1(VALU_DEP_4)
	v_fma_f32 v5, v127, v123, -v5
	v_add_f32_e32 v3, v3, v25
	s_delay_alu instid0(VALU_DEP_4) | instskip(SKIP_1) | instid1(VALU_DEP_3)
	v_fma_f32 v27, v111, v107, -v34
	v_mul_f32_e32 v25, v130, v126
	v_add_f32_e32 v3, v3, v31
	v_fma_f32 v31, v113, v109, -v36
	s_delay_alu instid0(VALU_DEP_3) | instskip(NEXT) | instid1(VALU_DEP_3)
	v_fma_f32 v25, v129, v125, -v25
	v_add_f32_e32 v3, v3, v33
	s_delay_alu instid0(VALU_DEP_1) | instskip(SKIP_1) | instid1(VALU_DEP_2)
	v_dual_add_f32 v3, v3, v35 :: v_dual_add_f32 v2, v2, v38
	v_fma_f32 v38, v85, v89, -v88
	v_dual_add_f32 v3, v3, v37 :: v_dual_add_f32 v2, v2, v28
	v_mul_f32_e32 v28, v115, v120
	s_delay_alu instid0(VALU_DEP_2) | instskip(NEXT) | instid1(VALU_DEP_1)
	v_add_f32_e32 v2, v2, v30
	v_dual_add_f32 v2, v2, v29 :: v_dual_mul_f32 v29, v117, v122
	s_delay_alu instid0(VALU_DEP_1) | instskip(NEXT) | instid1(VALU_DEP_2)
	v_add_f32_e32 v2, v2, v38
	v_fmac_f32_e32 v29, v118, v121
	s_delay_alu instid0(VALU_DEP_2) | instskip(NEXT) | instid1(VALU_DEP_1)
	v_dual_add_f32 v2, v2, v23 :: v_dual_mul_f32 v23, v127, v124
	v_add_f32_e32 v2, v2, v26
	v_fma_f32 v26, v101, v105, -v32
	s_delay_alu instid0(VALU_DEP_2) | instskip(NEXT) | instid1(VALU_DEP_1)
	v_dual_fmac_f32 v23, v128, v123 :: v_dual_add_f32 v2, v2, v24
	v_add_f32_e32 v2, v2, v26
	s_waitcnt lgkmcnt(2)
	v_mul_f32_e32 v26, v132, v136
	s_delay_alu instid0(VALU_DEP_2) | instskip(NEXT) | instid1(VALU_DEP_1)
	v_dual_add_f32 v2, v2, v27 :: v_dual_mul_f32 v27, v131, v136
	v_add_f32_e32 v2, v2, v31
	v_dual_mul_f32 v31, v134, v138 :: v_dual_fmac_f32 v28, v116, v119
	s_delay_alu instid0(VALU_DEP_2) | instskip(NEXT) | instid1(VALU_DEP_2)
	v_dual_fmac_f32 v27, v132, v135 :: v_dual_add_f32 v2, v2, v4
	v_dual_mul_f32 v4, v133, v138 :: v_dual_add_f32 v3, v3, v28
	s_waitcnt lgkmcnt(0)
	v_mul_f32_e32 v28, v144, v140
	s_delay_alu instid0(VALU_DEP_2) | instskip(NEXT) | instid1(VALU_DEP_3)
	v_fmac_f32_e32 v4, v134, v137
	v_dual_add_f32 v3, v3, v29 :: v_dual_mul_f32 v30, v118, v122
	s_delay_alu instid0(VALU_DEP_1) | instskip(NEXT) | instid1(VALU_DEP_2)
	v_add_f32_e32 v3, v3, v23
	v_fma_f32 v30, v117, v121, -v30
	v_fma_f32 v23, v131, v135, -v26
	;; [unrolled: 1-line block ×3, first 2 shown]
	s_delay_alu instid0(VALU_DEP_3) | instskip(NEXT) | instid1(VALU_DEP_1)
	v_add_f32_e32 v2, v2, v30
	v_dual_add_f32 v2, v2, v5 :: v_dual_mul_f32 v5, v143, v140
	v_mul_f32_e32 v24, v129, v126
	s_delay_alu instid0(VALU_DEP_2) | instskip(NEXT) | instid1(VALU_DEP_2)
	v_dual_add_f32 v2, v2, v25 :: v_dual_fmac_f32 v5, v144, v139
	v_fmac_f32_e32 v24, v130, v125
	v_fma_f32 v25, v133, v137, -v31
	s_delay_alu instid0(VALU_DEP_3) | instskip(NEXT) | instid1(VALU_DEP_3)
	v_dual_add_f32 v2, v2, v23 :: v_dual_mul_f32 v23, v145, v142
	v_dual_add_f32 v3, v3, v24 :: v_dual_mul_f32 v24, v146, v142
	s_delay_alu instid0(VALU_DEP_2) | instskip(NEXT) | instid1(VALU_DEP_3)
	v_add_f32_e32 v2, v2, v25
	v_fmac_f32_e32 v23, v146, v141
	s_delay_alu instid0(VALU_DEP_2) | instskip(NEXT) | instid1(VALU_DEP_1)
	v_dual_add_f32 v3, v3, v27 :: v_dual_add_f32 v2, v2, v26
	v_add_f32_e32 v3, v3, v4
	v_fma_f32 v4, v145, v141, -v24
	s_delay_alu instid0(VALU_DEP_1) | instskip(NEXT) | instid1(VALU_DEP_1)
	v_dual_add_f32 v3, v3, v5 :: v_dual_add_f32 v2, v2, v4
	v_add_f32_e32 v3, v3, v23
	s_delay_alu instid0(VALU_DEP_1) | instskip(NEXT) | instid1(VALU_DEP_1)
	v_dual_mul_f32 v5, s9, v2 :: v_dual_mul_f32 v4, s9, v3
	v_fmac_f32_e32 v5, s8, v3
	s_delay_alu instid0(VALU_DEP_2) | instskip(SKIP_1) | instid1(VALU_DEP_1)
	v_fma_f32 v2, s8, v2, -v4
	s_waitcnt vmcnt(0)
	v_dual_add_f32 v2, v147, v2 :: v_dual_add_f32 v3, v148, v5
	global_store_b64 v[0:1], v[2:3], off
	s_branch .LBB1883_4
.LBB1883_17:
	s_endpgm
	.section	.rodata,"a",@progbits
	.p2align	6, 0x0
	.amdhsa_kernel _ZL26rocblas_syr2k_her2k_kernelIlLb1ELb0ELb1ELi32EPK19rocblas_complex_numIfEPKS3_PKPS1_EvbiT_T4_T5_S9_lSB_S9_lT6_S9_li
		.amdhsa_group_segment_fixed_size 16384
		.amdhsa_private_segment_fixed_size 0
		.amdhsa_kernarg_size 100
		.amdhsa_user_sgpr_count 13
		.amdhsa_user_sgpr_dispatch_ptr 0
		.amdhsa_user_sgpr_queue_ptr 0
		.amdhsa_user_sgpr_kernarg_segment_ptr 1
		.amdhsa_user_sgpr_dispatch_id 0
		.amdhsa_user_sgpr_private_segment_size 0
		.amdhsa_wavefront_size32 1
		.amdhsa_uses_dynamic_stack 0
		.amdhsa_enable_private_segment 0
		.amdhsa_system_sgpr_workgroup_id_x 1
		.amdhsa_system_sgpr_workgroup_id_y 1
		.amdhsa_system_sgpr_workgroup_id_z 1
		.amdhsa_system_sgpr_workgroup_info 0
		.amdhsa_system_vgpr_workitem_id 1
		.amdhsa_next_free_vgpr 163
		.amdhsa_next_free_sgpr 32
		.amdhsa_reserve_vcc 1
		.amdhsa_float_round_mode_32 0
		.amdhsa_float_round_mode_16_64 0
		.amdhsa_float_denorm_mode_32 3
		.amdhsa_float_denorm_mode_16_64 3
		.amdhsa_dx10_clamp 1
		.amdhsa_ieee_mode 1
		.amdhsa_fp16_overflow 0
		.amdhsa_workgroup_processor_mode 1
		.amdhsa_memory_ordered 1
		.amdhsa_forward_progress 0
		.amdhsa_shared_vgpr_count 0
		.amdhsa_exception_fp_ieee_invalid_op 0
		.amdhsa_exception_fp_denorm_src 0
		.amdhsa_exception_fp_ieee_div_zero 0
		.amdhsa_exception_fp_ieee_overflow 0
		.amdhsa_exception_fp_ieee_underflow 0
		.amdhsa_exception_fp_ieee_inexact 0
		.amdhsa_exception_int_div_zero 0
	.end_amdhsa_kernel
	.section	.text._ZL26rocblas_syr2k_her2k_kernelIlLb1ELb0ELb1ELi32EPK19rocblas_complex_numIfEPKS3_PKPS1_EvbiT_T4_T5_S9_lSB_S9_lT6_S9_li,"axG",@progbits,_ZL26rocblas_syr2k_her2k_kernelIlLb1ELb0ELb1ELi32EPK19rocblas_complex_numIfEPKS3_PKPS1_EvbiT_T4_T5_S9_lSB_S9_lT6_S9_li,comdat
.Lfunc_end1883:
	.size	_ZL26rocblas_syr2k_her2k_kernelIlLb1ELb0ELb1ELi32EPK19rocblas_complex_numIfEPKS3_PKPS1_EvbiT_T4_T5_S9_lSB_S9_lT6_S9_li, .Lfunc_end1883-_ZL26rocblas_syr2k_her2k_kernelIlLb1ELb0ELb1ELi32EPK19rocblas_complex_numIfEPKS3_PKPS1_EvbiT_T4_T5_S9_lSB_S9_lT6_S9_li
                                        ; -- End function
	.section	.AMDGPU.csdata,"",@progbits
; Kernel info:
; codeLenInByte = 4080
; NumSgprs: 34
; NumVgprs: 163
; ScratchSize: 0
; MemoryBound: 0
; FloatMode: 240
; IeeeMode: 1
; LDSByteSize: 16384 bytes/workgroup (compile time only)
; SGPRBlocks: 4
; VGPRBlocks: 20
; NumSGPRsForWavesPerEU: 34
; NumVGPRsForWavesPerEU: 163
; Occupancy: 9
; WaveLimiterHint : 1
; COMPUTE_PGM_RSRC2:SCRATCH_EN: 0
; COMPUTE_PGM_RSRC2:USER_SGPR: 13
; COMPUTE_PGM_RSRC2:TRAP_HANDLER: 0
; COMPUTE_PGM_RSRC2:TGID_X_EN: 1
; COMPUTE_PGM_RSRC2:TGID_Y_EN: 1
; COMPUTE_PGM_RSRC2:TGID_Z_EN: 1
; COMPUTE_PGM_RSRC2:TIDIG_COMP_CNT: 1
	.section	.text._ZL26rocblas_syr2k_her2k_kernelIlLb1ELb0ELb0ELi32E19rocblas_complex_numIdEPKPKS1_PKPS1_EvbiT_T4_T5_S9_lSB_S9_lT6_S9_li,"axG",@progbits,_ZL26rocblas_syr2k_her2k_kernelIlLb1ELb0ELb0ELi32E19rocblas_complex_numIdEPKPKS1_PKPS1_EvbiT_T4_T5_S9_lSB_S9_lT6_S9_li,comdat
	.globl	_ZL26rocblas_syr2k_her2k_kernelIlLb1ELb0ELb0ELi32E19rocblas_complex_numIdEPKPKS1_PKPS1_EvbiT_T4_T5_S9_lSB_S9_lT6_S9_li ; -- Begin function _ZL26rocblas_syr2k_her2k_kernelIlLb1ELb0ELb0ELi32E19rocblas_complex_numIdEPKPKS1_PKPS1_EvbiT_T4_T5_S9_lSB_S9_lT6_S9_li
	.p2align	8
	.type	_ZL26rocblas_syr2k_her2k_kernelIlLb1ELb0ELb0ELi32E19rocblas_complex_numIdEPKPKS1_PKPS1_EvbiT_T4_T5_S9_lSB_S9_lT6_S9_li,@function
_ZL26rocblas_syr2k_her2k_kernelIlLb1ELb0ELb0ELi32E19rocblas_complex_numIdEPKPKS1_PKPS1_EvbiT_T4_T5_S9_lSB_S9_lT6_S9_li: ; @_ZL26rocblas_syr2k_her2k_kernelIlLb1ELb0ELb0ELi32E19rocblas_complex_numIdEPKPKS1_PKPS1_EvbiT_T4_T5_S9_lSB_S9_lT6_S9_li
; %bb.0:
	s_load_b512 s[16:31], s[0:1], 0x8
	s_waitcnt lgkmcnt(0)
	v_cmp_eq_f64_e64 s2, s[18:19], 0
	v_cmp_eq_f64_e64 s3, s[20:21], 0
	s_delay_alu instid0(VALU_DEP_1) | instskip(NEXT) | instid1(SALU_CYCLE_1)
	s_and_b32 s2, s2, s3
	s_and_b32 vcc_lo, exec_lo, s2
	s_cbranch_vccnz .LBB1884_17
; %bb.1:
	s_load_b64 s[2:3], s[0:1], 0x0
	s_mov_b32 s12, s15
	s_lshl_b32 s14, s14, 5
	s_lshl_b32 s15, s13, 5
	s_waitcnt lgkmcnt(0)
	s_and_b32 s2, 1, s2
	s_delay_alu instid0(SALU_CYCLE_1) | instskip(SKIP_1) | instid1(SALU_CYCLE_1)
	s_cmp_eq_u32 s2, 1
	s_cselect_b32 s2, -1, 0
	s_and_b32 s4, s2, exec_lo
	s_cselect_b32 s4, s15, s14
	s_cselect_b32 s5, s14, s15
	s_delay_alu instid0(SALU_CYCLE_1)
	s_cmp_gt_i32 s4, s5
	s_cbranch_scc1 .LBB1884_17
; %bb.2:
	v_cmp_lt_i64_e64 s4, s[16:17], 1
	s_delay_alu instid0(VALU_DEP_1)
	s_and_b32 vcc_lo, exec_lo, s4
	s_cbranch_vccnz .LBB1884_17
; %bb.3:
	s_load_b256 s[4:11], s[0:1], 0x48
	v_bfe_u32 v10, v0, 10, 10
	s_mov_b32 s13, 0
	v_and_b32_e32 v11, 0x3ff, v0
	v_mov_b32_e32 v1, 0
	s_lshl_b64 s[0:1], s[12:13], 3
	v_add_nc_u32_e32 v2, s14, v10
	s_add_u32 s12, s22, s0
	s_addc_u32 s13, s23, s1
	v_dual_mov_b32 v3, v1 :: v_dual_add_nc_u32 v0, s15, v11
	v_lshlrev_b32_e32 v6, 4, v10
	v_lshlrev_b32_e32 v12, 9, v11
	s_add_u32 s14, s28, s0
	v_ashrrev_i32_e32 v7, 31, v2
	s_addc_u32 s15, s29, s1
	v_or_b32_e32 v14, 0x4000, v6
	s_load_b64 s[14:15], s[14:15], 0x0
	v_add_nc_u32_e32 v13, v12, v6
	v_mad_u64_u32 v[4:5], null, s30, v11, 0
	s_waitcnt lgkmcnt(0)
	s_add_u32 s0, s6, s0
	s_addc_u32 s1, s7, s1
	v_mul_lo_u32 v17, v7, s8
	v_mul_lo_u32 v18, v2, s9
	v_mad_u64_u32 v[6:7], null, v2, s8, 0
	s_load_b64 s[6:7], s[0:1], 0x0
	s_load_b64 s[12:13], s[12:13], 0x0
	v_max_i32_e32 v16, v0, v2
	v_cndmask_b32_e64 v8, v0, v2, s2
	v_cndmask_b32_e64 v9, v2, v0, s2
	s_lshl_b64 s[4:5], s[4:5], 4
	v_mad_u64_u32 v[20:21], null, s24, v11, 0
	v_add3_u32 v7, v7, v18, v17
	v_mad_u64_u32 v[18:19], null, s30, v10, 0
	v_cmp_gt_i32_e32 vcc_lo, s3, v16
	v_cmp_le_i32_e64 s0, v9, v8
	s_delay_alu instid0(VALU_DEP_4)
	v_lshlrev_b64 v[16:17], 4, v[6:7]
	v_mad_u64_u32 v[6:7], null, s31, v11, v[5:6]
	v_ashrrev_i32_e32 v8, 31, v0
	v_mov_b32_e32 v7, v0
	s_add_u32 s8, s14, s4
	s_addc_u32 s9, s15, s5
	s_lshl_b64 s[4:5], s[10:11], 4
	s_mov_b32 s34, s3
	v_lshlrev_b64 v[8:9], 4, v[7:8]
	v_mov_b32_e32 v7, v19
	s_waitcnt lgkmcnt(0)
	s_add_u32 s2, s6, s4
	s_addc_u32 s4, s7, s5
	s_and_b32 s10, s0, vcc_lo
	v_add_co_u32 v22, vcc_lo, s2, v16
	v_add_co_ci_u32_e32 v23, vcc_lo, s4, v17, vcc_lo
	v_mov_b32_e32 v5, v6
	v_mad_u64_u32 v[16:17], null, s31, v10, v[7:8]
	v_mad_u64_u32 v[6:7], null, s24, v10, 0
	v_mov_b32_e32 v17, v21
	s_ashr_i32 s35, s3, 31
	v_add_co_u32 v8, vcc_lo, v22, v8
	v_cmp_gt_i64_e64 s1, s[34:35], v[2:3]
	v_lshlrev_b64 v[4:5], 4, v[4:5]
	v_lshlrev_b64 v[2:3], 4, v[2:3]
	v_mad_u64_u32 v[21:22], null, s25, v11, v[17:18]
	v_add_co_ci_u32_e32 v9, vcc_lo, v23, v9, vcc_lo
	v_mov_b32_e32 v19, v16
	v_mad_u64_u32 v[22:23], null, s25, v10, v[7:8]
	v_add_co_u32 v7, vcc_lo, v4, v2
	v_cmp_gt_i64_e64 s0, s[34:35], v[0:1]
	v_add_co_ci_u32_e32 v16, vcc_lo, v5, v3, vcc_lo
	v_lshlrev_b64 v[4:5], 4, v[18:19]
	v_lshlrev_b64 v[0:1], 4, v[0:1]
	v_or_b32_e32 v17, 8, v7
	v_mov_b32_e32 v7, v22
	v_lshlrev_b64 v[20:21], 4, v[20:21]
	s_lshl_b64 s[4:5], s[26:27], 4
	s_lshl_b64 s[2:3], s[30:31], 9
	v_add_co_u32 v18, vcc_lo, v4, v0
	v_add_co_ci_u32_e32 v19, vcc_lo, v5, v1, vcc_lo
	v_lshlrev_b64 v[4:5], 4, v[6:7]
	v_add_co_u32 v20, vcc_lo, v20, v2
	v_add_co_ci_u32_e32 v21, vcc_lo, v21, v3, vcc_lo
	v_add_nc_u32_e32 v15, v14, v12
	s_delay_alu instid0(VALU_DEP_4)
	v_add_co_u32 v22, vcc_lo, v4, v0
	s_add_u32 s4, s4, s12
	v_add_co_ci_u32_e32 v23, vcc_lo, v5, v1, vcc_lo
	s_addc_u32 s5, s5, s13
	s_add_u32 s11, s4, 8
	s_addc_u32 s12, s5, 0
	s_lshl_b64 s[4:5], s[24:25], 9
	s_mov_b64 s[6:7], 0
	s_branch .LBB1884_5
.LBB1884_4:                             ;   in Loop: Header=BB1884_5 Depth=1
	s_or_b32 exec_lo, exec_lo, s13
	s_add_u32 s6, s6, 32
	s_addc_u32 s7, s7, 0
	s_add_u32 s8, s8, s2
	v_cmp_lt_i64_e64 s13, s[6:7], s[16:17]
	s_addc_u32 s9, s9, s3
	s_add_u32 s11, s11, s4
	s_addc_u32 s12, s12, s5
	s_waitcnt_vscnt null, 0x0
	s_barrier
	s_and_b32 vcc_lo, exec_lo, s13
	buffer_gl0_inv
	s_cbranch_vccz .LBB1884_17
.LBB1884_5:                             ; =>This Inner Loop Header: Depth=1
	v_add_co_u32 v2, s13, v10, s6
	s_delay_alu instid0(VALU_DEP_1) | instskip(SKIP_2) | instid1(VALU_DEP_3)
	v_add_co_ci_u32_e64 v3, null, 0, s7, s13
	v_mov_b32_e32 v0, 0
	v_mov_b32_e32 v1, 0
	v_cmp_gt_i64_e32 vcc_lo, s[16:17], v[2:3]
	s_delay_alu instid0(VALU_DEP_2) | instskip(SKIP_2) | instid1(SALU_CYCLE_1)
	v_dual_mov_b32 v5, v1 :: v_dual_mov_b32 v4, v0
	v_dual_mov_b32 v7, v1 :: v_dual_mov_b32 v6, v0
	s_and_b32 s13, s0, vcc_lo
	s_and_saveexec_b32 s14, s13
	s_cbranch_execz .LBB1884_7
; %bb.6:                                ;   in Loop: Header=BB1884_5 Depth=1
	v_add_co_u32 v2, vcc_lo, s11, v22
	v_add_co_ci_u32_e32 v3, vcc_lo, s12, v23, vcc_lo
	global_load_b128 v[4:7], v[2:3], off offset:-8
.LBB1884_7:                             ;   in Loop: Header=BB1884_5 Depth=1
	s_or_b32 exec_lo, exec_lo, s14
	v_add_co_u32 v2, s14, v11, s6
	s_delay_alu instid0(VALU_DEP_1)
	v_add_co_ci_u32_e64 v3, null, 0, s7, s14
	s_waitcnt vmcnt(0)
	ds_store_b128 v13, v[4:7]
	v_cmp_gt_i64_e32 vcc_lo, s[16:17], v[2:3]
	v_dual_mov_b32 v3, v1 :: v_dual_mov_b32 v2, v0
	s_and_b32 s14, s1, vcc_lo
	s_delay_alu instid0(SALU_CYCLE_1)
	s_and_saveexec_b32 s15, s14
	s_cbranch_execz .LBB1884_9
; %bb.8:                                ;   in Loop: Header=BB1884_5 Depth=1
	v_add_co_u32 v0, vcc_lo, s8, v17
	v_add_co_ci_u32_e32 v1, vcc_lo, s9, v16, vcc_lo
	global_load_b128 v[0:3], v[0:1], off offset:-8
.LBB1884_9:                             ;   in Loop: Header=BB1884_5 Depth=1
	s_or_b32 exec_lo, exec_lo, s15
	s_waitcnt vmcnt(0)
	ds_store_b128 v15, v[0:3]
	s_waitcnt lgkmcnt(0)
	s_barrier
	buffer_gl0_inv
	s_and_saveexec_b32 s15, s10
	s_cbranch_execz .LBB1884_11
; %bb.10:                               ;   in Loop: Header=BB1884_5 Depth=1
	ds_load_b128 v[0:3], v14
	ds_load_b128 v[4:7], v12
	ds_load_b128 v[24:27], v12 offset:16
	ds_load_b128 v[28:31], v14 offset:512
	s_waitcnt lgkmcnt(2)
	v_mul_f64 v[32:33], v[0:1], v[6:7]
	v_mul_f64 v[6:7], v[2:3], v[6:7]
	s_waitcnt lgkmcnt(0)
	v_mul_f64 v[48:49], v[28:29], v[26:27]
	v_mul_f64 v[26:27], v[30:31], v[26:27]
	s_delay_alu instid0(VALU_DEP_4)
	v_fma_f64 v[2:3], v[2:3], v[4:5], v[32:33]
	ds_load_b128 v[32:35], v14 offset:1024
	ds_load_b128 v[36:39], v12 offset:32
	;; [unrolled: 1-line block ×4, first 2 shown]
	v_fma_f64 v[0:1], v[0:1], v[4:5], -v[6:7]
	v_fma_f64 v[4:5], v[30:31], v[24:25], v[48:49]
	v_fma_f64 v[52:53], v[28:29], v[24:25], -v[26:27]
	s_waitcnt lgkmcnt(2)
	v_mul_f64 v[50:51], v[32:33], v[38:39]
	v_mul_f64 v[38:39], v[34:35], v[38:39]
	s_waitcnt lgkmcnt(0)
	v_mul_f64 v[48:49], v[44:45], v[42:43]
	v_mul_f64 v[42:43], v[46:47], v[42:43]
	v_add_f64 v[2:3], v[2:3], 0
	v_fma_f64 v[34:35], v[34:35], v[36:37], v[50:51]
	v_add_f64 v[50:51], v[0:1], 0
	v_fma_f64 v[32:33], v[32:33], v[36:37], -v[38:39]
	v_fma_f64 v[36:37], v[46:47], v[40:41], v[48:49]
	v_add_f64 v[54:55], v[2:3], v[4:5]
	ds_load_b128 v[0:3], v12 offset:64
	ds_load_b128 v[4:7], v14 offset:2048
	ds_load_b128 v[24:27], v14 offset:2560
	ds_load_b128 v[28:31], v12 offset:80
	s_waitcnt lgkmcnt(2)
	v_mul_f64 v[56:57], v[4:5], v[2:3]
	v_add_f64 v[38:39], v[50:51], v[52:53]
	v_mul_f64 v[2:3], v[6:7], v[2:3]
	s_waitcnt lgkmcnt(0)
	v_mul_f64 v[48:49], v[24:25], v[30:31]
	v_fma_f64 v[50:51], v[44:45], v[40:41], -v[42:43]
	v_mul_f64 v[30:31], v[26:27], v[30:31]
	v_add_f64 v[34:35], v[54:55], v[34:35]
	v_fma_f64 v[6:7], v[6:7], v[0:1], v[56:57]
	v_add_f64 v[52:53], v[38:39], v[32:33]
	v_fma_f64 v[0:1], v[4:5], v[0:1], -v[2:3]
	v_fma_f64 v[2:3], v[26:27], v[28:29], v[48:49]
	v_add_f64 v[54:55], v[34:35], v[36:37]
	ds_load_b128 v[32:35], v12 offset:96
	ds_load_b128 v[36:39], v14 offset:3072
	ds_load_b128 v[40:43], v14 offset:3584
	ds_load_b128 v[44:47], v12 offset:112
	s_waitcnt lgkmcnt(2)
	v_mul_f64 v[56:57], v[36:37], v[34:35]
	v_add_f64 v[4:5], v[52:53], v[50:51]
	v_mul_f64 v[34:35], v[38:39], v[34:35]
	s_waitcnt lgkmcnt(0)
	v_mul_f64 v[48:49], v[40:41], v[46:47]
	v_fma_f64 v[50:51], v[24:25], v[28:29], -v[30:31]
	;; [unrolled: 18-line block ×11, first 2 shown]
	v_mul_f64 v[30:31], v[26:27], v[30:31]
	v_add_f64 v[38:39], v[54:55], v[38:39]
	v_fma_f64 v[6:7], v[6:7], v[0:1], v[56:57]
	v_add_f64 v[52:53], v[36:37], v[32:33]
	v_fma_f64 v[0:1], v[4:5], v[0:1], -v[2:3]
	v_fma_f64 v[2:3], v[26:27], v[28:29], v[48:49]
	v_add_f64 v[54:55], v[38:39], v[34:35]
	ds_load_b128 v[32:35], v12 offset:416
	ds_load_b128 v[36:39], v14 offset:13312
	;; [unrolled: 1-line block ×4, first 2 shown]
	s_waitcnt lgkmcnt(2)
	v_mul_f64 v[56:57], v[36:37], v[34:35]
	v_add_f64 v[4:5], v[52:53], v[50:51]
	v_mul_f64 v[34:35], v[38:39], v[34:35]
	s_waitcnt lgkmcnt(0)
	v_mul_f64 v[52:53], v[40:41], v[46:47]
	v_mul_f64 v[46:47], v[42:43], v[46:47]
	v_add_f64 v[6:7], v[54:55], v[6:7]
	v_fma_f64 v[54:55], v[24:25], v[28:29], -v[30:31]
	v_fma_f64 v[38:39], v[38:39], v[32:33], v[56:57]
	v_add_f64 v[56:57], v[4:5], v[0:1]
	v_fma_f64 v[32:33], v[36:37], v[32:33], -v[34:35]
	v_fma_f64 v[34:35], v[42:43], v[44:45], v[52:53]
	v_add_f64 v[58:59], v[6:7], v[2:3]
	ds_load_b128 v[0:3], v12 offset:448
	ds_load_b128 v[4:7], v14 offset:14336
	global_load_b128 v[24:27], v[8:9], off
	ds_load_b128 v[28:31], v14 offset:14848
	ds_load_b128 v[48:51], v12 offset:464
	v_add_f64 v[36:37], v[56:57], v[54:55]
	s_waitcnt lgkmcnt(2)
	v_mul_f64 v[60:61], v[4:5], v[2:3]
	v_mul_f64 v[2:3], v[6:7], v[2:3]
	s_waitcnt lgkmcnt(0)
	v_mul_f64 v[52:53], v[28:29], v[50:51]
	v_fma_f64 v[54:55], v[40:41], v[44:45], -v[46:47]
	v_mul_f64 v[50:51], v[30:31], v[50:51]
	v_add_f64 v[38:39], v[58:59], v[38:39]
	v_add_f64 v[56:57], v[36:37], v[32:33]
	v_fma_f64 v[6:7], v[6:7], v[0:1], v[60:61]
	v_fma_f64 v[0:1], v[4:5], v[0:1], -v[2:3]
	v_fma_f64 v[2:3], v[30:31], v[48:49], v[52:53]
	v_fma_f64 v[28:29], v[28:29], v[48:49], -v[50:51]
	v_add_f64 v[58:59], v[38:39], v[34:35]
	ds_load_b128 v[32:35], v12 offset:480
	ds_load_b128 v[36:39], v14 offset:15360
	;; [unrolled: 1-line block ×4, first 2 shown]
	s_waitcnt lgkmcnt(2)
	v_mul_f64 v[60:61], v[36:37], v[34:35]
	v_add_f64 v[4:5], v[56:57], v[54:55]
	v_mul_f64 v[30:31], v[38:39], v[34:35]
	s_waitcnt lgkmcnt(0)
	v_mul_f64 v[34:35], v[40:41], v[46:47]
	v_add_f64 v[6:7], v[58:59], v[6:7]
	v_fma_f64 v[38:39], v[38:39], v[32:33], v[60:61]
	v_add_f64 v[0:1], v[4:5], v[0:1]
	v_mul_f64 v[4:5], v[42:43], v[46:47]
	s_delay_alu instid0(VALU_DEP_4)
	v_add_f64 v[2:3], v[6:7], v[2:3]
	v_fma_f64 v[6:7], v[36:37], v[32:33], -v[30:31]
	v_fma_f64 v[30:31], v[42:43], v[44:45], v[34:35]
	v_add_f64 v[0:1], v[0:1], v[28:29]
	v_fma_f64 v[4:5], v[40:41], v[44:45], -v[4:5]
	v_add_f64 v[2:3], v[2:3], v[38:39]
	s_delay_alu instid0(VALU_DEP_3) | instskip(NEXT) | instid1(VALU_DEP_2)
	v_add_f64 v[0:1], v[0:1], v[6:7]
	v_add_f64 v[2:3], v[2:3], v[30:31]
	s_delay_alu instid0(VALU_DEP_2) | instskip(NEXT) | instid1(VALU_DEP_2)
	v_add_f64 v[0:1], v[0:1], v[4:5]
	v_mul_f64 v[4:5], s[20:21], v[2:3]
	v_mul_f64 v[2:3], s[18:19], v[2:3]
	s_delay_alu instid0(VALU_DEP_2) | instskip(NEXT) | instid1(VALU_DEP_2)
	v_fma_f64 v[4:5], s[18:19], v[0:1], -v[4:5]
	v_fma_f64 v[2:3], s[20:21], v[0:1], v[2:3]
	s_waitcnt vmcnt(0)
	s_delay_alu instid0(VALU_DEP_2) | instskip(NEXT) | instid1(VALU_DEP_2)
	v_add_f64 v[0:1], v[24:25], v[4:5]
	v_add_f64 v[2:3], v[26:27], v[2:3]
	global_store_b128 v[8:9], v[0:3], off
.LBB1884_11:                            ;   in Loop: Header=BB1884_5 Depth=1
	s_or_b32 exec_lo, exec_lo, s15
	v_mov_b32_e32 v2, 0
	v_mov_b32_e32 v3, 0
	s_waitcnt_vscnt null, 0x0
	s_barrier
	buffer_gl0_inv
	v_dual_mov_b32 v7, v3 :: v_dual_mov_b32 v6, v2
	v_dual_mov_b32 v5, v3 :: v_dual_mov_b32 v4, v2
	s_and_saveexec_b32 s15, s13
	s_cbranch_execz .LBB1884_13
; %bb.12:                               ;   in Loop: Header=BB1884_5 Depth=1
	v_add_co_u32 v0, vcc_lo, s8, v18
	v_add_co_ci_u32_e32 v1, vcc_lo, s9, v19, vcc_lo
	global_load_b128 v[4:7], v[0:1], off
.LBB1884_13:                            ;   in Loop: Header=BB1884_5 Depth=1
	s_or_b32 exec_lo, exec_lo, s15
	v_dual_mov_b32 v0, v2 :: v_dual_mov_b32 v1, v3
	s_waitcnt vmcnt(0)
	ds_store_b128 v13, v[4:7]
	s_and_saveexec_b32 s13, s14
	s_cbranch_execz .LBB1884_15
; %bb.14:                               ;   in Loop: Header=BB1884_5 Depth=1
	v_add_co_u32 v0, vcc_lo, s11, v20
	v_add_co_ci_u32_e32 v1, vcc_lo, s12, v21, vcc_lo
	global_load_b128 v[0:3], v[0:1], off offset:-8
.LBB1884_15:                            ;   in Loop: Header=BB1884_5 Depth=1
	s_or_b32 exec_lo, exec_lo, s13
	s_waitcnt vmcnt(0)
	ds_store_b128 v15, v[0:3]
	s_waitcnt lgkmcnt(0)
	s_barrier
	buffer_gl0_inv
	s_and_saveexec_b32 s13, s10
	s_cbranch_execz .LBB1884_4
; %bb.16:                               ;   in Loop: Header=BB1884_5 Depth=1
	ds_load_b128 v[0:3], v14
	ds_load_b128 v[4:7], v12
	ds_load_b128 v[24:27], v12 offset:16
	ds_load_b128 v[28:31], v14 offset:512
	s_waitcnt lgkmcnt(2)
	v_mul_f64 v[32:33], v[0:1], v[6:7]
	v_mul_f64 v[6:7], v[2:3], v[6:7]
	s_waitcnt lgkmcnt(0)
	v_mul_f64 v[40:41], v[30:31], v[26:27]
	v_mul_f64 v[26:27], v[28:29], v[26:27]
	s_delay_alu instid0(VALU_DEP_4) | instskip(NEXT) | instid1(VALU_DEP_4)
	v_fma_f64 v[42:43], v[2:3], v[4:5], v[32:33]
	v_fma_f64 v[44:45], v[0:1], v[4:5], -v[6:7]
	ds_load_b128 v[0:3], v14 offset:1024
	ds_load_b128 v[4:7], v12 offset:32
	;; [unrolled: 1-line block ×4, first 2 shown]
	v_fma_f64 v[28:29], v[28:29], v[24:25], -v[40:41]
	v_fma_f64 v[24:25], v[30:31], v[24:25], v[26:27]
	s_waitcnt lgkmcnt(2)
	v_mul_f64 v[46:47], v[2:3], v[6:7]
	v_mul_f64 v[6:7], v[0:1], v[6:7]
	s_waitcnt lgkmcnt(0)
	v_mul_f64 v[40:41], v[38:39], v[34:35]
	v_mul_f64 v[34:35], v[36:37], v[34:35]
	v_add_f64 v[26:27], v[42:43], 0
	v_add_f64 v[30:31], v[44:45], 0
	v_fma_f64 v[42:43], v[0:1], v[4:5], -v[46:47]
	v_fma_f64 v[44:45], v[2:3], v[4:5], v[6:7]
	v_fma_f64 v[36:37], v[36:37], v[32:33], -v[40:41]
	v_fma_f64 v[32:33], v[38:39], v[32:33], v[34:35]
	v_add_f64 v[46:47], v[26:27], v[24:25]
	v_add_f64 v[48:49], v[30:31], v[28:29]
	ds_load_b128 v[0:3], v12 offset:64
	ds_load_b128 v[4:7], v14 offset:2048
	ds_load_b128 v[24:27], v14 offset:2560
	ds_load_b128 v[28:31], v12 offset:80
	s_waitcnt lgkmcnt(2)
	v_mul_f64 v[50:51], v[6:7], v[2:3]
	v_mul_f64 v[2:3], v[4:5], v[2:3]
	s_waitcnt lgkmcnt(0)
	v_mul_f64 v[40:41], v[26:27], v[30:31]
	v_add_f64 v[34:35], v[46:47], v[44:45]
	v_add_f64 v[38:39], v[48:49], v[42:43]
	v_mul_f64 v[42:43], v[24:25], v[30:31]
	v_fma_f64 v[44:45], v[4:5], v[0:1], -v[50:51]
	v_fma_f64 v[46:47], v[6:7], v[0:1], v[2:3]
	v_fma_f64 v[24:25], v[24:25], v[28:29], -v[40:41]
	v_add_f64 v[48:49], v[34:35], v[32:33]
	v_add_f64 v[38:39], v[38:39], v[36:37]
	ds_load_b128 v[0:3], v12 offset:96
	ds_load_b128 v[4:7], v14 offset:3072
	ds_load_b128 v[30:33], v14 offset:3584
	ds_load_b128 v[34:37], v12 offset:112
	v_fma_f64 v[26:27], v[26:27], v[28:29], v[42:43]
	s_waitcnt lgkmcnt(2)
	v_mul_f64 v[50:51], v[6:7], v[2:3]
	v_mul_f64 v[2:3], v[4:5], v[2:3]
	s_waitcnt lgkmcnt(0)
	v_mul_f64 v[40:41], v[32:33], v[36:37]
	v_mul_f64 v[42:43], v[30:31], v[36:37]
	v_add_f64 v[28:29], v[48:49], v[46:47]
	v_add_f64 v[38:39], v[38:39], v[44:45]
	v_fma_f64 v[44:45], v[4:5], v[0:1], -v[50:51]
	v_fma_f64 v[46:47], v[6:7], v[0:1], v[2:3]
	v_fma_f64 v[30:31], v[30:31], v[34:35], -v[40:41]
	v_fma_f64 v[32:33], v[32:33], v[34:35], v[42:43]
	v_add_f64 v[28:29], v[28:29], v[26:27]
	v_add_f64 v[48:49], v[38:39], v[24:25]
	ds_load_b128 v[0:3], v12 offset:128
	ds_load_b128 v[4:7], v14 offset:4096
	ds_load_b128 v[24:27], v14 offset:4608
	ds_load_b128 v[36:39], v12 offset:144
	s_waitcnt lgkmcnt(2)
	v_mul_f64 v[50:51], v[6:7], v[2:3]
	v_mul_f64 v[2:3], v[4:5], v[2:3]
	s_waitcnt lgkmcnt(0)
	v_mul_f64 v[40:41], v[26:27], v[38:39]
	v_mul_f64 v[38:39], v[24:25], v[38:39]
	v_add_f64 v[28:29], v[28:29], v[46:47]
	v_add_f64 v[34:35], v[48:49], v[44:45]
	v_fma_f64 v[42:43], v[4:5], v[0:1], -v[50:51]
	v_fma_f64 v[44:45], v[6:7], v[0:1], v[2:3]
	v_fma_f64 v[24:25], v[24:25], v[36:37], -v[40:41]
	v_fma_f64 v[26:27], v[26:27], v[36:37], v[38:39]
	v_add_f64 v[46:47], v[28:29], v[32:33]
	v_add_f64 v[48:49], v[34:35], v[30:31]
	ds_load_b128 v[0:3], v12 offset:160
	ds_load_b128 v[4:7], v14 offset:5120
	ds_load_b128 v[28:31], v14 offset:5632
	ds_load_b128 v[32:35], v12 offset:176
	s_waitcnt lgkmcnt(2)
	v_mul_f64 v[50:51], v[6:7], v[2:3]
	v_mul_f64 v[2:3], v[4:5], v[2:3]
	s_waitcnt lgkmcnt(0)
	v_mul_f64 v[40:41], v[30:31], v[34:35]
	v_add_f64 v[36:37], v[46:47], v[44:45]
	v_add_f64 v[38:39], v[48:49], v[42:43]
	v_mul_f64 v[42:43], v[28:29], v[34:35]
	v_fma_f64 v[44:45], v[4:5], v[0:1], -v[50:51]
	v_fma_f64 v[46:47], v[6:7], v[0:1], v[2:3]
	v_fma_f64 v[28:29], v[28:29], v[32:33], -v[40:41]
	v_add_f64 v[48:49], v[36:37], v[26:27]
	v_add_f64 v[38:39], v[38:39], v[24:25]
	ds_load_b128 v[0:3], v12 offset:192
	ds_load_b128 v[4:7], v14 offset:6144
	ds_load_b128 v[24:27], v14 offset:6656
	ds_load_b128 v[34:37], v12 offset:208
	v_fma_f64 v[30:31], v[30:31], v[32:33], v[42:43]
	s_waitcnt lgkmcnt(2)
	v_mul_f64 v[50:51], v[6:7], v[2:3]
	v_mul_f64 v[2:3], v[4:5], v[2:3]
	s_waitcnt lgkmcnt(0)
	v_mul_f64 v[40:41], v[26:27], v[36:37]
	v_mul_f64 v[42:43], v[24:25], v[36:37]
	v_add_f64 v[32:33], v[48:49], v[46:47]
	v_add_f64 v[38:39], v[38:39], v[44:45]
	v_fma_f64 v[44:45], v[4:5], v[0:1], -v[50:51]
	v_fma_f64 v[46:47], v[6:7], v[0:1], v[2:3]
	v_fma_f64 v[24:25], v[24:25], v[34:35], -v[40:41]
	v_fma_f64 v[26:27], v[26:27], v[34:35], v[42:43]
	v_add_f64 v[32:33], v[32:33], v[30:31]
	v_add_f64 v[48:49], v[38:39], v[28:29]
	ds_load_b128 v[0:3], v12 offset:224
	ds_load_b128 v[4:7], v14 offset:7168
	ds_load_b128 v[28:31], v14 offset:7680
	ds_load_b128 v[36:39], v12 offset:240
	;; [unrolled: 54-line block ×4, first 2 shown]
	s_waitcnt lgkmcnt(2)
	v_mul_f64 v[50:51], v[6:7], v[2:3]
	v_mul_f64 v[2:3], v[4:5], v[2:3]
	s_waitcnt lgkmcnt(0)
	v_mul_f64 v[42:43], v[30:31], v[38:39]
	v_add_f64 v[32:33], v[32:33], v[46:47]
	v_add_f64 v[34:35], v[48:49], v[44:45]
	v_mul_f64 v[44:45], v[28:29], v[38:39]
	v_fma_f64 v[46:47], v[4:5], v[0:1], -v[50:51]
	v_fma_f64 v[48:49], v[6:7], v[0:1], v[2:3]
	ds_load_b128 v[0:3], v12 offset:448
	ds_load_b128 v[4:7], v14 offset:14336
	v_fma_f64 v[28:29], v[28:29], v[36:37], -v[42:43]
	v_add_f64 v[50:51], v[32:33], v[26:27]
	v_add_f64 v[52:53], v[34:35], v[24:25]
	global_load_b128 v[24:27], v[8:9], off
	v_fma_f64 v[30:31], v[30:31], v[36:37], v[44:45]
	s_waitcnt lgkmcnt(0)
	v_mul_f64 v[54:55], v[6:7], v[2:3]
	v_mul_f64 v[2:3], v[4:5], v[2:3]
	ds_load_b128 v[32:35], v14 offset:14848
	ds_load_b128 v[38:41], v12 offset:464
	s_waitcnt lgkmcnt(0)
	v_mul_f64 v[44:45], v[34:35], v[40:41]
	v_add_f64 v[36:37], v[50:51], v[48:49]
	v_add_f64 v[42:43], v[52:53], v[46:47]
	v_mul_f64 v[46:47], v[32:33], v[40:41]
	v_fma_f64 v[48:49], v[4:5], v[0:1], -v[54:55]
	v_fma_f64 v[50:51], v[6:7], v[0:1], v[2:3]
	v_fma_f64 v[32:33], v[32:33], v[38:39], -v[44:45]
	v_add_f64 v[36:37], v[36:37], v[30:31]
	v_add_f64 v[52:53], v[42:43], v[28:29]
	ds_load_b128 v[0:3], v12 offset:480
	ds_load_b128 v[4:7], v14 offset:15360
	;; [unrolled: 1-line block ×4, first 2 shown]
	v_fma_f64 v[34:35], v[34:35], v[38:39], v[46:47]
	s_waitcnt lgkmcnt(2)
	v_mul_f64 v[54:55], v[6:7], v[2:3]
	v_mul_f64 v[2:3], v[4:5], v[2:3]
	s_waitcnt lgkmcnt(0)
	v_mul_f64 v[44:45], v[30:31], v[42:43]
	v_mul_f64 v[42:43], v[28:29], v[42:43]
	v_add_f64 v[36:37], v[36:37], v[50:51]
	v_add_f64 v[38:39], v[52:53], v[48:49]
	v_fma_f64 v[4:5], v[4:5], v[0:1], -v[54:55]
	v_fma_f64 v[0:1], v[6:7], v[0:1], v[2:3]
	v_fma_f64 v[28:29], v[28:29], v[40:41], -v[44:45]
	v_fma_f64 v[30:31], v[30:31], v[40:41], v[42:43]
	v_add_f64 v[2:3], v[36:37], v[34:35]
	v_add_f64 v[6:7], v[38:39], v[32:33]
	s_delay_alu instid0(VALU_DEP_2) | instskip(NEXT) | instid1(VALU_DEP_2)
	v_add_f64 v[0:1], v[2:3], v[0:1]
	v_add_f64 v[2:3], v[6:7], v[4:5]
	s_delay_alu instid0(VALU_DEP_2) | instskip(NEXT) | instid1(VALU_DEP_2)
	;; [unrolled: 3-line block ×3, first 2 shown]
	v_mul_f64 v[4:5], s[20:21], v[0:1]
	v_mul_f64 v[6:7], s[20:21], v[2:3]
	s_delay_alu instid0(VALU_DEP_2) | instskip(NEXT) | instid1(VALU_DEP_2)
	v_fma_f64 v[2:3], s[18:19], v[2:3], -v[4:5]
	v_fma_f64 v[4:5], s[18:19], v[0:1], v[6:7]
	s_waitcnt vmcnt(0)
	s_delay_alu instid0(VALU_DEP_2) | instskip(NEXT) | instid1(VALU_DEP_2)
	v_add_f64 v[0:1], v[24:25], v[2:3]
	v_add_f64 v[2:3], v[26:27], v[4:5]
	global_store_b128 v[8:9], v[0:3], off
	s_branch .LBB1884_4
.LBB1884_17:
	s_endpgm
	.section	.rodata,"a",@progbits
	.p2align	6, 0x0
	.amdhsa_kernel _ZL26rocblas_syr2k_her2k_kernelIlLb1ELb0ELb0ELi32E19rocblas_complex_numIdEPKPKS1_PKPS1_EvbiT_T4_T5_S9_lSB_S9_lT6_S9_li
		.amdhsa_group_segment_fixed_size 32768
		.amdhsa_private_segment_fixed_size 0
		.amdhsa_kernarg_size 108
		.amdhsa_user_sgpr_count 13
		.amdhsa_user_sgpr_dispatch_ptr 0
		.amdhsa_user_sgpr_queue_ptr 0
		.amdhsa_user_sgpr_kernarg_segment_ptr 1
		.amdhsa_user_sgpr_dispatch_id 0
		.amdhsa_user_sgpr_private_segment_size 0
		.amdhsa_wavefront_size32 1
		.amdhsa_uses_dynamic_stack 0
		.amdhsa_enable_private_segment 0
		.amdhsa_system_sgpr_workgroup_id_x 1
		.amdhsa_system_sgpr_workgroup_id_y 1
		.amdhsa_system_sgpr_workgroup_id_z 1
		.amdhsa_system_sgpr_workgroup_info 0
		.amdhsa_system_vgpr_workitem_id 1
		.amdhsa_next_free_vgpr 62
		.amdhsa_next_free_sgpr 36
		.amdhsa_reserve_vcc 1
		.amdhsa_float_round_mode_32 0
		.amdhsa_float_round_mode_16_64 0
		.amdhsa_float_denorm_mode_32 3
		.amdhsa_float_denorm_mode_16_64 3
		.amdhsa_dx10_clamp 1
		.amdhsa_ieee_mode 1
		.amdhsa_fp16_overflow 0
		.amdhsa_workgroup_processor_mode 1
		.amdhsa_memory_ordered 1
		.amdhsa_forward_progress 0
		.amdhsa_shared_vgpr_count 0
		.amdhsa_exception_fp_ieee_invalid_op 0
		.amdhsa_exception_fp_denorm_src 0
		.amdhsa_exception_fp_ieee_div_zero 0
		.amdhsa_exception_fp_ieee_overflow 0
		.amdhsa_exception_fp_ieee_underflow 0
		.amdhsa_exception_fp_ieee_inexact 0
		.amdhsa_exception_int_div_zero 0
	.end_amdhsa_kernel
	.section	.text._ZL26rocblas_syr2k_her2k_kernelIlLb1ELb0ELb0ELi32E19rocblas_complex_numIdEPKPKS1_PKPS1_EvbiT_T4_T5_S9_lSB_S9_lT6_S9_li,"axG",@progbits,_ZL26rocblas_syr2k_her2k_kernelIlLb1ELb0ELb0ELi32E19rocblas_complex_numIdEPKPKS1_PKPS1_EvbiT_T4_T5_S9_lSB_S9_lT6_S9_li,comdat
.Lfunc_end1884:
	.size	_ZL26rocblas_syr2k_her2k_kernelIlLb1ELb0ELb0ELi32E19rocblas_complex_numIdEPKPKS1_PKPS1_EvbiT_T4_T5_S9_lSB_S9_lT6_S9_li, .Lfunc_end1884-_ZL26rocblas_syr2k_her2k_kernelIlLb1ELb0ELb0ELi32E19rocblas_complex_numIdEPKPKS1_PKPS1_EvbiT_T4_T5_S9_lSB_S9_lT6_S9_li
                                        ; -- End function
	.section	.AMDGPU.csdata,"",@progbits
; Kernel info:
; codeLenInByte = 5628
; NumSgprs: 38
; NumVgprs: 62
; ScratchSize: 0
; MemoryBound: 1
; FloatMode: 240
; IeeeMode: 1
; LDSByteSize: 32768 bytes/workgroup (compile time only)
; SGPRBlocks: 4
; VGPRBlocks: 7
; NumSGPRsForWavesPerEU: 38
; NumVGPRsForWavesPerEU: 62
; Occupancy: 16
; WaveLimiterHint : 1
; COMPUTE_PGM_RSRC2:SCRATCH_EN: 0
; COMPUTE_PGM_RSRC2:USER_SGPR: 13
; COMPUTE_PGM_RSRC2:TRAP_HANDLER: 0
; COMPUTE_PGM_RSRC2:TGID_X_EN: 1
; COMPUTE_PGM_RSRC2:TGID_Y_EN: 1
; COMPUTE_PGM_RSRC2:TGID_Z_EN: 1
; COMPUTE_PGM_RSRC2:TIDIG_COMP_CNT: 1
	.section	.text._ZL26rocblas_syr2k_her2k_kernelIlLb1ELb0ELb1ELi32E19rocblas_complex_numIdEPKPKS1_PKPS1_EvbiT_T4_T5_S9_lSB_S9_lT6_S9_li,"axG",@progbits,_ZL26rocblas_syr2k_her2k_kernelIlLb1ELb0ELb1ELi32E19rocblas_complex_numIdEPKPKS1_PKPS1_EvbiT_T4_T5_S9_lSB_S9_lT6_S9_li,comdat
	.globl	_ZL26rocblas_syr2k_her2k_kernelIlLb1ELb0ELb1ELi32E19rocblas_complex_numIdEPKPKS1_PKPS1_EvbiT_T4_T5_S9_lSB_S9_lT6_S9_li ; -- Begin function _ZL26rocblas_syr2k_her2k_kernelIlLb1ELb0ELb1ELi32E19rocblas_complex_numIdEPKPKS1_PKPS1_EvbiT_T4_T5_S9_lSB_S9_lT6_S9_li
	.p2align	8
	.type	_ZL26rocblas_syr2k_her2k_kernelIlLb1ELb0ELb1ELi32E19rocblas_complex_numIdEPKPKS1_PKPS1_EvbiT_T4_T5_S9_lSB_S9_lT6_S9_li,@function
_ZL26rocblas_syr2k_her2k_kernelIlLb1ELb0ELb1ELi32E19rocblas_complex_numIdEPKPKS1_PKPS1_EvbiT_T4_T5_S9_lSB_S9_lT6_S9_li: ; @_ZL26rocblas_syr2k_her2k_kernelIlLb1ELb0ELb1ELi32E19rocblas_complex_numIdEPKPKS1_PKPS1_EvbiT_T4_T5_S9_lSB_S9_lT6_S9_li
; %bb.0:
	s_load_b512 s[16:31], s[0:1], 0x8
	s_waitcnt lgkmcnt(0)
	v_cmp_eq_f64_e64 s2, s[18:19], 0
	v_cmp_eq_f64_e64 s3, s[20:21], 0
	s_delay_alu instid0(VALU_DEP_1) | instskip(NEXT) | instid1(SALU_CYCLE_1)
	s_and_b32 s2, s2, s3
	s_and_b32 vcc_lo, exec_lo, s2
	s_cbranch_vccnz .LBB1885_17
; %bb.1:
	s_load_b64 s[2:3], s[0:1], 0x0
	s_mov_b32 s12, s15
	s_lshl_b32 s14, s14, 5
	s_lshl_b32 s15, s13, 5
	s_waitcnt lgkmcnt(0)
	s_and_b32 s2, 1, s2
	s_delay_alu instid0(SALU_CYCLE_1) | instskip(SKIP_1) | instid1(SALU_CYCLE_1)
	s_cmp_eq_u32 s2, 1
	s_cselect_b32 s2, -1, 0
	s_and_b32 s4, s2, exec_lo
	s_cselect_b32 s4, s15, s14
	s_cselect_b32 s5, s14, s15
	s_delay_alu instid0(SALU_CYCLE_1)
	s_cmp_gt_i32 s4, s5
	s_cbranch_scc1 .LBB1885_17
; %bb.2:
	v_cmp_lt_i64_e64 s4, s[16:17], 1
	s_delay_alu instid0(VALU_DEP_1)
	s_and_b32 vcc_lo, exec_lo, s4
	s_cbranch_vccnz .LBB1885_17
; %bb.3:
	s_load_b256 s[4:11], s[0:1], 0x48
	v_bfe_u32 v10, v0, 10, 10
	s_mov_b32 s13, 0
	v_and_b32_e32 v11, 0x3ff, v0
	s_lshl_b64 s[0:1], s[12:13], 3
	s_delay_alu instid0(VALU_DEP_2) | instskip(SKIP_3) | instid1(VALU_DEP_1)
	v_dual_mov_b32 v1, 0 :: v_dual_add_nc_u32 v2, s14, v10
	s_add_u32 s12, s22, s0
	s_addc_u32 s13, s23, s1
	s_add_u32 s14, s28, s0
	v_dual_mov_b32 v3, v1 :: v_dual_add_nc_u32 v0, s15, v11
	s_addc_u32 s15, s29, s1
	v_ashrrev_i32_e32 v6, 31, v2
	s_load_b64 s[12:13], s[12:13], 0x0
	v_mad_u64_u32 v[4:5], null, s30, v2, 0
	v_cndmask_b32_e64 v16, v0, v2, s2
	v_cndmask_b32_e64 v17, v2, v0, s2
	s_mov_b32 s34, s3
	s_waitcnt lgkmcnt(0)
	s_add_u32 s0, s6, s0
	s_addc_u32 s1, s7, s1
	v_mul_lo_u32 v19, v6, s8
	s_load_b64 s[0:1], s[0:1], 0x0
	s_load_b64 s[6:7], s[14:15], 0x0
	v_mad_u64_u32 v[6:7], null, v2, s8, 0
	v_mul_lo_u32 v20, v2, s9
	s_lshl_b64 s[8:9], s[10:11], 4
	v_cmp_le_i32_e64 s2, v17, v16
	v_mad_u64_u32 v[16:17], null, s30, v0, 0
	v_max_i32_e32 v18, v0, v2
	v_mad_u64_u32 v[8:9], null, s31, v2, v[5:6]
	v_add3_u32 v7, v7, v20, v19
	v_lshlrev_b32_e32 v22, 4, v10
	s_delay_alu instid0(VALU_DEP_4)
	v_cmp_gt_i32_e32 vcc_lo, s3, v18
	v_lshlrev_b32_e32 v23, 4, v11
	v_mad_u64_u32 v[18:19], null, s24, v2, 0
	v_mov_b32_e32 v5, v8
	v_lshlrev_b64 v[6:7], 4, v[6:7]
	s_waitcnt lgkmcnt(0)
	s_add_u32 s8, s0, s8
	s_addc_u32 s9, s1, s9
	s_ashr_i32 s35, s3, 31
	s_lshl_b64 s[4:5], s[4:5], 4
	v_cmp_gt_i64_e64 s0, s[34:35], v[0:1]
	v_ashrrev_i32_e32 v1, 31, v0
	v_cmp_gt_i64_e64 s1, s[34:35], v[2:3]
	v_lshlrev_b64 v[3:4], 4, v[4:5]
	v_add_co_u32 v8, s3, s8, v6
	s_delay_alu instid0(VALU_DEP_4) | instskip(SKIP_3) | instid1(VALU_DEP_1)
	v_lshlrev_b64 v[5:6], 4, v[0:1]
	v_mov_b32_e32 v1, v17
	v_add_co_ci_u32_e64 v7, s3, s9, v7, s3
	v_add_co_u32 v17, s3, v3, s4
	v_add_co_ci_u32_e64 v20, s3, s5, v4, s3
	s_delay_alu instid0(VALU_DEP_4) | instskip(SKIP_1) | instid1(VALU_DEP_1)
	v_mad_u64_u32 v[3:4], null, s31, v0, v[1:2]
	v_add_co_u32 v8, s3, v8, v5
	v_add_co_ci_u32_e64 v9, s3, v7, v6, s3
	v_add_co_u32 v5, s3, v17, v23
	s_delay_alu instid0(VALU_DEP_4) | instskip(SKIP_4) | instid1(VALU_DEP_1)
	v_mov_b32_e32 v17, v3
	v_mad_u64_u32 v[3:4], null, s24, v0, 0
	v_add_co_ci_u32_e64 v6, s3, 0, v20, s3
	v_mov_b32_e32 v1, v19
	v_add_co_u32 v7, s3, v5, s6
	v_add_co_ci_u32_e64 v21, s3, s7, v6, s3
	s_delay_alu instid0(VALU_DEP_3) | instskip(SKIP_3) | instid1(VALU_DEP_1)
	v_mad_u64_u32 v[19:20], null, s25, v2, v[1:2]
	v_mov_b32_e32 v1, v4
	v_lshlrev_b64 v[5:6], 4, v[16:17]
	v_add_co_u32 v16, s3, v7, 8
	v_add_co_ci_u32_e64 v17, s3, 0, v21, s3
	s_delay_alu instid0(VALU_DEP_4) | instskip(NEXT) | instid1(VALU_DEP_4)
	v_mad_u64_u32 v[20:21], null, s25, v0, v[1:2]
	v_add_co_u32 v0, s3, v5, s4
	s_delay_alu instid0(VALU_DEP_1) | instskip(SKIP_1) | instid1(VALU_DEP_2)
	v_add_co_ci_u32_e64 v1, s3, s5, v6, s3
	s_lshl_b64 s[4:5], s[26:27], 4
	v_add_co_u32 v2, s3, v0, v22
	s_delay_alu instid0(VALU_DEP_4) | instskip(NEXT) | instid1(VALU_DEP_3)
	v_mov_b32_e32 v4, v20
	v_add_co_ci_u32_e64 v5, s3, 0, v1, s3
	v_lshlrev_b64 v[0:1], 4, v[18:19]
	s_delay_alu instid0(VALU_DEP_4) | instskip(NEXT) | instid1(VALU_DEP_4)
	v_add_co_u32 v18, s3, s6, v2
	v_lshlrev_b64 v[2:3], 4, v[3:4]
	s_delay_alu instid0(VALU_DEP_4) | instskip(NEXT) | instid1(VALU_DEP_4)
	v_add_co_ci_u32_e64 v19, s3, s7, v5, s3
	v_add_co_u32 v0, s3, v0, s4
	s_delay_alu instid0(VALU_DEP_1) | instskip(NEXT) | instid1(VALU_DEP_4)
	v_add_co_ci_u32_e64 v1, s3, s5, v1, s3
	v_add_co_u32 v2, s3, v2, s4
	s_delay_alu instid0(VALU_DEP_1) | instskip(NEXT) | instid1(VALU_DEP_4)
	;; [unrolled: 3-line block ×5, first 2 shown]
	v_add_co_ci_u32_e64 v1, s3, s13, v1, s3
	v_add_co_u32 v2, s3, v2, s12
	v_lshlrev_b32_e32 v12, 9, v11
	v_add_co_ci_u32_e64 v3, s3, s13, v3, s3
	v_or_b32_e32 v13, 0x4000, v22
	v_add_co_u32 v20, s3, v0, 8
	s_delay_alu instid0(VALU_DEP_1)
	v_add_co_ci_u32_e64 v21, s3, 0, v1, s3
	v_add_nc_u32_e32 v14, v12, v22
	v_add_co_u32 v22, s3, v2, 8
	v_add_nc_u32_e32 v15, v13, v12
	v_add_co_ci_u32_e64 v23, s3, 0, v3, s3
	s_and_b32 s6, s2, vcc_lo
	s_mov_b64 s[2:3], 0
	s_mov_b64 s[4:5], 0
	s_branch .LBB1885_5
.LBB1885_4:                             ;   in Loop: Header=BB1885_5 Depth=1
	s_or_b32 exec_lo, exec_lo, s7
	s_add_u32 s4, s4, 32
	s_addc_u32 s5, s5, 0
	s_add_u32 s2, s2, 0x200
	v_cmp_lt_i64_e64 s7, s[4:5], s[16:17]
	s_addc_u32 s3, s3, 0
	s_waitcnt_vscnt null, 0x0
	s_barrier
	buffer_gl0_inv
	s_and_b32 vcc_lo, exec_lo, s7
	s_cbranch_vccz .LBB1885_17
.LBB1885_5:                             ; =>This Inner Loop Header: Depth=1
	v_add_co_u32 v2, s7, v10, s4
	s_delay_alu instid0(VALU_DEP_1) | instskip(SKIP_2) | instid1(VALU_DEP_3)
	v_add_co_ci_u32_e64 v3, null, 0, s5, s7
	v_mov_b32_e32 v0, 0
	v_mov_b32_e32 v1, 0
	v_cmp_gt_i64_e32 vcc_lo, s[16:17], v[2:3]
	s_delay_alu instid0(VALU_DEP_2) | instskip(SKIP_2) | instid1(SALU_CYCLE_1)
	v_dual_mov_b32 v5, v1 :: v_dual_mov_b32 v4, v0
	v_dual_mov_b32 v7, v1 :: v_dual_mov_b32 v6, v0
	s_and_b32 s7, s0, vcc_lo
	s_and_saveexec_b32 s8, s7
	s_cbranch_execz .LBB1885_7
; %bb.6:                                ;   in Loop: Header=BB1885_5 Depth=1
	v_add_co_u32 v2, vcc_lo, v22, s2
	v_add_co_ci_u32_e32 v3, vcc_lo, s3, v23, vcc_lo
	global_load_b128 v[4:7], v[2:3], off offset:-8
.LBB1885_7:                             ;   in Loop: Header=BB1885_5 Depth=1
	s_or_b32 exec_lo, exec_lo, s8
	v_add_co_u32 v2, s8, v11, s4
	s_delay_alu instid0(VALU_DEP_1)
	v_add_co_ci_u32_e64 v3, null, 0, s5, s8
	s_waitcnt vmcnt(0)
	ds_store_b128 v14, v[4:7]
	v_cmp_gt_i64_e32 vcc_lo, s[16:17], v[2:3]
	v_dual_mov_b32 v3, v1 :: v_dual_mov_b32 v2, v0
	s_and_b32 s8, s1, vcc_lo
	s_delay_alu instid0(SALU_CYCLE_1)
	s_and_saveexec_b32 s9, s8
	s_cbranch_execz .LBB1885_9
; %bb.8:                                ;   in Loop: Header=BB1885_5 Depth=1
	v_add_co_u32 v0, vcc_lo, v16, s2
	v_add_co_ci_u32_e32 v1, vcc_lo, s3, v17, vcc_lo
	global_load_b128 v[0:3], v[0:1], off offset:-8
.LBB1885_9:                             ;   in Loop: Header=BB1885_5 Depth=1
	s_or_b32 exec_lo, exec_lo, s9
	s_waitcnt vmcnt(0)
	ds_store_b128 v15, v[0:3]
	s_waitcnt lgkmcnt(0)
	s_barrier
	buffer_gl0_inv
	s_and_saveexec_b32 s9, s6
	s_cbranch_execz .LBB1885_11
; %bb.10:                               ;   in Loop: Header=BB1885_5 Depth=1
	ds_load_b128 v[0:3], v13
	ds_load_b128 v[4:7], v12
	ds_load_b128 v[24:27], v12 offset:16
	ds_load_b128 v[28:31], v13 offset:512
	s_waitcnt lgkmcnt(2)
	v_mul_f64 v[32:33], v[0:1], v[6:7]
	v_mul_f64 v[6:7], v[2:3], v[6:7]
	s_waitcnt lgkmcnt(0)
	v_mul_f64 v[48:49], v[28:29], v[26:27]
	v_mul_f64 v[26:27], v[30:31], v[26:27]
	s_delay_alu instid0(VALU_DEP_4)
	v_fma_f64 v[2:3], v[2:3], v[4:5], v[32:33]
	ds_load_b128 v[32:35], v13 offset:1024
	ds_load_b128 v[36:39], v12 offset:32
	;; [unrolled: 1-line block ×4, first 2 shown]
	v_fma_f64 v[0:1], v[0:1], v[4:5], -v[6:7]
	v_fma_f64 v[4:5], v[30:31], v[24:25], v[48:49]
	v_fma_f64 v[52:53], v[28:29], v[24:25], -v[26:27]
	s_waitcnt lgkmcnt(2)
	v_mul_f64 v[50:51], v[32:33], v[38:39]
	v_mul_f64 v[38:39], v[34:35], v[38:39]
	s_waitcnt lgkmcnt(0)
	v_mul_f64 v[48:49], v[44:45], v[42:43]
	v_mul_f64 v[42:43], v[46:47], v[42:43]
	v_add_f64 v[2:3], v[2:3], 0
	v_fma_f64 v[34:35], v[34:35], v[36:37], v[50:51]
	v_add_f64 v[50:51], v[0:1], 0
	v_fma_f64 v[32:33], v[32:33], v[36:37], -v[38:39]
	v_fma_f64 v[36:37], v[46:47], v[40:41], v[48:49]
	v_add_f64 v[54:55], v[2:3], v[4:5]
	ds_load_b128 v[0:3], v12 offset:64
	ds_load_b128 v[4:7], v13 offset:2048
	ds_load_b128 v[24:27], v13 offset:2560
	ds_load_b128 v[28:31], v12 offset:80
	s_waitcnt lgkmcnt(2)
	v_mul_f64 v[56:57], v[4:5], v[2:3]
	v_add_f64 v[38:39], v[50:51], v[52:53]
	v_mul_f64 v[2:3], v[6:7], v[2:3]
	s_waitcnt lgkmcnt(0)
	v_mul_f64 v[48:49], v[24:25], v[30:31]
	v_fma_f64 v[50:51], v[44:45], v[40:41], -v[42:43]
	v_mul_f64 v[30:31], v[26:27], v[30:31]
	v_add_f64 v[34:35], v[54:55], v[34:35]
	v_fma_f64 v[6:7], v[6:7], v[0:1], v[56:57]
	v_add_f64 v[52:53], v[38:39], v[32:33]
	v_fma_f64 v[0:1], v[4:5], v[0:1], -v[2:3]
	v_fma_f64 v[2:3], v[26:27], v[28:29], v[48:49]
	v_add_f64 v[54:55], v[34:35], v[36:37]
	ds_load_b128 v[32:35], v12 offset:96
	ds_load_b128 v[36:39], v13 offset:3072
	ds_load_b128 v[40:43], v13 offset:3584
	ds_load_b128 v[44:47], v12 offset:112
	s_waitcnt lgkmcnt(2)
	v_mul_f64 v[56:57], v[36:37], v[34:35]
	v_add_f64 v[4:5], v[52:53], v[50:51]
	v_mul_f64 v[34:35], v[38:39], v[34:35]
	s_waitcnt lgkmcnt(0)
	v_mul_f64 v[48:49], v[40:41], v[46:47]
	v_fma_f64 v[50:51], v[24:25], v[28:29], -v[30:31]
	v_mul_f64 v[46:47], v[42:43], v[46:47]
	v_add_f64 v[6:7], v[54:55], v[6:7]
	v_fma_f64 v[38:39], v[38:39], v[32:33], v[56:57]
	v_add_f64 v[52:53], v[4:5], v[0:1]
	v_fma_f64 v[32:33], v[36:37], v[32:33], -v[34:35]
	v_fma_f64 v[34:35], v[42:43], v[44:45], v[48:49]
	v_add_f64 v[54:55], v[6:7], v[2:3]
	ds_load_b128 v[0:3], v12 offset:128
	ds_load_b128 v[4:7], v13 offset:4096
	ds_load_b128 v[24:27], v13 offset:4608
	ds_load_b128 v[28:31], v12 offset:144
	s_waitcnt lgkmcnt(2)
	v_mul_f64 v[56:57], v[4:5], v[2:3]
	v_add_f64 v[36:37], v[52:53], v[50:51]
	v_mul_f64 v[2:3], v[6:7], v[2:3]
	s_waitcnt lgkmcnt(0)
	v_mul_f64 v[48:49], v[24:25], v[30:31]
	v_fma_f64 v[50:51], v[40:41], v[44:45], -v[46:47]
	v_mul_f64 v[30:31], v[26:27], v[30:31]
	v_add_f64 v[38:39], v[54:55], v[38:39]
	v_fma_f64 v[6:7], v[6:7], v[0:1], v[56:57]
	v_add_f64 v[52:53], v[36:37], v[32:33]
	v_fma_f64 v[0:1], v[4:5], v[0:1], -v[2:3]
	v_fma_f64 v[2:3], v[26:27], v[28:29], v[48:49]
	v_add_f64 v[54:55], v[38:39], v[34:35]
	ds_load_b128 v[32:35], v12 offset:160
	ds_load_b128 v[36:39], v13 offset:5120
	ds_load_b128 v[40:43], v13 offset:5632
	ds_load_b128 v[44:47], v12 offset:176
	s_waitcnt lgkmcnt(2)
	v_mul_f64 v[56:57], v[36:37], v[34:35]
	v_add_f64 v[4:5], v[52:53], v[50:51]
	v_mul_f64 v[34:35], v[38:39], v[34:35]
	s_waitcnt lgkmcnt(0)
	v_mul_f64 v[48:49], v[40:41], v[46:47]
	v_fma_f64 v[50:51], v[24:25], v[28:29], -v[30:31]
	v_mul_f64 v[46:47], v[42:43], v[46:47]
	v_add_f64 v[6:7], v[54:55], v[6:7]
	v_fma_f64 v[38:39], v[38:39], v[32:33], v[56:57]
	v_add_f64 v[52:53], v[4:5], v[0:1]
	v_fma_f64 v[32:33], v[36:37], v[32:33], -v[34:35]
	v_fma_f64 v[34:35], v[42:43], v[44:45], v[48:49]
	v_add_f64 v[54:55], v[6:7], v[2:3]
	ds_load_b128 v[0:3], v12 offset:192
	ds_load_b128 v[4:7], v13 offset:6144
	ds_load_b128 v[24:27], v13 offset:6656
	ds_load_b128 v[28:31], v12 offset:208
	s_waitcnt lgkmcnt(2)
	v_mul_f64 v[56:57], v[4:5], v[2:3]
	v_add_f64 v[36:37], v[52:53], v[50:51]
	v_mul_f64 v[2:3], v[6:7], v[2:3]
	s_waitcnt lgkmcnt(0)
	v_mul_f64 v[48:49], v[24:25], v[30:31]
	v_fma_f64 v[50:51], v[40:41], v[44:45], -v[46:47]
	v_mul_f64 v[30:31], v[26:27], v[30:31]
	v_add_f64 v[38:39], v[54:55], v[38:39]
	v_fma_f64 v[6:7], v[6:7], v[0:1], v[56:57]
	v_add_f64 v[52:53], v[36:37], v[32:33]
	v_fma_f64 v[0:1], v[4:5], v[0:1], -v[2:3]
	v_fma_f64 v[2:3], v[26:27], v[28:29], v[48:49]
	v_add_f64 v[54:55], v[38:39], v[34:35]
	ds_load_b128 v[32:35], v12 offset:224
	ds_load_b128 v[36:39], v13 offset:7168
	ds_load_b128 v[40:43], v13 offset:7680
	ds_load_b128 v[44:47], v12 offset:240
	s_waitcnt lgkmcnt(2)
	v_mul_f64 v[56:57], v[36:37], v[34:35]
	v_add_f64 v[4:5], v[52:53], v[50:51]
	v_mul_f64 v[34:35], v[38:39], v[34:35]
	s_waitcnt lgkmcnt(0)
	v_mul_f64 v[48:49], v[40:41], v[46:47]
	v_fma_f64 v[50:51], v[24:25], v[28:29], -v[30:31]
	v_mul_f64 v[46:47], v[42:43], v[46:47]
	v_add_f64 v[6:7], v[54:55], v[6:7]
	v_fma_f64 v[38:39], v[38:39], v[32:33], v[56:57]
	v_add_f64 v[52:53], v[4:5], v[0:1]
	v_fma_f64 v[32:33], v[36:37], v[32:33], -v[34:35]
	v_fma_f64 v[34:35], v[42:43], v[44:45], v[48:49]
	v_add_f64 v[54:55], v[6:7], v[2:3]
	ds_load_b128 v[0:3], v12 offset:256
	ds_load_b128 v[4:7], v13 offset:8192
	ds_load_b128 v[24:27], v13 offset:8704
	ds_load_b128 v[28:31], v12 offset:272
	s_waitcnt lgkmcnt(2)
	v_mul_f64 v[56:57], v[4:5], v[2:3]
	v_add_f64 v[36:37], v[52:53], v[50:51]
	v_mul_f64 v[2:3], v[6:7], v[2:3]
	s_waitcnt lgkmcnt(0)
	v_mul_f64 v[48:49], v[24:25], v[30:31]
	v_fma_f64 v[50:51], v[40:41], v[44:45], -v[46:47]
	v_mul_f64 v[30:31], v[26:27], v[30:31]
	v_add_f64 v[38:39], v[54:55], v[38:39]
	v_fma_f64 v[6:7], v[6:7], v[0:1], v[56:57]
	v_add_f64 v[52:53], v[36:37], v[32:33]
	v_fma_f64 v[0:1], v[4:5], v[0:1], -v[2:3]
	v_fma_f64 v[2:3], v[26:27], v[28:29], v[48:49]
	v_add_f64 v[54:55], v[38:39], v[34:35]
	ds_load_b128 v[32:35], v12 offset:288
	ds_load_b128 v[36:39], v13 offset:9216
	ds_load_b128 v[40:43], v13 offset:9728
	ds_load_b128 v[44:47], v12 offset:304
	s_waitcnt lgkmcnt(2)
	v_mul_f64 v[56:57], v[36:37], v[34:35]
	v_add_f64 v[4:5], v[52:53], v[50:51]
	v_mul_f64 v[34:35], v[38:39], v[34:35]
	s_waitcnt lgkmcnt(0)
	v_mul_f64 v[48:49], v[40:41], v[46:47]
	v_fma_f64 v[50:51], v[24:25], v[28:29], -v[30:31]
	v_mul_f64 v[46:47], v[42:43], v[46:47]
	v_add_f64 v[6:7], v[54:55], v[6:7]
	v_fma_f64 v[38:39], v[38:39], v[32:33], v[56:57]
	v_add_f64 v[52:53], v[4:5], v[0:1]
	v_fma_f64 v[32:33], v[36:37], v[32:33], -v[34:35]
	v_fma_f64 v[34:35], v[42:43], v[44:45], v[48:49]
	v_add_f64 v[54:55], v[6:7], v[2:3]
	ds_load_b128 v[0:3], v12 offset:320
	ds_load_b128 v[4:7], v13 offset:10240
	ds_load_b128 v[24:27], v13 offset:10752
	ds_load_b128 v[28:31], v12 offset:336
	s_waitcnt lgkmcnt(2)
	v_mul_f64 v[56:57], v[4:5], v[2:3]
	v_add_f64 v[36:37], v[52:53], v[50:51]
	v_mul_f64 v[2:3], v[6:7], v[2:3]
	s_waitcnt lgkmcnt(0)
	v_mul_f64 v[48:49], v[24:25], v[30:31]
	v_fma_f64 v[50:51], v[40:41], v[44:45], -v[46:47]
	v_mul_f64 v[30:31], v[26:27], v[30:31]
	v_add_f64 v[38:39], v[54:55], v[38:39]
	v_fma_f64 v[6:7], v[6:7], v[0:1], v[56:57]
	v_add_f64 v[52:53], v[36:37], v[32:33]
	v_fma_f64 v[0:1], v[4:5], v[0:1], -v[2:3]
	v_fma_f64 v[2:3], v[26:27], v[28:29], v[48:49]
	v_add_f64 v[54:55], v[38:39], v[34:35]
	ds_load_b128 v[32:35], v12 offset:352
	ds_load_b128 v[36:39], v13 offset:11264
	ds_load_b128 v[40:43], v13 offset:11776
	ds_load_b128 v[44:47], v12 offset:368
	s_waitcnt lgkmcnt(2)
	v_mul_f64 v[56:57], v[36:37], v[34:35]
	v_add_f64 v[4:5], v[52:53], v[50:51]
	v_mul_f64 v[34:35], v[38:39], v[34:35]
	s_waitcnt lgkmcnt(0)
	v_mul_f64 v[48:49], v[40:41], v[46:47]
	v_fma_f64 v[50:51], v[24:25], v[28:29], -v[30:31]
	v_mul_f64 v[46:47], v[42:43], v[46:47]
	v_add_f64 v[6:7], v[54:55], v[6:7]
	v_fma_f64 v[38:39], v[38:39], v[32:33], v[56:57]
	v_add_f64 v[52:53], v[4:5], v[0:1]
	v_fma_f64 v[32:33], v[36:37], v[32:33], -v[34:35]
	v_fma_f64 v[34:35], v[42:43], v[44:45], v[48:49]
	v_add_f64 v[54:55], v[6:7], v[2:3]
	ds_load_b128 v[0:3], v12 offset:384
	ds_load_b128 v[4:7], v13 offset:12288
	ds_load_b128 v[24:27], v13 offset:12800
	ds_load_b128 v[28:31], v12 offset:400
	s_waitcnt lgkmcnt(2)
	v_mul_f64 v[56:57], v[4:5], v[2:3]
	v_add_f64 v[36:37], v[52:53], v[50:51]
	v_mul_f64 v[2:3], v[6:7], v[2:3]
	s_waitcnt lgkmcnt(0)
	v_mul_f64 v[48:49], v[24:25], v[30:31]
	v_fma_f64 v[50:51], v[40:41], v[44:45], -v[46:47]
	v_mul_f64 v[30:31], v[26:27], v[30:31]
	v_add_f64 v[38:39], v[54:55], v[38:39]
	v_fma_f64 v[6:7], v[6:7], v[0:1], v[56:57]
	v_add_f64 v[52:53], v[36:37], v[32:33]
	v_fma_f64 v[0:1], v[4:5], v[0:1], -v[2:3]
	v_fma_f64 v[2:3], v[26:27], v[28:29], v[48:49]
	v_add_f64 v[54:55], v[38:39], v[34:35]
	ds_load_b128 v[32:35], v12 offset:416
	ds_load_b128 v[36:39], v13 offset:13312
	;; [unrolled: 1-line block ×4, first 2 shown]
	s_waitcnt lgkmcnt(2)
	v_mul_f64 v[56:57], v[36:37], v[34:35]
	v_add_f64 v[4:5], v[52:53], v[50:51]
	v_mul_f64 v[34:35], v[38:39], v[34:35]
	s_waitcnt lgkmcnt(0)
	v_mul_f64 v[52:53], v[40:41], v[46:47]
	v_mul_f64 v[46:47], v[42:43], v[46:47]
	v_add_f64 v[6:7], v[54:55], v[6:7]
	v_fma_f64 v[54:55], v[24:25], v[28:29], -v[30:31]
	v_fma_f64 v[38:39], v[38:39], v[32:33], v[56:57]
	v_add_f64 v[56:57], v[4:5], v[0:1]
	v_fma_f64 v[32:33], v[36:37], v[32:33], -v[34:35]
	v_fma_f64 v[34:35], v[42:43], v[44:45], v[52:53]
	v_add_f64 v[58:59], v[6:7], v[2:3]
	ds_load_b128 v[0:3], v12 offset:448
	ds_load_b128 v[4:7], v13 offset:14336
	global_load_b128 v[24:27], v[8:9], off
	ds_load_b128 v[28:31], v13 offset:14848
	ds_load_b128 v[48:51], v12 offset:464
	v_add_f64 v[36:37], v[56:57], v[54:55]
	s_waitcnt lgkmcnt(2)
	v_mul_f64 v[60:61], v[4:5], v[2:3]
	v_mul_f64 v[2:3], v[6:7], v[2:3]
	s_waitcnt lgkmcnt(0)
	v_mul_f64 v[52:53], v[28:29], v[50:51]
	v_fma_f64 v[54:55], v[40:41], v[44:45], -v[46:47]
	v_mul_f64 v[50:51], v[30:31], v[50:51]
	v_add_f64 v[38:39], v[58:59], v[38:39]
	v_add_f64 v[56:57], v[36:37], v[32:33]
	v_fma_f64 v[6:7], v[6:7], v[0:1], v[60:61]
	v_fma_f64 v[0:1], v[4:5], v[0:1], -v[2:3]
	v_fma_f64 v[2:3], v[30:31], v[48:49], v[52:53]
	v_fma_f64 v[28:29], v[28:29], v[48:49], -v[50:51]
	v_add_f64 v[58:59], v[38:39], v[34:35]
	ds_load_b128 v[32:35], v12 offset:480
	ds_load_b128 v[36:39], v13 offset:15360
	;; [unrolled: 1-line block ×4, first 2 shown]
	s_waitcnt lgkmcnt(2)
	v_mul_f64 v[60:61], v[36:37], v[34:35]
	v_add_f64 v[4:5], v[56:57], v[54:55]
	v_mul_f64 v[30:31], v[38:39], v[34:35]
	s_waitcnt lgkmcnt(0)
	v_mul_f64 v[34:35], v[40:41], v[46:47]
	v_add_f64 v[6:7], v[58:59], v[6:7]
	v_fma_f64 v[38:39], v[38:39], v[32:33], v[60:61]
	v_add_f64 v[0:1], v[4:5], v[0:1]
	v_mul_f64 v[4:5], v[42:43], v[46:47]
	s_delay_alu instid0(VALU_DEP_4)
	v_add_f64 v[2:3], v[6:7], v[2:3]
	v_fma_f64 v[6:7], v[36:37], v[32:33], -v[30:31]
	v_fma_f64 v[30:31], v[42:43], v[44:45], v[34:35]
	v_add_f64 v[0:1], v[0:1], v[28:29]
	v_fma_f64 v[4:5], v[40:41], v[44:45], -v[4:5]
	v_add_f64 v[2:3], v[2:3], v[38:39]
	s_delay_alu instid0(VALU_DEP_3) | instskip(NEXT) | instid1(VALU_DEP_2)
	v_add_f64 v[0:1], v[0:1], v[6:7]
	v_add_f64 v[2:3], v[2:3], v[30:31]
	s_delay_alu instid0(VALU_DEP_2) | instskip(NEXT) | instid1(VALU_DEP_2)
	v_add_f64 v[0:1], v[0:1], v[4:5]
	v_mul_f64 v[4:5], s[20:21], v[2:3]
	v_mul_f64 v[2:3], s[18:19], v[2:3]
	s_delay_alu instid0(VALU_DEP_2) | instskip(NEXT) | instid1(VALU_DEP_2)
	v_fma_f64 v[4:5], s[18:19], v[0:1], -v[4:5]
	v_fma_f64 v[2:3], s[20:21], v[0:1], v[2:3]
	s_waitcnt vmcnt(0)
	s_delay_alu instid0(VALU_DEP_2) | instskip(NEXT) | instid1(VALU_DEP_2)
	v_add_f64 v[0:1], v[24:25], v[4:5]
	v_add_f64 v[2:3], v[26:27], v[2:3]
	global_store_b128 v[8:9], v[0:3], off
.LBB1885_11:                            ;   in Loop: Header=BB1885_5 Depth=1
	s_or_b32 exec_lo, exec_lo, s9
	v_mov_b32_e32 v2, 0
	v_mov_b32_e32 v3, 0
	s_waitcnt_vscnt null, 0x0
	s_barrier
	buffer_gl0_inv
	v_dual_mov_b32 v7, v3 :: v_dual_mov_b32 v6, v2
	v_dual_mov_b32 v5, v3 :: v_dual_mov_b32 v4, v2
	s_and_saveexec_b32 s9, s7
	s_cbranch_execz .LBB1885_13
; %bb.12:                               ;   in Loop: Header=BB1885_5 Depth=1
	v_add_co_u32 v0, vcc_lo, v18, s2
	v_add_co_ci_u32_e32 v1, vcc_lo, s3, v19, vcc_lo
	global_load_b128 v[4:7], v[0:1], off
.LBB1885_13:                            ;   in Loop: Header=BB1885_5 Depth=1
	s_or_b32 exec_lo, exec_lo, s9
	v_dual_mov_b32 v0, v2 :: v_dual_mov_b32 v1, v3
	s_waitcnt vmcnt(0)
	ds_store_b128 v14, v[4:7]
	s_and_saveexec_b32 s7, s8
	s_cbranch_execz .LBB1885_15
; %bb.14:                               ;   in Loop: Header=BB1885_5 Depth=1
	v_add_co_u32 v0, vcc_lo, v20, s2
	v_add_co_ci_u32_e32 v1, vcc_lo, s3, v21, vcc_lo
	global_load_b128 v[0:3], v[0:1], off offset:-8
.LBB1885_15:                            ;   in Loop: Header=BB1885_5 Depth=1
	s_or_b32 exec_lo, exec_lo, s7
	s_waitcnt vmcnt(0)
	ds_store_b128 v15, v[0:3]
	s_waitcnt lgkmcnt(0)
	s_barrier
	buffer_gl0_inv
	s_and_saveexec_b32 s7, s6
	s_cbranch_execz .LBB1885_4
; %bb.16:                               ;   in Loop: Header=BB1885_5 Depth=1
	ds_load_b128 v[0:3], v13
	ds_load_b128 v[4:7], v12
	ds_load_b128 v[24:27], v12 offset:16
	ds_load_b128 v[28:31], v13 offset:512
	s_waitcnt lgkmcnt(2)
	v_mul_f64 v[32:33], v[0:1], v[6:7]
	v_mul_f64 v[6:7], v[2:3], v[6:7]
	s_waitcnt lgkmcnt(0)
	v_mul_f64 v[40:41], v[30:31], v[26:27]
	v_mul_f64 v[26:27], v[28:29], v[26:27]
	s_delay_alu instid0(VALU_DEP_4) | instskip(NEXT) | instid1(VALU_DEP_4)
	v_fma_f64 v[42:43], v[2:3], v[4:5], v[32:33]
	v_fma_f64 v[44:45], v[0:1], v[4:5], -v[6:7]
	ds_load_b128 v[0:3], v13 offset:1024
	ds_load_b128 v[4:7], v12 offset:32
	;; [unrolled: 1-line block ×4, first 2 shown]
	v_fma_f64 v[28:29], v[28:29], v[24:25], -v[40:41]
	v_fma_f64 v[24:25], v[30:31], v[24:25], v[26:27]
	s_waitcnt lgkmcnt(2)
	v_mul_f64 v[46:47], v[2:3], v[6:7]
	v_mul_f64 v[6:7], v[0:1], v[6:7]
	s_waitcnt lgkmcnt(0)
	v_mul_f64 v[40:41], v[38:39], v[34:35]
	v_mul_f64 v[34:35], v[36:37], v[34:35]
	v_add_f64 v[26:27], v[42:43], 0
	v_add_f64 v[30:31], v[44:45], 0
	v_fma_f64 v[42:43], v[0:1], v[4:5], -v[46:47]
	v_fma_f64 v[44:45], v[2:3], v[4:5], v[6:7]
	v_fma_f64 v[36:37], v[36:37], v[32:33], -v[40:41]
	v_fma_f64 v[32:33], v[38:39], v[32:33], v[34:35]
	v_add_f64 v[46:47], v[26:27], v[24:25]
	v_add_f64 v[48:49], v[30:31], v[28:29]
	ds_load_b128 v[0:3], v12 offset:64
	ds_load_b128 v[4:7], v13 offset:2048
	ds_load_b128 v[24:27], v13 offset:2560
	ds_load_b128 v[28:31], v12 offset:80
	s_waitcnt lgkmcnt(2)
	v_mul_f64 v[50:51], v[6:7], v[2:3]
	v_mul_f64 v[2:3], v[4:5], v[2:3]
	s_waitcnt lgkmcnt(0)
	v_mul_f64 v[40:41], v[26:27], v[30:31]
	v_add_f64 v[34:35], v[46:47], v[44:45]
	v_add_f64 v[38:39], v[48:49], v[42:43]
	v_mul_f64 v[42:43], v[24:25], v[30:31]
	v_fma_f64 v[44:45], v[4:5], v[0:1], -v[50:51]
	v_fma_f64 v[46:47], v[6:7], v[0:1], v[2:3]
	v_fma_f64 v[24:25], v[24:25], v[28:29], -v[40:41]
	v_add_f64 v[48:49], v[34:35], v[32:33]
	v_add_f64 v[38:39], v[38:39], v[36:37]
	ds_load_b128 v[0:3], v12 offset:96
	ds_load_b128 v[4:7], v13 offset:3072
	ds_load_b128 v[30:33], v13 offset:3584
	ds_load_b128 v[34:37], v12 offset:112
	v_fma_f64 v[26:27], v[26:27], v[28:29], v[42:43]
	s_waitcnt lgkmcnt(2)
	v_mul_f64 v[50:51], v[6:7], v[2:3]
	v_mul_f64 v[2:3], v[4:5], v[2:3]
	s_waitcnt lgkmcnt(0)
	v_mul_f64 v[40:41], v[32:33], v[36:37]
	v_mul_f64 v[42:43], v[30:31], v[36:37]
	v_add_f64 v[28:29], v[48:49], v[46:47]
	v_add_f64 v[38:39], v[38:39], v[44:45]
	v_fma_f64 v[44:45], v[4:5], v[0:1], -v[50:51]
	v_fma_f64 v[46:47], v[6:7], v[0:1], v[2:3]
	v_fma_f64 v[30:31], v[30:31], v[34:35], -v[40:41]
	v_fma_f64 v[32:33], v[32:33], v[34:35], v[42:43]
	v_add_f64 v[28:29], v[28:29], v[26:27]
	v_add_f64 v[48:49], v[38:39], v[24:25]
	ds_load_b128 v[0:3], v12 offset:128
	ds_load_b128 v[4:7], v13 offset:4096
	ds_load_b128 v[24:27], v13 offset:4608
	ds_load_b128 v[36:39], v12 offset:144
	s_waitcnt lgkmcnt(2)
	v_mul_f64 v[50:51], v[6:7], v[2:3]
	v_mul_f64 v[2:3], v[4:5], v[2:3]
	s_waitcnt lgkmcnt(0)
	v_mul_f64 v[40:41], v[26:27], v[38:39]
	v_mul_f64 v[38:39], v[24:25], v[38:39]
	v_add_f64 v[28:29], v[28:29], v[46:47]
	v_add_f64 v[34:35], v[48:49], v[44:45]
	v_fma_f64 v[42:43], v[4:5], v[0:1], -v[50:51]
	v_fma_f64 v[44:45], v[6:7], v[0:1], v[2:3]
	v_fma_f64 v[24:25], v[24:25], v[36:37], -v[40:41]
	v_fma_f64 v[26:27], v[26:27], v[36:37], v[38:39]
	v_add_f64 v[46:47], v[28:29], v[32:33]
	v_add_f64 v[48:49], v[34:35], v[30:31]
	ds_load_b128 v[0:3], v12 offset:160
	ds_load_b128 v[4:7], v13 offset:5120
	ds_load_b128 v[28:31], v13 offset:5632
	ds_load_b128 v[32:35], v12 offset:176
	s_waitcnt lgkmcnt(2)
	v_mul_f64 v[50:51], v[6:7], v[2:3]
	v_mul_f64 v[2:3], v[4:5], v[2:3]
	s_waitcnt lgkmcnt(0)
	v_mul_f64 v[40:41], v[30:31], v[34:35]
	v_add_f64 v[36:37], v[46:47], v[44:45]
	v_add_f64 v[38:39], v[48:49], v[42:43]
	v_mul_f64 v[42:43], v[28:29], v[34:35]
	v_fma_f64 v[44:45], v[4:5], v[0:1], -v[50:51]
	v_fma_f64 v[46:47], v[6:7], v[0:1], v[2:3]
	v_fma_f64 v[28:29], v[28:29], v[32:33], -v[40:41]
	v_add_f64 v[48:49], v[36:37], v[26:27]
	v_add_f64 v[38:39], v[38:39], v[24:25]
	ds_load_b128 v[0:3], v12 offset:192
	ds_load_b128 v[4:7], v13 offset:6144
	ds_load_b128 v[24:27], v13 offset:6656
	ds_load_b128 v[34:37], v12 offset:208
	v_fma_f64 v[30:31], v[30:31], v[32:33], v[42:43]
	s_waitcnt lgkmcnt(2)
	v_mul_f64 v[50:51], v[6:7], v[2:3]
	v_mul_f64 v[2:3], v[4:5], v[2:3]
	s_waitcnt lgkmcnt(0)
	v_mul_f64 v[40:41], v[26:27], v[36:37]
	v_mul_f64 v[42:43], v[24:25], v[36:37]
	v_add_f64 v[32:33], v[48:49], v[46:47]
	v_add_f64 v[38:39], v[38:39], v[44:45]
	v_fma_f64 v[44:45], v[4:5], v[0:1], -v[50:51]
	v_fma_f64 v[46:47], v[6:7], v[0:1], v[2:3]
	v_fma_f64 v[24:25], v[24:25], v[34:35], -v[40:41]
	v_fma_f64 v[26:27], v[26:27], v[34:35], v[42:43]
	v_add_f64 v[32:33], v[32:33], v[30:31]
	v_add_f64 v[48:49], v[38:39], v[28:29]
	ds_load_b128 v[0:3], v12 offset:224
	ds_load_b128 v[4:7], v13 offset:7168
	ds_load_b128 v[28:31], v13 offset:7680
	ds_load_b128 v[36:39], v12 offset:240
	;; [unrolled: 54-line block ×4, first 2 shown]
	s_waitcnt lgkmcnt(2)
	v_mul_f64 v[50:51], v[6:7], v[2:3]
	v_mul_f64 v[2:3], v[4:5], v[2:3]
	s_waitcnt lgkmcnt(0)
	v_mul_f64 v[42:43], v[30:31], v[38:39]
	v_add_f64 v[32:33], v[32:33], v[46:47]
	v_add_f64 v[34:35], v[48:49], v[44:45]
	v_mul_f64 v[44:45], v[28:29], v[38:39]
	v_fma_f64 v[46:47], v[4:5], v[0:1], -v[50:51]
	v_fma_f64 v[48:49], v[6:7], v[0:1], v[2:3]
	ds_load_b128 v[0:3], v12 offset:448
	ds_load_b128 v[4:7], v13 offset:14336
	v_fma_f64 v[28:29], v[28:29], v[36:37], -v[42:43]
	v_add_f64 v[50:51], v[32:33], v[26:27]
	v_add_f64 v[52:53], v[34:35], v[24:25]
	global_load_b128 v[24:27], v[8:9], off
	v_fma_f64 v[30:31], v[30:31], v[36:37], v[44:45]
	s_waitcnt lgkmcnt(0)
	v_mul_f64 v[54:55], v[6:7], v[2:3]
	v_mul_f64 v[2:3], v[4:5], v[2:3]
	ds_load_b128 v[32:35], v13 offset:14848
	ds_load_b128 v[38:41], v12 offset:464
	s_waitcnt lgkmcnt(0)
	v_mul_f64 v[44:45], v[34:35], v[40:41]
	v_add_f64 v[36:37], v[50:51], v[48:49]
	v_add_f64 v[42:43], v[52:53], v[46:47]
	v_mul_f64 v[46:47], v[32:33], v[40:41]
	v_fma_f64 v[48:49], v[4:5], v[0:1], -v[54:55]
	v_fma_f64 v[50:51], v[6:7], v[0:1], v[2:3]
	v_fma_f64 v[32:33], v[32:33], v[38:39], -v[44:45]
	v_add_f64 v[36:37], v[36:37], v[30:31]
	v_add_f64 v[52:53], v[42:43], v[28:29]
	ds_load_b128 v[0:3], v12 offset:480
	ds_load_b128 v[4:7], v13 offset:15360
	;; [unrolled: 1-line block ×4, first 2 shown]
	v_fma_f64 v[34:35], v[34:35], v[38:39], v[46:47]
	s_waitcnt lgkmcnt(2)
	v_mul_f64 v[54:55], v[6:7], v[2:3]
	v_mul_f64 v[2:3], v[4:5], v[2:3]
	s_waitcnt lgkmcnt(0)
	v_mul_f64 v[44:45], v[30:31], v[42:43]
	v_mul_f64 v[42:43], v[28:29], v[42:43]
	v_add_f64 v[36:37], v[36:37], v[50:51]
	v_add_f64 v[38:39], v[52:53], v[48:49]
	v_fma_f64 v[4:5], v[4:5], v[0:1], -v[54:55]
	v_fma_f64 v[0:1], v[6:7], v[0:1], v[2:3]
	v_fma_f64 v[28:29], v[28:29], v[40:41], -v[44:45]
	v_fma_f64 v[30:31], v[30:31], v[40:41], v[42:43]
	v_add_f64 v[2:3], v[36:37], v[34:35]
	v_add_f64 v[6:7], v[38:39], v[32:33]
	s_delay_alu instid0(VALU_DEP_2) | instskip(NEXT) | instid1(VALU_DEP_2)
	v_add_f64 v[0:1], v[2:3], v[0:1]
	v_add_f64 v[2:3], v[6:7], v[4:5]
	s_delay_alu instid0(VALU_DEP_2) | instskip(NEXT) | instid1(VALU_DEP_2)
	;; [unrolled: 3-line block ×3, first 2 shown]
	v_mul_f64 v[4:5], s[20:21], v[0:1]
	v_mul_f64 v[6:7], s[20:21], v[2:3]
	s_delay_alu instid0(VALU_DEP_2) | instskip(NEXT) | instid1(VALU_DEP_2)
	v_fma_f64 v[2:3], s[18:19], v[2:3], -v[4:5]
	v_fma_f64 v[4:5], s[18:19], v[0:1], v[6:7]
	s_waitcnt vmcnt(0)
	s_delay_alu instid0(VALU_DEP_2) | instskip(NEXT) | instid1(VALU_DEP_2)
	v_add_f64 v[0:1], v[24:25], v[2:3]
	v_add_f64 v[2:3], v[26:27], v[4:5]
	global_store_b128 v[8:9], v[0:3], off
	s_branch .LBB1885_4
.LBB1885_17:
	s_endpgm
	.section	.rodata,"a",@progbits
	.p2align	6, 0x0
	.amdhsa_kernel _ZL26rocblas_syr2k_her2k_kernelIlLb1ELb0ELb1ELi32E19rocblas_complex_numIdEPKPKS1_PKPS1_EvbiT_T4_T5_S9_lSB_S9_lT6_S9_li
		.amdhsa_group_segment_fixed_size 32768
		.amdhsa_private_segment_fixed_size 0
		.amdhsa_kernarg_size 108
		.amdhsa_user_sgpr_count 13
		.amdhsa_user_sgpr_dispatch_ptr 0
		.amdhsa_user_sgpr_queue_ptr 0
		.amdhsa_user_sgpr_kernarg_segment_ptr 1
		.amdhsa_user_sgpr_dispatch_id 0
		.amdhsa_user_sgpr_private_segment_size 0
		.amdhsa_wavefront_size32 1
		.amdhsa_uses_dynamic_stack 0
		.amdhsa_enable_private_segment 0
		.amdhsa_system_sgpr_workgroup_id_x 1
		.amdhsa_system_sgpr_workgroup_id_y 1
		.amdhsa_system_sgpr_workgroup_id_z 1
		.amdhsa_system_sgpr_workgroup_info 0
		.amdhsa_system_vgpr_workitem_id 1
		.amdhsa_next_free_vgpr 62
		.amdhsa_next_free_sgpr 36
		.amdhsa_reserve_vcc 1
		.amdhsa_float_round_mode_32 0
		.amdhsa_float_round_mode_16_64 0
		.amdhsa_float_denorm_mode_32 3
		.amdhsa_float_denorm_mode_16_64 3
		.amdhsa_dx10_clamp 1
		.amdhsa_ieee_mode 1
		.amdhsa_fp16_overflow 0
		.amdhsa_workgroup_processor_mode 1
		.amdhsa_memory_ordered 1
		.amdhsa_forward_progress 0
		.amdhsa_shared_vgpr_count 0
		.amdhsa_exception_fp_ieee_invalid_op 0
		.amdhsa_exception_fp_denorm_src 0
		.amdhsa_exception_fp_ieee_div_zero 0
		.amdhsa_exception_fp_ieee_overflow 0
		.amdhsa_exception_fp_ieee_underflow 0
		.amdhsa_exception_fp_ieee_inexact 0
		.amdhsa_exception_int_div_zero 0
	.end_amdhsa_kernel
	.section	.text._ZL26rocblas_syr2k_her2k_kernelIlLb1ELb0ELb1ELi32E19rocblas_complex_numIdEPKPKS1_PKPS1_EvbiT_T4_T5_S9_lSB_S9_lT6_S9_li,"axG",@progbits,_ZL26rocblas_syr2k_her2k_kernelIlLb1ELb0ELb1ELi32E19rocblas_complex_numIdEPKPKS1_PKPS1_EvbiT_T4_T5_S9_lSB_S9_lT6_S9_li,comdat
.Lfunc_end1885:
	.size	_ZL26rocblas_syr2k_her2k_kernelIlLb1ELb0ELb1ELi32E19rocblas_complex_numIdEPKPKS1_PKPS1_EvbiT_T4_T5_S9_lSB_S9_lT6_S9_li, .Lfunc_end1885-_ZL26rocblas_syr2k_her2k_kernelIlLb1ELb0ELb1ELi32E19rocblas_complex_numIdEPKPKS1_PKPS1_EvbiT_T4_T5_S9_lSB_S9_lT6_S9_li
                                        ; -- End function
	.section	.AMDGPU.csdata,"",@progbits
; Kernel info:
; codeLenInByte = 5840
; NumSgprs: 38
; NumVgprs: 62
; ScratchSize: 0
; MemoryBound: 1
; FloatMode: 240
; IeeeMode: 1
; LDSByteSize: 32768 bytes/workgroup (compile time only)
; SGPRBlocks: 4
; VGPRBlocks: 7
; NumSGPRsForWavesPerEU: 38
; NumVGPRsForWavesPerEU: 62
; Occupancy: 16
; WaveLimiterHint : 1
; COMPUTE_PGM_RSRC2:SCRATCH_EN: 0
; COMPUTE_PGM_RSRC2:USER_SGPR: 13
; COMPUTE_PGM_RSRC2:TRAP_HANDLER: 0
; COMPUTE_PGM_RSRC2:TGID_X_EN: 1
; COMPUTE_PGM_RSRC2:TGID_Y_EN: 1
; COMPUTE_PGM_RSRC2:TGID_Z_EN: 1
; COMPUTE_PGM_RSRC2:TIDIG_COMP_CNT: 1
	.section	.text._ZL26rocblas_syr2k_her2k_kernelIlLb1ELb0ELb0ELi32EPK19rocblas_complex_numIdEPKS3_PKPS1_EvbiT_T4_T5_S9_lSB_S9_lT6_S9_li,"axG",@progbits,_ZL26rocblas_syr2k_her2k_kernelIlLb1ELb0ELb0ELi32EPK19rocblas_complex_numIdEPKS3_PKPS1_EvbiT_T4_T5_S9_lSB_S9_lT6_S9_li,comdat
	.globl	_ZL26rocblas_syr2k_her2k_kernelIlLb1ELb0ELb0ELi32EPK19rocblas_complex_numIdEPKS3_PKPS1_EvbiT_T4_T5_S9_lSB_S9_lT6_S9_li ; -- Begin function _ZL26rocblas_syr2k_her2k_kernelIlLb1ELb0ELb0ELi32EPK19rocblas_complex_numIdEPKS3_PKPS1_EvbiT_T4_T5_S9_lSB_S9_lT6_S9_li
	.p2align	8
	.type	_ZL26rocblas_syr2k_her2k_kernelIlLb1ELb0ELb0ELi32EPK19rocblas_complex_numIdEPKS3_PKPS1_EvbiT_T4_T5_S9_lSB_S9_lT6_S9_li,@function
_ZL26rocblas_syr2k_her2k_kernelIlLb1ELb0ELb0ELi32EPK19rocblas_complex_numIdEPKS3_PKPS1_EvbiT_T4_T5_S9_lSB_S9_lT6_S9_li: ; @_ZL26rocblas_syr2k_her2k_kernelIlLb1ELb0ELb0ELi32EPK19rocblas_complex_numIdEPKS3_PKPS1_EvbiT_T4_T5_S9_lSB_S9_lT6_S9_li
; %bb.0:
	s_load_b512 s[16:31], s[0:1], 0x8
	s_waitcnt lgkmcnt(0)
	s_load_b128 s[4:7], s[18:19], 0x0
	s_waitcnt lgkmcnt(0)
	v_cmp_eq_f64_e64 s2, s[4:5], 0
	v_cmp_eq_f64_e64 s3, s[6:7], 0
	s_delay_alu instid0(VALU_DEP_1) | instskip(NEXT) | instid1(SALU_CYCLE_1)
	s_and_b32 s2, s2, s3
	s_and_b32 vcc_lo, exec_lo, s2
	s_cbranch_vccnz .LBB1886_17
; %bb.1:
	s_load_b64 s[2:3], s[0:1], 0x0
	s_mov_b32 s12, s15
	s_lshl_b32 s14, s14, 5
	s_lshl_b32 s15, s13, 5
	s_waitcnt lgkmcnt(0)
	s_and_b32 s2, 1, s2
	s_delay_alu instid0(SALU_CYCLE_1) | instskip(SKIP_1) | instid1(SALU_CYCLE_1)
	s_cmp_eq_u32 s2, 1
	s_cselect_b32 s2, -1, 0
	s_and_b32 s8, s2, exec_lo
	s_cselect_b32 s8, s15, s14
	s_cselect_b32 s9, s14, s15
	s_delay_alu instid0(SALU_CYCLE_1)
	s_cmp_gt_i32 s8, s9
	s_cbranch_scc1 .LBB1886_17
; %bb.2:
	v_cmp_lt_i64_e64 s8, s[16:17], 1
	s_delay_alu instid0(VALU_DEP_1)
	s_and_b32 vcc_lo, exec_lo, s8
	s_cbranch_vccnz .LBB1886_17
; %bb.3:
	s_clause 0x1
	s_load_b128 s[8:11], s[0:1], 0x48
	s_load_b64 s[0:1], s[0:1], 0x58
	v_bfe_u32 v10, v0, 10, 10
	v_and_b32_e32 v11, 0x3ff, v0
	s_mov_b32 s13, 0
	v_mov_b32_e32 v1, 0
	s_lshl_b64 s[12:13], s[12:13], 3
	v_add_nc_u32_e32 v2, s14, v10
	v_add_nc_u32_e32 v0, s15, v11
	s_add_u32 s20, s20, s12
	v_mov_b32_e32 v3, v1
	s_addc_u32 s21, s21, s13
	v_lshlrev_b32_e32 v6, 4, v10
	s_add_u32 s14, s26, s12
	v_max_i32_e32 v7, v0, v2
	v_ashrrev_i32_e32 v9, 31, v2
	v_mad_u64_u32 v[18:19], null, s28, v10, 0
	v_lshlrev_b32_e32 v12, 9, v11
	s_addc_u32 s15, s27, s13
	s_waitcnt lgkmcnt(0)
	s_add_u32 s8, s8, s12
	s_load_b64 s[14:15], s[14:15], 0x0
	s_addc_u32 s9, s9, s13
	v_or_b32_e32 v13, 0x4000, v6
	v_add_nc_u32_e32 v14, v12, v6
	v_cmp_gt_i32_e32 vcc_lo, s3, v7
	v_mul_lo_u32 v9, v9, s10
	v_mul_lo_u32 v17, v2, s11
	v_mad_u64_u32 v[6:7], null, v2, s10, 0
	s_load_b64 s[8:9], s[8:9], 0x0
	v_mad_u64_u32 v[4:5], null, s28, v11, 0
	v_cndmask_b32_e64 v8, v0, v2, s2
	v_cndmask_b32_e64 v16, v2, v0, s2
	s_lshl_b64 s[12:13], s[30:31], 4
	s_delay_alu instid0(VALU_DEP_4) | instskip(SKIP_1) | instid1(VALU_DEP_3)
	v_add3_u32 v7, v7, v17, v9
	v_mad_u64_u32 v[20:21], null, s22, v11, 0
	v_cmp_le_i32_e64 s2, v16, v8
	v_ashrrev_i32_e32 v8, 31, v0
	s_delay_alu instid0(VALU_DEP_4)
	v_lshlrev_b64 v[16:17], 4, v[6:7]
	v_mad_u64_u32 v[6:7], null, s29, v11, v[5:6]
	v_mov_b32_e32 v7, v0
	s_waitcnt lgkmcnt(0)
	s_add_u32 s12, s14, s12
	s_addc_u32 s13, s15, s13
	s_lshl_b64 s[0:1], s[0:1], 4
	s_mov_b32 s18, s3
	v_lshlrev_b64 v[8:9], 4, v[7:8]
	v_mov_b32_e32 v5, v6
	v_mov_b32_e32 v7, v19
	s_add_u32 s8, s8, s0
	s_addc_u32 s9, s9, s1
	s_and_b32 s14, s2, vcc_lo
	v_add_co_u32 v22, vcc_lo, s8, v16
	v_add_co_ci_u32_e32 v23, vcc_lo, s9, v17, vcc_lo
	v_mad_u64_u32 v[16:17], null, s29, v10, v[7:8]
	v_mad_u64_u32 v[6:7], null, s22, v10, 0
	v_mov_b32_e32 v17, v21
	s_ashr_i32 s19, s3, 31
	v_add_co_u32 v8, vcc_lo, v22, v8
	v_cmp_gt_i64_e64 s1, s[18:19], v[2:3]
	v_lshlrev_b64 v[4:5], 4, v[4:5]
	v_lshlrev_b64 v[2:3], 4, v[2:3]
	v_mad_u64_u32 v[21:22], null, s23, v11, v[17:18]
	v_add_co_ci_u32_e32 v9, vcc_lo, v23, v9, vcc_lo
	v_mov_b32_e32 v19, v16
	v_mad_u64_u32 v[22:23], null, s23, v10, v[7:8]
	s_load_b64 s[20:21], s[20:21], 0x0
	v_add_co_u32 v7, vcc_lo, v4, v2
	v_cmp_gt_i64_e64 s0, s[18:19], v[0:1]
	v_add_co_ci_u32_e32 v16, vcc_lo, v5, v3, vcc_lo
	v_lshlrev_b64 v[4:5], 4, v[18:19]
	v_lshlrev_b64 v[0:1], 4, v[0:1]
	v_or_b32_e32 v17, 8, v7
	v_mov_b32_e32 v7, v22
	v_lshlrev_b64 v[20:21], 4, v[20:21]
	s_lshl_b64 s[8:9], s[24:25], 4
	s_lshl_b64 s[2:3], s[28:29], 9
	v_add_co_u32 v18, vcc_lo, v4, v0
	v_add_co_ci_u32_e32 v19, vcc_lo, v5, v1, vcc_lo
	v_lshlrev_b64 v[4:5], 4, v[6:7]
	v_add_co_u32 v20, vcc_lo, v20, v2
	v_add_co_ci_u32_e32 v21, vcc_lo, v21, v3, vcc_lo
	v_add_nc_u32_e32 v15, v13, v12
	s_delay_alu instid0(VALU_DEP_4)
	v_add_co_u32 v22, vcc_lo, v4, v0
	s_waitcnt lgkmcnt(0)
	s_add_u32 s8, s8, s20
	v_add_co_ci_u32_e32 v23, vcc_lo, v5, v1, vcc_lo
	s_addc_u32 s9, s9, s21
	s_add_u32 s15, s8, 8
	s_addc_u32 s18, s9, 0
	s_lshl_b64 s[8:9], s[22:23], 9
	s_mov_b64 s[10:11], 0
	s_branch .LBB1886_5
.LBB1886_4:                             ;   in Loop: Header=BB1886_5 Depth=1
	s_or_b32 exec_lo, exec_lo, s19
	s_add_u32 s10, s10, 32
	s_addc_u32 s11, s11, 0
	s_add_u32 s12, s12, s2
	v_cmp_lt_i64_e64 s19, s[10:11], s[16:17]
	s_addc_u32 s13, s13, s3
	s_add_u32 s15, s15, s8
	s_addc_u32 s18, s18, s9
	s_waitcnt_vscnt null, 0x0
	s_barrier
	s_and_b32 vcc_lo, exec_lo, s19
	buffer_gl0_inv
	s_cbranch_vccz .LBB1886_17
.LBB1886_5:                             ; =>This Inner Loop Header: Depth=1
	v_add_co_u32 v2, s19, v10, s10
	s_delay_alu instid0(VALU_DEP_1) | instskip(SKIP_2) | instid1(VALU_DEP_3)
	v_add_co_ci_u32_e64 v3, null, 0, s11, s19
	v_mov_b32_e32 v0, 0
	v_mov_b32_e32 v1, 0
	v_cmp_gt_i64_e32 vcc_lo, s[16:17], v[2:3]
	s_delay_alu instid0(VALU_DEP_2) | instskip(SKIP_2) | instid1(SALU_CYCLE_1)
	v_dual_mov_b32 v5, v1 :: v_dual_mov_b32 v4, v0
	v_dual_mov_b32 v7, v1 :: v_dual_mov_b32 v6, v0
	s_and_b32 s19, s0, vcc_lo
	s_and_saveexec_b32 s20, s19
	s_cbranch_execz .LBB1886_7
; %bb.6:                                ;   in Loop: Header=BB1886_5 Depth=1
	v_add_co_u32 v2, vcc_lo, s15, v22
	v_add_co_ci_u32_e32 v3, vcc_lo, s18, v23, vcc_lo
	global_load_b128 v[4:7], v[2:3], off offset:-8
.LBB1886_7:                             ;   in Loop: Header=BB1886_5 Depth=1
	s_or_b32 exec_lo, exec_lo, s20
	v_add_co_u32 v2, s20, v11, s10
	s_delay_alu instid0(VALU_DEP_1)
	v_add_co_ci_u32_e64 v3, null, 0, s11, s20
	s_waitcnt vmcnt(0)
	ds_store_b128 v14, v[4:7]
	v_cmp_gt_i64_e32 vcc_lo, s[16:17], v[2:3]
	v_dual_mov_b32 v3, v1 :: v_dual_mov_b32 v2, v0
	s_and_b32 s20, s1, vcc_lo
	s_delay_alu instid0(SALU_CYCLE_1)
	s_and_saveexec_b32 s21, s20
	s_cbranch_execz .LBB1886_9
; %bb.8:                                ;   in Loop: Header=BB1886_5 Depth=1
	v_add_co_u32 v0, vcc_lo, s12, v17
	v_add_co_ci_u32_e32 v1, vcc_lo, s13, v16, vcc_lo
	global_load_b128 v[0:3], v[0:1], off offset:-8
.LBB1886_9:                             ;   in Loop: Header=BB1886_5 Depth=1
	s_or_b32 exec_lo, exec_lo, s21
	s_waitcnt vmcnt(0)
	ds_store_b128 v15, v[0:3]
	s_waitcnt lgkmcnt(0)
	s_barrier
	buffer_gl0_inv
	s_and_saveexec_b32 s21, s14
	s_cbranch_execz .LBB1886_11
; %bb.10:                               ;   in Loop: Header=BB1886_5 Depth=1
	ds_load_b128 v[0:3], v13
	ds_load_b128 v[4:7], v12
	ds_load_b128 v[24:27], v12 offset:16
	ds_load_b128 v[28:31], v13 offset:512
	s_waitcnt lgkmcnt(2)
	v_mul_f64 v[32:33], v[0:1], v[6:7]
	v_mul_f64 v[6:7], v[2:3], v[6:7]
	s_waitcnt lgkmcnt(0)
	v_mul_f64 v[48:49], v[28:29], v[26:27]
	v_mul_f64 v[26:27], v[30:31], v[26:27]
	s_delay_alu instid0(VALU_DEP_4)
	v_fma_f64 v[2:3], v[2:3], v[4:5], v[32:33]
	ds_load_b128 v[32:35], v13 offset:1024
	ds_load_b128 v[36:39], v12 offset:32
	;; [unrolled: 1-line block ×4, first 2 shown]
	v_fma_f64 v[0:1], v[0:1], v[4:5], -v[6:7]
	v_fma_f64 v[4:5], v[30:31], v[24:25], v[48:49]
	v_fma_f64 v[52:53], v[28:29], v[24:25], -v[26:27]
	s_waitcnt lgkmcnt(2)
	v_mul_f64 v[50:51], v[32:33], v[38:39]
	v_mul_f64 v[38:39], v[34:35], v[38:39]
	s_waitcnt lgkmcnt(0)
	v_mul_f64 v[48:49], v[44:45], v[42:43]
	v_mul_f64 v[42:43], v[46:47], v[42:43]
	v_add_f64 v[2:3], v[2:3], 0
	v_fma_f64 v[34:35], v[34:35], v[36:37], v[50:51]
	v_add_f64 v[50:51], v[0:1], 0
	v_fma_f64 v[32:33], v[32:33], v[36:37], -v[38:39]
	v_fma_f64 v[36:37], v[46:47], v[40:41], v[48:49]
	v_add_f64 v[54:55], v[2:3], v[4:5]
	ds_load_b128 v[0:3], v12 offset:64
	ds_load_b128 v[4:7], v13 offset:2048
	ds_load_b128 v[24:27], v13 offset:2560
	ds_load_b128 v[28:31], v12 offset:80
	s_waitcnt lgkmcnt(2)
	v_mul_f64 v[56:57], v[4:5], v[2:3]
	v_add_f64 v[38:39], v[50:51], v[52:53]
	v_mul_f64 v[2:3], v[6:7], v[2:3]
	s_waitcnt lgkmcnt(0)
	v_mul_f64 v[48:49], v[24:25], v[30:31]
	v_fma_f64 v[50:51], v[44:45], v[40:41], -v[42:43]
	v_mul_f64 v[30:31], v[26:27], v[30:31]
	v_add_f64 v[34:35], v[54:55], v[34:35]
	v_fma_f64 v[6:7], v[6:7], v[0:1], v[56:57]
	v_add_f64 v[52:53], v[38:39], v[32:33]
	v_fma_f64 v[0:1], v[4:5], v[0:1], -v[2:3]
	v_fma_f64 v[2:3], v[26:27], v[28:29], v[48:49]
	v_add_f64 v[54:55], v[34:35], v[36:37]
	ds_load_b128 v[32:35], v12 offset:96
	ds_load_b128 v[36:39], v13 offset:3072
	ds_load_b128 v[40:43], v13 offset:3584
	ds_load_b128 v[44:47], v12 offset:112
	s_waitcnt lgkmcnt(2)
	v_mul_f64 v[56:57], v[36:37], v[34:35]
	v_add_f64 v[4:5], v[52:53], v[50:51]
	v_mul_f64 v[34:35], v[38:39], v[34:35]
	s_waitcnt lgkmcnt(0)
	v_mul_f64 v[48:49], v[40:41], v[46:47]
	v_fma_f64 v[50:51], v[24:25], v[28:29], -v[30:31]
	;; [unrolled: 18-line block ×11, first 2 shown]
	v_mul_f64 v[30:31], v[26:27], v[30:31]
	v_add_f64 v[38:39], v[54:55], v[38:39]
	v_fma_f64 v[6:7], v[6:7], v[0:1], v[56:57]
	v_add_f64 v[52:53], v[36:37], v[32:33]
	v_fma_f64 v[0:1], v[4:5], v[0:1], -v[2:3]
	v_fma_f64 v[2:3], v[26:27], v[28:29], v[48:49]
	v_add_f64 v[54:55], v[38:39], v[34:35]
	ds_load_b128 v[32:35], v12 offset:416
	ds_load_b128 v[36:39], v13 offset:13312
	;; [unrolled: 1-line block ×4, first 2 shown]
	s_waitcnt lgkmcnt(2)
	v_mul_f64 v[56:57], v[36:37], v[34:35]
	v_add_f64 v[4:5], v[52:53], v[50:51]
	v_mul_f64 v[34:35], v[38:39], v[34:35]
	s_waitcnt lgkmcnt(0)
	v_mul_f64 v[52:53], v[40:41], v[46:47]
	v_mul_f64 v[46:47], v[42:43], v[46:47]
	v_add_f64 v[6:7], v[54:55], v[6:7]
	v_fma_f64 v[54:55], v[24:25], v[28:29], -v[30:31]
	v_fma_f64 v[38:39], v[38:39], v[32:33], v[56:57]
	v_add_f64 v[56:57], v[4:5], v[0:1]
	v_fma_f64 v[32:33], v[36:37], v[32:33], -v[34:35]
	v_fma_f64 v[34:35], v[42:43], v[44:45], v[52:53]
	v_add_f64 v[58:59], v[6:7], v[2:3]
	ds_load_b128 v[0:3], v12 offset:448
	ds_load_b128 v[4:7], v13 offset:14336
	global_load_b128 v[24:27], v[8:9], off
	ds_load_b128 v[28:31], v13 offset:14848
	ds_load_b128 v[48:51], v12 offset:464
	v_add_f64 v[36:37], v[56:57], v[54:55]
	s_waitcnt lgkmcnt(2)
	v_mul_f64 v[60:61], v[4:5], v[2:3]
	v_mul_f64 v[2:3], v[6:7], v[2:3]
	s_waitcnt lgkmcnt(0)
	v_mul_f64 v[52:53], v[28:29], v[50:51]
	v_fma_f64 v[54:55], v[40:41], v[44:45], -v[46:47]
	v_mul_f64 v[50:51], v[30:31], v[50:51]
	v_add_f64 v[38:39], v[58:59], v[38:39]
	v_add_f64 v[56:57], v[36:37], v[32:33]
	v_fma_f64 v[6:7], v[6:7], v[0:1], v[60:61]
	v_fma_f64 v[0:1], v[4:5], v[0:1], -v[2:3]
	v_fma_f64 v[2:3], v[30:31], v[48:49], v[52:53]
	v_fma_f64 v[28:29], v[28:29], v[48:49], -v[50:51]
	v_add_f64 v[58:59], v[38:39], v[34:35]
	ds_load_b128 v[32:35], v12 offset:480
	ds_load_b128 v[36:39], v13 offset:15360
	;; [unrolled: 1-line block ×4, first 2 shown]
	s_waitcnt lgkmcnt(2)
	v_mul_f64 v[60:61], v[36:37], v[34:35]
	v_add_f64 v[4:5], v[56:57], v[54:55]
	v_mul_f64 v[30:31], v[38:39], v[34:35]
	s_waitcnt lgkmcnt(0)
	v_mul_f64 v[34:35], v[40:41], v[46:47]
	v_add_f64 v[6:7], v[58:59], v[6:7]
	v_fma_f64 v[38:39], v[38:39], v[32:33], v[60:61]
	v_add_f64 v[0:1], v[4:5], v[0:1]
	v_mul_f64 v[4:5], v[42:43], v[46:47]
	s_delay_alu instid0(VALU_DEP_4)
	v_add_f64 v[2:3], v[6:7], v[2:3]
	v_fma_f64 v[6:7], v[36:37], v[32:33], -v[30:31]
	v_fma_f64 v[30:31], v[42:43], v[44:45], v[34:35]
	v_add_f64 v[0:1], v[0:1], v[28:29]
	v_fma_f64 v[4:5], v[40:41], v[44:45], -v[4:5]
	v_add_f64 v[2:3], v[2:3], v[38:39]
	s_delay_alu instid0(VALU_DEP_3) | instskip(NEXT) | instid1(VALU_DEP_2)
	v_add_f64 v[0:1], v[0:1], v[6:7]
	v_add_f64 v[2:3], v[2:3], v[30:31]
	s_delay_alu instid0(VALU_DEP_2) | instskip(NEXT) | instid1(VALU_DEP_2)
	v_add_f64 v[0:1], v[0:1], v[4:5]
	v_mul_f64 v[4:5], s[6:7], v[2:3]
	v_mul_f64 v[2:3], s[4:5], v[2:3]
	s_delay_alu instid0(VALU_DEP_2) | instskip(NEXT) | instid1(VALU_DEP_2)
	v_fma_f64 v[4:5], s[4:5], v[0:1], -v[4:5]
	v_fma_f64 v[2:3], s[6:7], v[0:1], v[2:3]
	s_waitcnt vmcnt(0)
	s_delay_alu instid0(VALU_DEP_2) | instskip(NEXT) | instid1(VALU_DEP_2)
	v_add_f64 v[0:1], v[24:25], v[4:5]
	v_add_f64 v[2:3], v[26:27], v[2:3]
	global_store_b128 v[8:9], v[0:3], off
.LBB1886_11:                            ;   in Loop: Header=BB1886_5 Depth=1
	s_or_b32 exec_lo, exec_lo, s21
	v_mov_b32_e32 v2, 0
	v_mov_b32_e32 v3, 0
	s_waitcnt_vscnt null, 0x0
	s_barrier
	buffer_gl0_inv
	v_dual_mov_b32 v7, v3 :: v_dual_mov_b32 v6, v2
	v_dual_mov_b32 v5, v3 :: v_dual_mov_b32 v4, v2
	s_and_saveexec_b32 s21, s19
	s_cbranch_execz .LBB1886_13
; %bb.12:                               ;   in Loop: Header=BB1886_5 Depth=1
	v_add_co_u32 v0, vcc_lo, s12, v18
	v_add_co_ci_u32_e32 v1, vcc_lo, s13, v19, vcc_lo
	global_load_b128 v[4:7], v[0:1], off
.LBB1886_13:                            ;   in Loop: Header=BB1886_5 Depth=1
	s_or_b32 exec_lo, exec_lo, s21
	v_dual_mov_b32 v0, v2 :: v_dual_mov_b32 v1, v3
	s_waitcnt vmcnt(0)
	ds_store_b128 v14, v[4:7]
	s_and_saveexec_b32 s19, s20
	s_cbranch_execz .LBB1886_15
; %bb.14:                               ;   in Loop: Header=BB1886_5 Depth=1
	v_add_co_u32 v0, vcc_lo, s15, v20
	v_add_co_ci_u32_e32 v1, vcc_lo, s18, v21, vcc_lo
	global_load_b128 v[0:3], v[0:1], off offset:-8
.LBB1886_15:                            ;   in Loop: Header=BB1886_5 Depth=1
	s_or_b32 exec_lo, exec_lo, s19
	s_waitcnt vmcnt(0)
	ds_store_b128 v15, v[0:3]
	s_waitcnt lgkmcnt(0)
	s_barrier
	buffer_gl0_inv
	s_and_saveexec_b32 s19, s14
	s_cbranch_execz .LBB1886_4
; %bb.16:                               ;   in Loop: Header=BB1886_5 Depth=1
	ds_load_b128 v[0:3], v13
	ds_load_b128 v[4:7], v12
	ds_load_b128 v[24:27], v12 offset:16
	ds_load_b128 v[28:31], v13 offset:512
	s_waitcnt lgkmcnt(2)
	v_mul_f64 v[32:33], v[0:1], v[6:7]
	v_mul_f64 v[6:7], v[2:3], v[6:7]
	s_waitcnt lgkmcnt(0)
	v_mul_f64 v[40:41], v[30:31], v[26:27]
	v_mul_f64 v[26:27], v[28:29], v[26:27]
	s_delay_alu instid0(VALU_DEP_4) | instskip(NEXT) | instid1(VALU_DEP_4)
	v_fma_f64 v[42:43], v[2:3], v[4:5], v[32:33]
	v_fma_f64 v[44:45], v[0:1], v[4:5], -v[6:7]
	ds_load_b128 v[0:3], v13 offset:1024
	ds_load_b128 v[4:7], v12 offset:32
	;; [unrolled: 1-line block ×4, first 2 shown]
	v_fma_f64 v[28:29], v[28:29], v[24:25], -v[40:41]
	v_fma_f64 v[24:25], v[30:31], v[24:25], v[26:27]
	s_waitcnt lgkmcnt(2)
	v_mul_f64 v[46:47], v[2:3], v[6:7]
	v_mul_f64 v[6:7], v[0:1], v[6:7]
	s_waitcnt lgkmcnt(0)
	v_mul_f64 v[40:41], v[38:39], v[34:35]
	v_mul_f64 v[34:35], v[36:37], v[34:35]
	v_add_f64 v[26:27], v[42:43], 0
	v_add_f64 v[30:31], v[44:45], 0
	v_fma_f64 v[42:43], v[0:1], v[4:5], -v[46:47]
	v_fma_f64 v[44:45], v[2:3], v[4:5], v[6:7]
	v_fma_f64 v[36:37], v[36:37], v[32:33], -v[40:41]
	v_fma_f64 v[32:33], v[38:39], v[32:33], v[34:35]
	v_add_f64 v[46:47], v[26:27], v[24:25]
	v_add_f64 v[48:49], v[30:31], v[28:29]
	ds_load_b128 v[0:3], v12 offset:64
	ds_load_b128 v[4:7], v13 offset:2048
	ds_load_b128 v[24:27], v13 offset:2560
	ds_load_b128 v[28:31], v12 offset:80
	s_waitcnt lgkmcnt(2)
	v_mul_f64 v[50:51], v[6:7], v[2:3]
	v_mul_f64 v[2:3], v[4:5], v[2:3]
	s_waitcnt lgkmcnt(0)
	v_mul_f64 v[40:41], v[26:27], v[30:31]
	v_add_f64 v[34:35], v[46:47], v[44:45]
	v_add_f64 v[38:39], v[48:49], v[42:43]
	v_mul_f64 v[42:43], v[24:25], v[30:31]
	v_fma_f64 v[44:45], v[4:5], v[0:1], -v[50:51]
	v_fma_f64 v[46:47], v[6:7], v[0:1], v[2:3]
	v_fma_f64 v[24:25], v[24:25], v[28:29], -v[40:41]
	v_add_f64 v[48:49], v[34:35], v[32:33]
	v_add_f64 v[38:39], v[38:39], v[36:37]
	ds_load_b128 v[0:3], v12 offset:96
	ds_load_b128 v[4:7], v13 offset:3072
	ds_load_b128 v[30:33], v13 offset:3584
	ds_load_b128 v[34:37], v12 offset:112
	v_fma_f64 v[26:27], v[26:27], v[28:29], v[42:43]
	s_waitcnt lgkmcnt(2)
	v_mul_f64 v[50:51], v[6:7], v[2:3]
	v_mul_f64 v[2:3], v[4:5], v[2:3]
	s_waitcnt lgkmcnt(0)
	v_mul_f64 v[40:41], v[32:33], v[36:37]
	v_mul_f64 v[42:43], v[30:31], v[36:37]
	v_add_f64 v[28:29], v[48:49], v[46:47]
	v_add_f64 v[38:39], v[38:39], v[44:45]
	v_fma_f64 v[44:45], v[4:5], v[0:1], -v[50:51]
	v_fma_f64 v[46:47], v[6:7], v[0:1], v[2:3]
	v_fma_f64 v[30:31], v[30:31], v[34:35], -v[40:41]
	v_fma_f64 v[32:33], v[32:33], v[34:35], v[42:43]
	v_add_f64 v[28:29], v[28:29], v[26:27]
	v_add_f64 v[48:49], v[38:39], v[24:25]
	ds_load_b128 v[0:3], v12 offset:128
	ds_load_b128 v[4:7], v13 offset:4096
	ds_load_b128 v[24:27], v13 offset:4608
	ds_load_b128 v[36:39], v12 offset:144
	s_waitcnt lgkmcnt(2)
	v_mul_f64 v[50:51], v[6:7], v[2:3]
	v_mul_f64 v[2:3], v[4:5], v[2:3]
	s_waitcnt lgkmcnt(0)
	v_mul_f64 v[40:41], v[26:27], v[38:39]
	v_mul_f64 v[38:39], v[24:25], v[38:39]
	v_add_f64 v[28:29], v[28:29], v[46:47]
	v_add_f64 v[34:35], v[48:49], v[44:45]
	v_fma_f64 v[42:43], v[4:5], v[0:1], -v[50:51]
	v_fma_f64 v[44:45], v[6:7], v[0:1], v[2:3]
	v_fma_f64 v[24:25], v[24:25], v[36:37], -v[40:41]
	v_fma_f64 v[26:27], v[26:27], v[36:37], v[38:39]
	v_add_f64 v[46:47], v[28:29], v[32:33]
	v_add_f64 v[48:49], v[34:35], v[30:31]
	ds_load_b128 v[0:3], v12 offset:160
	ds_load_b128 v[4:7], v13 offset:5120
	ds_load_b128 v[28:31], v13 offset:5632
	ds_load_b128 v[32:35], v12 offset:176
	s_waitcnt lgkmcnt(2)
	v_mul_f64 v[50:51], v[6:7], v[2:3]
	v_mul_f64 v[2:3], v[4:5], v[2:3]
	s_waitcnt lgkmcnt(0)
	v_mul_f64 v[40:41], v[30:31], v[34:35]
	v_add_f64 v[36:37], v[46:47], v[44:45]
	v_add_f64 v[38:39], v[48:49], v[42:43]
	v_mul_f64 v[42:43], v[28:29], v[34:35]
	v_fma_f64 v[44:45], v[4:5], v[0:1], -v[50:51]
	v_fma_f64 v[46:47], v[6:7], v[0:1], v[2:3]
	v_fma_f64 v[28:29], v[28:29], v[32:33], -v[40:41]
	v_add_f64 v[48:49], v[36:37], v[26:27]
	v_add_f64 v[38:39], v[38:39], v[24:25]
	ds_load_b128 v[0:3], v12 offset:192
	ds_load_b128 v[4:7], v13 offset:6144
	ds_load_b128 v[24:27], v13 offset:6656
	ds_load_b128 v[34:37], v12 offset:208
	v_fma_f64 v[30:31], v[30:31], v[32:33], v[42:43]
	s_waitcnt lgkmcnt(2)
	v_mul_f64 v[50:51], v[6:7], v[2:3]
	v_mul_f64 v[2:3], v[4:5], v[2:3]
	s_waitcnt lgkmcnt(0)
	v_mul_f64 v[40:41], v[26:27], v[36:37]
	v_mul_f64 v[42:43], v[24:25], v[36:37]
	v_add_f64 v[32:33], v[48:49], v[46:47]
	v_add_f64 v[38:39], v[38:39], v[44:45]
	v_fma_f64 v[44:45], v[4:5], v[0:1], -v[50:51]
	v_fma_f64 v[46:47], v[6:7], v[0:1], v[2:3]
	v_fma_f64 v[24:25], v[24:25], v[34:35], -v[40:41]
	v_fma_f64 v[26:27], v[26:27], v[34:35], v[42:43]
	v_add_f64 v[32:33], v[32:33], v[30:31]
	v_add_f64 v[48:49], v[38:39], v[28:29]
	ds_load_b128 v[0:3], v12 offset:224
	ds_load_b128 v[4:7], v13 offset:7168
	ds_load_b128 v[28:31], v13 offset:7680
	ds_load_b128 v[36:39], v12 offset:240
	;; [unrolled: 54-line block ×4, first 2 shown]
	s_waitcnt lgkmcnt(2)
	v_mul_f64 v[50:51], v[6:7], v[2:3]
	v_mul_f64 v[2:3], v[4:5], v[2:3]
	s_waitcnt lgkmcnt(0)
	v_mul_f64 v[42:43], v[30:31], v[38:39]
	v_add_f64 v[32:33], v[32:33], v[46:47]
	v_add_f64 v[34:35], v[48:49], v[44:45]
	v_mul_f64 v[44:45], v[28:29], v[38:39]
	v_fma_f64 v[46:47], v[4:5], v[0:1], -v[50:51]
	v_fma_f64 v[48:49], v[6:7], v[0:1], v[2:3]
	ds_load_b128 v[0:3], v12 offset:448
	ds_load_b128 v[4:7], v13 offset:14336
	v_fma_f64 v[28:29], v[28:29], v[36:37], -v[42:43]
	v_add_f64 v[50:51], v[32:33], v[26:27]
	v_add_f64 v[52:53], v[34:35], v[24:25]
	global_load_b128 v[24:27], v[8:9], off
	v_fma_f64 v[30:31], v[30:31], v[36:37], v[44:45]
	s_waitcnt lgkmcnt(0)
	v_mul_f64 v[54:55], v[6:7], v[2:3]
	v_mul_f64 v[2:3], v[4:5], v[2:3]
	ds_load_b128 v[32:35], v13 offset:14848
	ds_load_b128 v[38:41], v12 offset:464
	s_waitcnt lgkmcnt(0)
	v_mul_f64 v[44:45], v[34:35], v[40:41]
	v_add_f64 v[36:37], v[50:51], v[48:49]
	v_add_f64 v[42:43], v[52:53], v[46:47]
	v_mul_f64 v[46:47], v[32:33], v[40:41]
	v_fma_f64 v[48:49], v[4:5], v[0:1], -v[54:55]
	v_fma_f64 v[50:51], v[6:7], v[0:1], v[2:3]
	v_fma_f64 v[32:33], v[32:33], v[38:39], -v[44:45]
	v_add_f64 v[36:37], v[36:37], v[30:31]
	v_add_f64 v[52:53], v[42:43], v[28:29]
	ds_load_b128 v[0:3], v12 offset:480
	ds_load_b128 v[4:7], v13 offset:15360
	;; [unrolled: 1-line block ×4, first 2 shown]
	v_fma_f64 v[34:35], v[34:35], v[38:39], v[46:47]
	s_waitcnt lgkmcnt(2)
	v_mul_f64 v[54:55], v[6:7], v[2:3]
	v_mul_f64 v[2:3], v[4:5], v[2:3]
	s_waitcnt lgkmcnt(0)
	v_mul_f64 v[44:45], v[30:31], v[42:43]
	v_mul_f64 v[42:43], v[28:29], v[42:43]
	v_add_f64 v[36:37], v[36:37], v[50:51]
	v_add_f64 v[38:39], v[52:53], v[48:49]
	v_fma_f64 v[4:5], v[4:5], v[0:1], -v[54:55]
	v_fma_f64 v[0:1], v[6:7], v[0:1], v[2:3]
	v_fma_f64 v[28:29], v[28:29], v[40:41], -v[44:45]
	v_fma_f64 v[30:31], v[30:31], v[40:41], v[42:43]
	v_add_f64 v[2:3], v[36:37], v[34:35]
	v_add_f64 v[6:7], v[38:39], v[32:33]
	s_delay_alu instid0(VALU_DEP_2) | instskip(NEXT) | instid1(VALU_DEP_2)
	v_add_f64 v[0:1], v[2:3], v[0:1]
	v_add_f64 v[2:3], v[6:7], v[4:5]
	s_delay_alu instid0(VALU_DEP_2) | instskip(NEXT) | instid1(VALU_DEP_2)
	;; [unrolled: 3-line block ×3, first 2 shown]
	v_mul_f64 v[4:5], s[6:7], v[0:1]
	v_mul_f64 v[6:7], s[6:7], v[2:3]
	s_delay_alu instid0(VALU_DEP_2) | instskip(NEXT) | instid1(VALU_DEP_2)
	v_fma_f64 v[2:3], s[4:5], v[2:3], -v[4:5]
	v_fma_f64 v[4:5], s[4:5], v[0:1], v[6:7]
	s_waitcnt vmcnt(0)
	s_delay_alu instid0(VALU_DEP_2) | instskip(NEXT) | instid1(VALU_DEP_2)
	v_add_f64 v[0:1], v[24:25], v[2:3]
	v_add_f64 v[2:3], v[26:27], v[4:5]
	global_store_b128 v[8:9], v[0:3], off
	s_branch .LBB1886_4
.LBB1886_17:
	s_endpgm
	.section	.rodata,"a",@progbits
	.p2align	6, 0x0
	.amdhsa_kernel _ZL26rocblas_syr2k_her2k_kernelIlLb1ELb0ELb0ELi32EPK19rocblas_complex_numIdEPKS3_PKPS1_EvbiT_T4_T5_S9_lSB_S9_lT6_S9_li
		.amdhsa_group_segment_fixed_size 32768
		.amdhsa_private_segment_fixed_size 0
		.amdhsa_kernarg_size 100
		.amdhsa_user_sgpr_count 13
		.amdhsa_user_sgpr_dispatch_ptr 0
		.amdhsa_user_sgpr_queue_ptr 0
		.amdhsa_user_sgpr_kernarg_segment_ptr 1
		.amdhsa_user_sgpr_dispatch_id 0
		.amdhsa_user_sgpr_private_segment_size 0
		.amdhsa_wavefront_size32 1
		.amdhsa_uses_dynamic_stack 0
		.amdhsa_enable_private_segment 0
		.amdhsa_system_sgpr_workgroup_id_x 1
		.amdhsa_system_sgpr_workgroup_id_y 1
		.amdhsa_system_sgpr_workgroup_id_z 1
		.amdhsa_system_sgpr_workgroup_info 0
		.amdhsa_system_vgpr_workitem_id 1
		.amdhsa_next_free_vgpr 62
		.amdhsa_next_free_sgpr 32
		.amdhsa_reserve_vcc 1
		.amdhsa_float_round_mode_32 0
		.amdhsa_float_round_mode_16_64 0
		.amdhsa_float_denorm_mode_32 3
		.amdhsa_float_denorm_mode_16_64 3
		.amdhsa_dx10_clamp 1
		.amdhsa_ieee_mode 1
		.amdhsa_fp16_overflow 0
		.amdhsa_workgroup_processor_mode 1
		.amdhsa_memory_ordered 1
		.amdhsa_forward_progress 0
		.amdhsa_shared_vgpr_count 0
		.amdhsa_exception_fp_ieee_invalid_op 0
		.amdhsa_exception_fp_denorm_src 0
		.amdhsa_exception_fp_ieee_div_zero 0
		.amdhsa_exception_fp_ieee_overflow 0
		.amdhsa_exception_fp_ieee_underflow 0
		.amdhsa_exception_fp_ieee_inexact 0
		.amdhsa_exception_int_div_zero 0
	.end_amdhsa_kernel
	.section	.text._ZL26rocblas_syr2k_her2k_kernelIlLb1ELb0ELb0ELi32EPK19rocblas_complex_numIdEPKS3_PKPS1_EvbiT_T4_T5_S9_lSB_S9_lT6_S9_li,"axG",@progbits,_ZL26rocblas_syr2k_her2k_kernelIlLb1ELb0ELb0ELi32EPK19rocblas_complex_numIdEPKS3_PKPS1_EvbiT_T4_T5_S9_lSB_S9_lT6_S9_li,comdat
.Lfunc_end1886:
	.size	_ZL26rocblas_syr2k_her2k_kernelIlLb1ELb0ELb0ELi32EPK19rocblas_complex_numIdEPKS3_PKPS1_EvbiT_T4_T5_S9_lSB_S9_lT6_S9_li, .Lfunc_end1886-_ZL26rocblas_syr2k_her2k_kernelIlLb1ELb0ELb0ELi32EPK19rocblas_complex_numIdEPKS3_PKPS1_EvbiT_T4_T5_S9_lSB_S9_lT6_S9_li
                                        ; -- End function
	.section	.AMDGPU.csdata,"",@progbits
; Kernel info:
; codeLenInByte = 5660
; NumSgprs: 34
; NumVgprs: 62
; ScratchSize: 0
; MemoryBound: 1
; FloatMode: 240
; IeeeMode: 1
; LDSByteSize: 32768 bytes/workgroup (compile time only)
; SGPRBlocks: 4
; VGPRBlocks: 7
; NumSGPRsForWavesPerEU: 34
; NumVGPRsForWavesPerEU: 62
; Occupancy: 16
; WaveLimiterHint : 1
; COMPUTE_PGM_RSRC2:SCRATCH_EN: 0
; COMPUTE_PGM_RSRC2:USER_SGPR: 13
; COMPUTE_PGM_RSRC2:TRAP_HANDLER: 0
; COMPUTE_PGM_RSRC2:TGID_X_EN: 1
; COMPUTE_PGM_RSRC2:TGID_Y_EN: 1
; COMPUTE_PGM_RSRC2:TGID_Z_EN: 1
; COMPUTE_PGM_RSRC2:TIDIG_COMP_CNT: 1
	.section	.text._ZL26rocblas_syr2k_her2k_kernelIlLb1ELb0ELb1ELi32EPK19rocblas_complex_numIdEPKS3_PKPS1_EvbiT_T4_T5_S9_lSB_S9_lT6_S9_li,"axG",@progbits,_ZL26rocblas_syr2k_her2k_kernelIlLb1ELb0ELb1ELi32EPK19rocblas_complex_numIdEPKS3_PKPS1_EvbiT_T4_T5_S9_lSB_S9_lT6_S9_li,comdat
	.globl	_ZL26rocblas_syr2k_her2k_kernelIlLb1ELb0ELb1ELi32EPK19rocblas_complex_numIdEPKS3_PKPS1_EvbiT_T4_T5_S9_lSB_S9_lT6_S9_li ; -- Begin function _ZL26rocblas_syr2k_her2k_kernelIlLb1ELb0ELb1ELi32EPK19rocblas_complex_numIdEPKS3_PKPS1_EvbiT_T4_T5_S9_lSB_S9_lT6_S9_li
	.p2align	8
	.type	_ZL26rocblas_syr2k_her2k_kernelIlLb1ELb0ELb1ELi32EPK19rocblas_complex_numIdEPKS3_PKPS1_EvbiT_T4_T5_S9_lSB_S9_lT6_S9_li,@function
_ZL26rocblas_syr2k_her2k_kernelIlLb1ELb0ELb1ELi32EPK19rocblas_complex_numIdEPKS3_PKPS1_EvbiT_T4_T5_S9_lSB_S9_lT6_S9_li: ; @_ZL26rocblas_syr2k_her2k_kernelIlLb1ELb0ELb1ELi32EPK19rocblas_complex_numIdEPKS3_PKPS1_EvbiT_T4_T5_S9_lSB_S9_lT6_S9_li
; %bb.0:
	s_load_b512 s[16:31], s[0:1], 0x8
	s_waitcnt lgkmcnt(0)
	s_load_b128 s[4:7], s[18:19], 0x0
	s_waitcnt lgkmcnt(0)
	v_cmp_eq_f64_e64 s2, s[4:5], 0
	v_cmp_eq_f64_e64 s3, s[6:7], 0
	s_delay_alu instid0(VALU_DEP_1) | instskip(NEXT) | instid1(SALU_CYCLE_1)
	s_and_b32 s2, s2, s3
	s_and_b32 vcc_lo, exec_lo, s2
	s_cbranch_vccnz .LBB1887_17
; %bb.1:
	s_load_b64 s[2:3], s[0:1], 0x0
	s_mov_b32 s12, s15
	s_lshl_b32 s14, s14, 5
	s_lshl_b32 s15, s13, 5
	s_waitcnt lgkmcnt(0)
	s_and_b32 s2, 1, s2
	s_delay_alu instid0(SALU_CYCLE_1) | instskip(SKIP_1) | instid1(SALU_CYCLE_1)
	s_cmp_eq_u32 s2, 1
	s_cselect_b32 s2, -1, 0
	s_and_b32 s8, s2, exec_lo
	s_cselect_b32 s8, s15, s14
	s_cselect_b32 s9, s14, s15
	s_delay_alu instid0(SALU_CYCLE_1)
	s_cmp_gt_i32 s8, s9
	s_cbranch_scc1 .LBB1887_17
; %bb.2:
	v_cmp_lt_i64_e64 s8, s[16:17], 1
	s_delay_alu instid0(VALU_DEP_1)
	s_and_b32 vcc_lo, exec_lo, s8
	s_cbranch_vccnz .LBB1887_17
; %bb.3:
	s_clause 0x1
	s_load_b128 s[8:11], s[0:1], 0x48
	s_load_b64 s[0:1], s[0:1], 0x58
	v_bfe_u32 v10, v0, 10, 10
	s_mov_b32 s13, 0
	v_and_b32_e32 v11, 0x3ff, v0
	s_lshl_b64 s[34:35], s[12:13], 3
	s_delay_alu instid0(VALU_DEP_2) | instskip(SKIP_3) | instid1(VALU_DEP_1)
	v_dual_mov_b32 v1, 0 :: v_dual_add_nc_u32 v2, s14, v10
	s_add_u32 s12, s20, s34
	s_addc_u32 s13, s21, s35
	s_add_u32 s14, s26, s34
	v_dual_mov_b32 v3, v1 :: v_dual_add_nc_u32 v0, s15, v11
	s_addc_u32 s15, s27, s35
	v_ashrrev_i32_e32 v6, 31, v2
	s_load_b64 s[12:13], s[12:13], 0x0
	v_mad_u64_u32 v[4:5], null, s28, v2, 0
	v_max_i32_e32 v8, v0, v2
	v_cndmask_b32_e64 v16, v0, v2, s2
	s_waitcnt lgkmcnt(0)
	s_add_u32 s20, s8, s34
	s_addc_u32 s21, s9, s35
	s_load_b64 s[8:9], s[14:15], 0x0
	s_load_b64 s[14:15], s[20:21], 0x0
	v_mul_lo_u32 v18, v6, s10
	v_mad_u64_u32 v[6:7], null, v2, s10, 0
	v_mul_lo_u32 v19, v2, s11
	v_cmp_gt_i32_e32 vcc_lo, s3, v8
	v_cndmask_b32_e64 v17, v2, v0, s2
	s_lshl_b64 s[0:1], s[0:1], 4
	s_mov_b32 s18, s3
	v_lshlrev_b32_e32 v23, 4, v11
	v_mad_u64_u32 v[8:9], null, s29, v2, v[5:6]
	v_add3_u32 v7, v7, v19, v18
	v_lshlrev_b32_e32 v22, 4, v10
	v_cmp_le_i32_e64 s2, v17, v16
	v_mad_u64_u32 v[16:17], null, s28, v0, 0
	s_delay_alu instid0(VALU_DEP_4)
	v_lshlrev_b64 v[6:7], 4, v[6:7]
	v_mov_b32_e32 v5, v8
	v_mad_u64_u32 v[18:19], null, s22, v2, 0
	s_waitcnt lgkmcnt(0)
	s_add_u32 s10, s14, s0
	s_addc_u32 s11, s15, s1
	s_ashr_i32 s19, s3, 31
	v_add_co_u32 v8, s3, s10, v6
	v_cmp_gt_i64_e64 s0, s[18:19], v[0:1]
	v_ashrrev_i32_e32 v1, 31, v0
	v_cmp_gt_i64_e64 s1, s[18:19], v[2:3]
	v_lshlrev_b64 v[3:4], 4, v[4:5]
	v_add_co_ci_u32_e64 v7, s3, s11, v7, s3
	s_delay_alu instid0(VALU_DEP_4) | instskip(SKIP_4) | instid1(VALU_DEP_1)
	v_lshlrev_b64 v[5:6], 4, v[0:1]
	v_mov_b32_e32 v1, v17
	s_lshl_b64 s[10:11], s[30:31], 4
	v_or_b32_e32 v13, 0x4000, v22
	v_add_co_u32 v17, s3, v3, s10
	v_add_co_ci_u32_e64 v20, s3, s11, v4, s3
	v_mad_u64_u32 v[3:4], null, s29, v0, v[1:2]
	v_add_co_u32 v8, s3, v8, v5
	s_delay_alu instid0(VALU_DEP_1) | instskip(SKIP_1) | instid1(VALU_DEP_4)
	v_add_co_ci_u32_e64 v9, s3, v7, v6, s3
	v_add_co_u32 v5, s3, v17, v23
	v_mov_b32_e32 v17, v3
	v_mad_u64_u32 v[3:4], null, s22, v0, 0
	v_add_co_ci_u32_e64 v6, s3, 0, v20, s3
	v_mov_b32_e32 v1, v19
	v_add_co_u32 v7, s3, v5, s8
	s_delay_alu instid0(VALU_DEP_1) | instskip(NEXT) | instid1(VALU_DEP_3)
	v_add_co_ci_u32_e64 v21, s3, s9, v6, s3
	v_mad_u64_u32 v[19:20], null, s23, v2, v[1:2]
	v_mov_b32_e32 v1, v4
	v_lshlrev_b64 v[5:6], 4, v[16:17]
	v_add_co_u32 v16, s3, v7, 8
	s_delay_alu instid0(VALU_DEP_1) | instskip(NEXT) | instid1(VALU_DEP_4)
	v_add_co_ci_u32_e64 v17, s3, 0, v21, s3
	v_mad_u64_u32 v[20:21], null, s23, v0, v[1:2]
	s_delay_alu instid0(VALU_DEP_4) | instskip(NEXT) | instid1(VALU_DEP_1)
	v_add_co_u32 v0, s3, v5, s10
	v_add_co_ci_u32_e64 v1, s3, s11, v6, s3
	s_and_b32 s10, s2, vcc_lo
	s_delay_alu instid0(VALU_DEP_2) | instskip(NEXT) | instid1(VALU_DEP_4)
	v_add_co_u32 v2, s3, v0, v22
	v_mov_b32_e32 v4, v20
	s_delay_alu instid0(VALU_DEP_3) | instskip(SKIP_1) | instid1(VALU_DEP_4)
	v_add_co_ci_u32_e64 v5, s3, 0, v1, s3
	v_lshlrev_b64 v[0:1], 4, v[18:19]
	v_add_co_u32 v18, s3, s8, v2
	s_delay_alu instid0(VALU_DEP_4) | instskip(NEXT) | instid1(VALU_DEP_4)
	v_lshlrev_b64 v[2:3], 4, v[3:4]
	v_add_co_ci_u32_e64 v19, s3, s9, v5, s3
	s_lshl_b64 s[8:9], s[24:25], 4
	v_lshlrev_b32_e32 v12, 9, v11
	v_add_co_u32 v0, s3, v0, s8
	s_delay_alu instid0(VALU_DEP_1) | instskip(SKIP_1) | instid1(VALU_DEP_1)
	v_add_co_ci_u32_e64 v1, s3, s9, v1, s3
	v_add_co_u32 v2, s3, v2, s8
	v_add_co_ci_u32_e64 v3, s3, s9, v3, s3
	s_delay_alu instid0(VALU_DEP_4) | instskip(NEXT) | instid1(VALU_DEP_1)
	v_add_co_u32 v0, s3, v0, v23
	v_add_co_ci_u32_e64 v1, s3, 0, v1, s3
	s_delay_alu instid0(VALU_DEP_4) | instskip(NEXT) | instid1(VALU_DEP_1)
	v_add_co_u32 v2, s3, v2, v22
	v_add_co_ci_u32_e64 v3, s3, 0, v3, s3
	s_delay_alu instid0(VALU_DEP_4) | instskip(NEXT) | instid1(VALU_DEP_1)
	v_add_co_u32 v0, s3, v0, s12
	v_add_co_ci_u32_e64 v1, s3, s13, v1, s3
	s_delay_alu instid0(VALU_DEP_4) | instskip(NEXT) | instid1(VALU_DEP_1)
	v_add_co_u32 v2, s3, v2, s12
	v_add_co_ci_u32_e64 v3, s3, s13, v3, s3
	s_delay_alu instid0(VALU_DEP_4) | instskip(NEXT) | instid1(VALU_DEP_1)
	v_add_co_u32 v20, s3, v0, 8
	v_add_co_ci_u32_e64 v21, s3, 0, v1, s3
	v_add_nc_u32_e32 v14, v12, v22
	v_add_co_u32 v22, s3, v2, 8
	v_add_nc_u32_e32 v15, v13, v12
	v_add_co_ci_u32_e64 v23, s3, 0, v3, s3
	s_mov_b64 s[2:3], 0
	s_mov_b64 s[8:9], 0
	s_branch .LBB1887_5
.LBB1887_4:                             ;   in Loop: Header=BB1887_5 Depth=1
	s_or_b32 exec_lo, exec_lo, s11
	s_add_u32 s8, s8, 32
	s_addc_u32 s9, s9, 0
	s_add_u32 s2, s2, 0x200
	v_cmp_lt_i64_e64 s11, s[8:9], s[16:17]
	s_addc_u32 s3, s3, 0
	s_waitcnt_vscnt null, 0x0
	s_barrier
	buffer_gl0_inv
	s_and_b32 vcc_lo, exec_lo, s11
	s_cbranch_vccz .LBB1887_17
.LBB1887_5:                             ; =>This Inner Loop Header: Depth=1
	v_add_co_u32 v2, s11, v10, s8
	s_delay_alu instid0(VALU_DEP_1) | instskip(SKIP_2) | instid1(VALU_DEP_3)
	v_add_co_ci_u32_e64 v3, null, 0, s9, s11
	v_mov_b32_e32 v0, 0
	v_mov_b32_e32 v1, 0
	v_cmp_gt_i64_e32 vcc_lo, s[16:17], v[2:3]
	s_delay_alu instid0(VALU_DEP_2) | instskip(SKIP_2) | instid1(SALU_CYCLE_1)
	v_dual_mov_b32 v5, v1 :: v_dual_mov_b32 v4, v0
	v_dual_mov_b32 v7, v1 :: v_dual_mov_b32 v6, v0
	s_and_b32 s11, s0, vcc_lo
	s_and_saveexec_b32 s12, s11
	s_cbranch_execz .LBB1887_7
; %bb.6:                                ;   in Loop: Header=BB1887_5 Depth=1
	v_add_co_u32 v2, vcc_lo, v22, s2
	v_add_co_ci_u32_e32 v3, vcc_lo, s3, v23, vcc_lo
	global_load_b128 v[4:7], v[2:3], off offset:-8
.LBB1887_7:                             ;   in Loop: Header=BB1887_5 Depth=1
	s_or_b32 exec_lo, exec_lo, s12
	v_add_co_u32 v2, s12, v11, s8
	s_delay_alu instid0(VALU_DEP_1)
	v_add_co_ci_u32_e64 v3, null, 0, s9, s12
	s_waitcnt vmcnt(0)
	ds_store_b128 v14, v[4:7]
	v_cmp_gt_i64_e32 vcc_lo, s[16:17], v[2:3]
	v_dual_mov_b32 v3, v1 :: v_dual_mov_b32 v2, v0
	s_and_b32 s12, s1, vcc_lo
	s_delay_alu instid0(SALU_CYCLE_1)
	s_and_saveexec_b32 s13, s12
	s_cbranch_execz .LBB1887_9
; %bb.8:                                ;   in Loop: Header=BB1887_5 Depth=1
	v_add_co_u32 v0, vcc_lo, v16, s2
	v_add_co_ci_u32_e32 v1, vcc_lo, s3, v17, vcc_lo
	global_load_b128 v[0:3], v[0:1], off offset:-8
.LBB1887_9:                             ;   in Loop: Header=BB1887_5 Depth=1
	s_or_b32 exec_lo, exec_lo, s13
	s_waitcnt vmcnt(0)
	ds_store_b128 v15, v[0:3]
	s_waitcnt lgkmcnt(0)
	s_barrier
	buffer_gl0_inv
	s_and_saveexec_b32 s13, s10
	s_cbranch_execz .LBB1887_11
; %bb.10:                               ;   in Loop: Header=BB1887_5 Depth=1
	ds_load_b128 v[0:3], v13
	ds_load_b128 v[4:7], v12
	ds_load_b128 v[24:27], v12 offset:16
	ds_load_b128 v[28:31], v13 offset:512
	s_waitcnt lgkmcnt(2)
	v_mul_f64 v[32:33], v[0:1], v[6:7]
	v_mul_f64 v[6:7], v[2:3], v[6:7]
	s_waitcnt lgkmcnt(0)
	v_mul_f64 v[48:49], v[28:29], v[26:27]
	v_mul_f64 v[26:27], v[30:31], v[26:27]
	s_delay_alu instid0(VALU_DEP_4)
	v_fma_f64 v[2:3], v[2:3], v[4:5], v[32:33]
	ds_load_b128 v[32:35], v13 offset:1024
	ds_load_b128 v[36:39], v12 offset:32
	;; [unrolled: 1-line block ×4, first 2 shown]
	v_fma_f64 v[0:1], v[0:1], v[4:5], -v[6:7]
	v_fma_f64 v[4:5], v[30:31], v[24:25], v[48:49]
	v_fma_f64 v[52:53], v[28:29], v[24:25], -v[26:27]
	s_waitcnt lgkmcnt(2)
	v_mul_f64 v[50:51], v[32:33], v[38:39]
	v_mul_f64 v[38:39], v[34:35], v[38:39]
	s_waitcnt lgkmcnt(0)
	v_mul_f64 v[48:49], v[44:45], v[42:43]
	v_mul_f64 v[42:43], v[46:47], v[42:43]
	v_add_f64 v[2:3], v[2:3], 0
	v_fma_f64 v[34:35], v[34:35], v[36:37], v[50:51]
	v_add_f64 v[50:51], v[0:1], 0
	v_fma_f64 v[32:33], v[32:33], v[36:37], -v[38:39]
	v_fma_f64 v[36:37], v[46:47], v[40:41], v[48:49]
	v_add_f64 v[54:55], v[2:3], v[4:5]
	ds_load_b128 v[0:3], v12 offset:64
	ds_load_b128 v[4:7], v13 offset:2048
	ds_load_b128 v[24:27], v13 offset:2560
	ds_load_b128 v[28:31], v12 offset:80
	s_waitcnt lgkmcnt(2)
	v_mul_f64 v[56:57], v[4:5], v[2:3]
	v_add_f64 v[38:39], v[50:51], v[52:53]
	v_mul_f64 v[2:3], v[6:7], v[2:3]
	s_waitcnt lgkmcnt(0)
	v_mul_f64 v[48:49], v[24:25], v[30:31]
	v_fma_f64 v[50:51], v[44:45], v[40:41], -v[42:43]
	v_mul_f64 v[30:31], v[26:27], v[30:31]
	v_add_f64 v[34:35], v[54:55], v[34:35]
	v_fma_f64 v[6:7], v[6:7], v[0:1], v[56:57]
	v_add_f64 v[52:53], v[38:39], v[32:33]
	v_fma_f64 v[0:1], v[4:5], v[0:1], -v[2:3]
	v_fma_f64 v[2:3], v[26:27], v[28:29], v[48:49]
	v_add_f64 v[54:55], v[34:35], v[36:37]
	ds_load_b128 v[32:35], v12 offset:96
	ds_load_b128 v[36:39], v13 offset:3072
	ds_load_b128 v[40:43], v13 offset:3584
	ds_load_b128 v[44:47], v12 offset:112
	s_waitcnt lgkmcnt(2)
	v_mul_f64 v[56:57], v[36:37], v[34:35]
	v_add_f64 v[4:5], v[52:53], v[50:51]
	v_mul_f64 v[34:35], v[38:39], v[34:35]
	s_waitcnt lgkmcnt(0)
	v_mul_f64 v[48:49], v[40:41], v[46:47]
	v_fma_f64 v[50:51], v[24:25], v[28:29], -v[30:31]
	;; [unrolled: 18-line block ×11, first 2 shown]
	v_mul_f64 v[30:31], v[26:27], v[30:31]
	v_add_f64 v[38:39], v[54:55], v[38:39]
	v_fma_f64 v[6:7], v[6:7], v[0:1], v[56:57]
	v_add_f64 v[52:53], v[36:37], v[32:33]
	v_fma_f64 v[0:1], v[4:5], v[0:1], -v[2:3]
	v_fma_f64 v[2:3], v[26:27], v[28:29], v[48:49]
	v_add_f64 v[54:55], v[38:39], v[34:35]
	ds_load_b128 v[32:35], v12 offset:416
	ds_load_b128 v[36:39], v13 offset:13312
	;; [unrolled: 1-line block ×4, first 2 shown]
	s_waitcnt lgkmcnt(2)
	v_mul_f64 v[56:57], v[36:37], v[34:35]
	v_add_f64 v[4:5], v[52:53], v[50:51]
	v_mul_f64 v[34:35], v[38:39], v[34:35]
	s_waitcnt lgkmcnt(0)
	v_mul_f64 v[52:53], v[40:41], v[46:47]
	v_mul_f64 v[46:47], v[42:43], v[46:47]
	v_add_f64 v[6:7], v[54:55], v[6:7]
	v_fma_f64 v[54:55], v[24:25], v[28:29], -v[30:31]
	v_fma_f64 v[38:39], v[38:39], v[32:33], v[56:57]
	v_add_f64 v[56:57], v[4:5], v[0:1]
	v_fma_f64 v[32:33], v[36:37], v[32:33], -v[34:35]
	v_fma_f64 v[34:35], v[42:43], v[44:45], v[52:53]
	v_add_f64 v[58:59], v[6:7], v[2:3]
	ds_load_b128 v[0:3], v12 offset:448
	ds_load_b128 v[4:7], v13 offset:14336
	global_load_b128 v[24:27], v[8:9], off
	ds_load_b128 v[28:31], v13 offset:14848
	ds_load_b128 v[48:51], v12 offset:464
	v_add_f64 v[36:37], v[56:57], v[54:55]
	s_waitcnt lgkmcnt(2)
	v_mul_f64 v[60:61], v[4:5], v[2:3]
	v_mul_f64 v[2:3], v[6:7], v[2:3]
	s_waitcnt lgkmcnt(0)
	v_mul_f64 v[52:53], v[28:29], v[50:51]
	v_fma_f64 v[54:55], v[40:41], v[44:45], -v[46:47]
	v_mul_f64 v[50:51], v[30:31], v[50:51]
	v_add_f64 v[38:39], v[58:59], v[38:39]
	v_add_f64 v[56:57], v[36:37], v[32:33]
	v_fma_f64 v[6:7], v[6:7], v[0:1], v[60:61]
	v_fma_f64 v[0:1], v[4:5], v[0:1], -v[2:3]
	v_fma_f64 v[2:3], v[30:31], v[48:49], v[52:53]
	v_fma_f64 v[28:29], v[28:29], v[48:49], -v[50:51]
	v_add_f64 v[58:59], v[38:39], v[34:35]
	ds_load_b128 v[32:35], v12 offset:480
	ds_load_b128 v[36:39], v13 offset:15360
	;; [unrolled: 1-line block ×4, first 2 shown]
	s_waitcnt lgkmcnt(2)
	v_mul_f64 v[60:61], v[36:37], v[34:35]
	v_add_f64 v[4:5], v[56:57], v[54:55]
	v_mul_f64 v[30:31], v[38:39], v[34:35]
	s_waitcnt lgkmcnt(0)
	v_mul_f64 v[34:35], v[40:41], v[46:47]
	v_add_f64 v[6:7], v[58:59], v[6:7]
	v_fma_f64 v[38:39], v[38:39], v[32:33], v[60:61]
	v_add_f64 v[0:1], v[4:5], v[0:1]
	v_mul_f64 v[4:5], v[42:43], v[46:47]
	s_delay_alu instid0(VALU_DEP_4)
	v_add_f64 v[2:3], v[6:7], v[2:3]
	v_fma_f64 v[6:7], v[36:37], v[32:33], -v[30:31]
	v_fma_f64 v[30:31], v[42:43], v[44:45], v[34:35]
	v_add_f64 v[0:1], v[0:1], v[28:29]
	v_fma_f64 v[4:5], v[40:41], v[44:45], -v[4:5]
	v_add_f64 v[2:3], v[2:3], v[38:39]
	s_delay_alu instid0(VALU_DEP_3) | instskip(NEXT) | instid1(VALU_DEP_2)
	v_add_f64 v[0:1], v[0:1], v[6:7]
	v_add_f64 v[2:3], v[2:3], v[30:31]
	s_delay_alu instid0(VALU_DEP_2) | instskip(NEXT) | instid1(VALU_DEP_2)
	v_add_f64 v[0:1], v[0:1], v[4:5]
	v_mul_f64 v[4:5], s[6:7], v[2:3]
	v_mul_f64 v[2:3], s[4:5], v[2:3]
	s_delay_alu instid0(VALU_DEP_2) | instskip(NEXT) | instid1(VALU_DEP_2)
	v_fma_f64 v[4:5], s[4:5], v[0:1], -v[4:5]
	v_fma_f64 v[2:3], s[6:7], v[0:1], v[2:3]
	s_waitcnt vmcnt(0)
	s_delay_alu instid0(VALU_DEP_2) | instskip(NEXT) | instid1(VALU_DEP_2)
	v_add_f64 v[0:1], v[24:25], v[4:5]
	v_add_f64 v[2:3], v[26:27], v[2:3]
	global_store_b128 v[8:9], v[0:3], off
.LBB1887_11:                            ;   in Loop: Header=BB1887_5 Depth=1
	s_or_b32 exec_lo, exec_lo, s13
	v_mov_b32_e32 v2, 0
	v_mov_b32_e32 v3, 0
	s_waitcnt_vscnt null, 0x0
	s_barrier
	buffer_gl0_inv
	v_dual_mov_b32 v7, v3 :: v_dual_mov_b32 v6, v2
	v_dual_mov_b32 v5, v3 :: v_dual_mov_b32 v4, v2
	s_and_saveexec_b32 s13, s11
	s_cbranch_execz .LBB1887_13
; %bb.12:                               ;   in Loop: Header=BB1887_5 Depth=1
	v_add_co_u32 v0, vcc_lo, v18, s2
	v_add_co_ci_u32_e32 v1, vcc_lo, s3, v19, vcc_lo
	global_load_b128 v[4:7], v[0:1], off
.LBB1887_13:                            ;   in Loop: Header=BB1887_5 Depth=1
	s_or_b32 exec_lo, exec_lo, s13
	v_dual_mov_b32 v0, v2 :: v_dual_mov_b32 v1, v3
	s_waitcnt vmcnt(0)
	ds_store_b128 v14, v[4:7]
	s_and_saveexec_b32 s11, s12
	s_cbranch_execz .LBB1887_15
; %bb.14:                               ;   in Loop: Header=BB1887_5 Depth=1
	v_add_co_u32 v0, vcc_lo, v20, s2
	v_add_co_ci_u32_e32 v1, vcc_lo, s3, v21, vcc_lo
	global_load_b128 v[0:3], v[0:1], off offset:-8
.LBB1887_15:                            ;   in Loop: Header=BB1887_5 Depth=1
	s_or_b32 exec_lo, exec_lo, s11
	s_waitcnt vmcnt(0)
	ds_store_b128 v15, v[0:3]
	s_waitcnt lgkmcnt(0)
	s_barrier
	buffer_gl0_inv
	s_and_saveexec_b32 s11, s10
	s_cbranch_execz .LBB1887_4
; %bb.16:                               ;   in Loop: Header=BB1887_5 Depth=1
	ds_load_b128 v[0:3], v13
	ds_load_b128 v[4:7], v12
	ds_load_b128 v[24:27], v12 offset:16
	ds_load_b128 v[28:31], v13 offset:512
	s_waitcnt lgkmcnt(2)
	v_mul_f64 v[32:33], v[0:1], v[6:7]
	v_mul_f64 v[6:7], v[2:3], v[6:7]
	s_waitcnt lgkmcnt(0)
	v_mul_f64 v[40:41], v[30:31], v[26:27]
	v_mul_f64 v[26:27], v[28:29], v[26:27]
	s_delay_alu instid0(VALU_DEP_4) | instskip(NEXT) | instid1(VALU_DEP_4)
	v_fma_f64 v[42:43], v[2:3], v[4:5], v[32:33]
	v_fma_f64 v[44:45], v[0:1], v[4:5], -v[6:7]
	ds_load_b128 v[0:3], v13 offset:1024
	ds_load_b128 v[4:7], v12 offset:32
	;; [unrolled: 1-line block ×4, first 2 shown]
	v_fma_f64 v[28:29], v[28:29], v[24:25], -v[40:41]
	v_fma_f64 v[24:25], v[30:31], v[24:25], v[26:27]
	s_waitcnt lgkmcnt(2)
	v_mul_f64 v[46:47], v[2:3], v[6:7]
	v_mul_f64 v[6:7], v[0:1], v[6:7]
	s_waitcnt lgkmcnt(0)
	v_mul_f64 v[40:41], v[38:39], v[34:35]
	v_mul_f64 v[34:35], v[36:37], v[34:35]
	v_add_f64 v[26:27], v[42:43], 0
	v_add_f64 v[30:31], v[44:45], 0
	v_fma_f64 v[42:43], v[0:1], v[4:5], -v[46:47]
	v_fma_f64 v[44:45], v[2:3], v[4:5], v[6:7]
	v_fma_f64 v[36:37], v[36:37], v[32:33], -v[40:41]
	v_fma_f64 v[32:33], v[38:39], v[32:33], v[34:35]
	v_add_f64 v[46:47], v[26:27], v[24:25]
	v_add_f64 v[48:49], v[30:31], v[28:29]
	ds_load_b128 v[0:3], v12 offset:64
	ds_load_b128 v[4:7], v13 offset:2048
	ds_load_b128 v[24:27], v13 offset:2560
	ds_load_b128 v[28:31], v12 offset:80
	s_waitcnt lgkmcnt(2)
	v_mul_f64 v[50:51], v[6:7], v[2:3]
	v_mul_f64 v[2:3], v[4:5], v[2:3]
	s_waitcnt lgkmcnt(0)
	v_mul_f64 v[40:41], v[26:27], v[30:31]
	v_add_f64 v[34:35], v[46:47], v[44:45]
	v_add_f64 v[38:39], v[48:49], v[42:43]
	v_mul_f64 v[42:43], v[24:25], v[30:31]
	v_fma_f64 v[44:45], v[4:5], v[0:1], -v[50:51]
	v_fma_f64 v[46:47], v[6:7], v[0:1], v[2:3]
	v_fma_f64 v[24:25], v[24:25], v[28:29], -v[40:41]
	v_add_f64 v[48:49], v[34:35], v[32:33]
	v_add_f64 v[38:39], v[38:39], v[36:37]
	ds_load_b128 v[0:3], v12 offset:96
	ds_load_b128 v[4:7], v13 offset:3072
	ds_load_b128 v[30:33], v13 offset:3584
	ds_load_b128 v[34:37], v12 offset:112
	v_fma_f64 v[26:27], v[26:27], v[28:29], v[42:43]
	s_waitcnt lgkmcnt(2)
	v_mul_f64 v[50:51], v[6:7], v[2:3]
	v_mul_f64 v[2:3], v[4:5], v[2:3]
	s_waitcnt lgkmcnt(0)
	v_mul_f64 v[40:41], v[32:33], v[36:37]
	v_mul_f64 v[42:43], v[30:31], v[36:37]
	v_add_f64 v[28:29], v[48:49], v[46:47]
	v_add_f64 v[38:39], v[38:39], v[44:45]
	v_fma_f64 v[44:45], v[4:5], v[0:1], -v[50:51]
	v_fma_f64 v[46:47], v[6:7], v[0:1], v[2:3]
	v_fma_f64 v[30:31], v[30:31], v[34:35], -v[40:41]
	v_fma_f64 v[32:33], v[32:33], v[34:35], v[42:43]
	v_add_f64 v[28:29], v[28:29], v[26:27]
	v_add_f64 v[48:49], v[38:39], v[24:25]
	ds_load_b128 v[0:3], v12 offset:128
	ds_load_b128 v[4:7], v13 offset:4096
	ds_load_b128 v[24:27], v13 offset:4608
	ds_load_b128 v[36:39], v12 offset:144
	s_waitcnt lgkmcnt(2)
	v_mul_f64 v[50:51], v[6:7], v[2:3]
	v_mul_f64 v[2:3], v[4:5], v[2:3]
	s_waitcnt lgkmcnt(0)
	v_mul_f64 v[40:41], v[26:27], v[38:39]
	v_mul_f64 v[38:39], v[24:25], v[38:39]
	v_add_f64 v[28:29], v[28:29], v[46:47]
	v_add_f64 v[34:35], v[48:49], v[44:45]
	v_fma_f64 v[42:43], v[4:5], v[0:1], -v[50:51]
	v_fma_f64 v[44:45], v[6:7], v[0:1], v[2:3]
	v_fma_f64 v[24:25], v[24:25], v[36:37], -v[40:41]
	v_fma_f64 v[26:27], v[26:27], v[36:37], v[38:39]
	v_add_f64 v[46:47], v[28:29], v[32:33]
	v_add_f64 v[48:49], v[34:35], v[30:31]
	ds_load_b128 v[0:3], v12 offset:160
	ds_load_b128 v[4:7], v13 offset:5120
	ds_load_b128 v[28:31], v13 offset:5632
	ds_load_b128 v[32:35], v12 offset:176
	s_waitcnt lgkmcnt(2)
	v_mul_f64 v[50:51], v[6:7], v[2:3]
	v_mul_f64 v[2:3], v[4:5], v[2:3]
	s_waitcnt lgkmcnt(0)
	v_mul_f64 v[40:41], v[30:31], v[34:35]
	v_add_f64 v[36:37], v[46:47], v[44:45]
	v_add_f64 v[38:39], v[48:49], v[42:43]
	v_mul_f64 v[42:43], v[28:29], v[34:35]
	v_fma_f64 v[44:45], v[4:5], v[0:1], -v[50:51]
	v_fma_f64 v[46:47], v[6:7], v[0:1], v[2:3]
	v_fma_f64 v[28:29], v[28:29], v[32:33], -v[40:41]
	v_add_f64 v[48:49], v[36:37], v[26:27]
	v_add_f64 v[38:39], v[38:39], v[24:25]
	ds_load_b128 v[0:3], v12 offset:192
	ds_load_b128 v[4:7], v13 offset:6144
	ds_load_b128 v[24:27], v13 offset:6656
	ds_load_b128 v[34:37], v12 offset:208
	v_fma_f64 v[30:31], v[30:31], v[32:33], v[42:43]
	s_waitcnt lgkmcnt(2)
	v_mul_f64 v[50:51], v[6:7], v[2:3]
	v_mul_f64 v[2:3], v[4:5], v[2:3]
	s_waitcnt lgkmcnt(0)
	v_mul_f64 v[40:41], v[26:27], v[36:37]
	v_mul_f64 v[42:43], v[24:25], v[36:37]
	v_add_f64 v[32:33], v[48:49], v[46:47]
	v_add_f64 v[38:39], v[38:39], v[44:45]
	v_fma_f64 v[44:45], v[4:5], v[0:1], -v[50:51]
	v_fma_f64 v[46:47], v[6:7], v[0:1], v[2:3]
	v_fma_f64 v[24:25], v[24:25], v[34:35], -v[40:41]
	v_fma_f64 v[26:27], v[26:27], v[34:35], v[42:43]
	v_add_f64 v[32:33], v[32:33], v[30:31]
	v_add_f64 v[48:49], v[38:39], v[28:29]
	ds_load_b128 v[0:3], v12 offset:224
	ds_load_b128 v[4:7], v13 offset:7168
	ds_load_b128 v[28:31], v13 offset:7680
	ds_load_b128 v[36:39], v12 offset:240
	;; [unrolled: 54-line block ×4, first 2 shown]
	s_waitcnt lgkmcnt(2)
	v_mul_f64 v[50:51], v[6:7], v[2:3]
	v_mul_f64 v[2:3], v[4:5], v[2:3]
	s_waitcnt lgkmcnt(0)
	v_mul_f64 v[42:43], v[30:31], v[38:39]
	v_add_f64 v[32:33], v[32:33], v[46:47]
	v_add_f64 v[34:35], v[48:49], v[44:45]
	v_mul_f64 v[44:45], v[28:29], v[38:39]
	v_fma_f64 v[46:47], v[4:5], v[0:1], -v[50:51]
	v_fma_f64 v[48:49], v[6:7], v[0:1], v[2:3]
	ds_load_b128 v[0:3], v12 offset:448
	ds_load_b128 v[4:7], v13 offset:14336
	v_fma_f64 v[28:29], v[28:29], v[36:37], -v[42:43]
	v_add_f64 v[50:51], v[32:33], v[26:27]
	v_add_f64 v[52:53], v[34:35], v[24:25]
	global_load_b128 v[24:27], v[8:9], off
	v_fma_f64 v[30:31], v[30:31], v[36:37], v[44:45]
	s_waitcnt lgkmcnt(0)
	v_mul_f64 v[54:55], v[6:7], v[2:3]
	v_mul_f64 v[2:3], v[4:5], v[2:3]
	ds_load_b128 v[32:35], v13 offset:14848
	ds_load_b128 v[38:41], v12 offset:464
	s_waitcnt lgkmcnt(0)
	v_mul_f64 v[44:45], v[34:35], v[40:41]
	v_add_f64 v[36:37], v[50:51], v[48:49]
	v_add_f64 v[42:43], v[52:53], v[46:47]
	v_mul_f64 v[46:47], v[32:33], v[40:41]
	v_fma_f64 v[48:49], v[4:5], v[0:1], -v[54:55]
	v_fma_f64 v[50:51], v[6:7], v[0:1], v[2:3]
	v_fma_f64 v[32:33], v[32:33], v[38:39], -v[44:45]
	v_add_f64 v[36:37], v[36:37], v[30:31]
	v_add_f64 v[52:53], v[42:43], v[28:29]
	ds_load_b128 v[0:3], v12 offset:480
	ds_load_b128 v[4:7], v13 offset:15360
	;; [unrolled: 1-line block ×4, first 2 shown]
	v_fma_f64 v[34:35], v[34:35], v[38:39], v[46:47]
	s_waitcnt lgkmcnt(2)
	v_mul_f64 v[54:55], v[6:7], v[2:3]
	v_mul_f64 v[2:3], v[4:5], v[2:3]
	s_waitcnt lgkmcnt(0)
	v_mul_f64 v[44:45], v[30:31], v[42:43]
	v_mul_f64 v[42:43], v[28:29], v[42:43]
	v_add_f64 v[36:37], v[36:37], v[50:51]
	v_add_f64 v[38:39], v[52:53], v[48:49]
	v_fma_f64 v[4:5], v[4:5], v[0:1], -v[54:55]
	v_fma_f64 v[0:1], v[6:7], v[0:1], v[2:3]
	v_fma_f64 v[28:29], v[28:29], v[40:41], -v[44:45]
	v_fma_f64 v[30:31], v[30:31], v[40:41], v[42:43]
	v_add_f64 v[2:3], v[36:37], v[34:35]
	v_add_f64 v[6:7], v[38:39], v[32:33]
	s_delay_alu instid0(VALU_DEP_2) | instskip(NEXT) | instid1(VALU_DEP_2)
	v_add_f64 v[0:1], v[2:3], v[0:1]
	v_add_f64 v[2:3], v[6:7], v[4:5]
	s_delay_alu instid0(VALU_DEP_2) | instskip(NEXT) | instid1(VALU_DEP_2)
	;; [unrolled: 3-line block ×3, first 2 shown]
	v_mul_f64 v[4:5], s[6:7], v[0:1]
	v_mul_f64 v[6:7], s[6:7], v[2:3]
	s_delay_alu instid0(VALU_DEP_2) | instskip(NEXT) | instid1(VALU_DEP_2)
	v_fma_f64 v[2:3], s[4:5], v[2:3], -v[4:5]
	v_fma_f64 v[4:5], s[4:5], v[0:1], v[6:7]
	s_waitcnt vmcnt(0)
	s_delay_alu instid0(VALU_DEP_2) | instskip(NEXT) | instid1(VALU_DEP_2)
	v_add_f64 v[0:1], v[24:25], v[2:3]
	v_add_f64 v[2:3], v[26:27], v[4:5]
	global_store_b128 v[8:9], v[0:3], off
	s_branch .LBB1887_4
.LBB1887_17:
	s_endpgm
	.section	.rodata,"a",@progbits
	.p2align	6, 0x0
	.amdhsa_kernel _ZL26rocblas_syr2k_her2k_kernelIlLb1ELb0ELb1ELi32EPK19rocblas_complex_numIdEPKS3_PKPS1_EvbiT_T4_T5_S9_lSB_S9_lT6_S9_li
		.amdhsa_group_segment_fixed_size 32768
		.amdhsa_private_segment_fixed_size 0
		.amdhsa_kernarg_size 100
		.amdhsa_user_sgpr_count 13
		.amdhsa_user_sgpr_dispatch_ptr 0
		.amdhsa_user_sgpr_queue_ptr 0
		.amdhsa_user_sgpr_kernarg_segment_ptr 1
		.amdhsa_user_sgpr_dispatch_id 0
		.amdhsa_user_sgpr_private_segment_size 0
		.amdhsa_wavefront_size32 1
		.amdhsa_uses_dynamic_stack 0
		.amdhsa_enable_private_segment 0
		.amdhsa_system_sgpr_workgroup_id_x 1
		.amdhsa_system_sgpr_workgroup_id_y 1
		.amdhsa_system_sgpr_workgroup_id_z 1
		.amdhsa_system_sgpr_workgroup_info 0
		.amdhsa_system_vgpr_workitem_id 1
		.amdhsa_next_free_vgpr 62
		.amdhsa_next_free_sgpr 36
		.amdhsa_reserve_vcc 1
		.amdhsa_float_round_mode_32 0
		.amdhsa_float_round_mode_16_64 0
		.amdhsa_float_denorm_mode_32 3
		.amdhsa_float_denorm_mode_16_64 3
		.amdhsa_dx10_clamp 1
		.amdhsa_ieee_mode 1
		.amdhsa_fp16_overflow 0
		.amdhsa_workgroup_processor_mode 1
		.amdhsa_memory_ordered 1
		.amdhsa_forward_progress 0
		.amdhsa_shared_vgpr_count 0
		.amdhsa_exception_fp_ieee_invalid_op 0
		.amdhsa_exception_fp_denorm_src 0
		.amdhsa_exception_fp_ieee_div_zero 0
		.amdhsa_exception_fp_ieee_overflow 0
		.amdhsa_exception_fp_ieee_underflow 0
		.amdhsa_exception_fp_ieee_inexact 0
		.amdhsa_exception_int_div_zero 0
	.end_amdhsa_kernel
	.section	.text._ZL26rocblas_syr2k_her2k_kernelIlLb1ELb0ELb1ELi32EPK19rocblas_complex_numIdEPKS3_PKPS1_EvbiT_T4_T5_S9_lSB_S9_lT6_S9_li,"axG",@progbits,_ZL26rocblas_syr2k_her2k_kernelIlLb1ELb0ELb1ELi32EPK19rocblas_complex_numIdEPKS3_PKPS1_EvbiT_T4_T5_S9_lSB_S9_lT6_S9_li,comdat
.Lfunc_end1887:
	.size	_ZL26rocblas_syr2k_her2k_kernelIlLb1ELb0ELb1ELi32EPK19rocblas_complex_numIdEPKS3_PKPS1_EvbiT_T4_T5_S9_lSB_S9_lT6_S9_li, .Lfunc_end1887-_ZL26rocblas_syr2k_her2k_kernelIlLb1ELb0ELb1ELi32EPK19rocblas_complex_numIdEPKS3_PKPS1_EvbiT_T4_T5_S9_lSB_S9_lT6_S9_li
                                        ; -- End function
	.section	.AMDGPU.csdata,"",@progbits
; Kernel info:
; codeLenInByte = 5860
; NumSgprs: 38
; NumVgprs: 62
; ScratchSize: 0
; MemoryBound: 1
; FloatMode: 240
; IeeeMode: 1
; LDSByteSize: 32768 bytes/workgroup (compile time only)
; SGPRBlocks: 4
; VGPRBlocks: 7
; NumSGPRsForWavesPerEU: 38
; NumVGPRsForWavesPerEU: 62
; Occupancy: 16
; WaveLimiterHint : 1
; COMPUTE_PGM_RSRC2:SCRATCH_EN: 0
; COMPUTE_PGM_RSRC2:USER_SGPR: 13
; COMPUTE_PGM_RSRC2:TRAP_HANDLER: 0
; COMPUTE_PGM_RSRC2:TGID_X_EN: 1
; COMPUTE_PGM_RSRC2:TGID_Y_EN: 1
; COMPUTE_PGM_RSRC2:TGID_Z_EN: 1
; COMPUTE_PGM_RSRC2:TIDIG_COMP_CNT: 1
	.section	.text._ZL26rocblas_syr2k_her2k_kernelIlLb1ELb1ELb0ELi32E19rocblas_complex_numIfEPKPKS1_PKPS1_EvbiT_T4_T5_S9_lSB_S9_lT6_S9_li,"axG",@progbits,_ZL26rocblas_syr2k_her2k_kernelIlLb1ELb1ELb0ELi32E19rocblas_complex_numIfEPKPKS1_PKPS1_EvbiT_T4_T5_S9_lSB_S9_lT6_S9_li,comdat
	.globl	_ZL26rocblas_syr2k_her2k_kernelIlLb1ELb1ELb0ELi32E19rocblas_complex_numIfEPKPKS1_PKPS1_EvbiT_T4_T5_S9_lSB_S9_lT6_S9_li ; -- Begin function _ZL26rocblas_syr2k_her2k_kernelIlLb1ELb1ELb0ELi32E19rocblas_complex_numIfEPKPKS1_PKPS1_EvbiT_T4_T5_S9_lSB_S9_lT6_S9_li
	.p2align	8
	.type	_ZL26rocblas_syr2k_her2k_kernelIlLb1ELb1ELb0ELi32E19rocblas_complex_numIfEPKPKS1_PKPS1_EvbiT_T4_T5_S9_lSB_S9_lT6_S9_li,@function
_ZL26rocblas_syr2k_her2k_kernelIlLb1ELb1ELb0ELi32E19rocblas_complex_numIfEPKPKS1_PKPS1_EvbiT_T4_T5_S9_lSB_S9_lT6_S9_li: ; @_ZL26rocblas_syr2k_her2k_kernelIlLb1ELb1ELb0ELi32E19rocblas_complex_numIfEPKPKS1_PKPS1_EvbiT_T4_T5_S9_lSB_S9_lT6_S9_li
; %bb.0:
	s_load_b64 s[20:21], s[0:1], 0x10
	s_waitcnt lgkmcnt(0)
	v_cmp_eq_f32_e64 s2, s20, 0
	v_cmp_eq_f32_e64 s3, s21, 0
	s_delay_alu instid0(VALU_DEP_1) | instskip(NEXT) | instid1(SALU_CYCLE_1)
	s_and_b32 s2, s2, s3
	s_and_b32 vcc_lo, exec_lo, s2
	s_cbranch_vccnz .LBB1888_17
; %bb.1:
	s_load_b64 s[2:3], s[0:1], 0x0
	s_lshl_b32 s26, s14, 5
	s_lshl_b32 s27, s13, 5
	s_waitcnt lgkmcnt(0)
	s_and_b32 s2, 1, s2
	s_delay_alu instid0(SALU_CYCLE_1) | instskip(SKIP_1) | instid1(SALU_CYCLE_1)
	s_cmp_eq_u32 s2, 1
	s_cselect_b32 s2, -1, 0
	s_and_b32 s4, s2, exec_lo
	s_cselect_b32 s4, s27, s26
	s_cselect_b32 s5, s26, s27
	s_delay_alu instid0(SALU_CYCLE_1)
	s_cmp_gt_i32 s4, s5
	s_cbranch_scc1 .LBB1888_17
; %bb.2:
	s_load_b64 s[22:23], s[0:1], 0x8
	s_waitcnt lgkmcnt(0)
	v_cmp_lt_i64_e64 s4, s[22:23], 1
	s_delay_alu instid0(VALU_DEP_1)
	s_and_b32 vcc_lo, exec_lo, s4
	s_cbranch_vccnz .LBB1888_17
; %bb.3:
	s_mov_b32 s24, s15
	s_load_b512 s[4:19], s[0:1], 0x18
	s_mov_b32 s25, 0
	v_bfe_u32 v6, v0, 10, 10
	s_load_b64 s[28:29], s[0:1], 0x58
	s_lshl_b64 s[0:1], s[24:25], 3
	v_and_b32_e32 v7, 0x3ff, v0
	s_delay_alu instid0(VALU_DEP_2) | instskip(SKIP_1) | instid1(VALU_DEP_1)
	v_dual_mov_b32 v3, 0 :: v_dual_add_nc_u32 v4, s26, v6
	s_mov_b32 s30, s3
	v_dual_mov_b32 v5, v3 :: v_dual_add_nc_u32 v2, s27, v7
	v_lshlrev_b32_e32 v0, 3, v6
	v_lshlrev_b32_e32 v8, 8, v7
	v_ashrrev_i32_e32 v1, 31, v4
	s_delay_alu instid0(VALU_DEP_4)
	v_cndmask_b32_e64 v15, v2, v4, s2
	v_cndmask_b32_e64 v16, v4, v2, s2
	v_or_b32_e32 v10, 0x2000, v0
	v_add_nc_u32_e32 v9, v8, v0
	v_max_i32_e32 v17, v2, v4
	s_waitcnt lgkmcnt(0)
	s_add_u32 s4, s4, s0
	s_addc_u32 s5, s5, s1
	s_add_u32 s10, s10, s0
	s_addc_u32 s11, s11, s1
	s_add_u32 s0, s16, s0
	s_load_b64 s[10:11], s[10:11], 0x0
	s_addc_u32 s1, s17, s1
	v_mul_lo_u32 v18, v1, s18
	s_load_b64 s[16:17], s[0:1], 0x0
	v_mul_lo_u32 v19, v4, s19
	v_mad_u64_u32 v[0:1], null, v4, s18, 0
	v_mad_u64_u32 v[12:13], null, s12, v7, 0
	v_ashrrev_i32_e32 v14, 31, v2
	s_lshl_b64 s[14:15], s[14:15], 3
	v_cmp_le_i32_e64 s0, v16, v15
	v_mad_u64_u32 v[15:16], null, s12, v6, 0
	v_add3_u32 v1, v1, v19, v18
	v_cmp_gt_i32_e32 vcc_lo, s3, v17
	v_mad_u64_u32 v[17:18], null, s13, v7, v[13:14]
	v_mov_b32_e32 v13, v2
	s_delay_alu instid0(VALU_DEP_4)
	v_lshlrev_b64 v[0:1], 3, v[0:1]
	s_waitcnt lgkmcnt(0)
	s_add_u32 s10, s10, s14
	s_addc_u32 s11, s11, s15
	s_lshl_b64 s[14:15], s[28:29], 3
	s_load_b64 s[4:5], s[4:5], 0x0
	s_add_u32 s2, s16, s14
	s_addc_u32 s15, s17, s15
	s_and_b32 s14, s0, vcc_lo
	v_add_co_u32 v22, vcc_lo, s2, v0
	v_add_co_ci_u32_e32 v23, vcc_lo, s15, v1, vcc_lo
	v_lshlrev_b64 v[0:1], 3, v[13:14]
	v_dual_mov_b32 v14, v16 :: v_dual_mov_b32 v13, v17
	v_mad_u64_u32 v[17:18], null, s6, v7, 0
	s_ashr_i32 s31, s3, 31
	s_delay_alu instid0(VALU_DEP_2) | instskip(SKIP_2) | instid1(VALU_DEP_4)
	v_mad_u64_u32 v[19:20], null, s13, v6, v[14:15]
	v_mad_u64_u32 v[20:21], null, s6, v6, 0
	v_add_nc_u32_e32 v11, v10, v8
	v_mov_b32_e32 v14, v18
	v_add_co_u32 v0, vcc_lo, v22, v0
	v_add_co_ci_u32_e32 v1, vcc_lo, v23, v1, vcc_lo
	v_mov_b32_e32 v18, v21
	s_delay_alu instid0(VALU_DEP_4) | instskip(SKIP_2) | instid1(VALU_DEP_4)
	v_mad_u64_u32 v[21:22], null, s7, v7, v[14:15]
	v_cmp_gt_i64_e64 s1, s[30:31], v[4:5]
	v_lshlrev_b64 v[12:13], 3, v[12:13]
	v_mad_u64_u32 v[22:23], null, s7, v6, v[18:19]
	v_lshlrev_b64 v[4:5], 3, v[4:5]
	v_mov_b32_e32 v16, v19
	v_mov_b32_e32 v18, v21
	v_cmp_gt_i64_e64 s0, s[30:31], v[2:3]
	v_lshlrev_b64 v[2:3], 3, v[2:3]
	s_lshl_b64 s[8:9], s[8:9], 3
	v_mov_b32_e32 v21, v22
	v_lshlrev_b64 v[14:15], 3, v[15:16]
	v_add_co_u32 v19, vcc_lo, v12, v4
	v_lshlrev_b64 v[16:17], 3, v[17:18]
	v_add_co_ci_u32_e32 v12, vcc_lo, v13, v5, vcc_lo
	s_delay_alu instid0(VALU_DEP_3)
	v_or_b32_e32 v13, 4, v19
	v_add_co_u32 v14, vcc_lo, v14, v2
	v_lshlrev_b64 v[18:19], 3, v[20:21]
	v_add_nc_u32_e32 v21, 0x1000, v10
	v_add_co_ci_u32_e32 v15, vcc_lo, v15, v3, vcc_lo
	v_add_co_u32 v16, vcc_lo, v16, v4
	v_add_co_ci_u32_e32 v17, vcc_lo, v17, v5, vcc_lo
	v_add_co_u32 v18, vcc_lo, v18, v2
	s_lshl_b64 s[2:3], s[12:13], 8
	s_waitcnt lgkmcnt(0)
	s_add_u32 s4, s8, s4
	v_add_co_ci_u32_e32 v19, vcc_lo, v19, v3, vcc_lo
	v_add_nc_u32_e32 v20, 0x800, v10
	v_add_nc_u32_e32 v22, 0x1800, v10
	s_addc_u32 s5, s9, s5
	s_add_u32 s8, s4, 4
	s_addc_u32 s9, s5, 0
	s_lshl_b64 s[4:5], s[6:7], 8
	s_mov_b64 s[6:7], 0
	s_branch .LBB1888_5
.LBB1888_4:                             ;   in Loop: Header=BB1888_5 Depth=1
	s_or_b32 exec_lo, exec_lo, s12
	s_add_u32 s6, s6, 32
	s_addc_u32 s7, s7, 0
	s_add_u32 s10, s10, s2
	v_cmp_lt_i64_e64 s12, s[6:7], s[22:23]
	s_addc_u32 s11, s11, s3
	s_add_u32 s8, s8, s4
	s_addc_u32 s9, s9, s5
	s_waitcnt_vscnt null, 0x0
	s_barrier
	s_and_b32 vcc_lo, exec_lo, s12
	buffer_gl0_inv
	s_cbranch_vccz .LBB1888_17
.LBB1888_5:                             ; =>This Inner Loop Header: Depth=1
	v_add_co_u32 v2, s12, v6, s6
	s_delay_alu instid0(VALU_DEP_1) | instskip(NEXT) | instid1(VALU_DEP_1)
	v_add_co_ci_u32_e64 v3, null, 0, s7, s12
	v_cmp_gt_i64_e32 vcc_lo, s[22:23], v[2:3]
	v_dual_mov_b32 v2, 0 :: v_dual_mov_b32 v3, 0
	s_and_b32 s12, s0, vcc_lo
	s_delay_alu instid0(SALU_CYCLE_1)
	s_and_saveexec_b32 s13, s12
	s_cbranch_execz .LBB1888_7
; %bb.6:                                ;   in Loop: Header=BB1888_5 Depth=1
	v_add_co_u32 v2, vcc_lo, s8, v18
	v_add_co_ci_u32_e32 v3, vcc_lo, s9, v19, vcc_lo
	global_load_b64 v[2:3], v[2:3], off offset:-4
.LBB1888_7:                             ;   in Loop: Header=BB1888_5 Depth=1
	s_or_b32 exec_lo, exec_lo, s13
	v_add_co_u32 v4, s13, v7, s6
	s_delay_alu instid0(VALU_DEP_1)
	v_add_co_ci_u32_e64 v5, null, 0, s7, s13
	s_waitcnt vmcnt(0)
	ds_store_b64 v9, v[2:3]
	v_cmp_gt_i64_e32 vcc_lo, s[22:23], v[4:5]
	v_dual_mov_b32 v4, 0 :: v_dual_mov_b32 v5, 0
	s_and_b32 s13, s1, vcc_lo
	s_delay_alu instid0(SALU_CYCLE_1)
	s_and_saveexec_b32 s15, s13
	s_cbranch_execz .LBB1888_9
; %bb.8:                                ;   in Loop: Header=BB1888_5 Depth=1
	v_add_co_u32 v2, vcc_lo, s10, v13
	v_add_co_ci_u32_e32 v3, vcc_lo, s11, v12, vcc_lo
	global_load_b64 v[4:5], v[2:3], off offset:-4
	s_waitcnt vmcnt(0)
	v_xor_b32_e32 v5, 0x80000000, v5
.LBB1888_9:                             ;   in Loop: Header=BB1888_5 Depth=1
	s_or_b32 exec_lo, exec_lo, s15
	ds_store_b64 v11, v[4:5]
	s_waitcnt lgkmcnt(0)
	s_barrier
	buffer_gl0_inv
	s_and_saveexec_b32 s15, s14
	s_cbranch_execz .LBB1888_11
; %bb.10:                               ;   in Loop: Header=BB1888_5 Depth=1
	global_load_b64 v[143:144], v[0:1], off
	ds_load_2addr_b64 v[2:5], v10 offset1:32
	ds_load_b128 v[23:26], v8
	ds_load_b128 v[27:30], v8 offset:16
	ds_load_b128 v[31:34], v8 offset:32
	;; [unrolled: 1-line block ×3, first 2 shown]
	ds_load_2addr_b64 v[39:42], v10 offset0:64 offset1:96
	ds_load_2addr_b64 v[43:46], v10 offset0:128 offset1:160
	;; [unrolled: 1-line block ×3, first 2 shown]
	ds_load_2addr_b64 v[51:54], v20 offset1:32
	ds_load_b128 v[55:58], v8 offset:64
	ds_load_b128 v[59:62], v8 offset:80
	ds_load_2addr_b64 v[63:66], v20 offset0:64 offset1:96
	ds_load_2addr_b64 v[67:70], v20 offset0:128 offset1:160
	ds_load_b128 v[71:74], v8 offset:96
	ds_load_b128 v[75:78], v8 offset:112
	ds_load_2addr_b64 v[79:82], v20 offset0:192 offset1:224
	ds_load_2addr_b64 v[83:86], v21 offset1:32
	ds_load_b128 v[87:90], v8 offset:128
	ds_load_b128 v[91:94], v8 offset:144
	ds_load_2addr_b64 v[95:98], v21 offset0:64 offset1:96
	ds_load_2addr_b64 v[99:102], v21 offset0:128 offset1:160
	ds_load_b128 v[103:106], v8 offset:160
	ds_load_b128 v[107:110], v8 offset:176
	ds_load_2addr_b64 v[111:114], v21 offset0:192 offset1:224
	ds_load_2addr_b64 v[115:118], v22 offset1:32
	ds_load_b128 v[119:122], v8 offset:192
	ds_load_b128 v[123:126], v8 offset:208
	ds_load_2addr_b64 v[127:130], v22 offset0:64 offset1:96
	ds_load_2addr_b64 v[131:134], v22 offset0:128 offset1:160
	s_waitcnt lgkmcnt(27)
	v_dual_mul_f32 v145, v3, v24 :: v_dual_mul_f32 v146, v5, v26
	v_mul_f32_e32 v24, v2, v24
	v_mul_f32_e32 v26, v4, v26
	s_waitcnt lgkmcnt(22)
	v_mul_f32_e32 v147, v44, v32
	v_fma_f32 v145, v2, v23, -v145
	v_mul_f32_e32 v32, v43, v32
	v_fmac_f32_e32 v24, v3, v23
	v_fma_f32 v23, v4, v25, -v146
	v_dual_fmac_f32 v26, v5, v25 :: v_dual_mul_f32 v25, v40, v28
	v_mul_f32_e32 v28, v39, v28
	v_mul_f32_e32 v146, v42, v30
	;; [unrolled: 1-line block ×3, first 2 shown]
	v_fma_f32 v43, v43, v31, -v147
	v_fma_f32 v25, v39, v27, -v25
	s_waitcnt lgkmcnt(21)
	v_dual_mul_f32 v39, v50, v38 :: v_dual_fmac_f32 v28, v40, v27
	v_fma_f32 v27, v41, v29, -v146
	s_waitcnt lgkmcnt(19)
	v_mul_f32_e32 v40, v52, v56
	v_dual_mul_f32 v41, v51, v56 :: v_dual_add_f32 v56, 0, v145
	v_mul_f32_e32 v148, v46, v34
	v_dual_fmac_f32 v30, v42, v29 :: v_dual_mul_f32 v29, v45, v34
	v_fmac_f32_e32 v32, v44, v31
	s_delay_alu instid0(VALU_DEP_4) | instskip(NEXT) | instid1(VALU_DEP_4)
	v_add_f32_e32 v23, v56, v23
	v_fma_f32 v31, v45, v33, -v148
	s_delay_alu instid0(VALU_DEP_4) | instskip(SKIP_1) | instid1(VALU_DEP_4)
	v_dual_mul_f32 v38, v49, v38 :: v_dual_fmac_f32 v29, v46, v33
	v_mul_f32_e32 v33, v53, v58
	v_dual_add_f32 v23, v23, v25 :: v_dual_mul_f32 v34, v48, v36
	v_mul_f32_e32 v36, v47, v36
	s_waitcnt lgkmcnt(13)
	v_mul_f32_e32 v25, v79, v76
	v_fmac_f32_e32 v33, v54, v57
	v_dual_add_f32 v23, v23, v27 :: v_dual_mul_f32 v42, v54, v58
	v_fma_f32 v34, v47, v35, -v34
	s_waitcnt lgkmcnt(11)
	v_dual_mul_f32 v27, v84, v88 :: v_dual_fmac_f32 v38, v50, v37
	s_delay_alu instid0(VALU_DEP_3) | instskip(SKIP_3) | instid1(VALU_DEP_3)
	v_dual_add_f32 v23, v23, v43 :: v_dual_add_f32 v24, 0, v24
	s_waitcnt lgkmcnt(9)
	v_dual_mul_f32 v43, v95, v92 :: v_dual_mul_f32 v58, v65, v62
	v_fmac_f32_e32 v41, v52, v55
	v_dual_add_f32 v23, v23, v31 :: v_dual_add_f32 v24, v24, v26
	v_mul_f32_e32 v26, v68, v72
	v_fma_f32 v27, v83, v87, -v27
	v_dual_mul_f32 v44, v64, v60 :: v_dual_mul_f32 v47, v98, v94
	s_delay_alu instid0(VALU_DEP_4) | instskip(NEXT) | instid1(VALU_DEP_4)
	v_add_f32_e32 v23, v23, v34
	v_fma_f32 v26, v67, v71, -v26
	v_fmac_f32_e32 v36, v48, v35
	v_fma_f32 v35, v49, v37, -v39
	v_mul_f32_e32 v56, v70, v74
	v_mul_f32_e32 v39, v85, v90
	v_dual_mul_f32 v45, v63, v60 :: v_dual_mul_f32 v46, v66, v62
	s_delay_alu instid0(VALU_DEP_4) | instskip(NEXT) | instid1(VALU_DEP_2)
	v_dual_add_f32 v23, v23, v35 :: v_dual_add_f32 v24, v24, v28
	v_dual_mul_f32 v28, v69, v74 :: v_dual_fmac_f32 v45, v64, v59
	s_delay_alu instid0(VALU_DEP_4)
	v_dual_fmac_f32 v39, v86, v89 :: v_dual_mul_f32 v60, v67, v72
	s_waitcnt lgkmcnt(7)
	v_mul_f32_e32 v35, v102, v106
	v_add_f32_e32 v24, v24, v30
	v_fmac_f32_e32 v58, v66, v61
	v_mul_f32_e32 v62, v80, v76
	v_fmac_f32_e32 v28, v70, v73
	v_fma_f32 v35, v101, v105, -v35
	v_add_f32_e32 v24, v24, v32
	v_dual_mul_f32 v72, v81, v78 :: v_dual_fmac_f32 v25, v80, v75
	ds_load_b128 v[135:138], v8 offset:224
	ds_load_b128 v[139:142], v8 offset:240
	v_mul_f32_e32 v32, v83, v88
	v_add_f32_e32 v24, v24, v29
	v_dual_mul_f32 v29, v96, v92 :: v_dual_fmac_f32 v72, v82, v77
	v_mul_f32_e32 v37, v86, v90
	s_delay_alu instid0(VALU_DEP_3) | instskip(NEXT) | instid1(VALU_DEP_3)
	v_dual_mul_f32 v31, v97, v94 :: v_dual_add_f32 v24, v24, v36
	v_fma_f32 v29, v95, v91, -v29
	v_fmac_f32_e32 v60, v68, v71
	v_dual_mul_f32 v34, v99, v104 :: v_dual_fmac_f32 v43, v96, v91
	s_delay_alu instid0(VALU_DEP_4) | instskip(SKIP_4) | instid1(VALU_DEP_4)
	v_add_f32_e32 v24, v24, v38
	v_fma_f32 v38, v51, v55, -v40
	v_fma_f32 v40, v53, v57, -v42
	;; [unrolled: 1-line block ×3, first 2 shown]
	v_fmac_f32_e32 v31, v98, v93
	v_dual_add_f32 v24, v24, v41 :: v_dual_add_f32 v23, v23, v38
	v_fma_f32 v38, v63, v59, -v44
	v_fma_f32 v41, v65, v61, -v46
	ds_load_2addr_b64 v[2:5], v22 offset0:192 offset1:224
	v_dual_add_f32 v24, v24, v33 :: v_dual_add_f32 v23, v23, v40
	s_waitcnt lgkmcnt(8)
	v_dual_mul_f32 v33, v101, v106 :: v_dual_mul_f32 v40, v112, v108
	v_fmac_f32_e32 v34, v100, v103
	s_delay_alu instid0(VALU_DEP_3) | instskip(SKIP_1) | instid1(VALU_DEP_4)
	v_dual_add_f32 v24, v24, v45 :: v_dual_add_f32 v23, v23, v38
	v_mul_f32_e32 v30, v82, v78
	v_dual_fmac_f32 v33, v102, v105 :: v_dual_mul_f32 v38, v111, v108
	s_delay_alu instid0(VALU_DEP_3) | instskip(NEXT) | instid1(VALU_DEP_3)
	v_dual_add_f32 v24, v24, v58 :: v_dual_add_f32 v23, v23, v41
	v_fma_f32 v30, v81, v77, -v30
	v_dual_mul_f32 v41, v114, v110 :: v_dual_fmac_f32 v32, v84, v87
	s_delay_alu instid0(VALU_DEP_3) | instskip(SKIP_1) | instid1(VALU_DEP_2)
	v_dual_add_f32 v24, v24, v60 :: v_dual_add_f32 v23, v23, v26
	v_mul_f32_e32 v26, v113, v110
	v_add_f32_e32 v24, v24, v28
	v_fma_f32 v28, v79, v75, -v62
	s_delay_alu instid0(VALU_DEP_2) | instskip(SKIP_2) | instid1(VALU_DEP_2)
	v_dual_add_f32 v23, v23, v42 :: v_dual_add_f32 v24, v24, v25
	s_waitcnt lgkmcnt(6)
	v_mul_f32_e32 v25, v116, v120
	v_add_f32_e32 v23, v23, v28
	v_mul_f32_e32 v36, v100, v104
	s_delay_alu instid0(VALU_DEP_3) | instskip(NEXT) | instid1(VALU_DEP_3)
	v_fma_f32 v25, v115, v119, -v25
	v_add_f32_e32 v23, v23, v30
	s_delay_alu instid0(VALU_DEP_1) | instskip(SKIP_1) | instid1(VALU_DEP_1)
	v_dual_mul_f32 v30, v118, v122 :: v_dual_add_f32 v23, v23, v27
	v_dual_mul_f32 v27, v117, v122 :: v_dual_add_f32 v24, v24, v72
	v_dual_fmac_f32 v27, v118, v121 :: v_dual_add_f32 v24, v24, v32
	v_fma_f32 v32, v85, v89, -v37
	v_fma_f32 v37, v97, v93, -v47
	s_delay_alu instid0(VALU_DEP_2) | instskip(NEXT) | instid1(VALU_DEP_1)
	v_dual_add_f32 v24, v24, v39 :: v_dual_add_f32 v23, v23, v32
	v_dual_add_f32 v24, v24, v43 :: v_dual_add_f32 v23, v23, v29
	s_waitcnt lgkmcnt(4)
	v_mul_f32_e32 v29, v127, v124
	v_mul_f32_e32 v28, v115, v120
	s_delay_alu instid0(VALU_DEP_3)
	v_add_f32_e32 v24, v24, v31
	v_fma_f32 v31, v99, v103, -v36
	v_add_f32_e32 v23, v23, v37
	v_fmac_f32_e32 v29, v128, v123
	v_fmac_f32_e32 v28, v116, v119
	v_add_f32_e32 v24, v24, v34
	v_fma_f32 v36, v113, v109, -v41
	v_add_f32_e32 v23, v23, v31
	v_dual_mul_f32 v31, v129, v126 :: v_dual_fmac_f32 v38, v112, v107
	s_delay_alu instid0(VALU_DEP_4) | instskip(SKIP_1) | instid1(VALU_DEP_4)
	v_add_f32_e32 v24, v24, v33
	v_fma_f32 v33, v111, v107, -v40
	v_add_f32_e32 v23, v23, v35
	s_waitcnt lgkmcnt(2)
	v_dual_mul_f32 v35, v132, v136 :: v_dual_fmac_f32 v26, v114, v109
	v_dual_add_f32 v24, v24, v38 :: v_dual_fmac_f32 v31, v130, v125
	s_delay_alu instid0(VALU_DEP_1) | instskip(NEXT) | instid1(VALU_DEP_1)
	v_dual_add_f32 v23, v23, v33 :: v_dual_add_f32 v24, v24, v26
	v_add_f32_e32 v23, v23, v36
	s_delay_alu instid0(VALU_DEP_2) | instskip(NEXT) | instid1(VALU_DEP_2)
	v_add_f32_e32 v24, v24, v28
	v_dual_mul_f32 v28, v134, v138 :: v_dual_add_f32 v23, v23, v25
	s_delay_alu instid0(VALU_DEP_2) | instskip(NEXT) | instid1(VALU_DEP_2)
	v_dual_mul_f32 v25, v133, v138 :: v_dual_add_f32 v24, v24, v27
	v_fma_f32 v28, v133, v137, -v28
	s_delay_alu instid0(VALU_DEP_2) | instskip(SKIP_1) | instid1(VALU_DEP_3)
	v_dual_fmac_f32 v25, v134, v137 :: v_dual_mul_f32 v26, v131, v136
	s_waitcnt lgkmcnt(0)
	v_dual_add_f32 v24, v24, v29 :: v_dual_mul_f32 v29, v3, v140
	v_fma_f32 v30, v117, v121, -v30
	s_delay_alu instid0(VALU_DEP_3) | instskip(NEXT) | instid1(VALU_DEP_3)
	v_fmac_f32_e32 v26, v132, v135
	v_add_f32_e32 v24, v24, v31
	v_fma_f32 v31, v131, v135, -v35
	s_delay_alu instid0(VALU_DEP_4) | instskip(SKIP_1) | instid1(VALU_DEP_4)
	v_dual_add_f32 v23, v23, v30 :: v_dual_mul_f32 v32, v128, v124
	v_mul_f32_e32 v34, v130, v126
	v_add_f32_e32 v24, v24, v26
	v_mul_f32_e32 v26, v4, v142
	s_delay_alu instid0(VALU_DEP_4) | instskip(NEXT) | instid1(VALU_DEP_4)
	v_fma_f32 v27, v127, v123, -v32
	v_fma_f32 v30, v129, v125, -v34
	s_delay_alu instid0(VALU_DEP_2) | instskip(SKIP_2) | instid1(VALU_DEP_3)
	v_dual_fmac_f32 v26, v5, v141 :: v_dual_add_f32 v23, v23, v27
	v_mul_f32_e32 v27, v2, v140
	v_fma_f32 v2, v2, v139, -v29
	v_add_f32_e32 v23, v23, v30
	s_delay_alu instid0(VALU_DEP_3) | instskip(NEXT) | instid1(VALU_DEP_2)
	v_fmac_f32_e32 v27, v3, v139
	v_add_f32_e32 v3, v23, v31
	v_dual_add_f32 v23, v24, v25 :: v_dual_mul_f32 v24, v5, v142
	s_delay_alu instid0(VALU_DEP_2) | instskip(NEXT) | instid1(VALU_DEP_2)
	v_add_f32_e32 v3, v3, v28
	v_add_f32_e32 v5, v23, v27
	s_delay_alu instid0(VALU_DEP_3) | instskip(NEXT) | instid1(VALU_DEP_3)
	v_fma_f32 v4, v4, v141, -v24
	v_add_f32_e32 v2, v3, v2
	s_delay_alu instid0(VALU_DEP_1) | instskip(NEXT) | instid1(VALU_DEP_1)
	v_dual_add_f32 v3, v5, v26 :: v_dual_add_f32 v2, v2, v4
	v_mul_f32_e32 v4, s21, v3
	v_mul_f32_e32 v3, s20, v3
	s_delay_alu instid0(VALU_DEP_2) | instskip(SKIP_1) | instid1(VALU_DEP_1)
	v_fma_f32 v4, s20, v2, -v4
	s_waitcnt vmcnt(0)
	v_dual_fmac_f32 v3, s21, v2 :: v_dual_add_f32 v2, v143, v4
	s_delay_alu instid0(VALU_DEP_1)
	v_add_f32_e32 v3, v144, v3
	global_store_b64 v[0:1], v[2:3], off
.LBB1888_11:                            ;   in Loop: Header=BB1888_5 Depth=1
	s_or_b32 exec_lo, exec_lo, s15
	v_dual_mov_b32 v3, 0 :: v_dual_mov_b32 v4, 0
	v_mov_b32_e32 v5, 0
	s_waitcnt_vscnt null, 0x0
	s_barrier
	buffer_gl0_inv
	s_and_saveexec_b32 s15, s12
	s_cbranch_execz .LBB1888_13
; %bb.12:                               ;   in Loop: Header=BB1888_5 Depth=1
	v_add_co_u32 v4, vcc_lo, s10, v14
	v_add_co_ci_u32_e32 v5, vcc_lo, s11, v15, vcc_lo
	global_load_b64 v[4:5], v[4:5], off
.LBB1888_13:                            ;   in Loop: Header=BB1888_5 Depth=1
	s_or_b32 exec_lo, exec_lo, s15
	v_mov_b32_e32 v2, 0
	s_waitcnt vmcnt(0)
	ds_store_b64 v9, v[4:5]
	s_and_saveexec_b32 s12, s13
	s_cbranch_execz .LBB1888_15
; %bb.14:                               ;   in Loop: Header=BB1888_5 Depth=1
	v_add_co_u32 v2, vcc_lo, s8, v16
	v_add_co_ci_u32_e32 v3, vcc_lo, s9, v17, vcc_lo
	global_load_b64 v[2:3], v[2:3], off offset:-4
	s_waitcnt vmcnt(0)
	v_xor_b32_e32 v3, 0x80000000, v3
.LBB1888_15:                            ;   in Loop: Header=BB1888_5 Depth=1
	s_or_b32 exec_lo, exec_lo, s12
	ds_store_b64 v11, v[2:3]
	s_waitcnt lgkmcnt(0)
	s_barrier
	buffer_gl0_inv
	s_and_saveexec_b32 s12, s14
	s_cbranch_execz .LBB1888_4
; %bb.16:                               ;   in Loop: Header=BB1888_5 Depth=1
	global_load_b64 v[147:148], v[0:1], off
	ds_load_b128 v[2:5], v8
	ds_load_b128 v[23:26], v8 offset:16
	ds_load_2addr_b64 v[27:30], v10 offset1:32
	ds_load_b128 v[31:34], v8 offset:32
	ds_load_b128 v[35:38], v8 offset:48
	ds_load_2addr_b64 v[39:42], v10 offset0:64 offset1:96
	ds_load_2addr_b64 v[43:46], v10 offset0:128 offset1:160
	;; [unrolled: 1-line block ×3, first 2 shown]
	ds_load_2addr_b64 v[51:54], v20 offset1:32
	ds_load_b128 v[55:58], v8 offset:64
	ds_load_b128 v[59:62], v8 offset:80
	ds_load_2addr_b64 v[63:66], v20 offset0:64 offset1:96
	ds_load_2addr_b64 v[67:70], v20 offset0:128 offset1:160
	ds_load_b128 v[71:74], v8 offset:96
	ds_load_b128 v[75:78], v8 offset:112
	ds_load_2addr_b64 v[79:82], v20 offset0:192 offset1:224
	ds_load_2addr_b64 v[83:86], v21 offset1:32
	ds_load_b128 v[87:90], v8 offset:128
	ds_load_b128 v[91:94], v8 offset:144
	ds_load_2addr_b64 v[95:98], v21 offset0:64 offset1:96
	ds_load_2addr_b64 v[99:102], v21 offset0:128 offset1:160
	ds_load_b128 v[103:106], v8 offset:160
	ds_load_b128 v[107:110], v8 offset:176
	ds_load_2addr_b64 v[111:114], v21 offset0:192 offset1:224
	;; [unrolled: 8-line block ×3, first 2 shown]
	s_waitcnt lgkmcnt(29)
	v_dual_mul_f32 v149, v28, v3 :: v_dual_mul_f32 v150, v30, v5
	s_waitcnt lgkmcnt(26)
	v_dual_mul_f32 v3, v27, v3 :: v_dual_mul_f32 v152, v42, v26
	v_mul_f32_e32 v5, v29, v5
	s_waitcnt lgkmcnt(25)
	v_dual_mul_f32 v153, v44, v32 :: v_dual_mul_f32 v154, v46, v34
	s_delay_alu instid0(VALU_DEP_3)
	v_dual_mul_f32 v32, v43, v32 :: v_dual_fmac_f32 v3, v28, v2
	v_fma_f32 v27, v27, v2, -v149
	v_dual_mul_f32 v151, v40, v24 :: v_dual_mul_f32 v26, v41, v26
	v_mul_f32_e32 v24, v39, v24
	s_waitcnt lgkmcnt(24)
	v_dual_mul_f32 v34, v45, v34 :: v_dual_mul_f32 v155, v48, v36
	v_dual_mul_f32 v36, v47, v36 :: v_dual_add_f32 v27, 0, v27
	s_waitcnt lgkmcnt(22)
	v_dual_mul_f32 v156, v50, v38 :: v_dual_mul_f32 v157, v52, v56
	v_dual_mul_f32 v56, v51, v56 :: v_dual_add_f32 v3, 0, v3
	s_waitcnt lgkmcnt(18)
	v_dual_mul_f32 v158, v54, v58 :: v_dual_mul_f32 v161, v68, v72
	v_dual_mul_f32 v58, v53, v58 :: v_dual_fmac_f32 v5, v30, v4
	v_fma_f32 v2, v29, v4, -v150
	v_dual_mul_f32 v38, v49, v38 :: v_dual_mul_f32 v159, v64, v60
	v_mul_f32_e32 v60, v63, v60
	s_waitcnt lgkmcnt(16)
	v_dual_mul_f32 v160, v66, v62 :: v_dual_mul_f32 v29, v79, v76
	v_dual_mul_f32 v62, v65, v62 :: v_dual_add_f32 v3, v3, v5
	v_add_f32_e32 v2, v27, v2
	s_waitcnt lgkmcnt(14)
	v_mul_f32_e32 v27, v85, v90
	v_fmac_f32_e32 v29, v80, v75
	v_fmac_f32_e32 v24, v40, v23
	v_mul_f32_e32 v4, v69, v74
	s_delay_alu instid0(VALU_DEP_4) | instskip(NEXT) | instid1(VALU_DEP_3)
	v_dual_fmac_f32 v56, v52, v55 :: v_dual_fmac_f32 v27, v86, v89
	v_dual_fmac_f32 v26, v42, v25 :: v_dual_add_f32 v3, v3, v24
	v_mul_f32_e32 v28, v80, v76
	v_fmac_f32_e32 v60, v64, v59
	v_fmac_f32_e32 v32, v44, v31
	s_waitcnt lgkmcnt(12)
	v_dual_mul_f32 v162, v70, v74 :: v_dual_mul_f32 v5, v96, v92
	v_add_f32_e32 v3, v3, v26
	v_mul_f32_e32 v74, v81, v78
	v_fmac_f32_e32 v62, v66, v61
	v_fmac_f32_e32 v34, v46, v33
	s_delay_alu instid0(VALU_DEP_4)
	v_dual_fmac_f32 v4, v70, v73 :: v_dual_add_f32 v3, v3, v32
	v_mul_f32_e32 v76, v84, v88
	v_fmac_f32_e32 v36, v48, v35
	v_mul_f32_e32 v30, v82, v78
	v_mul_f32_e32 v78, v83, v88
	v_add_f32_e32 v3, v3, v34
	v_mul_f32_e32 v88, v86, v90
	v_fma_f32 v39, v39, v23, -v151
	v_fmac_f32_e32 v38, v50, v37
	v_fma_f32 v23, v41, v25, -v152
	v_dual_add_f32 v3, v3, v36 :: v_dual_fmac_f32 v58, v54, v57
	s_delay_alu instid0(VALU_DEP_4) | instskip(SKIP_2) | instid1(VALU_DEP_4)
	v_add_f32_e32 v2, v2, v39
	v_mul_f32_e32 v72, v67, v72
	v_fma_f32 v25, v43, v31, -v153
	v_add_f32_e32 v3, v3, v38
	v_fma_f32 v24, v45, v33, -v154
	v_fma_f32 v26, v47, v35, -v155
	;; [unrolled: 1-line block ×3, first 2 shown]
	s_delay_alu instid0(VALU_DEP_4) | instskip(SKIP_4) | instid1(VALU_DEP_4)
	v_dual_fmac_f32 v74, v82, v77 :: v_dual_add_f32 v3, v3, v56
	v_add_f32_e32 v2, v2, v23
	v_fma_f32 v32, v51, v55, -v157
	v_mul_f32_e32 v23, v95, v92
	v_fma_f32 v33, v53, v57, -v158
	v_dual_add_f32 v3, v3, v58 :: v_dual_add_f32 v2, v2, v25
	v_dual_mul_f32 v25, v98, v94 :: v_dual_fmac_f32 v72, v68, v71
	v_fma_f32 v34, v63, v59, -v159
	s_delay_alu instid0(VALU_DEP_3) | instskip(NEXT) | instid1(VALU_DEP_4)
	v_add_f32_e32 v3, v3, v60
	v_add_f32_e32 v2, v2, v24
	v_fma_f32 v35, v65, v61, -v160
	v_fma_f32 v36, v67, v71, -v161
	;; [unrolled: 1-line block ×3, first 2 shown]
	v_add_f32_e32 v3, v3, v62
	v_dual_mul_f32 v24, v97, v94 :: v_dual_fmac_f32 v23, v96, v91
	v_fma_f32 v28, v79, v75, -v28
	v_fma_f32 v30, v81, v77, -v30
	s_delay_alu instid0(VALU_DEP_3) | instskip(SKIP_2) | instid1(VALU_DEP_3)
	v_dual_add_f32 v3, v3, v72 :: v_dual_fmac_f32 v24, v98, v93
	v_fma_f32 v5, v95, v91, -v5
	v_fma_f32 v25, v97, v93, -v25
	v_dual_add_f32 v3, v3, v4 :: v_dual_add_f32 v2, v2, v26
	s_waitcnt lgkmcnt(10)
	s_delay_alu instid0(VALU_DEP_1) | instskip(SKIP_2) | instid1(VALU_DEP_2)
	v_dual_add_f32 v3, v3, v29 :: v_dual_mul_f32 v26, v100, v104
	s_waitcnt lgkmcnt(6)
	v_mul_f32_e32 v29, v115, v120
	v_dual_add_f32 v3, v3, v74 :: v_dual_add_f32 v2, v2, v31
	v_mul_f32_e32 v31, v99, v104
	v_fma_f32 v26, v99, v103, -v26
	s_delay_alu instid0(VALU_DEP_3) | instskip(NEXT) | instid1(VALU_DEP_1)
	v_dual_fmac_f32 v29, v116, v119 :: v_dual_add_f32 v2, v2, v32
	v_dual_fmac_f32 v31, v100, v103 :: v_dual_add_f32 v2, v2, v33
	v_dual_mul_f32 v33, v101, v106 :: v_dual_fmac_f32 v78, v84, v87
	s_delay_alu instid0(VALU_DEP_1) | instskip(NEXT) | instid1(VALU_DEP_2)
	v_fmac_f32_e32 v33, v102, v105
	v_add_f32_e32 v3, v3, v78
	s_delay_alu instid0(VALU_DEP_1) | instskip(NEXT) | instid1(VALU_DEP_1)
	v_dual_mul_f32 v32, v102, v106 :: v_dual_add_f32 v3, v3, v27
	v_dual_add_f32 v3, v3, v23 :: v_dual_add_f32 v2, v2, v34
	v_mul_f32_e32 v34, v112, v108
	s_waitcnt lgkmcnt(4)
	v_mul_f32_e32 v23, v127, v124
	s_delay_alu instid0(VALU_DEP_3) | instskip(SKIP_1) | instid1(VALU_DEP_3)
	v_dual_add_f32 v3, v3, v24 :: v_dual_add_f32 v2, v2, v35
	v_mul_f32_e32 v35, v111, v108
	v_fmac_f32_e32 v23, v128, v123
	s_delay_alu instid0(VALU_DEP_3) | instskip(NEXT) | instid1(VALU_DEP_3)
	v_dual_add_f32 v3, v3, v31 :: v_dual_add_f32 v2, v2, v36
	v_dual_mul_f32 v36, v114, v110 :: v_dual_fmac_f32 v35, v112, v107
	s_delay_alu instid0(VALU_DEP_2) | instskip(NEXT) | instid1(VALU_DEP_3)
	v_add_f32_e32 v3, v3, v33
	v_dual_add_f32 v2, v2, v37 :: v_dual_mul_f32 v37, v113, v110
	v_mul_f32_e32 v4, v116, v120
	s_delay_alu instid0(VALU_DEP_4) | instskip(NEXT) | instid1(VALU_DEP_3)
	v_fma_f32 v27, v113, v109, -v36
	v_dual_add_f32 v3, v3, v35 :: v_dual_add_f32 v2, v2, v28
	s_delay_alu instid0(VALU_DEP_4) | instskip(SKIP_2) | instid1(VALU_DEP_3)
	v_fmac_f32_e32 v37, v114, v109
	v_fma_f32 v28, v83, v87, -v76
	v_fma_f32 v4, v115, v119, -v4
	v_dual_add_f32 v2, v2, v30 :: v_dual_add_f32 v3, v3, v37
	v_fma_f32 v30, v85, v89, -v88
	s_delay_alu instid0(VALU_DEP_2) | instskip(SKIP_1) | instid1(VALU_DEP_2)
	v_dual_add_f32 v3, v3, v29 :: v_dual_add_f32 v2, v2, v28
	v_mul_f32_e32 v28, v118, v122
	v_add_f32_e32 v2, v2, v30
	v_mul_f32_e32 v30, v117, v122
	s_delay_alu instid0(VALU_DEP_3) | instskip(NEXT) | instid1(VALU_DEP_2)
	v_fma_f32 v28, v117, v121, -v28
	v_fmac_f32_e32 v30, v118, v121
	s_delay_alu instid0(VALU_DEP_1) | instskip(NEXT) | instid1(VALU_DEP_1)
	v_add_f32_e32 v3, v3, v30
	v_dual_add_f32 v3, v3, v23 :: v_dual_add_f32 v2, v2, v5
	s_waitcnt lgkmcnt(0)
	v_dual_mul_f32 v23, v143, v140 :: v_dual_mul_f32 v24, v130, v126
	s_delay_alu instid0(VALU_DEP_2) | instskip(SKIP_1) | instid1(VALU_DEP_3)
	v_dual_mul_f32 v5, v128, v124 :: v_dual_add_f32 v2, v2, v25
	v_fma_f32 v25, v101, v105, -v32
	v_fmac_f32_e32 v23, v144, v139
	s_delay_alu instid0(VALU_DEP_3) | instskip(SKIP_3) | instid1(VALU_DEP_2)
	v_fma_f32 v5, v127, v123, -v5
	v_fma_f32 v24, v129, v125, -v24
	v_add_f32_e32 v2, v2, v26
	v_fma_f32 v26, v111, v107, -v34
	v_dual_add_f32 v2, v2, v25 :: v_dual_mul_f32 v25, v129, v126
	s_delay_alu instid0(VALU_DEP_1) | instskip(NEXT) | instid1(VALU_DEP_2)
	v_add_f32_e32 v2, v2, v26
	v_dual_mul_f32 v26, v132, v136 :: v_dual_fmac_f32 v25, v130, v125
	s_delay_alu instid0(VALU_DEP_2) | instskip(NEXT) | instid1(VALU_DEP_2)
	v_dual_add_f32 v2, v2, v27 :: v_dual_mul_f32 v27, v131, v136
	v_fma_f32 v26, v131, v135, -v26
	s_delay_alu instid0(VALU_DEP_2) | instskip(NEXT) | instid1(VALU_DEP_3)
	v_dual_add_f32 v3, v3, v25 :: v_dual_add_f32 v2, v2, v4
	v_dual_mul_f32 v4, v134, v138 :: v_dual_fmac_f32 v27, v132, v135
	s_delay_alu instid0(VALU_DEP_2) | instskip(SKIP_1) | instid1(VALU_DEP_3)
	v_add_f32_e32 v2, v2, v28
	v_mul_f32_e32 v28, v133, v138
	v_fma_f32 v4, v133, v137, -v4
	s_delay_alu instid0(VALU_DEP_3) | instskip(NEXT) | instid1(VALU_DEP_3)
	v_dual_add_f32 v3, v3, v27 :: v_dual_add_f32 v2, v2, v5
	v_dual_mul_f32 v5, v144, v140 :: v_dual_fmac_f32 v28, v134, v137
	s_delay_alu instid0(VALU_DEP_2) | instskip(SKIP_1) | instid1(VALU_DEP_3)
	v_add_f32_e32 v2, v2, v24
	v_mul_f32_e32 v24, v146, v142
	v_fma_f32 v5, v143, v139, -v5
	s_delay_alu instid0(VALU_DEP_3) | instskip(NEXT) | instid1(VALU_DEP_3)
	v_dual_add_f32 v3, v3, v28 :: v_dual_add_f32 v2, v2, v26
	v_fma_f32 v24, v145, v141, -v24
	s_delay_alu instid0(VALU_DEP_2) | instskip(SKIP_1) | instid1(VALU_DEP_2)
	v_dual_add_f32 v3, v3, v23 :: v_dual_add_f32 v2, v2, v4
	v_mul_f32_e32 v4, v145, v142
	v_add_f32_e32 v2, v2, v5
	s_delay_alu instid0(VALU_DEP_2) | instskip(NEXT) | instid1(VALU_DEP_2)
	v_fmac_f32_e32 v4, v146, v141
	v_add_f32_e32 v2, v2, v24
	s_delay_alu instid0(VALU_DEP_1) | instskip(SKIP_1) | instid1(VALU_DEP_2)
	v_dual_add_f32 v3, v3, v4 :: v_dual_mul_f32 v4, s20, v2
	v_mul_f32_e32 v2, s21, v2
	v_fmac_f32_e32 v4, s21, v3
	s_delay_alu instid0(VALU_DEP_2) | instskip(SKIP_1) | instid1(VALU_DEP_1)
	v_fma_f32 v3, s20, v3, -v2
	s_waitcnt vmcnt(0)
	v_dual_add_f32 v3, v148, v3 :: v_dual_add_f32 v2, v147, v4
	global_store_b64 v[0:1], v[2:3], off
	s_branch .LBB1888_4
.LBB1888_17:
	s_endpgm
	.section	.rodata,"a",@progbits
	.p2align	6, 0x0
	.amdhsa_kernel _ZL26rocblas_syr2k_her2k_kernelIlLb1ELb1ELb0ELi32E19rocblas_complex_numIfEPKPKS1_PKPS1_EvbiT_T4_T5_S9_lSB_S9_lT6_S9_li
		.amdhsa_group_segment_fixed_size 16384
		.amdhsa_private_segment_fixed_size 0
		.amdhsa_kernarg_size 100
		.amdhsa_user_sgpr_count 13
		.amdhsa_user_sgpr_dispatch_ptr 0
		.amdhsa_user_sgpr_queue_ptr 0
		.amdhsa_user_sgpr_kernarg_segment_ptr 1
		.amdhsa_user_sgpr_dispatch_id 0
		.amdhsa_user_sgpr_private_segment_size 0
		.amdhsa_wavefront_size32 1
		.amdhsa_uses_dynamic_stack 0
		.amdhsa_enable_private_segment 0
		.amdhsa_system_sgpr_workgroup_id_x 1
		.amdhsa_system_sgpr_workgroup_id_y 1
		.amdhsa_system_sgpr_workgroup_id_z 1
		.amdhsa_system_sgpr_workgroup_info 0
		.amdhsa_system_vgpr_workitem_id 1
		.amdhsa_next_free_vgpr 163
		.amdhsa_next_free_sgpr 32
		.amdhsa_reserve_vcc 1
		.amdhsa_float_round_mode_32 0
		.amdhsa_float_round_mode_16_64 0
		.amdhsa_float_denorm_mode_32 3
		.amdhsa_float_denorm_mode_16_64 3
		.amdhsa_dx10_clamp 1
		.amdhsa_ieee_mode 1
		.amdhsa_fp16_overflow 0
		.amdhsa_workgroup_processor_mode 1
		.amdhsa_memory_ordered 1
		.amdhsa_forward_progress 0
		.amdhsa_shared_vgpr_count 0
		.amdhsa_exception_fp_ieee_invalid_op 0
		.amdhsa_exception_fp_denorm_src 0
		.amdhsa_exception_fp_ieee_div_zero 0
		.amdhsa_exception_fp_ieee_overflow 0
		.amdhsa_exception_fp_ieee_underflow 0
		.amdhsa_exception_fp_ieee_inexact 0
		.amdhsa_exception_int_div_zero 0
	.end_amdhsa_kernel
	.section	.text._ZL26rocblas_syr2k_her2k_kernelIlLb1ELb1ELb0ELi32E19rocblas_complex_numIfEPKPKS1_PKPS1_EvbiT_T4_T5_S9_lSB_S9_lT6_S9_li,"axG",@progbits,_ZL26rocblas_syr2k_her2k_kernelIlLb1ELb1ELb0ELi32E19rocblas_complex_numIfEPKPKS1_PKPS1_EvbiT_T4_T5_S9_lSB_S9_lT6_S9_li,comdat
.Lfunc_end1888:
	.size	_ZL26rocblas_syr2k_her2k_kernelIlLb1ELb1ELb0ELi32E19rocblas_complex_numIfEPKPKS1_PKPS1_EvbiT_T4_T5_S9_lSB_S9_lT6_S9_li, .Lfunc_end1888-_ZL26rocblas_syr2k_her2k_kernelIlLb1ELb1ELb0ELi32E19rocblas_complex_numIfEPKPKS1_PKPS1_EvbiT_T4_T5_S9_lSB_S9_lT6_S9_li
                                        ; -- End function
	.section	.AMDGPU.csdata,"",@progbits
; Kernel info:
; codeLenInByte = 3904
; NumSgprs: 34
; NumVgprs: 163
; ScratchSize: 0
; MemoryBound: 0
; FloatMode: 240
; IeeeMode: 1
; LDSByteSize: 16384 bytes/workgroup (compile time only)
; SGPRBlocks: 4
; VGPRBlocks: 20
; NumSGPRsForWavesPerEU: 34
; NumVGPRsForWavesPerEU: 163
; Occupancy: 9
; WaveLimiterHint : 1
; COMPUTE_PGM_RSRC2:SCRATCH_EN: 0
; COMPUTE_PGM_RSRC2:USER_SGPR: 13
; COMPUTE_PGM_RSRC2:TRAP_HANDLER: 0
; COMPUTE_PGM_RSRC2:TGID_X_EN: 1
; COMPUTE_PGM_RSRC2:TGID_Y_EN: 1
; COMPUTE_PGM_RSRC2:TGID_Z_EN: 1
; COMPUTE_PGM_RSRC2:TIDIG_COMP_CNT: 1
	.section	.text._ZL26rocblas_syr2k_her2k_kernelIlLb1ELb1ELb1ELi32E19rocblas_complex_numIfEPKPKS1_PKPS1_EvbiT_T4_T5_S9_lSB_S9_lT6_S9_li,"axG",@progbits,_ZL26rocblas_syr2k_her2k_kernelIlLb1ELb1ELb1ELi32E19rocblas_complex_numIfEPKPKS1_PKPS1_EvbiT_T4_T5_S9_lSB_S9_lT6_S9_li,comdat
	.globl	_ZL26rocblas_syr2k_her2k_kernelIlLb1ELb1ELb1ELi32E19rocblas_complex_numIfEPKPKS1_PKPS1_EvbiT_T4_T5_S9_lSB_S9_lT6_S9_li ; -- Begin function _ZL26rocblas_syr2k_her2k_kernelIlLb1ELb1ELb1ELi32E19rocblas_complex_numIfEPKPKS1_PKPS1_EvbiT_T4_T5_S9_lSB_S9_lT6_S9_li
	.p2align	8
	.type	_ZL26rocblas_syr2k_her2k_kernelIlLb1ELb1ELb1ELi32E19rocblas_complex_numIfEPKPKS1_PKPS1_EvbiT_T4_T5_S9_lSB_S9_lT6_S9_li,@function
_ZL26rocblas_syr2k_her2k_kernelIlLb1ELb1ELb1ELi32E19rocblas_complex_numIfEPKPKS1_PKPS1_EvbiT_T4_T5_S9_lSB_S9_lT6_S9_li: ; @_ZL26rocblas_syr2k_her2k_kernelIlLb1ELb1ELb1ELi32E19rocblas_complex_numIfEPKPKS1_PKPS1_EvbiT_T4_T5_S9_lSB_S9_lT6_S9_li
; %bb.0:
	s_load_b64 s[20:21], s[0:1], 0x10
	s_waitcnt lgkmcnt(0)
	v_cmp_eq_f32_e64 s2, s20, 0
	v_cmp_eq_f32_e64 s3, s21, 0
	s_delay_alu instid0(VALU_DEP_1) | instskip(NEXT) | instid1(SALU_CYCLE_1)
	s_and_b32 s2, s2, s3
	s_and_b32 vcc_lo, exec_lo, s2
	s_cbranch_vccnz .LBB1889_17
; %bb.1:
	s_load_b64 s[2:3], s[0:1], 0x0
	s_lshl_b32 s26, s14, 5
	s_lshl_b32 s27, s13, 5
	s_waitcnt lgkmcnt(0)
	s_and_b32 s2, 1, s2
	s_delay_alu instid0(SALU_CYCLE_1) | instskip(SKIP_1) | instid1(SALU_CYCLE_1)
	s_cmp_eq_u32 s2, 1
	s_cselect_b32 s2, -1, 0
	s_and_b32 s4, s2, exec_lo
	s_cselect_b32 s4, s27, s26
	s_cselect_b32 s5, s26, s27
	s_delay_alu instid0(SALU_CYCLE_1)
	s_cmp_gt_i32 s4, s5
	s_cbranch_scc1 .LBB1889_17
; %bb.2:
	s_load_b64 s[22:23], s[0:1], 0x8
	s_waitcnt lgkmcnt(0)
	v_cmp_lt_i64_e64 s4, s[22:23], 1
	s_delay_alu instid0(VALU_DEP_1)
	s_and_b32 vcc_lo, exec_lo, s4
	s_cbranch_vccnz .LBB1889_17
; %bb.3:
	s_mov_b32 s24, s15
	s_load_b512 s[4:19], s[0:1], 0x18
	s_mov_b32 s25, 0
	v_bfe_u32 v6, v0, 10, 10
	s_lshl_b64 s[24:25], s[24:25], 3
	v_mov_b32_e32 v3, 0
	v_and_b32_e32 v7, 0x3ff, v0
	s_load_b64 s[0:1], s[0:1], 0x58
	v_add_nc_u32_e32 v4, s26, v6
	s_mov_b32 s28, s3
	s_delay_alu instid0(VALU_DEP_2) | instskip(SKIP_1) | instid1(VALU_DEP_3)
	v_dual_mov_b32 v5, v3 :: v_dual_add_nc_u32 v2, s27, v7
	v_lshlrev_b32_e32 v23, 3, v7
	v_ashrrev_i32_e32 v0, 31, v4
	s_delay_alu instid0(VALU_DEP_3)
	v_cndmask_b32_e64 v14, v2, v4, s2
	v_cndmask_b32_e64 v18, v4, v2, s2
	v_max_i32_e32 v17, v2, v4
	s_waitcnt lgkmcnt(0)
	s_add_u32 s4, s4, s24
	s_addc_u32 s5, s5, s25
	s_add_u32 s10, s10, s24
	s_addc_u32 s11, s11, s25
	s_add_u32 s16, s16, s24
	s_addc_u32 s17, s17, s25
	v_mul_lo_u32 v15, v0, s18
	s_load_b64 s[16:17], s[16:17], 0x0
	v_mad_u64_u32 v[0:1], null, s12, v4, 0
	v_mul_lo_u32 v16, v4, s19
	v_mad_u64_u32 v[12:13], null, v4, s18, 0
	v_cmp_le_i32_e64 s2, v18, v14
	s_lshl_b64 s[0:1], s[0:1], 3
	v_cmp_gt_i32_e32 vcc_lo, s3, v17
	s_load_b64 s[4:5], s[4:5], 0x0
	s_load_b64 s[10:11], s[10:11], 0x0
	s_delay_alu instid0(VALU_DEP_3) | instskip(SKIP_2) | instid1(VALU_DEP_3)
	v_add3_u32 v13, v13, v16, v15
	v_mad_u64_u32 v[14:15], null, s13, v4, v[1:2]
	v_lshlrev_b32_e32 v22, 3, v6
	v_lshlrev_b64 v[12:13], 3, v[12:13]
	s_waitcnt lgkmcnt(0)
	s_add_u32 s16, s16, s0
	s_delay_alu instid0(VALU_DEP_3)
	v_mov_b32_e32 v1, v14
	v_mad_u64_u32 v[14:15], null, s12, v2, 0
	s_addc_u32 s17, s17, s1
	s_ashr_i32 s29, s3, 31
	v_lshlrev_b32_e32 v8, 8, v7
	v_cmp_gt_i64_e64 s0, s[28:29], v[2:3]
	v_ashrrev_i32_e32 v3, 31, v2
	v_cmp_gt_i64_e64 s1, s[28:29], v[4:5]
	v_add_co_u32 v5, s3, s16, v12
	s_delay_alu instid0(VALU_DEP_1) | instskip(NEXT) | instid1(VALU_DEP_4)
	v_add_co_ci_u32_e64 v18, s3, s17, v13, s3
	v_lshlrev_b64 v[12:13], 3, v[2:3]
	v_mov_b32_e32 v3, v15
	v_lshlrev_b64 v[0:1], 3, v[0:1]
	s_lshl_b64 s[14:15], s[14:15], 3
	v_or_b32_e32 v9, 0x2000, v22
	s_delay_alu instid0(VALU_DEP_3) | instskip(SKIP_1) | instid1(VALU_DEP_4)
	v_mad_u64_u32 v[15:16], null, s13, v2, v[3:4]
	v_mad_u64_u32 v[16:17], null, s6, v4, 0
	v_add_co_u32 v19, s3, v0, s14
	s_delay_alu instid0(VALU_DEP_1) | instskip(SKIP_1) | instid1(VALU_DEP_1)
	v_add_co_ci_u32_e64 v20, s3, s15, v1, s3
	v_add_co_u32 v0, s3, v5, v12
	v_add_co_ci_u32_e64 v1, s3, v18, v13, s3
	v_dual_mov_b32 v3, v17 :: v_dual_add_nc_u32 v10, v8, v22
	v_add_co_u32 v5, s3, v19, v23
	v_mad_u64_u32 v[18:19], null, s6, v2, 0
	v_add_co_ci_u32_e64 v12, s3, 0, v20, s3
	s_delay_alu instid0(VALU_DEP_4) | instskip(NEXT) | instid1(VALU_DEP_4)
	v_mad_u64_u32 v[20:21], null, s7, v4, v[3:4]
	v_add_co_u32 v5, s3, v5, s10
	s_delay_alu instid0(VALU_DEP_4) | instskip(NEXT) | instid1(VALU_DEP_4)
	v_mov_b32_e32 v3, v19
	v_add_co_ci_u32_e64 v13, s3, s11, v12, s3
	v_lshlrev_b64 v[14:15], 3, v[14:15]
	s_delay_alu instid0(VALU_DEP_4) | instskip(SKIP_4) | instid1(VALU_DEP_1)
	v_add_co_u32 v12, s3, v5, 4
	v_dual_mov_b32 v17, v20 :: v_dual_add_nc_u32 v20, 0x800, v9
	v_mad_u64_u32 v[4:5], null, s7, v2, v[3:4]
	v_add_co_ci_u32_e64 v13, s3, 0, v13, s3
	v_add_co_u32 v2, s3, v14, s14
	v_add_co_ci_u32_e64 v3, s3, s15, v15, s3
	s_delay_alu instid0(VALU_DEP_4) | instskip(NEXT) | instid1(VALU_DEP_3)
	v_mov_b32_e32 v19, v4
	v_add_co_u32 v5, s3, v2, v22
	s_delay_alu instid0(VALU_DEP_1) | instskip(SKIP_1) | instid1(VALU_DEP_3)
	v_add_co_ci_u32_e64 v15, s3, 0, v3, s3
	v_lshlrev_b64 v[2:3], 3, v[16:17]
	v_add_co_u32 v14, s3, s10, v5
	v_lshlrev_b64 v[4:5], 3, v[18:19]
	s_lshl_b64 s[6:7], s[8:9], 3
	v_add_co_ci_u32_e64 v15, s3, s11, v15, s3
	s_delay_alu instid0(VALU_DEP_4) | instskip(NEXT) | instid1(VALU_DEP_1)
	v_add_co_u32 v2, s3, v2, s6
	v_add_co_ci_u32_e64 v3, s3, s7, v3, s3
	s_delay_alu instid0(VALU_DEP_4) | instskip(NEXT) | instid1(VALU_DEP_1)
	v_add_co_u32 v4, s3, v4, s6
	;; [unrolled: 3-line block ×3, first 2 shown]
	v_add_co_ci_u32_e64 v3, s3, 0, v3, s3
	s_delay_alu instid0(VALU_DEP_4) | instskip(SKIP_3) | instid1(VALU_DEP_1)
	v_add_co_u32 v4, s3, v4, v22
	v_add_nc_u32_e32 v22, 0x1800, v9
	v_add_co_ci_u32_e64 v5, s3, 0, v5, s3
	v_add_co_u32 v2, s3, v2, s4
	v_add_co_ci_u32_e64 v3, s3, s5, v3, s3
	v_add_co_u32 v4, s3, v4, s4
	s_delay_alu instid0(VALU_DEP_1) | instskip(NEXT) | instid1(VALU_DEP_4)
	v_add_co_ci_u32_e64 v5, s3, s5, v5, s3
	v_add_co_u32 v16, s3, v2, 4
	s_delay_alu instid0(VALU_DEP_1) | instskip(NEXT) | instid1(VALU_DEP_4)
	v_add_co_ci_u32_e64 v17, s3, 0, v3, s3
	v_add_co_u32 v18, s3, v4, 4
	v_add_nc_u32_e32 v11, v9, v8
	v_add_co_ci_u32_e64 v19, s3, 0, v5, s3
	v_add_nc_u32_e32 v21, 0x1000, v9
	s_and_b32 s6, s2, vcc_lo
	s_mov_b64 s[2:3], 0
	s_mov_b64 s[4:5], 0
	s_branch .LBB1889_5
.LBB1889_4:                             ;   in Loop: Header=BB1889_5 Depth=1
	s_or_b32 exec_lo, exec_lo, s7
	s_add_u32 s4, s4, 32
	s_addc_u32 s5, s5, 0
	s_add_u32 s2, s2, 0x100
	v_cmp_lt_i64_e64 s7, s[4:5], s[22:23]
	s_addc_u32 s3, s3, 0
	s_waitcnt_vscnt null, 0x0
	s_barrier
	buffer_gl0_inv
	s_and_b32 vcc_lo, exec_lo, s7
	s_cbranch_vccz .LBB1889_17
.LBB1889_5:                             ; =>This Inner Loop Header: Depth=1
	v_add_co_u32 v2, s7, v6, s4
	s_delay_alu instid0(VALU_DEP_1) | instskip(NEXT) | instid1(VALU_DEP_1)
	v_add_co_ci_u32_e64 v3, null, 0, s5, s7
	v_cmp_gt_i64_e32 vcc_lo, s[22:23], v[2:3]
	v_dual_mov_b32 v2, 0 :: v_dual_mov_b32 v3, 0
	s_and_b32 s7, s0, vcc_lo
	s_delay_alu instid0(SALU_CYCLE_1)
	s_and_saveexec_b32 s8, s7
	s_cbranch_execz .LBB1889_7
; %bb.6:                                ;   in Loop: Header=BB1889_5 Depth=1
	v_add_co_u32 v2, vcc_lo, v18, s2
	v_add_co_ci_u32_e32 v3, vcc_lo, s3, v19, vcc_lo
	global_load_b64 v[2:3], v[2:3], off offset:-4
	s_waitcnt vmcnt(0)
	v_xor_b32_e32 v3, 0x80000000, v3
.LBB1889_7:                             ;   in Loop: Header=BB1889_5 Depth=1
	s_or_b32 exec_lo, exec_lo, s8
	v_add_co_u32 v4, s8, v7, s4
	s_delay_alu instid0(VALU_DEP_1) | instskip(SKIP_4) | instid1(SALU_CYCLE_1)
	v_add_co_ci_u32_e64 v5, null, 0, s5, s8
	ds_store_b64 v10, v[2:3]
	v_cmp_gt_i64_e32 vcc_lo, s[22:23], v[4:5]
	v_dual_mov_b32 v4, 0 :: v_dual_mov_b32 v5, 0
	s_and_b32 s8, s1, vcc_lo
	s_and_saveexec_b32 s9, s8
	s_cbranch_execz .LBB1889_9
; %bb.8:                                ;   in Loop: Header=BB1889_5 Depth=1
	v_add_co_u32 v2, vcc_lo, v12, s2
	v_add_co_ci_u32_e32 v3, vcc_lo, s3, v13, vcc_lo
	global_load_b64 v[4:5], v[2:3], off offset:-4
.LBB1889_9:                             ;   in Loop: Header=BB1889_5 Depth=1
	s_or_b32 exec_lo, exec_lo, s9
	s_waitcnt vmcnt(0)
	ds_store_b64 v11, v[4:5]
	s_waitcnt lgkmcnt(0)
	s_barrier
	buffer_gl0_inv
	s_and_saveexec_b32 s9, s6
	s_cbranch_execz .LBB1889_11
; %bb.10:                               ;   in Loop: Header=BB1889_5 Depth=1
	global_load_b64 v[143:144], v[0:1], off
	ds_load_2addr_b64 v[2:5], v9 offset1:32
	ds_load_b128 v[23:26], v8
	ds_load_b128 v[27:30], v8 offset:16
	ds_load_b128 v[31:34], v8 offset:32
	;; [unrolled: 1-line block ×3, first 2 shown]
	ds_load_2addr_b64 v[39:42], v9 offset0:64 offset1:96
	ds_load_2addr_b64 v[43:46], v9 offset0:128 offset1:160
	;; [unrolled: 1-line block ×3, first 2 shown]
	ds_load_2addr_b64 v[51:54], v20 offset1:32
	ds_load_b128 v[55:58], v8 offset:64
	ds_load_b128 v[59:62], v8 offset:80
	ds_load_2addr_b64 v[63:66], v20 offset0:64 offset1:96
	ds_load_2addr_b64 v[67:70], v20 offset0:128 offset1:160
	ds_load_b128 v[71:74], v8 offset:96
	ds_load_b128 v[75:78], v8 offset:112
	ds_load_2addr_b64 v[79:82], v20 offset0:192 offset1:224
	ds_load_2addr_b64 v[83:86], v21 offset1:32
	ds_load_b128 v[87:90], v8 offset:128
	ds_load_b128 v[91:94], v8 offset:144
	ds_load_2addr_b64 v[95:98], v21 offset0:64 offset1:96
	ds_load_2addr_b64 v[99:102], v21 offset0:128 offset1:160
	ds_load_b128 v[103:106], v8 offset:160
	ds_load_b128 v[107:110], v8 offset:176
	ds_load_2addr_b64 v[111:114], v21 offset0:192 offset1:224
	ds_load_2addr_b64 v[115:118], v22 offset1:32
	ds_load_b128 v[119:122], v8 offset:192
	ds_load_b128 v[123:126], v8 offset:208
	ds_load_2addr_b64 v[127:130], v22 offset0:64 offset1:96
	ds_load_2addr_b64 v[131:134], v22 offset0:128 offset1:160
	s_waitcnt lgkmcnt(27)
	v_dual_mul_f32 v145, v3, v24 :: v_dual_mul_f32 v146, v5, v26
	v_mul_f32_e32 v24, v2, v24
	v_mul_f32_e32 v26, v4, v26
	s_waitcnt lgkmcnt(22)
	v_mul_f32_e32 v147, v44, v32
	v_fma_f32 v145, v2, v23, -v145
	v_mul_f32_e32 v32, v43, v32
	v_fmac_f32_e32 v24, v3, v23
	v_fma_f32 v23, v4, v25, -v146
	v_dual_fmac_f32 v26, v5, v25 :: v_dual_mul_f32 v25, v40, v28
	v_mul_f32_e32 v28, v39, v28
	v_mul_f32_e32 v146, v42, v30
	;; [unrolled: 1-line block ×3, first 2 shown]
	v_fma_f32 v43, v43, v31, -v147
	v_fma_f32 v25, v39, v27, -v25
	s_waitcnt lgkmcnt(21)
	v_dual_mul_f32 v39, v50, v38 :: v_dual_fmac_f32 v28, v40, v27
	v_fma_f32 v27, v41, v29, -v146
	s_waitcnt lgkmcnt(19)
	v_mul_f32_e32 v40, v52, v56
	v_dual_mul_f32 v41, v51, v56 :: v_dual_add_f32 v56, 0, v145
	v_mul_f32_e32 v148, v46, v34
	v_dual_fmac_f32 v30, v42, v29 :: v_dual_mul_f32 v29, v45, v34
	v_fmac_f32_e32 v32, v44, v31
	s_delay_alu instid0(VALU_DEP_4) | instskip(NEXT) | instid1(VALU_DEP_4)
	v_add_f32_e32 v23, v56, v23
	v_fma_f32 v31, v45, v33, -v148
	s_delay_alu instid0(VALU_DEP_4) | instskip(SKIP_1) | instid1(VALU_DEP_4)
	v_dual_mul_f32 v38, v49, v38 :: v_dual_fmac_f32 v29, v46, v33
	v_mul_f32_e32 v33, v53, v58
	v_dual_add_f32 v23, v23, v25 :: v_dual_mul_f32 v34, v48, v36
	v_mul_f32_e32 v36, v47, v36
	s_waitcnt lgkmcnt(13)
	v_mul_f32_e32 v25, v79, v76
	v_fmac_f32_e32 v33, v54, v57
	v_dual_add_f32 v23, v23, v27 :: v_dual_mul_f32 v42, v54, v58
	v_fma_f32 v34, v47, v35, -v34
	s_waitcnt lgkmcnt(11)
	v_dual_mul_f32 v27, v84, v88 :: v_dual_fmac_f32 v38, v50, v37
	s_delay_alu instid0(VALU_DEP_3) | instskip(SKIP_3) | instid1(VALU_DEP_3)
	v_dual_add_f32 v23, v23, v43 :: v_dual_add_f32 v24, 0, v24
	s_waitcnt lgkmcnt(9)
	v_dual_mul_f32 v43, v95, v92 :: v_dual_mul_f32 v58, v65, v62
	v_fmac_f32_e32 v41, v52, v55
	v_dual_add_f32 v23, v23, v31 :: v_dual_add_f32 v24, v24, v26
	v_mul_f32_e32 v26, v68, v72
	v_fma_f32 v27, v83, v87, -v27
	v_dual_mul_f32 v44, v64, v60 :: v_dual_mul_f32 v47, v98, v94
	s_delay_alu instid0(VALU_DEP_4) | instskip(NEXT) | instid1(VALU_DEP_4)
	v_add_f32_e32 v23, v23, v34
	v_fma_f32 v26, v67, v71, -v26
	v_fmac_f32_e32 v36, v48, v35
	v_fma_f32 v35, v49, v37, -v39
	v_mul_f32_e32 v56, v70, v74
	v_mul_f32_e32 v39, v85, v90
	v_dual_mul_f32 v45, v63, v60 :: v_dual_mul_f32 v46, v66, v62
	s_delay_alu instid0(VALU_DEP_4) | instskip(NEXT) | instid1(VALU_DEP_2)
	v_dual_add_f32 v23, v23, v35 :: v_dual_add_f32 v24, v24, v28
	v_dual_mul_f32 v28, v69, v74 :: v_dual_fmac_f32 v45, v64, v59
	s_delay_alu instid0(VALU_DEP_4)
	v_dual_fmac_f32 v39, v86, v89 :: v_dual_mul_f32 v60, v67, v72
	s_waitcnt lgkmcnt(7)
	v_mul_f32_e32 v35, v102, v106
	v_add_f32_e32 v24, v24, v30
	v_fmac_f32_e32 v58, v66, v61
	v_mul_f32_e32 v62, v80, v76
	v_fmac_f32_e32 v28, v70, v73
	v_fma_f32 v35, v101, v105, -v35
	v_add_f32_e32 v24, v24, v32
	v_dual_mul_f32 v72, v81, v78 :: v_dual_fmac_f32 v25, v80, v75
	ds_load_b128 v[135:138], v8 offset:224
	ds_load_b128 v[139:142], v8 offset:240
	v_mul_f32_e32 v32, v83, v88
	v_add_f32_e32 v24, v24, v29
	v_dual_mul_f32 v29, v96, v92 :: v_dual_fmac_f32 v72, v82, v77
	v_mul_f32_e32 v37, v86, v90
	s_delay_alu instid0(VALU_DEP_3) | instskip(NEXT) | instid1(VALU_DEP_3)
	v_dual_mul_f32 v31, v97, v94 :: v_dual_add_f32 v24, v24, v36
	v_fma_f32 v29, v95, v91, -v29
	v_fmac_f32_e32 v60, v68, v71
	v_dual_mul_f32 v34, v99, v104 :: v_dual_fmac_f32 v43, v96, v91
	s_delay_alu instid0(VALU_DEP_4) | instskip(SKIP_4) | instid1(VALU_DEP_4)
	v_add_f32_e32 v24, v24, v38
	v_fma_f32 v38, v51, v55, -v40
	v_fma_f32 v40, v53, v57, -v42
	;; [unrolled: 1-line block ×3, first 2 shown]
	v_fmac_f32_e32 v31, v98, v93
	v_dual_add_f32 v24, v24, v41 :: v_dual_add_f32 v23, v23, v38
	v_fma_f32 v38, v63, v59, -v44
	v_fma_f32 v41, v65, v61, -v46
	ds_load_2addr_b64 v[2:5], v22 offset0:192 offset1:224
	v_dual_add_f32 v24, v24, v33 :: v_dual_add_f32 v23, v23, v40
	s_waitcnt lgkmcnt(8)
	v_dual_mul_f32 v33, v101, v106 :: v_dual_mul_f32 v40, v112, v108
	v_fmac_f32_e32 v34, v100, v103
	s_delay_alu instid0(VALU_DEP_3) | instskip(SKIP_1) | instid1(VALU_DEP_4)
	v_dual_add_f32 v24, v24, v45 :: v_dual_add_f32 v23, v23, v38
	v_mul_f32_e32 v30, v82, v78
	v_dual_fmac_f32 v33, v102, v105 :: v_dual_mul_f32 v38, v111, v108
	s_delay_alu instid0(VALU_DEP_3) | instskip(NEXT) | instid1(VALU_DEP_3)
	v_dual_add_f32 v24, v24, v58 :: v_dual_add_f32 v23, v23, v41
	v_fma_f32 v30, v81, v77, -v30
	v_dual_mul_f32 v41, v114, v110 :: v_dual_fmac_f32 v32, v84, v87
	s_delay_alu instid0(VALU_DEP_3) | instskip(SKIP_1) | instid1(VALU_DEP_2)
	v_dual_add_f32 v24, v24, v60 :: v_dual_add_f32 v23, v23, v26
	v_mul_f32_e32 v26, v113, v110
	v_add_f32_e32 v24, v24, v28
	v_fma_f32 v28, v79, v75, -v62
	s_delay_alu instid0(VALU_DEP_2) | instskip(SKIP_2) | instid1(VALU_DEP_2)
	v_dual_add_f32 v23, v23, v42 :: v_dual_add_f32 v24, v24, v25
	s_waitcnt lgkmcnt(6)
	v_mul_f32_e32 v25, v116, v120
	v_add_f32_e32 v23, v23, v28
	v_mul_f32_e32 v36, v100, v104
	s_delay_alu instid0(VALU_DEP_3) | instskip(NEXT) | instid1(VALU_DEP_3)
	v_fma_f32 v25, v115, v119, -v25
	v_add_f32_e32 v23, v23, v30
	s_delay_alu instid0(VALU_DEP_1) | instskip(SKIP_1) | instid1(VALU_DEP_1)
	v_dual_mul_f32 v30, v118, v122 :: v_dual_add_f32 v23, v23, v27
	v_dual_mul_f32 v27, v117, v122 :: v_dual_add_f32 v24, v24, v72
	v_dual_fmac_f32 v27, v118, v121 :: v_dual_add_f32 v24, v24, v32
	v_fma_f32 v32, v85, v89, -v37
	v_fma_f32 v37, v97, v93, -v47
	s_delay_alu instid0(VALU_DEP_2) | instskip(NEXT) | instid1(VALU_DEP_1)
	v_dual_add_f32 v24, v24, v39 :: v_dual_add_f32 v23, v23, v32
	v_dual_add_f32 v24, v24, v43 :: v_dual_add_f32 v23, v23, v29
	s_waitcnt lgkmcnt(4)
	v_mul_f32_e32 v29, v127, v124
	v_mul_f32_e32 v28, v115, v120
	s_delay_alu instid0(VALU_DEP_3)
	v_add_f32_e32 v24, v24, v31
	v_fma_f32 v31, v99, v103, -v36
	v_add_f32_e32 v23, v23, v37
	v_fmac_f32_e32 v29, v128, v123
	v_fmac_f32_e32 v28, v116, v119
	v_add_f32_e32 v24, v24, v34
	v_fma_f32 v36, v113, v109, -v41
	v_add_f32_e32 v23, v23, v31
	v_dual_mul_f32 v31, v129, v126 :: v_dual_fmac_f32 v38, v112, v107
	s_delay_alu instid0(VALU_DEP_4) | instskip(SKIP_1) | instid1(VALU_DEP_4)
	v_add_f32_e32 v24, v24, v33
	v_fma_f32 v33, v111, v107, -v40
	v_add_f32_e32 v23, v23, v35
	s_waitcnt lgkmcnt(2)
	v_dual_mul_f32 v35, v132, v136 :: v_dual_fmac_f32 v26, v114, v109
	v_dual_add_f32 v24, v24, v38 :: v_dual_fmac_f32 v31, v130, v125
	s_delay_alu instid0(VALU_DEP_1) | instskip(NEXT) | instid1(VALU_DEP_1)
	v_dual_add_f32 v23, v23, v33 :: v_dual_add_f32 v24, v24, v26
	v_add_f32_e32 v23, v23, v36
	s_delay_alu instid0(VALU_DEP_2) | instskip(NEXT) | instid1(VALU_DEP_2)
	v_add_f32_e32 v24, v24, v28
	v_dual_mul_f32 v28, v134, v138 :: v_dual_add_f32 v23, v23, v25
	s_delay_alu instid0(VALU_DEP_2) | instskip(NEXT) | instid1(VALU_DEP_2)
	v_dual_mul_f32 v25, v133, v138 :: v_dual_add_f32 v24, v24, v27
	v_fma_f32 v28, v133, v137, -v28
	s_delay_alu instid0(VALU_DEP_2) | instskip(SKIP_1) | instid1(VALU_DEP_3)
	v_dual_fmac_f32 v25, v134, v137 :: v_dual_mul_f32 v26, v131, v136
	s_waitcnt lgkmcnt(0)
	v_dual_add_f32 v24, v24, v29 :: v_dual_mul_f32 v29, v3, v140
	v_fma_f32 v30, v117, v121, -v30
	s_delay_alu instid0(VALU_DEP_3) | instskip(NEXT) | instid1(VALU_DEP_3)
	v_fmac_f32_e32 v26, v132, v135
	v_add_f32_e32 v24, v24, v31
	v_fma_f32 v31, v131, v135, -v35
	s_delay_alu instid0(VALU_DEP_4) | instskip(SKIP_1) | instid1(VALU_DEP_4)
	v_dual_add_f32 v23, v23, v30 :: v_dual_mul_f32 v32, v128, v124
	v_mul_f32_e32 v34, v130, v126
	v_add_f32_e32 v24, v24, v26
	v_mul_f32_e32 v26, v4, v142
	s_delay_alu instid0(VALU_DEP_4) | instskip(NEXT) | instid1(VALU_DEP_4)
	v_fma_f32 v27, v127, v123, -v32
	v_fma_f32 v30, v129, v125, -v34
	s_delay_alu instid0(VALU_DEP_2) | instskip(SKIP_2) | instid1(VALU_DEP_3)
	v_dual_fmac_f32 v26, v5, v141 :: v_dual_add_f32 v23, v23, v27
	v_mul_f32_e32 v27, v2, v140
	v_fma_f32 v2, v2, v139, -v29
	v_add_f32_e32 v23, v23, v30
	s_delay_alu instid0(VALU_DEP_3) | instskip(NEXT) | instid1(VALU_DEP_2)
	v_fmac_f32_e32 v27, v3, v139
	v_add_f32_e32 v3, v23, v31
	v_dual_add_f32 v23, v24, v25 :: v_dual_mul_f32 v24, v5, v142
	s_delay_alu instid0(VALU_DEP_2) | instskip(NEXT) | instid1(VALU_DEP_2)
	v_add_f32_e32 v3, v3, v28
	v_add_f32_e32 v5, v23, v27
	s_delay_alu instid0(VALU_DEP_3) | instskip(NEXT) | instid1(VALU_DEP_3)
	v_fma_f32 v4, v4, v141, -v24
	v_add_f32_e32 v2, v3, v2
	s_delay_alu instid0(VALU_DEP_1) | instskip(NEXT) | instid1(VALU_DEP_1)
	v_dual_add_f32 v3, v5, v26 :: v_dual_add_f32 v2, v2, v4
	v_mul_f32_e32 v4, s21, v3
	v_mul_f32_e32 v3, s20, v3
	s_delay_alu instid0(VALU_DEP_2) | instskip(SKIP_1) | instid1(VALU_DEP_1)
	v_fma_f32 v4, s20, v2, -v4
	s_waitcnt vmcnt(0)
	v_dual_fmac_f32 v3, s21, v2 :: v_dual_add_f32 v2, v143, v4
	s_delay_alu instid0(VALU_DEP_1)
	v_add_f32_e32 v3, v144, v3
	global_store_b64 v[0:1], v[2:3], off
.LBB1889_11:                            ;   in Loop: Header=BB1889_5 Depth=1
	s_or_b32 exec_lo, exec_lo, s9
	v_dual_mov_b32 v3, 0 :: v_dual_mov_b32 v4, 0
	v_mov_b32_e32 v5, 0
	s_waitcnt_vscnt null, 0x0
	s_barrier
	buffer_gl0_inv
	s_and_saveexec_b32 s9, s7
	s_cbranch_execz .LBB1889_13
; %bb.12:                               ;   in Loop: Header=BB1889_5 Depth=1
	v_add_co_u32 v4, vcc_lo, v14, s2
	v_add_co_ci_u32_e32 v5, vcc_lo, s3, v15, vcc_lo
	global_load_b64 v[4:5], v[4:5], off
	s_waitcnt vmcnt(0)
	v_xor_b32_e32 v5, 0x80000000, v5
.LBB1889_13:                            ;   in Loop: Header=BB1889_5 Depth=1
	s_or_b32 exec_lo, exec_lo, s9
	v_mov_b32_e32 v2, 0
	ds_store_b64 v10, v[4:5]
	s_and_saveexec_b32 s7, s8
	s_cbranch_execz .LBB1889_15
; %bb.14:                               ;   in Loop: Header=BB1889_5 Depth=1
	v_add_co_u32 v2, vcc_lo, v16, s2
	v_add_co_ci_u32_e32 v3, vcc_lo, s3, v17, vcc_lo
	global_load_b64 v[2:3], v[2:3], off offset:-4
.LBB1889_15:                            ;   in Loop: Header=BB1889_5 Depth=1
	s_or_b32 exec_lo, exec_lo, s7
	s_waitcnt vmcnt(0)
	ds_store_b64 v11, v[2:3]
	s_waitcnt lgkmcnt(0)
	s_barrier
	buffer_gl0_inv
	s_and_saveexec_b32 s7, s6
	s_cbranch_execz .LBB1889_4
; %bb.16:                               ;   in Loop: Header=BB1889_5 Depth=1
	global_load_b64 v[147:148], v[0:1], off
	ds_load_b128 v[2:5], v8
	ds_load_b128 v[23:26], v8 offset:16
	ds_load_2addr_b64 v[27:30], v9 offset1:32
	ds_load_b128 v[31:34], v8 offset:32
	ds_load_b128 v[35:38], v8 offset:48
	ds_load_2addr_b64 v[39:42], v9 offset0:64 offset1:96
	ds_load_2addr_b64 v[43:46], v9 offset0:128 offset1:160
	;; [unrolled: 1-line block ×3, first 2 shown]
	ds_load_2addr_b64 v[51:54], v20 offset1:32
	ds_load_b128 v[55:58], v8 offset:64
	ds_load_b128 v[59:62], v8 offset:80
	ds_load_2addr_b64 v[63:66], v20 offset0:64 offset1:96
	ds_load_2addr_b64 v[67:70], v20 offset0:128 offset1:160
	ds_load_b128 v[71:74], v8 offset:96
	ds_load_b128 v[75:78], v8 offset:112
	ds_load_2addr_b64 v[79:82], v20 offset0:192 offset1:224
	ds_load_2addr_b64 v[83:86], v21 offset1:32
	ds_load_b128 v[87:90], v8 offset:128
	ds_load_b128 v[91:94], v8 offset:144
	ds_load_2addr_b64 v[95:98], v21 offset0:64 offset1:96
	ds_load_2addr_b64 v[99:102], v21 offset0:128 offset1:160
	ds_load_b128 v[103:106], v8 offset:160
	ds_load_b128 v[107:110], v8 offset:176
	ds_load_2addr_b64 v[111:114], v21 offset0:192 offset1:224
	;; [unrolled: 8-line block ×3, first 2 shown]
	s_waitcnt lgkmcnt(29)
	v_dual_mul_f32 v149, v28, v3 :: v_dual_mul_f32 v150, v30, v5
	s_waitcnt lgkmcnt(26)
	v_dual_mul_f32 v3, v27, v3 :: v_dual_mul_f32 v152, v42, v26
	v_mul_f32_e32 v5, v29, v5
	s_waitcnt lgkmcnt(25)
	v_dual_mul_f32 v153, v44, v32 :: v_dual_mul_f32 v154, v46, v34
	s_delay_alu instid0(VALU_DEP_3)
	v_dual_mul_f32 v32, v43, v32 :: v_dual_fmac_f32 v3, v28, v2
	v_fma_f32 v27, v27, v2, -v149
	v_dual_mul_f32 v151, v40, v24 :: v_dual_mul_f32 v26, v41, v26
	v_mul_f32_e32 v24, v39, v24
	s_waitcnt lgkmcnt(24)
	v_dual_mul_f32 v34, v45, v34 :: v_dual_mul_f32 v155, v48, v36
	v_dual_mul_f32 v36, v47, v36 :: v_dual_add_f32 v27, 0, v27
	s_waitcnt lgkmcnt(22)
	v_dual_mul_f32 v156, v50, v38 :: v_dual_mul_f32 v157, v52, v56
	v_dual_mul_f32 v56, v51, v56 :: v_dual_add_f32 v3, 0, v3
	s_waitcnt lgkmcnt(18)
	v_dual_mul_f32 v158, v54, v58 :: v_dual_mul_f32 v161, v68, v72
	v_dual_mul_f32 v58, v53, v58 :: v_dual_fmac_f32 v5, v30, v4
	v_fma_f32 v2, v29, v4, -v150
	v_dual_mul_f32 v38, v49, v38 :: v_dual_mul_f32 v159, v64, v60
	v_mul_f32_e32 v60, v63, v60
	s_waitcnt lgkmcnt(16)
	v_dual_mul_f32 v160, v66, v62 :: v_dual_mul_f32 v29, v79, v76
	v_dual_mul_f32 v62, v65, v62 :: v_dual_add_f32 v3, v3, v5
	v_add_f32_e32 v2, v27, v2
	s_waitcnt lgkmcnt(14)
	v_mul_f32_e32 v27, v85, v90
	v_fmac_f32_e32 v29, v80, v75
	v_fmac_f32_e32 v24, v40, v23
	v_mul_f32_e32 v4, v69, v74
	s_delay_alu instid0(VALU_DEP_4) | instskip(NEXT) | instid1(VALU_DEP_3)
	v_dual_fmac_f32 v56, v52, v55 :: v_dual_fmac_f32 v27, v86, v89
	v_dual_fmac_f32 v26, v42, v25 :: v_dual_add_f32 v3, v3, v24
	v_mul_f32_e32 v28, v80, v76
	v_fmac_f32_e32 v60, v64, v59
	v_fmac_f32_e32 v32, v44, v31
	s_waitcnt lgkmcnt(12)
	v_dual_mul_f32 v162, v70, v74 :: v_dual_mul_f32 v5, v96, v92
	v_add_f32_e32 v3, v3, v26
	v_mul_f32_e32 v74, v81, v78
	v_fmac_f32_e32 v62, v66, v61
	v_fmac_f32_e32 v34, v46, v33
	s_delay_alu instid0(VALU_DEP_4)
	v_dual_fmac_f32 v4, v70, v73 :: v_dual_add_f32 v3, v3, v32
	v_mul_f32_e32 v76, v84, v88
	v_fmac_f32_e32 v36, v48, v35
	v_mul_f32_e32 v30, v82, v78
	v_mul_f32_e32 v78, v83, v88
	v_add_f32_e32 v3, v3, v34
	v_mul_f32_e32 v88, v86, v90
	v_fma_f32 v39, v39, v23, -v151
	v_fmac_f32_e32 v38, v50, v37
	v_fma_f32 v23, v41, v25, -v152
	v_dual_add_f32 v3, v3, v36 :: v_dual_fmac_f32 v58, v54, v57
	s_delay_alu instid0(VALU_DEP_4) | instskip(SKIP_2) | instid1(VALU_DEP_4)
	v_add_f32_e32 v2, v2, v39
	v_mul_f32_e32 v72, v67, v72
	v_fma_f32 v25, v43, v31, -v153
	v_add_f32_e32 v3, v3, v38
	v_fma_f32 v24, v45, v33, -v154
	v_fma_f32 v26, v47, v35, -v155
	;; [unrolled: 1-line block ×3, first 2 shown]
	s_delay_alu instid0(VALU_DEP_4) | instskip(SKIP_4) | instid1(VALU_DEP_4)
	v_dual_fmac_f32 v74, v82, v77 :: v_dual_add_f32 v3, v3, v56
	v_add_f32_e32 v2, v2, v23
	v_fma_f32 v32, v51, v55, -v157
	v_mul_f32_e32 v23, v95, v92
	v_fma_f32 v33, v53, v57, -v158
	v_dual_add_f32 v3, v3, v58 :: v_dual_add_f32 v2, v2, v25
	v_dual_mul_f32 v25, v98, v94 :: v_dual_fmac_f32 v72, v68, v71
	v_fma_f32 v34, v63, v59, -v159
	s_delay_alu instid0(VALU_DEP_3) | instskip(NEXT) | instid1(VALU_DEP_4)
	v_add_f32_e32 v3, v3, v60
	v_add_f32_e32 v2, v2, v24
	v_fma_f32 v35, v65, v61, -v160
	v_fma_f32 v36, v67, v71, -v161
	;; [unrolled: 1-line block ×3, first 2 shown]
	v_add_f32_e32 v3, v3, v62
	v_dual_mul_f32 v24, v97, v94 :: v_dual_fmac_f32 v23, v96, v91
	v_fma_f32 v28, v79, v75, -v28
	v_fma_f32 v30, v81, v77, -v30
	s_delay_alu instid0(VALU_DEP_3) | instskip(SKIP_2) | instid1(VALU_DEP_3)
	v_dual_add_f32 v3, v3, v72 :: v_dual_fmac_f32 v24, v98, v93
	v_fma_f32 v5, v95, v91, -v5
	v_fma_f32 v25, v97, v93, -v25
	v_dual_add_f32 v3, v3, v4 :: v_dual_add_f32 v2, v2, v26
	s_waitcnt lgkmcnt(10)
	s_delay_alu instid0(VALU_DEP_1) | instskip(SKIP_2) | instid1(VALU_DEP_2)
	v_dual_add_f32 v3, v3, v29 :: v_dual_mul_f32 v26, v100, v104
	s_waitcnt lgkmcnt(6)
	v_mul_f32_e32 v29, v115, v120
	v_dual_add_f32 v3, v3, v74 :: v_dual_add_f32 v2, v2, v31
	v_mul_f32_e32 v31, v99, v104
	v_fma_f32 v26, v99, v103, -v26
	s_delay_alu instid0(VALU_DEP_3) | instskip(NEXT) | instid1(VALU_DEP_1)
	v_dual_fmac_f32 v29, v116, v119 :: v_dual_add_f32 v2, v2, v32
	v_dual_fmac_f32 v31, v100, v103 :: v_dual_add_f32 v2, v2, v33
	v_dual_mul_f32 v33, v101, v106 :: v_dual_fmac_f32 v78, v84, v87
	s_delay_alu instid0(VALU_DEP_1) | instskip(NEXT) | instid1(VALU_DEP_2)
	v_fmac_f32_e32 v33, v102, v105
	v_add_f32_e32 v3, v3, v78
	s_delay_alu instid0(VALU_DEP_1) | instskip(NEXT) | instid1(VALU_DEP_1)
	v_dual_mul_f32 v32, v102, v106 :: v_dual_add_f32 v3, v3, v27
	v_dual_add_f32 v3, v3, v23 :: v_dual_add_f32 v2, v2, v34
	v_mul_f32_e32 v34, v112, v108
	s_waitcnt lgkmcnt(4)
	v_mul_f32_e32 v23, v127, v124
	s_delay_alu instid0(VALU_DEP_3) | instskip(SKIP_1) | instid1(VALU_DEP_3)
	v_dual_add_f32 v3, v3, v24 :: v_dual_add_f32 v2, v2, v35
	v_mul_f32_e32 v35, v111, v108
	v_fmac_f32_e32 v23, v128, v123
	s_delay_alu instid0(VALU_DEP_3) | instskip(NEXT) | instid1(VALU_DEP_3)
	v_dual_add_f32 v3, v3, v31 :: v_dual_add_f32 v2, v2, v36
	v_dual_mul_f32 v36, v114, v110 :: v_dual_fmac_f32 v35, v112, v107
	s_delay_alu instid0(VALU_DEP_2) | instskip(NEXT) | instid1(VALU_DEP_3)
	v_add_f32_e32 v3, v3, v33
	v_dual_add_f32 v2, v2, v37 :: v_dual_mul_f32 v37, v113, v110
	v_mul_f32_e32 v4, v116, v120
	s_delay_alu instid0(VALU_DEP_4) | instskip(NEXT) | instid1(VALU_DEP_3)
	v_fma_f32 v27, v113, v109, -v36
	v_dual_add_f32 v3, v3, v35 :: v_dual_add_f32 v2, v2, v28
	s_delay_alu instid0(VALU_DEP_4) | instskip(SKIP_2) | instid1(VALU_DEP_3)
	v_fmac_f32_e32 v37, v114, v109
	v_fma_f32 v28, v83, v87, -v76
	v_fma_f32 v4, v115, v119, -v4
	v_dual_add_f32 v2, v2, v30 :: v_dual_add_f32 v3, v3, v37
	v_fma_f32 v30, v85, v89, -v88
	s_delay_alu instid0(VALU_DEP_2) | instskip(SKIP_1) | instid1(VALU_DEP_2)
	v_dual_add_f32 v3, v3, v29 :: v_dual_add_f32 v2, v2, v28
	v_mul_f32_e32 v28, v118, v122
	v_add_f32_e32 v2, v2, v30
	v_mul_f32_e32 v30, v117, v122
	s_delay_alu instid0(VALU_DEP_3) | instskip(NEXT) | instid1(VALU_DEP_2)
	v_fma_f32 v28, v117, v121, -v28
	v_fmac_f32_e32 v30, v118, v121
	s_delay_alu instid0(VALU_DEP_1) | instskip(NEXT) | instid1(VALU_DEP_1)
	v_add_f32_e32 v3, v3, v30
	v_dual_add_f32 v3, v3, v23 :: v_dual_add_f32 v2, v2, v5
	s_waitcnt lgkmcnt(0)
	v_dual_mul_f32 v23, v143, v140 :: v_dual_mul_f32 v24, v130, v126
	s_delay_alu instid0(VALU_DEP_2) | instskip(SKIP_1) | instid1(VALU_DEP_3)
	v_dual_mul_f32 v5, v128, v124 :: v_dual_add_f32 v2, v2, v25
	v_fma_f32 v25, v101, v105, -v32
	v_fmac_f32_e32 v23, v144, v139
	s_delay_alu instid0(VALU_DEP_3) | instskip(SKIP_3) | instid1(VALU_DEP_2)
	v_fma_f32 v5, v127, v123, -v5
	v_fma_f32 v24, v129, v125, -v24
	v_add_f32_e32 v2, v2, v26
	v_fma_f32 v26, v111, v107, -v34
	v_dual_add_f32 v2, v2, v25 :: v_dual_mul_f32 v25, v129, v126
	s_delay_alu instid0(VALU_DEP_1) | instskip(NEXT) | instid1(VALU_DEP_2)
	v_add_f32_e32 v2, v2, v26
	v_dual_mul_f32 v26, v132, v136 :: v_dual_fmac_f32 v25, v130, v125
	s_delay_alu instid0(VALU_DEP_2) | instskip(NEXT) | instid1(VALU_DEP_2)
	v_dual_add_f32 v2, v2, v27 :: v_dual_mul_f32 v27, v131, v136
	v_fma_f32 v26, v131, v135, -v26
	s_delay_alu instid0(VALU_DEP_2) | instskip(NEXT) | instid1(VALU_DEP_3)
	v_dual_add_f32 v3, v3, v25 :: v_dual_add_f32 v2, v2, v4
	v_dual_mul_f32 v4, v134, v138 :: v_dual_fmac_f32 v27, v132, v135
	s_delay_alu instid0(VALU_DEP_2) | instskip(SKIP_1) | instid1(VALU_DEP_3)
	v_add_f32_e32 v2, v2, v28
	v_mul_f32_e32 v28, v133, v138
	v_fma_f32 v4, v133, v137, -v4
	s_delay_alu instid0(VALU_DEP_3) | instskip(NEXT) | instid1(VALU_DEP_3)
	v_dual_add_f32 v3, v3, v27 :: v_dual_add_f32 v2, v2, v5
	v_dual_mul_f32 v5, v144, v140 :: v_dual_fmac_f32 v28, v134, v137
	s_delay_alu instid0(VALU_DEP_2) | instskip(SKIP_1) | instid1(VALU_DEP_3)
	v_add_f32_e32 v2, v2, v24
	v_mul_f32_e32 v24, v146, v142
	v_fma_f32 v5, v143, v139, -v5
	s_delay_alu instid0(VALU_DEP_3) | instskip(NEXT) | instid1(VALU_DEP_3)
	v_dual_add_f32 v3, v3, v28 :: v_dual_add_f32 v2, v2, v26
	v_fma_f32 v24, v145, v141, -v24
	s_delay_alu instid0(VALU_DEP_2) | instskip(SKIP_1) | instid1(VALU_DEP_2)
	v_dual_add_f32 v3, v3, v23 :: v_dual_add_f32 v2, v2, v4
	v_mul_f32_e32 v4, v145, v142
	v_add_f32_e32 v2, v2, v5
	s_delay_alu instid0(VALU_DEP_2) | instskip(NEXT) | instid1(VALU_DEP_2)
	v_fmac_f32_e32 v4, v146, v141
	v_add_f32_e32 v2, v2, v24
	s_delay_alu instid0(VALU_DEP_1) | instskip(SKIP_1) | instid1(VALU_DEP_2)
	v_dual_add_f32 v3, v3, v4 :: v_dual_mul_f32 v4, s20, v2
	v_mul_f32_e32 v2, s21, v2
	v_fmac_f32_e32 v4, s21, v3
	s_delay_alu instid0(VALU_DEP_2) | instskip(SKIP_1) | instid1(VALU_DEP_1)
	v_fma_f32 v3, s20, v3, -v2
	s_waitcnt vmcnt(0)
	v_dual_add_f32 v3, v148, v3 :: v_dual_add_f32 v2, v147, v4
	global_store_b64 v[0:1], v[2:3], off
	s_branch .LBB1889_4
.LBB1889_17:
	s_endpgm
	.section	.rodata,"a",@progbits
	.p2align	6, 0x0
	.amdhsa_kernel _ZL26rocblas_syr2k_her2k_kernelIlLb1ELb1ELb1ELi32E19rocblas_complex_numIfEPKPKS1_PKPS1_EvbiT_T4_T5_S9_lSB_S9_lT6_S9_li
		.amdhsa_group_segment_fixed_size 16384
		.amdhsa_private_segment_fixed_size 0
		.amdhsa_kernarg_size 100
		.amdhsa_user_sgpr_count 13
		.amdhsa_user_sgpr_dispatch_ptr 0
		.amdhsa_user_sgpr_queue_ptr 0
		.amdhsa_user_sgpr_kernarg_segment_ptr 1
		.amdhsa_user_sgpr_dispatch_id 0
		.amdhsa_user_sgpr_private_segment_size 0
		.amdhsa_wavefront_size32 1
		.amdhsa_uses_dynamic_stack 0
		.amdhsa_enable_private_segment 0
		.amdhsa_system_sgpr_workgroup_id_x 1
		.amdhsa_system_sgpr_workgroup_id_y 1
		.amdhsa_system_sgpr_workgroup_id_z 1
		.amdhsa_system_sgpr_workgroup_info 0
		.amdhsa_system_vgpr_workitem_id 1
		.amdhsa_next_free_vgpr 163
		.amdhsa_next_free_sgpr 30
		.amdhsa_reserve_vcc 1
		.amdhsa_float_round_mode_32 0
		.amdhsa_float_round_mode_16_64 0
		.amdhsa_float_denorm_mode_32 3
		.amdhsa_float_denorm_mode_16_64 3
		.amdhsa_dx10_clamp 1
		.amdhsa_ieee_mode 1
		.amdhsa_fp16_overflow 0
		.amdhsa_workgroup_processor_mode 1
		.amdhsa_memory_ordered 1
		.amdhsa_forward_progress 0
		.amdhsa_shared_vgpr_count 0
		.amdhsa_exception_fp_ieee_invalid_op 0
		.amdhsa_exception_fp_denorm_src 0
		.amdhsa_exception_fp_ieee_div_zero 0
		.amdhsa_exception_fp_ieee_overflow 0
		.amdhsa_exception_fp_ieee_underflow 0
		.amdhsa_exception_fp_ieee_inexact 0
		.amdhsa_exception_int_div_zero 0
	.end_amdhsa_kernel
	.section	.text._ZL26rocblas_syr2k_her2k_kernelIlLb1ELb1ELb1ELi32E19rocblas_complex_numIfEPKPKS1_PKPS1_EvbiT_T4_T5_S9_lSB_S9_lT6_S9_li,"axG",@progbits,_ZL26rocblas_syr2k_her2k_kernelIlLb1ELb1ELb1ELi32E19rocblas_complex_numIfEPKPKS1_PKPS1_EvbiT_T4_T5_S9_lSB_S9_lT6_S9_li,comdat
.Lfunc_end1889:
	.size	_ZL26rocblas_syr2k_her2k_kernelIlLb1ELb1ELb1ELi32E19rocblas_complex_numIfEPKPKS1_PKPS1_EvbiT_T4_T5_S9_lSB_S9_lT6_S9_li, .Lfunc_end1889-_ZL26rocblas_syr2k_her2k_kernelIlLb1ELb1ELb1ELi32E19rocblas_complex_numIfEPKPKS1_PKPS1_EvbiT_T4_T5_S9_lSB_S9_lT6_S9_li
                                        ; -- End function
	.section	.AMDGPU.csdata,"",@progbits
; Kernel info:
; codeLenInByte = 4088
; NumSgprs: 32
; NumVgprs: 163
; ScratchSize: 0
; MemoryBound: 0
; FloatMode: 240
; IeeeMode: 1
; LDSByteSize: 16384 bytes/workgroup (compile time only)
; SGPRBlocks: 3
; VGPRBlocks: 20
; NumSGPRsForWavesPerEU: 32
; NumVGPRsForWavesPerEU: 163
; Occupancy: 9
; WaveLimiterHint : 1
; COMPUTE_PGM_RSRC2:SCRATCH_EN: 0
; COMPUTE_PGM_RSRC2:USER_SGPR: 13
; COMPUTE_PGM_RSRC2:TRAP_HANDLER: 0
; COMPUTE_PGM_RSRC2:TGID_X_EN: 1
; COMPUTE_PGM_RSRC2:TGID_Y_EN: 1
; COMPUTE_PGM_RSRC2:TGID_Z_EN: 1
; COMPUTE_PGM_RSRC2:TIDIG_COMP_CNT: 1
	.section	.text._ZL26rocblas_syr2k_her2k_kernelIlLb1ELb1ELb0ELi32EPK19rocblas_complex_numIfEPKS3_PKPS1_EvbiT_T4_T5_S9_lSB_S9_lT6_S9_li,"axG",@progbits,_ZL26rocblas_syr2k_her2k_kernelIlLb1ELb1ELb0ELi32EPK19rocblas_complex_numIfEPKS3_PKPS1_EvbiT_T4_T5_S9_lSB_S9_lT6_S9_li,comdat
	.globl	_ZL26rocblas_syr2k_her2k_kernelIlLb1ELb1ELb0ELi32EPK19rocblas_complex_numIfEPKS3_PKPS1_EvbiT_T4_T5_S9_lSB_S9_lT6_S9_li ; -- Begin function _ZL26rocblas_syr2k_her2k_kernelIlLb1ELb1ELb0ELi32EPK19rocblas_complex_numIfEPKS3_PKPS1_EvbiT_T4_T5_S9_lSB_S9_lT6_S9_li
	.p2align	8
	.type	_ZL26rocblas_syr2k_her2k_kernelIlLb1ELb1ELb0ELi32EPK19rocblas_complex_numIfEPKS3_PKPS1_EvbiT_T4_T5_S9_lSB_S9_lT6_S9_li,@function
_ZL26rocblas_syr2k_her2k_kernelIlLb1ELb1ELb0ELi32EPK19rocblas_complex_numIfEPKS3_PKPS1_EvbiT_T4_T5_S9_lSB_S9_lT6_S9_li: ; @_ZL26rocblas_syr2k_her2k_kernelIlLb1ELb1ELb0ELi32EPK19rocblas_complex_numIfEPKS3_PKPS1_EvbiT_T4_T5_S9_lSB_S9_lT6_S9_li
; %bb.0:
	s_load_b512 s[16:31], s[0:1], 0x8
	s_waitcnt lgkmcnt(0)
	s_load_b64 s[8:9], s[18:19], 0x0
	s_waitcnt lgkmcnt(0)
	v_cmp_eq_f32_e64 s2, s8, 0
	v_cmp_eq_f32_e64 s3, s9, 0
	s_delay_alu instid0(VALU_DEP_1) | instskip(NEXT) | instid1(SALU_CYCLE_1)
	s_and_b32 s2, s2, s3
	s_and_b32 vcc_lo, exec_lo, s2
	s_cbranch_vccnz .LBB1890_17
; %bb.1:
	s_load_b64 s[2:3], s[0:1], 0x0
	s_lshl_b32 s12, s14, 5
	s_lshl_b32 s13, s13, 5
	s_waitcnt lgkmcnt(0)
	s_and_b32 s2, 1, s2
	s_delay_alu instid0(SALU_CYCLE_1) | instskip(SKIP_1) | instid1(SALU_CYCLE_1)
	s_cmp_eq_u32 s2, 1
	s_cselect_b32 s2, -1, 0
	s_and_b32 s4, s2, exec_lo
	s_cselect_b32 s4, s13, s12
	s_cselect_b32 s5, s12, s13
	s_delay_alu instid0(SALU_CYCLE_1)
	s_cmp_gt_i32 s4, s5
	s_cbranch_scc1 .LBB1890_17
; %bb.2:
	v_cmp_lt_i64_e64 s4, s[16:17], 1
	s_delay_alu instid0(VALU_DEP_1)
	s_and_b32 vcc_lo, exec_lo, s4
	s_cbranch_vccnz .LBB1890_17
; %bb.3:
	s_clause 0x1
	s_load_b128 s[4:7], s[0:1], 0x48
	s_load_b64 s[0:1], s[0:1], 0x58
	s_mov_b32 s10, s15
	s_mov_b32 s11, 0
	v_bfe_u32 v6, v0, 10, 10
	v_and_b32_e32 v7, 0x3ff, v0
	s_lshl_b64 s[10:11], s[10:11], 3
	v_mov_b32_e32 v3, 0
	s_add_u32 s18, s20, s10
	v_add_nc_u32_e32 v4, s12, v6
	s_addc_u32 s19, s21, s11
	s_delay_alu instid0(VALU_DEP_2)
	v_dual_mov_b32 v5, v3 :: v_dual_add_nc_u32 v2, s13, v7
	s_add_u32 s12, s26, s10
	s_addc_u32 s13, s27, s11
	v_lshlrev_b32_e32 v0, 3, v6
	s_load_b64 s[12:13], s[12:13], 0x0
	v_lshlrev_b32_e32 v8, 8, v7
	v_max_i32_e32 v1, v2, v4
	v_ashrrev_i32_e32 v15, 31, v4
	s_waitcnt lgkmcnt(0)
	s_add_u32 s4, s4, s10
	s_addc_u32 s5, s5, s11
	v_or_b32_e32 v9, 0x2000, v0
	s_load_b64 s[4:5], s[4:5], 0x0
	v_add_nc_u32_e32 v10, v8, v0
	v_cmp_gt_i32_e32 vcc_lo, s3, v1
	v_mul_lo_u32 v15, v15, s6
	v_mul_lo_u32 v17, v4, s7
	v_mad_u64_u32 v[0:1], null, v4, s6, 0
	v_cndmask_b32_e64 v14, v2, v4, s2
	v_cndmask_b32_e64 v16, v4, v2, s2
	v_mad_u64_u32 v[12:13], null, s28, v7, 0
	s_lshl_b64 s[10:11], s[30:31], 3
	s_mov_b32 s14, s3
	s_delay_alu instid0(VALU_DEP_4) | instskip(SKIP_3) | instid1(VALU_DEP_4)
	v_add3_u32 v1, v1, v17, v15
	v_cmp_le_i32_e64 s2, v16, v14
	v_ashrrev_i32_e32 v14, 31, v2
	v_mad_u64_u32 v[15:16], null, s28, v6, 0
	v_lshlrev_b64 v[0:1], 3, v[0:1]
	s_add_u32 s10, s12, s10
	s_addc_u32 s11, s13, s11
	s_lshl_b64 s[0:1], s[0:1], 3
	v_mad_u64_u32 v[17:18], null, s29, v7, v[13:14]
	v_mov_b32_e32 v13, v2
	s_waitcnt lgkmcnt(0)
	s_add_u32 s4, s4, s0
	s_addc_u32 s5, s5, s1
	s_and_b32 s12, s2, vcc_lo
	v_add_co_u32 v22, vcc_lo, s4, v0
	v_add_co_ci_u32_e32 v23, vcc_lo, s5, v1, vcc_lo
	v_lshlrev_b64 v[0:1], 3, v[13:14]
	v_dual_mov_b32 v14, v16 :: v_dual_mov_b32 v13, v17
	v_mad_u64_u32 v[17:18], null, s22, v7, 0
	v_add_nc_u32_e32 v11, v9, v8
	s_delay_alu instid0(VALU_DEP_3)
	v_mad_u64_u32 v[19:20], null, s29, v6, v[14:15]
	v_mad_u64_u32 v[20:21], null, s22, v6, 0
	v_add_co_u32 v0, vcc_lo, v22, v0
	v_mov_b32_e32 v14, v18
	s_ashr_i32 s15, s3, 31
	v_add_co_ci_u32_e32 v1, vcc_lo, v23, v1, vcc_lo
	s_delay_alu instid0(VALU_DEP_4) | instskip(NEXT) | instid1(VALU_DEP_3)
	v_mov_b32_e32 v18, v21
	v_mad_u64_u32 v[21:22], null, s23, v7, v[14:15]
	s_load_b64 s[18:19], s[18:19], 0x0
	v_cmp_gt_i64_e64 s1, s[14:15], v[4:5]
	s_delay_alu instid0(VALU_DEP_3)
	v_mad_u64_u32 v[22:23], null, s23, v6, v[18:19]
	v_lshlrev_b64 v[12:13], 3, v[12:13]
	v_lshlrev_b64 v[4:5], 3, v[4:5]
	v_mov_b32_e32 v16, v19
	v_mov_b32_e32 v18, v21
	v_cmp_gt_i64_e64 s0, s[14:15], v[2:3]
	v_lshlrev_b64 v[2:3], 3, v[2:3]
	v_mov_b32_e32 v21, v22
	v_lshlrev_b64 v[14:15], 3, v[15:16]
	v_add_co_u32 v19, vcc_lo, v12, v4
	v_lshlrev_b64 v[16:17], 3, v[17:18]
	v_add_co_ci_u32_e32 v12, vcc_lo, v13, v5, vcc_lo
	s_delay_alu instid0(VALU_DEP_3)
	v_or_b32_e32 v13, 4, v19
	v_add_co_u32 v14, vcc_lo, v14, v2
	v_lshlrev_b64 v[18:19], 3, v[20:21]
	v_add_nc_u32_e32 v21, 0x1000, v9
	v_add_co_ci_u32_e32 v15, vcc_lo, v15, v3, vcc_lo
	v_add_co_u32 v16, vcc_lo, v16, v4
	v_add_co_ci_u32_e32 v17, vcc_lo, v17, v5, vcc_lo
	s_lshl_b64 s[4:5], s[24:25], 3
	v_add_co_u32 v18, vcc_lo, v18, v2
	s_lshl_b64 s[2:3], s[28:29], 8
	s_waitcnt lgkmcnt(0)
	s_add_u32 s4, s4, s18
	v_add_co_ci_u32_e32 v19, vcc_lo, v19, v3, vcc_lo
	v_add_nc_u32_e32 v20, 0x800, v9
	v_add_nc_u32_e32 v22, 0x1800, v9
	s_addc_u32 s5, s5, s19
	s_add_u32 s13, s4, 4
	s_addc_u32 s14, s5, 0
	s_lshl_b64 s[4:5], s[22:23], 8
	s_mov_b64 s[6:7], 0
	s_branch .LBB1890_5
.LBB1890_4:                             ;   in Loop: Header=BB1890_5 Depth=1
	s_or_b32 exec_lo, exec_lo, s15
	s_add_u32 s6, s6, 32
	s_addc_u32 s7, s7, 0
	s_add_u32 s10, s10, s2
	v_cmp_lt_i64_e64 s15, s[6:7], s[16:17]
	s_addc_u32 s11, s11, s3
	s_add_u32 s13, s13, s4
	s_addc_u32 s14, s14, s5
	s_waitcnt_vscnt null, 0x0
	s_barrier
	s_and_b32 vcc_lo, exec_lo, s15
	buffer_gl0_inv
	s_cbranch_vccz .LBB1890_17
.LBB1890_5:                             ; =>This Inner Loop Header: Depth=1
	v_add_co_u32 v2, s15, v6, s6
	s_delay_alu instid0(VALU_DEP_1) | instskip(NEXT) | instid1(VALU_DEP_1)
	v_add_co_ci_u32_e64 v3, null, 0, s7, s15
	v_cmp_gt_i64_e32 vcc_lo, s[16:17], v[2:3]
	v_dual_mov_b32 v2, 0 :: v_dual_mov_b32 v3, 0
	s_and_b32 s15, s0, vcc_lo
	s_delay_alu instid0(SALU_CYCLE_1)
	s_and_saveexec_b32 s18, s15
	s_cbranch_execz .LBB1890_7
; %bb.6:                                ;   in Loop: Header=BB1890_5 Depth=1
	v_add_co_u32 v2, vcc_lo, s13, v18
	v_add_co_ci_u32_e32 v3, vcc_lo, s14, v19, vcc_lo
	global_load_b64 v[2:3], v[2:3], off offset:-4
.LBB1890_7:                             ;   in Loop: Header=BB1890_5 Depth=1
	s_or_b32 exec_lo, exec_lo, s18
	v_add_co_u32 v4, s18, v7, s6
	s_delay_alu instid0(VALU_DEP_1)
	v_add_co_ci_u32_e64 v5, null, 0, s7, s18
	s_waitcnt vmcnt(0)
	ds_store_b64 v10, v[2:3]
	v_cmp_gt_i64_e32 vcc_lo, s[16:17], v[4:5]
	v_dual_mov_b32 v4, 0 :: v_dual_mov_b32 v5, 0
	s_and_b32 s18, s1, vcc_lo
	s_delay_alu instid0(SALU_CYCLE_1)
	s_and_saveexec_b32 s19, s18
	s_cbranch_execz .LBB1890_9
; %bb.8:                                ;   in Loop: Header=BB1890_5 Depth=1
	v_add_co_u32 v2, vcc_lo, s10, v13
	v_add_co_ci_u32_e32 v3, vcc_lo, s11, v12, vcc_lo
	global_load_b64 v[4:5], v[2:3], off offset:-4
	s_waitcnt vmcnt(0)
	v_xor_b32_e32 v5, 0x80000000, v5
.LBB1890_9:                             ;   in Loop: Header=BB1890_5 Depth=1
	s_or_b32 exec_lo, exec_lo, s19
	ds_store_b64 v11, v[4:5]
	s_waitcnt lgkmcnt(0)
	s_barrier
	buffer_gl0_inv
	s_and_saveexec_b32 s19, s12
	s_cbranch_execz .LBB1890_11
; %bb.10:                               ;   in Loop: Header=BB1890_5 Depth=1
	global_load_b64 v[143:144], v[0:1], off
	ds_load_2addr_b64 v[2:5], v9 offset1:32
	ds_load_b128 v[23:26], v8
	ds_load_b128 v[27:30], v8 offset:16
	ds_load_b128 v[31:34], v8 offset:32
	;; [unrolled: 1-line block ×3, first 2 shown]
	ds_load_2addr_b64 v[39:42], v9 offset0:64 offset1:96
	ds_load_2addr_b64 v[43:46], v9 offset0:128 offset1:160
	;; [unrolled: 1-line block ×3, first 2 shown]
	ds_load_2addr_b64 v[51:54], v20 offset1:32
	ds_load_b128 v[55:58], v8 offset:64
	ds_load_b128 v[59:62], v8 offset:80
	ds_load_2addr_b64 v[63:66], v20 offset0:64 offset1:96
	ds_load_2addr_b64 v[67:70], v20 offset0:128 offset1:160
	ds_load_b128 v[71:74], v8 offset:96
	ds_load_b128 v[75:78], v8 offset:112
	ds_load_2addr_b64 v[79:82], v20 offset0:192 offset1:224
	ds_load_2addr_b64 v[83:86], v21 offset1:32
	ds_load_b128 v[87:90], v8 offset:128
	ds_load_b128 v[91:94], v8 offset:144
	ds_load_2addr_b64 v[95:98], v21 offset0:64 offset1:96
	ds_load_2addr_b64 v[99:102], v21 offset0:128 offset1:160
	ds_load_b128 v[103:106], v8 offset:160
	ds_load_b128 v[107:110], v8 offset:176
	ds_load_2addr_b64 v[111:114], v21 offset0:192 offset1:224
	ds_load_2addr_b64 v[115:118], v22 offset1:32
	ds_load_b128 v[119:122], v8 offset:192
	ds_load_b128 v[123:126], v8 offset:208
	ds_load_2addr_b64 v[127:130], v22 offset0:64 offset1:96
	ds_load_2addr_b64 v[131:134], v22 offset0:128 offset1:160
	s_waitcnt lgkmcnt(27)
	v_dual_mul_f32 v145, v3, v24 :: v_dual_mul_f32 v146, v5, v26
	v_mul_f32_e32 v24, v2, v24
	v_mul_f32_e32 v26, v4, v26
	s_waitcnt lgkmcnt(22)
	v_mul_f32_e32 v147, v44, v32
	v_fma_f32 v145, v2, v23, -v145
	v_mul_f32_e32 v32, v43, v32
	v_fmac_f32_e32 v24, v3, v23
	v_fma_f32 v23, v4, v25, -v146
	v_dual_fmac_f32 v26, v5, v25 :: v_dual_mul_f32 v25, v40, v28
	v_mul_f32_e32 v28, v39, v28
	v_mul_f32_e32 v146, v42, v30
	;; [unrolled: 1-line block ×3, first 2 shown]
	v_fma_f32 v43, v43, v31, -v147
	v_fma_f32 v25, v39, v27, -v25
	s_waitcnt lgkmcnt(21)
	v_dual_mul_f32 v39, v50, v38 :: v_dual_fmac_f32 v28, v40, v27
	v_fma_f32 v27, v41, v29, -v146
	s_waitcnt lgkmcnt(19)
	v_mul_f32_e32 v40, v52, v56
	v_dual_mul_f32 v41, v51, v56 :: v_dual_add_f32 v56, 0, v145
	v_mul_f32_e32 v148, v46, v34
	v_dual_fmac_f32 v30, v42, v29 :: v_dual_mul_f32 v29, v45, v34
	v_fmac_f32_e32 v32, v44, v31
	s_delay_alu instid0(VALU_DEP_4) | instskip(NEXT) | instid1(VALU_DEP_4)
	v_add_f32_e32 v23, v56, v23
	v_fma_f32 v31, v45, v33, -v148
	s_delay_alu instid0(VALU_DEP_4) | instskip(SKIP_1) | instid1(VALU_DEP_4)
	v_dual_mul_f32 v38, v49, v38 :: v_dual_fmac_f32 v29, v46, v33
	v_mul_f32_e32 v33, v53, v58
	v_dual_add_f32 v23, v23, v25 :: v_dual_mul_f32 v34, v48, v36
	v_mul_f32_e32 v36, v47, v36
	s_waitcnt lgkmcnt(13)
	v_mul_f32_e32 v25, v79, v76
	v_fmac_f32_e32 v33, v54, v57
	v_dual_add_f32 v23, v23, v27 :: v_dual_mul_f32 v42, v54, v58
	v_fma_f32 v34, v47, v35, -v34
	s_waitcnt lgkmcnt(11)
	v_dual_mul_f32 v27, v84, v88 :: v_dual_fmac_f32 v38, v50, v37
	s_delay_alu instid0(VALU_DEP_3) | instskip(SKIP_3) | instid1(VALU_DEP_3)
	v_dual_add_f32 v23, v23, v43 :: v_dual_add_f32 v24, 0, v24
	s_waitcnt lgkmcnt(9)
	v_dual_mul_f32 v43, v95, v92 :: v_dual_mul_f32 v58, v65, v62
	v_fmac_f32_e32 v41, v52, v55
	v_dual_add_f32 v23, v23, v31 :: v_dual_add_f32 v24, v24, v26
	v_mul_f32_e32 v26, v68, v72
	v_fma_f32 v27, v83, v87, -v27
	v_dual_mul_f32 v44, v64, v60 :: v_dual_mul_f32 v47, v98, v94
	s_delay_alu instid0(VALU_DEP_4) | instskip(NEXT) | instid1(VALU_DEP_4)
	v_add_f32_e32 v23, v23, v34
	v_fma_f32 v26, v67, v71, -v26
	v_fmac_f32_e32 v36, v48, v35
	v_fma_f32 v35, v49, v37, -v39
	v_mul_f32_e32 v56, v70, v74
	v_mul_f32_e32 v39, v85, v90
	v_dual_mul_f32 v45, v63, v60 :: v_dual_mul_f32 v46, v66, v62
	s_delay_alu instid0(VALU_DEP_4) | instskip(NEXT) | instid1(VALU_DEP_2)
	v_dual_add_f32 v23, v23, v35 :: v_dual_add_f32 v24, v24, v28
	v_dual_mul_f32 v28, v69, v74 :: v_dual_fmac_f32 v45, v64, v59
	s_delay_alu instid0(VALU_DEP_4)
	v_dual_fmac_f32 v39, v86, v89 :: v_dual_mul_f32 v60, v67, v72
	s_waitcnt lgkmcnt(7)
	v_mul_f32_e32 v35, v102, v106
	v_add_f32_e32 v24, v24, v30
	v_fmac_f32_e32 v58, v66, v61
	v_mul_f32_e32 v62, v80, v76
	v_fmac_f32_e32 v28, v70, v73
	v_fma_f32 v35, v101, v105, -v35
	v_add_f32_e32 v24, v24, v32
	v_dual_mul_f32 v72, v81, v78 :: v_dual_fmac_f32 v25, v80, v75
	ds_load_b128 v[135:138], v8 offset:224
	ds_load_b128 v[139:142], v8 offset:240
	v_mul_f32_e32 v32, v83, v88
	v_add_f32_e32 v24, v24, v29
	v_dual_mul_f32 v29, v96, v92 :: v_dual_fmac_f32 v72, v82, v77
	v_mul_f32_e32 v37, v86, v90
	s_delay_alu instid0(VALU_DEP_3) | instskip(NEXT) | instid1(VALU_DEP_3)
	v_dual_mul_f32 v31, v97, v94 :: v_dual_add_f32 v24, v24, v36
	v_fma_f32 v29, v95, v91, -v29
	v_fmac_f32_e32 v60, v68, v71
	v_dual_mul_f32 v34, v99, v104 :: v_dual_fmac_f32 v43, v96, v91
	s_delay_alu instid0(VALU_DEP_4) | instskip(SKIP_4) | instid1(VALU_DEP_4)
	v_add_f32_e32 v24, v24, v38
	v_fma_f32 v38, v51, v55, -v40
	v_fma_f32 v40, v53, v57, -v42
	;; [unrolled: 1-line block ×3, first 2 shown]
	v_fmac_f32_e32 v31, v98, v93
	v_dual_add_f32 v24, v24, v41 :: v_dual_add_f32 v23, v23, v38
	v_fma_f32 v38, v63, v59, -v44
	v_fma_f32 v41, v65, v61, -v46
	ds_load_2addr_b64 v[2:5], v22 offset0:192 offset1:224
	v_dual_add_f32 v24, v24, v33 :: v_dual_add_f32 v23, v23, v40
	s_waitcnt lgkmcnt(8)
	v_dual_mul_f32 v33, v101, v106 :: v_dual_mul_f32 v40, v112, v108
	v_fmac_f32_e32 v34, v100, v103
	s_delay_alu instid0(VALU_DEP_3) | instskip(SKIP_1) | instid1(VALU_DEP_4)
	v_dual_add_f32 v24, v24, v45 :: v_dual_add_f32 v23, v23, v38
	v_mul_f32_e32 v30, v82, v78
	v_dual_fmac_f32 v33, v102, v105 :: v_dual_mul_f32 v38, v111, v108
	s_delay_alu instid0(VALU_DEP_3) | instskip(NEXT) | instid1(VALU_DEP_3)
	v_dual_add_f32 v24, v24, v58 :: v_dual_add_f32 v23, v23, v41
	v_fma_f32 v30, v81, v77, -v30
	v_dual_mul_f32 v41, v114, v110 :: v_dual_fmac_f32 v32, v84, v87
	s_delay_alu instid0(VALU_DEP_3) | instskip(SKIP_1) | instid1(VALU_DEP_2)
	v_dual_add_f32 v24, v24, v60 :: v_dual_add_f32 v23, v23, v26
	v_mul_f32_e32 v26, v113, v110
	v_add_f32_e32 v24, v24, v28
	v_fma_f32 v28, v79, v75, -v62
	s_delay_alu instid0(VALU_DEP_2) | instskip(SKIP_2) | instid1(VALU_DEP_2)
	v_dual_add_f32 v23, v23, v42 :: v_dual_add_f32 v24, v24, v25
	s_waitcnt lgkmcnt(6)
	v_mul_f32_e32 v25, v116, v120
	v_add_f32_e32 v23, v23, v28
	v_mul_f32_e32 v36, v100, v104
	s_delay_alu instid0(VALU_DEP_3) | instskip(NEXT) | instid1(VALU_DEP_3)
	v_fma_f32 v25, v115, v119, -v25
	v_add_f32_e32 v23, v23, v30
	s_delay_alu instid0(VALU_DEP_1) | instskip(SKIP_1) | instid1(VALU_DEP_1)
	v_dual_mul_f32 v30, v118, v122 :: v_dual_add_f32 v23, v23, v27
	v_dual_mul_f32 v27, v117, v122 :: v_dual_add_f32 v24, v24, v72
	v_dual_fmac_f32 v27, v118, v121 :: v_dual_add_f32 v24, v24, v32
	v_fma_f32 v32, v85, v89, -v37
	v_fma_f32 v37, v97, v93, -v47
	s_delay_alu instid0(VALU_DEP_2) | instskip(NEXT) | instid1(VALU_DEP_1)
	v_dual_add_f32 v24, v24, v39 :: v_dual_add_f32 v23, v23, v32
	v_dual_add_f32 v24, v24, v43 :: v_dual_add_f32 v23, v23, v29
	s_waitcnt lgkmcnt(4)
	v_mul_f32_e32 v29, v127, v124
	v_mul_f32_e32 v28, v115, v120
	s_delay_alu instid0(VALU_DEP_3)
	v_add_f32_e32 v24, v24, v31
	v_fma_f32 v31, v99, v103, -v36
	v_add_f32_e32 v23, v23, v37
	v_fmac_f32_e32 v29, v128, v123
	v_fmac_f32_e32 v28, v116, v119
	v_add_f32_e32 v24, v24, v34
	v_fma_f32 v36, v113, v109, -v41
	v_add_f32_e32 v23, v23, v31
	v_dual_mul_f32 v31, v129, v126 :: v_dual_fmac_f32 v38, v112, v107
	s_delay_alu instid0(VALU_DEP_4) | instskip(SKIP_1) | instid1(VALU_DEP_4)
	v_add_f32_e32 v24, v24, v33
	v_fma_f32 v33, v111, v107, -v40
	v_add_f32_e32 v23, v23, v35
	s_waitcnt lgkmcnt(2)
	v_dual_mul_f32 v35, v132, v136 :: v_dual_fmac_f32 v26, v114, v109
	v_dual_add_f32 v24, v24, v38 :: v_dual_fmac_f32 v31, v130, v125
	s_delay_alu instid0(VALU_DEP_1) | instskip(NEXT) | instid1(VALU_DEP_1)
	v_dual_add_f32 v23, v23, v33 :: v_dual_add_f32 v24, v24, v26
	v_add_f32_e32 v23, v23, v36
	s_delay_alu instid0(VALU_DEP_2) | instskip(NEXT) | instid1(VALU_DEP_2)
	v_add_f32_e32 v24, v24, v28
	v_dual_mul_f32 v28, v134, v138 :: v_dual_add_f32 v23, v23, v25
	s_delay_alu instid0(VALU_DEP_2) | instskip(NEXT) | instid1(VALU_DEP_2)
	v_dual_mul_f32 v25, v133, v138 :: v_dual_add_f32 v24, v24, v27
	v_fma_f32 v28, v133, v137, -v28
	s_delay_alu instid0(VALU_DEP_2) | instskip(SKIP_1) | instid1(VALU_DEP_3)
	v_dual_fmac_f32 v25, v134, v137 :: v_dual_mul_f32 v26, v131, v136
	s_waitcnt lgkmcnt(0)
	v_dual_add_f32 v24, v24, v29 :: v_dual_mul_f32 v29, v3, v140
	v_fma_f32 v30, v117, v121, -v30
	s_delay_alu instid0(VALU_DEP_3) | instskip(NEXT) | instid1(VALU_DEP_3)
	v_fmac_f32_e32 v26, v132, v135
	v_add_f32_e32 v24, v24, v31
	v_fma_f32 v31, v131, v135, -v35
	s_delay_alu instid0(VALU_DEP_4) | instskip(SKIP_1) | instid1(VALU_DEP_4)
	v_dual_add_f32 v23, v23, v30 :: v_dual_mul_f32 v32, v128, v124
	v_mul_f32_e32 v34, v130, v126
	v_add_f32_e32 v24, v24, v26
	v_mul_f32_e32 v26, v4, v142
	s_delay_alu instid0(VALU_DEP_4) | instskip(NEXT) | instid1(VALU_DEP_4)
	v_fma_f32 v27, v127, v123, -v32
	v_fma_f32 v30, v129, v125, -v34
	s_delay_alu instid0(VALU_DEP_2) | instskip(SKIP_2) | instid1(VALU_DEP_3)
	v_dual_fmac_f32 v26, v5, v141 :: v_dual_add_f32 v23, v23, v27
	v_mul_f32_e32 v27, v2, v140
	v_fma_f32 v2, v2, v139, -v29
	v_add_f32_e32 v23, v23, v30
	s_delay_alu instid0(VALU_DEP_3) | instskip(NEXT) | instid1(VALU_DEP_2)
	v_fmac_f32_e32 v27, v3, v139
	v_add_f32_e32 v3, v23, v31
	v_dual_add_f32 v23, v24, v25 :: v_dual_mul_f32 v24, v5, v142
	s_delay_alu instid0(VALU_DEP_2) | instskip(NEXT) | instid1(VALU_DEP_2)
	v_add_f32_e32 v3, v3, v28
	v_add_f32_e32 v5, v23, v27
	s_delay_alu instid0(VALU_DEP_3) | instskip(NEXT) | instid1(VALU_DEP_3)
	v_fma_f32 v4, v4, v141, -v24
	v_add_f32_e32 v2, v3, v2
	s_delay_alu instid0(VALU_DEP_1) | instskip(NEXT) | instid1(VALU_DEP_1)
	v_dual_add_f32 v3, v5, v26 :: v_dual_add_f32 v2, v2, v4
	v_mul_f32_e32 v4, s9, v3
	v_mul_f32_e32 v3, s8, v3
	s_delay_alu instid0(VALU_DEP_2) | instskip(SKIP_1) | instid1(VALU_DEP_1)
	v_fma_f32 v4, s8, v2, -v4
	s_waitcnt vmcnt(0)
	v_dual_fmac_f32 v3, s9, v2 :: v_dual_add_f32 v2, v143, v4
	s_delay_alu instid0(VALU_DEP_1)
	v_add_f32_e32 v3, v144, v3
	global_store_b64 v[0:1], v[2:3], off
.LBB1890_11:                            ;   in Loop: Header=BB1890_5 Depth=1
	s_or_b32 exec_lo, exec_lo, s19
	v_dual_mov_b32 v3, 0 :: v_dual_mov_b32 v4, 0
	v_mov_b32_e32 v5, 0
	s_waitcnt_vscnt null, 0x0
	s_barrier
	buffer_gl0_inv
	s_and_saveexec_b32 s19, s15
	s_cbranch_execz .LBB1890_13
; %bb.12:                               ;   in Loop: Header=BB1890_5 Depth=1
	v_add_co_u32 v4, vcc_lo, s10, v14
	v_add_co_ci_u32_e32 v5, vcc_lo, s11, v15, vcc_lo
	global_load_b64 v[4:5], v[4:5], off
.LBB1890_13:                            ;   in Loop: Header=BB1890_5 Depth=1
	s_or_b32 exec_lo, exec_lo, s19
	v_mov_b32_e32 v2, 0
	s_waitcnt vmcnt(0)
	ds_store_b64 v10, v[4:5]
	s_and_saveexec_b32 s15, s18
	s_cbranch_execz .LBB1890_15
; %bb.14:                               ;   in Loop: Header=BB1890_5 Depth=1
	v_add_co_u32 v2, vcc_lo, s13, v16
	v_add_co_ci_u32_e32 v3, vcc_lo, s14, v17, vcc_lo
	global_load_b64 v[2:3], v[2:3], off offset:-4
	s_waitcnt vmcnt(0)
	v_xor_b32_e32 v3, 0x80000000, v3
.LBB1890_15:                            ;   in Loop: Header=BB1890_5 Depth=1
	s_or_b32 exec_lo, exec_lo, s15
	ds_store_b64 v11, v[2:3]
	s_waitcnt lgkmcnt(0)
	s_barrier
	buffer_gl0_inv
	s_and_saveexec_b32 s15, s12
	s_cbranch_execz .LBB1890_4
; %bb.16:                               ;   in Loop: Header=BB1890_5 Depth=1
	global_load_b64 v[147:148], v[0:1], off
	ds_load_b128 v[2:5], v8
	ds_load_b128 v[23:26], v8 offset:16
	ds_load_2addr_b64 v[27:30], v9 offset1:32
	ds_load_b128 v[31:34], v8 offset:32
	ds_load_b128 v[35:38], v8 offset:48
	ds_load_2addr_b64 v[39:42], v9 offset0:64 offset1:96
	ds_load_2addr_b64 v[43:46], v9 offset0:128 offset1:160
	;; [unrolled: 1-line block ×3, first 2 shown]
	ds_load_2addr_b64 v[51:54], v20 offset1:32
	ds_load_b128 v[55:58], v8 offset:64
	ds_load_b128 v[59:62], v8 offset:80
	ds_load_2addr_b64 v[63:66], v20 offset0:64 offset1:96
	ds_load_2addr_b64 v[67:70], v20 offset0:128 offset1:160
	ds_load_b128 v[71:74], v8 offset:96
	ds_load_b128 v[75:78], v8 offset:112
	ds_load_2addr_b64 v[79:82], v20 offset0:192 offset1:224
	ds_load_2addr_b64 v[83:86], v21 offset1:32
	ds_load_b128 v[87:90], v8 offset:128
	ds_load_b128 v[91:94], v8 offset:144
	ds_load_2addr_b64 v[95:98], v21 offset0:64 offset1:96
	ds_load_2addr_b64 v[99:102], v21 offset0:128 offset1:160
	ds_load_b128 v[103:106], v8 offset:160
	ds_load_b128 v[107:110], v8 offset:176
	ds_load_2addr_b64 v[111:114], v21 offset0:192 offset1:224
	;; [unrolled: 8-line block ×3, first 2 shown]
	s_waitcnt lgkmcnt(29)
	v_dual_mul_f32 v149, v28, v3 :: v_dual_mul_f32 v150, v30, v5
	s_waitcnt lgkmcnt(26)
	v_dual_mul_f32 v3, v27, v3 :: v_dual_mul_f32 v152, v42, v26
	v_mul_f32_e32 v5, v29, v5
	s_waitcnt lgkmcnt(25)
	v_dual_mul_f32 v153, v44, v32 :: v_dual_mul_f32 v154, v46, v34
	s_delay_alu instid0(VALU_DEP_3)
	v_dual_mul_f32 v32, v43, v32 :: v_dual_fmac_f32 v3, v28, v2
	v_fma_f32 v27, v27, v2, -v149
	v_dual_mul_f32 v151, v40, v24 :: v_dual_mul_f32 v26, v41, v26
	v_mul_f32_e32 v24, v39, v24
	s_waitcnt lgkmcnt(24)
	v_dual_mul_f32 v34, v45, v34 :: v_dual_mul_f32 v155, v48, v36
	v_dual_mul_f32 v36, v47, v36 :: v_dual_add_f32 v27, 0, v27
	s_waitcnt lgkmcnt(22)
	v_dual_mul_f32 v156, v50, v38 :: v_dual_mul_f32 v157, v52, v56
	v_dual_mul_f32 v56, v51, v56 :: v_dual_add_f32 v3, 0, v3
	s_waitcnt lgkmcnt(18)
	v_dual_mul_f32 v158, v54, v58 :: v_dual_mul_f32 v161, v68, v72
	v_dual_mul_f32 v58, v53, v58 :: v_dual_fmac_f32 v5, v30, v4
	v_fma_f32 v2, v29, v4, -v150
	v_dual_mul_f32 v38, v49, v38 :: v_dual_mul_f32 v159, v64, v60
	v_mul_f32_e32 v60, v63, v60
	s_waitcnt lgkmcnt(16)
	v_dual_mul_f32 v160, v66, v62 :: v_dual_mul_f32 v29, v79, v76
	v_dual_mul_f32 v62, v65, v62 :: v_dual_add_f32 v3, v3, v5
	v_add_f32_e32 v2, v27, v2
	s_waitcnt lgkmcnt(14)
	v_mul_f32_e32 v27, v85, v90
	v_fmac_f32_e32 v29, v80, v75
	v_fmac_f32_e32 v24, v40, v23
	v_mul_f32_e32 v4, v69, v74
	s_delay_alu instid0(VALU_DEP_4) | instskip(NEXT) | instid1(VALU_DEP_3)
	v_dual_fmac_f32 v56, v52, v55 :: v_dual_fmac_f32 v27, v86, v89
	v_dual_fmac_f32 v26, v42, v25 :: v_dual_add_f32 v3, v3, v24
	v_mul_f32_e32 v28, v80, v76
	v_fmac_f32_e32 v60, v64, v59
	v_fmac_f32_e32 v32, v44, v31
	s_waitcnt lgkmcnt(12)
	v_dual_mul_f32 v162, v70, v74 :: v_dual_mul_f32 v5, v96, v92
	v_add_f32_e32 v3, v3, v26
	v_mul_f32_e32 v74, v81, v78
	v_fmac_f32_e32 v62, v66, v61
	v_fmac_f32_e32 v34, v46, v33
	s_delay_alu instid0(VALU_DEP_4)
	v_dual_fmac_f32 v4, v70, v73 :: v_dual_add_f32 v3, v3, v32
	v_mul_f32_e32 v76, v84, v88
	v_fmac_f32_e32 v36, v48, v35
	v_mul_f32_e32 v30, v82, v78
	v_mul_f32_e32 v78, v83, v88
	v_add_f32_e32 v3, v3, v34
	v_mul_f32_e32 v88, v86, v90
	v_fma_f32 v39, v39, v23, -v151
	v_fmac_f32_e32 v38, v50, v37
	v_fma_f32 v23, v41, v25, -v152
	v_dual_add_f32 v3, v3, v36 :: v_dual_fmac_f32 v58, v54, v57
	s_delay_alu instid0(VALU_DEP_4) | instskip(SKIP_2) | instid1(VALU_DEP_4)
	v_add_f32_e32 v2, v2, v39
	v_mul_f32_e32 v72, v67, v72
	v_fma_f32 v25, v43, v31, -v153
	v_add_f32_e32 v3, v3, v38
	v_fma_f32 v24, v45, v33, -v154
	v_fma_f32 v26, v47, v35, -v155
	;; [unrolled: 1-line block ×3, first 2 shown]
	s_delay_alu instid0(VALU_DEP_4) | instskip(SKIP_4) | instid1(VALU_DEP_4)
	v_dual_fmac_f32 v74, v82, v77 :: v_dual_add_f32 v3, v3, v56
	v_add_f32_e32 v2, v2, v23
	v_fma_f32 v32, v51, v55, -v157
	v_mul_f32_e32 v23, v95, v92
	v_fma_f32 v33, v53, v57, -v158
	v_dual_add_f32 v3, v3, v58 :: v_dual_add_f32 v2, v2, v25
	v_dual_mul_f32 v25, v98, v94 :: v_dual_fmac_f32 v72, v68, v71
	v_fma_f32 v34, v63, v59, -v159
	s_delay_alu instid0(VALU_DEP_3) | instskip(NEXT) | instid1(VALU_DEP_4)
	v_add_f32_e32 v3, v3, v60
	v_add_f32_e32 v2, v2, v24
	v_fma_f32 v35, v65, v61, -v160
	v_fma_f32 v36, v67, v71, -v161
	;; [unrolled: 1-line block ×3, first 2 shown]
	v_add_f32_e32 v3, v3, v62
	v_dual_mul_f32 v24, v97, v94 :: v_dual_fmac_f32 v23, v96, v91
	v_fma_f32 v28, v79, v75, -v28
	v_fma_f32 v30, v81, v77, -v30
	s_delay_alu instid0(VALU_DEP_3) | instskip(SKIP_2) | instid1(VALU_DEP_3)
	v_dual_add_f32 v3, v3, v72 :: v_dual_fmac_f32 v24, v98, v93
	v_fma_f32 v5, v95, v91, -v5
	v_fma_f32 v25, v97, v93, -v25
	v_dual_add_f32 v3, v3, v4 :: v_dual_add_f32 v2, v2, v26
	s_waitcnt lgkmcnt(10)
	s_delay_alu instid0(VALU_DEP_1) | instskip(SKIP_2) | instid1(VALU_DEP_2)
	v_dual_add_f32 v3, v3, v29 :: v_dual_mul_f32 v26, v100, v104
	s_waitcnt lgkmcnt(6)
	v_mul_f32_e32 v29, v115, v120
	v_dual_add_f32 v3, v3, v74 :: v_dual_add_f32 v2, v2, v31
	v_mul_f32_e32 v31, v99, v104
	v_fma_f32 v26, v99, v103, -v26
	s_delay_alu instid0(VALU_DEP_3) | instskip(NEXT) | instid1(VALU_DEP_1)
	v_dual_fmac_f32 v29, v116, v119 :: v_dual_add_f32 v2, v2, v32
	v_dual_fmac_f32 v31, v100, v103 :: v_dual_add_f32 v2, v2, v33
	v_dual_mul_f32 v33, v101, v106 :: v_dual_fmac_f32 v78, v84, v87
	s_delay_alu instid0(VALU_DEP_1) | instskip(NEXT) | instid1(VALU_DEP_2)
	v_fmac_f32_e32 v33, v102, v105
	v_add_f32_e32 v3, v3, v78
	s_delay_alu instid0(VALU_DEP_1) | instskip(NEXT) | instid1(VALU_DEP_1)
	v_dual_mul_f32 v32, v102, v106 :: v_dual_add_f32 v3, v3, v27
	v_dual_add_f32 v3, v3, v23 :: v_dual_add_f32 v2, v2, v34
	v_mul_f32_e32 v34, v112, v108
	s_waitcnt lgkmcnt(4)
	v_mul_f32_e32 v23, v127, v124
	s_delay_alu instid0(VALU_DEP_3) | instskip(SKIP_1) | instid1(VALU_DEP_3)
	v_dual_add_f32 v3, v3, v24 :: v_dual_add_f32 v2, v2, v35
	v_mul_f32_e32 v35, v111, v108
	v_fmac_f32_e32 v23, v128, v123
	s_delay_alu instid0(VALU_DEP_3) | instskip(NEXT) | instid1(VALU_DEP_3)
	v_dual_add_f32 v3, v3, v31 :: v_dual_add_f32 v2, v2, v36
	v_dual_mul_f32 v36, v114, v110 :: v_dual_fmac_f32 v35, v112, v107
	s_delay_alu instid0(VALU_DEP_2) | instskip(NEXT) | instid1(VALU_DEP_3)
	v_add_f32_e32 v3, v3, v33
	v_dual_add_f32 v2, v2, v37 :: v_dual_mul_f32 v37, v113, v110
	v_mul_f32_e32 v4, v116, v120
	s_delay_alu instid0(VALU_DEP_4) | instskip(NEXT) | instid1(VALU_DEP_3)
	v_fma_f32 v27, v113, v109, -v36
	v_dual_add_f32 v3, v3, v35 :: v_dual_add_f32 v2, v2, v28
	s_delay_alu instid0(VALU_DEP_4) | instskip(SKIP_2) | instid1(VALU_DEP_3)
	v_fmac_f32_e32 v37, v114, v109
	v_fma_f32 v28, v83, v87, -v76
	v_fma_f32 v4, v115, v119, -v4
	v_dual_add_f32 v2, v2, v30 :: v_dual_add_f32 v3, v3, v37
	v_fma_f32 v30, v85, v89, -v88
	s_delay_alu instid0(VALU_DEP_2) | instskip(SKIP_1) | instid1(VALU_DEP_2)
	v_dual_add_f32 v3, v3, v29 :: v_dual_add_f32 v2, v2, v28
	v_mul_f32_e32 v28, v118, v122
	v_add_f32_e32 v2, v2, v30
	v_mul_f32_e32 v30, v117, v122
	s_delay_alu instid0(VALU_DEP_3) | instskip(NEXT) | instid1(VALU_DEP_2)
	v_fma_f32 v28, v117, v121, -v28
	v_fmac_f32_e32 v30, v118, v121
	s_delay_alu instid0(VALU_DEP_1) | instskip(NEXT) | instid1(VALU_DEP_1)
	v_add_f32_e32 v3, v3, v30
	v_dual_add_f32 v3, v3, v23 :: v_dual_add_f32 v2, v2, v5
	s_waitcnt lgkmcnt(0)
	v_dual_mul_f32 v23, v143, v140 :: v_dual_mul_f32 v24, v130, v126
	s_delay_alu instid0(VALU_DEP_2) | instskip(SKIP_1) | instid1(VALU_DEP_3)
	v_dual_mul_f32 v5, v128, v124 :: v_dual_add_f32 v2, v2, v25
	v_fma_f32 v25, v101, v105, -v32
	v_fmac_f32_e32 v23, v144, v139
	s_delay_alu instid0(VALU_DEP_3) | instskip(SKIP_3) | instid1(VALU_DEP_2)
	v_fma_f32 v5, v127, v123, -v5
	v_fma_f32 v24, v129, v125, -v24
	v_add_f32_e32 v2, v2, v26
	v_fma_f32 v26, v111, v107, -v34
	v_dual_add_f32 v2, v2, v25 :: v_dual_mul_f32 v25, v129, v126
	s_delay_alu instid0(VALU_DEP_1) | instskip(NEXT) | instid1(VALU_DEP_2)
	v_add_f32_e32 v2, v2, v26
	v_dual_mul_f32 v26, v132, v136 :: v_dual_fmac_f32 v25, v130, v125
	s_delay_alu instid0(VALU_DEP_2) | instskip(NEXT) | instid1(VALU_DEP_2)
	v_dual_add_f32 v2, v2, v27 :: v_dual_mul_f32 v27, v131, v136
	v_fma_f32 v26, v131, v135, -v26
	s_delay_alu instid0(VALU_DEP_2) | instskip(NEXT) | instid1(VALU_DEP_3)
	v_dual_add_f32 v3, v3, v25 :: v_dual_add_f32 v2, v2, v4
	v_dual_mul_f32 v4, v134, v138 :: v_dual_fmac_f32 v27, v132, v135
	s_delay_alu instid0(VALU_DEP_2) | instskip(SKIP_1) | instid1(VALU_DEP_3)
	v_add_f32_e32 v2, v2, v28
	v_mul_f32_e32 v28, v133, v138
	v_fma_f32 v4, v133, v137, -v4
	s_delay_alu instid0(VALU_DEP_3) | instskip(NEXT) | instid1(VALU_DEP_3)
	v_dual_add_f32 v3, v3, v27 :: v_dual_add_f32 v2, v2, v5
	v_dual_mul_f32 v5, v144, v140 :: v_dual_fmac_f32 v28, v134, v137
	s_delay_alu instid0(VALU_DEP_2) | instskip(SKIP_1) | instid1(VALU_DEP_3)
	v_add_f32_e32 v2, v2, v24
	v_mul_f32_e32 v24, v146, v142
	v_fma_f32 v5, v143, v139, -v5
	s_delay_alu instid0(VALU_DEP_3) | instskip(NEXT) | instid1(VALU_DEP_3)
	v_dual_add_f32 v3, v3, v28 :: v_dual_add_f32 v2, v2, v26
	v_fma_f32 v24, v145, v141, -v24
	s_delay_alu instid0(VALU_DEP_2) | instskip(SKIP_1) | instid1(VALU_DEP_2)
	v_dual_add_f32 v3, v3, v23 :: v_dual_add_f32 v2, v2, v4
	v_mul_f32_e32 v4, v145, v142
	v_add_f32_e32 v2, v2, v5
	s_delay_alu instid0(VALU_DEP_2) | instskip(NEXT) | instid1(VALU_DEP_2)
	v_fmac_f32_e32 v4, v146, v141
	v_add_f32_e32 v2, v2, v24
	s_delay_alu instid0(VALU_DEP_1) | instskip(SKIP_1) | instid1(VALU_DEP_2)
	v_dual_add_f32 v3, v3, v4 :: v_dual_mul_f32 v4, s8, v2
	v_mul_f32_e32 v2, s9, v2
	v_fmac_f32_e32 v4, s9, v3
	s_delay_alu instid0(VALU_DEP_2) | instskip(SKIP_1) | instid1(VALU_DEP_1)
	v_fma_f32 v3, s8, v3, -v2
	s_waitcnt vmcnt(0)
	v_dual_add_f32 v3, v148, v3 :: v_dual_add_f32 v2, v147, v4
	global_store_b64 v[0:1], v[2:3], off
	s_branch .LBB1890_4
.LBB1890_17:
	s_endpgm
	.section	.rodata,"a",@progbits
	.p2align	6, 0x0
	.amdhsa_kernel _ZL26rocblas_syr2k_her2k_kernelIlLb1ELb1ELb0ELi32EPK19rocblas_complex_numIfEPKS3_PKPS1_EvbiT_T4_T5_S9_lSB_S9_lT6_S9_li
		.amdhsa_group_segment_fixed_size 16384
		.amdhsa_private_segment_fixed_size 0
		.amdhsa_kernarg_size 100
		.amdhsa_user_sgpr_count 13
		.amdhsa_user_sgpr_dispatch_ptr 0
		.amdhsa_user_sgpr_queue_ptr 0
		.amdhsa_user_sgpr_kernarg_segment_ptr 1
		.amdhsa_user_sgpr_dispatch_id 0
		.amdhsa_user_sgpr_private_segment_size 0
		.amdhsa_wavefront_size32 1
		.amdhsa_uses_dynamic_stack 0
		.amdhsa_enable_private_segment 0
		.amdhsa_system_sgpr_workgroup_id_x 1
		.amdhsa_system_sgpr_workgroup_id_y 1
		.amdhsa_system_sgpr_workgroup_id_z 1
		.amdhsa_system_sgpr_workgroup_info 0
		.amdhsa_system_vgpr_workitem_id 1
		.amdhsa_next_free_vgpr 163
		.amdhsa_next_free_sgpr 32
		.amdhsa_reserve_vcc 1
		.amdhsa_float_round_mode_32 0
		.amdhsa_float_round_mode_16_64 0
		.amdhsa_float_denorm_mode_32 3
		.amdhsa_float_denorm_mode_16_64 3
		.amdhsa_dx10_clamp 1
		.amdhsa_ieee_mode 1
		.amdhsa_fp16_overflow 0
		.amdhsa_workgroup_processor_mode 1
		.amdhsa_memory_ordered 1
		.amdhsa_forward_progress 0
		.amdhsa_shared_vgpr_count 0
		.amdhsa_exception_fp_ieee_invalid_op 0
		.amdhsa_exception_fp_denorm_src 0
		.amdhsa_exception_fp_ieee_div_zero 0
		.amdhsa_exception_fp_ieee_overflow 0
		.amdhsa_exception_fp_ieee_underflow 0
		.amdhsa_exception_fp_ieee_inexact 0
		.amdhsa_exception_int_div_zero 0
	.end_amdhsa_kernel
	.section	.text._ZL26rocblas_syr2k_her2k_kernelIlLb1ELb1ELb0ELi32EPK19rocblas_complex_numIfEPKS3_PKPS1_EvbiT_T4_T5_S9_lSB_S9_lT6_S9_li,"axG",@progbits,_ZL26rocblas_syr2k_her2k_kernelIlLb1ELb1ELb0ELi32EPK19rocblas_complex_numIfEPKS3_PKPS1_EvbiT_T4_T5_S9_lSB_S9_lT6_S9_li,comdat
.Lfunc_end1890:
	.size	_ZL26rocblas_syr2k_her2k_kernelIlLb1ELb1ELb0ELi32EPK19rocblas_complex_numIfEPKS3_PKPS1_EvbiT_T4_T5_S9_lSB_S9_lT6_S9_li, .Lfunc_end1890-_ZL26rocblas_syr2k_her2k_kernelIlLb1ELb1ELb0ELi32EPK19rocblas_complex_numIfEPKS3_PKPS1_EvbiT_T4_T5_S9_lSB_S9_lT6_S9_li
                                        ; -- End function
	.section	.AMDGPU.csdata,"",@progbits
; Kernel info:
; codeLenInByte = 3908
; NumSgprs: 34
; NumVgprs: 163
; ScratchSize: 0
; MemoryBound: 0
; FloatMode: 240
; IeeeMode: 1
; LDSByteSize: 16384 bytes/workgroup (compile time only)
; SGPRBlocks: 4
; VGPRBlocks: 20
; NumSGPRsForWavesPerEU: 34
; NumVGPRsForWavesPerEU: 163
; Occupancy: 9
; WaveLimiterHint : 1
; COMPUTE_PGM_RSRC2:SCRATCH_EN: 0
; COMPUTE_PGM_RSRC2:USER_SGPR: 13
; COMPUTE_PGM_RSRC2:TRAP_HANDLER: 0
; COMPUTE_PGM_RSRC2:TGID_X_EN: 1
; COMPUTE_PGM_RSRC2:TGID_Y_EN: 1
; COMPUTE_PGM_RSRC2:TGID_Z_EN: 1
; COMPUTE_PGM_RSRC2:TIDIG_COMP_CNT: 1
	.section	.text._ZL26rocblas_syr2k_her2k_kernelIlLb1ELb1ELb1ELi32EPK19rocblas_complex_numIfEPKS3_PKPS1_EvbiT_T4_T5_S9_lSB_S9_lT6_S9_li,"axG",@progbits,_ZL26rocblas_syr2k_her2k_kernelIlLb1ELb1ELb1ELi32EPK19rocblas_complex_numIfEPKS3_PKPS1_EvbiT_T4_T5_S9_lSB_S9_lT6_S9_li,comdat
	.globl	_ZL26rocblas_syr2k_her2k_kernelIlLb1ELb1ELb1ELi32EPK19rocblas_complex_numIfEPKS3_PKPS1_EvbiT_T4_T5_S9_lSB_S9_lT6_S9_li ; -- Begin function _ZL26rocblas_syr2k_her2k_kernelIlLb1ELb1ELb1ELi32EPK19rocblas_complex_numIfEPKS3_PKPS1_EvbiT_T4_T5_S9_lSB_S9_lT6_S9_li
	.p2align	8
	.type	_ZL26rocblas_syr2k_her2k_kernelIlLb1ELb1ELb1ELi32EPK19rocblas_complex_numIfEPKS3_PKPS1_EvbiT_T4_T5_S9_lSB_S9_lT6_S9_li,@function
_ZL26rocblas_syr2k_her2k_kernelIlLb1ELb1ELb1ELi32EPK19rocblas_complex_numIfEPKS3_PKPS1_EvbiT_T4_T5_S9_lSB_S9_lT6_S9_li: ; @_ZL26rocblas_syr2k_her2k_kernelIlLb1ELb1ELb1ELi32EPK19rocblas_complex_numIfEPKS3_PKPS1_EvbiT_T4_T5_S9_lSB_S9_lT6_S9_li
; %bb.0:
	s_load_b512 s[16:31], s[0:1], 0x8
	s_waitcnt lgkmcnt(0)
	s_load_b64 s[8:9], s[18:19], 0x0
	s_waitcnt lgkmcnt(0)
	v_cmp_eq_f32_e64 s2, s8, 0
	v_cmp_eq_f32_e64 s3, s9, 0
	s_delay_alu instid0(VALU_DEP_1) | instskip(NEXT) | instid1(SALU_CYCLE_1)
	s_and_b32 s2, s2, s3
	s_and_b32 vcc_lo, exec_lo, s2
	s_cbranch_vccnz .LBB1891_17
; %bb.1:
	s_load_b64 s[2:3], s[0:1], 0x0
	s_lshl_b32 s12, s14, 5
	s_lshl_b32 s13, s13, 5
	s_waitcnt lgkmcnt(0)
	s_and_b32 s2, 1, s2
	s_delay_alu instid0(SALU_CYCLE_1) | instskip(SKIP_1) | instid1(SALU_CYCLE_1)
	s_cmp_eq_u32 s2, 1
	s_cselect_b32 s2, -1, 0
	s_and_b32 s4, s2, exec_lo
	s_cselect_b32 s4, s13, s12
	s_cselect_b32 s5, s12, s13
	s_delay_alu instid0(SALU_CYCLE_1)
	s_cmp_gt_i32 s4, s5
	s_cbranch_scc1 .LBB1891_17
; %bb.2:
	v_cmp_lt_i64_e64 s4, s[16:17], 1
	s_delay_alu instid0(VALU_DEP_1)
	s_and_b32 vcc_lo, exec_lo, s4
	s_cbranch_vccnz .LBB1891_17
; %bb.3:
	s_clause 0x1
	s_load_b128 s[4:7], s[0:1], 0x48
	s_load_b64 s[0:1], s[0:1], 0x58
	s_mov_b32 s10, s15
	s_mov_b32 s11, 0
	v_bfe_u32 v6, v0, 10, 10
	v_and_b32_e32 v7, 0x3ff, v0
	s_lshl_b64 s[18:19], s[10:11], 3
	v_mov_b32_e32 v3, 0
	s_add_u32 s10, s20, s18
	v_add_nc_u32_e32 v4, s12, v6
	s_addc_u32 s11, s21, s19
	s_add_u32 s12, s26, s18
	v_dual_mov_b32 v5, v3 :: v_dual_add_nc_u32 v2, s13, v7
	s_addc_u32 s13, s27, s19
	s_load_b64 s[10:11], s[10:11], 0x0
	v_ashrrev_i32_e32 v10, 31, v4
	v_mad_u64_u32 v[0:1], null, s28, v4, 0
	v_max_i32_e32 v14, v2, v4
	s_waitcnt lgkmcnt(0)
	s_add_u32 s18, s4, s18
	s_addc_u32 s19, s5, s19
	s_load_b64 s[4:5], s[12:13], 0x0
	s_load_b64 s[12:13], s[18:19], 0x0
	v_mul_lo_u32 v18, v10, s6
	v_mul_lo_u32 v19, v4, s7
	v_mad_u64_u32 v[12:13], null, v4, s6, 0
	v_cmp_gt_i32_e32 vcc_lo, s3, v14
	v_mad_u64_u32 v[14:15], null, s29, v4, v[1:2]
	s_lshl_b64 s[0:1], s[0:1], 3
	v_lshlrev_b32_e32 v22, 3, v6
	s_mov_b32 s14, s3
	s_delay_alu instid0(VALU_DEP_4)
	v_add3_u32 v13, v13, v19, v18
	v_cndmask_b32_e64 v16, v2, v4, s2
	v_cndmask_b32_e64 v17, v4, v2, s2
	v_mov_b32_e32 v1, v14
	v_mad_u64_u32 v[14:15], null, s28, v2, 0
	v_lshlrev_b64 v[12:13], 3, v[12:13]
	v_lshlrev_b32_e32 v8, 8, v7
	s_delay_alu instid0(VALU_DEP_4)
	v_lshlrev_b64 v[0:1], 3, v[0:1]
	s_waitcnt lgkmcnt(0)
	s_add_u32 s6, s12, s0
	s_addc_u32 s7, s13, s1
	s_ashr_i32 s15, s3, 31
	v_cmp_le_i32_e64 s2, v17, v16
	v_cmp_gt_i64_e64 s0, s[14:15], v[2:3]
	v_ashrrev_i32_e32 v3, 31, v2
	v_cmp_gt_i64_e64 s1, s[14:15], v[4:5]
	v_add_co_u32 v5, s3, s6, v12
	s_delay_alu instid0(VALU_DEP_1) | instskip(NEXT) | instid1(VALU_DEP_4)
	v_add_co_ci_u32_e64 v18, s3, s7, v13, s3
	v_lshlrev_b64 v[12:13], 3, v[2:3]
	v_mov_b32_e32 v3, v15
	s_lshl_b64 s[6:7], s[30:31], 3
	v_lshlrev_b32_e32 v23, 3, v7
	v_add_co_u32 v19, s3, v0, s6
	s_delay_alu instid0(VALU_DEP_3) | instskip(SKIP_3) | instid1(VALU_DEP_1)
	v_mad_u64_u32 v[15:16], null, s29, v2, v[3:4]
	v_mad_u64_u32 v[16:17], null, s22, v4, 0
	v_add_co_ci_u32_e64 v20, s3, s7, v1, s3
	v_add_co_u32 v0, s3, v5, v12
	v_add_co_ci_u32_e64 v1, s3, v18, v13, s3
	s_delay_alu instid0(VALU_DEP_4) | instskip(SKIP_3) | instid1(VALU_DEP_4)
	v_dual_mov_b32 v3, v17 :: v_dual_add_nc_u32 v10, v8, v22
	v_add_co_u32 v5, s3, v19, v23
	v_mad_u64_u32 v[18:19], null, s22, v2, 0
	v_add_co_ci_u32_e64 v12, s3, 0, v20, s3
	v_mad_u64_u32 v[20:21], null, s23, v4, v[3:4]
	s_delay_alu instid0(VALU_DEP_4)
	v_add_co_u32 v5, s3, v5, s4
	v_or_b32_e32 v9, 0x2000, v22
	v_mov_b32_e32 v3, v19
	v_add_co_ci_u32_e64 v13, s3, s5, v12, s3
	v_lshlrev_b64 v[14:15], 3, v[14:15]
	v_add_co_u32 v12, s3, v5, 4
	v_dual_mov_b32 v17, v20 :: v_dual_add_nc_u32 v20, 0x800, v9
	v_mad_u64_u32 v[4:5], null, s23, v2, v[3:4]
	v_add_co_ci_u32_e64 v13, s3, 0, v13, s3
	v_add_co_u32 v2, s3, v14, s6
	s_delay_alu instid0(VALU_DEP_1) | instskip(NEXT) | instid1(VALU_DEP_4)
	v_add_co_ci_u32_e64 v3, s3, s7, v15, s3
	v_mov_b32_e32 v19, v4
	s_delay_alu instid0(VALU_DEP_3) | instskip(NEXT) | instid1(VALU_DEP_1)
	v_add_co_u32 v5, s3, v2, v22
	v_add_co_ci_u32_e64 v15, s3, 0, v3, s3
	v_lshlrev_b64 v[2:3], 3, v[16:17]
	s_delay_alu instid0(VALU_DEP_3) | instskip(SKIP_1) | instid1(VALU_DEP_4)
	v_add_co_u32 v14, s3, s4, v5
	v_lshlrev_b64 v[4:5], 3, v[18:19]
	v_add_co_ci_u32_e64 v15, s3, s5, v15, s3
	s_lshl_b64 s[4:5], s[24:25], 3
	v_add_nc_u32_e32 v11, v9, v8
	v_add_co_u32 v2, s3, v2, s4
	s_delay_alu instid0(VALU_DEP_1) | instskip(SKIP_1) | instid1(VALU_DEP_1)
	v_add_co_ci_u32_e64 v3, s3, s5, v3, s3
	v_add_co_u32 v4, s3, v4, s4
	v_add_co_ci_u32_e64 v5, s3, s5, v5, s3
	s_delay_alu instid0(VALU_DEP_4) | instskip(NEXT) | instid1(VALU_DEP_1)
	v_add_co_u32 v2, s3, v2, v23
	v_add_co_ci_u32_e64 v3, s3, 0, v3, s3
	s_delay_alu instid0(VALU_DEP_4) | instskip(SKIP_3) | instid1(VALU_DEP_1)
	v_add_co_u32 v4, s3, v4, v22
	v_add_nc_u32_e32 v22, 0x1800, v9
	v_add_co_ci_u32_e64 v5, s3, 0, v5, s3
	v_add_co_u32 v2, s3, v2, s10
	v_add_co_ci_u32_e64 v3, s3, s11, v3, s3
	v_add_co_u32 v4, s3, v4, s10
	s_delay_alu instid0(VALU_DEP_1) | instskip(NEXT) | instid1(VALU_DEP_4)
	v_add_co_ci_u32_e64 v5, s3, s11, v5, s3
	v_add_co_u32 v16, s3, v2, 4
	s_delay_alu instid0(VALU_DEP_1) | instskip(NEXT) | instid1(VALU_DEP_4)
	v_add_co_ci_u32_e64 v17, s3, 0, v3, s3
	v_add_co_u32 v18, s3, v4, 4
	s_delay_alu instid0(VALU_DEP_1)
	v_add_co_ci_u32_e64 v19, s3, 0, v5, s3
	v_add_nc_u32_e32 v21, 0x1000, v9
	s_and_b32 s6, s2, vcc_lo
	s_mov_b64 s[2:3], 0
	s_mov_b64 s[4:5], 0
	s_branch .LBB1891_5
.LBB1891_4:                             ;   in Loop: Header=BB1891_5 Depth=1
	s_or_b32 exec_lo, exec_lo, s7
	s_add_u32 s4, s4, 32
	s_addc_u32 s5, s5, 0
	s_add_u32 s2, s2, 0x100
	v_cmp_lt_i64_e64 s7, s[4:5], s[16:17]
	s_addc_u32 s3, s3, 0
	s_waitcnt_vscnt null, 0x0
	s_barrier
	buffer_gl0_inv
	s_and_b32 vcc_lo, exec_lo, s7
	s_cbranch_vccz .LBB1891_17
.LBB1891_5:                             ; =>This Inner Loop Header: Depth=1
	v_add_co_u32 v2, s7, v6, s4
	s_delay_alu instid0(VALU_DEP_1) | instskip(NEXT) | instid1(VALU_DEP_1)
	v_add_co_ci_u32_e64 v3, null, 0, s5, s7
	v_cmp_gt_i64_e32 vcc_lo, s[16:17], v[2:3]
	v_dual_mov_b32 v2, 0 :: v_dual_mov_b32 v3, 0
	s_and_b32 s7, s0, vcc_lo
	s_delay_alu instid0(SALU_CYCLE_1)
	s_and_saveexec_b32 s10, s7
	s_cbranch_execz .LBB1891_7
; %bb.6:                                ;   in Loop: Header=BB1891_5 Depth=1
	v_add_co_u32 v2, vcc_lo, v18, s2
	v_add_co_ci_u32_e32 v3, vcc_lo, s3, v19, vcc_lo
	global_load_b64 v[2:3], v[2:3], off offset:-4
	s_waitcnt vmcnt(0)
	v_xor_b32_e32 v3, 0x80000000, v3
.LBB1891_7:                             ;   in Loop: Header=BB1891_5 Depth=1
	s_or_b32 exec_lo, exec_lo, s10
	v_add_co_u32 v4, s10, v7, s4
	s_delay_alu instid0(VALU_DEP_1) | instskip(SKIP_4) | instid1(SALU_CYCLE_1)
	v_add_co_ci_u32_e64 v5, null, 0, s5, s10
	ds_store_b64 v10, v[2:3]
	v_cmp_gt_i64_e32 vcc_lo, s[16:17], v[4:5]
	v_dual_mov_b32 v4, 0 :: v_dual_mov_b32 v5, 0
	s_and_b32 s10, s1, vcc_lo
	s_and_saveexec_b32 s11, s10
	s_cbranch_execz .LBB1891_9
; %bb.8:                                ;   in Loop: Header=BB1891_5 Depth=1
	v_add_co_u32 v2, vcc_lo, v12, s2
	v_add_co_ci_u32_e32 v3, vcc_lo, s3, v13, vcc_lo
	global_load_b64 v[4:5], v[2:3], off offset:-4
.LBB1891_9:                             ;   in Loop: Header=BB1891_5 Depth=1
	s_or_b32 exec_lo, exec_lo, s11
	s_waitcnt vmcnt(0)
	ds_store_b64 v11, v[4:5]
	s_waitcnt lgkmcnt(0)
	s_barrier
	buffer_gl0_inv
	s_and_saveexec_b32 s11, s6
	s_cbranch_execz .LBB1891_11
; %bb.10:                               ;   in Loop: Header=BB1891_5 Depth=1
	global_load_b64 v[143:144], v[0:1], off
	ds_load_2addr_b64 v[2:5], v9 offset1:32
	ds_load_b128 v[23:26], v8
	ds_load_b128 v[27:30], v8 offset:16
	ds_load_b128 v[31:34], v8 offset:32
	;; [unrolled: 1-line block ×3, first 2 shown]
	ds_load_2addr_b64 v[39:42], v9 offset0:64 offset1:96
	ds_load_2addr_b64 v[43:46], v9 offset0:128 offset1:160
	;; [unrolled: 1-line block ×3, first 2 shown]
	ds_load_2addr_b64 v[51:54], v20 offset1:32
	ds_load_b128 v[55:58], v8 offset:64
	ds_load_b128 v[59:62], v8 offset:80
	ds_load_2addr_b64 v[63:66], v20 offset0:64 offset1:96
	ds_load_2addr_b64 v[67:70], v20 offset0:128 offset1:160
	ds_load_b128 v[71:74], v8 offset:96
	ds_load_b128 v[75:78], v8 offset:112
	ds_load_2addr_b64 v[79:82], v20 offset0:192 offset1:224
	ds_load_2addr_b64 v[83:86], v21 offset1:32
	ds_load_b128 v[87:90], v8 offset:128
	ds_load_b128 v[91:94], v8 offset:144
	ds_load_2addr_b64 v[95:98], v21 offset0:64 offset1:96
	ds_load_2addr_b64 v[99:102], v21 offset0:128 offset1:160
	ds_load_b128 v[103:106], v8 offset:160
	ds_load_b128 v[107:110], v8 offset:176
	ds_load_2addr_b64 v[111:114], v21 offset0:192 offset1:224
	ds_load_2addr_b64 v[115:118], v22 offset1:32
	ds_load_b128 v[119:122], v8 offset:192
	ds_load_b128 v[123:126], v8 offset:208
	ds_load_2addr_b64 v[127:130], v22 offset0:64 offset1:96
	ds_load_2addr_b64 v[131:134], v22 offset0:128 offset1:160
	s_waitcnt lgkmcnt(27)
	v_dual_mul_f32 v145, v3, v24 :: v_dual_mul_f32 v146, v5, v26
	v_mul_f32_e32 v24, v2, v24
	v_mul_f32_e32 v26, v4, v26
	s_waitcnt lgkmcnt(22)
	v_mul_f32_e32 v147, v44, v32
	v_fma_f32 v145, v2, v23, -v145
	v_mul_f32_e32 v32, v43, v32
	v_fmac_f32_e32 v24, v3, v23
	v_fma_f32 v23, v4, v25, -v146
	v_dual_fmac_f32 v26, v5, v25 :: v_dual_mul_f32 v25, v40, v28
	v_mul_f32_e32 v28, v39, v28
	v_mul_f32_e32 v146, v42, v30
	;; [unrolled: 1-line block ×3, first 2 shown]
	v_fma_f32 v43, v43, v31, -v147
	v_fma_f32 v25, v39, v27, -v25
	s_waitcnt lgkmcnt(21)
	v_dual_mul_f32 v39, v50, v38 :: v_dual_fmac_f32 v28, v40, v27
	v_fma_f32 v27, v41, v29, -v146
	s_waitcnt lgkmcnt(19)
	v_mul_f32_e32 v40, v52, v56
	v_dual_mul_f32 v41, v51, v56 :: v_dual_add_f32 v56, 0, v145
	v_mul_f32_e32 v148, v46, v34
	v_dual_fmac_f32 v30, v42, v29 :: v_dual_mul_f32 v29, v45, v34
	v_fmac_f32_e32 v32, v44, v31
	s_delay_alu instid0(VALU_DEP_4) | instskip(NEXT) | instid1(VALU_DEP_4)
	v_add_f32_e32 v23, v56, v23
	v_fma_f32 v31, v45, v33, -v148
	s_delay_alu instid0(VALU_DEP_4) | instskip(SKIP_1) | instid1(VALU_DEP_4)
	v_dual_mul_f32 v38, v49, v38 :: v_dual_fmac_f32 v29, v46, v33
	v_mul_f32_e32 v33, v53, v58
	v_dual_add_f32 v23, v23, v25 :: v_dual_mul_f32 v34, v48, v36
	v_mul_f32_e32 v36, v47, v36
	s_waitcnt lgkmcnt(13)
	v_mul_f32_e32 v25, v79, v76
	v_fmac_f32_e32 v33, v54, v57
	v_dual_add_f32 v23, v23, v27 :: v_dual_mul_f32 v42, v54, v58
	v_fma_f32 v34, v47, v35, -v34
	s_waitcnt lgkmcnt(11)
	v_dual_mul_f32 v27, v84, v88 :: v_dual_fmac_f32 v38, v50, v37
	s_delay_alu instid0(VALU_DEP_3) | instskip(SKIP_3) | instid1(VALU_DEP_3)
	v_dual_add_f32 v23, v23, v43 :: v_dual_add_f32 v24, 0, v24
	s_waitcnt lgkmcnt(9)
	v_dual_mul_f32 v43, v95, v92 :: v_dual_mul_f32 v58, v65, v62
	v_fmac_f32_e32 v41, v52, v55
	v_dual_add_f32 v23, v23, v31 :: v_dual_add_f32 v24, v24, v26
	v_mul_f32_e32 v26, v68, v72
	v_fma_f32 v27, v83, v87, -v27
	v_dual_mul_f32 v44, v64, v60 :: v_dual_mul_f32 v47, v98, v94
	s_delay_alu instid0(VALU_DEP_4) | instskip(NEXT) | instid1(VALU_DEP_4)
	v_add_f32_e32 v23, v23, v34
	v_fma_f32 v26, v67, v71, -v26
	v_fmac_f32_e32 v36, v48, v35
	v_fma_f32 v35, v49, v37, -v39
	v_mul_f32_e32 v56, v70, v74
	v_mul_f32_e32 v39, v85, v90
	v_dual_mul_f32 v45, v63, v60 :: v_dual_mul_f32 v46, v66, v62
	s_delay_alu instid0(VALU_DEP_4) | instskip(NEXT) | instid1(VALU_DEP_2)
	v_dual_add_f32 v23, v23, v35 :: v_dual_add_f32 v24, v24, v28
	v_dual_mul_f32 v28, v69, v74 :: v_dual_fmac_f32 v45, v64, v59
	s_delay_alu instid0(VALU_DEP_4)
	v_dual_fmac_f32 v39, v86, v89 :: v_dual_mul_f32 v60, v67, v72
	s_waitcnt lgkmcnt(7)
	v_mul_f32_e32 v35, v102, v106
	v_add_f32_e32 v24, v24, v30
	v_fmac_f32_e32 v58, v66, v61
	v_mul_f32_e32 v62, v80, v76
	v_fmac_f32_e32 v28, v70, v73
	v_fma_f32 v35, v101, v105, -v35
	v_add_f32_e32 v24, v24, v32
	v_dual_mul_f32 v72, v81, v78 :: v_dual_fmac_f32 v25, v80, v75
	ds_load_b128 v[135:138], v8 offset:224
	ds_load_b128 v[139:142], v8 offset:240
	v_mul_f32_e32 v32, v83, v88
	v_add_f32_e32 v24, v24, v29
	v_dual_mul_f32 v29, v96, v92 :: v_dual_fmac_f32 v72, v82, v77
	v_mul_f32_e32 v37, v86, v90
	s_delay_alu instid0(VALU_DEP_3) | instskip(NEXT) | instid1(VALU_DEP_3)
	v_dual_mul_f32 v31, v97, v94 :: v_dual_add_f32 v24, v24, v36
	v_fma_f32 v29, v95, v91, -v29
	v_fmac_f32_e32 v60, v68, v71
	v_dual_mul_f32 v34, v99, v104 :: v_dual_fmac_f32 v43, v96, v91
	s_delay_alu instid0(VALU_DEP_4) | instskip(SKIP_4) | instid1(VALU_DEP_4)
	v_add_f32_e32 v24, v24, v38
	v_fma_f32 v38, v51, v55, -v40
	v_fma_f32 v40, v53, v57, -v42
	;; [unrolled: 1-line block ×3, first 2 shown]
	v_fmac_f32_e32 v31, v98, v93
	v_dual_add_f32 v24, v24, v41 :: v_dual_add_f32 v23, v23, v38
	v_fma_f32 v38, v63, v59, -v44
	v_fma_f32 v41, v65, v61, -v46
	ds_load_2addr_b64 v[2:5], v22 offset0:192 offset1:224
	v_dual_add_f32 v24, v24, v33 :: v_dual_add_f32 v23, v23, v40
	s_waitcnt lgkmcnt(8)
	v_dual_mul_f32 v33, v101, v106 :: v_dual_mul_f32 v40, v112, v108
	v_fmac_f32_e32 v34, v100, v103
	s_delay_alu instid0(VALU_DEP_3) | instskip(SKIP_1) | instid1(VALU_DEP_4)
	v_dual_add_f32 v24, v24, v45 :: v_dual_add_f32 v23, v23, v38
	v_mul_f32_e32 v30, v82, v78
	v_dual_fmac_f32 v33, v102, v105 :: v_dual_mul_f32 v38, v111, v108
	s_delay_alu instid0(VALU_DEP_3) | instskip(NEXT) | instid1(VALU_DEP_3)
	v_dual_add_f32 v24, v24, v58 :: v_dual_add_f32 v23, v23, v41
	v_fma_f32 v30, v81, v77, -v30
	v_dual_mul_f32 v41, v114, v110 :: v_dual_fmac_f32 v32, v84, v87
	s_delay_alu instid0(VALU_DEP_3) | instskip(SKIP_1) | instid1(VALU_DEP_2)
	v_dual_add_f32 v24, v24, v60 :: v_dual_add_f32 v23, v23, v26
	v_mul_f32_e32 v26, v113, v110
	v_add_f32_e32 v24, v24, v28
	v_fma_f32 v28, v79, v75, -v62
	s_delay_alu instid0(VALU_DEP_2) | instskip(SKIP_2) | instid1(VALU_DEP_2)
	v_dual_add_f32 v23, v23, v42 :: v_dual_add_f32 v24, v24, v25
	s_waitcnt lgkmcnt(6)
	v_mul_f32_e32 v25, v116, v120
	v_add_f32_e32 v23, v23, v28
	v_mul_f32_e32 v36, v100, v104
	s_delay_alu instid0(VALU_DEP_3) | instskip(NEXT) | instid1(VALU_DEP_3)
	v_fma_f32 v25, v115, v119, -v25
	v_add_f32_e32 v23, v23, v30
	s_delay_alu instid0(VALU_DEP_1) | instskip(SKIP_1) | instid1(VALU_DEP_1)
	v_dual_mul_f32 v30, v118, v122 :: v_dual_add_f32 v23, v23, v27
	v_dual_mul_f32 v27, v117, v122 :: v_dual_add_f32 v24, v24, v72
	v_dual_fmac_f32 v27, v118, v121 :: v_dual_add_f32 v24, v24, v32
	v_fma_f32 v32, v85, v89, -v37
	v_fma_f32 v37, v97, v93, -v47
	s_delay_alu instid0(VALU_DEP_2) | instskip(NEXT) | instid1(VALU_DEP_1)
	v_dual_add_f32 v24, v24, v39 :: v_dual_add_f32 v23, v23, v32
	v_dual_add_f32 v24, v24, v43 :: v_dual_add_f32 v23, v23, v29
	s_waitcnt lgkmcnt(4)
	v_mul_f32_e32 v29, v127, v124
	v_mul_f32_e32 v28, v115, v120
	s_delay_alu instid0(VALU_DEP_3)
	v_add_f32_e32 v24, v24, v31
	v_fma_f32 v31, v99, v103, -v36
	v_add_f32_e32 v23, v23, v37
	v_fmac_f32_e32 v29, v128, v123
	v_fmac_f32_e32 v28, v116, v119
	v_add_f32_e32 v24, v24, v34
	v_fma_f32 v36, v113, v109, -v41
	v_add_f32_e32 v23, v23, v31
	v_dual_mul_f32 v31, v129, v126 :: v_dual_fmac_f32 v38, v112, v107
	s_delay_alu instid0(VALU_DEP_4) | instskip(SKIP_1) | instid1(VALU_DEP_4)
	v_add_f32_e32 v24, v24, v33
	v_fma_f32 v33, v111, v107, -v40
	v_add_f32_e32 v23, v23, v35
	s_waitcnt lgkmcnt(2)
	v_dual_mul_f32 v35, v132, v136 :: v_dual_fmac_f32 v26, v114, v109
	v_dual_add_f32 v24, v24, v38 :: v_dual_fmac_f32 v31, v130, v125
	s_delay_alu instid0(VALU_DEP_1) | instskip(NEXT) | instid1(VALU_DEP_1)
	v_dual_add_f32 v23, v23, v33 :: v_dual_add_f32 v24, v24, v26
	v_add_f32_e32 v23, v23, v36
	s_delay_alu instid0(VALU_DEP_2) | instskip(NEXT) | instid1(VALU_DEP_2)
	v_add_f32_e32 v24, v24, v28
	v_dual_mul_f32 v28, v134, v138 :: v_dual_add_f32 v23, v23, v25
	s_delay_alu instid0(VALU_DEP_2) | instskip(NEXT) | instid1(VALU_DEP_2)
	v_dual_mul_f32 v25, v133, v138 :: v_dual_add_f32 v24, v24, v27
	v_fma_f32 v28, v133, v137, -v28
	s_delay_alu instid0(VALU_DEP_2) | instskip(SKIP_1) | instid1(VALU_DEP_3)
	v_dual_fmac_f32 v25, v134, v137 :: v_dual_mul_f32 v26, v131, v136
	s_waitcnt lgkmcnt(0)
	v_dual_add_f32 v24, v24, v29 :: v_dual_mul_f32 v29, v3, v140
	v_fma_f32 v30, v117, v121, -v30
	s_delay_alu instid0(VALU_DEP_3) | instskip(NEXT) | instid1(VALU_DEP_3)
	v_fmac_f32_e32 v26, v132, v135
	v_add_f32_e32 v24, v24, v31
	v_fma_f32 v31, v131, v135, -v35
	s_delay_alu instid0(VALU_DEP_4) | instskip(SKIP_1) | instid1(VALU_DEP_4)
	v_dual_add_f32 v23, v23, v30 :: v_dual_mul_f32 v32, v128, v124
	v_mul_f32_e32 v34, v130, v126
	v_add_f32_e32 v24, v24, v26
	v_mul_f32_e32 v26, v4, v142
	s_delay_alu instid0(VALU_DEP_4) | instskip(NEXT) | instid1(VALU_DEP_4)
	v_fma_f32 v27, v127, v123, -v32
	v_fma_f32 v30, v129, v125, -v34
	s_delay_alu instid0(VALU_DEP_2) | instskip(SKIP_2) | instid1(VALU_DEP_3)
	v_dual_fmac_f32 v26, v5, v141 :: v_dual_add_f32 v23, v23, v27
	v_mul_f32_e32 v27, v2, v140
	v_fma_f32 v2, v2, v139, -v29
	v_add_f32_e32 v23, v23, v30
	s_delay_alu instid0(VALU_DEP_3) | instskip(NEXT) | instid1(VALU_DEP_2)
	v_fmac_f32_e32 v27, v3, v139
	v_add_f32_e32 v3, v23, v31
	v_dual_add_f32 v23, v24, v25 :: v_dual_mul_f32 v24, v5, v142
	s_delay_alu instid0(VALU_DEP_2) | instskip(NEXT) | instid1(VALU_DEP_2)
	v_add_f32_e32 v3, v3, v28
	v_add_f32_e32 v5, v23, v27
	s_delay_alu instid0(VALU_DEP_3) | instskip(NEXT) | instid1(VALU_DEP_3)
	v_fma_f32 v4, v4, v141, -v24
	v_add_f32_e32 v2, v3, v2
	s_delay_alu instid0(VALU_DEP_1) | instskip(NEXT) | instid1(VALU_DEP_1)
	v_dual_add_f32 v3, v5, v26 :: v_dual_add_f32 v2, v2, v4
	v_mul_f32_e32 v4, s9, v3
	v_mul_f32_e32 v3, s8, v3
	s_delay_alu instid0(VALU_DEP_2) | instskip(SKIP_1) | instid1(VALU_DEP_1)
	v_fma_f32 v4, s8, v2, -v4
	s_waitcnt vmcnt(0)
	v_dual_fmac_f32 v3, s9, v2 :: v_dual_add_f32 v2, v143, v4
	s_delay_alu instid0(VALU_DEP_1)
	v_add_f32_e32 v3, v144, v3
	global_store_b64 v[0:1], v[2:3], off
.LBB1891_11:                            ;   in Loop: Header=BB1891_5 Depth=1
	s_or_b32 exec_lo, exec_lo, s11
	v_dual_mov_b32 v3, 0 :: v_dual_mov_b32 v4, 0
	v_mov_b32_e32 v5, 0
	s_waitcnt_vscnt null, 0x0
	s_barrier
	buffer_gl0_inv
	s_and_saveexec_b32 s11, s7
	s_cbranch_execz .LBB1891_13
; %bb.12:                               ;   in Loop: Header=BB1891_5 Depth=1
	v_add_co_u32 v4, vcc_lo, v14, s2
	v_add_co_ci_u32_e32 v5, vcc_lo, s3, v15, vcc_lo
	global_load_b64 v[4:5], v[4:5], off
	s_waitcnt vmcnt(0)
	v_xor_b32_e32 v5, 0x80000000, v5
.LBB1891_13:                            ;   in Loop: Header=BB1891_5 Depth=1
	s_or_b32 exec_lo, exec_lo, s11
	v_mov_b32_e32 v2, 0
	ds_store_b64 v10, v[4:5]
	s_and_saveexec_b32 s7, s10
	s_cbranch_execz .LBB1891_15
; %bb.14:                               ;   in Loop: Header=BB1891_5 Depth=1
	v_add_co_u32 v2, vcc_lo, v16, s2
	v_add_co_ci_u32_e32 v3, vcc_lo, s3, v17, vcc_lo
	global_load_b64 v[2:3], v[2:3], off offset:-4
.LBB1891_15:                            ;   in Loop: Header=BB1891_5 Depth=1
	s_or_b32 exec_lo, exec_lo, s7
	s_waitcnt vmcnt(0)
	ds_store_b64 v11, v[2:3]
	s_waitcnt lgkmcnt(0)
	s_barrier
	buffer_gl0_inv
	s_and_saveexec_b32 s7, s6
	s_cbranch_execz .LBB1891_4
; %bb.16:                               ;   in Loop: Header=BB1891_5 Depth=1
	global_load_b64 v[147:148], v[0:1], off
	ds_load_b128 v[2:5], v8
	ds_load_b128 v[23:26], v8 offset:16
	ds_load_2addr_b64 v[27:30], v9 offset1:32
	ds_load_b128 v[31:34], v8 offset:32
	ds_load_b128 v[35:38], v8 offset:48
	ds_load_2addr_b64 v[39:42], v9 offset0:64 offset1:96
	ds_load_2addr_b64 v[43:46], v9 offset0:128 offset1:160
	;; [unrolled: 1-line block ×3, first 2 shown]
	ds_load_2addr_b64 v[51:54], v20 offset1:32
	ds_load_b128 v[55:58], v8 offset:64
	ds_load_b128 v[59:62], v8 offset:80
	ds_load_2addr_b64 v[63:66], v20 offset0:64 offset1:96
	ds_load_2addr_b64 v[67:70], v20 offset0:128 offset1:160
	ds_load_b128 v[71:74], v8 offset:96
	ds_load_b128 v[75:78], v8 offset:112
	ds_load_2addr_b64 v[79:82], v20 offset0:192 offset1:224
	ds_load_2addr_b64 v[83:86], v21 offset1:32
	ds_load_b128 v[87:90], v8 offset:128
	ds_load_b128 v[91:94], v8 offset:144
	ds_load_2addr_b64 v[95:98], v21 offset0:64 offset1:96
	ds_load_2addr_b64 v[99:102], v21 offset0:128 offset1:160
	ds_load_b128 v[103:106], v8 offset:160
	ds_load_b128 v[107:110], v8 offset:176
	ds_load_2addr_b64 v[111:114], v21 offset0:192 offset1:224
	;; [unrolled: 8-line block ×3, first 2 shown]
	s_waitcnt lgkmcnt(29)
	v_dual_mul_f32 v149, v28, v3 :: v_dual_mul_f32 v150, v30, v5
	s_waitcnt lgkmcnt(26)
	v_dual_mul_f32 v3, v27, v3 :: v_dual_mul_f32 v152, v42, v26
	v_mul_f32_e32 v5, v29, v5
	s_waitcnt lgkmcnt(25)
	v_dual_mul_f32 v153, v44, v32 :: v_dual_mul_f32 v154, v46, v34
	s_delay_alu instid0(VALU_DEP_3)
	v_dual_mul_f32 v32, v43, v32 :: v_dual_fmac_f32 v3, v28, v2
	v_fma_f32 v27, v27, v2, -v149
	v_dual_mul_f32 v151, v40, v24 :: v_dual_mul_f32 v26, v41, v26
	v_mul_f32_e32 v24, v39, v24
	s_waitcnt lgkmcnt(24)
	v_dual_mul_f32 v34, v45, v34 :: v_dual_mul_f32 v155, v48, v36
	v_dual_mul_f32 v36, v47, v36 :: v_dual_add_f32 v27, 0, v27
	s_waitcnt lgkmcnt(22)
	v_dual_mul_f32 v156, v50, v38 :: v_dual_mul_f32 v157, v52, v56
	v_dual_mul_f32 v56, v51, v56 :: v_dual_add_f32 v3, 0, v3
	s_waitcnt lgkmcnt(18)
	v_dual_mul_f32 v158, v54, v58 :: v_dual_mul_f32 v161, v68, v72
	v_dual_mul_f32 v58, v53, v58 :: v_dual_fmac_f32 v5, v30, v4
	v_fma_f32 v2, v29, v4, -v150
	v_dual_mul_f32 v38, v49, v38 :: v_dual_mul_f32 v159, v64, v60
	v_mul_f32_e32 v60, v63, v60
	s_waitcnt lgkmcnt(16)
	v_dual_mul_f32 v160, v66, v62 :: v_dual_mul_f32 v29, v79, v76
	v_dual_mul_f32 v62, v65, v62 :: v_dual_add_f32 v3, v3, v5
	v_add_f32_e32 v2, v27, v2
	s_waitcnt lgkmcnt(14)
	v_mul_f32_e32 v27, v85, v90
	v_fmac_f32_e32 v29, v80, v75
	v_fmac_f32_e32 v24, v40, v23
	v_mul_f32_e32 v4, v69, v74
	s_delay_alu instid0(VALU_DEP_4) | instskip(NEXT) | instid1(VALU_DEP_3)
	v_dual_fmac_f32 v56, v52, v55 :: v_dual_fmac_f32 v27, v86, v89
	v_dual_fmac_f32 v26, v42, v25 :: v_dual_add_f32 v3, v3, v24
	v_mul_f32_e32 v28, v80, v76
	v_fmac_f32_e32 v60, v64, v59
	v_fmac_f32_e32 v32, v44, v31
	s_waitcnt lgkmcnt(12)
	v_dual_mul_f32 v162, v70, v74 :: v_dual_mul_f32 v5, v96, v92
	v_add_f32_e32 v3, v3, v26
	v_mul_f32_e32 v74, v81, v78
	v_fmac_f32_e32 v62, v66, v61
	v_fmac_f32_e32 v34, v46, v33
	s_delay_alu instid0(VALU_DEP_4)
	v_dual_fmac_f32 v4, v70, v73 :: v_dual_add_f32 v3, v3, v32
	v_mul_f32_e32 v76, v84, v88
	v_fmac_f32_e32 v36, v48, v35
	v_mul_f32_e32 v30, v82, v78
	v_mul_f32_e32 v78, v83, v88
	v_add_f32_e32 v3, v3, v34
	v_mul_f32_e32 v88, v86, v90
	v_fma_f32 v39, v39, v23, -v151
	v_fmac_f32_e32 v38, v50, v37
	v_fma_f32 v23, v41, v25, -v152
	v_dual_add_f32 v3, v3, v36 :: v_dual_fmac_f32 v58, v54, v57
	s_delay_alu instid0(VALU_DEP_4) | instskip(SKIP_2) | instid1(VALU_DEP_4)
	v_add_f32_e32 v2, v2, v39
	v_mul_f32_e32 v72, v67, v72
	v_fma_f32 v25, v43, v31, -v153
	v_add_f32_e32 v3, v3, v38
	v_fma_f32 v24, v45, v33, -v154
	v_fma_f32 v26, v47, v35, -v155
	;; [unrolled: 1-line block ×3, first 2 shown]
	s_delay_alu instid0(VALU_DEP_4) | instskip(SKIP_4) | instid1(VALU_DEP_4)
	v_dual_fmac_f32 v74, v82, v77 :: v_dual_add_f32 v3, v3, v56
	v_add_f32_e32 v2, v2, v23
	v_fma_f32 v32, v51, v55, -v157
	v_mul_f32_e32 v23, v95, v92
	v_fma_f32 v33, v53, v57, -v158
	v_dual_add_f32 v3, v3, v58 :: v_dual_add_f32 v2, v2, v25
	v_dual_mul_f32 v25, v98, v94 :: v_dual_fmac_f32 v72, v68, v71
	v_fma_f32 v34, v63, v59, -v159
	s_delay_alu instid0(VALU_DEP_3) | instskip(NEXT) | instid1(VALU_DEP_4)
	v_add_f32_e32 v3, v3, v60
	v_add_f32_e32 v2, v2, v24
	v_fma_f32 v35, v65, v61, -v160
	v_fma_f32 v36, v67, v71, -v161
	;; [unrolled: 1-line block ×3, first 2 shown]
	v_add_f32_e32 v3, v3, v62
	v_dual_mul_f32 v24, v97, v94 :: v_dual_fmac_f32 v23, v96, v91
	v_fma_f32 v28, v79, v75, -v28
	v_fma_f32 v30, v81, v77, -v30
	s_delay_alu instid0(VALU_DEP_3) | instskip(SKIP_2) | instid1(VALU_DEP_3)
	v_dual_add_f32 v3, v3, v72 :: v_dual_fmac_f32 v24, v98, v93
	v_fma_f32 v5, v95, v91, -v5
	v_fma_f32 v25, v97, v93, -v25
	v_dual_add_f32 v3, v3, v4 :: v_dual_add_f32 v2, v2, v26
	s_waitcnt lgkmcnt(10)
	s_delay_alu instid0(VALU_DEP_1) | instskip(SKIP_2) | instid1(VALU_DEP_2)
	v_dual_add_f32 v3, v3, v29 :: v_dual_mul_f32 v26, v100, v104
	s_waitcnt lgkmcnt(6)
	v_mul_f32_e32 v29, v115, v120
	v_dual_add_f32 v3, v3, v74 :: v_dual_add_f32 v2, v2, v31
	v_mul_f32_e32 v31, v99, v104
	v_fma_f32 v26, v99, v103, -v26
	s_delay_alu instid0(VALU_DEP_3) | instskip(NEXT) | instid1(VALU_DEP_1)
	v_dual_fmac_f32 v29, v116, v119 :: v_dual_add_f32 v2, v2, v32
	v_dual_fmac_f32 v31, v100, v103 :: v_dual_add_f32 v2, v2, v33
	v_dual_mul_f32 v33, v101, v106 :: v_dual_fmac_f32 v78, v84, v87
	s_delay_alu instid0(VALU_DEP_1) | instskip(NEXT) | instid1(VALU_DEP_2)
	v_fmac_f32_e32 v33, v102, v105
	v_add_f32_e32 v3, v3, v78
	s_delay_alu instid0(VALU_DEP_1) | instskip(NEXT) | instid1(VALU_DEP_1)
	v_dual_mul_f32 v32, v102, v106 :: v_dual_add_f32 v3, v3, v27
	v_dual_add_f32 v3, v3, v23 :: v_dual_add_f32 v2, v2, v34
	v_mul_f32_e32 v34, v112, v108
	s_waitcnt lgkmcnt(4)
	v_mul_f32_e32 v23, v127, v124
	s_delay_alu instid0(VALU_DEP_3) | instskip(SKIP_1) | instid1(VALU_DEP_3)
	v_dual_add_f32 v3, v3, v24 :: v_dual_add_f32 v2, v2, v35
	v_mul_f32_e32 v35, v111, v108
	v_fmac_f32_e32 v23, v128, v123
	s_delay_alu instid0(VALU_DEP_3) | instskip(NEXT) | instid1(VALU_DEP_3)
	v_dual_add_f32 v3, v3, v31 :: v_dual_add_f32 v2, v2, v36
	v_dual_mul_f32 v36, v114, v110 :: v_dual_fmac_f32 v35, v112, v107
	s_delay_alu instid0(VALU_DEP_2) | instskip(NEXT) | instid1(VALU_DEP_3)
	v_add_f32_e32 v3, v3, v33
	v_dual_add_f32 v2, v2, v37 :: v_dual_mul_f32 v37, v113, v110
	v_mul_f32_e32 v4, v116, v120
	s_delay_alu instid0(VALU_DEP_4) | instskip(NEXT) | instid1(VALU_DEP_3)
	v_fma_f32 v27, v113, v109, -v36
	v_dual_add_f32 v3, v3, v35 :: v_dual_add_f32 v2, v2, v28
	s_delay_alu instid0(VALU_DEP_4) | instskip(SKIP_2) | instid1(VALU_DEP_3)
	v_fmac_f32_e32 v37, v114, v109
	v_fma_f32 v28, v83, v87, -v76
	v_fma_f32 v4, v115, v119, -v4
	v_dual_add_f32 v2, v2, v30 :: v_dual_add_f32 v3, v3, v37
	v_fma_f32 v30, v85, v89, -v88
	s_delay_alu instid0(VALU_DEP_2) | instskip(SKIP_1) | instid1(VALU_DEP_2)
	v_dual_add_f32 v3, v3, v29 :: v_dual_add_f32 v2, v2, v28
	v_mul_f32_e32 v28, v118, v122
	v_add_f32_e32 v2, v2, v30
	v_mul_f32_e32 v30, v117, v122
	s_delay_alu instid0(VALU_DEP_3) | instskip(NEXT) | instid1(VALU_DEP_2)
	v_fma_f32 v28, v117, v121, -v28
	v_fmac_f32_e32 v30, v118, v121
	s_delay_alu instid0(VALU_DEP_1) | instskip(NEXT) | instid1(VALU_DEP_1)
	v_add_f32_e32 v3, v3, v30
	v_dual_add_f32 v3, v3, v23 :: v_dual_add_f32 v2, v2, v5
	s_waitcnt lgkmcnt(0)
	v_dual_mul_f32 v23, v143, v140 :: v_dual_mul_f32 v24, v130, v126
	s_delay_alu instid0(VALU_DEP_2) | instskip(SKIP_1) | instid1(VALU_DEP_3)
	v_dual_mul_f32 v5, v128, v124 :: v_dual_add_f32 v2, v2, v25
	v_fma_f32 v25, v101, v105, -v32
	v_fmac_f32_e32 v23, v144, v139
	s_delay_alu instid0(VALU_DEP_3) | instskip(SKIP_3) | instid1(VALU_DEP_2)
	v_fma_f32 v5, v127, v123, -v5
	v_fma_f32 v24, v129, v125, -v24
	v_add_f32_e32 v2, v2, v26
	v_fma_f32 v26, v111, v107, -v34
	v_dual_add_f32 v2, v2, v25 :: v_dual_mul_f32 v25, v129, v126
	s_delay_alu instid0(VALU_DEP_1) | instskip(NEXT) | instid1(VALU_DEP_2)
	v_add_f32_e32 v2, v2, v26
	v_dual_mul_f32 v26, v132, v136 :: v_dual_fmac_f32 v25, v130, v125
	s_delay_alu instid0(VALU_DEP_2) | instskip(NEXT) | instid1(VALU_DEP_2)
	v_dual_add_f32 v2, v2, v27 :: v_dual_mul_f32 v27, v131, v136
	v_fma_f32 v26, v131, v135, -v26
	s_delay_alu instid0(VALU_DEP_2) | instskip(NEXT) | instid1(VALU_DEP_3)
	v_dual_add_f32 v3, v3, v25 :: v_dual_add_f32 v2, v2, v4
	v_dual_mul_f32 v4, v134, v138 :: v_dual_fmac_f32 v27, v132, v135
	s_delay_alu instid0(VALU_DEP_2) | instskip(SKIP_1) | instid1(VALU_DEP_3)
	v_add_f32_e32 v2, v2, v28
	v_mul_f32_e32 v28, v133, v138
	v_fma_f32 v4, v133, v137, -v4
	s_delay_alu instid0(VALU_DEP_3) | instskip(NEXT) | instid1(VALU_DEP_3)
	v_dual_add_f32 v3, v3, v27 :: v_dual_add_f32 v2, v2, v5
	v_dual_mul_f32 v5, v144, v140 :: v_dual_fmac_f32 v28, v134, v137
	s_delay_alu instid0(VALU_DEP_2) | instskip(SKIP_1) | instid1(VALU_DEP_3)
	v_add_f32_e32 v2, v2, v24
	v_mul_f32_e32 v24, v146, v142
	v_fma_f32 v5, v143, v139, -v5
	s_delay_alu instid0(VALU_DEP_3) | instskip(NEXT) | instid1(VALU_DEP_3)
	v_dual_add_f32 v3, v3, v28 :: v_dual_add_f32 v2, v2, v26
	v_fma_f32 v24, v145, v141, -v24
	s_delay_alu instid0(VALU_DEP_2) | instskip(SKIP_1) | instid1(VALU_DEP_2)
	v_dual_add_f32 v3, v3, v23 :: v_dual_add_f32 v2, v2, v4
	v_mul_f32_e32 v4, v145, v142
	v_add_f32_e32 v2, v2, v5
	s_delay_alu instid0(VALU_DEP_2) | instskip(NEXT) | instid1(VALU_DEP_2)
	v_fmac_f32_e32 v4, v146, v141
	v_add_f32_e32 v2, v2, v24
	s_delay_alu instid0(VALU_DEP_1) | instskip(SKIP_1) | instid1(VALU_DEP_2)
	v_dual_add_f32 v3, v3, v4 :: v_dual_mul_f32 v4, s8, v2
	v_mul_f32_e32 v2, s9, v2
	v_fmac_f32_e32 v4, s9, v3
	s_delay_alu instid0(VALU_DEP_2) | instskip(SKIP_1) | instid1(VALU_DEP_1)
	v_fma_f32 v3, s8, v3, -v2
	s_waitcnt vmcnt(0)
	v_dual_add_f32 v3, v148, v3 :: v_dual_add_f32 v2, v147, v4
	global_store_b64 v[0:1], v[2:3], off
	s_branch .LBB1891_4
.LBB1891_17:
	s_endpgm
	.section	.rodata,"a",@progbits
	.p2align	6, 0x0
	.amdhsa_kernel _ZL26rocblas_syr2k_her2k_kernelIlLb1ELb1ELb1ELi32EPK19rocblas_complex_numIfEPKS3_PKPS1_EvbiT_T4_T5_S9_lSB_S9_lT6_S9_li
		.amdhsa_group_segment_fixed_size 16384
		.amdhsa_private_segment_fixed_size 0
		.amdhsa_kernarg_size 100
		.amdhsa_user_sgpr_count 13
		.amdhsa_user_sgpr_dispatch_ptr 0
		.amdhsa_user_sgpr_queue_ptr 0
		.amdhsa_user_sgpr_kernarg_segment_ptr 1
		.amdhsa_user_sgpr_dispatch_id 0
		.amdhsa_user_sgpr_private_segment_size 0
		.amdhsa_wavefront_size32 1
		.amdhsa_uses_dynamic_stack 0
		.amdhsa_enable_private_segment 0
		.amdhsa_system_sgpr_workgroup_id_x 1
		.amdhsa_system_sgpr_workgroup_id_y 1
		.amdhsa_system_sgpr_workgroup_id_z 1
		.amdhsa_system_sgpr_workgroup_info 0
		.amdhsa_system_vgpr_workitem_id 1
		.amdhsa_next_free_vgpr 163
		.amdhsa_next_free_sgpr 32
		.amdhsa_reserve_vcc 1
		.amdhsa_float_round_mode_32 0
		.amdhsa_float_round_mode_16_64 0
		.amdhsa_float_denorm_mode_32 3
		.amdhsa_float_denorm_mode_16_64 3
		.amdhsa_dx10_clamp 1
		.amdhsa_ieee_mode 1
		.amdhsa_fp16_overflow 0
		.amdhsa_workgroup_processor_mode 1
		.amdhsa_memory_ordered 1
		.amdhsa_forward_progress 0
		.amdhsa_shared_vgpr_count 0
		.amdhsa_exception_fp_ieee_invalid_op 0
		.amdhsa_exception_fp_denorm_src 0
		.amdhsa_exception_fp_ieee_div_zero 0
		.amdhsa_exception_fp_ieee_overflow 0
		.amdhsa_exception_fp_ieee_underflow 0
		.amdhsa_exception_fp_ieee_inexact 0
		.amdhsa_exception_int_div_zero 0
	.end_amdhsa_kernel
	.section	.text._ZL26rocblas_syr2k_her2k_kernelIlLb1ELb1ELb1ELi32EPK19rocblas_complex_numIfEPKS3_PKPS1_EvbiT_T4_T5_S9_lSB_S9_lT6_S9_li,"axG",@progbits,_ZL26rocblas_syr2k_her2k_kernelIlLb1ELb1ELb1ELi32EPK19rocblas_complex_numIfEPKS3_PKPS1_EvbiT_T4_T5_S9_lSB_S9_lT6_S9_li,comdat
.Lfunc_end1891:
	.size	_ZL26rocblas_syr2k_her2k_kernelIlLb1ELb1ELb1ELi32EPK19rocblas_complex_numIfEPKS3_PKPS1_EvbiT_T4_T5_S9_lSB_S9_lT6_S9_li, .Lfunc_end1891-_ZL26rocblas_syr2k_her2k_kernelIlLb1ELb1ELb1ELi32EPK19rocblas_complex_numIfEPKS3_PKPS1_EvbiT_T4_T5_S9_lSB_S9_lT6_S9_li
                                        ; -- End function
	.section	.AMDGPU.csdata,"",@progbits
; Kernel info:
; codeLenInByte = 4080
; NumSgprs: 34
; NumVgprs: 163
; ScratchSize: 0
; MemoryBound: 0
; FloatMode: 240
; IeeeMode: 1
; LDSByteSize: 16384 bytes/workgroup (compile time only)
; SGPRBlocks: 4
; VGPRBlocks: 20
; NumSGPRsForWavesPerEU: 34
; NumVGPRsForWavesPerEU: 163
; Occupancy: 9
; WaveLimiterHint : 1
; COMPUTE_PGM_RSRC2:SCRATCH_EN: 0
; COMPUTE_PGM_RSRC2:USER_SGPR: 13
; COMPUTE_PGM_RSRC2:TRAP_HANDLER: 0
; COMPUTE_PGM_RSRC2:TGID_X_EN: 1
; COMPUTE_PGM_RSRC2:TGID_Y_EN: 1
; COMPUTE_PGM_RSRC2:TGID_Z_EN: 1
; COMPUTE_PGM_RSRC2:TIDIG_COMP_CNT: 1
	.section	.text._ZL26rocblas_syr2k_her2k_kernelIlLb1ELb1ELb0ELi32E19rocblas_complex_numIdEPKPKS1_PKPS1_EvbiT_T4_T5_S9_lSB_S9_lT6_S9_li,"axG",@progbits,_ZL26rocblas_syr2k_her2k_kernelIlLb1ELb1ELb0ELi32E19rocblas_complex_numIdEPKPKS1_PKPS1_EvbiT_T4_T5_S9_lSB_S9_lT6_S9_li,comdat
	.globl	_ZL26rocblas_syr2k_her2k_kernelIlLb1ELb1ELb0ELi32E19rocblas_complex_numIdEPKPKS1_PKPS1_EvbiT_T4_T5_S9_lSB_S9_lT6_S9_li ; -- Begin function _ZL26rocblas_syr2k_her2k_kernelIlLb1ELb1ELb0ELi32E19rocblas_complex_numIdEPKPKS1_PKPS1_EvbiT_T4_T5_S9_lSB_S9_lT6_S9_li
	.p2align	8
	.type	_ZL26rocblas_syr2k_her2k_kernelIlLb1ELb1ELb0ELi32E19rocblas_complex_numIdEPKPKS1_PKPS1_EvbiT_T4_T5_S9_lSB_S9_lT6_S9_li,@function
_ZL26rocblas_syr2k_her2k_kernelIlLb1ELb1ELb0ELi32E19rocblas_complex_numIdEPKPKS1_PKPS1_EvbiT_T4_T5_S9_lSB_S9_lT6_S9_li: ; @_ZL26rocblas_syr2k_her2k_kernelIlLb1ELb1ELb0ELi32E19rocblas_complex_numIdEPKPKS1_PKPS1_EvbiT_T4_T5_S9_lSB_S9_lT6_S9_li
; %bb.0:
	s_load_b512 s[16:31], s[0:1], 0x8
	s_waitcnt lgkmcnt(0)
	v_cmp_eq_f64_e64 s2, s[18:19], 0
	v_cmp_eq_f64_e64 s3, s[20:21], 0
	s_delay_alu instid0(VALU_DEP_1) | instskip(NEXT) | instid1(SALU_CYCLE_1)
	s_and_b32 s2, s2, s3
	s_and_b32 vcc_lo, exec_lo, s2
	s_cbranch_vccnz .LBB1892_17
; %bb.1:
	s_load_b64 s[2:3], s[0:1], 0x0
	s_mov_b32 s12, s15
	s_lshl_b32 s14, s14, 5
	s_lshl_b32 s15, s13, 5
	s_waitcnt lgkmcnt(0)
	s_and_b32 s2, 1, s2
	s_delay_alu instid0(SALU_CYCLE_1) | instskip(SKIP_1) | instid1(SALU_CYCLE_1)
	s_cmp_eq_u32 s2, 1
	s_cselect_b32 s2, -1, 0
	s_and_b32 s4, s2, exec_lo
	s_cselect_b32 s4, s15, s14
	s_cselect_b32 s5, s14, s15
	s_delay_alu instid0(SALU_CYCLE_1)
	s_cmp_gt_i32 s4, s5
	s_cbranch_scc1 .LBB1892_17
; %bb.2:
	v_cmp_lt_i64_e64 s4, s[16:17], 1
	s_delay_alu instid0(VALU_DEP_1)
	s_and_b32 vcc_lo, exec_lo, s4
	s_cbranch_vccnz .LBB1892_17
; %bb.3:
	s_load_b256 s[4:11], s[0:1], 0x48
	v_bfe_u32 v10, v0, 10, 10
	s_mov_b32 s13, 0
	v_and_b32_e32 v11, 0x3ff, v0
	v_mov_b32_e32 v1, 0
	s_lshl_b64 s[0:1], s[12:13], 3
	v_add_nc_u32_e32 v2, s14, v10
	s_add_u32 s12, s22, s0
	s_addc_u32 s13, s23, s1
	v_dual_mov_b32 v3, v1 :: v_dual_add_nc_u32 v0, s15, v11
	v_lshlrev_b32_e32 v6, 4, v10
	v_lshlrev_b32_e32 v12, 9, v11
	s_add_u32 s14, s28, s0
	v_ashrrev_i32_e32 v7, 31, v2
	s_addc_u32 s15, s29, s1
	v_or_b32_e32 v14, 0x4000, v6
	s_load_b64 s[14:15], s[14:15], 0x0
	v_add_nc_u32_e32 v13, v12, v6
	v_mad_u64_u32 v[4:5], null, s30, v11, 0
	s_waitcnt lgkmcnt(0)
	s_add_u32 s0, s6, s0
	s_addc_u32 s1, s7, s1
	v_mul_lo_u32 v17, v7, s8
	v_mul_lo_u32 v18, v2, s9
	v_mad_u64_u32 v[6:7], null, v2, s8, 0
	s_load_b64 s[6:7], s[0:1], 0x0
	s_load_b64 s[12:13], s[12:13], 0x0
	v_max_i32_e32 v16, v0, v2
	v_cndmask_b32_e64 v8, v0, v2, s2
	v_cndmask_b32_e64 v9, v2, v0, s2
	s_lshl_b64 s[4:5], s[4:5], 4
	v_mad_u64_u32 v[20:21], null, s24, v11, 0
	v_add3_u32 v7, v7, v18, v17
	v_mad_u64_u32 v[18:19], null, s30, v10, 0
	v_cmp_gt_i32_e32 vcc_lo, s3, v16
	v_cmp_le_i32_e64 s0, v9, v8
	s_delay_alu instid0(VALU_DEP_4)
	v_lshlrev_b64 v[16:17], 4, v[6:7]
	v_mad_u64_u32 v[6:7], null, s31, v11, v[5:6]
	v_ashrrev_i32_e32 v8, 31, v0
	v_mov_b32_e32 v7, v0
	s_add_u32 s8, s14, s4
	s_addc_u32 s9, s15, s5
	s_lshl_b64 s[4:5], s[10:11], 4
	s_mov_b32 s34, s3
	v_lshlrev_b64 v[8:9], 4, v[7:8]
	v_mov_b32_e32 v7, v19
	s_waitcnt lgkmcnt(0)
	s_add_u32 s2, s6, s4
	s_addc_u32 s4, s7, s5
	s_and_b32 s10, s0, vcc_lo
	v_add_co_u32 v22, vcc_lo, s2, v16
	v_add_co_ci_u32_e32 v23, vcc_lo, s4, v17, vcc_lo
	v_mov_b32_e32 v5, v6
	v_mad_u64_u32 v[16:17], null, s31, v10, v[7:8]
	v_mad_u64_u32 v[6:7], null, s24, v10, 0
	v_mov_b32_e32 v17, v21
	s_ashr_i32 s35, s3, 31
	v_add_co_u32 v8, vcc_lo, v22, v8
	v_cmp_gt_i64_e64 s1, s[34:35], v[2:3]
	v_lshlrev_b64 v[4:5], 4, v[4:5]
	v_lshlrev_b64 v[2:3], 4, v[2:3]
	v_mad_u64_u32 v[21:22], null, s25, v11, v[17:18]
	v_add_co_ci_u32_e32 v9, vcc_lo, v23, v9, vcc_lo
	v_mov_b32_e32 v19, v16
	v_mad_u64_u32 v[22:23], null, s25, v10, v[7:8]
	v_add_co_u32 v7, vcc_lo, v4, v2
	v_cmp_gt_i64_e64 s0, s[34:35], v[0:1]
	v_add_co_ci_u32_e32 v16, vcc_lo, v5, v3, vcc_lo
	v_lshlrev_b64 v[4:5], 4, v[18:19]
	v_lshlrev_b64 v[0:1], 4, v[0:1]
	v_or_b32_e32 v17, 8, v7
	v_mov_b32_e32 v7, v22
	v_lshlrev_b64 v[20:21], 4, v[20:21]
	s_lshl_b64 s[4:5], s[26:27], 4
	s_lshl_b64 s[2:3], s[30:31], 9
	v_add_co_u32 v18, vcc_lo, v4, v0
	v_add_co_ci_u32_e32 v19, vcc_lo, v5, v1, vcc_lo
	v_lshlrev_b64 v[4:5], 4, v[6:7]
	v_add_co_u32 v20, vcc_lo, v20, v2
	v_add_co_ci_u32_e32 v21, vcc_lo, v21, v3, vcc_lo
	v_add_nc_u32_e32 v15, v14, v12
	s_delay_alu instid0(VALU_DEP_4)
	v_add_co_u32 v22, vcc_lo, v4, v0
	s_add_u32 s4, s4, s12
	v_add_co_ci_u32_e32 v23, vcc_lo, v5, v1, vcc_lo
	s_addc_u32 s5, s5, s13
	s_add_u32 s11, s4, 8
	s_addc_u32 s12, s5, 0
	s_lshl_b64 s[4:5], s[24:25], 9
	s_mov_b64 s[6:7], 0
	s_branch .LBB1892_5
.LBB1892_4:                             ;   in Loop: Header=BB1892_5 Depth=1
	s_or_b32 exec_lo, exec_lo, s13
	s_add_u32 s6, s6, 32
	s_addc_u32 s7, s7, 0
	s_add_u32 s8, s8, s2
	v_cmp_lt_i64_e64 s13, s[6:7], s[16:17]
	s_addc_u32 s9, s9, s3
	s_add_u32 s11, s11, s4
	s_addc_u32 s12, s12, s5
	s_waitcnt_vscnt null, 0x0
	s_barrier
	s_and_b32 vcc_lo, exec_lo, s13
	buffer_gl0_inv
	s_cbranch_vccz .LBB1892_17
.LBB1892_5:                             ; =>This Inner Loop Header: Depth=1
	v_add_co_u32 v2, s13, v10, s6
	s_delay_alu instid0(VALU_DEP_1) | instskip(SKIP_2) | instid1(VALU_DEP_3)
	v_add_co_ci_u32_e64 v3, null, 0, s7, s13
	v_mov_b32_e32 v0, 0
	v_mov_b32_e32 v1, 0
	v_cmp_gt_i64_e32 vcc_lo, s[16:17], v[2:3]
	s_delay_alu instid0(VALU_DEP_2) | instskip(SKIP_2) | instid1(SALU_CYCLE_1)
	v_dual_mov_b32 v5, v1 :: v_dual_mov_b32 v4, v0
	v_dual_mov_b32 v7, v1 :: v_dual_mov_b32 v6, v0
	s_and_b32 s13, s0, vcc_lo
	s_and_saveexec_b32 s14, s13
	s_cbranch_execz .LBB1892_7
; %bb.6:                                ;   in Loop: Header=BB1892_5 Depth=1
	v_add_co_u32 v2, vcc_lo, s11, v22
	v_add_co_ci_u32_e32 v3, vcc_lo, s12, v23, vcc_lo
	global_load_b128 v[4:7], v[2:3], off offset:-8
.LBB1892_7:                             ;   in Loop: Header=BB1892_5 Depth=1
	s_or_b32 exec_lo, exec_lo, s14
	v_add_co_u32 v2, s14, v11, s6
	s_delay_alu instid0(VALU_DEP_1)
	v_add_co_ci_u32_e64 v3, null, 0, s7, s14
	s_waitcnt vmcnt(0)
	ds_store_b128 v13, v[4:7]
	v_cmp_gt_i64_e32 vcc_lo, s[16:17], v[2:3]
	v_dual_mov_b32 v3, v1 :: v_dual_mov_b32 v2, v0
	s_and_b32 s14, s1, vcc_lo
	s_delay_alu instid0(SALU_CYCLE_1)
	s_and_saveexec_b32 s15, s14
	s_cbranch_execz .LBB1892_9
; %bb.8:                                ;   in Loop: Header=BB1892_5 Depth=1
	v_add_co_u32 v0, vcc_lo, s8, v17
	v_add_co_ci_u32_e32 v1, vcc_lo, s9, v16, vcc_lo
	global_load_b128 v[0:3], v[0:1], off offset:-8
	s_waitcnt vmcnt(0)
	v_xor_b32_e32 v3, 0x80000000, v3
.LBB1892_9:                             ;   in Loop: Header=BB1892_5 Depth=1
	s_or_b32 exec_lo, exec_lo, s15
	ds_store_b128 v15, v[0:3]
	s_waitcnt lgkmcnt(0)
	s_barrier
	buffer_gl0_inv
	s_and_saveexec_b32 s15, s10
	s_cbranch_execz .LBB1892_11
; %bb.10:                               ;   in Loop: Header=BB1892_5 Depth=1
	ds_load_b128 v[0:3], v14
	ds_load_b128 v[4:7], v12
	ds_load_b128 v[24:27], v12 offset:16
	ds_load_b128 v[28:31], v14 offset:512
	s_waitcnt lgkmcnt(2)
	v_mul_f64 v[32:33], v[0:1], v[6:7]
	v_mul_f64 v[6:7], v[2:3], v[6:7]
	s_waitcnt lgkmcnt(0)
	v_mul_f64 v[48:49], v[28:29], v[26:27]
	v_mul_f64 v[26:27], v[30:31], v[26:27]
	s_delay_alu instid0(VALU_DEP_4)
	v_fma_f64 v[2:3], v[2:3], v[4:5], v[32:33]
	ds_load_b128 v[32:35], v14 offset:1024
	ds_load_b128 v[36:39], v12 offset:32
	;; [unrolled: 1-line block ×4, first 2 shown]
	v_fma_f64 v[0:1], v[0:1], v[4:5], -v[6:7]
	v_fma_f64 v[4:5], v[30:31], v[24:25], v[48:49]
	v_fma_f64 v[52:53], v[28:29], v[24:25], -v[26:27]
	s_waitcnt lgkmcnt(2)
	v_mul_f64 v[50:51], v[32:33], v[38:39]
	v_mul_f64 v[38:39], v[34:35], v[38:39]
	s_waitcnt lgkmcnt(0)
	v_mul_f64 v[48:49], v[44:45], v[42:43]
	v_mul_f64 v[42:43], v[46:47], v[42:43]
	v_add_f64 v[2:3], v[2:3], 0
	v_fma_f64 v[34:35], v[34:35], v[36:37], v[50:51]
	v_add_f64 v[50:51], v[0:1], 0
	v_fma_f64 v[32:33], v[32:33], v[36:37], -v[38:39]
	v_fma_f64 v[36:37], v[46:47], v[40:41], v[48:49]
	v_add_f64 v[54:55], v[2:3], v[4:5]
	ds_load_b128 v[0:3], v12 offset:64
	ds_load_b128 v[4:7], v14 offset:2048
	ds_load_b128 v[24:27], v14 offset:2560
	ds_load_b128 v[28:31], v12 offset:80
	s_waitcnt lgkmcnt(2)
	v_mul_f64 v[56:57], v[4:5], v[2:3]
	v_add_f64 v[38:39], v[50:51], v[52:53]
	v_mul_f64 v[2:3], v[6:7], v[2:3]
	s_waitcnt lgkmcnt(0)
	v_mul_f64 v[48:49], v[24:25], v[30:31]
	v_fma_f64 v[50:51], v[44:45], v[40:41], -v[42:43]
	v_mul_f64 v[30:31], v[26:27], v[30:31]
	v_add_f64 v[34:35], v[54:55], v[34:35]
	v_fma_f64 v[6:7], v[6:7], v[0:1], v[56:57]
	v_add_f64 v[52:53], v[38:39], v[32:33]
	v_fma_f64 v[0:1], v[4:5], v[0:1], -v[2:3]
	v_fma_f64 v[2:3], v[26:27], v[28:29], v[48:49]
	v_add_f64 v[54:55], v[34:35], v[36:37]
	ds_load_b128 v[32:35], v12 offset:96
	ds_load_b128 v[36:39], v14 offset:3072
	ds_load_b128 v[40:43], v14 offset:3584
	ds_load_b128 v[44:47], v12 offset:112
	s_waitcnt lgkmcnt(2)
	v_mul_f64 v[56:57], v[36:37], v[34:35]
	v_add_f64 v[4:5], v[52:53], v[50:51]
	v_mul_f64 v[34:35], v[38:39], v[34:35]
	s_waitcnt lgkmcnt(0)
	v_mul_f64 v[48:49], v[40:41], v[46:47]
	v_fma_f64 v[50:51], v[24:25], v[28:29], -v[30:31]
	;; [unrolled: 18-line block ×11, first 2 shown]
	v_mul_f64 v[30:31], v[26:27], v[30:31]
	v_add_f64 v[38:39], v[54:55], v[38:39]
	v_fma_f64 v[6:7], v[6:7], v[0:1], v[56:57]
	v_add_f64 v[52:53], v[36:37], v[32:33]
	v_fma_f64 v[0:1], v[4:5], v[0:1], -v[2:3]
	v_fma_f64 v[2:3], v[26:27], v[28:29], v[48:49]
	v_add_f64 v[54:55], v[38:39], v[34:35]
	ds_load_b128 v[32:35], v12 offset:416
	ds_load_b128 v[36:39], v14 offset:13312
	;; [unrolled: 1-line block ×4, first 2 shown]
	s_waitcnt lgkmcnt(2)
	v_mul_f64 v[56:57], v[36:37], v[34:35]
	v_add_f64 v[4:5], v[52:53], v[50:51]
	v_mul_f64 v[34:35], v[38:39], v[34:35]
	s_waitcnt lgkmcnt(0)
	v_mul_f64 v[52:53], v[40:41], v[46:47]
	v_mul_f64 v[46:47], v[42:43], v[46:47]
	v_add_f64 v[6:7], v[54:55], v[6:7]
	v_fma_f64 v[54:55], v[24:25], v[28:29], -v[30:31]
	v_fma_f64 v[38:39], v[38:39], v[32:33], v[56:57]
	v_add_f64 v[56:57], v[4:5], v[0:1]
	v_fma_f64 v[32:33], v[36:37], v[32:33], -v[34:35]
	v_fma_f64 v[34:35], v[42:43], v[44:45], v[52:53]
	v_add_f64 v[58:59], v[6:7], v[2:3]
	ds_load_b128 v[0:3], v12 offset:448
	ds_load_b128 v[4:7], v14 offset:14336
	global_load_b128 v[24:27], v[8:9], off
	ds_load_b128 v[28:31], v14 offset:14848
	ds_load_b128 v[48:51], v12 offset:464
	v_add_f64 v[36:37], v[56:57], v[54:55]
	s_waitcnt lgkmcnt(2)
	v_mul_f64 v[60:61], v[4:5], v[2:3]
	v_mul_f64 v[2:3], v[6:7], v[2:3]
	s_waitcnt lgkmcnt(0)
	v_mul_f64 v[52:53], v[28:29], v[50:51]
	v_fma_f64 v[54:55], v[40:41], v[44:45], -v[46:47]
	v_mul_f64 v[50:51], v[30:31], v[50:51]
	v_add_f64 v[38:39], v[58:59], v[38:39]
	v_add_f64 v[56:57], v[36:37], v[32:33]
	v_fma_f64 v[6:7], v[6:7], v[0:1], v[60:61]
	v_fma_f64 v[0:1], v[4:5], v[0:1], -v[2:3]
	v_fma_f64 v[2:3], v[30:31], v[48:49], v[52:53]
	v_fma_f64 v[28:29], v[28:29], v[48:49], -v[50:51]
	v_add_f64 v[58:59], v[38:39], v[34:35]
	ds_load_b128 v[32:35], v12 offset:480
	ds_load_b128 v[36:39], v14 offset:15360
	;; [unrolled: 1-line block ×4, first 2 shown]
	s_waitcnt lgkmcnt(2)
	v_mul_f64 v[60:61], v[36:37], v[34:35]
	v_add_f64 v[4:5], v[56:57], v[54:55]
	v_mul_f64 v[30:31], v[38:39], v[34:35]
	s_waitcnt lgkmcnt(0)
	v_mul_f64 v[34:35], v[40:41], v[46:47]
	v_add_f64 v[6:7], v[58:59], v[6:7]
	v_fma_f64 v[38:39], v[38:39], v[32:33], v[60:61]
	v_add_f64 v[0:1], v[4:5], v[0:1]
	v_mul_f64 v[4:5], v[42:43], v[46:47]
	s_delay_alu instid0(VALU_DEP_4)
	v_add_f64 v[2:3], v[6:7], v[2:3]
	v_fma_f64 v[6:7], v[36:37], v[32:33], -v[30:31]
	v_fma_f64 v[30:31], v[42:43], v[44:45], v[34:35]
	v_add_f64 v[0:1], v[0:1], v[28:29]
	v_fma_f64 v[4:5], v[40:41], v[44:45], -v[4:5]
	v_add_f64 v[2:3], v[2:3], v[38:39]
	s_delay_alu instid0(VALU_DEP_3) | instskip(NEXT) | instid1(VALU_DEP_2)
	v_add_f64 v[0:1], v[0:1], v[6:7]
	v_add_f64 v[2:3], v[2:3], v[30:31]
	s_delay_alu instid0(VALU_DEP_2) | instskip(NEXT) | instid1(VALU_DEP_2)
	v_add_f64 v[0:1], v[0:1], v[4:5]
	v_mul_f64 v[4:5], s[20:21], v[2:3]
	v_mul_f64 v[2:3], s[18:19], v[2:3]
	s_delay_alu instid0(VALU_DEP_2) | instskip(NEXT) | instid1(VALU_DEP_2)
	v_fma_f64 v[4:5], s[18:19], v[0:1], -v[4:5]
	v_fma_f64 v[2:3], s[20:21], v[0:1], v[2:3]
	s_waitcnt vmcnt(0)
	s_delay_alu instid0(VALU_DEP_2) | instskip(NEXT) | instid1(VALU_DEP_2)
	v_add_f64 v[0:1], v[24:25], v[4:5]
	v_add_f64 v[2:3], v[26:27], v[2:3]
	global_store_b128 v[8:9], v[0:3], off
.LBB1892_11:                            ;   in Loop: Header=BB1892_5 Depth=1
	s_or_b32 exec_lo, exec_lo, s15
	v_mov_b32_e32 v2, 0
	v_mov_b32_e32 v3, 0
	s_waitcnt_vscnt null, 0x0
	s_barrier
	buffer_gl0_inv
	v_dual_mov_b32 v7, v3 :: v_dual_mov_b32 v6, v2
	v_dual_mov_b32 v5, v3 :: v_dual_mov_b32 v4, v2
	s_and_saveexec_b32 s15, s13
	s_cbranch_execz .LBB1892_13
; %bb.12:                               ;   in Loop: Header=BB1892_5 Depth=1
	v_add_co_u32 v0, vcc_lo, s8, v18
	v_add_co_ci_u32_e32 v1, vcc_lo, s9, v19, vcc_lo
	global_load_b128 v[4:7], v[0:1], off
.LBB1892_13:                            ;   in Loop: Header=BB1892_5 Depth=1
	s_or_b32 exec_lo, exec_lo, s15
	v_dual_mov_b32 v0, v2 :: v_dual_mov_b32 v1, v3
	s_waitcnt vmcnt(0)
	ds_store_b128 v13, v[4:7]
	s_and_saveexec_b32 s13, s14
	s_cbranch_execz .LBB1892_15
; %bb.14:                               ;   in Loop: Header=BB1892_5 Depth=1
	v_add_co_u32 v0, vcc_lo, s11, v20
	v_add_co_ci_u32_e32 v1, vcc_lo, s12, v21, vcc_lo
	global_load_b128 v[0:3], v[0:1], off offset:-8
	s_waitcnt vmcnt(0)
	v_xor_b32_e32 v3, 0x80000000, v3
.LBB1892_15:                            ;   in Loop: Header=BB1892_5 Depth=1
	s_or_b32 exec_lo, exec_lo, s13
	ds_store_b128 v15, v[0:3]
	s_waitcnt lgkmcnt(0)
	s_barrier
	buffer_gl0_inv
	s_and_saveexec_b32 s13, s10
	s_cbranch_execz .LBB1892_4
; %bb.16:                               ;   in Loop: Header=BB1892_5 Depth=1
	ds_load_b128 v[0:3], v14
	ds_load_b128 v[4:7], v12
	ds_load_b128 v[24:27], v12 offset:16
	ds_load_b128 v[28:31], v14 offset:512
	s_waitcnt lgkmcnt(2)
	v_mul_f64 v[32:33], v[2:3], v[6:7]
	v_mul_f64 v[6:7], v[0:1], v[6:7]
	s_waitcnt lgkmcnt(0)
	v_mul_f64 v[48:49], v[30:31], v[26:27]
	v_mul_f64 v[26:27], v[28:29], v[26:27]
	s_delay_alu instid0(VALU_DEP_4)
	v_fma_f64 v[0:1], v[0:1], v[4:5], -v[32:33]
	ds_load_b128 v[32:35], v14 offset:1024
	ds_load_b128 v[36:39], v12 offset:32
	;; [unrolled: 1-line block ×4, first 2 shown]
	v_fma_f64 v[2:3], v[2:3], v[4:5], v[6:7]
	v_fma_f64 v[4:5], v[28:29], v[24:25], -v[48:49]
	v_fma_f64 v[52:53], v[30:31], v[24:25], v[26:27]
	s_waitcnt lgkmcnt(2)
	v_mul_f64 v[50:51], v[34:35], v[38:39]
	v_mul_f64 v[38:39], v[32:33], v[38:39]
	s_waitcnt lgkmcnt(0)
	v_mul_f64 v[48:49], v[46:47], v[42:43]
	v_mul_f64 v[42:43], v[44:45], v[42:43]
	v_add_f64 v[0:1], v[0:1], 0
	v_fma_f64 v[32:33], v[32:33], v[36:37], -v[50:51]
	v_add_f64 v[50:51], v[2:3], 0
	v_fma_f64 v[34:35], v[34:35], v[36:37], v[38:39]
	v_fma_f64 v[36:37], v[44:45], v[40:41], -v[48:49]
	v_fma_f64 v[46:47], v[46:47], v[40:41], v[42:43]
	v_add_f64 v[54:55], v[0:1], v[4:5]
	ds_load_b128 v[0:3], v12 offset:64
	ds_load_b128 v[4:7], v14 offset:2048
	;; [unrolled: 1-line block ×4, first 2 shown]
	s_waitcnt lgkmcnt(2)
	v_mul_f64 v[56:57], v[6:7], v[2:3]
	v_add_f64 v[38:39], v[50:51], v[52:53]
	v_mul_f64 v[44:45], v[4:5], v[2:3]
	s_waitcnt lgkmcnt(0)
	v_mul_f64 v[48:49], v[26:27], v[30:31]
	v_mul_f64 v[30:31], v[24:25], v[30:31]
	v_add_f64 v[32:33], v[54:55], v[32:33]
	v_fma_f64 v[50:51], v[4:5], v[0:1], -v[56:57]
	v_add_f64 v[52:53], v[38:39], v[34:35]
	v_fma_f64 v[0:1], v[6:7], v[0:1], v[44:45]
	v_fma_f64 v[6:7], v[24:25], v[28:29], -v[48:49]
	v_add_f64 v[54:55], v[32:33], v[36:37]
	ds_load_b128 v[2:5], v12 offset:96
	ds_load_b128 v[32:35], v14 offset:3072
	;; [unrolled: 1-line block ×4, first 2 shown]
	s_waitcnt lgkmcnt(2)
	v_mul_f64 v[56:57], v[34:35], v[4:5]
	v_add_f64 v[24:25], v[52:53], v[46:47]
	v_mul_f64 v[48:49], v[32:33], v[4:5]
	v_fma_f64 v[52:53], v[26:27], v[28:29], v[30:31]
	v_add_f64 v[44:45], v[54:55], v[50:51]
	s_waitcnt lgkmcnt(0)
	v_mul_f64 v[50:51], v[38:39], v[42:43]
	v_mul_f64 v[42:43], v[36:37], v[42:43]
	v_fma_f64 v[32:33], v[32:33], v[2:3], -v[56:57]
	v_add_f64 v[0:1], v[24:25], v[0:1]
	v_fma_f64 v[2:3], v[34:35], v[2:3], v[48:49]
	v_add_f64 v[54:55], v[44:45], v[6:7]
	ds_load_b128 v[4:7], v12 offset:128
	ds_load_b128 v[24:27], v14 offset:4096
	ds_load_b128 v[28:31], v14 offset:4608
	ds_load_b128 v[44:47], v12 offset:144
	v_fma_f64 v[34:35], v[36:37], v[40:41], -v[50:51]
	v_fma_f64 v[50:51], v[38:39], v[40:41], v[42:43]
	s_waitcnt lgkmcnt(2)
	v_mul_f64 v[56:57], v[26:27], v[6:7]
	v_add_f64 v[0:1], v[0:1], v[52:53]
	v_mul_f64 v[6:7], v[24:25], v[6:7]
	s_waitcnt lgkmcnt(0)
	v_mul_f64 v[48:49], v[30:31], v[46:47]
	v_mul_f64 v[46:47], v[28:29], v[46:47]
	v_add_f64 v[32:33], v[54:55], v[32:33]
	v_fma_f64 v[24:25], v[24:25], v[4:5], -v[56:57]
	v_add_f64 v[52:53], v[0:1], v[2:3]
	v_fma_f64 v[4:5], v[26:27], v[4:5], v[6:7]
	v_fma_f64 v[6:7], v[28:29], v[44:45], -v[48:49]
	v_add_f64 v[54:55], v[32:33], v[34:35]
	ds_load_b128 v[0:3], v12 offset:160
	ds_load_b128 v[32:35], v14 offset:5120
	;; [unrolled: 1-line block ×4, first 2 shown]
	s_waitcnt lgkmcnt(2)
	v_mul_f64 v[56:57], v[34:35], v[2:3]
	v_add_f64 v[26:27], v[52:53], v[50:51]
	v_mul_f64 v[48:49], v[32:33], v[2:3]
	s_waitcnt lgkmcnt(0)
	v_mul_f64 v[50:51], v[38:39], v[42:43]
	v_fma_f64 v[52:53], v[30:31], v[44:45], v[46:47]
	v_mul_f64 v[42:43], v[36:37], v[42:43]
	v_add_f64 v[24:25], v[54:55], v[24:25]
	v_fma_f64 v[32:33], v[32:33], v[0:1], -v[56:57]
	v_add_f64 v[54:55], v[26:27], v[4:5]
	v_fma_f64 v[0:1], v[34:35], v[0:1], v[48:49]
	v_fma_f64 v[34:35], v[36:37], v[40:41], -v[50:51]
	v_add_f64 v[6:7], v[24:25], v[6:7]
	ds_load_b128 v[2:5], v12 offset:192
	ds_load_b128 v[24:27], v14 offset:6144
	;; [unrolled: 1-line block ×4, first 2 shown]
	s_waitcnt lgkmcnt(2)
	v_mul_f64 v[56:57], v[26:27], v[4:5]
	v_add_f64 v[36:37], v[54:55], v[52:53]
	v_mul_f64 v[48:49], v[24:25], v[4:5]
	s_waitcnt lgkmcnt(0)
	v_mul_f64 v[50:51], v[30:31], v[46:47]
	v_fma_f64 v[52:53], v[38:39], v[40:41], v[42:43]
	v_mul_f64 v[46:47], v[28:29], v[46:47]
	v_add_f64 v[6:7], v[6:7], v[32:33]
	v_fma_f64 v[24:25], v[24:25], v[2:3], -v[56:57]
	v_add_f64 v[0:1], v[36:37], v[0:1]
	v_fma_f64 v[2:3], v[26:27], v[2:3], v[48:49]
	v_fma_f64 v[26:27], v[28:29], v[44:45], -v[50:51]
	v_fma_f64 v[50:51], v[30:31], v[44:45], v[46:47]
	v_add_f64 v[54:55], v[6:7], v[34:35]
	ds_load_b128 v[4:7], v12 offset:224
	ds_load_b128 v[32:35], v14 offset:7168
	;; [unrolled: 1-line block ×4, first 2 shown]
	s_waitcnt lgkmcnt(2)
	v_mul_f64 v[56:57], v[34:35], v[6:7]
	v_add_f64 v[0:1], v[0:1], v[52:53]
	v_mul_f64 v[6:7], v[32:33], v[6:7]
	s_waitcnt lgkmcnt(0)
	v_mul_f64 v[48:49], v[38:39], v[42:43]
	v_mul_f64 v[42:43], v[36:37], v[42:43]
	v_add_f64 v[24:25], v[54:55], v[24:25]
	v_fma_f64 v[32:33], v[32:33], v[4:5], -v[56:57]
	v_add_f64 v[52:53], v[0:1], v[2:3]
	v_fma_f64 v[4:5], v[34:35], v[4:5], v[6:7]
	v_fma_f64 v[6:7], v[36:37], v[40:41], -v[48:49]
	v_add_f64 v[54:55], v[24:25], v[26:27]
	ds_load_b128 v[0:3], v12 offset:256
	ds_load_b128 v[24:27], v14 offset:8192
	;; [unrolled: 1-line block ×4, first 2 shown]
	s_waitcnt lgkmcnt(2)
	v_mul_f64 v[56:57], v[26:27], v[2:3]
	v_add_f64 v[34:35], v[52:53], v[50:51]
	v_mul_f64 v[48:49], v[24:25], v[2:3]
	s_waitcnt lgkmcnt(0)
	v_mul_f64 v[50:51], v[30:31], v[46:47]
	v_fma_f64 v[52:53], v[38:39], v[40:41], v[42:43]
	v_mul_f64 v[46:47], v[28:29], v[46:47]
	v_add_f64 v[32:33], v[54:55], v[32:33]
	v_fma_f64 v[24:25], v[24:25], v[0:1], -v[56:57]
	v_add_f64 v[54:55], v[34:35], v[4:5]
	v_fma_f64 v[0:1], v[26:27], v[0:1], v[48:49]
	v_fma_f64 v[26:27], v[28:29], v[44:45], -v[50:51]
	v_add_f64 v[6:7], v[32:33], v[6:7]
	ds_load_b128 v[2:5], v12 offset:288
	ds_load_b128 v[32:35], v14 offset:9216
	;; [unrolled: 1-line block ×4, first 2 shown]
	s_waitcnt lgkmcnt(2)
	v_mul_f64 v[56:57], v[34:35], v[4:5]
	v_add_f64 v[28:29], v[54:55], v[52:53]
	v_mul_f64 v[48:49], v[32:33], v[4:5]
	s_waitcnt lgkmcnt(0)
	v_mul_f64 v[50:51], v[38:39], v[42:43]
	v_fma_f64 v[52:53], v[30:31], v[44:45], v[46:47]
	v_mul_f64 v[42:43], v[36:37], v[42:43]
	v_add_f64 v[6:7], v[6:7], v[24:25]
	v_fma_f64 v[32:33], v[32:33], v[2:3], -v[56:57]
	v_add_f64 v[0:1], v[28:29], v[0:1]
	v_fma_f64 v[2:3], v[34:35], v[2:3], v[48:49]
	v_fma_f64 v[34:35], v[36:37], v[40:41], -v[50:51]
	v_fma_f64 v[50:51], v[38:39], v[40:41], v[42:43]
	v_add_f64 v[54:55], v[6:7], v[26:27]
	ds_load_b128 v[4:7], v12 offset:320
	ds_load_b128 v[24:27], v14 offset:10240
	;; [unrolled: 1-line block ×4, first 2 shown]
	s_waitcnt lgkmcnt(2)
	v_mul_f64 v[56:57], v[26:27], v[6:7]
	v_add_f64 v[0:1], v[0:1], v[52:53]
	v_mul_f64 v[6:7], v[24:25], v[6:7]
	s_waitcnt lgkmcnt(0)
	v_mul_f64 v[48:49], v[30:31], v[46:47]
	v_mul_f64 v[46:47], v[28:29], v[46:47]
	v_add_f64 v[32:33], v[54:55], v[32:33]
	v_fma_f64 v[24:25], v[24:25], v[4:5], -v[56:57]
	v_add_f64 v[52:53], v[0:1], v[2:3]
	v_fma_f64 v[4:5], v[26:27], v[4:5], v[6:7]
	v_fma_f64 v[6:7], v[28:29], v[44:45], -v[48:49]
	v_add_f64 v[54:55], v[32:33], v[34:35]
	ds_load_b128 v[0:3], v12 offset:352
	ds_load_b128 v[32:35], v14 offset:11264
	ds_load_b128 v[36:39], v14 offset:11776
	ds_load_b128 v[40:43], v12 offset:368
	s_waitcnt lgkmcnt(2)
	v_mul_f64 v[56:57], v[34:35], v[2:3]
	v_add_f64 v[26:27], v[52:53], v[50:51]
	v_mul_f64 v[48:49], v[32:33], v[2:3]
	s_waitcnt lgkmcnt(0)
	v_mul_f64 v[50:51], v[38:39], v[42:43]
	v_fma_f64 v[52:53], v[30:31], v[44:45], v[46:47]
	v_mul_f64 v[42:43], v[36:37], v[42:43]
	v_add_f64 v[24:25], v[54:55], v[24:25]
	v_fma_f64 v[32:33], v[32:33], v[0:1], -v[56:57]
	v_add_f64 v[54:55], v[26:27], v[4:5]
	v_fma_f64 v[0:1], v[34:35], v[0:1], v[48:49]
	v_fma_f64 v[34:35], v[36:37], v[40:41], -v[50:51]
	v_add_f64 v[6:7], v[24:25], v[6:7]
	ds_load_b128 v[2:5], v12 offset:384
	ds_load_b128 v[24:27], v14 offset:12288
	ds_load_b128 v[28:31], v14 offset:12800
	ds_load_b128 v[44:47], v12 offset:400
	s_waitcnt lgkmcnt(2)
	v_mul_f64 v[56:57], v[26:27], v[4:5]
	v_add_f64 v[36:37], v[54:55], v[52:53]
	v_mul_f64 v[48:49], v[24:25], v[4:5]
	s_waitcnt lgkmcnt(0)
	v_mul_f64 v[50:51], v[30:31], v[46:47]
	v_fma_f64 v[52:53], v[38:39], v[40:41], v[42:43]
	v_mul_f64 v[46:47], v[28:29], v[46:47]
	v_add_f64 v[6:7], v[6:7], v[32:33]
	v_fma_f64 v[24:25], v[24:25], v[2:3], -v[56:57]
	v_add_f64 v[0:1], v[36:37], v[0:1]
	v_fma_f64 v[2:3], v[26:27], v[2:3], v[48:49]
	v_fma_f64 v[26:27], v[28:29], v[44:45], -v[50:51]
	v_add_f64 v[54:55], v[6:7], v[34:35]
	ds_load_b128 v[4:7], v12 offset:416
	ds_load_b128 v[32:35], v14 offset:13312
	;; [unrolled: 1-line block ×4, first 2 shown]
	s_waitcnt lgkmcnt(2)
	v_mul_f64 v[56:57], v[34:35], v[6:7]
	v_add_f64 v[0:1], v[0:1], v[52:53]
	v_mul_f64 v[6:7], v[32:33], v[6:7]
	s_waitcnt lgkmcnt(0)
	v_mul_f64 v[52:53], v[38:39], v[42:43]
	v_mul_f64 v[42:43], v[36:37], v[42:43]
	v_add_f64 v[24:25], v[54:55], v[24:25]
	v_fma_f64 v[54:55], v[30:31], v[44:45], v[46:47]
	v_fma_f64 v[32:33], v[32:33], v[4:5], -v[56:57]
	v_add_f64 v[56:57], v[0:1], v[2:3]
	v_fma_f64 v[4:5], v[34:35], v[4:5], v[6:7]
	v_fma_f64 v[6:7], v[36:37], v[40:41], -v[52:53]
	v_add_f64 v[58:59], v[24:25], v[26:27]
	ds_load_b128 v[0:3], v12 offset:448
	ds_load_b128 v[24:27], v14 offset:14336
	global_load_b128 v[28:31], v[8:9], off
	ds_load_b128 v[44:47], v14 offset:14848
	ds_load_b128 v[48:51], v12 offset:464
	v_add_f64 v[34:35], v[56:57], v[54:55]
	s_waitcnt lgkmcnt(2)
	v_mul_f64 v[60:61], v[26:27], v[2:3]
	v_mul_f64 v[52:53], v[24:25], v[2:3]
	s_waitcnt lgkmcnt(0)
	v_mul_f64 v[54:55], v[46:47], v[50:51]
	v_fma_f64 v[56:57], v[38:39], v[40:41], v[42:43]
	v_mul_f64 v[50:51], v[44:45], v[50:51]
	v_add_f64 v[32:33], v[58:59], v[32:33]
	v_add_f64 v[58:59], v[34:35], v[4:5]
	v_fma_f64 v[24:25], v[24:25], v[0:1], -v[60:61]
	v_fma_f64 v[0:1], v[26:27], v[0:1], v[52:53]
	v_fma_f64 v[26:27], v[44:45], v[48:49], -v[54:55]
	v_fma_f64 v[46:47], v[46:47], v[48:49], v[50:51]
	v_add_f64 v[6:7], v[32:33], v[6:7]
	ds_load_b128 v[2:5], v12 offset:480
	ds_load_b128 v[32:35], v14 offset:15360
	;; [unrolled: 1-line block ×4, first 2 shown]
	s_waitcnt lgkmcnt(2)
	v_mul_f64 v[60:61], v[34:35], v[4:5]
	v_add_f64 v[44:45], v[58:59], v[56:57]
	v_mul_f64 v[4:5], v[32:33], v[4:5]
	v_add_f64 v[6:7], v[6:7], v[24:25]
	s_waitcnt lgkmcnt(0)
	v_mul_f64 v[24:25], v[38:39], v[42:43]
	v_fma_f64 v[32:33], v[32:33], v[2:3], -v[60:61]
	v_add_f64 v[0:1], v[44:45], v[0:1]
	v_fma_f64 v[2:3], v[34:35], v[2:3], v[4:5]
	v_add_f64 v[6:7], v[6:7], v[26:27]
	v_mul_f64 v[26:27], v[36:37], v[42:43]
	v_fma_f64 v[4:5], v[36:37], v[40:41], -v[24:25]
	v_add_f64 v[0:1], v[0:1], v[46:47]
	s_delay_alu instid0(VALU_DEP_4) | instskip(NEXT) | instid1(VALU_DEP_4)
	v_add_f64 v[6:7], v[6:7], v[32:33]
	v_fma_f64 v[24:25], v[38:39], v[40:41], v[26:27]
	s_delay_alu instid0(VALU_DEP_3) | instskip(NEXT) | instid1(VALU_DEP_3)
	v_add_f64 v[0:1], v[0:1], v[2:3]
	v_add_f64 v[2:3], v[6:7], v[4:5]
	s_delay_alu instid0(VALU_DEP_2) | instskip(NEXT) | instid1(VALU_DEP_2)
	v_add_f64 v[0:1], v[0:1], v[24:25]
	v_mul_f64 v[4:5], s[18:19], v[2:3]
	v_mul_f64 v[2:3], s[20:21], v[2:3]
	s_delay_alu instid0(VALU_DEP_2) | instskip(NEXT) | instid1(VALU_DEP_2)
	v_fma_f64 v[4:5], s[20:21], v[0:1], v[4:5]
	v_fma_f64 v[2:3], s[18:19], v[0:1], -v[2:3]
	s_waitcnt vmcnt(0)
	s_delay_alu instid0(VALU_DEP_2) | instskip(NEXT) | instid1(VALU_DEP_2)
	v_add_f64 v[0:1], v[28:29], v[4:5]
	v_add_f64 v[2:3], v[30:31], v[2:3]
	global_store_b128 v[8:9], v[0:3], off
	s_branch .LBB1892_4
.LBB1892_17:
	s_endpgm
	.section	.rodata,"a",@progbits
	.p2align	6, 0x0
	.amdhsa_kernel _ZL26rocblas_syr2k_her2k_kernelIlLb1ELb1ELb0ELi32E19rocblas_complex_numIdEPKPKS1_PKPS1_EvbiT_T4_T5_S9_lSB_S9_lT6_S9_li
		.amdhsa_group_segment_fixed_size 32768
		.amdhsa_private_segment_fixed_size 0
		.amdhsa_kernarg_size 108
		.amdhsa_user_sgpr_count 13
		.amdhsa_user_sgpr_dispatch_ptr 0
		.amdhsa_user_sgpr_queue_ptr 0
		.amdhsa_user_sgpr_kernarg_segment_ptr 1
		.amdhsa_user_sgpr_dispatch_id 0
		.amdhsa_user_sgpr_private_segment_size 0
		.amdhsa_wavefront_size32 1
		.amdhsa_uses_dynamic_stack 0
		.amdhsa_enable_private_segment 0
		.amdhsa_system_sgpr_workgroup_id_x 1
		.amdhsa_system_sgpr_workgroup_id_y 1
		.amdhsa_system_sgpr_workgroup_id_z 1
		.amdhsa_system_sgpr_workgroup_info 0
		.amdhsa_system_vgpr_workitem_id 1
		.amdhsa_next_free_vgpr 62
		.amdhsa_next_free_sgpr 36
		.amdhsa_reserve_vcc 1
		.amdhsa_float_round_mode_32 0
		.amdhsa_float_round_mode_16_64 0
		.amdhsa_float_denorm_mode_32 3
		.amdhsa_float_denorm_mode_16_64 3
		.amdhsa_dx10_clamp 1
		.amdhsa_ieee_mode 1
		.amdhsa_fp16_overflow 0
		.amdhsa_workgroup_processor_mode 1
		.amdhsa_memory_ordered 1
		.amdhsa_forward_progress 0
		.amdhsa_shared_vgpr_count 0
		.amdhsa_exception_fp_ieee_invalid_op 0
		.amdhsa_exception_fp_denorm_src 0
		.amdhsa_exception_fp_ieee_div_zero 0
		.amdhsa_exception_fp_ieee_overflow 0
		.amdhsa_exception_fp_ieee_underflow 0
		.amdhsa_exception_fp_ieee_inexact 0
		.amdhsa_exception_int_div_zero 0
	.end_amdhsa_kernel
	.section	.text._ZL26rocblas_syr2k_her2k_kernelIlLb1ELb1ELb0ELi32E19rocblas_complex_numIdEPKPKS1_PKPS1_EvbiT_T4_T5_S9_lSB_S9_lT6_S9_li,"axG",@progbits,_ZL26rocblas_syr2k_her2k_kernelIlLb1ELb1ELb0ELi32E19rocblas_complex_numIdEPKPKS1_PKPS1_EvbiT_T4_T5_S9_lSB_S9_lT6_S9_li,comdat
.Lfunc_end1892:
	.size	_ZL26rocblas_syr2k_her2k_kernelIlLb1ELb1ELb0ELi32E19rocblas_complex_numIdEPKPKS1_PKPS1_EvbiT_T4_T5_S9_lSB_S9_lT6_S9_li, .Lfunc_end1892-_ZL26rocblas_syr2k_her2k_kernelIlLb1ELb1ELb0ELi32E19rocblas_complex_numIdEPKPKS1_PKPS1_EvbiT_T4_T5_S9_lSB_S9_lT6_S9_li
                                        ; -- End function
	.section	.AMDGPU.csdata,"",@progbits
; Kernel info:
; codeLenInByte = 5644
; NumSgprs: 38
; NumVgprs: 62
; ScratchSize: 0
; MemoryBound: 1
; FloatMode: 240
; IeeeMode: 1
; LDSByteSize: 32768 bytes/workgroup (compile time only)
; SGPRBlocks: 4
; VGPRBlocks: 7
; NumSGPRsForWavesPerEU: 38
; NumVGPRsForWavesPerEU: 62
; Occupancy: 16
; WaveLimiterHint : 1
; COMPUTE_PGM_RSRC2:SCRATCH_EN: 0
; COMPUTE_PGM_RSRC2:USER_SGPR: 13
; COMPUTE_PGM_RSRC2:TRAP_HANDLER: 0
; COMPUTE_PGM_RSRC2:TGID_X_EN: 1
; COMPUTE_PGM_RSRC2:TGID_Y_EN: 1
; COMPUTE_PGM_RSRC2:TGID_Z_EN: 1
; COMPUTE_PGM_RSRC2:TIDIG_COMP_CNT: 1
	.section	.text._ZL26rocblas_syr2k_her2k_kernelIlLb1ELb1ELb1ELi32E19rocblas_complex_numIdEPKPKS1_PKPS1_EvbiT_T4_T5_S9_lSB_S9_lT6_S9_li,"axG",@progbits,_ZL26rocblas_syr2k_her2k_kernelIlLb1ELb1ELb1ELi32E19rocblas_complex_numIdEPKPKS1_PKPS1_EvbiT_T4_T5_S9_lSB_S9_lT6_S9_li,comdat
	.globl	_ZL26rocblas_syr2k_her2k_kernelIlLb1ELb1ELb1ELi32E19rocblas_complex_numIdEPKPKS1_PKPS1_EvbiT_T4_T5_S9_lSB_S9_lT6_S9_li ; -- Begin function _ZL26rocblas_syr2k_her2k_kernelIlLb1ELb1ELb1ELi32E19rocblas_complex_numIdEPKPKS1_PKPS1_EvbiT_T4_T5_S9_lSB_S9_lT6_S9_li
	.p2align	8
	.type	_ZL26rocblas_syr2k_her2k_kernelIlLb1ELb1ELb1ELi32E19rocblas_complex_numIdEPKPKS1_PKPS1_EvbiT_T4_T5_S9_lSB_S9_lT6_S9_li,@function
_ZL26rocblas_syr2k_her2k_kernelIlLb1ELb1ELb1ELi32E19rocblas_complex_numIdEPKPKS1_PKPS1_EvbiT_T4_T5_S9_lSB_S9_lT6_S9_li: ; @_ZL26rocblas_syr2k_her2k_kernelIlLb1ELb1ELb1ELi32E19rocblas_complex_numIdEPKPKS1_PKPS1_EvbiT_T4_T5_S9_lSB_S9_lT6_S9_li
; %bb.0:
	s_load_b512 s[16:31], s[0:1], 0x8
	s_waitcnt lgkmcnt(0)
	v_cmp_eq_f64_e64 s2, s[18:19], 0
	v_cmp_eq_f64_e64 s3, s[20:21], 0
	s_delay_alu instid0(VALU_DEP_1) | instskip(NEXT) | instid1(SALU_CYCLE_1)
	s_and_b32 s2, s2, s3
	s_and_b32 vcc_lo, exec_lo, s2
	s_cbranch_vccnz .LBB1893_17
; %bb.1:
	s_load_b64 s[2:3], s[0:1], 0x0
	s_mov_b32 s12, s15
	s_lshl_b32 s14, s14, 5
	s_lshl_b32 s15, s13, 5
	s_waitcnt lgkmcnt(0)
	s_and_b32 s2, 1, s2
	s_delay_alu instid0(SALU_CYCLE_1) | instskip(SKIP_1) | instid1(SALU_CYCLE_1)
	s_cmp_eq_u32 s2, 1
	s_cselect_b32 s2, -1, 0
	s_and_b32 s4, s2, exec_lo
	s_cselect_b32 s4, s15, s14
	s_cselect_b32 s5, s14, s15
	s_delay_alu instid0(SALU_CYCLE_1)
	s_cmp_gt_i32 s4, s5
	s_cbranch_scc1 .LBB1893_17
; %bb.2:
	v_cmp_lt_i64_e64 s4, s[16:17], 1
	s_delay_alu instid0(VALU_DEP_1)
	s_and_b32 vcc_lo, exec_lo, s4
	s_cbranch_vccnz .LBB1893_17
; %bb.3:
	s_load_b256 s[4:11], s[0:1], 0x48
	v_bfe_u32 v10, v0, 10, 10
	s_mov_b32 s13, 0
	v_and_b32_e32 v11, 0x3ff, v0
	s_lshl_b64 s[0:1], s[12:13], 3
	s_delay_alu instid0(VALU_DEP_2) | instskip(SKIP_3) | instid1(VALU_DEP_1)
	v_dual_mov_b32 v1, 0 :: v_dual_add_nc_u32 v2, s14, v10
	s_add_u32 s12, s22, s0
	s_addc_u32 s13, s23, s1
	s_add_u32 s14, s28, s0
	v_dual_mov_b32 v3, v1 :: v_dual_add_nc_u32 v0, s15, v11
	s_addc_u32 s15, s29, s1
	v_ashrrev_i32_e32 v6, 31, v2
	s_load_b64 s[12:13], s[12:13], 0x0
	v_mad_u64_u32 v[4:5], null, s30, v2, 0
	v_cndmask_b32_e64 v16, v0, v2, s2
	v_cndmask_b32_e64 v17, v2, v0, s2
	s_mov_b32 s34, s3
	s_waitcnt lgkmcnt(0)
	s_add_u32 s0, s6, s0
	s_addc_u32 s1, s7, s1
	v_mul_lo_u32 v19, v6, s8
	s_load_b64 s[0:1], s[0:1], 0x0
	s_load_b64 s[6:7], s[14:15], 0x0
	v_mad_u64_u32 v[6:7], null, v2, s8, 0
	v_mul_lo_u32 v20, v2, s9
	s_lshl_b64 s[8:9], s[10:11], 4
	v_cmp_le_i32_e64 s2, v17, v16
	v_mad_u64_u32 v[16:17], null, s30, v0, 0
	v_max_i32_e32 v18, v0, v2
	v_mad_u64_u32 v[8:9], null, s31, v2, v[5:6]
	v_add3_u32 v7, v7, v20, v19
	v_lshlrev_b32_e32 v22, 4, v10
	s_delay_alu instid0(VALU_DEP_4)
	v_cmp_gt_i32_e32 vcc_lo, s3, v18
	v_lshlrev_b32_e32 v23, 4, v11
	v_mad_u64_u32 v[18:19], null, s24, v2, 0
	v_mov_b32_e32 v5, v8
	v_lshlrev_b64 v[6:7], 4, v[6:7]
	s_waitcnt lgkmcnt(0)
	s_add_u32 s8, s0, s8
	s_addc_u32 s9, s1, s9
	s_ashr_i32 s35, s3, 31
	s_lshl_b64 s[4:5], s[4:5], 4
	v_cmp_gt_i64_e64 s0, s[34:35], v[0:1]
	v_ashrrev_i32_e32 v1, 31, v0
	v_cmp_gt_i64_e64 s1, s[34:35], v[2:3]
	v_lshlrev_b64 v[3:4], 4, v[4:5]
	v_add_co_u32 v8, s3, s8, v6
	s_delay_alu instid0(VALU_DEP_4) | instskip(SKIP_3) | instid1(VALU_DEP_1)
	v_lshlrev_b64 v[5:6], 4, v[0:1]
	v_mov_b32_e32 v1, v17
	v_add_co_ci_u32_e64 v7, s3, s9, v7, s3
	v_add_co_u32 v17, s3, v3, s4
	v_add_co_ci_u32_e64 v20, s3, s5, v4, s3
	s_delay_alu instid0(VALU_DEP_4) | instskip(SKIP_1) | instid1(VALU_DEP_1)
	v_mad_u64_u32 v[3:4], null, s31, v0, v[1:2]
	v_add_co_u32 v8, s3, v8, v5
	v_add_co_ci_u32_e64 v9, s3, v7, v6, s3
	v_add_co_u32 v5, s3, v17, v23
	s_delay_alu instid0(VALU_DEP_4) | instskip(SKIP_4) | instid1(VALU_DEP_1)
	v_mov_b32_e32 v17, v3
	v_mad_u64_u32 v[3:4], null, s24, v0, 0
	v_add_co_ci_u32_e64 v6, s3, 0, v20, s3
	v_mov_b32_e32 v1, v19
	v_add_co_u32 v7, s3, v5, s6
	v_add_co_ci_u32_e64 v21, s3, s7, v6, s3
	s_delay_alu instid0(VALU_DEP_3) | instskip(SKIP_3) | instid1(VALU_DEP_1)
	v_mad_u64_u32 v[19:20], null, s25, v2, v[1:2]
	v_mov_b32_e32 v1, v4
	v_lshlrev_b64 v[5:6], 4, v[16:17]
	v_add_co_u32 v16, s3, v7, 8
	v_add_co_ci_u32_e64 v17, s3, 0, v21, s3
	s_delay_alu instid0(VALU_DEP_4) | instskip(NEXT) | instid1(VALU_DEP_4)
	v_mad_u64_u32 v[20:21], null, s25, v0, v[1:2]
	v_add_co_u32 v0, s3, v5, s4
	s_delay_alu instid0(VALU_DEP_1) | instskip(SKIP_1) | instid1(VALU_DEP_2)
	v_add_co_ci_u32_e64 v1, s3, s5, v6, s3
	s_lshl_b64 s[4:5], s[26:27], 4
	v_add_co_u32 v2, s3, v0, v22
	s_delay_alu instid0(VALU_DEP_4) | instskip(NEXT) | instid1(VALU_DEP_3)
	v_mov_b32_e32 v4, v20
	v_add_co_ci_u32_e64 v5, s3, 0, v1, s3
	v_lshlrev_b64 v[0:1], 4, v[18:19]
	s_delay_alu instid0(VALU_DEP_4) | instskip(NEXT) | instid1(VALU_DEP_4)
	v_add_co_u32 v18, s3, s6, v2
	v_lshlrev_b64 v[2:3], 4, v[3:4]
	s_delay_alu instid0(VALU_DEP_4) | instskip(NEXT) | instid1(VALU_DEP_4)
	v_add_co_ci_u32_e64 v19, s3, s7, v5, s3
	v_add_co_u32 v0, s3, v0, s4
	s_delay_alu instid0(VALU_DEP_1) | instskip(NEXT) | instid1(VALU_DEP_4)
	v_add_co_ci_u32_e64 v1, s3, s5, v1, s3
	v_add_co_u32 v2, s3, v2, s4
	s_delay_alu instid0(VALU_DEP_1) | instskip(NEXT) | instid1(VALU_DEP_4)
	;; [unrolled: 3-line block ×5, first 2 shown]
	v_add_co_ci_u32_e64 v1, s3, s13, v1, s3
	v_add_co_u32 v2, s3, v2, s12
	v_lshlrev_b32_e32 v12, 9, v11
	v_add_co_ci_u32_e64 v3, s3, s13, v3, s3
	v_or_b32_e32 v13, 0x4000, v22
	v_add_co_u32 v20, s3, v0, 8
	s_delay_alu instid0(VALU_DEP_1)
	v_add_co_ci_u32_e64 v21, s3, 0, v1, s3
	v_add_nc_u32_e32 v14, v12, v22
	v_add_co_u32 v22, s3, v2, 8
	v_add_nc_u32_e32 v15, v13, v12
	v_add_co_ci_u32_e64 v23, s3, 0, v3, s3
	s_and_b32 s6, s2, vcc_lo
	s_mov_b64 s[2:3], 0
	s_mov_b64 s[4:5], 0
	s_branch .LBB1893_5
.LBB1893_4:                             ;   in Loop: Header=BB1893_5 Depth=1
	s_or_b32 exec_lo, exec_lo, s7
	s_add_u32 s4, s4, 32
	s_addc_u32 s5, s5, 0
	s_add_u32 s2, s2, 0x200
	v_cmp_lt_i64_e64 s7, s[4:5], s[16:17]
	s_addc_u32 s3, s3, 0
	s_waitcnt_vscnt null, 0x0
	s_barrier
	buffer_gl0_inv
	s_and_b32 vcc_lo, exec_lo, s7
	s_cbranch_vccz .LBB1893_17
.LBB1893_5:                             ; =>This Inner Loop Header: Depth=1
	v_add_co_u32 v2, s7, v10, s4
	s_delay_alu instid0(VALU_DEP_1) | instskip(SKIP_2) | instid1(VALU_DEP_3)
	v_add_co_ci_u32_e64 v3, null, 0, s5, s7
	v_mov_b32_e32 v0, 0
	v_mov_b32_e32 v1, 0
	v_cmp_gt_i64_e32 vcc_lo, s[16:17], v[2:3]
	s_delay_alu instid0(VALU_DEP_2) | instskip(SKIP_2) | instid1(SALU_CYCLE_1)
	v_dual_mov_b32 v5, v1 :: v_dual_mov_b32 v4, v0
	v_dual_mov_b32 v7, v1 :: v_dual_mov_b32 v6, v0
	s_and_b32 s7, s0, vcc_lo
	s_and_saveexec_b32 s8, s7
	s_cbranch_execz .LBB1893_7
; %bb.6:                                ;   in Loop: Header=BB1893_5 Depth=1
	v_add_co_u32 v2, vcc_lo, v22, s2
	v_add_co_ci_u32_e32 v3, vcc_lo, s3, v23, vcc_lo
	global_load_b128 v[4:7], v[2:3], off offset:-8
	s_waitcnt vmcnt(0)
	v_xor_b32_e32 v7, 0x80000000, v7
.LBB1893_7:                             ;   in Loop: Header=BB1893_5 Depth=1
	s_or_b32 exec_lo, exec_lo, s8
	v_add_co_u32 v2, s8, v11, s4
	s_delay_alu instid0(VALU_DEP_1) | instskip(SKIP_4) | instid1(SALU_CYCLE_1)
	v_add_co_ci_u32_e64 v3, null, 0, s5, s8
	ds_store_b128 v14, v[4:7]
	v_cmp_gt_i64_e32 vcc_lo, s[16:17], v[2:3]
	v_dual_mov_b32 v3, v1 :: v_dual_mov_b32 v2, v0
	s_and_b32 s8, s1, vcc_lo
	s_and_saveexec_b32 s9, s8
	s_cbranch_execz .LBB1893_9
; %bb.8:                                ;   in Loop: Header=BB1893_5 Depth=1
	v_add_co_u32 v0, vcc_lo, v16, s2
	v_add_co_ci_u32_e32 v1, vcc_lo, s3, v17, vcc_lo
	global_load_b128 v[0:3], v[0:1], off offset:-8
.LBB1893_9:                             ;   in Loop: Header=BB1893_5 Depth=1
	s_or_b32 exec_lo, exec_lo, s9
	s_waitcnt vmcnt(0)
	ds_store_b128 v15, v[0:3]
	s_waitcnt lgkmcnt(0)
	s_barrier
	buffer_gl0_inv
	s_and_saveexec_b32 s9, s6
	s_cbranch_execz .LBB1893_11
; %bb.10:                               ;   in Loop: Header=BB1893_5 Depth=1
	ds_load_b128 v[0:3], v13
	ds_load_b128 v[4:7], v12
	ds_load_b128 v[24:27], v12 offset:16
	ds_load_b128 v[28:31], v13 offset:512
	s_waitcnt lgkmcnt(2)
	v_mul_f64 v[32:33], v[0:1], v[6:7]
	v_mul_f64 v[6:7], v[2:3], v[6:7]
	s_waitcnt lgkmcnt(0)
	v_mul_f64 v[48:49], v[28:29], v[26:27]
	v_mul_f64 v[26:27], v[30:31], v[26:27]
	s_delay_alu instid0(VALU_DEP_4)
	v_fma_f64 v[2:3], v[2:3], v[4:5], v[32:33]
	ds_load_b128 v[32:35], v13 offset:1024
	ds_load_b128 v[36:39], v12 offset:32
	;; [unrolled: 1-line block ×4, first 2 shown]
	v_fma_f64 v[0:1], v[0:1], v[4:5], -v[6:7]
	v_fma_f64 v[4:5], v[30:31], v[24:25], v[48:49]
	v_fma_f64 v[52:53], v[28:29], v[24:25], -v[26:27]
	s_waitcnt lgkmcnt(2)
	v_mul_f64 v[50:51], v[32:33], v[38:39]
	v_mul_f64 v[38:39], v[34:35], v[38:39]
	s_waitcnt lgkmcnt(0)
	v_mul_f64 v[48:49], v[44:45], v[42:43]
	v_mul_f64 v[42:43], v[46:47], v[42:43]
	v_add_f64 v[2:3], v[2:3], 0
	v_fma_f64 v[34:35], v[34:35], v[36:37], v[50:51]
	v_add_f64 v[50:51], v[0:1], 0
	v_fma_f64 v[32:33], v[32:33], v[36:37], -v[38:39]
	v_fma_f64 v[36:37], v[46:47], v[40:41], v[48:49]
	v_add_f64 v[54:55], v[2:3], v[4:5]
	ds_load_b128 v[0:3], v12 offset:64
	ds_load_b128 v[4:7], v13 offset:2048
	ds_load_b128 v[24:27], v13 offset:2560
	ds_load_b128 v[28:31], v12 offset:80
	s_waitcnt lgkmcnt(2)
	v_mul_f64 v[56:57], v[4:5], v[2:3]
	v_add_f64 v[38:39], v[50:51], v[52:53]
	v_mul_f64 v[2:3], v[6:7], v[2:3]
	s_waitcnt lgkmcnt(0)
	v_mul_f64 v[48:49], v[24:25], v[30:31]
	v_fma_f64 v[50:51], v[44:45], v[40:41], -v[42:43]
	v_mul_f64 v[30:31], v[26:27], v[30:31]
	v_add_f64 v[34:35], v[54:55], v[34:35]
	v_fma_f64 v[6:7], v[6:7], v[0:1], v[56:57]
	v_add_f64 v[52:53], v[38:39], v[32:33]
	v_fma_f64 v[0:1], v[4:5], v[0:1], -v[2:3]
	v_fma_f64 v[2:3], v[26:27], v[28:29], v[48:49]
	v_add_f64 v[54:55], v[34:35], v[36:37]
	ds_load_b128 v[32:35], v12 offset:96
	ds_load_b128 v[36:39], v13 offset:3072
	ds_load_b128 v[40:43], v13 offset:3584
	ds_load_b128 v[44:47], v12 offset:112
	s_waitcnt lgkmcnt(2)
	v_mul_f64 v[56:57], v[36:37], v[34:35]
	v_add_f64 v[4:5], v[52:53], v[50:51]
	v_mul_f64 v[34:35], v[38:39], v[34:35]
	s_waitcnt lgkmcnt(0)
	v_mul_f64 v[48:49], v[40:41], v[46:47]
	v_fma_f64 v[50:51], v[24:25], v[28:29], -v[30:31]
	;; [unrolled: 18-line block ×11, first 2 shown]
	v_mul_f64 v[30:31], v[26:27], v[30:31]
	v_add_f64 v[38:39], v[54:55], v[38:39]
	v_fma_f64 v[6:7], v[6:7], v[0:1], v[56:57]
	v_add_f64 v[52:53], v[36:37], v[32:33]
	v_fma_f64 v[0:1], v[4:5], v[0:1], -v[2:3]
	v_fma_f64 v[2:3], v[26:27], v[28:29], v[48:49]
	v_add_f64 v[54:55], v[38:39], v[34:35]
	ds_load_b128 v[32:35], v12 offset:416
	ds_load_b128 v[36:39], v13 offset:13312
	;; [unrolled: 1-line block ×4, first 2 shown]
	s_waitcnt lgkmcnt(2)
	v_mul_f64 v[56:57], v[36:37], v[34:35]
	v_add_f64 v[4:5], v[52:53], v[50:51]
	v_mul_f64 v[34:35], v[38:39], v[34:35]
	s_waitcnt lgkmcnt(0)
	v_mul_f64 v[52:53], v[40:41], v[46:47]
	v_mul_f64 v[46:47], v[42:43], v[46:47]
	v_add_f64 v[6:7], v[54:55], v[6:7]
	v_fma_f64 v[54:55], v[24:25], v[28:29], -v[30:31]
	v_fma_f64 v[38:39], v[38:39], v[32:33], v[56:57]
	v_add_f64 v[56:57], v[4:5], v[0:1]
	v_fma_f64 v[32:33], v[36:37], v[32:33], -v[34:35]
	v_fma_f64 v[34:35], v[42:43], v[44:45], v[52:53]
	v_add_f64 v[58:59], v[6:7], v[2:3]
	ds_load_b128 v[0:3], v12 offset:448
	ds_load_b128 v[4:7], v13 offset:14336
	global_load_b128 v[24:27], v[8:9], off
	ds_load_b128 v[28:31], v13 offset:14848
	ds_load_b128 v[48:51], v12 offset:464
	v_add_f64 v[36:37], v[56:57], v[54:55]
	s_waitcnt lgkmcnt(2)
	v_mul_f64 v[60:61], v[4:5], v[2:3]
	v_mul_f64 v[2:3], v[6:7], v[2:3]
	s_waitcnt lgkmcnt(0)
	v_mul_f64 v[52:53], v[28:29], v[50:51]
	v_fma_f64 v[54:55], v[40:41], v[44:45], -v[46:47]
	v_mul_f64 v[50:51], v[30:31], v[50:51]
	v_add_f64 v[38:39], v[58:59], v[38:39]
	v_add_f64 v[56:57], v[36:37], v[32:33]
	v_fma_f64 v[6:7], v[6:7], v[0:1], v[60:61]
	v_fma_f64 v[0:1], v[4:5], v[0:1], -v[2:3]
	v_fma_f64 v[2:3], v[30:31], v[48:49], v[52:53]
	v_fma_f64 v[28:29], v[28:29], v[48:49], -v[50:51]
	v_add_f64 v[58:59], v[38:39], v[34:35]
	ds_load_b128 v[32:35], v12 offset:480
	ds_load_b128 v[36:39], v13 offset:15360
	;; [unrolled: 1-line block ×4, first 2 shown]
	s_waitcnt lgkmcnt(2)
	v_mul_f64 v[60:61], v[36:37], v[34:35]
	v_add_f64 v[4:5], v[56:57], v[54:55]
	v_mul_f64 v[30:31], v[38:39], v[34:35]
	s_waitcnt lgkmcnt(0)
	v_mul_f64 v[34:35], v[40:41], v[46:47]
	v_add_f64 v[6:7], v[58:59], v[6:7]
	v_fma_f64 v[38:39], v[38:39], v[32:33], v[60:61]
	v_add_f64 v[0:1], v[4:5], v[0:1]
	v_mul_f64 v[4:5], v[42:43], v[46:47]
	s_delay_alu instid0(VALU_DEP_4)
	v_add_f64 v[2:3], v[6:7], v[2:3]
	v_fma_f64 v[6:7], v[36:37], v[32:33], -v[30:31]
	v_fma_f64 v[30:31], v[42:43], v[44:45], v[34:35]
	v_add_f64 v[0:1], v[0:1], v[28:29]
	v_fma_f64 v[4:5], v[40:41], v[44:45], -v[4:5]
	v_add_f64 v[2:3], v[2:3], v[38:39]
	s_delay_alu instid0(VALU_DEP_3) | instskip(NEXT) | instid1(VALU_DEP_2)
	v_add_f64 v[0:1], v[0:1], v[6:7]
	v_add_f64 v[2:3], v[2:3], v[30:31]
	s_delay_alu instid0(VALU_DEP_2) | instskip(NEXT) | instid1(VALU_DEP_2)
	v_add_f64 v[0:1], v[0:1], v[4:5]
	v_mul_f64 v[4:5], s[20:21], v[2:3]
	v_mul_f64 v[2:3], s[18:19], v[2:3]
	s_delay_alu instid0(VALU_DEP_2) | instskip(NEXT) | instid1(VALU_DEP_2)
	v_fma_f64 v[4:5], s[18:19], v[0:1], -v[4:5]
	v_fma_f64 v[2:3], s[20:21], v[0:1], v[2:3]
	s_waitcnt vmcnt(0)
	s_delay_alu instid0(VALU_DEP_2) | instskip(NEXT) | instid1(VALU_DEP_2)
	v_add_f64 v[0:1], v[24:25], v[4:5]
	v_add_f64 v[2:3], v[26:27], v[2:3]
	global_store_b128 v[8:9], v[0:3], off
.LBB1893_11:                            ;   in Loop: Header=BB1893_5 Depth=1
	s_or_b32 exec_lo, exec_lo, s9
	v_mov_b32_e32 v2, 0
	v_mov_b32_e32 v3, 0
	s_waitcnt_vscnt null, 0x0
	s_barrier
	buffer_gl0_inv
	v_dual_mov_b32 v7, v3 :: v_dual_mov_b32 v6, v2
	v_dual_mov_b32 v5, v3 :: v_dual_mov_b32 v4, v2
	s_and_saveexec_b32 s9, s7
	s_cbranch_execz .LBB1893_13
; %bb.12:                               ;   in Loop: Header=BB1893_5 Depth=1
	v_add_co_u32 v0, vcc_lo, v18, s2
	v_add_co_ci_u32_e32 v1, vcc_lo, s3, v19, vcc_lo
	global_load_b128 v[4:7], v[0:1], off
	s_waitcnt vmcnt(0)
	v_xor_b32_e32 v7, 0x80000000, v7
.LBB1893_13:                            ;   in Loop: Header=BB1893_5 Depth=1
	s_or_b32 exec_lo, exec_lo, s9
	v_dual_mov_b32 v0, v2 :: v_dual_mov_b32 v1, v3
	ds_store_b128 v14, v[4:7]
	s_and_saveexec_b32 s7, s8
	s_cbranch_execz .LBB1893_15
; %bb.14:                               ;   in Loop: Header=BB1893_5 Depth=1
	v_add_co_u32 v0, vcc_lo, v20, s2
	v_add_co_ci_u32_e32 v1, vcc_lo, s3, v21, vcc_lo
	global_load_b128 v[0:3], v[0:1], off offset:-8
.LBB1893_15:                            ;   in Loop: Header=BB1893_5 Depth=1
	s_or_b32 exec_lo, exec_lo, s7
	s_waitcnt vmcnt(0)
	ds_store_b128 v15, v[0:3]
	s_waitcnt lgkmcnt(0)
	s_barrier
	buffer_gl0_inv
	s_and_saveexec_b32 s7, s6
	s_cbranch_execz .LBB1893_4
; %bb.16:                               ;   in Loop: Header=BB1893_5 Depth=1
	ds_load_b128 v[0:3], v13
	ds_load_b128 v[4:7], v12
	ds_load_b128 v[24:27], v12 offset:16
	ds_load_b128 v[28:31], v13 offset:512
	s_waitcnt lgkmcnt(2)
	v_mul_f64 v[32:33], v[2:3], v[6:7]
	v_mul_f64 v[6:7], v[0:1], v[6:7]
	s_waitcnt lgkmcnt(0)
	v_mul_f64 v[48:49], v[30:31], v[26:27]
	v_mul_f64 v[26:27], v[28:29], v[26:27]
	s_delay_alu instid0(VALU_DEP_4)
	v_fma_f64 v[0:1], v[0:1], v[4:5], -v[32:33]
	ds_load_b128 v[32:35], v13 offset:1024
	ds_load_b128 v[36:39], v12 offset:32
	;; [unrolled: 1-line block ×4, first 2 shown]
	v_fma_f64 v[2:3], v[2:3], v[4:5], v[6:7]
	v_fma_f64 v[4:5], v[28:29], v[24:25], -v[48:49]
	v_fma_f64 v[52:53], v[30:31], v[24:25], v[26:27]
	s_waitcnt lgkmcnt(2)
	v_mul_f64 v[50:51], v[34:35], v[38:39]
	v_mul_f64 v[38:39], v[32:33], v[38:39]
	s_waitcnt lgkmcnt(0)
	v_mul_f64 v[48:49], v[46:47], v[42:43]
	v_mul_f64 v[42:43], v[44:45], v[42:43]
	v_add_f64 v[0:1], v[0:1], 0
	v_fma_f64 v[32:33], v[32:33], v[36:37], -v[50:51]
	v_add_f64 v[50:51], v[2:3], 0
	v_fma_f64 v[34:35], v[34:35], v[36:37], v[38:39]
	v_fma_f64 v[36:37], v[44:45], v[40:41], -v[48:49]
	v_fma_f64 v[46:47], v[46:47], v[40:41], v[42:43]
	v_add_f64 v[54:55], v[0:1], v[4:5]
	ds_load_b128 v[0:3], v12 offset:64
	ds_load_b128 v[4:7], v13 offset:2048
	;; [unrolled: 1-line block ×4, first 2 shown]
	s_waitcnt lgkmcnt(2)
	v_mul_f64 v[56:57], v[6:7], v[2:3]
	v_add_f64 v[38:39], v[50:51], v[52:53]
	v_mul_f64 v[44:45], v[4:5], v[2:3]
	s_waitcnt lgkmcnt(0)
	v_mul_f64 v[48:49], v[26:27], v[30:31]
	v_mul_f64 v[30:31], v[24:25], v[30:31]
	v_add_f64 v[32:33], v[54:55], v[32:33]
	v_fma_f64 v[50:51], v[4:5], v[0:1], -v[56:57]
	v_add_f64 v[52:53], v[38:39], v[34:35]
	v_fma_f64 v[0:1], v[6:7], v[0:1], v[44:45]
	v_fma_f64 v[6:7], v[24:25], v[28:29], -v[48:49]
	v_add_f64 v[54:55], v[32:33], v[36:37]
	ds_load_b128 v[2:5], v12 offset:96
	ds_load_b128 v[32:35], v13 offset:3072
	;; [unrolled: 1-line block ×4, first 2 shown]
	s_waitcnt lgkmcnt(2)
	v_mul_f64 v[56:57], v[34:35], v[4:5]
	v_add_f64 v[24:25], v[52:53], v[46:47]
	v_mul_f64 v[48:49], v[32:33], v[4:5]
	v_fma_f64 v[52:53], v[26:27], v[28:29], v[30:31]
	v_add_f64 v[44:45], v[54:55], v[50:51]
	s_waitcnt lgkmcnt(0)
	v_mul_f64 v[50:51], v[38:39], v[42:43]
	v_mul_f64 v[42:43], v[36:37], v[42:43]
	v_fma_f64 v[32:33], v[32:33], v[2:3], -v[56:57]
	v_add_f64 v[0:1], v[24:25], v[0:1]
	v_fma_f64 v[2:3], v[34:35], v[2:3], v[48:49]
	v_add_f64 v[54:55], v[44:45], v[6:7]
	ds_load_b128 v[4:7], v12 offset:128
	ds_load_b128 v[24:27], v13 offset:4096
	;; [unrolled: 1-line block ×4, first 2 shown]
	v_fma_f64 v[34:35], v[36:37], v[40:41], -v[50:51]
	v_fma_f64 v[50:51], v[38:39], v[40:41], v[42:43]
	s_waitcnt lgkmcnt(2)
	v_mul_f64 v[56:57], v[26:27], v[6:7]
	v_add_f64 v[0:1], v[0:1], v[52:53]
	v_mul_f64 v[6:7], v[24:25], v[6:7]
	s_waitcnt lgkmcnt(0)
	v_mul_f64 v[48:49], v[30:31], v[46:47]
	v_mul_f64 v[46:47], v[28:29], v[46:47]
	v_add_f64 v[32:33], v[54:55], v[32:33]
	v_fma_f64 v[24:25], v[24:25], v[4:5], -v[56:57]
	v_add_f64 v[52:53], v[0:1], v[2:3]
	v_fma_f64 v[4:5], v[26:27], v[4:5], v[6:7]
	v_fma_f64 v[6:7], v[28:29], v[44:45], -v[48:49]
	v_add_f64 v[54:55], v[32:33], v[34:35]
	ds_load_b128 v[0:3], v12 offset:160
	ds_load_b128 v[32:35], v13 offset:5120
	;; [unrolled: 1-line block ×4, first 2 shown]
	s_waitcnt lgkmcnt(2)
	v_mul_f64 v[56:57], v[34:35], v[2:3]
	v_add_f64 v[26:27], v[52:53], v[50:51]
	v_mul_f64 v[48:49], v[32:33], v[2:3]
	s_waitcnt lgkmcnt(0)
	v_mul_f64 v[50:51], v[38:39], v[42:43]
	v_fma_f64 v[52:53], v[30:31], v[44:45], v[46:47]
	v_mul_f64 v[42:43], v[36:37], v[42:43]
	v_add_f64 v[24:25], v[54:55], v[24:25]
	v_fma_f64 v[32:33], v[32:33], v[0:1], -v[56:57]
	v_add_f64 v[54:55], v[26:27], v[4:5]
	v_fma_f64 v[0:1], v[34:35], v[0:1], v[48:49]
	v_fma_f64 v[34:35], v[36:37], v[40:41], -v[50:51]
	v_add_f64 v[6:7], v[24:25], v[6:7]
	ds_load_b128 v[2:5], v12 offset:192
	ds_load_b128 v[24:27], v13 offset:6144
	;; [unrolled: 1-line block ×4, first 2 shown]
	s_waitcnt lgkmcnt(2)
	v_mul_f64 v[56:57], v[26:27], v[4:5]
	v_add_f64 v[36:37], v[54:55], v[52:53]
	v_mul_f64 v[48:49], v[24:25], v[4:5]
	s_waitcnt lgkmcnt(0)
	v_mul_f64 v[50:51], v[30:31], v[46:47]
	v_fma_f64 v[52:53], v[38:39], v[40:41], v[42:43]
	v_mul_f64 v[46:47], v[28:29], v[46:47]
	v_add_f64 v[6:7], v[6:7], v[32:33]
	v_fma_f64 v[24:25], v[24:25], v[2:3], -v[56:57]
	v_add_f64 v[0:1], v[36:37], v[0:1]
	v_fma_f64 v[2:3], v[26:27], v[2:3], v[48:49]
	v_fma_f64 v[26:27], v[28:29], v[44:45], -v[50:51]
	v_fma_f64 v[50:51], v[30:31], v[44:45], v[46:47]
	v_add_f64 v[54:55], v[6:7], v[34:35]
	ds_load_b128 v[4:7], v12 offset:224
	ds_load_b128 v[32:35], v13 offset:7168
	;; [unrolled: 1-line block ×4, first 2 shown]
	s_waitcnt lgkmcnt(2)
	v_mul_f64 v[56:57], v[34:35], v[6:7]
	v_add_f64 v[0:1], v[0:1], v[52:53]
	v_mul_f64 v[6:7], v[32:33], v[6:7]
	s_waitcnt lgkmcnt(0)
	v_mul_f64 v[48:49], v[38:39], v[42:43]
	v_mul_f64 v[42:43], v[36:37], v[42:43]
	v_add_f64 v[24:25], v[54:55], v[24:25]
	v_fma_f64 v[32:33], v[32:33], v[4:5], -v[56:57]
	v_add_f64 v[52:53], v[0:1], v[2:3]
	v_fma_f64 v[4:5], v[34:35], v[4:5], v[6:7]
	v_fma_f64 v[6:7], v[36:37], v[40:41], -v[48:49]
	v_add_f64 v[54:55], v[24:25], v[26:27]
	ds_load_b128 v[0:3], v12 offset:256
	ds_load_b128 v[24:27], v13 offset:8192
	;; [unrolled: 1-line block ×4, first 2 shown]
	s_waitcnt lgkmcnt(2)
	v_mul_f64 v[56:57], v[26:27], v[2:3]
	v_add_f64 v[34:35], v[52:53], v[50:51]
	v_mul_f64 v[48:49], v[24:25], v[2:3]
	s_waitcnt lgkmcnt(0)
	v_mul_f64 v[50:51], v[30:31], v[46:47]
	v_fma_f64 v[52:53], v[38:39], v[40:41], v[42:43]
	v_mul_f64 v[46:47], v[28:29], v[46:47]
	v_add_f64 v[32:33], v[54:55], v[32:33]
	v_fma_f64 v[24:25], v[24:25], v[0:1], -v[56:57]
	v_add_f64 v[54:55], v[34:35], v[4:5]
	v_fma_f64 v[0:1], v[26:27], v[0:1], v[48:49]
	v_fma_f64 v[26:27], v[28:29], v[44:45], -v[50:51]
	v_add_f64 v[6:7], v[32:33], v[6:7]
	ds_load_b128 v[2:5], v12 offset:288
	ds_load_b128 v[32:35], v13 offset:9216
	ds_load_b128 v[36:39], v13 offset:9728
	ds_load_b128 v[40:43], v12 offset:304
	s_waitcnt lgkmcnt(2)
	v_mul_f64 v[56:57], v[34:35], v[4:5]
	v_add_f64 v[28:29], v[54:55], v[52:53]
	v_mul_f64 v[48:49], v[32:33], v[4:5]
	s_waitcnt lgkmcnt(0)
	v_mul_f64 v[50:51], v[38:39], v[42:43]
	v_fma_f64 v[52:53], v[30:31], v[44:45], v[46:47]
	v_mul_f64 v[42:43], v[36:37], v[42:43]
	v_add_f64 v[6:7], v[6:7], v[24:25]
	v_fma_f64 v[32:33], v[32:33], v[2:3], -v[56:57]
	v_add_f64 v[0:1], v[28:29], v[0:1]
	v_fma_f64 v[2:3], v[34:35], v[2:3], v[48:49]
	v_fma_f64 v[34:35], v[36:37], v[40:41], -v[50:51]
	v_fma_f64 v[50:51], v[38:39], v[40:41], v[42:43]
	v_add_f64 v[54:55], v[6:7], v[26:27]
	ds_load_b128 v[4:7], v12 offset:320
	ds_load_b128 v[24:27], v13 offset:10240
	;; [unrolled: 1-line block ×4, first 2 shown]
	s_waitcnt lgkmcnt(2)
	v_mul_f64 v[56:57], v[26:27], v[6:7]
	v_add_f64 v[0:1], v[0:1], v[52:53]
	v_mul_f64 v[6:7], v[24:25], v[6:7]
	s_waitcnt lgkmcnt(0)
	v_mul_f64 v[48:49], v[30:31], v[46:47]
	v_mul_f64 v[46:47], v[28:29], v[46:47]
	v_add_f64 v[32:33], v[54:55], v[32:33]
	v_fma_f64 v[24:25], v[24:25], v[4:5], -v[56:57]
	v_add_f64 v[52:53], v[0:1], v[2:3]
	v_fma_f64 v[4:5], v[26:27], v[4:5], v[6:7]
	v_fma_f64 v[6:7], v[28:29], v[44:45], -v[48:49]
	v_add_f64 v[54:55], v[32:33], v[34:35]
	ds_load_b128 v[0:3], v12 offset:352
	ds_load_b128 v[32:35], v13 offset:11264
	;; [unrolled: 1-line block ×4, first 2 shown]
	s_waitcnt lgkmcnt(2)
	v_mul_f64 v[56:57], v[34:35], v[2:3]
	v_add_f64 v[26:27], v[52:53], v[50:51]
	v_mul_f64 v[48:49], v[32:33], v[2:3]
	s_waitcnt lgkmcnt(0)
	v_mul_f64 v[50:51], v[38:39], v[42:43]
	v_fma_f64 v[52:53], v[30:31], v[44:45], v[46:47]
	v_mul_f64 v[42:43], v[36:37], v[42:43]
	v_add_f64 v[24:25], v[54:55], v[24:25]
	v_fma_f64 v[32:33], v[32:33], v[0:1], -v[56:57]
	v_add_f64 v[54:55], v[26:27], v[4:5]
	v_fma_f64 v[0:1], v[34:35], v[0:1], v[48:49]
	v_fma_f64 v[34:35], v[36:37], v[40:41], -v[50:51]
	v_add_f64 v[6:7], v[24:25], v[6:7]
	ds_load_b128 v[2:5], v12 offset:384
	ds_load_b128 v[24:27], v13 offset:12288
	;; [unrolled: 1-line block ×4, first 2 shown]
	s_waitcnt lgkmcnt(2)
	v_mul_f64 v[56:57], v[26:27], v[4:5]
	v_add_f64 v[36:37], v[54:55], v[52:53]
	v_mul_f64 v[48:49], v[24:25], v[4:5]
	s_waitcnt lgkmcnt(0)
	v_mul_f64 v[50:51], v[30:31], v[46:47]
	v_fma_f64 v[52:53], v[38:39], v[40:41], v[42:43]
	v_mul_f64 v[46:47], v[28:29], v[46:47]
	v_add_f64 v[6:7], v[6:7], v[32:33]
	v_fma_f64 v[24:25], v[24:25], v[2:3], -v[56:57]
	v_add_f64 v[0:1], v[36:37], v[0:1]
	v_fma_f64 v[2:3], v[26:27], v[2:3], v[48:49]
	v_fma_f64 v[26:27], v[28:29], v[44:45], -v[50:51]
	v_add_f64 v[54:55], v[6:7], v[34:35]
	ds_load_b128 v[4:7], v12 offset:416
	ds_load_b128 v[32:35], v13 offset:13312
	;; [unrolled: 1-line block ×4, first 2 shown]
	s_waitcnt lgkmcnt(2)
	v_mul_f64 v[56:57], v[34:35], v[6:7]
	v_add_f64 v[0:1], v[0:1], v[52:53]
	v_mul_f64 v[6:7], v[32:33], v[6:7]
	s_waitcnt lgkmcnt(0)
	v_mul_f64 v[52:53], v[38:39], v[42:43]
	v_mul_f64 v[42:43], v[36:37], v[42:43]
	v_add_f64 v[24:25], v[54:55], v[24:25]
	v_fma_f64 v[54:55], v[30:31], v[44:45], v[46:47]
	v_fma_f64 v[32:33], v[32:33], v[4:5], -v[56:57]
	v_add_f64 v[56:57], v[0:1], v[2:3]
	v_fma_f64 v[4:5], v[34:35], v[4:5], v[6:7]
	v_fma_f64 v[6:7], v[36:37], v[40:41], -v[52:53]
	v_add_f64 v[58:59], v[24:25], v[26:27]
	ds_load_b128 v[0:3], v12 offset:448
	ds_load_b128 v[24:27], v13 offset:14336
	global_load_b128 v[28:31], v[8:9], off
	ds_load_b128 v[44:47], v13 offset:14848
	ds_load_b128 v[48:51], v12 offset:464
	v_add_f64 v[34:35], v[56:57], v[54:55]
	s_waitcnt lgkmcnt(2)
	v_mul_f64 v[60:61], v[26:27], v[2:3]
	v_mul_f64 v[52:53], v[24:25], v[2:3]
	s_waitcnt lgkmcnt(0)
	v_mul_f64 v[54:55], v[46:47], v[50:51]
	v_fma_f64 v[56:57], v[38:39], v[40:41], v[42:43]
	v_mul_f64 v[50:51], v[44:45], v[50:51]
	v_add_f64 v[32:33], v[58:59], v[32:33]
	v_add_f64 v[58:59], v[34:35], v[4:5]
	v_fma_f64 v[24:25], v[24:25], v[0:1], -v[60:61]
	v_fma_f64 v[0:1], v[26:27], v[0:1], v[52:53]
	v_fma_f64 v[26:27], v[44:45], v[48:49], -v[54:55]
	v_fma_f64 v[46:47], v[46:47], v[48:49], v[50:51]
	v_add_f64 v[6:7], v[32:33], v[6:7]
	ds_load_b128 v[2:5], v12 offset:480
	ds_load_b128 v[32:35], v13 offset:15360
	ds_load_b128 v[36:39], v13 offset:15872
	ds_load_b128 v[40:43], v12 offset:496
	s_waitcnt lgkmcnt(2)
	v_mul_f64 v[60:61], v[34:35], v[4:5]
	v_add_f64 v[44:45], v[58:59], v[56:57]
	v_mul_f64 v[4:5], v[32:33], v[4:5]
	v_add_f64 v[6:7], v[6:7], v[24:25]
	s_waitcnt lgkmcnt(0)
	v_mul_f64 v[24:25], v[38:39], v[42:43]
	v_fma_f64 v[32:33], v[32:33], v[2:3], -v[60:61]
	v_add_f64 v[0:1], v[44:45], v[0:1]
	v_fma_f64 v[2:3], v[34:35], v[2:3], v[4:5]
	v_add_f64 v[6:7], v[6:7], v[26:27]
	v_mul_f64 v[26:27], v[36:37], v[42:43]
	v_fma_f64 v[4:5], v[36:37], v[40:41], -v[24:25]
	v_add_f64 v[0:1], v[0:1], v[46:47]
	s_delay_alu instid0(VALU_DEP_4) | instskip(NEXT) | instid1(VALU_DEP_4)
	v_add_f64 v[6:7], v[6:7], v[32:33]
	v_fma_f64 v[24:25], v[38:39], v[40:41], v[26:27]
	s_delay_alu instid0(VALU_DEP_3) | instskip(NEXT) | instid1(VALU_DEP_3)
	v_add_f64 v[0:1], v[0:1], v[2:3]
	v_add_f64 v[2:3], v[6:7], v[4:5]
	s_delay_alu instid0(VALU_DEP_2) | instskip(NEXT) | instid1(VALU_DEP_2)
	v_add_f64 v[0:1], v[0:1], v[24:25]
	v_mul_f64 v[4:5], s[18:19], v[2:3]
	v_mul_f64 v[2:3], s[20:21], v[2:3]
	s_delay_alu instid0(VALU_DEP_2) | instskip(NEXT) | instid1(VALU_DEP_2)
	v_fma_f64 v[4:5], s[20:21], v[0:1], v[4:5]
	v_fma_f64 v[2:3], s[18:19], v[0:1], -v[2:3]
	s_waitcnt vmcnt(0)
	s_delay_alu instid0(VALU_DEP_2) | instskip(NEXT) | instid1(VALU_DEP_2)
	v_add_f64 v[0:1], v[28:29], v[4:5]
	v_add_f64 v[2:3], v[30:31], v[2:3]
	global_store_b128 v[8:9], v[0:3], off
	s_branch .LBB1893_4
.LBB1893_17:
	s_endpgm
	.section	.rodata,"a",@progbits
	.p2align	6, 0x0
	.amdhsa_kernel _ZL26rocblas_syr2k_her2k_kernelIlLb1ELb1ELb1ELi32E19rocblas_complex_numIdEPKPKS1_PKPS1_EvbiT_T4_T5_S9_lSB_S9_lT6_S9_li
		.amdhsa_group_segment_fixed_size 32768
		.amdhsa_private_segment_fixed_size 0
		.amdhsa_kernarg_size 108
		.amdhsa_user_sgpr_count 13
		.amdhsa_user_sgpr_dispatch_ptr 0
		.amdhsa_user_sgpr_queue_ptr 0
		.amdhsa_user_sgpr_kernarg_segment_ptr 1
		.amdhsa_user_sgpr_dispatch_id 0
		.amdhsa_user_sgpr_private_segment_size 0
		.amdhsa_wavefront_size32 1
		.amdhsa_uses_dynamic_stack 0
		.amdhsa_enable_private_segment 0
		.amdhsa_system_sgpr_workgroup_id_x 1
		.amdhsa_system_sgpr_workgroup_id_y 1
		.amdhsa_system_sgpr_workgroup_id_z 1
		.amdhsa_system_sgpr_workgroup_info 0
		.amdhsa_system_vgpr_workitem_id 1
		.amdhsa_next_free_vgpr 62
		.amdhsa_next_free_sgpr 36
		.amdhsa_reserve_vcc 1
		.amdhsa_float_round_mode_32 0
		.amdhsa_float_round_mode_16_64 0
		.amdhsa_float_denorm_mode_32 3
		.amdhsa_float_denorm_mode_16_64 3
		.amdhsa_dx10_clamp 1
		.amdhsa_ieee_mode 1
		.amdhsa_fp16_overflow 0
		.amdhsa_workgroup_processor_mode 1
		.amdhsa_memory_ordered 1
		.amdhsa_forward_progress 0
		.amdhsa_shared_vgpr_count 0
		.amdhsa_exception_fp_ieee_invalid_op 0
		.amdhsa_exception_fp_denorm_src 0
		.amdhsa_exception_fp_ieee_div_zero 0
		.amdhsa_exception_fp_ieee_overflow 0
		.amdhsa_exception_fp_ieee_underflow 0
		.amdhsa_exception_fp_ieee_inexact 0
		.amdhsa_exception_int_div_zero 0
	.end_amdhsa_kernel
	.section	.text._ZL26rocblas_syr2k_her2k_kernelIlLb1ELb1ELb1ELi32E19rocblas_complex_numIdEPKPKS1_PKPS1_EvbiT_T4_T5_S9_lSB_S9_lT6_S9_li,"axG",@progbits,_ZL26rocblas_syr2k_her2k_kernelIlLb1ELb1ELb1ELi32E19rocblas_complex_numIdEPKPKS1_PKPS1_EvbiT_T4_T5_S9_lSB_S9_lT6_S9_li,comdat
.Lfunc_end1893:
	.size	_ZL26rocblas_syr2k_her2k_kernelIlLb1ELb1ELb1ELi32E19rocblas_complex_numIdEPKPKS1_PKPS1_EvbiT_T4_T5_S9_lSB_S9_lT6_S9_li, .Lfunc_end1893-_ZL26rocblas_syr2k_her2k_kernelIlLb1ELb1ELb1ELi32E19rocblas_complex_numIdEPKPKS1_PKPS1_EvbiT_T4_T5_S9_lSB_S9_lT6_S9_li
                                        ; -- End function
	.section	.AMDGPU.csdata,"",@progbits
; Kernel info:
; codeLenInByte = 5852
; NumSgprs: 38
; NumVgprs: 62
; ScratchSize: 0
; MemoryBound: 1
; FloatMode: 240
; IeeeMode: 1
; LDSByteSize: 32768 bytes/workgroup (compile time only)
; SGPRBlocks: 4
; VGPRBlocks: 7
; NumSGPRsForWavesPerEU: 38
; NumVGPRsForWavesPerEU: 62
; Occupancy: 16
; WaveLimiterHint : 1
; COMPUTE_PGM_RSRC2:SCRATCH_EN: 0
; COMPUTE_PGM_RSRC2:USER_SGPR: 13
; COMPUTE_PGM_RSRC2:TRAP_HANDLER: 0
; COMPUTE_PGM_RSRC2:TGID_X_EN: 1
; COMPUTE_PGM_RSRC2:TGID_Y_EN: 1
; COMPUTE_PGM_RSRC2:TGID_Z_EN: 1
; COMPUTE_PGM_RSRC2:TIDIG_COMP_CNT: 1
	.section	.text._ZL26rocblas_syr2k_her2k_kernelIlLb1ELb1ELb0ELi32EPK19rocblas_complex_numIdEPKS3_PKPS1_EvbiT_T4_T5_S9_lSB_S9_lT6_S9_li,"axG",@progbits,_ZL26rocblas_syr2k_her2k_kernelIlLb1ELb1ELb0ELi32EPK19rocblas_complex_numIdEPKS3_PKPS1_EvbiT_T4_T5_S9_lSB_S9_lT6_S9_li,comdat
	.globl	_ZL26rocblas_syr2k_her2k_kernelIlLb1ELb1ELb0ELi32EPK19rocblas_complex_numIdEPKS3_PKPS1_EvbiT_T4_T5_S9_lSB_S9_lT6_S9_li ; -- Begin function _ZL26rocblas_syr2k_her2k_kernelIlLb1ELb1ELb0ELi32EPK19rocblas_complex_numIdEPKS3_PKPS1_EvbiT_T4_T5_S9_lSB_S9_lT6_S9_li
	.p2align	8
	.type	_ZL26rocblas_syr2k_her2k_kernelIlLb1ELb1ELb0ELi32EPK19rocblas_complex_numIdEPKS3_PKPS1_EvbiT_T4_T5_S9_lSB_S9_lT6_S9_li,@function
_ZL26rocblas_syr2k_her2k_kernelIlLb1ELb1ELb0ELi32EPK19rocblas_complex_numIdEPKS3_PKPS1_EvbiT_T4_T5_S9_lSB_S9_lT6_S9_li: ; @_ZL26rocblas_syr2k_her2k_kernelIlLb1ELb1ELb0ELi32EPK19rocblas_complex_numIdEPKS3_PKPS1_EvbiT_T4_T5_S9_lSB_S9_lT6_S9_li
; %bb.0:
	s_load_b512 s[16:31], s[0:1], 0x8
	s_waitcnt lgkmcnt(0)
	s_load_b128 s[4:7], s[18:19], 0x0
	s_waitcnt lgkmcnt(0)
	v_cmp_eq_f64_e64 s2, s[4:5], 0
	v_cmp_eq_f64_e64 s3, s[6:7], 0
	s_delay_alu instid0(VALU_DEP_1) | instskip(NEXT) | instid1(SALU_CYCLE_1)
	s_and_b32 s2, s2, s3
	s_and_b32 vcc_lo, exec_lo, s2
	s_cbranch_vccnz .LBB1894_17
; %bb.1:
	s_load_b64 s[2:3], s[0:1], 0x0
	s_mov_b32 s12, s15
	s_lshl_b32 s14, s14, 5
	s_lshl_b32 s15, s13, 5
	s_waitcnt lgkmcnt(0)
	s_and_b32 s2, 1, s2
	s_delay_alu instid0(SALU_CYCLE_1) | instskip(SKIP_1) | instid1(SALU_CYCLE_1)
	s_cmp_eq_u32 s2, 1
	s_cselect_b32 s2, -1, 0
	s_and_b32 s8, s2, exec_lo
	s_cselect_b32 s8, s15, s14
	s_cselect_b32 s9, s14, s15
	s_delay_alu instid0(SALU_CYCLE_1)
	s_cmp_gt_i32 s8, s9
	s_cbranch_scc1 .LBB1894_17
; %bb.2:
	v_cmp_lt_i64_e64 s8, s[16:17], 1
	s_delay_alu instid0(VALU_DEP_1)
	s_and_b32 vcc_lo, exec_lo, s8
	s_cbranch_vccnz .LBB1894_17
; %bb.3:
	s_clause 0x1
	s_load_b128 s[8:11], s[0:1], 0x48
	s_load_b64 s[0:1], s[0:1], 0x58
	v_bfe_u32 v10, v0, 10, 10
	v_and_b32_e32 v11, 0x3ff, v0
	s_mov_b32 s13, 0
	v_mov_b32_e32 v1, 0
	s_lshl_b64 s[12:13], s[12:13], 3
	v_add_nc_u32_e32 v2, s14, v10
	v_add_nc_u32_e32 v0, s15, v11
	s_add_u32 s20, s20, s12
	v_mov_b32_e32 v3, v1
	s_addc_u32 s21, s21, s13
	v_lshlrev_b32_e32 v6, 4, v10
	s_add_u32 s14, s26, s12
	v_max_i32_e32 v7, v0, v2
	v_ashrrev_i32_e32 v9, 31, v2
	v_mad_u64_u32 v[18:19], null, s28, v10, 0
	v_lshlrev_b32_e32 v12, 9, v11
	s_addc_u32 s15, s27, s13
	s_waitcnt lgkmcnt(0)
	s_add_u32 s8, s8, s12
	s_load_b64 s[14:15], s[14:15], 0x0
	s_addc_u32 s9, s9, s13
	v_or_b32_e32 v13, 0x4000, v6
	v_add_nc_u32_e32 v14, v12, v6
	v_cmp_gt_i32_e32 vcc_lo, s3, v7
	v_mul_lo_u32 v9, v9, s10
	v_mul_lo_u32 v17, v2, s11
	v_mad_u64_u32 v[6:7], null, v2, s10, 0
	s_load_b64 s[8:9], s[8:9], 0x0
	v_mad_u64_u32 v[4:5], null, s28, v11, 0
	v_cndmask_b32_e64 v8, v0, v2, s2
	v_cndmask_b32_e64 v16, v2, v0, s2
	s_lshl_b64 s[12:13], s[30:31], 4
	s_delay_alu instid0(VALU_DEP_4) | instskip(SKIP_1) | instid1(VALU_DEP_3)
	v_add3_u32 v7, v7, v17, v9
	v_mad_u64_u32 v[20:21], null, s22, v11, 0
	v_cmp_le_i32_e64 s2, v16, v8
	v_ashrrev_i32_e32 v8, 31, v0
	s_delay_alu instid0(VALU_DEP_4)
	v_lshlrev_b64 v[16:17], 4, v[6:7]
	v_mad_u64_u32 v[6:7], null, s29, v11, v[5:6]
	v_mov_b32_e32 v7, v0
	s_waitcnt lgkmcnt(0)
	s_add_u32 s12, s14, s12
	s_addc_u32 s13, s15, s13
	s_lshl_b64 s[0:1], s[0:1], 4
	s_mov_b32 s18, s3
	v_lshlrev_b64 v[8:9], 4, v[7:8]
	v_mov_b32_e32 v5, v6
	v_mov_b32_e32 v7, v19
	s_add_u32 s8, s8, s0
	s_addc_u32 s9, s9, s1
	s_and_b32 s14, s2, vcc_lo
	v_add_co_u32 v22, vcc_lo, s8, v16
	v_add_co_ci_u32_e32 v23, vcc_lo, s9, v17, vcc_lo
	v_mad_u64_u32 v[16:17], null, s29, v10, v[7:8]
	v_mad_u64_u32 v[6:7], null, s22, v10, 0
	v_mov_b32_e32 v17, v21
	s_ashr_i32 s19, s3, 31
	v_add_co_u32 v8, vcc_lo, v22, v8
	v_cmp_gt_i64_e64 s1, s[18:19], v[2:3]
	v_lshlrev_b64 v[4:5], 4, v[4:5]
	v_lshlrev_b64 v[2:3], 4, v[2:3]
	v_mad_u64_u32 v[21:22], null, s23, v11, v[17:18]
	v_add_co_ci_u32_e32 v9, vcc_lo, v23, v9, vcc_lo
	v_mov_b32_e32 v19, v16
	v_mad_u64_u32 v[22:23], null, s23, v10, v[7:8]
	s_load_b64 s[20:21], s[20:21], 0x0
	v_add_co_u32 v7, vcc_lo, v4, v2
	v_cmp_gt_i64_e64 s0, s[18:19], v[0:1]
	v_add_co_ci_u32_e32 v16, vcc_lo, v5, v3, vcc_lo
	v_lshlrev_b64 v[4:5], 4, v[18:19]
	v_lshlrev_b64 v[0:1], 4, v[0:1]
	v_or_b32_e32 v17, 8, v7
	v_mov_b32_e32 v7, v22
	v_lshlrev_b64 v[20:21], 4, v[20:21]
	s_lshl_b64 s[8:9], s[24:25], 4
	s_lshl_b64 s[2:3], s[28:29], 9
	v_add_co_u32 v18, vcc_lo, v4, v0
	v_add_co_ci_u32_e32 v19, vcc_lo, v5, v1, vcc_lo
	v_lshlrev_b64 v[4:5], 4, v[6:7]
	v_add_co_u32 v20, vcc_lo, v20, v2
	v_add_co_ci_u32_e32 v21, vcc_lo, v21, v3, vcc_lo
	v_add_nc_u32_e32 v15, v13, v12
	s_delay_alu instid0(VALU_DEP_4)
	v_add_co_u32 v22, vcc_lo, v4, v0
	s_waitcnt lgkmcnt(0)
	s_add_u32 s8, s8, s20
	v_add_co_ci_u32_e32 v23, vcc_lo, v5, v1, vcc_lo
	s_addc_u32 s9, s9, s21
	s_add_u32 s15, s8, 8
	s_addc_u32 s18, s9, 0
	s_lshl_b64 s[8:9], s[22:23], 9
	s_mov_b64 s[10:11], 0
	s_branch .LBB1894_5
.LBB1894_4:                             ;   in Loop: Header=BB1894_5 Depth=1
	s_or_b32 exec_lo, exec_lo, s19
	s_add_u32 s10, s10, 32
	s_addc_u32 s11, s11, 0
	s_add_u32 s12, s12, s2
	v_cmp_lt_i64_e64 s19, s[10:11], s[16:17]
	s_addc_u32 s13, s13, s3
	s_add_u32 s15, s15, s8
	s_addc_u32 s18, s18, s9
	s_waitcnt_vscnt null, 0x0
	s_barrier
	s_and_b32 vcc_lo, exec_lo, s19
	buffer_gl0_inv
	s_cbranch_vccz .LBB1894_17
.LBB1894_5:                             ; =>This Inner Loop Header: Depth=1
	v_add_co_u32 v2, s19, v10, s10
	s_delay_alu instid0(VALU_DEP_1) | instskip(SKIP_2) | instid1(VALU_DEP_3)
	v_add_co_ci_u32_e64 v3, null, 0, s11, s19
	v_mov_b32_e32 v0, 0
	v_mov_b32_e32 v1, 0
	v_cmp_gt_i64_e32 vcc_lo, s[16:17], v[2:3]
	s_delay_alu instid0(VALU_DEP_2) | instskip(SKIP_2) | instid1(SALU_CYCLE_1)
	v_dual_mov_b32 v5, v1 :: v_dual_mov_b32 v4, v0
	v_dual_mov_b32 v7, v1 :: v_dual_mov_b32 v6, v0
	s_and_b32 s19, s0, vcc_lo
	s_and_saveexec_b32 s20, s19
	s_cbranch_execz .LBB1894_7
; %bb.6:                                ;   in Loop: Header=BB1894_5 Depth=1
	v_add_co_u32 v2, vcc_lo, s15, v22
	v_add_co_ci_u32_e32 v3, vcc_lo, s18, v23, vcc_lo
	global_load_b128 v[4:7], v[2:3], off offset:-8
.LBB1894_7:                             ;   in Loop: Header=BB1894_5 Depth=1
	s_or_b32 exec_lo, exec_lo, s20
	v_add_co_u32 v2, s20, v11, s10
	s_delay_alu instid0(VALU_DEP_1)
	v_add_co_ci_u32_e64 v3, null, 0, s11, s20
	s_waitcnt vmcnt(0)
	ds_store_b128 v14, v[4:7]
	v_cmp_gt_i64_e32 vcc_lo, s[16:17], v[2:3]
	v_dual_mov_b32 v3, v1 :: v_dual_mov_b32 v2, v0
	s_and_b32 s20, s1, vcc_lo
	s_delay_alu instid0(SALU_CYCLE_1)
	s_and_saveexec_b32 s21, s20
	s_cbranch_execz .LBB1894_9
; %bb.8:                                ;   in Loop: Header=BB1894_5 Depth=1
	v_add_co_u32 v0, vcc_lo, s12, v17
	v_add_co_ci_u32_e32 v1, vcc_lo, s13, v16, vcc_lo
	global_load_b128 v[0:3], v[0:1], off offset:-8
	s_waitcnt vmcnt(0)
	v_xor_b32_e32 v3, 0x80000000, v3
.LBB1894_9:                             ;   in Loop: Header=BB1894_5 Depth=1
	s_or_b32 exec_lo, exec_lo, s21
	ds_store_b128 v15, v[0:3]
	s_waitcnt lgkmcnt(0)
	s_barrier
	buffer_gl0_inv
	s_and_saveexec_b32 s21, s14
	s_cbranch_execz .LBB1894_11
; %bb.10:                               ;   in Loop: Header=BB1894_5 Depth=1
	ds_load_b128 v[0:3], v13
	ds_load_b128 v[4:7], v12
	ds_load_b128 v[24:27], v12 offset:16
	ds_load_b128 v[28:31], v13 offset:512
	s_waitcnt lgkmcnt(2)
	v_mul_f64 v[32:33], v[0:1], v[6:7]
	v_mul_f64 v[6:7], v[2:3], v[6:7]
	s_waitcnt lgkmcnt(0)
	v_mul_f64 v[48:49], v[28:29], v[26:27]
	v_mul_f64 v[26:27], v[30:31], v[26:27]
	s_delay_alu instid0(VALU_DEP_4)
	v_fma_f64 v[2:3], v[2:3], v[4:5], v[32:33]
	ds_load_b128 v[32:35], v13 offset:1024
	ds_load_b128 v[36:39], v12 offset:32
	;; [unrolled: 1-line block ×4, first 2 shown]
	v_fma_f64 v[0:1], v[0:1], v[4:5], -v[6:7]
	v_fma_f64 v[4:5], v[30:31], v[24:25], v[48:49]
	v_fma_f64 v[52:53], v[28:29], v[24:25], -v[26:27]
	s_waitcnt lgkmcnt(2)
	v_mul_f64 v[50:51], v[32:33], v[38:39]
	v_mul_f64 v[38:39], v[34:35], v[38:39]
	s_waitcnt lgkmcnt(0)
	v_mul_f64 v[48:49], v[44:45], v[42:43]
	v_mul_f64 v[42:43], v[46:47], v[42:43]
	v_add_f64 v[2:3], v[2:3], 0
	v_fma_f64 v[34:35], v[34:35], v[36:37], v[50:51]
	v_add_f64 v[50:51], v[0:1], 0
	v_fma_f64 v[32:33], v[32:33], v[36:37], -v[38:39]
	v_fma_f64 v[36:37], v[46:47], v[40:41], v[48:49]
	v_add_f64 v[54:55], v[2:3], v[4:5]
	ds_load_b128 v[0:3], v12 offset:64
	ds_load_b128 v[4:7], v13 offset:2048
	ds_load_b128 v[24:27], v13 offset:2560
	ds_load_b128 v[28:31], v12 offset:80
	s_waitcnt lgkmcnt(2)
	v_mul_f64 v[56:57], v[4:5], v[2:3]
	v_add_f64 v[38:39], v[50:51], v[52:53]
	v_mul_f64 v[2:3], v[6:7], v[2:3]
	s_waitcnt lgkmcnt(0)
	v_mul_f64 v[48:49], v[24:25], v[30:31]
	v_fma_f64 v[50:51], v[44:45], v[40:41], -v[42:43]
	v_mul_f64 v[30:31], v[26:27], v[30:31]
	v_add_f64 v[34:35], v[54:55], v[34:35]
	v_fma_f64 v[6:7], v[6:7], v[0:1], v[56:57]
	v_add_f64 v[52:53], v[38:39], v[32:33]
	v_fma_f64 v[0:1], v[4:5], v[0:1], -v[2:3]
	v_fma_f64 v[2:3], v[26:27], v[28:29], v[48:49]
	v_add_f64 v[54:55], v[34:35], v[36:37]
	ds_load_b128 v[32:35], v12 offset:96
	ds_load_b128 v[36:39], v13 offset:3072
	ds_load_b128 v[40:43], v13 offset:3584
	ds_load_b128 v[44:47], v12 offset:112
	s_waitcnt lgkmcnt(2)
	v_mul_f64 v[56:57], v[36:37], v[34:35]
	v_add_f64 v[4:5], v[52:53], v[50:51]
	v_mul_f64 v[34:35], v[38:39], v[34:35]
	s_waitcnt lgkmcnt(0)
	v_mul_f64 v[48:49], v[40:41], v[46:47]
	v_fma_f64 v[50:51], v[24:25], v[28:29], -v[30:31]
	;; [unrolled: 18-line block ×11, first 2 shown]
	v_mul_f64 v[30:31], v[26:27], v[30:31]
	v_add_f64 v[38:39], v[54:55], v[38:39]
	v_fma_f64 v[6:7], v[6:7], v[0:1], v[56:57]
	v_add_f64 v[52:53], v[36:37], v[32:33]
	v_fma_f64 v[0:1], v[4:5], v[0:1], -v[2:3]
	v_fma_f64 v[2:3], v[26:27], v[28:29], v[48:49]
	v_add_f64 v[54:55], v[38:39], v[34:35]
	ds_load_b128 v[32:35], v12 offset:416
	ds_load_b128 v[36:39], v13 offset:13312
	ds_load_b128 v[40:43], v13 offset:13824
	ds_load_b128 v[44:47], v12 offset:432
	s_waitcnt lgkmcnt(2)
	v_mul_f64 v[56:57], v[36:37], v[34:35]
	v_add_f64 v[4:5], v[52:53], v[50:51]
	v_mul_f64 v[34:35], v[38:39], v[34:35]
	s_waitcnt lgkmcnt(0)
	v_mul_f64 v[52:53], v[40:41], v[46:47]
	v_mul_f64 v[46:47], v[42:43], v[46:47]
	v_add_f64 v[6:7], v[54:55], v[6:7]
	v_fma_f64 v[54:55], v[24:25], v[28:29], -v[30:31]
	v_fma_f64 v[38:39], v[38:39], v[32:33], v[56:57]
	v_add_f64 v[56:57], v[4:5], v[0:1]
	v_fma_f64 v[32:33], v[36:37], v[32:33], -v[34:35]
	v_fma_f64 v[34:35], v[42:43], v[44:45], v[52:53]
	v_add_f64 v[58:59], v[6:7], v[2:3]
	ds_load_b128 v[0:3], v12 offset:448
	ds_load_b128 v[4:7], v13 offset:14336
	global_load_b128 v[24:27], v[8:9], off
	ds_load_b128 v[28:31], v13 offset:14848
	ds_load_b128 v[48:51], v12 offset:464
	v_add_f64 v[36:37], v[56:57], v[54:55]
	s_waitcnt lgkmcnt(2)
	v_mul_f64 v[60:61], v[4:5], v[2:3]
	v_mul_f64 v[2:3], v[6:7], v[2:3]
	s_waitcnt lgkmcnt(0)
	v_mul_f64 v[52:53], v[28:29], v[50:51]
	v_fma_f64 v[54:55], v[40:41], v[44:45], -v[46:47]
	v_mul_f64 v[50:51], v[30:31], v[50:51]
	v_add_f64 v[38:39], v[58:59], v[38:39]
	v_add_f64 v[56:57], v[36:37], v[32:33]
	v_fma_f64 v[6:7], v[6:7], v[0:1], v[60:61]
	v_fma_f64 v[0:1], v[4:5], v[0:1], -v[2:3]
	v_fma_f64 v[2:3], v[30:31], v[48:49], v[52:53]
	v_fma_f64 v[28:29], v[28:29], v[48:49], -v[50:51]
	v_add_f64 v[58:59], v[38:39], v[34:35]
	ds_load_b128 v[32:35], v12 offset:480
	ds_load_b128 v[36:39], v13 offset:15360
	ds_load_b128 v[40:43], v13 offset:15872
	ds_load_b128 v[44:47], v12 offset:496
	s_waitcnt lgkmcnt(2)
	v_mul_f64 v[60:61], v[36:37], v[34:35]
	v_add_f64 v[4:5], v[56:57], v[54:55]
	v_mul_f64 v[30:31], v[38:39], v[34:35]
	s_waitcnt lgkmcnt(0)
	v_mul_f64 v[34:35], v[40:41], v[46:47]
	v_add_f64 v[6:7], v[58:59], v[6:7]
	v_fma_f64 v[38:39], v[38:39], v[32:33], v[60:61]
	v_add_f64 v[0:1], v[4:5], v[0:1]
	v_mul_f64 v[4:5], v[42:43], v[46:47]
	s_delay_alu instid0(VALU_DEP_4)
	v_add_f64 v[2:3], v[6:7], v[2:3]
	v_fma_f64 v[6:7], v[36:37], v[32:33], -v[30:31]
	v_fma_f64 v[30:31], v[42:43], v[44:45], v[34:35]
	v_add_f64 v[0:1], v[0:1], v[28:29]
	v_fma_f64 v[4:5], v[40:41], v[44:45], -v[4:5]
	v_add_f64 v[2:3], v[2:3], v[38:39]
	s_delay_alu instid0(VALU_DEP_3) | instskip(NEXT) | instid1(VALU_DEP_2)
	v_add_f64 v[0:1], v[0:1], v[6:7]
	v_add_f64 v[2:3], v[2:3], v[30:31]
	s_delay_alu instid0(VALU_DEP_2) | instskip(NEXT) | instid1(VALU_DEP_2)
	v_add_f64 v[0:1], v[0:1], v[4:5]
	v_mul_f64 v[4:5], s[6:7], v[2:3]
	v_mul_f64 v[2:3], s[4:5], v[2:3]
	s_delay_alu instid0(VALU_DEP_2) | instskip(NEXT) | instid1(VALU_DEP_2)
	v_fma_f64 v[4:5], s[4:5], v[0:1], -v[4:5]
	v_fma_f64 v[2:3], s[6:7], v[0:1], v[2:3]
	s_waitcnt vmcnt(0)
	s_delay_alu instid0(VALU_DEP_2) | instskip(NEXT) | instid1(VALU_DEP_2)
	v_add_f64 v[0:1], v[24:25], v[4:5]
	v_add_f64 v[2:3], v[26:27], v[2:3]
	global_store_b128 v[8:9], v[0:3], off
.LBB1894_11:                            ;   in Loop: Header=BB1894_5 Depth=1
	s_or_b32 exec_lo, exec_lo, s21
	v_mov_b32_e32 v2, 0
	v_mov_b32_e32 v3, 0
	s_waitcnt_vscnt null, 0x0
	s_barrier
	buffer_gl0_inv
	v_dual_mov_b32 v7, v3 :: v_dual_mov_b32 v6, v2
	v_dual_mov_b32 v5, v3 :: v_dual_mov_b32 v4, v2
	s_and_saveexec_b32 s21, s19
	s_cbranch_execz .LBB1894_13
; %bb.12:                               ;   in Loop: Header=BB1894_5 Depth=1
	v_add_co_u32 v0, vcc_lo, s12, v18
	v_add_co_ci_u32_e32 v1, vcc_lo, s13, v19, vcc_lo
	global_load_b128 v[4:7], v[0:1], off
.LBB1894_13:                            ;   in Loop: Header=BB1894_5 Depth=1
	s_or_b32 exec_lo, exec_lo, s21
	v_dual_mov_b32 v0, v2 :: v_dual_mov_b32 v1, v3
	s_waitcnt vmcnt(0)
	ds_store_b128 v14, v[4:7]
	s_and_saveexec_b32 s19, s20
	s_cbranch_execz .LBB1894_15
; %bb.14:                               ;   in Loop: Header=BB1894_5 Depth=1
	v_add_co_u32 v0, vcc_lo, s15, v20
	v_add_co_ci_u32_e32 v1, vcc_lo, s18, v21, vcc_lo
	global_load_b128 v[0:3], v[0:1], off offset:-8
	s_waitcnt vmcnt(0)
	v_xor_b32_e32 v3, 0x80000000, v3
.LBB1894_15:                            ;   in Loop: Header=BB1894_5 Depth=1
	s_or_b32 exec_lo, exec_lo, s19
	ds_store_b128 v15, v[0:3]
	s_waitcnt lgkmcnt(0)
	s_barrier
	buffer_gl0_inv
	s_and_saveexec_b32 s19, s14
	s_cbranch_execz .LBB1894_4
; %bb.16:                               ;   in Loop: Header=BB1894_5 Depth=1
	ds_load_b128 v[0:3], v13
	ds_load_b128 v[4:7], v12
	ds_load_b128 v[24:27], v12 offset:16
	ds_load_b128 v[28:31], v13 offset:512
	s_waitcnt lgkmcnt(2)
	v_mul_f64 v[32:33], v[2:3], v[6:7]
	v_mul_f64 v[6:7], v[0:1], v[6:7]
	s_waitcnt lgkmcnt(0)
	v_mul_f64 v[48:49], v[30:31], v[26:27]
	v_mul_f64 v[26:27], v[28:29], v[26:27]
	s_delay_alu instid0(VALU_DEP_4)
	v_fma_f64 v[0:1], v[0:1], v[4:5], -v[32:33]
	ds_load_b128 v[32:35], v13 offset:1024
	ds_load_b128 v[36:39], v12 offset:32
	;; [unrolled: 1-line block ×4, first 2 shown]
	v_fma_f64 v[2:3], v[2:3], v[4:5], v[6:7]
	v_fma_f64 v[4:5], v[28:29], v[24:25], -v[48:49]
	v_fma_f64 v[52:53], v[30:31], v[24:25], v[26:27]
	s_waitcnt lgkmcnt(2)
	v_mul_f64 v[50:51], v[34:35], v[38:39]
	v_mul_f64 v[38:39], v[32:33], v[38:39]
	s_waitcnt lgkmcnt(0)
	v_mul_f64 v[48:49], v[46:47], v[42:43]
	v_mul_f64 v[42:43], v[44:45], v[42:43]
	v_add_f64 v[0:1], v[0:1], 0
	v_fma_f64 v[32:33], v[32:33], v[36:37], -v[50:51]
	v_add_f64 v[50:51], v[2:3], 0
	v_fma_f64 v[34:35], v[34:35], v[36:37], v[38:39]
	v_fma_f64 v[36:37], v[44:45], v[40:41], -v[48:49]
	v_fma_f64 v[46:47], v[46:47], v[40:41], v[42:43]
	v_add_f64 v[54:55], v[0:1], v[4:5]
	ds_load_b128 v[0:3], v12 offset:64
	ds_load_b128 v[4:7], v13 offset:2048
	;; [unrolled: 1-line block ×4, first 2 shown]
	s_waitcnt lgkmcnt(2)
	v_mul_f64 v[56:57], v[6:7], v[2:3]
	v_add_f64 v[38:39], v[50:51], v[52:53]
	v_mul_f64 v[44:45], v[4:5], v[2:3]
	s_waitcnt lgkmcnt(0)
	v_mul_f64 v[48:49], v[26:27], v[30:31]
	v_mul_f64 v[30:31], v[24:25], v[30:31]
	v_add_f64 v[32:33], v[54:55], v[32:33]
	v_fma_f64 v[50:51], v[4:5], v[0:1], -v[56:57]
	v_add_f64 v[52:53], v[38:39], v[34:35]
	v_fma_f64 v[0:1], v[6:7], v[0:1], v[44:45]
	v_fma_f64 v[6:7], v[24:25], v[28:29], -v[48:49]
	v_add_f64 v[54:55], v[32:33], v[36:37]
	ds_load_b128 v[2:5], v12 offset:96
	ds_load_b128 v[32:35], v13 offset:3072
	;; [unrolled: 1-line block ×4, first 2 shown]
	s_waitcnt lgkmcnt(2)
	v_mul_f64 v[56:57], v[34:35], v[4:5]
	v_add_f64 v[24:25], v[52:53], v[46:47]
	v_mul_f64 v[48:49], v[32:33], v[4:5]
	v_fma_f64 v[52:53], v[26:27], v[28:29], v[30:31]
	v_add_f64 v[44:45], v[54:55], v[50:51]
	s_waitcnt lgkmcnt(0)
	v_mul_f64 v[50:51], v[38:39], v[42:43]
	v_mul_f64 v[42:43], v[36:37], v[42:43]
	v_fma_f64 v[32:33], v[32:33], v[2:3], -v[56:57]
	v_add_f64 v[0:1], v[24:25], v[0:1]
	v_fma_f64 v[2:3], v[34:35], v[2:3], v[48:49]
	v_add_f64 v[54:55], v[44:45], v[6:7]
	ds_load_b128 v[4:7], v12 offset:128
	ds_load_b128 v[24:27], v13 offset:4096
	;; [unrolled: 1-line block ×4, first 2 shown]
	v_fma_f64 v[34:35], v[36:37], v[40:41], -v[50:51]
	v_fma_f64 v[50:51], v[38:39], v[40:41], v[42:43]
	s_waitcnt lgkmcnt(2)
	v_mul_f64 v[56:57], v[26:27], v[6:7]
	v_add_f64 v[0:1], v[0:1], v[52:53]
	v_mul_f64 v[6:7], v[24:25], v[6:7]
	s_waitcnt lgkmcnt(0)
	v_mul_f64 v[48:49], v[30:31], v[46:47]
	v_mul_f64 v[46:47], v[28:29], v[46:47]
	v_add_f64 v[32:33], v[54:55], v[32:33]
	v_fma_f64 v[24:25], v[24:25], v[4:5], -v[56:57]
	v_add_f64 v[52:53], v[0:1], v[2:3]
	v_fma_f64 v[4:5], v[26:27], v[4:5], v[6:7]
	v_fma_f64 v[6:7], v[28:29], v[44:45], -v[48:49]
	v_add_f64 v[54:55], v[32:33], v[34:35]
	ds_load_b128 v[0:3], v12 offset:160
	ds_load_b128 v[32:35], v13 offset:5120
	ds_load_b128 v[36:39], v13 offset:5632
	ds_load_b128 v[40:43], v12 offset:176
	s_waitcnt lgkmcnt(2)
	v_mul_f64 v[56:57], v[34:35], v[2:3]
	v_add_f64 v[26:27], v[52:53], v[50:51]
	v_mul_f64 v[48:49], v[32:33], v[2:3]
	s_waitcnt lgkmcnt(0)
	v_mul_f64 v[50:51], v[38:39], v[42:43]
	v_fma_f64 v[52:53], v[30:31], v[44:45], v[46:47]
	v_mul_f64 v[42:43], v[36:37], v[42:43]
	v_add_f64 v[24:25], v[54:55], v[24:25]
	v_fma_f64 v[32:33], v[32:33], v[0:1], -v[56:57]
	v_add_f64 v[54:55], v[26:27], v[4:5]
	v_fma_f64 v[0:1], v[34:35], v[0:1], v[48:49]
	v_fma_f64 v[34:35], v[36:37], v[40:41], -v[50:51]
	v_add_f64 v[6:7], v[24:25], v[6:7]
	ds_load_b128 v[2:5], v12 offset:192
	ds_load_b128 v[24:27], v13 offset:6144
	;; [unrolled: 1-line block ×4, first 2 shown]
	s_waitcnt lgkmcnt(2)
	v_mul_f64 v[56:57], v[26:27], v[4:5]
	v_add_f64 v[36:37], v[54:55], v[52:53]
	v_mul_f64 v[48:49], v[24:25], v[4:5]
	s_waitcnt lgkmcnt(0)
	v_mul_f64 v[50:51], v[30:31], v[46:47]
	v_fma_f64 v[52:53], v[38:39], v[40:41], v[42:43]
	v_mul_f64 v[46:47], v[28:29], v[46:47]
	v_add_f64 v[6:7], v[6:7], v[32:33]
	v_fma_f64 v[24:25], v[24:25], v[2:3], -v[56:57]
	v_add_f64 v[0:1], v[36:37], v[0:1]
	v_fma_f64 v[2:3], v[26:27], v[2:3], v[48:49]
	v_fma_f64 v[26:27], v[28:29], v[44:45], -v[50:51]
	v_fma_f64 v[50:51], v[30:31], v[44:45], v[46:47]
	v_add_f64 v[54:55], v[6:7], v[34:35]
	ds_load_b128 v[4:7], v12 offset:224
	ds_load_b128 v[32:35], v13 offset:7168
	;; [unrolled: 1-line block ×4, first 2 shown]
	s_waitcnt lgkmcnt(2)
	v_mul_f64 v[56:57], v[34:35], v[6:7]
	v_add_f64 v[0:1], v[0:1], v[52:53]
	v_mul_f64 v[6:7], v[32:33], v[6:7]
	s_waitcnt lgkmcnt(0)
	v_mul_f64 v[48:49], v[38:39], v[42:43]
	v_mul_f64 v[42:43], v[36:37], v[42:43]
	v_add_f64 v[24:25], v[54:55], v[24:25]
	v_fma_f64 v[32:33], v[32:33], v[4:5], -v[56:57]
	v_add_f64 v[52:53], v[0:1], v[2:3]
	v_fma_f64 v[4:5], v[34:35], v[4:5], v[6:7]
	v_fma_f64 v[6:7], v[36:37], v[40:41], -v[48:49]
	v_add_f64 v[54:55], v[24:25], v[26:27]
	ds_load_b128 v[0:3], v12 offset:256
	ds_load_b128 v[24:27], v13 offset:8192
	;; [unrolled: 1-line block ×4, first 2 shown]
	s_waitcnt lgkmcnt(2)
	v_mul_f64 v[56:57], v[26:27], v[2:3]
	v_add_f64 v[34:35], v[52:53], v[50:51]
	v_mul_f64 v[48:49], v[24:25], v[2:3]
	s_waitcnt lgkmcnt(0)
	v_mul_f64 v[50:51], v[30:31], v[46:47]
	v_fma_f64 v[52:53], v[38:39], v[40:41], v[42:43]
	v_mul_f64 v[46:47], v[28:29], v[46:47]
	v_add_f64 v[32:33], v[54:55], v[32:33]
	v_fma_f64 v[24:25], v[24:25], v[0:1], -v[56:57]
	v_add_f64 v[54:55], v[34:35], v[4:5]
	v_fma_f64 v[0:1], v[26:27], v[0:1], v[48:49]
	v_fma_f64 v[26:27], v[28:29], v[44:45], -v[50:51]
	v_add_f64 v[6:7], v[32:33], v[6:7]
	ds_load_b128 v[2:5], v12 offset:288
	ds_load_b128 v[32:35], v13 offset:9216
	;; [unrolled: 1-line block ×4, first 2 shown]
	s_waitcnt lgkmcnt(2)
	v_mul_f64 v[56:57], v[34:35], v[4:5]
	v_add_f64 v[28:29], v[54:55], v[52:53]
	v_mul_f64 v[48:49], v[32:33], v[4:5]
	s_waitcnt lgkmcnt(0)
	v_mul_f64 v[50:51], v[38:39], v[42:43]
	v_fma_f64 v[52:53], v[30:31], v[44:45], v[46:47]
	v_mul_f64 v[42:43], v[36:37], v[42:43]
	v_add_f64 v[6:7], v[6:7], v[24:25]
	v_fma_f64 v[32:33], v[32:33], v[2:3], -v[56:57]
	v_add_f64 v[0:1], v[28:29], v[0:1]
	v_fma_f64 v[2:3], v[34:35], v[2:3], v[48:49]
	v_fma_f64 v[34:35], v[36:37], v[40:41], -v[50:51]
	v_fma_f64 v[50:51], v[38:39], v[40:41], v[42:43]
	v_add_f64 v[54:55], v[6:7], v[26:27]
	ds_load_b128 v[4:7], v12 offset:320
	ds_load_b128 v[24:27], v13 offset:10240
	;; [unrolled: 1-line block ×4, first 2 shown]
	s_waitcnt lgkmcnt(2)
	v_mul_f64 v[56:57], v[26:27], v[6:7]
	v_add_f64 v[0:1], v[0:1], v[52:53]
	v_mul_f64 v[6:7], v[24:25], v[6:7]
	s_waitcnt lgkmcnt(0)
	v_mul_f64 v[48:49], v[30:31], v[46:47]
	v_mul_f64 v[46:47], v[28:29], v[46:47]
	v_add_f64 v[32:33], v[54:55], v[32:33]
	v_fma_f64 v[24:25], v[24:25], v[4:5], -v[56:57]
	v_add_f64 v[52:53], v[0:1], v[2:3]
	v_fma_f64 v[4:5], v[26:27], v[4:5], v[6:7]
	v_fma_f64 v[6:7], v[28:29], v[44:45], -v[48:49]
	v_add_f64 v[54:55], v[32:33], v[34:35]
	ds_load_b128 v[0:3], v12 offset:352
	ds_load_b128 v[32:35], v13 offset:11264
	;; [unrolled: 1-line block ×4, first 2 shown]
	s_waitcnt lgkmcnt(2)
	v_mul_f64 v[56:57], v[34:35], v[2:3]
	v_add_f64 v[26:27], v[52:53], v[50:51]
	v_mul_f64 v[48:49], v[32:33], v[2:3]
	s_waitcnt lgkmcnt(0)
	v_mul_f64 v[50:51], v[38:39], v[42:43]
	v_fma_f64 v[52:53], v[30:31], v[44:45], v[46:47]
	v_mul_f64 v[42:43], v[36:37], v[42:43]
	v_add_f64 v[24:25], v[54:55], v[24:25]
	v_fma_f64 v[32:33], v[32:33], v[0:1], -v[56:57]
	v_add_f64 v[54:55], v[26:27], v[4:5]
	v_fma_f64 v[0:1], v[34:35], v[0:1], v[48:49]
	v_fma_f64 v[34:35], v[36:37], v[40:41], -v[50:51]
	v_add_f64 v[6:7], v[24:25], v[6:7]
	ds_load_b128 v[2:5], v12 offset:384
	ds_load_b128 v[24:27], v13 offset:12288
	;; [unrolled: 1-line block ×4, first 2 shown]
	s_waitcnt lgkmcnt(2)
	v_mul_f64 v[56:57], v[26:27], v[4:5]
	v_add_f64 v[36:37], v[54:55], v[52:53]
	v_mul_f64 v[48:49], v[24:25], v[4:5]
	s_waitcnt lgkmcnt(0)
	v_mul_f64 v[50:51], v[30:31], v[46:47]
	v_fma_f64 v[52:53], v[38:39], v[40:41], v[42:43]
	v_mul_f64 v[46:47], v[28:29], v[46:47]
	v_add_f64 v[6:7], v[6:7], v[32:33]
	v_fma_f64 v[24:25], v[24:25], v[2:3], -v[56:57]
	v_add_f64 v[0:1], v[36:37], v[0:1]
	v_fma_f64 v[2:3], v[26:27], v[2:3], v[48:49]
	v_fma_f64 v[26:27], v[28:29], v[44:45], -v[50:51]
	v_add_f64 v[54:55], v[6:7], v[34:35]
	ds_load_b128 v[4:7], v12 offset:416
	ds_load_b128 v[32:35], v13 offset:13312
	ds_load_b128 v[36:39], v13 offset:13824
	ds_load_b128 v[40:43], v12 offset:432
	s_waitcnt lgkmcnt(2)
	v_mul_f64 v[56:57], v[34:35], v[6:7]
	v_add_f64 v[0:1], v[0:1], v[52:53]
	v_mul_f64 v[6:7], v[32:33], v[6:7]
	s_waitcnt lgkmcnt(0)
	v_mul_f64 v[52:53], v[38:39], v[42:43]
	v_mul_f64 v[42:43], v[36:37], v[42:43]
	v_add_f64 v[24:25], v[54:55], v[24:25]
	v_fma_f64 v[54:55], v[30:31], v[44:45], v[46:47]
	v_fma_f64 v[32:33], v[32:33], v[4:5], -v[56:57]
	v_add_f64 v[56:57], v[0:1], v[2:3]
	v_fma_f64 v[4:5], v[34:35], v[4:5], v[6:7]
	v_fma_f64 v[6:7], v[36:37], v[40:41], -v[52:53]
	v_add_f64 v[58:59], v[24:25], v[26:27]
	ds_load_b128 v[0:3], v12 offset:448
	ds_load_b128 v[24:27], v13 offset:14336
	global_load_b128 v[28:31], v[8:9], off
	ds_load_b128 v[44:47], v13 offset:14848
	ds_load_b128 v[48:51], v12 offset:464
	v_add_f64 v[34:35], v[56:57], v[54:55]
	s_waitcnt lgkmcnt(2)
	v_mul_f64 v[60:61], v[26:27], v[2:3]
	v_mul_f64 v[52:53], v[24:25], v[2:3]
	s_waitcnt lgkmcnt(0)
	v_mul_f64 v[54:55], v[46:47], v[50:51]
	v_fma_f64 v[56:57], v[38:39], v[40:41], v[42:43]
	v_mul_f64 v[50:51], v[44:45], v[50:51]
	v_add_f64 v[32:33], v[58:59], v[32:33]
	v_add_f64 v[58:59], v[34:35], v[4:5]
	v_fma_f64 v[24:25], v[24:25], v[0:1], -v[60:61]
	v_fma_f64 v[0:1], v[26:27], v[0:1], v[52:53]
	v_fma_f64 v[26:27], v[44:45], v[48:49], -v[54:55]
	v_fma_f64 v[46:47], v[46:47], v[48:49], v[50:51]
	v_add_f64 v[6:7], v[32:33], v[6:7]
	ds_load_b128 v[2:5], v12 offset:480
	ds_load_b128 v[32:35], v13 offset:15360
	;; [unrolled: 1-line block ×4, first 2 shown]
	s_waitcnt lgkmcnt(2)
	v_mul_f64 v[60:61], v[34:35], v[4:5]
	v_add_f64 v[44:45], v[58:59], v[56:57]
	v_mul_f64 v[4:5], v[32:33], v[4:5]
	v_add_f64 v[6:7], v[6:7], v[24:25]
	s_waitcnt lgkmcnt(0)
	v_mul_f64 v[24:25], v[38:39], v[42:43]
	v_fma_f64 v[32:33], v[32:33], v[2:3], -v[60:61]
	v_add_f64 v[0:1], v[44:45], v[0:1]
	v_fma_f64 v[2:3], v[34:35], v[2:3], v[4:5]
	v_add_f64 v[6:7], v[6:7], v[26:27]
	v_mul_f64 v[26:27], v[36:37], v[42:43]
	v_fma_f64 v[4:5], v[36:37], v[40:41], -v[24:25]
	v_add_f64 v[0:1], v[0:1], v[46:47]
	s_delay_alu instid0(VALU_DEP_4) | instskip(NEXT) | instid1(VALU_DEP_4)
	v_add_f64 v[6:7], v[6:7], v[32:33]
	v_fma_f64 v[24:25], v[38:39], v[40:41], v[26:27]
	s_delay_alu instid0(VALU_DEP_3) | instskip(NEXT) | instid1(VALU_DEP_3)
	v_add_f64 v[0:1], v[0:1], v[2:3]
	v_add_f64 v[2:3], v[6:7], v[4:5]
	s_delay_alu instid0(VALU_DEP_2) | instskip(NEXT) | instid1(VALU_DEP_2)
	v_add_f64 v[0:1], v[0:1], v[24:25]
	v_mul_f64 v[4:5], s[4:5], v[2:3]
	v_mul_f64 v[2:3], s[6:7], v[2:3]
	s_delay_alu instid0(VALU_DEP_2) | instskip(NEXT) | instid1(VALU_DEP_2)
	v_fma_f64 v[4:5], s[6:7], v[0:1], v[4:5]
	v_fma_f64 v[2:3], s[4:5], v[0:1], -v[2:3]
	s_waitcnt vmcnt(0)
	s_delay_alu instid0(VALU_DEP_2) | instskip(NEXT) | instid1(VALU_DEP_2)
	v_add_f64 v[0:1], v[28:29], v[4:5]
	v_add_f64 v[2:3], v[30:31], v[2:3]
	global_store_b128 v[8:9], v[0:3], off
	s_branch .LBB1894_4
.LBB1894_17:
	s_endpgm
	.section	.rodata,"a",@progbits
	.p2align	6, 0x0
	.amdhsa_kernel _ZL26rocblas_syr2k_her2k_kernelIlLb1ELb1ELb0ELi32EPK19rocblas_complex_numIdEPKS3_PKPS1_EvbiT_T4_T5_S9_lSB_S9_lT6_S9_li
		.amdhsa_group_segment_fixed_size 32768
		.amdhsa_private_segment_fixed_size 0
		.amdhsa_kernarg_size 100
		.amdhsa_user_sgpr_count 13
		.amdhsa_user_sgpr_dispatch_ptr 0
		.amdhsa_user_sgpr_queue_ptr 0
		.amdhsa_user_sgpr_kernarg_segment_ptr 1
		.amdhsa_user_sgpr_dispatch_id 0
		.amdhsa_user_sgpr_private_segment_size 0
		.amdhsa_wavefront_size32 1
		.amdhsa_uses_dynamic_stack 0
		.amdhsa_enable_private_segment 0
		.amdhsa_system_sgpr_workgroup_id_x 1
		.amdhsa_system_sgpr_workgroup_id_y 1
		.amdhsa_system_sgpr_workgroup_id_z 1
		.amdhsa_system_sgpr_workgroup_info 0
		.amdhsa_system_vgpr_workitem_id 1
		.amdhsa_next_free_vgpr 62
		.amdhsa_next_free_sgpr 32
		.amdhsa_reserve_vcc 1
		.amdhsa_float_round_mode_32 0
		.amdhsa_float_round_mode_16_64 0
		.amdhsa_float_denorm_mode_32 3
		.amdhsa_float_denorm_mode_16_64 3
		.amdhsa_dx10_clamp 1
		.amdhsa_ieee_mode 1
		.amdhsa_fp16_overflow 0
		.amdhsa_workgroup_processor_mode 1
		.amdhsa_memory_ordered 1
		.amdhsa_forward_progress 0
		.amdhsa_shared_vgpr_count 0
		.amdhsa_exception_fp_ieee_invalid_op 0
		.amdhsa_exception_fp_denorm_src 0
		.amdhsa_exception_fp_ieee_div_zero 0
		.amdhsa_exception_fp_ieee_overflow 0
		.amdhsa_exception_fp_ieee_underflow 0
		.amdhsa_exception_fp_ieee_inexact 0
		.amdhsa_exception_int_div_zero 0
	.end_amdhsa_kernel
	.section	.text._ZL26rocblas_syr2k_her2k_kernelIlLb1ELb1ELb0ELi32EPK19rocblas_complex_numIdEPKS3_PKPS1_EvbiT_T4_T5_S9_lSB_S9_lT6_S9_li,"axG",@progbits,_ZL26rocblas_syr2k_her2k_kernelIlLb1ELb1ELb0ELi32EPK19rocblas_complex_numIdEPKS3_PKPS1_EvbiT_T4_T5_S9_lSB_S9_lT6_S9_li,comdat
.Lfunc_end1894:
	.size	_ZL26rocblas_syr2k_her2k_kernelIlLb1ELb1ELb0ELi32EPK19rocblas_complex_numIdEPKS3_PKPS1_EvbiT_T4_T5_S9_lSB_S9_lT6_S9_li, .Lfunc_end1894-_ZL26rocblas_syr2k_her2k_kernelIlLb1ELb1ELb0ELi32EPK19rocblas_complex_numIdEPKS3_PKPS1_EvbiT_T4_T5_S9_lSB_S9_lT6_S9_li
                                        ; -- End function
	.section	.AMDGPU.csdata,"",@progbits
; Kernel info:
; codeLenInByte = 5676
; NumSgprs: 34
; NumVgprs: 62
; ScratchSize: 0
; MemoryBound: 1
; FloatMode: 240
; IeeeMode: 1
; LDSByteSize: 32768 bytes/workgroup (compile time only)
; SGPRBlocks: 4
; VGPRBlocks: 7
; NumSGPRsForWavesPerEU: 34
; NumVGPRsForWavesPerEU: 62
; Occupancy: 16
; WaveLimiterHint : 1
; COMPUTE_PGM_RSRC2:SCRATCH_EN: 0
; COMPUTE_PGM_RSRC2:USER_SGPR: 13
; COMPUTE_PGM_RSRC2:TRAP_HANDLER: 0
; COMPUTE_PGM_RSRC2:TGID_X_EN: 1
; COMPUTE_PGM_RSRC2:TGID_Y_EN: 1
; COMPUTE_PGM_RSRC2:TGID_Z_EN: 1
; COMPUTE_PGM_RSRC2:TIDIG_COMP_CNT: 1
	.section	.text._ZL26rocblas_syr2k_her2k_kernelIlLb1ELb1ELb1ELi32EPK19rocblas_complex_numIdEPKS3_PKPS1_EvbiT_T4_T5_S9_lSB_S9_lT6_S9_li,"axG",@progbits,_ZL26rocblas_syr2k_her2k_kernelIlLb1ELb1ELb1ELi32EPK19rocblas_complex_numIdEPKS3_PKPS1_EvbiT_T4_T5_S9_lSB_S9_lT6_S9_li,comdat
	.globl	_ZL26rocblas_syr2k_her2k_kernelIlLb1ELb1ELb1ELi32EPK19rocblas_complex_numIdEPKS3_PKPS1_EvbiT_T4_T5_S9_lSB_S9_lT6_S9_li ; -- Begin function _ZL26rocblas_syr2k_her2k_kernelIlLb1ELb1ELb1ELi32EPK19rocblas_complex_numIdEPKS3_PKPS1_EvbiT_T4_T5_S9_lSB_S9_lT6_S9_li
	.p2align	8
	.type	_ZL26rocblas_syr2k_her2k_kernelIlLb1ELb1ELb1ELi32EPK19rocblas_complex_numIdEPKS3_PKPS1_EvbiT_T4_T5_S9_lSB_S9_lT6_S9_li,@function
_ZL26rocblas_syr2k_her2k_kernelIlLb1ELb1ELb1ELi32EPK19rocblas_complex_numIdEPKS3_PKPS1_EvbiT_T4_T5_S9_lSB_S9_lT6_S9_li: ; @_ZL26rocblas_syr2k_her2k_kernelIlLb1ELb1ELb1ELi32EPK19rocblas_complex_numIdEPKS3_PKPS1_EvbiT_T4_T5_S9_lSB_S9_lT6_S9_li
; %bb.0:
	s_load_b512 s[16:31], s[0:1], 0x8
	s_waitcnt lgkmcnt(0)
	s_load_b128 s[4:7], s[18:19], 0x0
	s_waitcnt lgkmcnt(0)
	v_cmp_eq_f64_e64 s2, s[4:5], 0
	v_cmp_eq_f64_e64 s3, s[6:7], 0
	s_delay_alu instid0(VALU_DEP_1) | instskip(NEXT) | instid1(SALU_CYCLE_1)
	s_and_b32 s2, s2, s3
	s_and_b32 vcc_lo, exec_lo, s2
	s_cbranch_vccnz .LBB1895_17
; %bb.1:
	s_load_b64 s[2:3], s[0:1], 0x0
	s_mov_b32 s12, s15
	s_lshl_b32 s14, s14, 5
	s_lshl_b32 s15, s13, 5
	s_waitcnt lgkmcnt(0)
	s_and_b32 s2, 1, s2
	s_delay_alu instid0(SALU_CYCLE_1) | instskip(SKIP_1) | instid1(SALU_CYCLE_1)
	s_cmp_eq_u32 s2, 1
	s_cselect_b32 s2, -1, 0
	s_and_b32 s8, s2, exec_lo
	s_cselect_b32 s8, s15, s14
	s_cselect_b32 s9, s14, s15
	s_delay_alu instid0(SALU_CYCLE_1)
	s_cmp_gt_i32 s8, s9
	s_cbranch_scc1 .LBB1895_17
; %bb.2:
	v_cmp_lt_i64_e64 s8, s[16:17], 1
	s_delay_alu instid0(VALU_DEP_1)
	s_and_b32 vcc_lo, exec_lo, s8
	s_cbranch_vccnz .LBB1895_17
; %bb.3:
	s_clause 0x1
	s_load_b128 s[8:11], s[0:1], 0x48
	s_load_b64 s[0:1], s[0:1], 0x58
	v_bfe_u32 v10, v0, 10, 10
	s_mov_b32 s13, 0
	v_and_b32_e32 v11, 0x3ff, v0
	s_lshl_b64 s[34:35], s[12:13], 3
	s_delay_alu instid0(VALU_DEP_2) | instskip(SKIP_3) | instid1(VALU_DEP_1)
	v_dual_mov_b32 v1, 0 :: v_dual_add_nc_u32 v2, s14, v10
	s_add_u32 s12, s20, s34
	s_addc_u32 s13, s21, s35
	s_add_u32 s14, s26, s34
	v_dual_mov_b32 v3, v1 :: v_dual_add_nc_u32 v0, s15, v11
	s_addc_u32 s15, s27, s35
	v_ashrrev_i32_e32 v6, 31, v2
	s_load_b64 s[12:13], s[12:13], 0x0
	v_mad_u64_u32 v[4:5], null, s28, v2, 0
	v_max_i32_e32 v8, v0, v2
	v_cndmask_b32_e64 v16, v0, v2, s2
	s_waitcnt lgkmcnt(0)
	s_add_u32 s20, s8, s34
	s_addc_u32 s21, s9, s35
	s_load_b64 s[8:9], s[14:15], 0x0
	s_load_b64 s[14:15], s[20:21], 0x0
	v_mul_lo_u32 v18, v6, s10
	v_mad_u64_u32 v[6:7], null, v2, s10, 0
	v_mul_lo_u32 v19, v2, s11
	v_cmp_gt_i32_e32 vcc_lo, s3, v8
	v_cndmask_b32_e64 v17, v2, v0, s2
	s_lshl_b64 s[0:1], s[0:1], 4
	s_mov_b32 s18, s3
	v_lshlrev_b32_e32 v23, 4, v11
	v_mad_u64_u32 v[8:9], null, s29, v2, v[5:6]
	v_add3_u32 v7, v7, v19, v18
	v_lshlrev_b32_e32 v22, 4, v10
	v_cmp_le_i32_e64 s2, v17, v16
	v_mad_u64_u32 v[16:17], null, s28, v0, 0
	s_delay_alu instid0(VALU_DEP_4)
	v_lshlrev_b64 v[6:7], 4, v[6:7]
	v_mov_b32_e32 v5, v8
	v_mad_u64_u32 v[18:19], null, s22, v2, 0
	s_waitcnt lgkmcnt(0)
	s_add_u32 s10, s14, s0
	s_addc_u32 s11, s15, s1
	s_ashr_i32 s19, s3, 31
	v_add_co_u32 v8, s3, s10, v6
	v_cmp_gt_i64_e64 s0, s[18:19], v[0:1]
	v_ashrrev_i32_e32 v1, 31, v0
	v_cmp_gt_i64_e64 s1, s[18:19], v[2:3]
	v_lshlrev_b64 v[3:4], 4, v[4:5]
	v_add_co_ci_u32_e64 v7, s3, s11, v7, s3
	s_delay_alu instid0(VALU_DEP_4) | instskip(SKIP_4) | instid1(VALU_DEP_1)
	v_lshlrev_b64 v[5:6], 4, v[0:1]
	v_mov_b32_e32 v1, v17
	s_lshl_b64 s[10:11], s[30:31], 4
	v_or_b32_e32 v13, 0x4000, v22
	v_add_co_u32 v17, s3, v3, s10
	v_add_co_ci_u32_e64 v20, s3, s11, v4, s3
	v_mad_u64_u32 v[3:4], null, s29, v0, v[1:2]
	v_add_co_u32 v8, s3, v8, v5
	s_delay_alu instid0(VALU_DEP_1) | instskip(SKIP_1) | instid1(VALU_DEP_4)
	v_add_co_ci_u32_e64 v9, s3, v7, v6, s3
	v_add_co_u32 v5, s3, v17, v23
	v_mov_b32_e32 v17, v3
	v_mad_u64_u32 v[3:4], null, s22, v0, 0
	v_add_co_ci_u32_e64 v6, s3, 0, v20, s3
	v_mov_b32_e32 v1, v19
	v_add_co_u32 v7, s3, v5, s8
	s_delay_alu instid0(VALU_DEP_1) | instskip(NEXT) | instid1(VALU_DEP_3)
	v_add_co_ci_u32_e64 v21, s3, s9, v6, s3
	v_mad_u64_u32 v[19:20], null, s23, v2, v[1:2]
	v_mov_b32_e32 v1, v4
	v_lshlrev_b64 v[5:6], 4, v[16:17]
	v_add_co_u32 v16, s3, v7, 8
	s_delay_alu instid0(VALU_DEP_1) | instskip(NEXT) | instid1(VALU_DEP_4)
	v_add_co_ci_u32_e64 v17, s3, 0, v21, s3
	v_mad_u64_u32 v[20:21], null, s23, v0, v[1:2]
	s_delay_alu instid0(VALU_DEP_4) | instskip(NEXT) | instid1(VALU_DEP_1)
	v_add_co_u32 v0, s3, v5, s10
	v_add_co_ci_u32_e64 v1, s3, s11, v6, s3
	s_and_b32 s10, s2, vcc_lo
	s_delay_alu instid0(VALU_DEP_2) | instskip(NEXT) | instid1(VALU_DEP_4)
	v_add_co_u32 v2, s3, v0, v22
	v_mov_b32_e32 v4, v20
	s_delay_alu instid0(VALU_DEP_3) | instskip(SKIP_1) | instid1(VALU_DEP_4)
	v_add_co_ci_u32_e64 v5, s3, 0, v1, s3
	v_lshlrev_b64 v[0:1], 4, v[18:19]
	v_add_co_u32 v18, s3, s8, v2
	s_delay_alu instid0(VALU_DEP_4) | instskip(NEXT) | instid1(VALU_DEP_4)
	v_lshlrev_b64 v[2:3], 4, v[3:4]
	v_add_co_ci_u32_e64 v19, s3, s9, v5, s3
	s_lshl_b64 s[8:9], s[24:25], 4
	v_lshlrev_b32_e32 v12, 9, v11
	v_add_co_u32 v0, s3, v0, s8
	s_delay_alu instid0(VALU_DEP_1) | instskip(SKIP_1) | instid1(VALU_DEP_1)
	v_add_co_ci_u32_e64 v1, s3, s9, v1, s3
	v_add_co_u32 v2, s3, v2, s8
	v_add_co_ci_u32_e64 v3, s3, s9, v3, s3
	s_delay_alu instid0(VALU_DEP_4) | instskip(NEXT) | instid1(VALU_DEP_1)
	v_add_co_u32 v0, s3, v0, v23
	v_add_co_ci_u32_e64 v1, s3, 0, v1, s3
	s_delay_alu instid0(VALU_DEP_4) | instskip(NEXT) | instid1(VALU_DEP_1)
	;; [unrolled: 3-line block ×5, first 2 shown]
	v_add_co_u32 v20, s3, v0, 8
	v_add_co_ci_u32_e64 v21, s3, 0, v1, s3
	v_add_nc_u32_e32 v14, v12, v22
	v_add_co_u32 v22, s3, v2, 8
	v_add_nc_u32_e32 v15, v13, v12
	v_add_co_ci_u32_e64 v23, s3, 0, v3, s3
	s_mov_b64 s[2:3], 0
	s_mov_b64 s[8:9], 0
	s_branch .LBB1895_5
.LBB1895_4:                             ;   in Loop: Header=BB1895_5 Depth=1
	s_or_b32 exec_lo, exec_lo, s11
	s_add_u32 s8, s8, 32
	s_addc_u32 s9, s9, 0
	s_add_u32 s2, s2, 0x200
	v_cmp_lt_i64_e64 s11, s[8:9], s[16:17]
	s_addc_u32 s3, s3, 0
	s_waitcnt_vscnt null, 0x0
	s_barrier
	buffer_gl0_inv
	s_and_b32 vcc_lo, exec_lo, s11
	s_cbranch_vccz .LBB1895_17
.LBB1895_5:                             ; =>This Inner Loop Header: Depth=1
	v_add_co_u32 v2, s11, v10, s8
	s_delay_alu instid0(VALU_DEP_1) | instskip(SKIP_2) | instid1(VALU_DEP_3)
	v_add_co_ci_u32_e64 v3, null, 0, s9, s11
	v_mov_b32_e32 v0, 0
	v_mov_b32_e32 v1, 0
	v_cmp_gt_i64_e32 vcc_lo, s[16:17], v[2:3]
	s_delay_alu instid0(VALU_DEP_2) | instskip(SKIP_2) | instid1(SALU_CYCLE_1)
	v_dual_mov_b32 v5, v1 :: v_dual_mov_b32 v4, v0
	v_dual_mov_b32 v7, v1 :: v_dual_mov_b32 v6, v0
	s_and_b32 s11, s0, vcc_lo
	s_and_saveexec_b32 s12, s11
	s_cbranch_execz .LBB1895_7
; %bb.6:                                ;   in Loop: Header=BB1895_5 Depth=1
	v_add_co_u32 v2, vcc_lo, v22, s2
	v_add_co_ci_u32_e32 v3, vcc_lo, s3, v23, vcc_lo
	global_load_b128 v[4:7], v[2:3], off offset:-8
	s_waitcnt vmcnt(0)
	v_xor_b32_e32 v7, 0x80000000, v7
.LBB1895_7:                             ;   in Loop: Header=BB1895_5 Depth=1
	s_or_b32 exec_lo, exec_lo, s12
	v_add_co_u32 v2, s12, v11, s8
	s_delay_alu instid0(VALU_DEP_1) | instskip(SKIP_4) | instid1(SALU_CYCLE_1)
	v_add_co_ci_u32_e64 v3, null, 0, s9, s12
	ds_store_b128 v14, v[4:7]
	v_cmp_gt_i64_e32 vcc_lo, s[16:17], v[2:3]
	v_dual_mov_b32 v3, v1 :: v_dual_mov_b32 v2, v0
	s_and_b32 s12, s1, vcc_lo
	s_and_saveexec_b32 s13, s12
	s_cbranch_execz .LBB1895_9
; %bb.8:                                ;   in Loop: Header=BB1895_5 Depth=1
	v_add_co_u32 v0, vcc_lo, v16, s2
	v_add_co_ci_u32_e32 v1, vcc_lo, s3, v17, vcc_lo
	global_load_b128 v[0:3], v[0:1], off offset:-8
.LBB1895_9:                             ;   in Loop: Header=BB1895_5 Depth=1
	s_or_b32 exec_lo, exec_lo, s13
	s_waitcnt vmcnt(0)
	ds_store_b128 v15, v[0:3]
	s_waitcnt lgkmcnt(0)
	s_barrier
	buffer_gl0_inv
	s_and_saveexec_b32 s13, s10
	s_cbranch_execz .LBB1895_11
; %bb.10:                               ;   in Loop: Header=BB1895_5 Depth=1
	ds_load_b128 v[0:3], v13
	ds_load_b128 v[4:7], v12
	ds_load_b128 v[24:27], v12 offset:16
	ds_load_b128 v[28:31], v13 offset:512
	s_waitcnt lgkmcnt(2)
	v_mul_f64 v[32:33], v[0:1], v[6:7]
	v_mul_f64 v[6:7], v[2:3], v[6:7]
	s_waitcnt lgkmcnt(0)
	v_mul_f64 v[48:49], v[28:29], v[26:27]
	v_mul_f64 v[26:27], v[30:31], v[26:27]
	s_delay_alu instid0(VALU_DEP_4)
	v_fma_f64 v[2:3], v[2:3], v[4:5], v[32:33]
	ds_load_b128 v[32:35], v13 offset:1024
	ds_load_b128 v[36:39], v12 offset:32
	;; [unrolled: 1-line block ×4, first 2 shown]
	v_fma_f64 v[0:1], v[0:1], v[4:5], -v[6:7]
	v_fma_f64 v[4:5], v[30:31], v[24:25], v[48:49]
	v_fma_f64 v[52:53], v[28:29], v[24:25], -v[26:27]
	s_waitcnt lgkmcnt(2)
	v_mul_f64 v[50:51], v[32:33], v[38:39]
	v_mul_f64 v[38:39], v[34:35], v[38:39]
	s_waitcnt lgkmcnt(0)
	v_mul_f64 v[48:49], v[44:45], v[42:43]
	v_mul_f64 v[42:43], v[46:47], v[42:43]
	v_add_f64 v[2:3], v[2:3], 0
	v_fma_f64 v[34:35], v[34:35], v[36:37], v[50:51]
	v_add_f64 v[50:51], v[0:1], 0
	v_fma_f64 v[32:33], v[32:33], v[36:37], -v[38:39]
	v_fma_f64 v[36:37], v[46:47], v[40:41], v[48:49]
	v_add_f64 v[54:55], v[2:3], v[4:5]
	ds_load_b128 v[0:3], v12 offset:64
	ds_load_b128 v[4:7], v13 offset:2048
	ds_load_b128 v[24:27], v13 offset:2560
	ds_load_b128 v[28:31], v12 offset:80
	s_waitcnt lgkmcnt(2)
	v_mul_f64 v[56:57], v[4:5], v[2:3]
	v_add_f64 v[38:39], v[50:51], v[52:53]
	v_mul_f64 v[2:3], v[6:7], v[2:3]
	s_waitcnt lgkmcnt(0)
	v_mul_f64 v[48:49], v[24:25], v[30:31]
	v_fma_f64 v[50:51], v[44:45], v[40:41], -v[42:43]
	v_mul_f64 v[30:31], v[26:27], v[30:31]
	v_add_f64 v[34:35], v[54:55], v[34:35]
	v_fma_f64 v[6:7], v[6:7], v[0:1], v[56:57]
	v_add_f64 v[52:53], v[38:39], v[32:33]
	v_fma_f64 v[0:1], v[4:5], v[0:1], -v[2:3]
	v_fma_f64 v[2:3], v[26:27], v[28:29], v[48:49]
	v_add_f64 v[54:55], v[34:35], v[36:37]
	ds_load_b128 v[32:35], v12 offset:96
	ds_load_b128 v[36:39], v13 offset:3072
	ds_load_b128 v[40:43], v13 offset:3584
	ds_load_b128 v[44:47], v12 offset:112
	s_waitcnt lgkmcnt(2)
	v_mul_f64 v[56:57], v[36:37], v[34:35]
	v_add_f64 v[4:5], v[52:53], v[50:51]
	v_mul_f64 v[34:35], v[38:39], v[34:35]
	s_waitcnt lgkmcnt(0)
	v_mul_f64 v[48:49], v[40:41], v[46:47]
	v_fma_f64 v[50:51], v[24:25], v[28:29], -v[30:31]
	;; [unrolled: 18-line block ×11, first 2 shown]
	v_mul_f64 v[30:31], v[26:27], v[30:31]
	v_add_f64 v[38:39], v[54:55], v[38:39]
	v_fma_f64 v[6:7], v[6:7], v[0:1], v[56:57]
	v_add_f64 v[52:53], v[36:37], v[32:33]
	v_fma_f64 v[0:1], v[4:5], v[0:1], -v[2:3]
	v_fma_f64 v[2:3], v[26:27], v[28:29], v[48:49]
	v_add_f64 v[54:55], v[38:39], v[34:35]
	ds_load_b128 v[32:35], v12 offset:416
	ds_load_b128 v[36:39], v13 offset:13312
	ds_load_b128 v[40:43], v13 offset:13824
	ds_load_b128 v[44:47], v12 offset:432
	s_waitcnt lgkmcnt(2)
	v_mul_f64 v[56:57], v[36:37], v[34:35]
	v_add_f64 v[4:5], v[52:53], v[50:51]
	v_mul_f64 v[34:35], v[38:39], v[34:35]
	s_waitcnt lgkmcnt(0)
	v_mul_f64 v[52:53], v[40:41], v[46:47]
	v_mul_f64 v[46:47], v[42:43], v[46:47]
	v_add_f64 v[6:7], v[54:55], v[6:7]
	v_fma_f64 v[54:55], v[24:25], v[28:29], -v[30:31]
	v_fma_f64 v[38:39], v[38:39], v[32:33], v[56:57]
	v_add_f64 v[56:57], v[4:5], v[0:1]
	v_fma_f64 v[32:33], v[36:37], v[32:33], -v[34:35]
	v_fma_f64 v[34:35], v[42:43], v[44:45], v[52:53]
	v_add_f64 v[58:59], v[6:7], v[2:3]
	ds_load_b128 v[0:3], v12 offset:448
	ds_load_b128 v[4:7], v13 offset:14336
	global_load_b128 v[24:27], v[8:9], off
	ds_load_b128 v[28:31], v13 offset:14848
	ds_load_b128 v[48:51], v12 offset:464
	v_add_f64 v[36:37], v[56:57], v[54:55]
	s_waitcnt lgkmcnt(2)
	v_mul_f64 v[60:61], v[4:5], v[2:3]
	v_mul_f64 v[2:3], v[6:7], v[2:3]
	s_waitcnt lgkmcnt(0)
	v_mul_f64 v[52:53], v[28:29], v[50:51]
	v_fma_f64 v[54:55], v[40:41], v[44:45], -v[46:47]
	v_mul_f64 v[50:51], v[30:31], v[50:51]
	v_add_f64 v[38:39], v[58:59], v[38:39]
	v_add_f64 v[56:57], v[36:37], v[32:33]
	v_fma_f64 v[6:7], v[6:7], v[0:1], v[60:61]
	v_fma_f64 v[0:1], v[4:5], v[0:1], -v[2:3]
	v_fma_f64 v[2:3], v[30:31], v[48:49], v[52:53]
	v_fma_f64 v[28:29], v[28:29], v[48:49], -v[50:51]
	v_add_f64 v[58:59], v[38:39], v[34:35]
	ds_load_b128 v[32:35], v12 offset:480
	ds_load_b128 v[36:39], v13 offset:15360
	;; [unrolled: 1-line block ×4, first 2 shown]
	s_waitcnt lgkmcnt(2)
	v_mul_f64 v[60:61], v[36:37], v[34:35]
	v_add_f64 v[4:5], v[56:57], v[54:55]
	v_mul_f64 v[30:31], v[38:39], v[34:35]
	s_waitcnt lgkmcnt(0)
	v_mul_f64 v[34:35], v[40:41], v[46:47]
	v_add_f64 v[6:7], v[58:59], v[6:7]
	v_fma_f64 v[38:39], v[38:39], v[32:33], v[60:61]
	v_add_f64 v[0:1], v[4:5], v[0:1]
	v_mul_f64 v[4:5], v[42:43], v[46:47]
	s_delay_alu instid0(VALU_DEP_4)
	v_add_f64 v[2:3], v[6:7], v[2:3]
	v_fma_f64 v[6:7], v[36:37], v[32:33], -v[30:31]
	v_fma_f64 v[30:31], v[42:43], v[44:45], v[34:35]
	v_add_f64 v[0:1], v[0:1], v[28:29]
	v_fma_f64 v[4:5], v[40:41], v[44:45], -v[4:5]
	v_add_f64 v[2:3], v[2:3], v[38:39]
	s_delay_alu instid0(VALU_DEP_3) | instskip(NEXT) | instid1(VALU_DEP_2)
	v_add_f64 v[0:1], v[0:1], v[6:7]
	v_add_f64 v[2:3], v[2:3], v[30:31]
	s_delay_alu instid0(VALU_DEP_2) | instskip(NEXT) | instid1(VALU_DEP_2)
	v_add_f64 v[0:1], v[0:1], v[4:5]
	v_mul_f64 v[4:5], s[6:7], v[2:3]
	v_mul_f64 v[2:3], s[4:5], v[2:3]
	s_delay_alu instid0(VALU_DEP_2) | instskip(NEXT) | instid1(VALU_DEP_2)
	v_fma_f64 v[4:5], s[4:5], v[0:1], -v[4:5]
	v_fma_f64 v[2:3], s[6:7], v[0:1], v[2:3]
	s_waitcnt vmcnt(0)
	s_delay_alu instid0(VALU_DEP_2) | instskip(NEXT) | instid1(VALU_DEP_2)
	v_add_f64 v[0:1], v[24:25], v[4:5]
	v_add_f64 v[2:3], v[26:27], v[2:3]
	global_store_b128 v[8:9], v[0:3], off
.LBB1895_11:                            ;   in Loop: Header=BB1895_5 Depth=1
	s_or_b32 exec_lo, exec_lo, s13
	v_mov_b32_e32 v2, 0
	v_mov_b32_e32 v3, 0
	s_waitcnt_vscnt null, 0x0
	s_barrier
	buffer_gl0_inv
	v_dual_mov_b32 v7, v3 :: v_dual_mov_b32 v6, v2
	v_dual_mov_b32 v5, v3 :: v_dual_mov_b32 v4, v2
	s_and_saveexec_b32 s13, s11
	s_cbranch_execz .LBB1895_13
; %bb.12:                               ;   in Loop: Header=BB1895_5 Depth=1
	v_add_co_u32 v0, vcc_lo, v18, s2
	v_add_co_ci_u32_e32 v1, vcc_lo, s3, v19, vcc_lo
	global_load_b128 v[4:7], v[0:1], off
	s_waitcnt vmcnt(0)
	v_xor_b32_e32 v7, 0x80000000, v7
.LBB1895_13:                            ;   in Loop: Header=BB1895_5 Depth=1
	s_or_b32 exec_lo, exec_lo, s13
	v_dual_mov_b32 v0, v2 :: v_dual_mov_b32 v1, v3
	ds_store_b128 v14, v[4:7]
	s_and_saveexec_b32 s11, s12
	s_cbranch_execz .LBB1895_15
; %bb.14:                               ;   in Loop: Header=BB1895_5 Depth=1
	v_add_co_u32 v0, vcc_lo, v20, s2
	v_add_co_ci_u32_e32 v1, vcc_lo, s3, v21, vcc_lo
	global_load_b128 v[0:3], v[0:1], off offset:-8
.LBB1895_15:                            ;   in Loop: Header=BB1895_5 Depth=1
	s_or_b32 exec_lo, exec_lo, s11
	s_waitcnt vmcnt(0)
	ds_store_b128 v15, v[0:3]
	s_waitcnt lgkmcnt(0)
	s_barrier
	buffer_gl0_inv
	s_and_saveexec_b32 s11, s10
	s_cbranch_execz .LBB1895_4
; %bb.16:                               ;   in Loop: Header=BB1895_5 Depth=1
	ds_load_b128 v[0:3], v13
	ds_load_b128 v[4:7], v12
	ds_load_b128 v[24:27], v12 offset:16
	ds_load_b128 v[28:31], v13 offset:512
	s_waitcnt lgkmcnt(2)
	v_mul_f64 v[32:33], v[2:3], v[6:7]
	v_mul_f64 v[6:7], v[0:1], v[6:7]
	s_waitcnt lgkmcnt(0)
	v_mul_f64 v[48:49], v[30:31], v[26:27]
	v_mul_f64 v[26:27], v[28:29], v[26:27]
	s_delay_alu instid0(VALU_DEP_4)
	v_fma_f64 v[0:1], v[0:1], v[4:5], -v[32:33]
	ds_load_b128 v[32:35], v13 offset:1024
	ds_load_b128 v[36:39], v12 offset:32
	ds_load_b128 v[40:43], v12 offset:48
	ds_load_b128 v[44:47], v13 offset:1536
	v_fma_f64 v[2:3], v[2:3], v[4:5], v[6:7]
	v_fma_f64 v[4:5], v[28:29], v[24:25], -v[48:49]
	v_fma_f64 v[52:53], v[30:31], v[24:25], v[26:27]
	s_waitcnt lgkmcnt(2)
	v_mul_f64 v[50:51], v[34:35], v[38:39]
	v_mul_f64 v[38:39], v[32:33], v[38:39]
	s_waitcnt lgkmcnt(0)
	v_mul_f64 v[48:49], v[46:47], v[42:43]
	v_mul_f64 v[42:43], v[44:45], v[42:43]
	v_add_f64 v[0:1], v[0:1], 0
	v_fma_f64 v[32:33], v[32:33], v[36:37], -v[50:51]
	v_add_f64 v[50:51], v[2:3], 0
	v_fma_f64 v[34:35], v[34:35], v[36:37], v[38:39]
	v_fma_f64 v[36:37], v[44:45], v[40:41], -v[48:49]
	v_fma_f64 v[46:47], v[46:47], v[40:41], v[42:43]
	v_add_f64 v[54:55], v[0:1], v[4:5]
	ds_load_b128 v[0:3], v12 offset:64
	ds_load_b128 v[4:7], v13 offset:2048
	;; [unrolled: 1-line block ×4, first 2 shown]
	s_waitcnt lgkmcnt(2)
	v_mul_f64 v[56:57], v[6:7], v[2:3]
	v_add_f64 v[38:39], v[50:51], v[52:53]
	v_mul_f64 v[44:45], v[4:5], v[2:3]
	s_waitcnt lgkmcnt(0)
	v_mul_f64 v[48:49], v[26:27], v[30:31]
	v_mul_f64 v[30:31], v[24:25], v[30:31]
	v_add_f64 v[32:33], v[54:55], v[32:33]
	v_fma_f64 v[50:51], v[4:5], v[0:1], -v[56:57]
	v_add_f64 v[52:53], v[38:39], v[34:35]
	v_fma_f64 v[0:1], v[6:7], v[0:1], v[44:45]
	v_fma_f64 v[6:7], v[24:25], v[28:29], -v[48:49]
	v_add_f64 v[54:55], v[32:33], v[36:37]
	ds_load_b128 v[2:5], v12 offset:96
	ds_load_b128 v[32:35], v13 offset:3072
	;; [unrolled: 1-line block ×4, first 2 shown]
	s_waitcnt lgkmcnt(2)
	v_mul_f64 v[56:57], v[34:35], v[4:5]
	v_add_f64 v[24:25], v[52:53], v[46:47]
	v_mul_f64 v[48:49], v[32:33], v[4:5]
	v_fma_f64 v[52:53], v[26:27], v[28:29], v[30:31]
	v_add_f64 v[44:45], v[54:55], v[50:51]
	s_waitcnt lgkmcnt(0)
	v_mul_f64 v[50:51], v[38:39], v[42:43]
	v_mul_f64 v[42:43], v[36:37], v[42:43]
	v_fma_f64 v[32:33], v[32:33], v[2:3], -v[56:57]
	v_add_f64 v[0:1], v[24:25], v[0:1]
	v_fma_f64 v[2:3], v[34:35], v[2:3], v[48:49]
	v_add_f64 v[54:55], v[44:45], v[6:7]
	ds_load_b128 v[4:7], v12 offset:128
	ds_load_b128 v[24:27], v13 offset:4096
	;; [unrolled: 1-line block ×4, first 2 shown]
	v_fma_f64 v[34:35], v[36:37], v[40:41], -v[50:51]
	v_fma_f64 v[50:51], v[38:39], v[40:41], v[42:43]
	s_waitcnt lgkmcnt(2)
	v_mul_f64 v[56:57], v[26:27], v[6:7]
	v_add_f64 v[0:1], v[0:1], v[52:53]
	v_mul_f64 v[6:7], v[24:25], v[6:7]
	s_waitcnt lgkmcnt(0)
	v_mul_f64 v[48:49], v[30:31], v[46:47]
	v_mul_f64 v[46:47], v[28:29], v[46:47]
	v_add_f64 v[32:33], v[54:55], v[32:33]
	v_fma_f64 v[24:25], v[24:25], v[4:5], -v[56:57]
	v_add_f64 v[52:53], v[0:1], v[2:3]
	v_fma_f64 v[4:5], v[26:27], v[4:5], v[6:7]
	v_fma_f64 v[6:7], v[28:29], v[44:45], -v[48:49]
	v_add_f64 v[54:55], v[32:33], v[34:35]
	ds_load_b128 v[0:3], v12 offset:160
	ds_load_b128 v[32:35], v13 offset:5120
	ds_load_b128 v[36:39], v13 offset:5632
	ds_load_b128 v[40:43], v12 offset:176
	s_waitcnt lgkmcnt(2)
	v_mul_f64 v[56:57], v[34:35], v[2:3]
	v_add_f64 v[26:27], v[52:53], v[50:51]
	v_mul_f64 v[48:49], v[32:33], v[2:3]
	s_waitcnt lgkmcnt(0)
	v_mul_f64 v[50:51], v[38:39], v[42:43]
	v_fma_f64 v[52:53], v[30:31], v[44:45], v[46:47]
	v_mul_f64 v[42:43], v[36:37], v[42:43]
	v_add_f64 v[24:25], v[54:55], v[24:25]
	v_fma_f64 v[32:33], v[32:33], v[0:1], -v[56:57]
	v_add_f64 v[54:55], v[26:27], v[4:5]
	v_fma_f64 v[0:1], v[34:35], v[0:1], v[48:49]
	v_fma_f64 v[34:35], v[36:37], v[40:41], -v[50:51]
	v_add_f64 v[6:7], v[24:25], v[6:7]
	ds_load_b128 v[2:5], v12 offset:192
	ds_load_b128 v[24:27], v13 offset:6144
	;; [unrolled: 1-line block ×4, first 2 shown]
	s_waitcnt lgkmcnt(2)
	v_mul_f64 v[56:57], v[26:27], v[4:5]
	v_add_f64 v[36:37], v[54:55], v[52:53]
	v_mul_f64 v[48:49], v[24:25], v[4:5]
	s_waitcnt lgkmcnt(0)
	v_mul_f64 v[50:51], v[30:31], v[46:47]
	v_fma_f64 v[52:53], v[38:39], v[40:41], v[42:43]
	v_mul_f64 v[46:47], v[28:29], v[46:47]
	v_add_f64 v[6:7], v[6:7], v[32:33]
	v_fma_f64 v[24:25], v[24:25], v[2:3], -v[56:57]
	v_add_f64 v[0:1], v[36:37], v[0:1]
	v_fma_f64 v[2:3], v[26:27], v[2:3], v[48:49]
	v_fma_f64 v[26:27], v[28:29], v[44:45], -v[50:51]
	v_fma_f64 v[50:51], v[30:31], v[44:45], v[46:47]
	v_add_f64 v[54:55], v[6:7], v[34:35]
	ds_load_b128 v[4:7], v12 offset:224
	ds_load_b128 v[32:35], v13 offset:7168
	;; [unrolled: 1-line block ×4, first 2 shown]
	s_waitcnt lgkmcnt(2)
	v_mul_f64 v[56:57], v[34:35], v[6:7]
	v_add_f64 v[0:1], v[0:1], v[52:53]
	v_mul_f64 v[6:7], v[32:33], v[6:7]
	s_waitcnt lgkmcnt(0)
	v_mul_f64 v[48:49], v[38:39], v[42:43]
	v_mul_f64 v[42:43], v[36:37], v[42:43]
	v_add_f64 v[24:25], v[54:55], v[24:25]
	v_fma_f64 v[32:33], v[32:33], v[4:5], -v[56:57]
	v_add_f64 v[52:53], v[0:1], v[2:3]
	v_fma_f64 v[4:5], v[34:35], v[4:5], v[6:7]
	v_fma_f64 v[6:7], v[36:37], v[40:41], -v[48:49]
	v_add_f64 v[54:55], v[24:25], v[26:27]
	ds_load_b128 v[0:3], v12 offset:256
	ds_load_b128 v[24:27], v13 offset:8192
	ds_load_b128 v[28:31], v13 offset:8704
	ds_load_b128 v[44:47], v12 offset:272
	s_waitcnt lgkmcnt(2)
	v_mul_f64 v[56:57], v[26:27], v[2:3]
	v_add_f64 v[34:35], v[52:53], v[50:51]
	v_mul_f64 v[48:49], v[24:25], v[2:3]
	s_waitcnt lgkmcnt(0)
	v_mul_f64 v[50:51], v[30:31], v[46:47]
	v_fma_f64 v[52:53], v[38:39], v[40:41], v[42:43]
	v_mul_f64 v[46:47], v[28:29], v[46:47]
	v_add_f64 v[32:33], v[54:55], v[32:33]
	v_fma_f64 v[24:25], v[24:25], v[0:1], -v[56:57]
	v_add_f64 v[54:55], v[34:35], v[4:5]
	v_fma_f64 v[0:1], v[26:27], v[0:1], v[48:49]
	v_fma_f64 v[26:27], v[28:29], v[44:45], -v[50:51]
	v_add_f64 v[6:7], v[32:33], v[6:7]
	ds_load_b128 v[2:5], v12 offset:288
	ds_load_b128 v[32:35], v13 offset:9216
	;; [unrolled: 1-line block ×4, first 2 shown]
	s_waitcnt lgkmcnt(2)
	v_mul_f64 v[56:57], v[34:35], v[4:5]
	v_add_f64 v[28:29], v[54:55], v[52:53]
	v_mul_f64 v[48:49], v[32:33], v[4:5]
	s_waitcnt lgkmcnt(0)
	v_mul_f64 v[50:51], v[38:39], v[42:43]
	v_fma_f64 v[52:53], v[30:31], v[44:45], v[46:47]
	v_mul_f64 v[42:43], v[36:37], v[42:43]
	v_add_f64 v[6:7], v[6:7], v[24:25]
	v_fma_f64 v[32:33], v[32:33], v[2:3], -v[56:57]
	v_add_f64 v[0:1], v[28:29], v[0:1]
	v_fma_f64 v[2:3], v[34:35], v[2:3], v[48:49]
	v_fma_f64 v[34:35], v[36:37], v[40:41], -v[50:51]
	v_fma_f64 v[50:51], v[38:39], v[40:41], v[42:43]
	v_add_f64 v[54:55], v[6:7], v[26:27]
	ds_load_b128 v[4:7], v12 offset:320
	ds_load_b128 v[24:27], v13 offset:10240
	;; [unrolled: 1-line block ×4, first 2 shown]
	s_waitcnt lgkmcnt(2)
	v_mul_f64 v[56:57], v[26:27], v[6:7]
	v_add_f64 v[0:1], v[0:1], v[52:53]
	v_mul_f64 v[6:7], v[24:25], v[6:7]
	s_waitcnt lgkmcnt(0)
	v_mul_f64 v[48:49], v[30:31], v[46:47]
	v_mul_f64 v[46:47], v[28:29], v[46:47]
	v_add_f64 v[32:33], v[54:55], v[32:33]
	v_fma_f64 v[24:25], v[24:25], v[4:5], -v[56:57]
	v_add_f64 v[52:53], v[0:1], v[2:3]
	v_fma_f64 v[4:5], v[26:27], v[4:5], v[6:7]
	v_fma_f64 v[6:7], v[28:29], v[44:45], -v[48:49]
	v_add_f64 v[54:55], v[32:33], v[34:35]
	ds_load_b128 v[0:3], v12 offset:352
	ds_load_b128 v[32:35], v13 offset:11264
	;; [unrolled: 1-line block ×4, first 2 shown]
	s_waitcnt lgkmcnt(2)
	v_mul_f64 v[56:57], v[34:35], v[2:3]
	v_add_f64 v[26:27], v[52:53], v[50:51]
	v_mul_f64 v[48:49], v[32:33], v[2:3]
	s_waitcnt lgkmcnt(0)
	v_mul_f64 v[50:51], v[38:39], v[42:43]
	v_fma_f64 v[52:53], v[30:31], v[44:45], v[46:47]
	v_mul_f64 v[42:43], v[36:37], v[42:43]
	v_add_f64 v[24:25], v[54:55], v[24:25]
	v_fma_f64 v[32:33], v[32:33], v[0:1], -v[56:57]
	v_add_f64 v[54:55], v[26:27], v[4:5]
	v_fma_f64 v[0:1], v[34:35], v[0:1], v[48:49]
	v_fma_f64 v[34:35], v[36:37], v[40:41], -v[50:51]
	v_add_f64 v[6:7], v[24:25], v[6:7]
	ds_load_b128 v[2:5], v12 offset:384
	ds_load_b128 v[24:27], v13 offset:12288
	;; [unrolled: 1-line block ×4, first 2 shown]
	s_waitcnt lgkmcnt(2)
	v_mul_f64 v[56:57], v[26:27], v[4:5]
	v_add_f64 v[36:37], v[54:55], v[52:53]
	v_mul_f64 v[48:49], v[24:25], v[4:5]
	s_waitcnt lgkmcnt(0)
	v_mul_f64 v[50:51], v[30:31], v[46:47]
	v_fma_f64 v[52:53], v[38:39], v[40:41], v[42:43]
	v_mul_f64 v[46:47], v[28:29], v[46:47]
	v_add_f64 v[6:7], v[6:7], v[32:33]
	v_fma_f64 v[24:25], v[24:25], v[2:3], -v[56:57]
	v_add_f64 v[0:1], v[36:37], v[0:1]
	v_fma_f64 v[2:3], v[26:27], v[2:3], v[48:49]
	v_fma_f64 v[26:27], v[28:29], v[44:45], -v[50:51]
	v_add_f64 v[54:55], v[6:7], v[34:35]
	ds_load_b128 v[4:7], v12 offset:416
	ds_load_b128 v[32:35], v13 offset:13312
	;; [unrolled: 1-line block ×4, first 2 shown]
	s_waitcnt lgkmcnt(2)
	v_mul_f64 v[56:57], v[34:35], v[6:7]
	v_add_f64 v[0:1], v[0:1], v[52:53]
	v_mul_f64 v[6:7], v[32:33], v[6:7]
	s_waitcnt lgkmcnt(0)
	v_mul_f64 v[52:53], v[38:39], v[42:43]
	v_mul_f64 v[42:43], v[36:37], v[42:43]
	v_add_f64 v[24:25], v[54:55], v[24:25]
	v_fma_f64 v[54:55], v[30:31], v[44:45], v[46:47]
	v_fma_f64 v[32:33], v[32:33], v[4:5], -v[56:57]
	v_add_f64 v[56:57], v[0:1], v[2:3]
	v_fma_f64 v[4:5], v[34:35], v[4:5], v[6:7]
	v_fma_f64 v[6:7], v[36:37], v[40:41], -v[52:53]
	v_add_f64 v[58:59], v[24:25], v[26:27]
	ds_load_b128 v[0:3], v12 offset:448
	ds_load_b128 v[24:27], v13 offset:14336
	global_load_b128 v[28:31], v[8:9], off
	ds_load_b128 v[44:47], v13 offset:14848
	ds_load_b128 v[48:51], v12 offset:464
	v_add_f64 v[34:35], v[56:57], v[54:55]
	s_waitcnt lgkmcnt(2)
	v_mul_f64 v[60:61], v[26:27], v[2:3]
	v_mul_f64 v[52:53], v[24:25], v[2:3]
	s_waitcnt lgkmcnt(0)
	v_mul_f64 v[54:55], v[46:47], v[50:51]
	v_fma_f64 v[56:57], v[38:39], v[40:41], v[42:43]
	v_mul_f64 v[50:51], v[44:45], v[50:51]
	v_add_f64 v[32:33], v[58:59], v[32:33]
	v_add_f64 v[58:59], v[34:35], v[4:5]
	v_fma_f64 v[24:25], v[24:25], v[0:1], -v[60:61]
	v_fma_f64 v[0:1], v[26:27], v[0:1], v[52:53]
	v_fma_f64 v[26:27], v[44:45], v[48:49], -v[54:55]
	v_fma_f64 v[46:47], v[46:47], v[48:49], v[50:51]
	v_add_f64 v[6:7], v[32:33], v[6:7]
	ds_load_b128 v[2:5], v12 offset:480
	ds_load_b128 v[32:35], v13 offset:15360
	;; [unrolled: 1-line block ×4, first 2 shown]
	s_waitcnt lgkmcnt(2)
	v_mul_f64 v[60:61], v[34:35], v[4:5]
	v_add_f64 v[44:45], v[58:59], v[56:57]
	v_mul_f64 v[4:5], v[32:33], v[4:5]
	v_add_f64 v[6:7], v[6:7], v[24:25]
	s_waitcnt lgkmcnt(0)
	v_mul_f64 v[24:25], v[38:39], v[42:43]
	v_fma_f64 v[32:33], v[32:33], v[2:3], -v[60:61]
	v_add_f64 v[0:1], v[44:45], v[0:1]
	v_fma_f64 v[2:3], v[34:35], v[2:3], v[4:5]
	v_add_f64 v[6:7], v[6:7], v[26:27]
	v_mul_f64 v[26:27], v[36:37], v[42:43]
	v_fma_f64 v[4:5], v[36:37], v[40:41], -v[24:25]
	v_add_f64 v[0:1], v[0:1], v[46:47]
	s_delay_alu instid0(VALU_DEP_4) | instskip(NEXT) | instid1(VALU_DEP_4)
	v_add_f64 v[6:7], v[6:7], v[32:33]
	v_fma_f64 v[24:25], v[38:39], v[40:41], v[26:27]
	s_delay_alu instid0(VALU_DEP_3) | instskip(NEXT) | instid1(VALU_DEP_3)
	v_add_f64 v[0:1], v[0:1], v[2:3]
	v_add_f64 v[2:3], v[6:7], v[4:5]
	s_delay_alu instid0(VALU_DEP_2) | instskip(NEXT) | instid1(VALU_DEP_2)
	v_add_f64 v[0:1], v[0:1], v[24:25]
	v_mul_f64 v[4:5], s[4:5], v[2:3]
	v_mul_f64 v[2:3], s[6:7], v[2:3]
	s_delay_alu instid0(VALU_DEP_2) | instskip(NEXT) | instid1(VALU_DEP_2)
	v_fma_f64 v[4:5], s[6:7], v[0:1], v[4:5]
	v_fma_f64 v[2:3], s[4:5], v[0:1], -v[2:3]
	s_waitcnt vmcnt(0)
	s_delay_alu instid0(VALU_DEP_2) | instskip(NEXT) | instid1(VALU_DEP_2)
	v_add_f64 v[0:1], v[28:29], v[4:5]
	v_add_f64 v[2:3], v[30:31], v[2:3]
	global_store_b128 v[8:9], v[0:3], off
	s_branch .LBB1895_4
.LBB1895_17:
	s_endpgm
	.section	.rodata,"a",@progbits
	.p2align	6, 0x0
	.amdhsa_kernel _ZL26rocblas_syr2k_her2k_kernelIlLb1ELb1ELb1ELi32EPK19rocblas_complex_numIdEPKS3_PKPS1_EvbiT_T4_T5_S9_lSB_S9_lT6_S9_li
		.amdhsa_group_segment_fixed_size 32768
		.amdhsa_private_segment_fixed_size 0
		.amdhsa_kernarg_size 100
		.amdhsa_user_sgpr_count 13
		.amdhsa_user_sgpr_dispatch_ptr 0
		.amdhsa_user_sgpr_queue_ptr 0
		.amdhsa_user_sgpr_kernarg_segment_ptr 1
		.amdhsa_user_sgpr_dispatch_id 0
		.amdhsa_user_sgpr_private_segment_size 0
		.amdhsa_wavefront_size32 1
		.amdhsa_uses_dynamic_stack 0
		.amdhsa_enable_private_segment 0
		.amdhsa_system_sgpr_workgroup_id_x 1
		.amdhsa_system_sgpr_workgroup_id_y 1
		.amdhsa_system_sgpr_workgroup_id_z 1
		.amdhsa_system_sgpr_workgroup_info 0
		.amdhsa_system_vgpr_workitem_id 1
		.amdhsa_next_free_vgpr 62
		.amdhsa_next_free_sgpr 36
		.amdhsa_reserve_vcc 1
		.amdhsa_float_round_mode_32 0
		.amdhsa_float_round_mode_16_64 0
		.amdhsa_float_denorm_mode_32 3
		.amdhsa_float_denorm_mode_16_64 3
		.amdhsa_dx10_clamp 1
		.amdhsa_ieee_mode 1
		.amdhsa_fp16_overflow 0
		.amdhsa_workgroup_processor_mode 1
		.amdhsa_memory_ordered 1
		.amdhsa_forward_progress 0
		.amdhsa_shared_vgpr_count 0
		.amdhsa_exception_fp_ieee_invalid_op 0
		.amdhsa_exception_fp_denorm_src 0
		.amdhsa_exception_fp_ieee_div_zero 0
		.amdhsa_exception_fp_ieee_overflow 0
		.amdhsa_exception_fp_ieee_underflow 0
		.amdhsa_exception_fp_ieee_inexact 0
		.amdhsa_exception_int_div_zero 0
	.end_amdhsa_kernel
	.section	.text._ZL26rocblas_syr2k_her2k_kernelIlLb1ELb1ELb1ELi32EPK19rocblas_complex_numIdEPKS3_PKPS1_EvbiT_T4_T5_S9_lSB_S9_lT6_S9_li,"axG",@progbits,_ZL26rocblas_syr2k_her2k_kernelIlLb1ELb1ELb1ELi32EPK19rocblas_complex_numIdEPKS3_PKPS1_EvbiT_T4_T5_S9_lSB_S9_lT6_S9_li,comdat
.Lfunc_end1895:
	.size	_ZL26rocblas_syr2k_her2k_kernelIlLb1ELb1ELb1ELi32EPK19rocblas_complex_numIdEPKS3_PKPS1_EvbiT_T4_T5_S9_lSB_S9_lT6_S9_li, .Lfunc_end1895-_ZL26rocblas_syr2k_her2k_kernelIlLb1ELb1ELb1ELi32EPK19rocblas_complex_numIdEPKS3_PKPS1_EvbiT_T4_T5_S9_lSB_S9_lT6_S9_li
                                        ; -- End function
	.section	.AMDGPU.csdata,"",@progbits
; Kernel info:
; codeLenInByte = 5872
; NumSgprs: 38
; NumVgprs: 62
; ScratchSize: 0
; MemoryBound: 1
; FloatMode: 240
; IeeeMode: 1
; LDSByteSize: 32768 bytes/workgroup (compile time only)
; SGPRBlocks: 4
; VGPRBlocks: 7
; NumSGPRsForWavesPerEU: 38
; NumVGPRsForWavesPerEU: 62
; Occupancy: 16
; WaveLimiterHint : 1
; COMPUTE_PGM_RSRC2:SCRATCH_EN: 0
; COMPUTE_PGM_RSRC2:USER_SGPR: 13
; COMPUTE_PGM_RSRC2:TRAP_HANDLER: 0
; COMPUTE_PGM_RSRC2:TGID_X_EN: 1
; COMPUTE_PGM_RSRC2:TGID_Y_EN: 1
; COMPUTE_PGM_RSRC2:TGID_Z_EN: 1
; COMPUTE_PGM_RSRC2:TIDIG_COMP_CNT: 1
	.section	.text._ZL26rocblas_syr2k_her2k_kernelIiLb1ELb0ELb0ELi32EfPKfPfEvbiT_T4_T5_S3_lS5_S3_lT6_S3_li,"axG",@progbits,_ZL26rocblas_syr2k_her2k_kernelIiLb1ELb0ELb0ELi32EfPKfPfEvbiT_T4_T5_S3_lS5_S3_lT6_S3_li,comdat
	.globl	_ZL26rocblas_syr2k_her2k_kernelIiLb1ELb0ELb0ELi32EfPKfPfEvbiT_T4_T5_S3_lS5_S3_lT6_S3_li ; -- Begin function _ZL26rocblas_syr2k_her2k_kernelIiLb1ELb0ELb0ELi32EfPKfPfEvbiT_T4_T5_S3_lS5_S3_lT6_S3_li
	.p2align	8
	.type	_ZL26rocblas_syr2k_her2k_kernelIiLb1ELb0ELb0ELi32EfPKfPfEvbiT_T4_T5_S3_lS5_S3_lT6_S3_li,@function
_ZL26rocblas_syr2k_her2k_kernelIiLb1ELb0ELb0ELi32EfPKfPfEvbiT_T4_T5_S3_lS5_S3_lT6_S3_li: ; @_ZL26rocblas_syr2k_her2k_kernelIiLb1ELb0ELb0ELi32EfPKfPfEvbiT_T4_T5_S3_lS5_S3_lT6_S3_li
; %bb.0:
	s_load_b128 s[4:7], s[0:1], 0x0
	s_waitcnt lgkmcnt(0)
	v_cmp_eq_f32_e64 s2, s7, 0
	s_delay_alu instid0(VALU_DEP_1)
	s_and_b32 vcc_lo, exec_lo, s2
	s_cbranch_vccnz .LBB1896_17
; %bb.1:
	s_and_b32 s4, 1, s4
	s_lshl_b32 s2, s14, 5
	s_lshl_b32 s3, s13, 5
	s_cmp_eq_u32 s4, 1
	s_cselect_b32 vcc_lo, -1, 0
	s_delay_alu instid0(SALU_CYCLE_1) | instskip(SKIP_2) | instid1(SALU_CYCLE_1)
	s_and_b32 s4, vcc_lo, exec_lo
	s_cselect_b32 s4, s3, s2
	s_cselect_b32 s8, s2, s3
	s_cmp_gt_i32 s4, s8
	s_cbranch_scc1 .LBB1896_17
; %bb.2:
	s_cmp_lt_i32 s6, 1
	s_cbranch_scc1 .LBB1896_17
; %bb.3:
	s_clause 0x1
	s_load_b128 s[16:19], s[0:1], 0x20
	s_load_b128 s[8:11], s[0:1], 0x38
	v_bfe_u32 v2, v0, 10, 10
	v_and_b32_e32 v3, 0x3ff, v0
	s_clause 0x1
	s_load_b64 s[12:13], s[0:1], 0x50
	s_load_b64 s[20:21], s[0:1], 0x10
	v_add_nc_u32_e32 v0, s2, v2
	v_add_nc_u32_e32 v4, s3, v3
	s_clause 0x2
	s_load_b32 s3, s[0:1], 0x18
	s_load_b32 s4, s[0:1], 0x30
	;; [unrolled: 1-line block ×3, first 2 shown]
	v_lshlrev_b32_e32 v8, 2, v2
	v_ashrrev_i32_e32 v1, 31, v0
	v_cndmask_b32_e32 v17, v0, v4, vcc_lo
	v_ashrrev_i32_e32 v5, 31, v4
	v_cndmask_b32_e32 v16, v4, v0, vcc_lo
	v_cmp_gt_i32_e32 vcc_lo, s5, v4
	v_lshlrev_b64 v[14:15], 2, v[0:1]
	s_delay_alu instid0(VALU_DEP_4)
	v_lshlrev_b64 v[12:13], 2, v[4:5]
	s_waitcnt lgkmcnt(0)
	s_mul_i32 s1, s15, s17
	s_mul_hi_u32 s14, s15, s16
	s_mul_i32 s0, s15, s16
	s_add_i32 s1, s14, s1
	s_mul_i32 s9, s15, s9
	s_lshl_b64 s[0:1], s[0:1], 2
	s_mul_hi_u32 s16, s15, s8
	s_add_u32 s14, s20, s0
	s_mul_i32 s8, s15, s8
	s_addc_u32 s17, s21, s1
	s_add_i32 s9, s16, s9
	s_mul_i32 s13, s15, s13
	s_lshl_b64 s[0:1], s[8:9], 2
	s_mul_hi_u32 s16, s15, s12
	s_mul_i32 s8, s15, s12
	s_add_u32 s12, s18, s0
	v_mad_i64_i32 v[9:10], null, s2, v0, 0
	s_addc_u32 s15, s19, s1
	s_add_i32 s9, s16, s13
	v_lshlrev_b32_e32 v4, 7, v3
	s_lshl_b64 s[0:1], s[8:9], 2
	s_delay_alu instid0(SALU_CYCLE_1) | instskip(SKIP_1) | instid1(VALU_DEP_1)
	s_add_u32 s8, s10, s0
	v_add_co_u32 v5, s0, s14, v12
	v_add_co_ci_u32_e64 v6, s0, s17, v13, s0
	v_cmp_gt_i32_e64 s0, s5, v0
	v_lshlrev_b64 v[0:1], 2, v[9:10]
	s_addc_u32 s9, s11, s1
	v_add_nc_u32_e32 v7, v4, v8
	v_or_b32_e32 v8, 0x1000, v8
	v_add_co_u32 v9, s1, s12, v14
	s_delay_alu instid0(VALU_DEP_4) | instskip(NEXT) | instid1(VALU_DEP_1)
	v_add_co_u32 v0, s2, s8, v0
	v_add_co_ci_u32_e64 v1, s2, s9, v1, s2
	v_add_co_ci_u32_e64 v10, s1, s15, v15, s1
	s_delay_alu instid0(VALU_DEP_3) | instskip(NEXT) | instid1(VALU_DEP_1)
	v_add_co_u32 v0, s2, v0, v12
	v_add_co_ci_u32_e64 v1, s2, v1, v13, s2
	v_add_co_u32 v12, s2, s12, v12
	s_delay_alu instid0(VALU_DEP_1)
	v_add_co_ci_u32_e64 v13, s2, s15, v13, s2
	v_cmp_le_i32_e64 s1, v17, v16
	v_add_co_u32 v14, s2, s14, v14
	v_add_nc_u32_e32 v11, v8, v4
	v_add_co_ci_u32_e64 v15, s2, s17, v15, s2
	v_add_nc_u32_e32 v16, 0x400, v8
	v_add_nc_u32_e32 v17, 0x800, v8
	;; [unrolled: 1-line block ×3, first 2 shown]
	s_and_b32 s5, s0, vcc_lo
	s_delay_alu instid0(SALU_CYCLE_1)
	s_and_b32 s2, s5, s1
	s_mov_b32 s5, 0
	s_branch .LBB1896_5
.LBB1896_4:                             ;   in Loop: Header=BB1896_5 Depth=1
	s_or_b32 exec_lo, exec_lo, s1
	s_add_i32 s5, s5, 32
	s_waitcnt_vscnt null, 0x0
	s_cmp_lt_i32 s5, s6
	s_barrier
	buffer_gl0_inv
	s_cbranch_scc0 .LBB1896_17
.LBB1896_5:                             ; =>This Inner Loop Header: Depth=1
	v_add_nc_u32_e32 v19, s5, v2
	v_mov_b32_e32 v21, 0
	s_delay_alu instid0(VALU_DEP_2) | instskip(NEXT) | instid1(VALU_DEP_1)
	v_cmp_gt_i32_e64 s1, s6, v19
	s_and_b32 s8, vcc_lo, s1
	s_delay_alu instid0(SALU_CYCLE_1)
	s_and_saveexec_b32 s9, s8
	s_cbranch_execz .LBB1896_7
; %bb.6:                                ;   in Loop: Header=BB1896_5 Depth=1
	v_mad_i64_i32 v[20:21], null, v19, s3, 0
	s_delay_alu instid0(VALU_DEP_1) | instskip(NEXT) | instid1(VALU_DEP_1)
	v_lshlrev_b64 v[20:21], 2, v[20:21]
	v_add_co_u32 v20, s1, v5, v20
	s_delay_alu instid0(VALU_DEP_1)
	v_add_co_ci_u32_e64 v21, s1, v6, v21, s1
	global_load_b32 v21, v[20:21], off
.LBB1896_7:                             ;   in Loop: Header=BB1896_5 Depth=1
	s_or_b32 exec_lo, exec_lo, s9
	v_add_nc_u32_e32 v20, s5, v3
	v_mov_b32_e32 v22, 0
	s_waitcnt vmcnt(0)
	ds_store_b32 v7, v21
	v_cmp_gt_i32_e64 s1, s6, v20
	s_delay_alu instid0(VALU_DEP_1) | instskip(NEXT) | instid1(SALU_CYCLE_1)
	s_and_b32 s9, s0, s1
	s_and_saveexec_b32 s10, s9
	s_cbranch_execz .LBB1896_9
; %bb.8:                                ;   in Loop: Header=BB1896_5 Depth=1
	v_mad_i64_i32 v[21:22], null, v20, s4, 0
	s_delay_alu instid0(VALU_DEP_1) | instskip(NEXT) | instid1(VALU_DEP_1)
	v_lshlrev_b64 v[21:22], 2, v[21:22]
	v_add_co_u32 v21, s1, v9, v21
	s_delay_alu instid0(VALU_DEP_1)
	v_add_co_ci_u32_e64 v22, s1, v10, v22, s1
	global_load_b32 v22, v[21:22], off
.LBB1896_9:                             ;   in Loop: Header=BB1896_5 Depth=1
	s_or_b32 exec_lo, exec_lo, s10
	s_waitcnt vmcnt(0)
	ds_store_b32 v11, v22
	s_waitcnt lgkmcnt(0)
	s_barrier
	buffer_gl0_inv
	s_and_saveexec_b32 s1, s2
	s_cbranch_execz .LBB1896_11
; %bb.10:                               ;   in Loop: Header=BB1896_5 Depth=1
	global_load_b32 v35, v[0:1], off
	ds_load_2addr_b32 v[29:30], v8 offset1:32
	ds_load_b128 v[21:24], v4
	ds_load_2addr_b32 v[31:32], v8 offset0:64 offset1:96
	ds_load_b128 v[25:28], v4 offset:16
	ds_load_2addr_b32 v[33:34], v8 offset0:128 offset1:160
	s_waitcnt lgkmcnt(3)
	v_fma_f32 v36, v21, v29, 0
	s_delay_alu instid0(VALU_DEP_1) | instskip(SKIP_3) | instid1(VALU_DEP_1)
	v_fmac_f32_e32 v36, v22, v30
	ds_load_2addr_b32 v[29:30], v8 offset0:192 offset1:224
	s_waitcnt lgkmcnt(3)
	v_fmac_f32_e32 v36, v23, v31
	v_fmac_f32_e32 v36, v24, v32
	ds_load_2addr_b32 v[31:32], v16 offset1:32
	ds_load_b128 v[21:24], v4 offset:32
	s_waitcnt lgkmcnt(3)
	v_fmac_f32_e32 v36, v25, v33
	s_delay_alu instid0(VALU_DEP_1) | instskip(SKIP_3) | instid1(VALU_DEP_1)
	v_fmac_f32_e32 v36, v26, v34
	ds_load_2addr_b32 v[33:34], v16 offset0:64 offset1:96
	s_waitcnt lgkmcnt(3)
	v_fmac_f32_e32 v36, v27, v29
	v_fmac_f32_e32 v36, v28, v30
	ds_load_b128 v[25:28], v4 offset:48
	ds_load_2addr_b32 v[29:30], v16 offset0:128 offset1:160
	s_waitcnt lgkmcnt(3)
	v_fmac_f32_e32 v36, v21, v31
	s_delay_alu instid0(VALU_DEP_1) | instskip(SKIP_3) | instid1(VALU_DEP_1)
	v_fmac_f32_e32 v36, v22, v32
	ds_load_2addr_b32 v[31:32], v16 offset0:192 offset1:224
	s_waitcnt lgkmcnt(3)
	v_fmac_f32_e32 v36, v23, v33
	v_fmac_f32_e32 v36, v24, v34
	ds_load_2addr_b32 v[33:34], v17 offset1:32
	ds_load_b128 v[21:24], v4 offset:64
	s_waitcnt lgkmcnt(3)
	v_fmac_f32_e32 v36, v25, v29
	s_delay_alu instid0(VALU_DEP_1) | instskip(SKIP_3) | instid1(VALU_DEP_1)
	v_fmac_f32_e32 v36, v26, v30
	ds_load_2addr_b32 v[29:30], v17 offset0:64 offset1:96
	s_waitcnt lgkmcnt(3)
	v_fmac_f32_e32 v36, v27, v31
	v_fmac_f32_e32 v36, v28, v32
	ds_load_b128 v[25:28], v4 offset:80
	ds_load_2addr_b32 v[31:32], v17 offset0:128 offset1:160
	s_waitcnt lgkmcnt(3)
	v_fmac_f32_e32 v36, v21, v33
	;; [unrolled: 20-line block ×3, first 2 shown]
	s_delay_alu instid0(VALU_DEP_1) | instskip(SKIP_3) | instid1(VALU_DEP_1)
	v_fmac_f32_e32 v36, v22, v30
	ds_load_2addr_b32 v[21:22], v18 offset0:192 offset1:224
	s_waitcnt lgkmcnt(3)
	v_fmac_f32_e32 v36, v23, v31
	v_fmac_f32_e32 v36, v24, v32
	s_waitcnt lgkmcnt(1)
	s_delay_alu instid0(VALU_DEP_1) | instskip(NEXT) | instid1(VALU_DEP_1)
	v_fmac_f32_e32 v36, v25, v33
	v_fmac_f32_e32 v36, v26, v34
	s_waitcnt lgkmcnt(0)
	s_delay_alu instid0(VALU_DEP_1) | instskip(NEXT) | instid1(VALU_DEP_1)
	v_fmac_f32_e32 v36, v27, v21
	v_fmac_f32_e32 v36, v28, v22
	s_waitcnt vmcnt(0)
	s_delay_alu instid0(VALU_DEP_1)
	v_fmac_f32_e32 v35, s7, v36
	global_store_b32 v[0:1], v35, off
.LBB1896_11:                            ;   in Loop: Header=BB1896_5 Depth=1
	s_or_b32 exec_lo, exec_lo, s1
	v_dual_mov_b32 v21, 0 :: v_dual_mov_b32 v22, 0
	s_waitcnt_vscnt null, 0x0
	s_barrier
	buffer_gl0_inv
	s_and_saveexec_b32 s10, s8
	s_cbranch_execz .LBB1896_13
; %bb.12:                               ;   in Loop: Header=BB1896_5 Depth=1
	v_mad_i64_i32 v[22:23], null, v19, s4, 0
	s_delay_alu instid0(VALU_DEP_1) | instskip(NEXT) | instid1(VALU_DEP_1)
	v_lshlrev_b64 v[22:23], 2, v[22:23]
	v_add_co_u32 v22, s1, v12, v22
	s_delay_alu instid0(VALU_DEP_1)
	v_add_co_ci_u32_e64 v23, s1, v13, v23, s1
	global_load_b32 v22, v[22:23], off
.LBB1896_13:                            ;   in Loop: Header=BB1896_5 Depth=1
	s_or_b32 exec_lo, exec_lo, s10
	s_waitcnt vmcnt(0)
	ds_store_b32 v7, v22
	s_and_saveexec_b32 s8, s9
	s_cbranch_execz .LBB1896_15
; %bb.14:                               ;   in Loop: Header=BB1896_5 Depth=1
	v_mad_i64_i32 v[21:22], null, v20, s3, 0
	s_delay_alu instid0(VALU_DEP_1) | instskip(NEXT) | instid1(VALU_DEP_1)
	v_lshlrev_b64 v[19:20], 2, v[21:22]
	v_add_co_u32 v19, s1, v14, v19
	s_delay_alu instid0(VALU_DEP_1)
	v_add_co_ci_u32_e64 v20, s1, v15, v20, s1
	global_load_b32 v21, v[19:20], off
.LBB1896_15:                            ;   in Loop: Header=BB1896_5 Depth=1
	s_or_b32 exec_lo, exec_lo, s8
	s_waitcnt vmcnt(0)
	ds_store_b32 v11, v21
	s_waitcnt lgkmcnt(0)
	s_barrier
	buffer_gl0_inv
	s_and_saveexec_b32 s1, s2
	s_cbranch_execz .LBB1896_4
; %bb.16:                               ;   in Loop: Header=BB1896_5 Depth=1
	global_load_b32 v33, v[0:1], off
	ds_load_2addr_b32 v[27:28], v8 offset1:32
	ds_load_b128 v[19:22], v4
	ds_load_2addr_b32 v[29:30], v8 offset0:64 offset1:96
	ds_load_b128 v[23:26], v4 offset:16
	ds_load_2addr_b32 v[31:32], v8 offset0:128 offset1:160
	s_waitcnt lgkmcnt(3)
	v_fma_f32 v34, v19, v27, 0
	s_delay_alu instid0(VALU_DEP_1) | instskip(SKIP_3) | instid1(VALU_DEP_1)
	v_fmac_f32_e32 v34, v20, v28
	ds_load_2addr_b32 v[27:28], v8 offset0:192 offset1:224
	s_waitcnt lgkmcnt(3)
	v_fmac_f32_e32 v34, v21, v29
	v_fmac_f32_e32 v34, v22, v30
	ds_load_2addr_b32 v[29:30], v16 offset1:32
	ds_load_b128 v[19:22], v4 offset:32
	s_waitcnt lgkmcnt(3)
	v_fmac_f32_e32 v34, v23, v31
	s_delay_alu instid0(VALU_DEP_1) | instskip(SKIP_3) | instid1(VALU_DEP_1)
	v_fmac_f32_e32 v34, v24, v32
	ds_load_2addr_b32 v[31:32], v16 offset0:64 offset1:96
	s_waitcnt lgkmcnt(3)
	v_fmac_f32_e32 v34, v25, v27
	v_fmac_f32_e32 v34, v26, v28
	ds_load_b128 v[23:26], v4 offset:48
	ds_load_2addr_b32 v[27:28], v16 offset0:128 offset1:160
	s_waitcnt lgkmcnt(3)
	v_fmac_f32_e32 v34, v19, v29
	s_delay_alu instid0(VALU_DEP_1) | instskip(SKIP_3) | instid1(VALU_DEP_1)
	v_fmac_f32_e32 v34, v20, v30
	ds_load_2addr_b32 v[29:30], v16 offset0:192 offset1:224
	s_waitcnt lgkmcnt(3)
	v_fmac_f32_e32 v34, v21, v31
	v_fmac_f32_e32 v34, v22, v32
	ds_load_2addr_b32 v[31:32], v17 offset1:32
	ds_load_b128 v[19:22], v4 offset:64
	s_waitcnt lgkmcnt(3)
	v_fmac_f32_e32 v34, v23, v27
	s_delay_alu instid0(VALU_DEP_1) | instskip(SKIP_3) | instid1(VALU_DEP_1)
	v_fmac_f32_e32 v34, v24, v28
	ds_load_2addr_b32 v[27:28], v17 offset0:64 offset1:96
	s_waitcnt lgkmcnt(3)
	v_fmac_f32_e32 v34, v25, v29
	v_fmac_f32_e32 v34, v26, v30
	ds_load_b128 v[23:26], v4 offset:80
	ds_load_2addr_b32 v[29:30], v17 offset0:128 offset1:160
	s_waitcnt lgkmcnt(3)
	v_fmac_f32_e32 v34, v19, v31
	;; [unrolled: 20-line block ×3, first 2 shown]
	s_delay_alu instid0(VALU_DEP_1) | instskip(SKIP_3) | instid1(VALU_DEP_1)
	v_fmac_f32_e32 v34, v20, v28
	ds_load_2addr_b32 v[19:20], v18 offset0:192 offset1:224
	s_waitcnt lgkmcnt(3)
	v_fmac_f32_e32 v34, v21, v29
	v_fmac_f32_e32 v34, v22, v30
	s_waitcnt lgkmcnt(1)
	s_delay_alu instid0(VALU_DEP_1) | instskip(NEXT) | instid1(VALU_DEP_1)
	v_fmac_f32_e32 v34, v23, v31
	v_fmac_f32_e32 v34, v24, v32
	s_waitcnt lgkmcnt(0)
	s_delay_alu instid0(VALU_DEP_1) | instskip(NEXT) | instid1(VALU_DEP_1)
	v_fmac_f32_e32 v34, v25, v19
	v_fmac_f32_e32 v34, v26, v20
	s_waitcnt vmcnt(0)
	s_delay_alu instid0(VALU_DEP_1)
	v_fmac_f32_e32 v33, s7, v34
	global_store_b32 v[0:1], v33, off
	s_branch .LBB1896_4
.LBB1896_17:
	s_endpgm
	.section	.rodata,"a",@progbits
	.p2align	6, 0x0
	.amdhsa_kernel _ZL26rocblas_syr2k_her2k_kernelIiLb1ELb0ELb0ELi32EfPKfPfEvbiT_T4_T5_S3_lS5_S3_lT6_S3_li
		.amdhsa_group_segment_fixed_size 8192
		.amdhsa_private_segment_fixed_size 0
		.amdhsa_kernarg_size 92
		.amdhsa_user_sgpr_count 13
		.amdhsa_user_sgpr_dispatch_ptr 0
		.amdhsa_user_sgpr_queue_ptr 0
		.amdhsa_user_sgpr_kernarg_segment_ptr 1
		.amdhsa_user_sgpr_dispatch_id 0
		.amdhsa_user_sgpr_private_segment_size 0
		.amdhsa_wavefront_size32 1
		.amdhsa_uses_dynamic_stack 0
		.amdhsa_enable_private_segment 0
		.amdhsa_system_sgpr_workgroup_id_x 1
		.amdhsa_system_sgpr_workgroup_id_y 1
		.amdhsa_system_sgpr_workgroup_id_z 1
		.amdhsa_system_sgpr_workgroup_info 0
		.amdhsa_system_vgpr_workitem_id 1
		.amdhsa_next_free_vgpr 37
		.amdhsa_next_free_sgpr 22
		.amdhsa_reserve_vcc 1
		.amdhsa_float_round_mode_32 0
		.amdhsa_float_round_mode_16_64 0
		.amdhsa_float_denorm_mode_32 3
		.amdhsa_float_denorm_mode_16_64 3
		.amdhsa_dx10_clamp 1
		.amdhsa_ieee_mode 1
		.amdhsa_fp16_overflow 0
		.amdhsa_workgroup_processor_mode 1
		.amdhsa_memory_ordered 1
		.amdhsa_forward_progress 0
		.amdhsa_shared_vgpr_count 0
		.amdhsa_exception_fp_ieee_invalid_op 0
		.amdhsa_exception_fp_denorm_src 0
		.amdhsa_exception_fp_ieee_div_zero 0
		.amdhsa_exception_fp_ieee_overflow 0
		.amdhsa_exception_fp_ieee_underflow 0
		.amdhsa_exception_fp_ieee_inexact 0
		.amdhsa_exception_int_div_zero 0
	.end_amdhsa_kernel
	.section	.text._ZL26rocblas_syr2k_her2k_kernelIiLb1ELb0ELb0ELi32EfPKfPfEvbiT_T4_T5_S3_lS5_S3_lT6_S3_li,"axG",@progbits,_ZL26rocblas_syr2k_her2k_kernelIiLb1ELb0ELb0ELi32EfPKfPfEvbiT_T4_T5_S3_lS5_S3_lT6_S3_li,comdat
.Lfunc_end1896:
	.size	_ZL26rocblas_syr2k_her2k_kernelIiLb1ELb0ELb0ELi32EfPKfPfEvbiT_T4_T5_S3_lS5_S3_lT6_S3_li, .Lfunc_end1896-_ZL26rocblas_syr2k_her2k_kernelIiLb1ELb0ELb0ELi32EfPKfPfEvbiT_T4_T5_S3_lS5_S3_lT6_S3_li
                                        ; -- End function
	.section	.AMDGPU.csdata,"",@progbits
; Kernel info:
; codeLenInByte = 1876
; NumSgprs: 24
; NumVgprs: 37
; ScratchSize: 0
; MemoryBound: 0
; FloatMode: 240
; IeeeMode: 1
; LDSByteSize: 8192 bytes/workgroup (compile time only)
; SGPRBlocks: 2
; VGPRBlocks: 4
; NumSGPRsForWavesPerEU: 24
; NumVGPRsForWavesPerEU: 37
; Occupancy: 16
; WaveLimiterHint : 0
; COMPUTE_PGM_RSRC2:SCRATCH_EN: 0
; COMPUTE_PGM_RSRC2:USER_SGPR: 13
; COMPUTE_PGM_RSRC2:TRAP_HANDLER: 0
; COMPUTE_PGM_RSRC2:TGID_X_EN: 1
; COMPUTE_PGM_RSRC2:TGID_Y_EN: 1
; COMPUTE_PGM_RSRC2:TGID_Z_EN: 1
; COMPUTE_PGM_RSRC2:TIDIG_COMP_CNT: 1
	.section	.text._ZL26rocblas_syr2k_her2k_kernelIiLb1ELb0ELb1ELi32EfPKfPfEvbiT_T4_T5_S3_lS5_S3_lT6_S3_li,"axG",@progbits,_ZL26rocblas_syr2k_her2k_kernelIiLb1ELb0ELb1ELi32EfPKfPfEvbiT_T4_T5_S3_lS5_S3_lT6_S3_li,comdat
	.globl	_ZL26rocblas_syr2k_her2k_kernelIiLb1ELb0ELb1ELi32EfPKfPfEvbiT_T4_T5_S3_lS5_S3_lT6_S3_li ; -- Begin function _ZL26rocblas_syr2k_her2k_kernelIiLb1ELb0ELb1ELi32EfPKfPfEvbiT_T4_T5_S3_lS5_S3_lT6_S3_li
	.p2align	8
	.type	_ZL26rocblas_syr2k_her2k_kernelIiLb1ELb0ELb1ELi32EfPKfPfEvbiT_T4_T5_S3_lS5_S3_lT6_S3_li,@function
_ZL26rocblas_syr2k_her2k_kernelIiLb1ELb0ELb1ELi32EfPKfPfEvbiT_T4_T5_S3_lS5_S3_lT6_S3_li: ; @_ZL26rocblas_syr2k_her2k_kernelIiLb1ELb0ELb1ELi32EfPKfPfEvbiT_T4_T5_S3_lS5_S3_lT6_S3_li
; %bb.0:
	s_load_b128 s[4:7], s[0:1], 0x0
	s_waitcnt lgkmcnt(0)
	v_cmp_eq_f32_e64 s2, s7, 0
	s_delay_alu instid0(VALU_DEP_1)
	s_and_b32 vcc_lo, exec_lo, s2
	s_cbranch_vccnz .LBB1897_17
; %bb.1:
	s_and_b32 s4, 1, s4
	s_lshl_b32 s2, s14, 5
	s_lshl_b32 s3, s13, 5
	s_cmp_eq_u32 s4, 1
	s_cselect_b32 vcc_lo, -1, 0
	s_delay_alu instid0(SALU_CYCLE_1) | instskip(SKIP_2) | instid1(SALU_CYCLE_1)
	s_and_b32 s4, vcc_lo, exec_lo
	s_cselect_b32 s4, s3, s2
	s_cselect_b32 s8, s2, s3
	s_cmp_gt_i32 s4, s8
	s_cbranch_scc1 .LBB1897_17
; %bb.2:
	s_cmp_lt_i32 s6, 1
	s_cbranch_scc1 .LBB1897_17
; %bb.3:
	s_clause 0x6
	s_load_b128 s[16:19], s[0:1], 0x20
	s_load_b128 s[8:11], s[0:1], 0x38
	s_load_b32 s4, s[0:1], 0x18
	s_load_b32 s14, s[0:1], 0x30
	;; [unrolled: 1-line block ×3, first 2 shown]
	s_load_b64 s[12:13], s[0:1], 0x50
	s_load_b64 s[20:21], s[0:1], 0x10
	v_bfe_u32 v6, v0, 10, 10
	s_delay_alu instid0(VALU_DEP_1) | instskip(SKIP_2) | instid1(VALU_DEP_2)
	v_add_nc_u32_e32 v18, s2, v6
	v_and_b32_e32 v7, 0x3ff, v0
	v_lshlrev_b32_e32 v12, 2, v6
	v_add_nc_u32_e32 v0, s3, v7
	s_waitcnt lgkmcnt(0)
	s_mul_i32 s1, s15, s17
	s_delay_alu instid0(VALU_DEP_1)
	v_cndmask_b32_e32 v16, v0, v18, vcc_lo
	s_mul_hi_u32 s3, s15, s16
	s_mul_i32 s0, s15, s16
	s_add_i32 s1, s3, s1
	v_mad_i64_i32 v[2:3], null, s4, v0, 0
	s_lshl_b64 s[0:1], s[0:1], 2
	s_mul_i32 s9, s15, s9
	s_mul_hi_u32 s16, s15, s8
	s_add_u32 s17, s20, s0
	s_mul_i32 s2, s15, s8
	s_addc_u32 s20, s21, s1
	s_add_i32 s3, s16, s9
	s_mul_i32 s8, s15, s13
	s_lshl_b64 s[2:3], s[2:3], 2
	s_mul_hi_u32 s13, s15, s12
	v_lshlrev_b64 v[2:3], 2, v[2:3]
	v_mad_i64_i32 v[4:5], null, s14, v18, 0
	s_add_u32 s9, s18, s2
	s_mul_i32 s0, s15, s12
	s_addc_u32 s3, s19, s3
	s_add_i32 s1, s13, s8
	v_cndmask_b32_e32 v17, v18, v0, vcc_lo
	s_lshl_b64 s[0:1], s[0:1], 2
	v_ashrrev_i32_e32 v1, 31, v0
	s_add_u32 s2, s10, s0
	v_add_co_u32 v9, s0, s17, v2
	s_delay_alu instid0(VALU_DEP_1)
	v_add_co_ci_u32_e64 v10, s0, s20, v3, s0
	v_lshlrev_b64 v[2:3], 2, v[4:5]
	v_mad_i64_i32 v[4:5], null, s22, v18, 0
	s_addc_u32 s8, s11, s1
	v_cmp_gt_i32_e32 vcc_lo, s5, v0
	v_cmp_gt_i32_e64 s0, s5, v18
	s_delay_alu instid0(VALU_DEP_4) | instskip(NEXT) | instid1(VALU_DEP_1)
	v_add_co_u32 v13, s1, s9, v2
	v_add_co_ci_u32_e64 v14, s1, s3, v3, s1
	v_lshlrev_b64 v[2:3], 2, v[4:5]
	v_mad_i64_i32 v[4:5], null, s14, v0, 0
	v_cmp_le_i32_e64 s1, v17, v16
	v_mad_i64_i32 v[16:17], null, s4, v18, 0
	v_lshlrev_b64 v[0:1], 2, v[0:1]
	v_add_co_u32 v18, s2, s2, v2
	s_delay_alu instid0(VALU_DEP_1) | instskip(SKIP_2) | instid1(VALU_DEP_4)
	v_add_co_ci_u32_e64 v19, s2, s8, v3, s2
	v_lshlrev_b64 v[2:3], 2, v[4:5]
	v_lshlrev_b32_e32 v8, 7, v7
	v_add_co_u32 v0, s2, v18, v0
	v_lshlrev_b64 v[4:5], 2, v[16:17]
	v_add_co_ci_u32_e64 v1, s2, v19, v1, s2
	s_delay_alu instid0(VALU_DEP_4) | instskip(SKIP_2) | instid1(VALU_DEP_1)
	v_add_nc_u32_e32 v11, v8, v12
	v_or_b32_e32 v12, 0x1000, v12
	v_add_co_u32 v16, s2, s9, v2
	v_add_co_ci_u32_e64 v17, s2, s3, v3, s2
	v_add_co_u32 v18, s2, s17, v4
	s_delay_alu instid0(VALU_DEP_4)
	v_add_nc_u32_e32 v15, v12, v8
	v_add_co_ci_u32_e64 v19, s2, s20, v5, s2
	v_add_nc_u32_e32 v20, 0x400, v12
	v_add_nc_u32_e32 v21, 0x800, v12
	;; [unrolled: 1-line block ×3, first 2 shown]
	s_and_b32 s5, s0, vcc_lo
	s_mov_b32 s3, 0
	s_and_b32 s2, s5, s1
	s_branch .LBB1897_5
.LBB1897_4:                             ;   in Loop: Header=BB1897_5 Depth=1
	s_or_b32 exec_lo, exec_lo, s1
	s_add_i32 s3, s3, 32
	s_waitcnt_vscnt null, 0x0
	s_cmp_lt_i32 s3, s6
	s_barrier
	buffer_gl0_inv
	s_cbranch_scc0 .LBB1897_17
.LBB1897_5:                             ; =>This Inner Loop Header: Depth=1
	v_dual_mov_b32 v23, 0 :: v_dual_add_nc_u32 v2, s3, v6
	s_delay_alu instid0(VALU_DEP_1) | instskip(SKIP_1) | instid1(VALU_DEP_2)
	v_cmp_gt_i32_e64 s1, s6, v2
	v_ashrrev_i32_e32 v3, 31, v2
	s_and_b32 s4, vcc_lo, s1
	s_delay_alu instid0(SALU_CYCLE_1)
	s_and_saveexec_b32 s5, s4
	s_cbranch_execz .LBB1897_7
; %bb.6:                                ;   in Loop: Header=BB1897_5 Depth=1
	s_delay_alu instid0(VALU_DEP_1) | instskip(NEXT) | instid1(VALU_DEP_1)
	v_lshlrev_b64 v[4:5], 2, v[2:3]
	v_add_co_u32 v4, s1, v9, v4
	s_delay_alu instid0(VALU_DEP_1)
	v_add_co_ci_u32_e64 v5, s1, v10, v5, s1
	global_load_b32 v23, v[4:5], off
.LBB1897_7:                             ;   in Loop: Header=BB1897_5 Depth=1
	s_or_b32 exec_lo, exec_lo, s5
	v_add_nc_u32_e32 v4, s3, v7
	v_mov_b32_e32 v24, 0
	s_waitcnt vmcnt(0)
	ds_store_b32 v11, v23
	v_cmp_gt_i32_e64 s1, s6, v4
	v_ashrrev_i32_e32 v5, 31, v4
	s_delay_alu instid0(VALU_DEP_2) | instskip(NEXT) | instid1(SALU_CYCLE_1)
	s_and_b32 s5, s0, s1
	s_and_saveexec_b32 s8, s5
	s_cbranch_execz .LBB1897_9
; %bb.8:                                ;   in Loop: Header=BB1897_5 Depth=1
	s_delay_alu instid0(VALU_DEP_1) | instskip(NEXT) | instid1(VALU_DEP_1)
	v_lshlrev_b64 v[23:24], 2, v[4:5]
	v_add_co_u32 v23, s1, v13, v23
	s_delay_alu instid0(VALU_DEP_1)
	v_add_co_ci_u32_e64 v24, s1, v14, v24, s1
	global_load_b32 v24, v[23:24], off
.LBB1897_9:                             ;   in Loop: Header=BB1897_5 Depth=1
	s_or_b32 exec_lo, exec_lo, s8
	s_waitcnt vmcnt(0)
	ds_store_b32 v15, v24
	s_waitcnt lgkmcnt(0)
	s_barrier
	buffer_gl0_inv
	s_and_saveexec_b32 s1, s2
	s_cbranch_execz .LBB1897_11
; %bb.10:                               ;   in Loop: Header=BB1897_5 Depth=1
	global_load_b32 v37, v[0:1], off
	ds_load_2addr_b32 v[31:32], v12 offset1:32
	ds_load_b128 v[23:26], v8
	ds_load_2addr_b32 v[33:34], v12 offset0:64 offset1:96
	ds_load_b128 v[27:30], v8 offset:16
	ds_load_2addr_b32 v[35:36], v12 offset0:128 offset1:160
	s_waitcnt lgkmcnt(3)
	v_fma_f32 v38, v23, v31, 0
	s_delay_alu instid0(VALU_DEP_1) | instskip(SKIP_3) | instid1(VALU_DEP_1)
	v_fmac_f32_e32 v38, v24, v32
	ds_load_2addr_b32 v[31:32], v12 offset0:192 offset1:224
	s_waitcnt lgkmcnt(3)
	v_fmac_f32_e32 v38, v25, v33
	v_fmac_f32_e32 v38, v26, v34
	ds_load_2addr_b32 v[33:34], v20 offset1:32
	ds_load_b128 v[23:26], v8 offset:32
	s_waitcnt lgkmcnt(3)
	v_fmac_f32_e32 v38, v27, v35
	s_delay_alu instid0(VALU_DEP_1) | instskip(SKIP_3) | instid1(VALU_DEP_1)
	v_fmac_f32_e32 v38, v28, v36
	ds_load_2addr_b32 v[35:36], v20 offset0:64 offset1:96
	s_waitcnt lgkmcnt(3)
	v_fmac_f32_e32 v38, v29, v31
	v_fmac_f32_e32 v38, v30, v32
	ds_load_b128 v[27:30], v8 offset:48
	ds_load_2addr_b32 v[31:32], v20 offset0:128 offset1:160
	s_waitcnt lgkmcnt(3)
	v_fmac_f32_e32 v38, v23, v33
	s_delay_alu instid0(VALU_DEP_1) | instskip(SKIP_3) | instid1(VALU_DEP_1)
	v_fmac_f32_e32 v38, v24, v34
	ds_load_2addr_b32 v[33:34], v20 offset0:192 offset1:224
	s_waitcnt lgkmcnt(3)
	v_fmac_f32_e32 v38, v25, v35
	v_fmac_f32_e32 v38, v26, v36
	ds_load_2addr_b32 v[35:36], v21 offset1:32
	ds_load_b128 v[23:26], v8 offset:64
	s_waitcnt lgkmcnt(3)
	v_fmac_f32_e32 v38, v27, v31
	s_delay_alu instid0(VALU_DEP_1) | instskip(SKIP_3) | instid1(VALU_DEP_1)
	v_fmac_f32_e32 v38, v28, v32
	ds_load_2addr_b32 v[31:32], v21 offset0:64 offset1:96
	s_waitcnt lgkmcnt(3)
	v_fmac_f32_e32 v38, v29, v33
	v_fmac_f32_e32 v38, v30, v34
	ds_load_b128 v[27:30], v8 offset:80
	ds_load_2addr_b32 v[33:34], v21 offset0:128 offset1:160
	s_waitcnt lgkmcnt(3)
	v_fmac_f32_e32 v38, v23, v35
	;; [unrolled: 20-line block ×3, first 2 shown]
	s_delay_alu instid0(VALU_DEP_1) | instskip(SKIP_3) | instid1(VALU_DEP_1)
	v_fmac_f32_e32 v38, v24, v32
	ds_load_2addr_b32 v[23:24], v22 offset0:192 offset1:224
	s_waitcnt lgkmcnt(3)
	v_fmac_f32_e32 v38, v25, v33
	v_fmac_f32_e32 v38, v26, v34
	s_waitcnt lgkmcnt(1)
	s_delay_alu instid0(VALU_DEP_1) | instskip(NEXT) | instid1(VALU_DEP_1)
	v_fmac_f32_e32 v38, v27, v35
	v_fmac_f32_e32 v38, v28, v36
	s_waitcnt lgkmcnt(0)
	s_delay_alu instid0(VALU_DEP_1) | instskip(NEXT) | instid1(VALU_DEP_1)
	v_fmac_f32_e32 v38, v29, v23
	v_fmac_f32_e32 v38, v30, v24
	s_waitcnt vmcnt(0)
	s_delay_alu instid0(VALU_DEP_1)
	v_fmac_f32_e32 v37, s7, v38
	global_store_b32 v[0:1], v37, off
.LBB1897_11:                            ;   in Loop: Header=BB1897_5 Depth=1
	s_or_b32 exec_lo, exec_lo, s1
	v_dual_mov_b32 v23, 0 :: v_dual_mov_b32 v24, 0
	s_waitcnt_vscnt null, 0x0
	s_barrier
	buffer_gl0_inv
	s_and_saveexec_b32 s8, s4
	s_cbranch_execz .LBB1897_13
; %bb.12:                               ;   in Loop: Header=BB1897_5 Depth=1
	v_lshlrev_b64 v[2:3], 2, v[2:3]
	s_delay_alu instid0(VALU_DEP_1) | instskip(NEXT) | instid1(VALU_DEP_1)
	v_add_co_u32 v2, s1, v16, v2
	v_add_co_ci_u32_e64 v3, s1, v17, v3, s1
	global_load_b32 v24, v[2:3], off
.LBB1897_13:                            ;   in Loop: Header=BB1897_5 Depth=1
	s_or_b32 exec_lo, exec_lo, s8
	s_waitcnt vmcnt(0)
	ds_store_b32 v11, v24
	s_and_saveexec_b32 s4, s5
	s_cbranch_execz .LBB1897_15
; %bb.14:                               ;   in Loop: Header=BB1897_5 Depth=1
	v_lshlrev_b64 v[2:3], 2, v[4:5]
	s_delay_alu instid0(VALU_DEP_1) | instskip(NEXT) | instid1(VALU_DEP_1)
	v_add_co_u32 v2, s1, v18, v2
	v_add_co_ci_u32_e64 v3, s1, v19, v3, s1
	global_load_b32 v23, v[2:3], off
.LBB1897_15:                            ;   in Loop: Header=BB1897_5 Depth=1
	s_or_b32 exec_lo, exec_lo, s4
	s_waitcnt vmcnt(0)
	ds_store_b32 v15, v23
	s_waitcnt lgkmcnt(0)
	s_barrier
	buffer_gl0_inv
	s_and_saveexec_b32 s1, s2
	s_cbranch_execz .LBB1897_4
; %bb.16:                               ;   in Loop: Header=BB1897_5 Depth=1
	global_load_b32 v33, v[0:1], off
	ds_load_2addr_b32 v[27:28], v12 offset1:32
	ds_load_b128 v[2:5], v8
	ds_load_2addr_b32 v[29:30], v12 offset0:64 offset1:96
	ds_load_b128 v[23:26], v8 offset:16
	ds_load_2addr_b32 v[31:32], v12 offset0:128 offset1:160
	s_waitcnt lgkmcnt(3)
	v_fma_f32 v34, v2, v27, 0
	s_delay_alu instid0(VALU_DEP_1) | instskip(SKIP_3) | instid1(VALU_DEP_1)
	v_fmac_f32_e32 v34, v3, v28
	ds_load_2addr_b32 v[27:28], v12 offset0:192 offset1:224
	s_waitcnt lgkmcnt(3)
	v_fmac_f32_e32 v34, v4, v29
	v_fmac_f32_e32 v34, v5, v30
	ds_load_2addr_b32 v[29:30], v20 offset1:32
	ds_load_b128 v[2:5], v8 offset:32
	s_waitcnt lgkmcnt(3)
	v_fmac_f32_e32 v34, v23, v31
	s_delay_alu instid0(VALU_DEP_1) | instskip(SKIP_3) | instid1(VALU_DEP_1)
	v_fmac_f32_e32 v34, v24, v32
	ds_load_2addr_b32 v[31:32], v20 offset0:64 offset1:96
	s_waitcnt lgkmcnt(3)
	v_fmac_f32_e32 v34, v25, v27
	v_fmac_f32_e32 v34, v26, v28
	ds_load_b128 v[23:26], v8 offset:48
	ds_load_2addr_b32 v[27:28], v20 offset0:128 offset1:160
	s_waitcnt lgkmcnt(3)
	v_fmac_f32_e32 v34, v2, v29
	s_delay_alu instid0(VALU_DEP_1) | instskip(SKIP_3) | instid1(VALU_DEP_1)
	v_fmac_f32_e32 v34, v3, v30
	ds_load_2addr_b32 v[29:30], v20 offset0:192 offset1:224
	s_waitcnt lgkmcnt(3)
	v_fmac_f32_e32 v34, v4, v31
	v_fmac_f32_e32 v34, v5, v32
	ds_load_2addr_b32 v[31:32], v21 offset1:32
	ds_load_b128 v[2:5], v8 offset:64
	s_waitcnt lgkmcnt(3)
	v_fmac_f32_e32 v34, v23, v27
	s_delay_alu instid0(VALU_DEP_1) | instskip(SKIP_3) | instid1(VALU_DEP_1)
	v_fmac_f32_e32 v34, v24, v28
	ds_load_2addr_b32 v[27:28], v21 offset0:64 offset1:96
	s_waitcnt lgkmcnt(3)
	v_fmac_f32_e32 v34, v25, v29
	v_fmac_f32_e32 v34, v26, v30
	ds_load_b128 v[23:26], v8 offset:80
	ds_load_2addr_b32 v[29:30], v21 offset0:128 offset1:160
	s_waitcnt lgkmcnt(3)
	v_fmac_f32_e32 v34, v2, v31
	;; [unrolled: 20-line block ×3, first 2 shown]
	s_delay_alu instid0(VALU_DEP_1) | instskip(SKIP_3) | instid1(VALU_DEP_1)
	v_fmac_f32_e32 v34, v3, v28
	ds_load_2addr_b32 v[2:3], v22 offset0:192 offset1:224
	s_waitcnt lgkmcnt(3)
	v_fmac_f32_e32 v34, v4, v29
	v_fmac_f32_e32 v34, v5, v30
	s_waitcnt lgkmcnt(1)
	s_delay_alu instid0(VALU_DEP_1) | instskip(NEXT) | instid1(VALU_DEP_1)
	v_fmac_f32_e32 v34, v23, v31
	v_fmac_f32_e32 v34, v24, v32
	s_waitcnt lgkmcnt(0)
	s_delay_alu instid0(VALU_DEP_1) | instskip(NEXT) | instid1(VALU_DEP_1)
	v_fmac_f32_e32 v34, v25, v2
	v_fmac_f32_e32 v34, v26, v3
	s_waitcnt vmcnt(0)
	s_delay_alu instid0(VALU_DEP_1)
	v_fmac_f32_e32 v33, s7, v34
	global_store_b32 v[0:1], v33, off
	s_branch .LBB1897_4
.LBB1897_17:
	s_endpgm
	.section	.rodata,"a",@progbits
	.p2align	6, 0x0
	.amdhsa_kernel _ZL26rocblas_syr2k_her2k_kernelIiLb1ELb0ELb1ELi32EfPKfPfEvbiT_T4_T5_S3_lS5_S3_lT6_S3_li
		.amdhsa_group_segment_fixed_size 8192
		.amdhsa_private_segment_fixed_size 0
		.amdhsa_kernarg_size 92
		.amdhsa_user_sgpr_count 13
		.amdhsa_user_sgpr_dispatch_ptr 0
		.amdhsa_user_sgpr_queue_ptr 0
		.amdhsa_user_sgpr_kernarg_segment_ptr 1
		.amdhsa_user_sgpr_dispatch_id 0
		.amdhsa_user_sgpr_private_segment_size 0
		.amdhsa_wavefront_size32 1
		.amdhsa_uses_dynamic_stack 0
		.amdhsa_enable_private_segment 0
		.amdhsa_system_sgpr_workgroup_id_x 1
		.amdhsa_system_sgpr_workgroup_id_y 1
		.amdhsa_system_sgpr_workgroup_id_z 1
		.amdhsa_system_sgpr_workgroup_info 0
		.amdhsa_system_vgpr_workitem_id 1
		.amdhsa_next_free_vgpr 39
		.amdhsa_next_free_sgpr 23
		.amdhsa_reserve_vcc 1
		.amdhsa_float_round_mode_32 0
		.amdhsa_float_round_mode_16_64 0
		.amdhsa_float_denorm_mode_32 3
		.amdhsa_float_denorm_mode_16_64 3
		.amdhsa_dx10_clamp 1
		.amdhsa_ieee_mode 1
		.amdhsa_fp16_overflow 0
		.amdhsa_workgroup_processor_mode 1
		.amdhsa_memory_ordered 1
		.amdhsa_forward_progress 0
		.amdhsa_shared_vgpr_count 0
		.amdhsa_exception_fp_ieee_invalid_op 0
		.amdhsa_exception_fp_denorm_src 0
		.amdhsa_exception_fp_ieee_div_zero 0
		.amdhsa_exception_fp_ieee_overflow 0
		.amdhsa_exception_fp_ieee_underflow 0
		.amdhsa_exception_fp_ieee_inexact 0
		.amdhsa_exception_int_div_zero 0
	.end_amdhsa_kernel
	.section	.text._ZL26rocblas_syr2k_her2k_kernelIiLb1ELb0ELb1ELi32EfPKfPfEvbiT_T4_T5_S3_lS5_S3_lT6_S3_li,"axG",@progbits,_ZL26rocblas_syr2k_her2k_kernelIiLb1ELb0ELb1ELi32EfPKfPfEvbiT_T4_T5_S3_lS5_S3_lT6_S3_li,comdat
.Lfunc_end1897:
	.size	_ZL26rocblas_syr2k_her2k_kernelIiLb1ELb0ELb1ELi32EfPKfPfEvbiT_T4_T5_S3_lS5_S3_lT6_S3_li, .Lfunc_end1897-_ZL26rocblas_syr2k_her2k_kernelIiLb1ELb0ELb1ELi32EfPKfPfEvbiT_T4_T5_S3_lS5_S3_lT6_S3_li
                                        ; -- End function
	.section	.AMDGPU.csdata,"",@progbits
; Kernel info:
; codeLenInByte = 1892
; NumSgprs: 25
; NumVgprs: 39
; ScratchSize: 0
; MemoryBound: 0
; FloatMode: 240
; IeeeMode: 1
; LDSByteSize: 8192 bytes/workgroup (compile time only)
; SGPRBlocks: 3
; VGPRBlocks: 4
; NumSGPRsForWavesPerEU: 25
; NumVGPRsForWavesPerEU: 39
; Occupancy: 16
; WaveLimiterHint : 0
; COMPUTE_PGM_RSRC2:SCRATCH_EN: 0
; COMPUTE_PGM_RSRC2:USER_SGPR: 13
; COMPUTE_PGM_RSRC2:TRAP_HANDLER: 0
; COMPUTE_PGM_RSRC2:TGID_X_EN: 1
; COMPUTE_PGM_RSRC2:TGID_Y_EN: 1
; COMPUTE_PGM_RSRC2:TGID_Z_EN: 1
; COMPUTE_PGM_RSRC2:TIDIG_COMP_CNT: 1
	.section	.text._ZL26rocblas_syr2k_her2k_kernelIiLb1ELb0ELb0ELi32EPKfS1_PfEvbiT_T4_T5_S3_lS5_S3_lT6_S3_li,"axG",@progbits,_ZL26rocblas_syr2k_her2k_kernelIiLb1ELb0ELb0ELi32EPKfS1_PfEvbiT_T4_T5_S3_lS5_S3_lT6_S3_li,comdat
	.globl	_ZL26rocblas_syr2k_her2k_kernelIiLb1ELb0ELb0ELi32EPKfS1_PfEvbiT_T4_T5_S3_lS5_S3_lT6_S3_li ; -- Begin function _ZL26rocblas_syr2k_her2k_kernelIiLb1ELb0ELb0ELi32EPKfS1_PfEvbiT_T4_T5_S3_lS5_S3_lT6_S3_li
	.p2align	8
	.type	_ZL26rocblas_syr2k_her2k_kernelIiLb1ELb0ELb0ELi32EPKfS1_PfEvbiT_T4_T5_S3_lS5_S3_lT6_S3_li,@function
_ZL26rocblas_syr2k_her2k_kernelIiLb1ELb0ELb0ELi32EPKfS1_PfEvbiT_T4_T5_S3_lS5_S3_lT6_S3_li: ; @_ZL26rocblas_syr2k_her2k_kernelIiLb1ELb0ELb0ELi32EPKfS1_PfEvbiT_T4_T5_S3_lS5_S3_lT6_S3_li
; %bb.0:
	s_load_b128 s[8:11], s[0:1], 0x10
	s_waitcnt lgkmcnt(0)
	s_load_b32 s3, s[8:9], 0x0
	s_waitcnt lgkmcnt(0)
	v_cmp_eq_f32_e64 s2, s3, 0
	s_delay_alu instid0(VALU_DEP_1)
	s_and_b32 vcc_lo, exec_lo, s2
	s_cbranch_vccnz .LBB1898_17
; %bb.1:
	s_load_b128 s[4:7], s[0:1], 0x0
	s_lshl_b32 s2, s14, 5
	s_waitcnt lgkmcnt(0)
	s_lshl_b32 s7, s13, 5
	s_and_b32 s4, 1, s4
	s_delay_alu instid0(SALU_CYCLE_1) | instskip(SKIP_1) | instid1(SALU_CYCLE_1)
	s_cmp_eq_u32 s4, 1
	s_cselect_b32 vcc_lo, -1, 0
	s_and_b32 s4, vcc_lo, exec_lo
	s_cselect_b32 s4, s7, s2
	s_cselect_b32 s8, s2, s7
	s_delay_alu instid0(SALU_CYCLE_1)
	s_cmp_gt_i32 s4, s8
	s_cbranch_scc1 .LBB1898_17
; %bb.2:
	s_cmp_lt_i32 s6, 1
	s_cbranch_scc1 .LBB1898_17
; %bb.3:
	s_clause 0x1
	s_load_b128 s[20:23], s[0:1], 0x28
	s_load_b128 s[16:19], s[0:1], 0x40
	v_bfe_u32 v2, v0, 10, 10
	v_and_b32_e32 v3, 0x3ff, v0
	s_clause 0x1
	s_load_b64 s[8:9], s[0:1], 0x58
	s_load_b32 s4, s[0:1], 0x20
	v_add_nc_u32_e32 v0, s2, v2
	v_add_nc_u32_e32 v5, s7, v3
	s_clause 0x1
	s_load_b32 s7, s[0:1], 0x38
	s_load_b32 s2, s[0:1], 0x50
	v_lshlrev_b32_e32 v8, 2, v2
	v_lshlrev_b32_e32 v4, 7, v3
	v_ashrrev_i32_e32 v1, 31, v0
	v_cndmask_b32_e32 v17, v0, v5, vcc_lo
	v_ashrrev_i32_e32 v6, 31, v5
	v_cndmask_b32_e32 v16, v5, v0, vcc_lo
	v_cmp_gt_i32_e32 vcc_lo, s5, v5
	v_lshlrev_b64 v[14:15], 2, v[0:1]
	v_add_nc_u32_e32 v7, v4, v8
	v_lshlrev_b64 v[12:13], 2, v[5:6]
	s_waitcnt lgkmcnt(0)
	s_mul_i32 s1, s15, s21
	s_mul_hi_u32 s12, s15, s20
	s_mul_i32 s0, s15, s20
	s_add_i32 s1, s12, s1
	s_mul_i32 s13, s15, s17
	s_lshl_b64 s[0:1], s[0:1], 2
	s_mul_hi_u32 s14, s15, s16
	s_add_u32 s10, s10, s0
	s_mul_i32 s12, s15, s16
	s_addc_u32 s11, s11, s1
	s_add_i32 s13, s14, s13
	s_mul_i32 s9, s15, s9
	s_lshl_b64 s[0:1], s[12:13], 2
	s_mul_hi_u32 s14, s15, s8
	s_add_u32 s12, s22, s0
	v_mad_i64_i32 v[9:10], null, s2, v0, 0
	s_mul_i32 s8, s15, s8
	s_addc_u32 s13, s23, s1
	s_add_i32 s9, s14, s9
	v_or_b32_e32 v8, 0x1000, v8
	s_lshl_b64 s[0:1], s[8:9], 2
	s_delay_alu instid0(SALU_CYCLE_1) | instskip(SKIP_1) | instid1(VALU_DEP_1)
	s_add_u32 s8, s18, s0
	v_add_co_u32 v5, s0, s10, v12
	v_add_co_ci_u32_e64 v6, s0, s11, v13, s0
	v_cmp_gt_i32_e64 s0, s5, v0
	v_lshlrev_b64 v[0:1], 2, v[9:10]
	s_addc_u32 s9, s19, s1
	v_add_co_u32 v9, s1, s12, v14
	s_delay_alu instid0(VALU_DEP_1) | instskip(NEXT) | instid1(VALU_DEP_3)
	v_add_co_ci_u32_e64 v10, s1, s13, v15, s1
	v_add_co_u32 v0, s2, s8, v0
	s_delay_alu instid0(VALU_DEP_1) | instskip(SKIP_1) | instid1(VALU_DEP_3)
	v_add_co_ci_u32_e64 v1, s2, s9, v1, s2
	v_cmp_le_i32_e64 s1, v17, v16
	v_add_co_u32 v0, s2, v0, v12
	s_delay_alu instid0(VALU_DEP_1) | instskip(SKIP_1) | instid1(VALU_DEP_1)
	v_add_co_ci_u32_e64 v1, s2, v1, v13, s2
	v_add_co_u32 v12, s2, s12, v12
	v_add_co_ci_u32_e64 v13, s2, s13, v13, s2
	v_add_co_u32 v14, s2, s10, v14
	v_add_nc_u32_e32 v11, v8, v4
	v_add_co_ci_u32_e64 v15, s2, s11, v15, s2
	v_add_nc_u32_e32 v16, 0x400, v8
	v_add_nc_u32_e32 v17, 0x800, v8
	;; [unrolled: 1-line block ×3, first 2 shown]
	s_and_b32 s5, s0, vcc_lo
	s_delay_alu instid0(SALU_CYCLE_1)
	s_and_b32 s2, s5, s1
	s_mov_b32 s5, 0
	s_branch .LBB1898_5
.LBB1898_4:                             ;   in Loop: Header=BB1898_5 Depth=1
	s_or_b32 exec_lo, exec_lo, s1
	s_add_i32 s5, s5, 32
	s_waitcnt_vscnt null, 0x0
	s_cmp_lt_i32 s5, s6
	s_barrier
	buffer_gl0_inv
	s_cbranch_scc0 .LBB1898_17
.LBB1898_5:                             ; =>This Inner Loop Header: Depth=1
	v_add_nc_u32_e32 v19, s5, v2
	v_mov_b32_e32 v21, 0
	s_delay_alu instid0(VALU_DEP_2) | instskip(NEXT) | instid1(VALU_DEP_1)
	v_cmp_gt_i32_e64 s1, s6, v19
	s_and_b32 s8, vcc_lo, s1
	s_delay_alu instid0(SALU_CYCLE_1)
	s_and_saveexec_b32 s9, s8
	s_cbranch_execz .LBB1898_7
; %bb.6:                                ;   in Loop: Header=BB1898_5 Depth=1
	v_mad_i64_i32 v[20:21], null, v19, s4, 0
	s_delay_alu instid0(VALU_DEP_1) | instskip(NEXT) | instid1(VALU_DEP_1)
	v_lshlrev_b64 v[20:21], 2, v[20:21]
	v_add_co_u32 v20, s1, v5, v20
	s_delay_alu instid0(VALU_DEP_1)
	v_add_co_ci_u32_e64 v21, s1, v6, v21, s1
	global_load_b32 v21, v[20:21], off
.LBB1898_7:                             ;   in Loop: Header=BB1898_5 Depth=1
	s_or_b32 exec_lo, exec_lo, s9
	v_add_nc_u32_e32 v20, s5, v3
	v_mov_b32_e32 v22, 0
	s_waitcnt vmcnt(0)
	ds_store_b32 v7, v21
	v_cmp_gt_i32_e64 s1, s6, v20
	s_delay_alu instid0(VALU_DEP_1) | instskip(NEXT) | instid1(SALU_CYCLE_1)
	s_and_b32 s9, s0, s1
	s_and_saveexec_b32 s10, s9
	s_cbranch_execz .LBB1898_9
; %bb.8:                                ;   in Loop: Header=BB1898_5 Depth=1
	v_mad_i64_i32 v[21:22], null, v20, s7, 0
	s_delay_alu instid0(VALU_DEP_1) | instskip(NEXT) | instid1(VALU_DEP_1)
	v_lshlrev_b64 v[21:22], 2, v[21:22]
	v_add_co_u32 v21, s1, v9, v21
	s_delay_alu instid0(VALU_DEP_1)
	v_add_co_ci_u32_e64 v22, s1, v10, v22, s1
	global_load_b32 v22, v[21:22], off
.LBB1898_9:                             ;   in Loop: Header=BB1898_5 Depth=1
	s_or_b32 exec_lo, exec_lo, s10
	s_waitcnt vmcnt(0)
	ds_store_b32 v11, v22
	s_waitcnt lgkmcnt(0)
	s_barrier
	buffer_gl0_inv
	s_and_saveexec_b32 s1, s2
	s_cbranch_execz .LBB1898_11
; %bb.10:                               ;   in Loop: Header=BB1898_5 Depth=1
	global_load_b32 v35, v[0:1], off
	ds_load_2addr_b32 v[29:30], v8 offset1:32
	ds_load_b128 v[21:24], v4
	ds_load_2addr_b32 v[31:32], v8 offset0:64 offset1:96
	ds_load_b128 v[25:28], v4 offset:16
	ds_load_2addr_b32 v[33:34], v8 offset0:128 offset1:160
	s_waitcnt lgkmcnt(3)
	v_fma_f32 v36, v21, v29, 0
	s_delay_alu instid0(VALU_DEP_1) | instskip(SKIP_3) | instid1(VALU_DEP_1)
	v_fmac_f32_e32 v36, v22, v30
	ds_load_2addr_b32 v[29:30], v8 offset0:192 offset1:224
	s_waitcnt lgkmcnt(3)
	v_fmac_f32_e32 v36, v23, v31
	v_fmac_f32_e32 v36, v24, v32
	ds_load_2addr_b32 v[31:32], v16 offset1:32
	ds_load_b128 v[21:24], v4 offset:32
	s_waitcnt lgkmcnt(3)
	v_fmac_f32_e32 v36, v25, v33
	s_delay_alu instid0(VALU_DEP_1) | instskip(SKIP_3) | instid1(VALU_DEP_1)
	v_fmac_f32_e32 v36, v26, v34
	ds_load_2addr_b32 v[33:34], v16 offset0:64 offset1:96
	s_waitcnt lgkmcnt(3)
	v_fmac_f32_e32 v36, v27, v29
	v_fmac_f32_e32 v36, v28, v30
	ds_load_b128 v[25:28], v4 offset:48
	ds_load_2addr_b32 v[29:30], v16 offset0:128 offset1:160
	s_waitcnt lgkmcnt(3)
	v_fmac_f32_e32 v36, v21, v31
	s_delay_alu instid0(VALU_DEP_1) | instskip(SKIP_3) | instid1(VALU_DEP_1)
	v_fmac_f32_e32 v36, v22, v32
	ds_load_2addr_b32 v[31:32], v16 offset0:192 offset1:224
	s_waitcnt lgkmcnt(3)
	v_fmac_f32_e32 v36, v23, v33
	v_fmac_f32_e32 v36, v24, v34
	ds_load_2addr_b32 v[33:34], v17 offset1:32
	ds_load_b128 v[21:24], v4 offset:64
	s_waitcnt lgkmcnt(3)
	v_fmac_f32_e32 v36, v25, v29
	s_delay_alu instid0(VALU_DEP_1) | instskip(SKIP_3) | instid1(VALU_DEP_1)
	v_fmac_f32_e32 v36, v26, v30
	ds_load_2addr_b32 v[29:30], v17 offset0:64 offset1:96
	s_waitcnt lgkmcnt(3)
	v_fmac_f32_e32 v36, v27, v31
	v_fmac_f32_e32 v36, v28, v32
	ds_load_b128 v[25:28], v4 offset:80
	ds_load_2addr_b32 v[31:32], v17 offset0:128 offset1:160
	s_waitcnt lgkmcnt(3)
	v_fmac_f32_e32 v36, v21, v33
	;; [unrolled: 20-line block ×3, first 2 shown]
	s_delay_alu instid0(VALU_DEP_1) | instskip(SKIP_3) | instid1(VALU_DEP_1)
	v_fmac_f32_e32 v36, v22, v30
	ds_load_2addr_b32 v[21:22], v18 offset0:192 offset1:224
	s_waitcnt lgkmcnt(3)
	v_fmac_f32_e32 v36, v23, v31
	v_fmac_f32_e32 v36, v24, v32
	s_waitcnt lgkmcnt(1)
	s_delay_alu instid0(VALU_DEP_1) | instskip(NEXT) | instid1(VALU_DEP_1)
	v_fmac_f32_e32 v36, v25, v33
	v_fmac_f32_e32 v36, v26, v34
	s_waitcnt lgkmcnt(0)
	s_delay_alu instid0(VALU_DEP_1) | instskip(NEXT) | instid1(VALU_DEP_1)
	v_fmac_f32_e32 v36, v27, v21
	v_fmac_f32_e32 v36, v28, v22
	s_waitcnt vmcnt(0)
	s_delay_alu instid0(VALU_DEP_1)
	v_fmac_f32_e32 v35, s3, v36
	global_store_b32 v[0:1], v35, off
.LBB1898_11:                            ;   in Loop: Header=BB1898_5 Depth=1
	s_or_b32 exec_lo, exec_lo, s1
	v_dual_mov_b32 v21, 0 :: v_dual_mov_b32 v22, 0
	s_waitcnt_vscnt null, 0x0
	s_barrier
	buffer_gl0_inv
	s_and_saveexec_b32 s10, s8
	s_cbranch_execz .LBB1898_13
; %bb.12:                               ;   in Loop: Header=BB1898_5 Depth=1
	v_mad_i64_i32 v[22:23], null, v19, s7, 0
	s_delay_alu instid0(VALU_DEP_1) | instskip(NEXT) | instid1(VALU_DEP_1)
	v_lshlrev_b64 v[22:23], 2, v[22:23]
	v_add_co_u32 v22, s1, v12, v22
	s_delay_alu instid0(VALU_DEP_1)
	v_add_co_ci_u32_e64 v23, s1, v13, v23, s1
	global_load_b32 v22, v[22:23], off
.LBB1898_13:                            ;   in Loop: Header=BB1898_5 Depth=1
	s_or_b32 exec_lo, exec_lo, s10
	s_waitcnt vmcnt(0)
	ds_store_b32 v7, v22
	s_and_saveexec_b32 s8, s9
	s_cbranch_execz .LBB1898_15
; %bb.14:                               ;   in Loop: Header=BB1898_5 Depth=1
	v_mad_i64_i32 v[21:22], null, v20, s4, 0
	s_delay_alu instid0(VALU_DEP_1) | instskip(NEXT) | instid1(VALU_DEP_1)
	v_lshlrev_b64 v[19:20], 2, v[21:22]
	v_add_co_u32 v19, s1, v14, v19
	s_delay_alu instid0(VALU_DEP_1)
	v_add_co_ci_u32_e64 v20, s1, v15, v20, s1
	global_load_b32 v21, v[19:20], off
.LBB1898_15:                            ;   in Loop: Header=BB1898_5 Depth=1
	s_or_b32 exec_lo, exec_lo, s8
	s_waitcnt vmcnt(0)
	ds_store_b32 v11, v21
	s_waitcnt lgkmcnt(0)
	s_barrier
	buffer_gl0_inv
	s_and_saveexec_b32 s1, s2
	s_cbranch_execz .LBB1898_4
; %bb.16:                               ;   in Loop: Header=BB1898_5 Depth=1
	global_load_b32 v33, v[0:1], off
	ds_load_2addr_b32 v[27:28], v8 offset1:32
	ds_load_b128 v[19:22], v4
	ds_load_2addr_b32 v[29:30], v8 offset0:64 offset1:96
	ds_load_b128 v[23:26], v4 offset:16
	ds_load_2addr_b32 v[31:32], v8 offset0:128 offset1:160
	s_waitcnt lgkmcnt(3)
	v_fma_f32 v34, v19, v27, 0
	s_delay_alu instid0(VALU_DEP_1) | instskip(SKIP_3) | instid1(VALU_DEP_1)
	v_fmac_f32_e32 v34, v20, v28
	ds_load_2addr_b32 v[27:28], v8 offset0:192 offset1:224
	s_waitcnt lgkmcnt(3)
	v_fmac_f32_e32 v34, v21, v29
	v_fmac_f32_e32 v34, v22, v30
	ds_load_2addr_b32 v[29:30], v16 offset1:32
	ds_load_b128 v[19:22], v4 offset:32
	s_waitcnt lgkmcnt(3)
	v_fmac_f32_e32 v34, v23, v31
	s_delay_alu instid0(VALU_DEP_1) | instskip(SKIP_3) | instid1(VALU_DEP_1)
	v_fmac_f32_e32 v34, v24, v32
	ds_load_2addr_b32 v[31:32], v16 offset0:64 offset1:96
	s_waitcnt lgkmcnt(3)
	v_fmac_f32_e32 v34, v25, v27
	v_fmac_f32_e32 v34, v26, v28
	ds_load_b128 v[23:26], v4 offset:48
	ds_load_2addr_b32 v[27:28], v16 offset0:128 offset1:160
	s_waitcnt lgkmcnt(3)
	v_fmac_f32_e32 v34, v19, v29
	s_delay_alu instid0(VALU_DEP_1) | instskip(SKIP_3) | instid1(VALU_DEP_1)
	v_fmac_f32_e32 v34, v20, v30
	ds_load_2addr_b32 v[29:30], v16 offset0:192 offset1:224
	s_waitcnt lgkmcnt(3)
	v_fmac_f32_e32 v34, v21, v31
	v_fmac_f32_e32 v34, v22, v32
	ds_load_2addr_b32 v[31:32], v17 offset1:32
	ds_load_b128 v[19:22], v4 offset:64
	s_waitcnt lgkmcnt(3)
	v_fmac_f32_e32 v34, v23, v27
	s_delay_alu instid0(VALU_DEP_1) | instskip(SKIP_3) | instid1(VALU_DEP_1)
	v_fmac_f32_e32 v34, v24, v28
	ds_load_2addr_b32 v[27:28], v17 offset0:64 offset1:96
	s_waitcnt lgkmcnt(3)
	v_fmac_f32_e32 v34, v25, v29
	v_fmac_f32_e32 v34, v26, v30
	ds_load_b128 v[23:26], v4 offset:80
	ds_load_2addr_b32 v[29:30], v17 offset0:128 offset1:160
	s_waitcnt lgkmcnt(3)
	v_fmac_f32_e32 v34, v19, v31
	s_delay_alu instid0(VALU_DEP_1) | instskip(SKIP_3) | instid1(VALU_DEP_1)
	v_fmac_f32_e32 v34, v20, v32
	ds_load_2addr_b32 v[31:32], v17 offset0:192 offset1:224
	s_waitcnt lgkmcnt(3)
	v_fmac_f32_e32 v34, v21, v27
	v_fmac_f32_e32 v34, v22, v28
	ds_load_2addr_b32 v[27:28], v18 offset1:32
	ds_load_b128 v[19:22], v4 offset:96
	s_waitcnt lgkmcnt(3)
	v_fmac_f32_e32 v34, v23, v29
	s_delay_alu instid0(VALU_DEP_1) | instskip(SKIP_3) | instid1(VALU_DEP_1)
	v_fmac_f32_e32 v34, v24, v30
	ds_load_2addr_b32 v[29:30], v18 offset0:64 offset1:96
	s_waitcnt lgkmcnt(3)
	v_fmac_f32_e32 v34, v25, v31
	v_fmac_f32_e32 v34, v26, v32
	ds_load_b128 v[23:26], v4 offset:112
	ds_load_2addr_b32 v[31:32], v18 offset0:128 offset1:160
	s_waitcnt lgkmcnt(3)
	v_fmac_f32_e32 v34, v19, v27
	s_delay_alu instid0(VALU_DEP_1) | instskip(SKIP_3) | instid1(VALU_DEP_1)
	v_fmac_f32_e32 v34, v20, v28
	ds_load_2addr_b32 v[19:20], v18 offset0:192 offset1:224
	s_waitcnt lgkmcnt(3)
	v_fmac_f32_e32 v34, v21, v29
	v_fmac_f32_e32 v34, v22, v30
	s_waitcnt lgkmcnt(1)
	s_delay_alu instid0(VALU_DEP_1) | instskip(NEXT) | instid1(VALU_DEP_1)
	v_fmac_f32_e32 v34, v23, v31
	v_fmac_f32_e32 v34, v24, v32
	s_waitcnt lgkmcnt(0)
	s_delay_alu instid0(VALU_DEP_1) | instskip(NEXT) | instid1(VALU_DEP_1)
	v_fmac_f32_e32 v34, v25, v19
	v_fmac_f32_e32 v34, v26, v20
	s_waitcnt vmcnt(0)
	s_delay_alu instid0(VALU_DEP_1)
	v_fmac_f32_e32 v33, s3, v34
	global_store_b32 v[0:1], v33, off
	s_branch .LBB1898_4
.LBB1898_17:
	s_endpgm
	.section	.rodata,"a",@progbits
	.p2align	6, 0x0
	.amdhsa_kernel _ZL26rocblas_syr2k_her2k_kernelIiLb1ELb0ELb0ELi32EPKfS1_PfEvbiT_T4_T5_S3_lS5_S3_lT6_S3_li
		.amdhsa_group_segment_fixed_size 8192
		.amdhsa_private_segment_fixed_size 0
		.amdhsa_kernarg_size 100
		.amdhsa_user_sgpr_count 13
		.amdhsa_user_sgpr_dispatch_ptr 0
		.amdhsa_user_sgpr_queue_ptr 0
		.amdhsa_user_sgpr_kernarg_segment_ptr 1
		.amdhsa_user_sgpr_dispatch_id 0
		.amdhsa_user_sgpr_private_segment_size 0
		.amdhsa_wavefront_size32 1
		.amdhsa_uses_dynamic_stack 0
		.amdhsa_enable_private_segment 0
		.amdhsa_system_sgpr_workgroup_id_x 1
		.amdhsa_system_sgpr_workgroup_id_y 1
		.amdhsa_system_sgpr_workgroup_id_z 1
		.amdhsa_system_sgpr_workgroup_info 0
		.amdhsa_system_vgpr_workitem_id 1
		.amdhsa_next_free_vgpr 37
		.amdhsa_next_free_sgpr 24
		.amdhsa_reserve_vcc 1
		.amdhsa_float_round_mode_32 0
		.amdhsa_float_round_mode_16_64 0
		.amdhsa_float_denorm_mode_32 3
		.amdhsa_float_denorm_mode_16_64 3
		.amdhsa_dx10_clamp 1
		.amdhsa_ieee_mode 1
		.amdhsa_fp16_overflow 0
		.amdhsa_workgroup_processor_mode 1
		.amdhsa_memory_ordered 1
		.amdhsa_forward_progress 0
		.amdhsa_shared_vgpr_count 0
		.amdhsa_exception_fp_ieee_invalid_op 0
		.amdhsa_exception_fp_denorm_src 0
		.amdhsa_exception_fp_ieee_div_zero 0
		.amdhsa_exception_fp_ieee_overflow 0
		.amdhsa_exception_fp_ieee_underflow 0
		.amdhsa_exception_fp_ieee_inexact 0
		.amdhsa_exception_int_div_zero 0
	.end_amdhsa_kernel
	.section	.text._ZL26rocblas_syr2k_her2k_kernelIiLb1ELb0ELb0ELi32EPKfS1_PfEvbiT_T4_T5_S3_lS5_S3_lT6_S3_li,"axG",@progbits,_ZL26rocblas_syr2k_her2k_kernelIiLb1ELb0ELb0ELi32EPKfS1_PfEvbiT_T4_T5_S3_lS5_S3_lT6_S3_li,comdat
.Lfunc_end1898:
	.size	_ZL26rocblas_syr2k_her2k_kernelIiLb1ELb0ELb0ELi32EPKfS1_PfEvbiT_T4_T5_S3_lS5_S3_lT6_S3_li, .Lfunc_end1898-_ZL26rocblas_syr2k_her2k_kernelIiLb1ELb0ELb0ELi32EPKfS1_PfEvbiT_T4_T5_S3_lS5_S3_lT6_S3_li
                                        ; -- End function
	.section	.AMDGPU.csdata,"",@progbits
; Kernel info:
; codeLenInByte = 1892
; NumSgprs: 26
; NumVgprs: 37
; ScratchSize: 0
; MemoryBound: 0
; FloatMode: 240
; IeeeMode: 1
; LDSByteSize: 8192 bytes/workgroup (compile time only)
; SGPRBlocks: 3
; VGPRBlocks: 4
; NumSGPRsForWavesPerEU: 26
; NumVGPRsForWavesPerEU: 37
; Occupancy: 16
; WaveLimiterHint : 0
; COMPUTE_PGM_RSRC2:SCRATCH_EN: 0
; COMPUTE_PGM_RSRC2:USER_SGPR: 13
; COMPUTE_PGM_RSRC2:TRAP_HANDLER: 0
; COMPUTE_PGM_RSRC2:TGID_X_EN: 1
; COMPUTE_PGM_RSRC2:TGID_Y_EN: 1
; COMPUTE_PGM_RSRC2:TGID_Z_EN: 1
; COMPUTE_PGM_RSRC2:TIDIG_COMP_CNT: 1
	.section	.text._ZL26rocblas_syr2k_her2k_kernelIiLb1ELb0ELb1ELi32EPKfS1_PfEvbiT_T4_T5_S3_lS5_S3_lT6_S3_li,"axG",@progbits,_ZL26rocblas_syr2k_her2k_kernelIiLb1ELb0ELb1ELi32EPKfS1_PfEvbiT_T4_T5_S3_lS5_S3_lT6_S3_li,comdat
	.globl	_ZL26rocblas_syr2k_her2k_kernelIiLb1ELb0ELb1ELi32EPKfS1_PfEvbiT_T4_T5_S3_lS5_S3_lT6_S3_li ; -- Begin function _ZL26rocblas_syr2k_her2k_kernelIiLb1ELb0ELb1ELi32EPKfS1_PfEvbiT_T4_T5_S3_lS5_S3_lT6_S3_li
	.p2align	8
	.type	_ZL26rocblas_syr2k_her2k_kernelIiLb1ELb0ELb1ELi32EPKfS1_PfEvbiT_T4_T5_S3_lS5_S3_lT6_S3_li,@function
_ZL26rocblas_syr2k_her2k_kernelIiLb1ELb0ELb1ELi32EPKfS1_PfEvbiT_T4_T5_S3_lS5_S3_lT6_S3_li: ; @_ZL26rocblas_syr2k_her2k_kernelIiLb1ELb0ELb1ELi32EPKfS1_PfEvbiT_T4_T5_S3_lS5_S3_lT6_S3_li
; %bb.0:
	s_load_b128 s[8:11], s[0:1], 0x10
	s_waitcnt lgkmcnt(0)
	s_load_b32 s3, s[8:9], 0x0
	s_waitcnt lgkmcnt(0)
	v_cmp_eq_f32_e64 s2, s3, 0
	s_delay_alu instid0(VALU_DEP_1)
	s_and_b32 vcc_lo, exec_lo, s2
	s_cbranch_vccnz .LBB1899_17
; %bb.1:
	s_load_b128 s[4:7], s[0:1], 0x0
	s_lshl_b32 s2, s14, 5
	s_waitcnt lgkmcnt(0)
	s_and_b32 s7, 1, s4
	s_lshl_b32 s4, s13, 5
	s_cmp_eq_u32 s7, 1
	s_cselect_b32 vcc_lo, -1, 0
	s_delay_alu instid0(SALU_CYCLE_1) | instskip(SKIP_2) | instid1(SALU_CYCLE_1)
	s_and_b32 s7, vcc_lo, exec_lo
	s_cselect_b32 s7, s4, s2
	s_cselect_b32 s8, s2, s4
	s_cmp_gt_i32 s7, s8
	s_cbranch_scc1 .LBB1899_17
; %bb.2:
	s_cmp_lt_i32 s6, 1
	s_cbranch_scc1 .LBB1899_17
; %bb.3:
	v_and_b32_e32 v6, 0x3ff, v0
	v_bfe_u32 v7, v0, 10, 10
	s_clause 0x2
	s_load_b128 s[20:23], s[0:1], 0x28
	s_load_b128 s[16:19], s[0:1], 0x40
	s_load_b64 s[8:9], s[0:1], 0x58
	v_add_nc_u32_e32 v0, s4, v6
	v_add_nc_u32_e32 v18, s2, v7
	s_clause 0x2
	s_load_b32 s2, s[0:1], 0x20
	s_load_b32 s4, s[0:1], 0x38
	;; [unrolled: 1-line block ×3, first 2 shown]
	v_lshlrev_b32_e32 v12, 2, v7
	v_lshlrev_b32_e32 v8, 7, v6
	v_ashrrev_i32_e32 v1, 31, v0
	v_dual_cndmask_b32 v16, v0, v18 :: v_dual_cndmask_b32 v17, v18, v0
	v_cmp_gt_i32_e32 vcc_lo, s5, v0
	s_delay_alu instid0(VALU_DEP_4) | instskip(SKIP_1) | instid1(VALU_DEP_1)
	v_add_nc_u32_e32 v11, v8, v12
	v_or_b32_e32 v12, 0x1000, v12
	v_add_nc_u32_e32 v15, v12, v8
	s_waitcnt lgkmcnt(0)
	s_mul_i32 s1, s15, s21
	s_mul_hi_u32 s13, s15, s20
	s_mul_i32 s0, s15, s20
	s_add_i32 s1, s13, s1
	v_mad_i64_i32 v[2:3], null, s2, v0, 0
	s_lshl_b64 s[0:1], s[0:1], 2
	s_mul_i32 s14, s15, s17
	s_mul_hi_u32 s17, s15, s16
	s_add_u32 s10, s10, s0
	s_mul_i32 s12, s15, s16
	s_addc_u32 s11, s11, s1
	s_add_i32 s13, s17, s14
	s_mul_i32 s9, s15, s9
	s_lshl_b64 s[0:1], s[12:13], 2
	s_mul_hi_u32 s16, s15, s8
	v_lshlrev_b64 v[2:3], 2, v[2:3]
	v_mad_i64_i32 v[4:5], null, s4, v18, 0
	s_add_u32 s12, s22, s0
	s_mul_i32 s8, s15, s8
	s_addc_u32 s13, s23, s1
	s_add_i32 s9, s16, s9
	v_add_nc_u32_e32 v20, 0x400, v12
	s_lshl_b64 s[0:1], s[8:9], 2
	v_add_nc_u32_e32 v21, 0x800, v12
	s_add_u32 s8, s18, s0
	v_add_co_u32 v9, s0, s10, v2
	s_delay_alu instid0(VALU_DEP_1)
	v_add_co_ci_u32_e64 v10, s0, s11, v3, s0
	v_lshlrev_b64 v[2:3], 2, v[4:5]
	v_mad_i64_i32 v[4:5], null, s7, v18, 0
	s_addc_u32 s9, s19, s1
	v_cmp_gt_i32_e64 s0, s5, v18
	v_add_nc_u32_e32 v22, 0xc00, v12
	s_delay_alu instid0(VALU_DEP_4) | instskip(NEXT) | instid1(VALU_DEP_1)
	v_add_co_u32 v13, s1, s12, v2
	v_add_co_ci_u32_e64 v14, s1, s13, v3, s1
	v_lshlrev_b64 v[2:3], 2, v[4:5]
	v_mad_i64_i32 v[4:5], null, s4, v0, 0
	v_cmp_le_i32_e64 s1, v17, v16
	v_mad_i64_i32 v[16:17], null, s2, v18, 0
	v_lshlrev_b64 v[0:1], 2, v[0:1]
	v_add_co_u32 v18, s2, s8, v2
	s_delay_alu instid0(VALU_DEP_1) | instskip(SKIP_1) | instid1(VALU_DEP_3)
	v_add_co_ci_u32_e64 v19, s2, s9, v3, s2
	v_lshlrev_b64 v[2:3], 2, v[4:5]
	v_add_co_u32 v0, s2, v18, v0
	v_lshlrev_b64 v[4:5], 2, v[16:17]
	s_delay_alu instid0(VALU_DEP_4) | instskip(NEXT) | instid1(VALU_DEP_4)
	v_add_co_ci_u32_e64 v1, s2, v19, v1, s2
	v_add_co_u32 v16, s2, s12, v2
	s_delay_alu instid0(VALU_DEP_1) | instskip(NEXT) | instid1(VALU_DEP_4)
	v_add_co_ci_u32_e64 v17, s2, s13, v3, s2
	v_add_co_u32 v18, s2, s10, v4
	s_delay_alu instid0(VALU_DEP_1)
	v_add_co_ci_u32_e64 v19, s2, s11, v5, s2
	s_and_b32 s5, s0, vcc_lo
	s_mov_b32 s4, 0
	s_and_b32 s2, s5, s1
	s_branch .LBB1899_5
.LBB1899_4:                             ;   in Loop: Header=BB1899_5 Depth=1
	s_or_b32 exec_lo, exec_lo, s1
	s_add_i32 s4, s4, 32
	s_waitcnt_vscnt null, 0x0
	s_cmp_lt_i32 s4, s6
	s_barrier
	buffer_gl0_inv
	s_cbranch_scc0 .LBB1899_17
.LBB1899_5:                             ; =>This Inner Loop Header: Depth=1
	v_dual_mov_b32 v23, 0 :: v_dual_add_nc_u32 v2, s4, v7
	s_delay_alu instid0(VALU_DEP_1) | instskip(SKIP_1) | instid1(VALU_DEP_2)
	v_cmp_gt_i32_e64 s1, s6, v2
	v_ashrrev_i32_e32 v3, 31, v2
	s_and_b32 s5, vcc_lo, s1
	s_delay_alu instid0(SALU_CYCLE_1)
	s_and_saveexec_b32 s7, s5
	s_cbranch_execz .LBB1899_7
; %bb.6:                                ;   in Loop: Header=BB1899_5 Depth=1
	s_delay_alu instid0(VALU_DEP_1) | instskip(NEXT) | instid1(VALU_DEP_1)
	v_lshlrev_b64 v[4:5], 2, v[2:3]
	v_add_co_u32 v4, s1, v9, v4
	s_delay_alu instid0(VALU_DEP_1)
	v_add_co_ci_u32_e64 v5, s1, v10, v5, s1
	global_load_b32 v23, v[4:5], off
.LBB1899_7:                             ;   in Loop: Header=BB1899_5 Depth=1
	s_or_b32 exec_lo, exec_lo, s7
	v_add_nc_u32_e32 v4, s4, v6
	v_mov_b32_e32 v24, 0
	s_waitcnt vmcnt(0)
	ds_store_b32 v11, v23
	v_cmp_gt_i32_e64 s1, s6, v4
	v_ashrrev_i32_e32 v5, 31, v4
	s_delay_alu instid0(VALU_DEP_2) | instskip(NEXT) | instid1(SALU_CYCLE_1)
	s_and_b32 s7, s0, s1
	s_and_saveexec_b32 s8, s7
	s_cbranch_execz .LBB1899_9
; %bb.8:                                ;   in Loop: Header=BB1899_5 Depth=1
	s_delay_alu instid0(VALU_DEP_1) | instskip(NEXT) | instid1(VALU_DEP_1)
	v_lshlrev_b64 v[23:24], 2, v[4:5]
	v_add_co_u32 v23, s1, v13, v23
	s_delay_alu instid0(VALU_DEP_1)
	v_add_co_ci_u32_e64 v24, s1, v14, v24, s1
	global_load_b32 v24, v[23:24], off
.LBB1899_9:                             ;   in Loop: Header=BB1899_5 Depth=1
	s_or_b32 exec_lo, exec_lo, s8
	s_waitcnt vmcnt(0)
	ds_store_b32 v15, v24
	s_waitcnt lgkmcnt(0)
	s_barrier
	buffer_gl0_inv
	s_and_saveexec_b32 s1, s2
	s_cbranch_execz .LBB1899_11
; %bb.10:                               ;   in Loop: Header=BB1899_5 Depth=1
	global_load_b32 v37, v[0:1], off
	ds_load_2addr_b32 v[31:32], v12 offset1:32
	ds_load_b128 v[23:26], v8
	ds_load_2addr_b32 v[33:34], v12 offset0:64 offset1:96
	ds_load_b128 v[27:30], v8 offset:16
	ds_load_2addr_b32 v[35:36], v12 offset0:128 offset1:160
	s_waitcnt lgkmcnt(3)
	v_fma_f32 v38, v23, v31, 0
	s_delay_alu instid0(VALU_DEP_1) | instskip(SKIP_3) | instid1(VALU_DEP_1)
	v_fmac_f32_e32 v38, v24, v32
	ds_load_2addr_b32 v[31:32], v12 offset0:192 offset1:224
	s_waitcnt lgkmcnt(3)
	v_fmac_f32_e32 v38, v25, v33
	v_fmac_f32_e32 v38, v26, v34
	ds_load_2addr_b32 v[33:34], v20 offset1:32
	ds_load_b128 v[23:26], v8 offset:32
	s_waitcnt lgkmcnt(3)
	v_fmac_f32_e32 v38, v27, v35
	s_delay_alu instid0(VALU_DEP_1) | instskip(SKIP_3) | instid1(VALU_DEP_1)
	v_fmac_f32_e32 v38, v28, v36
	ds_load_2addr_b32 v[35:36], v20 offset0:64 offset1:96
	s_waitcnt lgkmcnt(3)
	v_fmac_f32_e32 v38, v29, v31
	v_fmac_f32_e32 v38, v30, v32
	ds_load_b128 v[27:30], v8 offset:48
	ds_load_2addr_b32 v[31:32], v20 offset0:128 offset1:160
	s_waitcnt lgkmcnt(3)
	v_fmac_f32_e32 v38, v23, v33
	s_delay_alu instid0(VALU_DEP_1) | instskip(SKIP_3) | instid1(VALU_DEP_1)
	v_fmac_f32_e32 v38, v24, v34
	ds_load_2addr_b32 v[33:34], v20 offset0:192 offset1:224
	s_waitcnt lgkmcnt(3)
	v_fmac_f32_e32 v38, v25, v35
	v_fmac_f32_e32 v38, v26, v36
	ds_load_2addr_b32 v[35:36], v21 offset1:32
	ds_load_b128 v[23:26], v8 offset:64
	s_waitcnt lgkmcnt(3)
	v_fmac_f32_e32 v38, v27, v31
	s_delay_alu instid0(VALU_DEP_1) | instskip(SKIP_3) | instid1(VALU_DEP_1)
	v_fmac_f32_e32 v38, v28, v32
	ds_load_2addr_b32 v[31:32], v21 offset0:64 offset1:96
	s_waitcnt lgkmcnt(3)
	v_fmac_f32_e32 v38, v29, v33
	v_fmac_f32_e32 v38, v30, v34
	ds_load_b128 v[27:30], v8 offset:80
	ds_load_2addr_b32 v[33:34], v21 offset0:128 offset1:160
	s_waitcnt lgkmcnt(3)
	v_fmac_f32_e32 v38, v23, v35
	;; [unrolled: 20-line block ×3, first 2 shown]
	s_delay_alu instid0(VALU_DEP_1) | instskip(SKIP_3) | instid1(VALU_DEP_1)
	v_fmac_f32_e32 v38, v24, v32
	ds_load_2addr_b32 v[23:24], v22 offset0:192 offset1:224
	s_waitcnt lgkmcnt(3)
	v_fmac_f32_e32 v38, v25, v33
	v_fmac_f32_e32 v38, v26, v34
	s_waitcnt lgkmcnt(1)
	s_delay_alu instid0(VALU_DEP_1) | instskip(NEXT) | instid1(VALU_DEP_1)
	v_fmac_f32_e32 v38, v27, v35
	v_fmac_f32_e32 v38, v28, v36
	s_waitcnt lgkmcnt(0)
	s_delay_alu instid0(VALU_DEP_1) | instskip(NEXT) | instid1(VALU_DEP_1)
	v_fmac_f32_e32 v38, v29, v23
	v_fmac_f32_e32 v38, v30, v24
	s_waitcnt vmcnt(0)
	s_delay_alu instid0(VALU_DEP_1)
	v_fmac_f32_e32 v37, s3, v38
	global_store_b32 v[0:1], v37, off
.LBB1899_11:                            ;   in Loop: Header=BB1899_5 Depth=1
	s_or_b32 exec_lo, exec_lo, s1
	v_dual_mov_b32 v23, 0 :: v_dual_mov_b32 v24, 0
	s_waitcnt_vscnt null, 0x0
	s_barrier
	buffer_gl0_inv
	s_and_saveexec_b32 s8, s5
	s_cbranch_execz .LBB1899_13
; %bb.12:                               ;   in Loop: Header=BB1899_5 Depth=1
	v_lshlrev_b64 v[2:3], 2, v[2:3]
	s_delay_alu instid0(VALU_DEP_1) | instskip(NEXT) | instid1(VALU_DEP_1)
	v_add_co_u32 v2, s1, v16, v2
	v_add_co_ci_u32_e64 v3, s1, v17, v3, s1
	global_load_b32 v24, v[2:3], off
.LBB1899_13:                            ;   in Loop: Header=BB1899_5 Depth=1
	s_or_b32 exec_lo, exec_lo, s8
	s_waitcnt vmcnt(0)
	ds_store_b32 v11, v24
	s_and_saveexec_b32 s5, s7
	s_cbranch_execz .LBB1899_15
; %bb.14:                               ;   in Loop: Header=BB1899_5 Depth=1
	v_lshlrev_b64 v[2:3], 2, v[4:5]
	s_delay_alu instid0(VALU_DEP_1) | instskip(NEXT) | instid1(VALU_DEP_1)
	v_add_co_u32 v2, s1, v18, v2
	v_add_co_ci_u32_e64 v3, s1, v19, v3, s1
	global_load_b32 v23, v[2:3], off
.LBB1899_15:                            ;   in Loop: Header=BB1899_5 Depth=1
	s_or_b32 exec_lo, exec_lo, s5
	s_waitcnt vmcnt(0)
	ds_store_b32 v15, v23
	s_waitcnt lgkmcnt(0)
	s_barrier
	buffer_gl0_inv
	s_and_saveexec_b32 s1, s2
	s_cbranch_execz .LBB1899_4
; %bb.16:                               ;   in Loop: Header=BB1899_5 Depth=1
	global_load_b32 v33, v[0:1], off
	ds_load_2addr_b32 v[27:28], v12 offset1:32
	ds_load_b128 v[2:5], v8
	ds_load_2addr_b32 v[29:30], v12 offset0:64 offset1:96
	ds_load_b128 v[23:26], v8 offset:16
	ds_load_2addr_b32 v[31:32], v12 offset0:128 offset1:160
	s_waitcnt lgkmcnt(3)
	v_fma_f32 v34, v2, v27, 0
	s_delay_alu instid0(VALU_DEP_1) | instskip(SKIP_3) | instid1(VALU_DEP_1)
	v_fmac_f32_e32 v34, v3, v28
	ds_load_2addr_b32 v[27:28], v12 offset0:192 offset1:224
	s_waitcnt lgkmcnt(3)
	v_fmac_f32_e32 v34, v4, v29
	v_fmac_f32_e32 v34, v5, v30
	ds_load_2addr_b32 v[29:30], v20 offset1:32
	ds_load_b128 v[2:5], v8 offset:32
	s_waitcnt lgkmcnt(3)
	v_fmac_f32_e32 v34, v23, v31
	s_delay_alu instid0(VALU_DEP_1) | instskip(SKIP_3) | instid1(VALU_DEP_1)
	v_fmac_f32_e32 v34, v24, v32
	ds_load_2addr_b32 v[31:32], v20 offset0:64 offset1:96
	s_waitcnt lgkmcnt(3)
	v_fmac_f32_e32 v34, v25, v27
	v_fmac_f32_e32 v34, v26, v28
	ds_load_b128 v[23:26], v8 offset:48
	ds_load_2addr_b32 v[27:28], v20 offset0:128 offset1:160
	s_waitcnt lgkmcnt(3)
	v_fmac_f32_e32 v34, v2, v29
	s_delay_alu instid0(VALU_DEP_1) | instskip(SKIP_3) | instid1(VALU_DEP_1)
	v_fmac_f32_e32 v34, v3, v30
	ds_load_2addr_b32 v[29:30], v20 offset0:192 offset1:224
	s_waitcnt lgkmcnt(3)
	v_fmac_f32_e32 v34, v4, v31
	v_fmac_f32_e32 v34, v5, v32
	ds_load_2addr_b32 v[31:32], v21 offset1:32
	ds_load_b128 v[2:5], v8 offset:64
	s_waitcnt lgkmcnt(3)
	v_fmac_f32_e32 v34, v23, v27
	s_delay_alu instid0(VALU_DEP_1) | instskip(SKIP_3) | instid1(VALU_DEP_1)
	v_fmac_f32_e32 v34, v24, v28
	ds_load_2addr_b32 v[27:28], v21 offset0:64 offset1:96
	s_waitcnt lgkmcnt(3)
	v_fmac_f32_e32 v34, v25, v29
	v_fmac_f32_e32 v34, v26, v30
	ds_load_b128 v[23:26], v8 offset:80
	ds_load_2addr_b32 v[29:30], v21 offset0:128 offset1:160
	s_waitcnt lgkmcnt(3)
	v_fmac_f32_e32 v34, v2, v31
	;; [unrolled: 20-line block ×3, first 2 shown]
	s_delay_alu instid0(VALU_DEP_1) | instskip(SKIP_3) | instid1(VALU_DEP_1)
	v_fmac_f32_e32 v34, v3, v28
	ds_load_2addr_b32 v[2:3], v22 offset0:192 offset1:224
	s_waitcnt lgkmcnt(3)
	v_fmac_f32_e32 v34, v4, v29
	v_fmac_f32_e32 v34, v5, v30
	s_waitcnt lgkmcnt(1)
	s_delay_alu instid0(VALU_DEP_1) | instskip(NEXT) | instid1(VALU_DEP_1)
	v_fmac_f32_e32 v34, v23, v31
	v_fmac_f32_e32 v34, v24, v32
	s_waitcnt lgkmcnt(0)
	s_delay_alu instid0(VALU_DEP_1) | instskip(NEXT) | instid1(VALU_DEP_1)
	v_fmac_f32_e32 v34, v25, v2
	v_fmac_f32_e32 v34, v26, v3
	s_waitcnt vmcnt(0)
	s_delay_alu instid0(VALU_DEP_1)
	v_fmac_f32_e32 v33, s3, v34
	global_store_b32 v[0:1], v33, off
	s_branch .LBB1899_4
.LBB1899_17:
	s_endpgm
	.section	.rodata,"a",@progbits
	.p2align	6, 0x0
	.amdhsa_kernel _ZL26rocblas_syr2k_her2k_kernelIiLb1ELb0ELb1ELi32EPKfS1_PfEvbiT_T4_T5_S3_lS5_S3_lT6_S3_li
		.amdhsa_group_segment_fixed_size 8192
		.amdhsa_private_segment_fixed_size 0
		.amdhsa_kernarg_size 100
		.amdhsa_user_sgpr_count 13
		.amdhsa_user_sgpr_dispatch_ptr 0
		.amdhsa_user_sgpr_queue_ptr 0
		.amdhsa_user_sgpr_kernarg_segment_ptr 1
		.amdhsa_user_sgpr_dispatch_id 0
		.amdhsa_user_sgpr_private_segment_size 0
		.amdhsa_wavefront_size32 1
		.amdhsa_uses_dynamic_stack 0
		.amdhsa_enable_private_segment 0
		.amdhsa_system_sgpr_workgroup_id_x 1
		.amdhsa_system_sgpr_workgroup_id_y 1
		.amdhsa_system_sgpr_workgroup_id_z 1
		.amdhsa_system_sgpr_workgroup_info 0
		.amdhsa_system_vgpr_workitem_id 1
		.amdhsa_next_free_vgpr 39
		.amdhsa_next_free_sgpr 24
		.amdhsa_reserve_vcc 1
		.amdhsa_float_round_mode_32 0
		.amdhsa_float_round_mode_16_64 0
		.amdhsa_float_denorm_mode_32 3
		.amdhsa_float_denorm_mode_16_64 3
		.amdhsa_dx10_clamp 1
		.amdhsa_ieee_mode 1
		.amdhsa_fp16_overflow 0
		.amdhsa_workgroup_processor_mode 1
		.amdhsa_memory_ordered 1
		.amdhsa_forward_progress 0
		.amdhsa_shared_vgpr_count 0
		.amdhsa_exception_fp_ieee_invalid_op 0
		.amdhsa_exception_fp_denorm_src 0
		.amdhsa_exception_fp_ieee_div_zero 0
		.amdhsa_exception_fp_ieee_overflow 0
		.amdhsa_exception_fp_ieee_underflow 0
		.amdhsa_exception_fp_ieee_inexact 0
		.amdhsa_exception_int_div_zero 0
	.end_amdhsa_kernel
	.section	.text._ZL26rocblas_syr2k_her2k_kernelIiLb1ELb0ELb1ELi32EPKfS1_PfEvbiT_T4_T5_S3_lS5_S3_lT6_S3_li,"axG",@progbits,_ZL26rocblas_syr2k_her2k_kernelIiLb1ELb0ELb1ELi32EPKfS1_PfEvbiT_T4_T5_S3_lS5_S3_lT6_S3_li,comdat
.Lfunc_end1899:
	.size	_ZL26rocblas_syr2k_her2k_kernelIiLb1ELb0ELb1ELi32EPKfS1_PfEvbiT_T4_T5_S3_lS5_S3_lT6_S3_li, .Lfunc_end1899-_ZL26rocblas_syr2k_her2k_kernelIiLb1ELb0ELb1ELi32EPKfS1_PfEvbiT_T4_T5_S3_lS5_S3_lT6_S3_li
                                        ; -- End function
	.section	.AMDGPU.csdata,"",@progbits
; Kernel info:
; codeLenInByte = 1912
; NumSgprs: 26
; NumVgprs: 39
; ScratchSize: 0
; MemoryBound: 0
; FloatMode: 240
; IeeeMode: 1
; LDSByteSize: 8192 bytes/workgroup (compile time only)
; SGPRBlocks: 3
; VGPRBlocks: 4
; NumSGPRsForWavesPerEU: 26
; NumVGPRsForWavesPerEU: 39
; Occupancy: 16
; WaveLimiterHint : 0
; COMPUTE_PGM_RSRC2:SCRATCH_EN: 0
; COMPUTE_PGM_RSRC2:USER_SGPR: 13
; COMPUTE_PGM_RSRC2:TRAP_HANDLER: 0
; COMPUTE_PGM_RSRC2:TGID_X_EN: 1
; COMPUTE_PGM_RSRC2:TGID_Y_EN: 1
; COMPUTE_PGM_RSRC2:TGID_Z_EN: 1
; COMPUTE_PGM_RSRC2:TIDIG_COMP_CNT: 1
	.section	.text._ZL26rocblas_syr2k_her2k_kernelIiLb1ELb0ELb0ELi32EdPKdPdEvbiT_T4_T5_S3_lS5_S3_lT6_S3_li,"axG",@progbits,_ZL26rocblas_syr2k_her2k_kernelIiLb1ELb0ELb0ELi32EdPKdPdEvbiT_T4_T5_S3_lS5_S3_lT6_S3_li,comdat
	.globl	_ZL26rocblas_syr2k_her2k_kernelIiLb1ELb0ELb0ELi32EdPKdPdEvbiT_T4_T5_S3_lS5_S3_lT6_S3_li ; -- Begin function _ZL26rocblas_syr2k_her2k_kernelIiLb1ELb0ELb0ELi32EdPKdPdEvbiT_T4_T5_S3_lS5_S3_lT6_S3_li
	.p2align	8
	.type	_ZL26rocblas_syr2k_her2k_kernelIiLb1ELb0ELb0ELi32EdPKdPdEvbiT_T4_T5_S3_lS5_S3_lT6_S3_li,@function
_ZL26rocblas_syr2k_her2k_kernelIiLb1ELb0ELb0ELi32EdPKdPdEvbiT_T4_T5_S3_lS5_S3_lT6_S3_li: ; @_ZL26rocblas_syr2k_her2k_kernelIiLb1ELb0ELb0ELi32EdPKdPdEvbiT_T4_T5_S3_lS5_S3_lT6_S3_li
; %bb.0:
	s_load_b128 s[4:7], s[0:1], 0x10
	s_waitcnt lgkmcnt(0)
	v_cmp_eq_f64_e64 s2, s[4:5], 0
	s_delay_alu instid0(VALU_DEP_1)
	s_and_b32 vcc_lo, exec_lo, s2
	s_cbranch_vccnz .LBB1900_17
; %bb.1:
	s_load_b128 s[8:11], s[0:1], 0x0
	s_lshl_b32 s2, s14, 5
	s_waitcnt lgkmcnt(0)
	s_and_b32 s3, 1, s8
	s_lshl_b32 s8, s13, 5
	s_cmp_eq_u32 s3, 1
	s_cselect_b32 vcc_lo, -1, 0
	s_delay_alu instid0(SALU_CYCLE_1) | instskip(SKIP_2) | instid1(SALU_CYCLE_1)
	s_and_b32 s3, vcc_lo, exec_lo
	s_cselect_b32 s3, s8, s2
	s_cselect_b32 s11, s2, s8
	s_cmp_gt_i32 s3, s11
	s_cbranch_scc1 .LBB1900_17
; %bb.2:
	s_cmp_lt_i32 s10, 1
	s_cbranch_scc1 .LBB1900_17
; %bb.3:
	s_clause 0x1
	s_load_b128 s[20:23], s[0:1], 0x28
	s_load_b128 s[16:19], s[0:1], 0x40
	v_bfe_u32 v6, v0, 10, 10
	v_and_b32_e32 v7, 0x3ff, v0
	s_clause 0x1
	s_load_b64 s[12:13], s[0:1], 0x58
	s_load_b32 s3, s[0:1], 0x20
	v_add_nc_u32_e32 v0, s2, v6
	v_add_nc_u32_e32 v1, s8, v7
	s_clause 0x1
	s_load_b32 s8, s[0:1], 0x38
	s_load_b32 s2, s[0:1], 0x50
	v_lshlrev_b32_e32 v12, 3, v6
	v_dual_cndmask_b32 v17, v0, v1 :: v_dual_lshlrev_b32 v8, 8, v7
	v_ashrrev_i32_e32 v2, 31, v1
	v_cndmask_b32_e32 v16, v1, v0, vcc_lo
	v_cmp_gt_i32_e32 vcc_lo, s9, v1
	s_delay_alu instid0(VALU_DEP_4)
	v_add_nc_u32_e32 v11, v8, v12
	v_or_b32_e32 v12, 0x2000, v12
	v_lshlrev_b64 v[2:3], 3, v[1:2]
	s_waitcnt lgkmcnt(0)
	s_mul_i32 s1, s15, s21
	s_mul_hi_u32 s11, s15, s20
	s_mul_i32 s0, s15, s20
	s_add_i32 s1, s11, s1
	s_mul_i32 s14, s15, s17
	s_lshl_b64 s[0:1], s[0:1], 3
	s_mul_hi_u32 s17, s15, s16
	s_mul_i32 s11, s15, s13
	s_add_u32 s13, s6, s0
	s_mul_i32 s16, s15, s16
	s_addc_u32 s20, s7, s1
	s_add_i32 s17, s17, s14
	s_mul_hi_u32 s7, s15, s12
	s_lshl_b64 s[0:1], s[16:17], 3
	s_mul_i32 s6, s15, s12
	s_add_u32 s12, s22, s0
	v_mad_i64_i32 v[4:5], null, s2, v0, 0
	s_addc_u32 s14, s23, s1
	s_add_i32 s7, s7, s11
	v_ashrrev_i32_e32 v1, 31, v0
	s_lshl_b64 s[0:1], s[6:7], 3
	v_add_nc_u32_e32 v15, v12, v8
	s_add_u32 s6, s18, s0
	v_add_co_u32 v9, s0, s13, v2
	s_delay_alu instid0(VALU_DEP_1)
	v_add_co_ci_u32_e64 v10, s0, s20, v3, s0
	v_lshlrev_b64 v[18:19], 3, v[0:1]
	v_cmp_gt_i32_e64 s0, s9, v0
	v_lshlrev_b64 v[0:1], 3, v[4:5]
	s_addc_u32 s7, s19, s1
	v_add_nc_u32_e32 v20, 0x800, v12
	v_add_nc_u32_e32 v21, 0x1000, v12
	v_add_co_u32 v13, s1, s12, v18
	s_delay_alu instid0(VALU_DEP_4) | instskip(NEXT) | instid1(VALU_DEP_1)
	v_add_co_u32 v0, s2, s6, v0
	v_add_co_ci_u32_e64 v1, s2, s7, v1, s2
	v_add_co_ci_u32_e64 v14, s1, s14, v19, s1
	s_delay_alu instid0(VALU_DEP_3) | instskip(NEXT) | instid1(VALU_DEP_1)
	v_add_co_u32 v0, s2, v0, v2
	v_add_co_ci_u32_e64 v1, s2, v1, v3, s2
	v_cmp_le_i32_e64 s1, v17, v16
	v_add_co_u32 v16, s2, s12, v2
	s_delay_alu instid0(VALU_DEP_1) | instskip(SKIP_1) | instid1(VALU_DEP_1)
	v_add_co_ci_u32_e64 v17, s2, s14, v3, s2
	v_add_co_u32 v18, s2, s13, v18
	v_add_co_ci_u32_e64 v19, s2, s20, v19, s2
	v_add_nc_u32_e32 v22, 0x1800, v12
	s_and_b32 s6, s0, vcc_lo
	s_delay_alu instid0(SALU_CYCLE_1)
	s_and_b32 s2, s6, s1
	s_mov_b32 s6, 0
	s_branch .LBB1900_5
.LBB1900_4:                             ;   in Loop: Header=BB1900_5 Depth=1
	s_or_b32 exec_lo, exec_lo, s1
	s_add_i32 s6, s6, 32
	s_waitcnt_vscnt null, 0x0
	s_cmp_lt_i32 s6, s10
	s_barrier
	buffer_gl0_inv
	s_cbranch_scc0 .LBB1900_17
.LBB1900_5:                             ; =>This Inner Loop Header: Depth=1
	v_dual_mov_b32 v2, 0 :: v_dual_add_nc_u32 v23, s6, v6
	v_mov_b32_e32 v3, 0
	s_delay_alu instid0(VALU_DEP_2) | instskip(NEXT) | instid1(VALU_DEP_2)
	v_cmp_gt_i32_e64 s1, s10, v23
	v_dual_mov_b32 v5, v3 :: v_dual_mov_b32 v4, v2
	s_delay_alu instid0(VALU_DEP_2) | instskip(NEXT) | instid1(SALU_CYCLE_1)
	s_and_b32 s7, vcc_lo, s1
	s_and_saveexec_b32 s9, s7
	s_cbranch_execz .LBB1900_7
; %bb.6:                                ;   in Loop: Header=BB1900_5 Depth=1
	v_mad_i64_i32 v[4:5], null, v23, s3, 0
	s_delay_alu instid0(VALU_DEP_1) | instskip(NEXT) | instid1(VALU_DEP_1)
	v_lshlrev_b64 v[4:5], 3, v[4:5]
	v_add_co_u32 v4, s1, v9, v4
	s_delay_alu instid0(VALU_DEP_1)
	v_add_co_ci_u32_e64 v5, s1, v10, v5, s1
	global_load_b64 v[4:5], v[4:5], off
.LBB1900_7:                             ;   in Loop: Header=BB1900_5 Depth=1
	s_or_b32 exec_lo, exec_lo, s9
	v_add_nc_u32_e32 v24, s6, v7
	s_waitcnt vmcnt(0)
	ds_store_b64 v11, v[4:5]
	v_cmp_gt_i32_e64 s1, s10, v24
	s_delay_alu instid0(VALU_DEP_1) | instskip(NEXT) | instid1(SALU_CYCLE_1)
	s_and_b32 s9, s0, s1
	s_and_saveexec_b32 s11, s9
	s_cbranch_execz .LBB1900_9
; %bb.8:                                ;   in Loop: Header=BB1900_5 Depth=1
	v_mad_i64_i32 v[2:3], null, v24, s8, 0
	s_delay_alu instid0(VALU_DEP_1) | instskip(NEXT) | instid1(VALU_DEP_1)
	v_lshlrev_b64 v[2:3], 3, v[2:3]
	v_add_co_u32 v2, s1, v13, v2
	s_delay_alu instid0(VALU_DEP_1)
	v_add_co_ci_u32_e64 v3, s1, v14, v3, s1
	global_load_b64 v[2:3], v[2:3], off
.LBB1900_9:                             ;   in Loop: Header=BB1900_5 Depth=1
	s_or_b32 exec_lo, exec_lo, s11
	s_waitcnt vmcnt(0)
	ds_store_b64 v15, v[2:3]
	s_waitcnt lgkmcnt(0)
	s_barrier
	buffer_gl0_inv
	s_and_saveexec_b32 s1, s2
	s_cbranch_execz .LBB1900_11
; %bb.10:                               ;   in Loop: Header=BB1900_5 Depth=1
	ds_load_2addr_b64 v[2:5], v12 offset1:32
	ds_load_b128 v[25:28], v8
	ds_load_b128 v[29:32], v8 offset:16
	s_waitcnt lgkmcnt(1)
	v_fma_f64 v[2:3], v[25:26], v[2:3], 0
	s_delay_alu instid0(VALU_DEP_1) | instskip(SKIP_3) | instid1(VALU_DEP_1)
	v_fma_f64 v[25:26], v[27:28], v[4:5], v[2:3]
	ds_load_2addr_b64 v[2:5], v12 offset0:64 offset1:96
	s_waitcnt lgkmcnt(0)
	v_fma_f64 v[2:3], v[29:30], v[2:3], v[25:26]
	v_fma_f64 v[33:34], v[31:32], v[4:5], v[2:3]
	ds_load_2addr_b64 v[2:5], v12 offset0:128 offset1:160
	ds_load_b128 v[25:28], v8 offset:32
	ds_load_b128 v[29:32], v8 offset:48
	s_waitcnt lgkmcnt(1)
	v_fma_f64 v[2:3], v[25:26], v[2:3], v[33:34]
	s_delay_alu instid0(VALU_DEP_1) | instskip(SKIP_3) | instid1(VALU_DEP_1)
	v_fma_f64 v[25:26], v[27:28], v[4:5], v[2:3]
	ds_load_2addr_b64 v[2:5], v12 offset0:192 offset1:224
	s_waitcnt lgkmcnt(0)
	v_fma_f64 v[2:3], v[29:30], v[2:3], v[25:26]
	v_fma_f64 v[33:34], v[31:32], v[4:5], v[2:3]
	ds_load_2addr_b64 v[2:5], v20 offset1:32
	ds_load_b128 v[25:28], v8 offset:64
	ds_load_b128 v[29:32], v8 offset:80
	s_waitcnt lgkmcnt(1)
	v_fma_f64 v[2:3], v[25:26], v[2:3], v[33:34]
	s_delay_alu instid0(VALU_DEP_1) | instskip(SKIP_3) | instid1(VALU_DEP_1)
	v_fma_f64 v[25:26], v[27:28], v[4:5], v[2:3]
	ds_load_2addr_b64 v[2:5], v20 offset0:64 offset1:96
	s_waitcnt lgkmcnt(0)
	v_fma_f64 v[2:3], v[29:30], v[2:3], v[25:26]
	v_fma_f64 v[33:34], v[31:32], v[4:5], v[2:3]
	ds_load_2addr_b64 v[2:5], v20 offset0:128 offset1:160
	ds_load_b128 v[25:28], v8 offset:96
	ds_load_b128 v[29:32], v8 offset:112
	s_waitcnt lgkmcnt(1)
	v_fma_f64 v[2:3], v[25:26], v[2:3], v[33:34]
	s_delay_alu instid0(VALU_DEP_1) | instskip(SKIP_3) | instid1(VALU_DEP_1)
	v_fma_f64 v[25:26], v[27:28], v[4:5], v[2:3]
	ds_load_2addr_b64 v[2:5], v20 offset0:192 offset1:224
	s_waitcnt lgkmcnt(0)
	v_fma_f64 v[2:3], v[29:30], v[2:3], v[25:26]
	v_fma_f64 v[33:34], v[31:32], v[4:5], v[2:3]
	ds_load_2addr_b64 v[2:5], v21 offset1:32
	ds_load_b128 v[25:28], v8 offset:128
	;; [unrolled: 22-line block ×3, first 2 shown]
	global_load_b64 v[35:36], v[0:1], off
	ds_load_b128 v[29:32], v8 offset:208
	s_waitcnt lgkmcnt(1)
	v_fma_f64 v[2:3], v[25:26], v[2:3], v[33:34]
	s_delay_alu instid0(VALU_DEP_1) | instskip(SKIP_3) | instid1(VALU_DEP_1)
	v_fma_f64 v[25:26], v[27:28], v[4:5], v[2:3]
	ds_load_2addr_b64 v[2:5], v22 offset0:64 offset1:96
	s_waitcnt lgkmcnt(0)
	v_fma_f64 v[2:3], v[29:30], v[2:3], v[25:26]
	v_fma_f64 v[33:34], v[31:32], v[4:5], v[2:3]
	ds_load_2addr_b64 v[2:5], v22 offset0:128 offset1:160
	ds_load_b128 v[25:28], v8 offset:224
	ds_load_b128 v[29:32], v8 offset:240
	s_waitcnt lgkmcnt(1)
	v_fma_f64 v[2:3], v[25:26], v[2:3], v[33:34]
	s_delay_alu instid0(VALU_DEP_1) | instskip(SKIP_3) | instid1(VALU_DEP_1)
	v_fma_f64 v[25:26], v[27:28], v[4:5], v[2:3]
	ds_load_2addr_b64 v[2:5], v22 offset0:192 offset1:224
	s_waitcnt lgkmcnt(0)
	v_fma_f64 v[2:3], v[29:30], v[2:3], v[25:26]
	v_fma_f64 v[2:3], v[31:32], v[4:5], v[2:3]
	s_waitcnt vmcnt(0)
	s_delay_alu instid0(VALU_DEP_1)
	v_fma_f64 v[2:3], v[2:3], s[4:5], v[35:36]
	global_store_b64 v[0:1], v[2:3], off
.LBB1900_11:                            ;   in Loop: Header=BB1900_5 Depth=1
	s_or_b32 exec_lo, exec_lo, s1
	v_mov_b32_e32 v2, 0
	v_mov_b32_e32 v3, 0
	s_waitcnt_vscnt null, 0x0
	s_barrier
	buffer_gl0_inv
	v_dual_mov_b32 v5, v3 :: v_dual_mov_b32 v4, v2
	s_and_saveexec_b32 s11, s7
	s_cbranch_execz .LBB1900_13
; %bb.12:                               ;   in Loop: Header=BB1900_5 Depth=1
	v_mad_i64_i32 v[4:5], null, v23, s8, 0
	s_delay_alu instid0(VALU_DEP_1) | instskip(NEXT) | instid1(VALU_DEP_1)
	v_lshlrev_b64 v[4:5], 3, v[4:5]
	v_add_co_u32 v4, s1, v16, v4
	s_delay_alu instid0(VALU_DEP_1)
	v_add_co_ci_u32_e64 v5, s1, v17, v5, s1
	global_load_b64 v[4:5], v[4:5], off
.LBB1900_13:                            ;   in Loop: Header=BB1900_5 Depth=1
	s_or_b32 exec_lo, exec_lo, s11
	s_waitcnt vmcnt(0)
	ds_store_b64 v11, v[4:5]
	s_and_saveexec_b32 s7, s9
	s_cbranch_execz .LBB1900_15
; %bb.14:                               ;   in Loop: Header=BB1900_5 Depth=1
	v_mad_i64_i32 v[2:3], null, v24, s3, 0
	s_delay_alu instid0(VALU_DEP_1) | instskip(NEXT) | instid1(VALU_DEP_1)
	v_lshlrev_b64 v[2:3], 3, v[2:3]
	v_add_co_u32 v2, s1, v18, v2
	s_delay_alu instid0(VALU_DEP_1)
	v_add_co_ci_u32_e64 v3, s1, v19, v3, s1
	global_load_b64 v[2:3], v[2:3], off
.LBB1900_15:                            ;   in Loop: Header=BB1900_5 Depth=1
	s_or_b32 exec_lo, exec_lo, s7
	s_waitcnt vmcnt(0)
	ds_store_b64 v15, v[2:3]
	s_waitcnt lgkmcnt(0)
	s_barrier
	buffer_gl0_inv
	s_and_saveexec_b32 s1, s2
	s_cbranch_execz .LBB1900_4
; %bb.16:                               ;   in Loop: Header=BB1900_5 Depth=1
	ds_load_2addr_b64 v[2:5], v12 offset1:32
	ds_load_b128 v[23:26], v8
	ds_load_b128 v[27:30], v8 offset:16
	s_waitcnt lgkmcnt(1)
	v_fma_f64 v[2:3], v[23:24], v[2:3], 0
	s_delay_alu instid0(VALU_DEP_1) | instskip(SKIP_3) | instid1(VALU_DEP_1)
	v_fma_f64 v[23:24], v[25:26], v[4:5], v[2:3]
	ds_load_2addr_b64 v[2:5], v12 offset0:64 offset1:96
	s_waitcnt lgkmcnt(0)
	v_fma_f64 v[2:3], v[27:28], v[2:3], v[23:24]
	v_fma_f64 v[31:32], v[29:30], v[4:5], v[2:3]
	ds_load_2addr_b64 v[2:5], v12 offset0:128 offset1:160
	ds_load_b128 v[23:26], v8 offset:32
	ds_load_b128 v[27:30], v8 offset:48
	s_waitcnt lgkmcnt(1)
	v_fma_f64 v[2:3], v[23:24], v[2:3], v[31:32]
	s_delay_alu instid0(VALU_DEP_1) | instskip(SKIP_3) | instid1(VALU_DEP_1)
	v_fma_f64 v[23:24], v[25:26], v[4:5], v[2:3]
	ds_load_2addr_b64 v[2:5], v12 offset0:192 offset1:224
	s_waitcnt lgkmcnt(0)
	v_fma_f64 v[2:3], v[27:28], v[2:3], v[23:24]
	v_fma_f64 v[31:32], v[29:30], v[4:5], v[2:3]
	ds_load_2addr_b64 v[2:5], v20 offset1:32
	ds_load_b128 v[23:26], v8 offset:64
	ds_load_b128 v[27:30], v8 offset:80
	s_waitcnt lgkmcnt(1)
	v_fma_f64 v[2:3], v[23:24], v[2:3], v[31:32]
	s_delay_alu instid0(VALU_DEP_1) | instskip(SKIP_3) | instid1(VALU_DEP_1)
	v_fma_f64 v[23:24], v[25:26], v[4:5], v[2:3]
	ds_load_2addr_b64 v[2:5], v20 offset0:64 offset1:96
	s_waitcnt lgkmcnt(0)
	v_fma_f64 v[2:3], v[27:28], v[2:3], v[23:24]
	v_fma_f64 v[31:32], v[29:30], v[4:5], v[2:3]
	ds_load_2addr_b64 v[2:5], v20 offset0:128 offset1:160
	ds_load_b128 v[23:26], v8 offset:96
	ds_load_b128 v[27:30], v8 offset:112
	s_waitcnt lgkmcnt(1)
	v_fma_f64 v[2:3], v[23:24], v[2:3], v[31:32]
	s_delay_alu instid0(VALU_DEP_1) | instskip(SKIP_3) | instid1(VALU_DEP_1)
	v_fma_f64 v[23:24], v[25:26], v[4:5], v[2:3]
	ds_load_2addr_b64 v[2:5], v20 offset0:192 offset1:224
	s_waitcnt lgkmcnt(0)
	v_fma_f64 v[2:3], v[27:28], v[2:3], v[23:24]
	v_fma_f64 v[31:32], v[29:30], v[4:5], v[2:3]
	ds_load_2addr_b64 v[2:5], v21 offset1:32
	ds_load_b128 v[23:26], v8 offset:128
	;; [unrolled: 22-line block ×3, first 2 shown]
	global_load_b64 v[33:34], v[0:1], off
	ds_load_b128 v[27:30], v8 offset:208
	s_waitcnt lgkmcnt(1)
	v_fma_f64 v[2:3], v[23:24], v[2:3], v[31:32]
	s_delay_alu instid0(VALU_DEP_1) | instskip(SKIP_3) | instid1(VALU_DEP_1)
	v_fma_f64 v[23:24], v[25:26], v[4:5], v[2:3]
	ds_load_2addr_b64 v[2:5], v22 offset0:64 offset1:96
	s_waitcnt lgkmcnt(0)
	v_fma_f64 v[2:3], v[27:28], v[2:3], v[23:24]
	v_fma_f64 v[31:32], v[29:30], v[4:5], v[2:3]
	ds_load_2addr_b64 v[2:5], v22 offset0:128 offset1:160
	ds_load_b128 v[23:26], v8 offset:224
	ds_load_b128 v[27:30], v8 offset:240
	s_waitcnt lgkmcnt(1)
	v_fma_f64 v[2:3], v[23:24], v[2:3], v[31:32]
	s_delay_alu instid0(VALU_DEP_1) | instskip(SKIP_3) | instid1(VALU_DEP_1)
	v_fma_f64 v[23:24], v[25:26], v[4:5], v[2:3]
	ds_load_2addr_b64 v[2:5], v22 offset0:192 offset1:224
	s_waitcnt lgkmcnt(0)
	v_fma_f64 v[2:3], v[27:28], v[2:3], v[23:24]
	v_fma_f64 v[2:3], v[29:30], v[4:5], v[2:3]
	s_waitcnt vmcnt(0)
	s_delay_alu instid0(VALU_DEP_1)
	v_fma_f64 v[2:3], v[2:3], s[4:5], v[33:34]
	global_store_b64 v[0:1], v[2:3], off
	s_branch .LBB1900_4
.LBB1900_17:
	s_endpgm
	.section	.rodata,"a",@progbits
	.p2align	6, 0x0
	.amdhsa_kernel _ZL26rocblas_syr2k_her2k_kernelIiLb1ELb0ELb0ELi32EdPKdPdEvbiT_T4_T5_S3_lS5_S3_lT6_S3_li
		.amdhsa_group_segment_fixed_size 16384
		.amdhsa_private_segment_fixed_size 0
		.amdhsa_kernarg_size 100
		.amdhsa_user_sgpr_count 13
		.amdhsa_user_sgpr_dispatch_ptr 0
		.amdhsa_user_sgpr_queue_ptr 0
		.amdhsa_user_sgpr_kernarg_segment_ptr 1
		.amdhsa_user_sgpr_dispatch_id 0
		.amdhsa_user_sgpr_private_segment_size 0
		.amdhsa_wavefront_size32 1
		.amdhsa_uses_dynamic_stack 0
		.amdhsa_enable_private_segment 0
		.amdhsa_system_sgpr_workgroup_id_x 1
		.amdhsa_system_sgpr_workgroup_id_y 1
		.amdhsa_system_sgpr_workgroup_id_z 1
		.amdhsa_system_sgpr_workgroup_info 0
		.amdhsa_system_vgpr_workitem_id 1
		.amdhsa_next_free_vgpr 37
		.amdhsa_next_free_sgpr 24
		.amdhsa_reserve_vcc 1
		.amdhsa_float_round_mode_32 0
		.amdhsa_float_round_mode_16_64 0
		.amdhsa_float_denorm_mode_32 3
		.amdhsa_float_denorm_mode_16_64 3
		.amdhsa_dx10_clamp 1
		.amdhsa_ieee_mode 1
		.amdhsa_fp16_overflow 0
		.amdhsa_workgroup_processor_mode 1
		.amdhsa_memory_ordered 1
		.amdhsa_forward_progress 0
		.amdhsa_shared_vgpr_count 0
		.amdhsa_exception_fp_ieee_invalid_op 0
		.amdhsa_exception_fp_denorm_src 0
		.amdhsa_exception_fp_ieee_div_zero 0
		.amdhsa_exception_fp_ieee_overflow 0
		.amdhsa_exception_fp_ieee_underflow 0
		.amdhsa_exception_fp_ieee_inexact 0
		.amdhsa_exception_int_div_zero 0
	.end_amdhsa_kernel
	.section	.text._ZL26rocblas_syr2k_her2k_kernelIiLb1ELb0ELb0ELi32EdPKdPdEvbiT_T4_T5_S3_lS5_S3_lT6_S3_li,"axG",@progbits,_ZL26rocblas_syr2k_her2k_kernelIiLb1ELb0ELb0ELi32EdPKdPdEvbiT_T4_T5_S3_lS5_S3_lT6_S3_li,comdat
.Lfunc_end1900:
	.size	_ZL26rocblas_syr2k_her2k_kernelIiLb1ELb0ELb0ELi32EdPKdPdEvbiT_T4_T5_S3_lS5_S3_lT6_S3_li, .Lfunc_end1900-_ZL26rocblas_syr2k_her2k_kernelIiLb1ELb0ELb0ELi32EdPKdPdEvbiT_T4_T5_S3_lS5_S3_lT6_S3_li
                                        ; -- End function
	.section	.AMDGPU.csdata,"",@progbits
; Kernel info:
; codeLenInByte = 2272
; NumSgprs: 26
; NumVgprs: 37
; ScratchSize: 0
; MemoryBound: 0
; FloatMode: 240
; IeeeMode: 1
; LDSByteSize: 16384 bytes/workgroup (compile time only)
; SGPRBlocks: 3
; VGPRBlocks: 4
; NumSGPRsForWavesPerEU: 26
; NumVGPRsForWavesPerEU: 37
; Occupancy: 16
; WaveLimiterHint : 0
; COMPUTE_PGM_RSRC2:SCRATCH_EN: 0
; COMPUTE_PGM_RSRC2:USER_SGPR: 13
; COMPUTE_PGM_RSRC2:TRAP_HANDLER: 0
; COMPUTE_PGM_RSRC2:TGID_X_EN: 1
; COMPUTE_PGM_RSRC2:TGID_Y_EN: 1
; COMPUTE_PGM_RSRC2:TGID_Z_EN: 1
; COMPUTE_PGM_RSRC2:TIDIG_COMP_CNT: 1
	.section	.text._ZL26rocblas_syr2k_her2k_kernelIiLb1ELb0ELb1ELi32EdPKdPdEvbiT_T4_T5_S3_lS5_S3_lT6_S3_li,"axG",@progbits,_ZL26rocblas_syr2k_her2k_kernelIiLb1ELb0ELb1ELi32EdPKdPdEvbiT_T4_T5_S3_lS5_S3_lT6_S3_li,comdat
	.globl	_ZL26rocblas_syr2k_her2k_kernelIiLb1ELb0ELb1ELi32EdPKdPdEvbiT_T4_T5_S3_lS5_S3_lT6_S3_li ; -- Begin function _ZL26rocblas_syr2k_her2k_kernelIiLb1ELb0ELb1ELi32EdPKdPdEvbiT_T4_T5_S3_lS5_S3_lT6_S3_li
	.p2align	8
	.type	_ZL26rocblas_syr2k_her2k_kernelIiLb1ELb0ELb1ELi32EdPKdPdEvbiT_T4_T5_S3_lS5_S3_lT6_S3_li,@function
_ZL26rocblas_syr2k_her2k_kernelIiLb1ELb0ELb1ELi32EdPKdPdEvbiT_T4_T5_S3_lS5_S3_lT6_S3_li: ; @_ZL26rocblas_syr2k_her2k_kernelIiLb1ELb0ELb1ELi32EdPKdPdEvbiT_T4_T5_S3_lS5_S3_lT6_S3_li
; %bb.0:
	s_load_b128 s[4:7], s[0:1], 0x10
	s_waitcnt lgkmcnt(0)
	v_cmp_eq_f64_e64 s2, s[4:5], 0
	s_delay_alu instid0(VALU_DEP_1)
	s_and_b32 vcc_lo, exec_lo, s2
	s_cbranch_vccnz .LBB1901_17
; %bb.1:
	s_load_b128 s[8:11], s[0:1], 0x0
	s_lshl_b32 s2, s14, 5
	s_lshl_b32 s3, s13, 5
	s_waitcnt lgkmcnt(0)
	s_and_b32 s8, 1, s8
	s_delay_alu instid0(SALU_CYCLE_1) | instskip(SKIP_1) | instid1(SALU_CYCLE_1)
	s_cmp_eq_u32 s8, 1
	s_cselect_b32 vcc_lo, -1, 0
	s_and_b32 s8, vcc_lo, exec_lo
	s_cselect_b32 s8, s3, s2
	s_cselect_b32 s11, s2, s3
	s_delay_alu instid0(SALU_CYCLE_1)
	s_cmp_gt_i32 s8, s11
	s_cbranch_scc1 .LBB1901_17
; %bb.2:
	s_cmp_lt_i32 s10, 1
	s_cbranch_scc1 .LBB1901_17
; %bb.3:
	s_clause 0x5
	s_load_b128 s[20:23], s[0:1], 0x28
	s_load_b128 s[16:19], s[0:1], 0x40
	s_load_b32 s8, s[0:1], 0x20
	s_load_b32 s11, s[0:1], 0x38
	;; [unrolled: 1-line block ×3, first 2 shown]
	s_load_b64 s[12:13], s[0:1], 0x58
	v_and_b32_e32 v10, 0x3ff, v0
	v_bfe_u32 v11, v0, 10, 10
	s_delay_alu instid0(VALU_DEP_2) | instskip(NEXT) | instid1(VALU_DEP_2)
	v_add_nc_u32_e32 v0, s3, v10
	v_add_nc_u32_e32 v8, s2, v11
	v_lshlrev_b32_e32 v9, 3, v11
	v_lshlrev_b32_e32 v12, 8, v10
	s_delay_alu instid0(VALU_DEP_4) | instskip(NEXT) | instid1(VALU_DEP_4)
	v_ashrrev_i32_e32 v1, 31, v0
	v_cndmask_b32_e32 v6, v0, v8, vcc_lo
	v_cndmask_b32_e32 v7, v8, v0, vcc_lo
	v_cmp_gt_i32_e32 vcc_lo, s9, v0
	v_add_nc_u32_e32 v15, v12, v9
	v_or_b32_e32 v16, 0x2000, v9
	s_waitcnt lgkmcnt(0)
	s_mul_i32 s1, s15, s21
	s_mul_hi_u32 s3, s15, s20
	s_mul_i32 s0, s15, s20
	s_add_i32 s1, s3, s1
	v_mad_i64_i32 v[2:3], null, s8, v0, 0
	s_lshl_b64 s[0:1], s[0:1], 3
	s_mul_i32 s17, s15, s17
	s_mul_hi_u32 s20, s15, s16
	s_add_u32 s6, s6, s0
	s_mul_i32 s2, s15, s16
	s_addc_u32 s7, s7, s1
	s_add_i32 s3, s20, s17
	s_mul_i32 s13, s15, s13
	s_lshl_b64 s[0:1], s[2:3], 3
	s_mul_hi_u32 s16, s15, s12
	v_lshlrev_b64 v[2:3], 3, v[2:3]
	v_mad_i64_i32 v[4:5], null, s11, v8, 0
	s_mul_i32 s2, s15, s12
	s_add_u32 s12, s22, s0
	s_addc_u32 s15, s23, s1
	s_add_i32 s3, s16, s13
	v_add_nc_u32_e32 v19, v16, v12
	s_lshl_b64 s[0:1], s[2:3], 3
	v_add_nc_u32_e32 v24, 0x800, v16
	s_add_u32 s2, s18, s0
	v_add_co_u32 v13, s0, s6, v2
	s_delay_alu instid0(VALU_DEP_1)
	v_add_co_ci_u32_e64 v14, s0, s7, v3, s0
	v_lshlrev_b64 v[2:3], 3, v[4:5]
	v_mad_i64_i32 v[4:5], null, s14, v8, 0
	s_addc_u32 s3, s19, s1
	v_cmp_gt_i32_e64 s0, s9, v8
	v_add_nc_u32_e32 v25, 0x1000, v16
	s_delay_alu instid0(VALU_DEP_4) | instskip(NEXT) | instid1(VALU_DEP_1)
	v_add_co_u32 v17, s1, s12, v2
	v_add_co_ci_u32_e64 v18, s1, s15, v3, s1
	v_lshlrev_b64 v[2:3], 3, v[4:5]
	v_mad_i64_i32 v[4:5], null, s11, v0, 0
	v_cmp_le_i32_e64 s1, v7, v6
	v_mad_i64_i32 v[6:7], null, s8, v8, 0
	v_lshlrev_b64 v[0:1], 3, v[0:1]
	v_add_co_u32 v8, s2, s2, v2
	s_delay_alu instid0(VALU_DEP_1) | instskip(SKIP_1) | instid1(VALU_DEP_3)
	v_add_co_ci_u32_e64 v9, s2, s3, v3, s2
	v_lshlrev_b64 v[2:3], 3, v[4:5]
	v_add_co_u32 v0, s2, v8, v0
	v_lshlrev_b64 v[4:5], 3, v[6:7]
	s_delay_alu instid0(VALU_DEP_4) | instskip(NEXT) | instid1(VALU_DEP_4)
	v_add_co_ci_u32_e64 v1, s2, v9, v1, s2
	v_add_co_u32 v20, s2, s12, v2
	s_delay_alu instid0(VALU_DEP_1) | instskip(NEXT) | instid1(VALU_DEP_4)
	v_add_co_ci_u32_e64 v21, s2, s15, v3, s2
	v_add_co_u32 v22, s2, s6, v4
	s_delay_alu instid0(VALU_DEP_1)
	v_add_co_ci_u32_e64 v23, s2, s7, v5, s2
	v_add_nc_u32_e32 v26, 0x1800, v16
	s_and_b32 s9, s0, vcc_lo
	s_mov_b32 s3, 0
	s_and_b32 s2, s9, s1
	s_branch .LBB1901_5
.LBB1901_4:                             ;   in Loop: Header=BB1901_5 Depth=1
	s_or_b32 exec_lo, exec_lo, s1
	s_add_i32 s3, s3, 32
	s_waitcnt_vscnt null, 0x0
	s_cmp_lt_i32 s3, s10
	s_barrier
	buffer_gl0_inv
	s_cbranch_scc0 .LBB1901_17
.LBB1901_5:                             ; =>This Inner Loop Header: Depth=1
	v_add_nc_u32_e32 v2, s3, v11
	v_mov_b32_e32 v6, 0
	v_mov_b32_e32 v7, 0
	s_delay_alu instid0(VALU_DEP_3) | instskip(SKIP_1) | instid1(VALU_DEP_3)
	v_cmp_gt_i32_e64 s1, s10, v2
	v_ashrrev_i32_e32 v3, 31, v2
	v_dual_mov_b32 v9, v7 :: v_dual_mov_b32 v8, v6
	s_delay_alu instid0(VALU_DEP_3) | instskip(NEXT) | instid1(SALU_CYCLE_1)
	s_and_b32 s6, vcc_lo, s1
	s_and_saveexec_b32 s7, s6
	s_cbranch_execz .LBB1901_7
; %bb.6:                                ;   in Loop: Header=BB1901_5 Depth=1
	v_lshlrev_b64 v[4:5], 3, v[2:3]
	s_delay_alu instid0(VALU_DEP_1) | instskip(NEXT) | instid1(VALU_DEP_1)
	v_add_co_u32 v4, s1, v13, v4
	v_add_co_ci_u32_e64 v5, s1, v14, v5, s1
	global_load_b64 v[8:9], v[4:5], off
.LBB1901_7:                             ;   in Loop: Header=BB1901_5 Depth=1
	s_or_b32 exec_lo, exec_lo, s7
	v_add_nc_u32_e32 v4, s3, v10
	s_waitcnt vmcnt(0)
	ds_store_b64 v15, v[8:9]
	v_cmp_gt_i32_e64 s1, s10, v4
	v_ashrrev_i32_e32 v5, 31, v4
	s_delay_alu instid0(VALU_DEP_2) | instskip(NEXT) | instid1(SALU_CYCLE_1)
	s_and_b32 s7, s0, s1
	s_and_saveexec_b32 s8, s7
	s_cbranch_execz .LBB1901_9
; %bb.8:                                ;   in Loop: Header=BB1901_5 Depth=1
	s_delay_alu instid0(VALU_DEP_1) | instskip(NEXT) | instid1(VALU_DEP_1)
	v_lshlrev_b64 v[6:7], 3, v[4:5]
	v_add_co_u32 v6, s1, v17, v6
	s_delay_alu instid0(VALU_DEP_1)
	v_add_co_ci_u32_e64 v7, s1, v18, v7, s1
	global_load_b64 v[6:7], v[6:7], off
.LBB1901_9:                             ;   in Loop: Header=BB1901_5 Depth=1
	s_or_b32 exec_lo, exec_lo, s8
	s_waitcnt vmcnt(0)
	ds_store_b64 v19, v[6:7]
	s_waitcnt lgkmcnt(0)
	s_barrier
	buffer_gl0_inv
	s_and_saveexec_b32 s1, s2
	s_cbranch_execz .LBB1901_11
; %bb.10:                               ;   in Loop: Header=BB1901_5 Depth=1
	ds_load_2addr_b64 v[6:9], v16 offset1:32
	ds_load_b128 v[27:30], v12
	ds_load_b128 v[31:34], v12 offset:16
	s_waitcnt lgkmcnt(1)
	v_fma_f64 v[6:7], v[27:28], v[6:7], 0
	s_delay_alu instid0(VALU_DEP_1) | instskip(SKIP_3) | instid1(VALU_DEP_1)
	v_fma_f64 v[27:28], v[29:30], v[8:9], v[6:7]
	ds_load_2addr_b64 v[6:9], v16 offset0:64 offset1:96
	s_waitcnt lgkmcnt(0)
	v_fma_f64 v[6:7], v[31:32], v[6:7], v[27:28]
	v_fma_f64 v[35:36], v[33:34], v[8:9], v[6:7]
	ds_load_2addr_b64 v[6:9], v16 offset0:128 offset1:160
	ds_load_b128 v[27:30], v12 offset:32
	ds_load_b128 v[31:34], v12 offset:48
	s_waitcnt lgkmcnt(1)
	v_fma_f64 v[6:7], v[27:28], v[6:7], v[35:36]
	s_delay_alu instid0(VALU_DEP_1) | instskip(SKIP_3) | instid1(VALU_DEP_1)
	v_fma_f64 v[27:28], v[29:30], v[8:9], v[6:7]
	ds_load_2addr_b64 v[6:9], v16 offset0:192 offset1:224
	s_waitcnt lgkmcnt(0)
	v_fma_f64 v[6:7], v[31:32], v[6:7], v[27:28]
	v_fma_f64 v[35:36], v[33:34], v[8:9], v[6:7]
	ds_load_2addr_b64 v[6:9], v24 offset1:32
	ds_load_b128 v[27:30], v12 offset:64
	ds_load_b128 v[31:34], v12 offset:80
	s_waitcnt lgkmcnt(1)
	v_fma_f64 v[6:7], v[27:28], v[6:7], v[35:36]
	s_delay_alu instid0(VALU_DEP_1) | instskip(SKIP_3) | instid1(VALU_DEP_1)
	v_fma_f64 v[27:28], v[29:30], v[8:9], v[6:7]
	ds_load_2addr_b64 v[6:9], v24 offset0:64 offset1:96
	s_waitcnt lgkmcnt(0)
	v_fma_f64 v[6:7], v[31:32], v[6:7], v[27:28]
	v_fma_f64 v[35:36], v[33:34], v[8:9], v[6:7]
	ds_load_2addr_b64 v[6:9], v24 offset0:128 offset1:160
	ds_load_b128 v[27:30], v12 offset:96
	ds_load_b128 v[31:34], v12 offset:112
	s_waitcnt lgkmcnt(1)
	v_fma_f64 v[6:7], v[27:28], v[6:7], v[35:36]
	s_delay_alu instid0(VALU_DEP_1) | instskip(SKIP_3) | instid1(VALU_DEP_1)
	v_fma_f64 v[27:28], v[29:30], v[8:9], v[6:7]
	ds_load_2addr_b64 v[6:9], v24 offset0:192 offset1:224
	s_waitcnt lgkmcnt(0)
	v_fma_f64 v[6:7], v[31:32], v[6:7], v[27:28]
	v_fma_f64 v[35:36], v[33:34], v[8:9], v[6:7]
	ds_load_2addr_b64 v[6:9], v25 offset1:32
	ds_load_b128 v[27:30], v12 offset:128
	;; [unrolled: 22-line block ×3, first 2 shown]
	global_load_b64 v[37:38], v[0:1], off
	ds_load_b128 v[31:34], v12 offset:208
	s_waitcnt lgkmcnt(1)
	v_fma_f64 v[6:7], v[27:28], v[6:7], v[35:36]
	s_delay_alu instid0(VALU_DEP_1) | instskip(SKIP_3) | instid1(VALU_DEP_1)
	v_fma_f64 v[27:28], v[29:30], v[8:9], v[6:7]
	ds_load_2addr_b64 v[6:9], v26 offset0:64 offset1:96
	s_waitcnt lgkmcnt(0)
	v_fma_f64 v[6:7], v[31:32], v[6:7], v[27:28]
	v_fma_f64 v[35:36], v[33:34], v[8:9], v[6:7]
	ds_load_2addr_b64 v[6:9], v26 offset0:128 offset1:160
	ds_load_b128 v[27:30], v12 offset:224
	ds_load_b128 v[31:34], v12 offset:240
	s_waitcnt lgkmcnt(1)
	v_fma_f64 v[6:7], v[27:28], v[6:7], v[35:36]
	s_delay_alu instid0(VALU_DEP_1) | instskip(SKIP_3) | instid1(VALU_DEP_1)
	v_fma_f64 v[27:28], v[29:30], v[8:9], v[6:7]
	ds_load_2addr_b64 v[6:9], v26 offset0:192 offset1:224
	s_waitcnt lgkmcnt(0)
	v_fma_f64 v[6:7], v[31:32], v[6:7], v[27:28]
	v_fma_f64 v[6:7], v[33:34], v[8:9], v[6:7]
	s_waitcnt vmcnt(0)
	s_delay_alu instid0(VALU_DEP_1)
	v_fma_f64 v[6:7], v[6:7], s[4:5], v[37:38]
	global_store_b64 v[0:1], v[6:7], off
.LBB1901_11:                            ;   in Loop: Header=BB1901_5 Depth=1
	s_or_b32 exec_lo, exec_lo, s1
	v_mov_b32_e32 v6, 0
	v_mov_b32_e32 v7, 0
	s_waitcnt_vscnt null, 0x0
	s_barrier
	buffer_gl0_inv
	v_dual_mov_b32 v9, v7 :: v_dual_mov_b32 v8, v6
	s_and_saveexec_b32 s8, s6
	s_cbranch_execz .LBB1901_13
; %bb.12:                               ;   in Loop: Header=BB1901_5 Depth=1
	v_lshlrev_b64 v[2:3], 3, v[2:3]
	s_delay_alu instid0(VALU_DEP_1) | instskip(NEXT) | instid1(VALU_DEP_1)
	v_add_co_u32 v2, s1, v20, v2
	v_add_co_ci_u32_e64 v3, s1, v21, v3, s1
	global_load_b64 v[8:9], v[2:3], off
.LBB1901_13:                            ;   in Loop: Header=BB1901_5 Depth=1
	s_or_b32 exec_lo, exec_lo, s8
	s_waitcnt vmcnt(0)
	ds_store_b64 v15, v[8:9]
	s_and_saveexec_b32 s6, s7
	s_cbranch_execz .LBB1901_15
; %bb.14:                               ;   in Loop: Header=BB1901_5 Depth=1
	v_lshlrev_b64 v[2:3], 3, v[4:5]
	s_delay_alu instid0(VALU_DEP_1) | instskip(NEXT) | instid1(VALU_DEP_1)
	v_add_co_u32 v2, s1, v22, v2
	v_add_co_ci_u32_e64 v3, s1, v23, v3, s1
	global_load_b64 v[6:7], v[2:3], off
.LBB1901_15:                            ;   in Loop: Header=BB1901_5 Depth=1
	s_or_b32 exec_lo, exec_lo, s6
	s_waitcnt vmcnt(0)
	ds_store_b64 v19, v[6:7]
	s_waitcnt lgkmcnt(0)
	s_barrier
	buffer_gl0_inv
	s_and_saveexec_b32 s1, s2
	s_cbranch_execz .LBB1901_4
; %bb.16:                               ;   in Loop: Header=BB1901_5 Depth=1
	ds_load_2addr_b64 v[2:5], v16 offset1:32
	ds_load_b128 v[6:9], v12
	ds_load_b128 v[27:30], v12 offset:16
	s_waitcnt lgkmcnt(1)
	v_fma_f64 v[2:3], v[6:7], v[2:3], 0
	s_delay_alu instid0(VALU_DEP_1) | instskip(SKIP_3) | instid1(VALU_DEP_1)
	v_fma_f64 v[6:7], v[8:9], v[4:5], v[2:3]
	ds_load_2addr_b64 v[2:5], v16 offset0:64 offset1:96
	s_waitcnt lgkmcnt(0)
	v_fma_f64 v[2:3], v[27:28], v[2:3], v[6:7]
	v_fma_f64 v[31:32], v[29:30], v[4:5], v[2:3]
	ds_load_2addr_b64 v[2:5], v16 offset0:128 offset1:160
	ds_load_b128 v[6:9], v12 offset:32
	ds_load_b128 v[27:30], v12 offset:48
	s_waitcnt lgkmcnt(1)
	v_fma_f64 v[2:3], v[6:7], v[2:3], v[31:32]
	s_delay_alu instid0(VALU_DEP_1) | instskip(SKIP_3) | instid1(VALU_DEP_1)
	v_fma_f64 v[6:7], v[8:9], v[4:5], v[2:3]
	ds_load_2addr_b64 v[2:5], v16 offset0:192 offset1:224
	s_waitcnt lgkmcnt(0)
	v_fma_f64 v[2:3], v[27:28], v[2:3], v[6:7]
	v_fma_f64 v[31:32], v[29:30], v[4:5], v[2:3]
	ds_load_2addr_b64 v[2:5], v24 offset1:32
	ds_load_b128 v[6:9], v12 offset:64
	ds_load_b128 v[27:30], v12 offset:80
	s_waitcnt lgkmcnt(1)
	v_fma_f64 v[2:3], v[6:7], v[2:3], v[31:32]
	s_delay_alu instid0(VALU_DEP_1) | instskip(SKIP_3) | instid1(VALU_DEP_1)
	v_fma_f64 v[6:7], v[8:9], v[4:5], v[2:3]
	ds_load_2addr_b64 v[2:5], v24 offset0:64 offset1:96
	s_waitcnt lgkmcnt(0)
	v_fma_f64 v[2:3], v[27:28], v[2:3], v[6:7]
	v_fma_f64 v[31:32], v[29:30], v[4:5], v[2:3]
	ds_load_2addr_b64 v[2:5], v24 offset0:128 offset1:160
	ds_load_b128 v[6:9], v12 offset:96
	ds_load_b128 v[27:30], v12 offset:112
	s_waitcnt lgkmcnt(1)
	v_fma_f64 v[2:3], v[6:7], v[2:3], v[31:32]
	s_delay_alu instid0(VALU_DEP_1) | instskip(SKIP_3) | instid1(VALU_DEP_1)
	v_fma_f64 v[6:7], v[8:9], v[4:5], v[2:3]
	ds_load_2addr_b64 v[2:5], v24 offset0:192 offset1:224
	s_waitcnt lgkmcnt(0)
	v_fma_f64 v[2:3], v[27:28], v[2:3], v[6:7]
	v_fma_f64 v[31:32], v[29:30], v[4:5], v[2:3]
	ds_load_2addr_b64 v[2:5], v25 offset1:32
	ds_load_b128 v[6:9], v12 offset:128
	;; [unrolled: 22-line block ×3, first 2 shown]
	global_load_b64 v[33:34], v[0:1], off
	ds_load_b128 v[27:30], v12 offset:208
	s_waitcnt lgkmcnt(1)
	v_fma_f64 v[2:3], v[6:7], v[2:3], v[31:32]
	s_delay_alu instid0(VALU_DEP_1) | instskip(SKIP_3) | instid1(VALU_DEP_1)
	v_fma_f64 v[6:7], v[8:9], v[4:5], v[2:3]
	ds_load_2addr_b64 v[2:5], v26 offset0:64 offset1:96
	s_waitcnt lgkmcnt(0)
	v_fma_f64 v[2:3], v[27:28], v[2:3], v[6:7]
	v_fma_f64 v[31:32], v[29:30], v[4:5], v[2:3]
	ds_load_2addr_b64 v[2:5], v26 offset0:128 offset1:160
	ds_load_b128 v[6:9], v12 offset:224
	ds_load_b128 v[27:30], v12 offset:240
	s_waitcnt lgkmcnt(1)
	v_fma_f64 v[2:3], v[6:7], v[2:3], v[31:32]
	s_delay_alu instid0(VALU_DEP_1) | instskip(SKIP_3) | instid1(VALU_DEP_1)
	v_fma_f64 v[6:7], v[8:9], v[4:5], v[2:3]
	ds_load_2addr_b64 v[2:5], v26 offset0:192 offset1:224
	s_waitcnt lgkmcnt(0)
	v_fma_f64 v[2:3], v[27:28], v[2:3], v[6:7]
	v_fma_f64 v[2:3], v[29:30], v[4:5], v[2:3]
	s_waitcnt vmcnt(0)
	s_delay_alu instid0(VALU_DEP_1)
	v_fma_f64 v[2:3], v[2:3], s[4:5], v[33:34]
	global_store_b64 v[0:1], v[2:3], off
	s_branch .LBB1901_4
.LBB1901_17:
	s_endpgm
	.section	.rodata,"a",@progbits
	.p2align	6, 0x0
	.amdhsa_kernel _ZL26rocblas_syr2k_her2k_kernelIiLb1ELb0ELb1ELi32EdPKdPdEvbiT_T4_T5_S3_lS5_S3_lT6_S3_li
		.amdhsa_group_segment_fixed_size 16384
		.amdhsa_private_segment_fixed_size 0
		.amdhsa_kernarg_size 100
		.amdhsa_user_sgpr_count 13
		.amdhsa_user_sgpr_dispatch_ptr 0
		.amdhsa_user_sgpr_queue_ptr 0
		.amdhsa_user_sgpr_kernarg_segment_ptr 1
		.amdhsa_user_sgpr_dispatch_id 0
		.amdhsa_user_sgpr_private_segment_size 0
		.amdhsa_wavefront_size32 1
		.amdhsa_uses_dynamic_stack 0
		.amdhsa_enable_private_segment 0
		.amdhsa_system_sgpr_workgroup_id_x 1
		.amdhsa_system_sgpr_workgroup_id_y 1
		.amdhsa_system_sgpr_workgroup_id_z 1
		.amdhsa_system_sgpr_workgroup_info 0
		.amdhsa_system_vgpr_workitem_id 1
		.amdhsa_next_free_vgpr 39
		.amdhsa_next_free_sgpr 24
		.amdhsa_reserve_vcc 1
		.amdhsa_float_round_mode_32 0
		.amdhsa_float_round_mode_16_64 0
		.amdhsa_float_denorm_mode_32 3
		.amdhsa_float_denorm_mode_16_64 3
		.amdhsa_dx10_clamp 1
		.amdhsa_ieee_mode 1
		.amdhsa_fp16_overflow 0
		.amdhsa_workgroup_processor_mode 1
		.amdhsa_memory_ordered 1
		.amdhsa_forward_progress 0
		.amdhsa_shared_vgpr_count 0
		.amdhsa_exception_fp_ieee_invalid_op 0
		.amdhsa_exception_fp_denorm_src 0
		.amdhsa_exception_fp_ieee_div_zero 0
		.amdhsa_exception_fp_ieee_overflow 0
		.amdhsa_exception_fp_ieee_underflow 0
		.amdhsa_exception_fp_ieee_inexact 0
		.amdhsa_exception_int_div_zero 0
	.end_amdhsa_kernel
	.section	.text._ZL26rocblas_syr2k_her2k_kernelIiLb1ELb0ELb1ELi32EdPKdPdEvbiT_T4_T5_S3_lS5_S3_lT6_S3_li,"axG",@progbits,_ZL26rocblas_syr2k_her2k_kernelIiLb1ELb0ELb1ELi32EdPKdPdEvbiT_T4_T5_S3_lS5_S3_lT6_S3_li,comdat
.Lfunc_end1901:
	.size	_ZL26rocblas_syr2k_her2k_kernelIiLb1ELb0ELb1ELi32EdPKdPdEvbiT_T4_T5_S3_lS5_S3_lT6_S3_li, .Lfunc_end1901-_ZL26rocblas_syr2k_her2k_kernelIiLb1ELb0ELb1ELi32EdPKdPdEvbiT_T4_T5_S3_lS5_S3_lT6_S3_li
                                        ; -- End function
	.section	.AMDGPU.csdata,"",@progbits
; Kernel info:
; codeLenInByte = 2292
; NumSgprs: 26
; NumVgprs: 39
; ScratchSize: 0
; MemoryBound: 0
; FloatMode: 240
; IeeeMode: 1
; LDSByteSize: 16384 bytes/workgroup (compile time only)
; SGPRBlocks: 3
; VGPRBlocks: 4
; NumSGPRsForWavesPerEU: 26
; NumVGPRsForWavesPerEU: 39
; Occupancy: 16
; WaveLimiterHint : 0
; COMPUTE_PGM_RSRC2:SCRATCH_EN: 0
; COMPUTE_PGM_RSRC2:USER_SGPR: 13
; COMPUTE_PGM_RSRC2:TRAP_HANDLER: 0
; COMPUTE_PGM_RSRC2:TGID_X_EN: 1
; COMPUTE_PGM_RSRC2:TGID_Y_EN: 1
; COMPUTE_PGM_RSRC2:TGID_Z_EN: 1
; COMPUTE_PGM_RSRC2:TIDIG_COMP_CNT: 1
	.section	.text._ZL26rocblas_syr2k_her2k_kernelIiLb1ELb0ELb0ELi32EPKdS1_PdEvbiT_T4_T5_S3_lS5_S3_lT6_S3_li,"axG",@progbits,_ZL26rocblas_syr2k_her2k_kernelIiLb1ELb0ELb0ELi32EPKdS1_PdEvbiT_T4_T5_S3_lS5_S3_lT6_S3_li,comdat
	.globl	_ZL26rocblas_syr2k_her2k_kernelIiLb1ELb0ELb0ELi32EPKdS1_PdEvbiT_T4_T5_S3_lS5_S3_lT6_S3_li ; -- Begin function _ZL26rocblas_syr2k_her2k_kernelIiLb1ELb0ELb0ELi32EPKdS1_PdEvbiT_T4_T5_S3_lS5_S3_lT6_S3_li
	.p2align	8
	.type	_ZL26rocblas_syr2k_her2k_kernelIiLb1ELb0ELb0ELi32EPKdS1_PdEvbiT_T4_T5_S3_lS5_S3_lT6_S3_li,@function
_ZL26rocblas_syr2k_her2k_kernelIiLb1ELb0ELb0ELi32EPKdS1_PdEvbiT_T4_T5_S3_lS5_S3_lT6_S3_li: ; @_ZL26rocblas_syr2k_her2k_kernelIiLb1ELb0ELb0ELi32EPKdS1_PdEvbiT_T4_T5_S3_lS5_S3_lT6_S3_li
; %bb.0:
	s_load_b128 s[8:11], s[0:1], 0x10
	s_waitcnt lgkmcnt(0)
	s_load_b64 s[8:9], s[8:9], 0x0
	s_waitcnt lgkmcnt(0)
	v_cmp_eq_f64_e64 s2, s[8:9], 0
	s_delay_alu instid0(VALU_DEP_1)
	s_and_b32 vcc_lo, exec_lo, s2
	s_cbranch_vccnz .LBB1902_17
; %bb.1:
	s_load_b128 s[4:7], s[0:1], 0x0
	s_lshl_b32 s2, s14, 5
	s_waitcnt lgkmcnt(0)
	s_and_b32 s3, 1, s4
	s_lshl_b32 s4, s13, 5
	s_cmp_eq_u32 s3, 1
	s_cselect_b32 vcc_lo, -1, 0
	s_delay_alu instid0(SALU_CYCLE_1) | instskip(SKIP_2) | instid1(SALU_CYCLE_1)
	s_and_b32 s3, vcc_lo, exec_lo
	s_cselect_b32 s3, s4, s2
	s_cselect_b32 s7, s2, s4
	s_cmp_gt_i32 s3, s7
	s_cbranch_scc1 .LBB1902_17
; %bb.2:
	s_cmp_lt_i32 s6, 1
	s_cbranch_scc1 .LBB1902_17
; %bb.3:
	s_clause 0x1
	s_load_b128 s[20:23], s[0:1], 0x28
	s_load_b128 s[16:19], s[0:1], 0x40
	v_bfe_u32 v6, v0, 10, 10
	v_and_b32_e32 v7, 0x3ff, v0
	s_clause 0x1
	s_load_b64 s[12:13], s[0:1], 0x58
	s_load_b32 s3, s[0:1], 0x20
	v_add_nc_u32_e32 v0, s2, v6
	v_add_nc_u32_e32 v1, s4, v7
	s_clause 0x1
	s_load_b32 s4, s[0:1], 0x38
	s_load_b32 s2, s[0:1], 0x50
	v_lshlrev_b32_e32 v12, 3, v6
	v_dual_cndmask_b32 v17, v0, v1 :: v_dual_lshlrev_b32 v8, 8, v7
	v_ashrrev_i32_e32 v2, 31, v1
	v_cndmask_b32_e32 v16, v1, v0, vcc_lo
	v_cmp_gt_i32_e32 vcc_lo, s5, v1
	s_delay_alu instid0(VALU_DEP_4)
	v_add_nc_u32_e32 v11, v8, v12
	v_or_b32_e32 v12, 0x2000, v12
	v_lshlrev_b64 v[2:3], 3, v[1:2]
	s_waitcnt lgkmcnt(0)
	s_mul_i32 s1, s15, s21
	s_mul_hi_u32 s7, s15, s20
	s_mul_i32 s0, s15, s20
	s_add_i32 s1, s7, s1
	s_mul_i32 s14, s15, s17
	s_lshl_b64 s[0:1], s[0:1], 3
	s_mul_hi_u32 s17, s15, s16
	s_mul_i32 s7, s15, s13
	s_add_u32 s13, s10, s0
	s_mul_i32 s16, s15, s16
	s_addc_u32 s20, s11, s1
	s_add_i32 s17, s17, s14
	s_mul_hi_u32 s11, s15, s12
	s_lshl_b64 s[0:1], s[16:17], 3
	s_mul_i32 s10, s15, s12
	s_add_u32 s12, s22, s0
	v_mad_i64_i32 v[4:5], null, s2, v0, 0
	s_addc_u32 s14, s23, s1
	s_add_i32 s11, s11, s7
	v_ashrrev_i32_e32 v1, 31, v0
	s_lshl_b64 s[0:1], s[10:11], 3
	v_add_nc_u32_e32 v15, v12, v8
	s_add_u32 s7, s18, s0
	v_add_co_u32 v9, s0, s13, v2
	s_delay_alu instid0(VALU_DEP_1)
	v_add_co_ci_u32_e64 v10, s0, s20, v3, s0
	v_lshlrev_b64 v[18:19], 3, v[0:1]
	v_cmp_gt_i32_e64 s0, s5, v0
	v_lshlrev_b64 v[0:1], 3, v[4:5]
	s_addc_u32 s10, s19, s1
	v_add_nc_u32_e32 v20, 0x800, v12
	v_add_nc_u32_e32 v21, 0x1000, v12
	v_add_co_u32 v13, s1, s12, v18
	s_delay_alu instid0(VALU_DEP_4) | instskip(NEXT) | instid1(VALU_DEP_1)
	v_add_co_u32 v0, s2, s7, v0
	v_add_co_ci_u32_e64 v1, s2, s10, v1, s2
	v_add_co_ci_u32_e64 v14, s1, s14, v19, s1
	s_delay_alu instid0(VALU_DEP_3) | instskip(NEXT) | instid1(VALU_DEP_1)
	v_add_co_u32 v0, s2, v0, v2
	v_add_co_ci_u32_e64 v1, s2, v1, v3, s2
	v_cmp_le_i32_e64 s1, v17, v16
	v_add_co_u32 v16, s2, s12, v2
	s_delay_alu instid0(VALU_DEP_1) | instskip(SKIP_1) | instid1(VALU_DEP_1)
	v_add_co_ci_u32_e64 v17, s2, s14, v3, s2
	v_add_co_u32 v18, s2, s13, v18
	v_add_co_ci_u32_e64 v19, s2, s20, v19, s2
	v_add_nc_u32_e32 v22, 0x1800, v12
	s_and_b32 s5, s0, vcc_lo
	s_delay_alu instid0(SALU_CYCLE_1)
	s_and_b32 s2, s5, s1
	s_mov_b32 s5, 0
	s_branch .LBB1902_5
.LBB1902_4:                             ;   in Loop: Header=BB1902_5 Depth=1
	s_or_b32 exec_lo, exec_lo, s1
	s_add_i32 s5, s5, 32
	s_waitcnt_vscnt null, 0x0
	s_cmp_lt_i32 s5, s6
	s_barrier
	buffer_gl0_inv
	s_cbranch_scc0 .LBB1902_17
.LBB1902_5:                             ; =>This Inner Loop Header: Depth=1
	v_dual_mov_b32 v2, 0 :: v_dual_add_nc_u32 v23, s5, v6
	v_mov_b32_e32 v3, 0
	s_delay_alu instid0(VALU_DEP_2) | instskip(NEXT) | instid1(VALU_DEP_2)
	v_cmp_gt_i32_e64 s1, s6, v23
	v_dual_mov_b32 v5, v3 :: v_dual_mov_b32 v4, v2
	s_delay_alu instid0(VALU_DEP_2) | instskip(NEXT) | instid1(SALU_CYCLE_1)
	s_and_b32 s7, vcc_lo, s1
	s_and_saveexec_b32 s10, s7
	s_cbranch_execz .LBB1902_7
; %bb.6:                                ;   in Loop: Header=BB1902_5 Depth=1
	v_mad_i64_i32 v[4:5], null, v23, s3, 0
	s_delay_alu instid0(VALU_DEP_1) | instskip(NEXT) | instid1(VALU_DEP_1)
	v_lshlrev_b64 v[4:5], 3, v[4:5]
	v_add_co_u32 v4, s1, v9, v4
	s_delay_alu instid0(VALU_DEP_1)
	v_add_co_ci_u32_e64 v5, s1, v10, v5, s1
	global_load_b64 v[4:5], v[4:5], off
.LBB1902_7:                             ;   in Loop: Header=BB1902_5 Depth=1
	s_or_b32 exec_lo, exec_lo, s10
	v_add_nc_u32_e32 v24, s5, v7
	s_waitcnt vmcnt(0)
	ds_store_b64 v11, v[4:5]
	v_cmp_gt_i32_e64 s1, s6, v24
	s_delay_alu instid0(VALU_DEP_1) | instskip(NEXT) | instid1(SALU_CYCLE_1)
	s_and_b32 s10, s0, s1
	s_and_saveexec_b32 s11, s10
	s_cbranch_execz .LBB1902_9
; %bb.8:                                ;   in Loop: Header=BB1902_5 Depth=1
	v_mad_i64_i32 v[2:3], null, v24, s4, 0
	s_delay_alu instid0(VALU_DEP_1) | instskip(NEXT) | instid1(VALU_DEP_1)
	v_lshlrev_b64 v[2:3], 3, v[2:3]
	v_add_co_u32 v2, s1, v13, v2
	s_delay_alu instid0(VALU_DEP_1)
	v_add_co_ci_u32_e64 v3, s1, v14, v3, s1
	global_load_b64 v[2:3], v[2:3], off
.LBB1902_9:                             ;   in Loop: Header=BB1902_5 Depth=1
	s_or_b32 exec_lo, exec_lo, s11
	s_waitcnt vmcnt(0)
	ds_store_b64 v15, v[2:3]
	s_waitcnt lgkmcnt(0)
	s_barrier
	buffer_gl0_inv
	s_and_saveexec_b32 s1, s2
	s_cbranch_execz .LBB1902_11
; %bb.10:                               ;   in Loop: Header=BB1902_5 Depth=1
	ds_load_2addr_b64 v[2:5], v12 offset1:32
	ds_load_b128 v[25:28], v8
	ds_load_b128 v[29:32], v8 offset:16
	s_waitcnt lgkmcnt(1)
	v_fma_f64 v[2:3], v[25:26], v[2:3], 0
	s_delay_alu instid0(VALU_DEP_1) | instskip(SKIP_3) | instid1(VALU_DEP_1)
	v_fma_f64 v[25:26], v[27:28], v[4:5], v[2:3]
	ds_load_2addr_b64 v[2:5], v12 offset0:64 offset1:96
	s_waitcnt lgkmcnt(0)
	v_fma_f64 v[2:3], v[29:30], v[2:3], v[25:26]
	v_fma_f64 v[33:34], v[31:32], v[4:5], v[2:3]
	ds_load_2addr_b64 v[2:5], v12 offset0:128 offset1:160
	ds_load_b128 v[25:28], v8 offset:32
	ds_load_b128 v[29:32], v8 offset:48
	s_waitcnt lgkmcnt(1)
	v_fma_f64 v[2:3], v[25:26], v[2:3], v[33:34]
	s_delay_alu instid0(VALU_DEP_1) | instskip(SKIP_3) | instid1(VALU_DEP_1)
	v_fma_f64 v[25:26], v[27:28], v[4:5], v[2:3]
	ds_load_2addr_b64 v[2:5], v12 offset0:192 offset1:224
	s_waitcnt lgkmcnt(0)
	v_fma_f64 v[2:3], v[29:30], v[2:3], v[25:26]
	v_fma_f64 v[33:34], v[31:32], v[4:5], v[2:3]
	ds_load_2addr_b64 v[2:5], v20 offset1:32
	ds_load_b128 v[25:28], v8 offset:64
	ds_load_b128 v[29:32], v8 offset:80
	s_waitcnt lgkmcnt(1)
	v_fma_f64 v[2:3], v[25:26], v[2:3], v[33:34]
	s_delay_alu instid0(VALU_DEP_1) | instskip(SKIP_3) | instid1(VALU_DEP_1)
	v_fma_f64 v[25:26], v[27:28], v[4:5], v[2:3]
	ds_load_2addr_b64 v[2:5], v20 offset0:64 offset1:96
	s_waitcnt lgkmcnt(0)
	v_fma_f64 v[2:3], v[29:30], v[2:3], v[25:26]
	v_fma_f64 v[33:34], v[31:32], v[4:5], v[2:3]
	ds_load_2addr_b64 v[2:5], v20 offset0:128 offset1:160
	ds_load_b128 v[25:28], v8 offset:96
	ds_load_b128 v[29:32], v8 offset:112
	s_waitcnt lgkmcnt(1)
	v_fma_f64 v[2:3], v[25:26], v[2:3], v[33:34]
	s_delay_alu instid0(VALU_DEP_1) | instskip(SKIP_3) | instid1(VALU_DEP_1)
	v_fma_f64 v[25:26], v[27:28], v[4:5], v[2:3]
	ds_load_2addr_b64 v[2:5], v20 offset0:192 offset1:224
	s_waitcnt lgkmcnt(0)
	v_fma_f64 v[2:3], v[29:30], v[2:3], v[25:26]
	v_fma_f64 v[33:34], v[31:32], v[4:5], v[2:3]
	ds_load_2addr_b64 v[2:5], v21 offset1:32
	ds_load_b128 v[25:28], v8 offset:128
	;; [unrolled: 22-line block ×3, first 2 shown]
	global_load_b64 v[35:36], v[0:1], off
	ds_load_b128 v[29:32], v8 offset:208
	s_waitcnt lgkmcnt(1)
	v_fma_f64 v[2:3], v[25:26], v[2:3], v[33:34]
	s_delay_alu instid0(VALU_DEP_1) | instskip(SKIP_3) | instid1(VALU_DEP_1)
	v_fma_f64 v[25:26], v[27:28], v[4:5], v[2:3]
	ds_load_2addr_b64 v[2:5], v22 offset0:64 offset1:96
	s_waitcnt lgkmcnt(0)
	v_fma_f64 v[2:3], v[29:30], v[2:3], v[25:26]
	v_fma_f64 v[33:34], v[31:32], v[4:5], v[2:3]
	ds_load_2addr_b64 v[2:5], v22 offset0:128 offset1:160
	ds_load_b128 v[25:28], v8 offset:224
	ds_load_b128 v[29:32], v8 offset:240
	s_waitcnt lgkmcnt(1)
	v_fma_f64 v[2:3], v[25:26], v[2:3], v[33:34]
	s_delay_alu instid0(VALU_DEP_1) | instskip(SKIP_3) | instid1(VALU_DEP_1)
	v_fma_f64 v[25:26], v[27:28], v[4:5], v[2:3]
	ds_load_2addr_b64 v[2:5], v22 offset0:192 offset1:224
	s_waitcnt lgkmcnt(0)
	v_fma_f64 v[2:3], v[29:30], v[2:3], v[25:26]
	v_fma_f64 v[2:3], v[31:32], v[4:5], v[2:3]
	s_waitcnt vmcnt(0)
	s_delay_alu instid0(VALU_DEP_1)
	v_fma_f64 v[2:3], s[8:9], v[2:3], v[35:36]
	global_store_b64 v[0:1], v[2:3], off
.LBB1902_11:                            ;   in Loop: Header=BB1902_5 Depth=1
	s_or_b32 exec_lo, exec_lo, s1
	v_mov_b32_e32 v2, 0
	v_mov_b32_e32 v3, 0
	s_waitcnt_vscnt null, 0x0
	s_barrier
	buffer_gl0_inv
	v_dual_mov_b32 v5, v3 :: v_dual_mov_b32 v4, v2
	s_and_saveexec_b32 s11, s7
	s_cbranch_execz .LBB1902_13
; %bb.12:                               ;   in Loop: Header=BB1902_5 Depth=1
	v_mad_i64_i32 v[4:5], null, v23, s4, 0
	s_delay_alu instid0(VALU_DEP_1) | instskip(NEXT) | instid1(VALU_DEP_1)
	v_lshlrev_b64 v[4:5], 3, v[4:5]
	v_add_co_u32 v4, s1, v16, v4
	s_delay_alu instid0(VALU_DEP_1)
	v_add_co_ci_u32_e64 v5, s1, v17, v5, s1
	global_load_b64 v[4:5], v[4:5], off
.LBB1902_13:                            ;   in Loop: Header=BB1902_5 Depth=1
	s_or_b32 exec_lo, exec_lo, s11
	s_waitcnt vmcnt(0)
	ds_store_b64 v11, v[4:5]
	s_and_saveexec_b32 s7, s10
	s_cbranch_execz .LBB1902_15
; %bb.14:                               ;   in Loop: Header=BB1902_5 Depth=1
	v_mad_i64_i32 v[2:3], null, v24, s3, 0
	s_delay_alu instid0(VALU_DEP_1) | instskip(NEXT) | instid1(VALU_DEP_1)
	v_lshlrev_b64 v[2:3], 3, v[2:3]
	v_add_co_u32 v2, s1, v18, v2
	s_delay_alu instid0(VALU_DEP_1)
	v_add_co_ci_u32_e64 v3, s1, v19, v3, s1
	global_load_b64 v[2:3], v[2:3], off
.LBB1902_15:                            ;   in Loop: Header=BB1902_5 Depth=1
	s_or_b32 exec_lo, exec_lo, s7
	s_waitcnt vmcnt(0)
	ds_store_b64 v15, v[2:3]
	s_waitcnt lgkmcnt(0)
	s_barrier
	buffer_gl0_inv
	s_and_saveexec_b32 s1, s2
	s_cbranch_execz .LBB1902_4
; %bb.16:                               ;   in Loop: Header=BB1902_5 Depth=1
	ds_load_2addr_b64 v[2:5], v12 offset1:32
	ds_load_b128 v[23:26], v8
	ds_load_b128 v[27:30], v8 offset:16
	s_waitcnt lgkmcnt(1)
	v_fma_f64 v[2:3], v[23:24], v[2:3], 0
	s_delay_alu instid0(VALU_DEP_1) | instskip(SKIP_3) | instid1(VALU_DEP_1)
	v_fma_f64 v[23:24], v[25:26], v[4:5], v[2:3]
	ds_load_2addr_b64 v[2:5], v12 offset0:64 offset1:96
	s_waitcnt lgkmcnt(0)
	v_fma_f64 v[2:3], v[27:28], v[2:3], v[23:24]
	v_fma_f64 v[31:32], v[29:30], v[4:5], v[2:3]
	ds_load_2addr_b64 v[2:5], v12 offset0:128 offset1:160
	ds_load_b128 v[23:26], v8 offset:32
	ds_load_b128 v[27:30], v8 offset:48
	s_waitcnt lgkmcnt(1)
	v_fma_f64 v[2:3], v[23:24], v[2:3], v[31:32]
	s_delay_alu instid0(VALU_DEP_1) | instskip(SKIP_3) | instid1(VALU_DEP_1)
	v_fma_f64 v[23:24], v[25:26], v[4:5], v[2:3]
	ds_load_2addr_b64 v[2:5], v12 offset0:192 offset1:224
	s_waitcnt lgkmcnt(0)
	v_fma_f64 v[2:3], v[27:28], v[2:3], v[23:24]
	v_fma_f64 v[31:32], v[29:30], v[4:5], v[2:3]
	ds_load_2addr_b64 v[2:5], v20 offset1:32
	ds_load_b128 v[23:26], v8 offset:64
	ds_load_b128 v[27:30], v8 offset:80
	s_waitcnt lgkmcnt(1)
	v_fma_f64 v[2:3], v[23:24], v[2:3], v[31:32]
	s_delay_alu instid0(VALU_DEP_1) | instskip(SKIP_3) | instid1(VALU_DEP_1)
	v_fma_f64 v[23:24], v[25:26], v[4:5], v[2:3]
	ds_load_2addr_b64 v[2:5], v20 offset0:64 offset1:96
	s_waitcnt lgkmcnt(0)
	v_fma_f64 v[2:3], v[27:28], v[2:3], v[23:24]
	v_fma_f64 v[31:32], v[29:30], v[4:5], v[2:3]
	ds_load_2addr_b64 v[2:5], v20 offset0:128 offset1:160
	ds_load_b128 v[23:26], v8 offset:96
	ds_load_b128 v[27:30], v8 offset:112
	s_waitcnt lgkmcnt(1)
	v_fma_f64 v[2:3], v[23:24], v[2:3], v[31:32]
	s_delay_alu instid0(VALU_DEP_1) | instskip(SKIP_3) | instid1(VALU_DEP_1)
	v_fma_f64 v[23:24], v[25:26], v[4:5], v[2:3]
	ds_load_2addr_b64 v[2:5], v20 offset0:192 offset1:224
	s_waitcnt lgkmcnt(0)
	v_fma_f64 v[2:3], v[27:28], v[2:3], v[23:24]
	v_fma_f64 v[31:32], v[29:30], v[4:5], v[2:3]
	ds_load_2addr_b64 v[2:5], v21 offset1:32
	ds_load_b128 v[23:26], v8 offset:128
	;; [unrolled: 22-line block ×3, first 2 shown]
	global_load_b64 v[33:34], v[0:1], off
	ds_load_b128 v[27:30], v8 offset:208
	s_waitcnt lgkmcnt(1)
	v_fma_f64 v[2:3], v[23:24], v[2:3], v[31:32]
	s_delay_alu instid0(VALU_DEP_1) | instskip(SKIP_3) | instid1(VALU_DEP_1)
	v_fma_f64 v[23:24], v[25:26], v[4:5], v[2:3]
	ds_load_2addr_b64 v[2:5], v22 offset0:64 offset1:96
	s_waitcnt lgkmcnt(0)
	v_fma_f64 v[2:3], v[27:28], v[2:3], v[23:24]
	v_fma_f64 v[31:32], v[29:30], v[4:5], v[2:3]
	ds_load_2addr_b64 v[2:5], v22 offset0:128 offset1:160
	ds_load_b128 v[23:26], v8 offset:224
	ds_load_b128 v[27:30], v8 offset:240
	s_waitcnt lgkmcnt(1)
	v_fma_f64 v[2:3], v[23:24], v[2:3], v[31:32]
	s_delay_alu instid0(VALU_DEP_1) | instskip(SKIP_3) | instid1(VALU_DEP_1)
	v_fma_f64 v[23:24], v[25:26], v[4:5], v[2:3]
	ds_load_2addr_b64 v[2:5], v22 offset0:192 offset1:224
	s_waitcnt lgkmcnt(0)
	v_fma_f64 v[2:3], v[27:28], v[2:3], v[23:24]
	v_fma_f64 v[2:3], v[29:30], v[4:5], v[2:3]
	s_waitcnt vmcnt(0)
	s_delay_alu instid0(VALU_DEP_1)
	v_fma_f64 v[2:3], s[8:9], v[2:3], v[33:34]
	global_store_b64 v[0:1], v[2:3], off
	s_branch .LBB1902_4
.LBB1902_17:
	s_endpgm
	.section	.rodata,"a",@progbits
	.p2align	6, 0x0
	.amdhsa_kernel _ZL26rocblas_syr2k_her2k_kernelIiLb1ELb0ELb0ELi32EPKdS1_PdEvbiT_T4_T5_S3_lS5_S3_lT6_S3_li
		.amdhsa_group_segment_fixed_size 16384
		.amdhsa_private_segment_fixed_size 0
		.amdhsa_kernarg_size 100
		.amdhsa_user_sgpr_count 13
		.amdhsa_user_sgpr_dispatch_ptr 0
		.amdhsa_user_sgpr_queue_ptr 0
		.amdhsa_user_sgpr_kernarg_segment_ptr 1
		.amdhsa_user_sgpr_dispatch_id 0
		.amdhsa_user_sgpr_private_segment_size 0
		.amdhsa_wavefront_size32 1
		.amdhsa_uses_dynamic_stack 0
		.amdhsa_enable_private_segment 0
		.amdhsa_system_sgpr_workgroup_id_x 1
		.amdhsa_system_sgpr_workgroup_id_y 1
		.amdhsa_system_sgpr_workgroup_id_z 1
		.amdhsa_system_sgpr_workgroup_info 0
		.amdhsa_system_vgpr_workitem_id 1
		.amdhsa_next_free_vgpr 37
		.amdhsa_next_free_sgpr 24
		.amdhsa_reserve_vcc 1
		.amdhsa_float_round_mode_32 0
		.amdhsa_float_round_mode_16_64 0
		.amdhsa_float_denorm_mode_32 3
		.amdhsa_float_denorm_mode_16_64 3
		.amdhsa_dx10_clamp 1
		.amdhsa_ieee_mode 1
		.amdhsa_fp16_overflow 0
		.amdhsa_workgroup_processor_mode 1
		.amdhsa_memory_ordered 1
		.amdhsa_forward_progress 0
		.amdhsa_shared_vgpr_count 0
		.amdhsa_exception_fp_ieee_invalid_op 0
		.amdhsa_exception_fp_denorm_src 0
		.amdhsa_exception_fp_ieee_div_zero 0
		.amdhsa_exception_fp_ieee_overflow 0
		.amdhsa_exception_fp_ieee_underflow 0
		.amdhsa_exception_fp_ieee_inexact 0
		.amdhsa_exception_int_div_zero 0
	.end_amdhsa_kernel
	.section	.text._ZL26rocblas_syr2k_her2k_kernelIiLb1ELb0ELb0ELi32EPKdS1_PdEvbiT_T4_T5_S3_lS5_S3_lT6_S3_li,"axG",@progbits,_ZL26rocblas_syr2k_her2k_kernelIiLb1ELb0ELb0ELi32EPKdS1_PdEvbiT_T4_T5_S3_lS5_S3_lT6_S3_li,comdat
.Lfunc_end1902:
	.size	_ZL26rocblas_syr2k_her2k_kernelIiLb1ELb0ELb0ELi32EPKdS1_PdEvbiT_T4_T5_S3_lS5_S3_lT6_S3_li, .Lfunc_end1902-_ZL26rocblas_syr2k_her2k_kernelIiLb1ELb0ELb0ELi32EPKdS1_PdEvbiT_T4_T5_S3_lS5_S3_lT6_S3_li
                                        ; -- End function
	.section	.AMDGPU.csdata,"",@progbits
; Kernel info:
; codeLenInByte = 2284
; NumSgprs: 26
; NumVgprs: 37
; ScratchSize: 0
; MemoryBound: 0
; FloatMode: 240
; IeeeMode: 1
; LDSByteSize: 16384 bytes/workgroup (compile time only)
; SGPRBlocks: 3
; VGPRBlocks: 4
; NumSGPRsForWavesPerEU: 26
; NumVGPRsForWavesPerEU: 37
; Occupancy: 16
; WaveLimiterHint : 0
; COMPUTE_PGM_RSRC2:SCRATCH_EN: 0
; COMPUTE_PGM_RSRC2:USER_SGPR: 13
; COMPUTE_PGM_RSRC2:TRAP_HANDLER: 0
; COMPUTE_PGM_RSRC2:TGID_X_EN: 1
; COMPUTE_PGM_RSRC2:TGID_Y_EN: 1
; COMPUTE_PGM_RSRC2:TGID_Z_EN: 1
; COMPUTE_PGM_RSRC2:TIDIG_COMP_CNT: 1
	.section	.text._ZL26rocblas_syr2k_her2k_kernelIiLb1ELb0ELb1ELi32EPKdS1_PdEvbiT_T4_T5_S3_lS5_S3_lT6_S3_li,"axG",@progbits,_ZL26rocblas_syr2k_her2k_kernelIiLb1ELb0ELb1ELi32EPKdS1_PdEvbiT_T4_T5_S3_lS5_S3_lT6_S3_li,comdat
	.globl	_ZL26rocblas_syr2k_her2k_kernelIiLb1ELb0ELb1ELi32EPKdS1_PdEvbiT_T4_T5_S3_lS5_S3_lT6_S3_li ; -- Begin function _ZL26rocblas_syr2k_her2k_kernelIiLb1ELb0ELb1ELi32EPKdS1_PdEvbiT_T4_T5_S3_lS5_S3_lT6_S3_li
	.p2align	8
	.type	_ZL26rocblas_syr2k_her2k_kernelIiLb1ELb0ELb1ELi32EPKdS1_PdEvbiT_T4_T5_S3_lS5_S3_lT6_S3_li,@function
_ZL26rocblas_syr2k_her2k_kernelIiLb1ELb0ELb1ELi32EPKdS1_PdEvbiT_T4_T5_S3_lS5_S3_lT6_S3_li: ; @_ZL26rocblas_syr2k_her2k_kernelIiLb1ELb0ELb1ELi32EPKdS1_PdEvbiT_T4_T5_S3_lS5_S3_lT6_S3_li
; %bb.0:
	s_load_b128 s[8:11], s[0:1], 0x10
	s_waitcnt lgkmcnt(0)
	s_load_b64 s[8:9], s[8:9], 0x0
	s_waitcnt lgkmcnt(0)
	v_cmp_eq_f64_e64 s2, s[8:9], 0
	s_delay_alu instid0(VALU_DEP_1)
	s_and_b32 vcc_lo, exec_lo, s2
	s_cbranch_vccnz .LBB1903_17
; %bb.1:
	s_load_b128 s[4:7], s[0:1], 0x0
	s_lshl_b32 s2, s14, 5
	s_lshl_b32 s3, s13, 5
	s_waitcnt lgkmcnt(0)
	s_and_b32 s4, 1, s4
	s_delay_alu instid0(SALU_CYCLE_1) | instskip(SKIP_1) | instid1(SALU_CYCLE_1)
	s_cmp_eq_u32 s4, 1
	s_cselect_b32 vcc_lo, -1, 0
	s_and_b32 s4, vcc_lo, exec_lo
	s_cselect_b32 s4, s3, s2
	s_cselect_b32 s7, s2, s3
	s_delay_alu instid0(SALU_CYCLE_1)
	s_cmp_gt_i32 s4, s7
	s_cbranch_scc1 .LBB1903_17
; %bb.2:
	s_cmp_lt_i32 s6, 1
	s_cbranch_scc1 .LBB1903_17
; %bb.3:
	s_clause 0x5
	s_load_b128 s[20:23], s[0:1], 0x28
	s_load_b128 s[16:19], s[0:1], 0x40
	s_load_b32 s4, s[0:1], 0x20
	s_load_b32 s7, s[0:1], 0x38
	;; [unrolled: 1-line block ×3, first 2 shown]
	s_load_b64 s[12:13], s[0:1], 0x58
	v_and_b32_e32 v10, 0x3ff, v0
	v_bfe_u32 v11, v0, 10, 10
	s_delay_alu instid0(VALU_DEP_2) | instskip(NEXT) | instid1(VALU_DEP_2)
	v_add_nc_u32_e32 v0, s3, v10
	v_add_nc_u32_e32 v8, s2, v11
	v_lshlrev_b32_e32 v9, 3, v11
	v_lshlrev_b32_e32 v12, 8, v10
	s_delay_alu instid0(VALU_DEP_4) | instskip(NEXT) | instid1(VALU_DEP_4)
	v_ashrrev_i32_e32 v1, 31, v0
	v_cndmask_b32_e32 v6, v0, v8, vcc_lo
	v_cndmask_b32_e32 v7, v8, v0, vcc_lo
	v_cmp_gt_i32_e32 vcc_lo, s5, v0
	v_add_nc_u32_e32 v15, v12, v9
	v_or_b32_e32 v16, 0x2000, v9
	s_waitcnt lgkmcnt(0)
	s_mul_i32 s1, s15, s21
	s_mul_hi_u32 s3, s15, s20
	s_mul_i32 s0, s15, s20
	s_add_i32 s1, s3, s1
	v_mad_i64_i32 v[2:3], null, s4, v0, 0
	s_lshl_b64 s[0:1], s[0:1], 3
	s_mul_i32 s17, s15, s17
	s_mul_hi_u32 s20, s15, s16
	s_add_u32 s10, s10, s0
	s_mul_i32 s2, s15, s16
	s_addc_u32 s11, s11, s1
	s_add_i32 s3, s20, s17
	s_mul_i32 s13, s15, s13
	s_lshl_b64 s[0:1], s[2:3], 3
	s_mul_hi_u32 s16, s15, s12
	v_lshlrev_b64 v[2:3], 3, v[2:3]
	v_mad_i64_i32 v[4:5], null, s7, v8, 0
	s_mul_i32 s2, s15, s12
	s_add_u32 s12, s22, s0
	s_addc_u32 s15, s23, s1
	s_add_i32 s3, s16, s13
	v_add_nc_u32_e32 v19, v16, v12
	s_lshl_b64 s[0:1], s[2:3], 3
	v_add_nc_u32_e32 v24, 0x800, v16
	s_add_u32 s2, s18, s0
	v_add_co_u32 v13, s0, s10, v2
	s_delay_alu instid0(VALU_DEP_1)
	v_add_co_ci_u32_e64 v14, s0, s11, v3, s0
	v_lshlrev_b64 v[2:3], 3, v[4:5]
	v_mad_i64_i32 v[4:5], null, s14, v8, 0
	s_addc_u32 s3, s19, s1
	v_cmp_gt_i32_e64 s0, s5, v8
	v_add_nc_u32_e32 v25, 0x1000, v16
	s_delay_alu instid0(VALU_DEP_4) | instskip(NEXT) | instid1(VALU_DEP_1)
	v_add_co_u32 v17, s1, s12, v2
	v_add_co_ci_u32_e64 v18, s1, s15, v3, s1
	v_lshlrev_b64 v[2:3], 3, v[4:5]
	v_mad_i64_i32 v[4:5], null, s7, v0, 0
	v_cmp_le_i32_e64 s1, v7, v6
	v_mad_i64_i32 v[6:7], null, s4, v8, 0
	v_lshlrev_b64 v[0:1], 3, v[0:1]
	v_add_co_u32 v8, s2, s2, v2
	s_delay_alu instid0(VALU_DEP_1) | instskip(SKIP_1) | instid1(VALU_DEP_3)
	v_add_co_ci_u32_e64 v9, s2, s3, v3, s2
	v_lshlrev_b64 v[2:3], 3, v[4:5]
	v_add_co_u32 v0, s2, v8, v0
	v_lshlrev_b64 v[4:5], 3, v[6:7]
	s_delay_alu instid0(VALU_DEP_4) | instskip(NEXT) | instid1(VALU_DEP_4)
	v_add_co_ci_u32_e64 v1, s2, v9, v1, s2
	v_add_co_u32 v20, s2, s12, v2
	s_delay_alu instid0(VALU_DEP_1) | instskip(NEXT) | instid1(VALU_DEP_4)
	v_add_co_ci_u32_e64 v21, s2, s15, v3, s2
	v_add_co_u32 v22, s2, s10, v4
	s_delay_alu instid0(VALU_DEP_1)
	v_add_co_ci_u32_e64 v23, s2, s11, v5, s2
	v_add_nc_u32_e32 v26, 0x1800, v16
	s_and_b32 s5, s0, vcc_lo
	s_mov_b32 s3, 0
	s_and_b32 s2, s5, s1
	s_branch .LBB1903_5
.LBB1903_4:                             ;   in Loop: Header=BB1903_5 Depth=1
	s_or_b32 exec_lo, exec_lo, s1
	s_add_i32 s3, s3, 32
	s_waitcnt_vscnt null, 0x0
	s_cmp_lt_i32 s3, s6
	s_barrier
	buffer_gl0_inv
	s_cbranch_scc0 .LBB1903_17
.LBB1903_5:                             ; =>This Inner Loop Header: Depth=1
	v_add_nc_u32_e32 v2, s3, v11
	v_mov_b32_e32 v6, 0
	v_mov_b32_e32 v7, 0
	s_delay_alu instid0(VALU_DEP_3) | instskip(SKIP_1) | instid1(VALU_DEP_3)
	v_cmp_gt_i32_e64 s1, s6, v2
	v_ashrrev_i32_e32 v3, 31, v2
	v_dual_mov_b32 v9, v7 :: v_dual_mov_b32 v8, v6
	s_delay_alu instid0(VALU_DEP_3) | instskip(NEXT) | instid1(SALU_CYCLE_1)
	s_and_b32 s4, vcc_lo, s1
	s_and_saveexec_b32 s5, s4
	s_cbranch_execz .LBB1903_7
; %bb.6:                                ;   in Loop: Header=BB1903_5 Depth=1
	v_lshlrev_b64 v[4:5], 3, v[2:3]
	s_delay_alu instid0(VALU_DEP_1) | instskip(NEXT) | instid1(VALU_DEP_1)
	v_add_co_u32 v4, s1, v13, v4
	v_add_co_ci_u32_e64 v5, s1, v14, v5, s1
	global_load_b64 v[8:9], v[4:5], off
.LBB1903_7:                             ;   in Loop: Header=BB1903_5 Depth=1
	s_or_b32 exec_lo, exec_lo, s5
	v_add_nc_u32_e32 v4, s3, v10
	s_waitcnt vmcnt(0)
	ds_store_b64 v15, v[8:9]
	v_cmp_gt_i32_e64 s1, s6, v4
	v_ashrrev_i32_e32 v5, 31, v4
	s_delay_alu instid0(VALU_DEP_2) | instskip(NEXT) | instid1(SALU_CYCLE_1)
	s_and_b32 s5, s0, s1
	s_and_saveexec_b32 s7, s5
	s_cbranch_execz .LBB1903_9
; %bb.8:                                ;   in Loop: Header=BB1903_5 Depth=1
	s_delay_alu instid0(VALU_DEP_1) | instskip(NEXT) | instid1(VALU_DEP_1)
	v_lshlrev_b64 v[6:7], 3, v[4:5]
	v_add_co_u32 v6, s1, v17, v6
	s_delay_alu instid0(VALU_DEP_1)
	v_add_co_ci_u32_e64 v7, s1, v18, v7, s1
	global_load_b64 v[6:7], v[6:7], off
.LBB1903_9:                             ;   in Loop: Header=BB1903_5 Depth=1
	s_or_b32 exec_lo, exec_lo, s7
	s_waitcnt vmcnt(0)
	ds_store_b64 v19, v[6:7]
	s_waitcnt lgkmcnt(0)
	s_barrier
	buffer_gl0_inv
	s_and_saveexec_b32 s1, s2
	s_cbranch_execz .LBB1903_11
; %bb.10:                               ;   in Loop: Header=BB1903_5 Depth=1
	ds_load_2addr_b64 v[6:9], v16 offset1:32
	ds_load_b128 v[27:30], v12
	ds_load_b128 v[31:34], v12 offset:16
	s_waitcnt lgkmcnt(1)
	v_fma_f64 v[6:7], v[27:28], v[6:7], 0
	s_delay_alu instid0(VALU_DEP_1) | instskip(SKIP_3) | instid1(VALU_DEP_1)
	v_fma_f64 v[27:28], v[29:30], v[8:9], v[6:7]
	ds_load_2addr_b64 v[6:9], v16 offset0:64 offset1:96
	s_waitcnt lgkmcnt(0)
	v_fma_f64 v[6:7], v[31:32], v[6:7], v[27:28]
	v_fma_f64 v[35:36], v[33:34], v[8:9], v[6:7]
	ds_load_2addr_b64 v[6:9], v16 offset0:128 offset1:160
	ds_load_b128 v[27:30], v12 offset:32
	ds_load_b128 v[31:34], v12 offset:48
	s_waitcnt lgkmcnt(1)
	v_fma_f64 v[6:7], v[27:28], v[6:7], v[35:36]
	s_delay_alu instid0(VALU_DEP_1) | instskip(SKIP_3) | instid1(VALU_DEP_1)
	v_fma_f64 v[27:28], v[29:30], v[8:9], v[6:7]
	ds_load_2addr_b64 v[6:9], v16 offset0:192 offset1:224
	s_waitcnt lgkmcnt(0)
	v_fma_f64 v[6:7], v[31:32], v[6:7], v[27:28]
	v_fma_f64 v[35:36], v[33:34], v[8:9], v[6:7]
	ds_load_2addr_b64 v[6:9], v24 offset1:32
	ds_load_b128 v[27:30], v12 offset:64
	ds_load_b128 v[31:34], v12 offset:80
	s_waitcnt lgkmcnt(1)
	v_fma_f64 v[6:7], v[27:28], v[6:7], v[35:36]
	s_delay_alu instid0(VALU_DEP_1) | instskip(SKIP_3) | instid1(VALU_DEP_1)
	v_fma_f64 v[27:28], v[29:30], v[8:9], v[6:7]
	ds_load_2addr_b64 v[6:9], v24 offset0:64 offset1:96
	s_waitcnt lgkmcnt(0)
	v_fma_f64 v[6:7], v[31:32], v[6:7], v[27:28]
	v_fma_f64 v[35:36], v[33:34], v[8:9], v[6:7]
	ds_load_2addr_b64 v[6:9], v24 offset0:128 offset1:160
	ds_load_b128 v[27:30], v12 offset:96
	ds_load_b128 v[31:34], v12 offset:112
	s_waitcnt lgkmcnt(1)
	v_fma_f64 v[6:7], v[27:28], v[6:7], v[35:36]
	s_delay_alu instid0(VALU_DEP_1) | instskip(SKIP_3) | instid1(VALU_DEP_1)
	v_fma_f64 v[27:28], v[29:30], v[8:9], v[6:7]
	ds_load_2addr_b64 v[6:9], v24 offset0:192 offset1:224
	s_waitcnt lgkmcnt(0)
	v_fma_f64 v[6:7], v[31:32], v[6:7], v[27:28]
	v_fma_f64 v[35:36], v[33:34], v[8:9], v[6:7]
	ds_load_2addr_b64 v[6:9], v25 offset1:32
	ds_load_b128 v[27:30], v12 offset:128
	;; [unrolled: 22-line block ×3, first 2 shown]
	global_load_b64 v[37:38], v[0:1], off
	ds_load_b128 v[31:34], v12 offset:208
	s_waitcnt lgkmcnt(1)
	v_fma_f64 v[6:7], v[27:28], v[6:7], v[35:36]
	s_delay_alu instid0(VALU_DEP_1) | instskip(SKIP_3) | instid1(VALU_DEP_1)
	v_fma_f64 v[27:28], v[29:30], v[8:9], v[6:7]
	ds_load_2addr_b64 v[6:9], v26 offset0:64 offset1:96
	s_waitcnt lgkmcnt(0)
	v_fma_f64 v[6:7], v[31:32], v[6:7], v[27:28]
	v_fma_f64 v[35:36], v[33:34], v[8:9], v[6:7]
	ds_load_2addr_b64 v[6:9], v26 offset0:128 offset1:160
	ds_load_b128 v[27:30], v12 offset:224
	ds_load_b128 v[31:34], v12 offset:240
	s_waitcnt lgkmcnt(1)
	v_fma_f64 v[6:7], v[27:28], v[6:7], v[35:36]
	s_delay_alu instid0(VALU_DEP_1) | instskip(SKIP_3) | instid1(VALU_DEP_1)
	v_fma_f64 v[27:28], v[29:30], v[8:9], v[6:7]
	ds_load_2addr_b64 v[6:9], v26 offset0:192 offset1:224
	s_waitcnt lgkmcnt(0)
	v_fma_f64 v[6:7], v[31:32], v[6:7], v[27:28]
	v_fma_f64 v[6:7], v[33:34], v[8:9], v[6:7]
	s_waitcnt vmcnt(0)
	s_delay_alu instid0(VALU_DEP_1)
	v_fma_f64 v[6:7], s[8:9], v[6:7], v[37:38]
	global_store_b64 v[0:1], v[6:7], off
.LBB1903_11:                            ;   in Loop: Header=BB1903_5 Depth=1
	s_or_b32 exec_lo, exec_lo, s1
	v_mov_b32_e32 v6, 0
	v_mov_b32_e32 v7, 0
	s_waitcnt_vscnt null, 0x0
	s_barrier
	buffer_gl0_inv
	v_dual_mov_b32 v9, v7 :: v_dual_mov_b32 v8, v6
	s_and_saveexec_b32 s7, s4
	s_cbranch_execz .LBB1903_13
; %bb.12:                               ;   in Loop: Header=BB1903_5 Depth=1
	v_lshlrev_b64 v[2:3], 3, v[2:3]
	s_delay_alu instid0(VALU_DEP_1) | instskip(NEXT) | instid1(VALU_DEP_1)
	v_add_co_u32 v2, s1, v20, v2
	v_add_co_ci_u32_e64 v3, s1, v21, v3, s1
	global_load_b64 v[8:9], v[2:3], off
.LBB1903_13:                            ;   in Loop: Header=BB1903_5 Depth=1
	s_or_b32 exec_lo, exec_lo, s7
	s_waitcnt vmcnt(0)
	ds_store_b64 v15, v[8:9]
	s_and_saveexec_b32 s4, s5
	s_cbranch_execz .LBB1903_15
; %bb.14:                               ;   in Loop: Header=BB1903_5 Depth=1
	v_lshlrev_b64 v[2:3], 3, v[4:5]
	s_delay_alu instid0(VALU_DEP_1) | instskip(NEXT) | instid1(VALU_DEP_1)
	v_add_co_u32 v2, s1, v22, v2
	v_add_co_ci_u32_e64 v3, s1, v23, v3, s1
	global_load_b64 v[6:7], v[2:3], off
.LBB1903_15:                            ;   in Loop: Header=BB1903_5 Depth=1
	s_or_b32 exec_lo, exec_lo, s4
	s_waitcnt vmcnt(0)
	ds_store_b64 v19, v[6:7]
	s_waitcnt lgkmcnt(0)
	s_barrier
	buffer_gl0_inv
	s_and_saveexec_b32 s1, s2
	s_cbranch_execz .LBB1903_4
; %bb.16:                               ;   in Loop: Header=BB1903_5 Depth=1
	ds_load_2addr_b64 v[2:5], v16 offset1:32
	ds_load_b128 v[6:9], v12
	ds_load_b128 v[27:30], v12 offset:16
	s_waitcnt lgkmcnt(1)
	v_fma_f64 v[2:3], v[6:7], v[2:3], 0
	s_delay_alu instid0(VALU_DEP_1) | instskip(SKIP_3) | instid1(VALU_DEP_1)
	v_fma_f64 v[6:7], v[8:9], v[4:5], v[2:3]
	ds_load_2addr_b64 v[2:5], v16 offset0:64 offset1:96
	s_waitcnt lgkmcnt(0)
	v_fma_f64 v[2:3], v[27:28], v[2:3], v[6:7]
	v_fma_f64 v[31:32], v[29:30], v[4:5], v[2:3]
	ds_load_2addr_b64 v[2:5], v16 offset0:128 offset1:160
	ds_load_b128 v[6:9], v12 offset:32
	ds_load_b128 v[27:30], v12 offset:48
	s_waitcnt lgkmcnt(1)
	v_fma_f64 v[2:3], v[6:7], v[2:3], v[31:32]
	s_delay_alu instid0(VALU_DEP_1) | instskip(SKIP_3) | instid1(VALU_DEP_1)
	v_fma_f64 v[6:7], v[8:9], v[4:5], v[2:3]
	ds_load_2addr_b64 v[2:5], v16 offset0:192 offset1:224
	s_waitcnt lgkmcnt(0)
	v_fma_f64 v[2:3], v[27:28], v[2:3], v[6:7]
	v_fma_f64 v[31:32], v[29:30], v[4:5], v[2:3]
	ds_load_2addr_b64 v[2:5], v24 offset1:32
	ds_load_b128 v[6:9], v12 offset:64
	ds_load_b128 v[27:30], v12 offset:80
	s_waitcnt lgkmcnt(1)
	v_fma_f64 v[2:3], v[6:7], v[2:3], v[31:32]
	s_delay_alu instid0(VALU_DEP_1) | instskip(SKIP_3) | instid1(VALU_DEP_1)
	v_fma_f64 v[6:7], v[8:9], v[4:5], v[2:3]
	ds_load_2addr_b64 v[2:5], v24 offset0:64 offset1:96
	s_waitcnt lgkmcnt(0)
	v_fma_f64 v[2:3], v[27:28], v[2:3], v[6:7]
	v_fma_f64 v[31:32], v[29:30], v[4:5], v[2:3]
	ds_load_2addr_b64 v[2:5], v24 offset0:128 offset1:160
	ds_load_b128 v[6:9], v12 offset:96
	ds_load_b128 v[27:30], v12 offset:112
	s_waitcnt lgkmcnt(1)
	v_fma_f64 v[2:3], v[6:7], v[2:3], v[31:32]
	s_delay_alu instid0(VALU_DEP_1) | instskip(SKIP_3) | instid1(VALU_DEP_1)
	v_fma_f64 v[6:7], v[8:9], v[4:5], v[2:3]
	ds_load_2addr_b64 v[2:5], v24 offset0:192 offset1:224
	s_waitcnt lgkmcnt(0)
	v_fma_f64 v[2:3], v[27:28], v[2:3], v[6:7]
	v_fma_f64 v[31:32], v[29:30], v[4:5], v[2:3]
	ds_load_2addr_b64 v[2:5], v25 offset1:32
	ds_load_b128 v[6:9], v12 offset:128
	;; [unrolled: 22-line block ×3, first 2 shown]
	global_load_b64 v[33:34], v[0:1], off
	ds_load_b128 v[27:30], v12 offset:208
	s_waitcnt lgkmcnt(1)
	v_fma_f64 v[2:3], v[6:7], v[2:3], v[31:32]
	s_delay_alu instid0(VALU_DEP_1) | instskip(SKIP_3) | instid1(VALU_DEP_1)
	v_fma_f64 v[6:7], v[8:9], v[4:5], v[2:3]
	ds_load_2addr_b64 v[2:5], v26 offset0:64 offset1:96
	s_waitcnt lgkmcnt(0)
	v_fma_f64 v[2:3], v[27:28], v[2:3], v[6:7]
	v_fma_f64 v[31:32], v[29:30], v[4:5], v[2:3]
	ds_load_2addr_b64 v[2:5], v26 offset0:128 offset1:160
	ds_load_b128 v[6:9], v12 offset:224
	ds_load_b128 v[27:30], v12 offset:240
	s_waitcnt lgkmcnt(1)
	v_fma_f64 v[2:3], v[6:7], v[2:3], v[31:32]
	s_delay_alu instid0(VALU_DEP_1) | instskip(SKIP_3) | instid1(VALU_DEP_1)
	v_fma_f64 v[6:7], v[8:9], v[4:5], v[2:3]
	ds_load_2addr_b64 v[2:5], v26 offset0:192 offset1:224
	s_waitcnt lgkmcnt(0)
	v_fma_f64 v[2:3], v[27:28], v[2:3], v[6:7]
	v_fma_f64 v[2:3], v[29:30], v[4:5], v[2:3]
	s_waitcnt vmcnt(0)
	s_delay_alu instid0(VALU_DEP_1)
	v_fma_f64 v[2:3], s[8:9], v[2:3], v[33:34]
	global_store_b64 v[0:1], v[2:3], off
	s_branch .LBB1903_4
.LBB1903_17:
	s_endpgm
	.section	.rodata,"a",@progbits
	.p2align	6, 0x0
	.amdhsa_kernel _ZL26rocblas_syr2k_her2k_kernelIiLb1ELb0ELb1ELi32EPKdS1_PdEvbiT_T4_T5_S3_lS5_S3_lT6_S3_li
		.amdhsa_group_segment_fixed_size 16384
		.amdhsa_private_segment_fixed_size 0
		.amdhsa_kernarg_size 100
		.amdhsa_user_sgpr_count 13
		.amdhsa_user_sgpr_dispatch_ptr 0
		.amdhsa_user_sgpr_queue_ptr 0
		.amdhsa_user_sgpr_kernarg_segment_ptr 1
		.amdhsa_user_sgpr_dispatch_id 0
		.amdhsa_user_sgpr_private_segment_size 0
		.amdhsa_wavefront_size32 1
		.amdhsa_uses_dynamic_stack 0
		.amdhsa_enable_private_segment 0
		.amdhsa_system_sgpr_workgroup_id_x 1
		.amdhsa_system_sgpr_workgroup_id_y 1
		.amdhsa_system_sgpr_workgroup_id_z 1
		.amdhsa_system_sgpr_workgroup_info 0
		.amdhsa_system_vgpr_workitem_id 1
		.amdhsa_next_free_vgpr 39
		.amdhsa_next_free_sgpr 24
		.amdhsa_reserve_vcc 1
		.amdhsa_float_round_mode_32 0
		.amdhsa_float_round_mode_16_64 0
		.amdhsa_float_denorm_mode_32 3
		.amdhsa_float_denorm_mode_16_64 3
		.amdhsa_dx10_clamp 1
		.amdhsa_ieee_mode 1
		.amdhsa_fp16_overflow 0
		.amdhsa_workgroup_processor_mode 1
		.amdhsa_memory_ordered 1
		.amdhsa_forward_progress 0
		.amdhsa_shared_vgpr_count 0
		.amdhsa_exception_fp_ieee_invalid_op 0
		.amdhsa_exception_fp_denorm_src 0
		.amdhsa_exception_fp_ieee_div_zero 0
		.amdhsa_exception_fp_ieee_overflow 0
		.amdhsa_exception_fp_ieee_underflow 0
		.amdhsa_exception_fp_ieee_inexact 0
		.amdhsa_exception_int_div_zero 0
	.end_amdhsa_kernel
	.section	.text._ZL26rocblas_syr2k_her2k_kernelIiLb1ELb0ELb1ELi32EPKdS1_PdEvbiT_T4_T5_S3_lS5_S3_lT6_S3_li,"axG",@progbits,_ZL26rocblas_syr2k_her2k_kernelIiLb1ELb0ELb1ELi32EPKdS1_PdEvbiT_T4_T5_S3_lS5_S3_lT6_S3_li,comdat
.Lfunc_end1903:
	.size	_ZL26rocblas_syr2k_her2k_kernelIiLb1ELb0ELb1ELi32EPKdS1_PdEvbiT_T4_T5_S3_lS5_S3_lT6_S3_li, .Lfunc_end1903-_ZL26rocblas_syr2k_her2k_kernelIiLb1ELb0ELb1ELi32EPKdS1_PdEvbiT_T4_T5_S3_lS5_S3_lT6_S3_li
                                        ; -- End function
	.section	.AMDGPU.csdata,"",@progbits
; Kernel info:
; codeLenInByte = 2304
; NumSgprs: 26
; NumVgprs: 39
; ScratchSize: 0
; MemoryBound: 0
; FloatMode: 240
; IeeeMode: 1
; LDSByteSize: 16384 bytes/workgroup (compile time only)
; SGPRBlocks: 3
; VGPRBlocks: 4
; NumSGPRsForWavesPerEU: 26
; NumVGPRsForWavesPerEU: 39
; Occupancy: 16
; WaveLimiterHint : 0
; COMPUTE_PGM_RSRC2:SCRATCH_EN: 0
; COMPUTE_PGM_RSRC2:USER_SGPR: 13
; COMPUTE_PGM_RSRC2:TRAP_HANDLER: 0
; COMPUTE_PGM_RSRC2:TGID_X_EN: 1
; COMPUTE_PGM_RSRC2:TGID_Y_EN: 1
; COMPUTE_PGM_RSRC2:TGID_Z_EN: 1
; COMPUTE_PGM_RSRC2:TIDIG_COMP_CNT: 1
	.section	.text._ZL26rocblas_syr2k_her2k_kernelIiLb1ELb0ELb0ELi32E19rocblas_complex_numIfEPKS1_PS1_EvbiT_T4_T5_S5_lS7_S5_lT6_S5_li,"axG",@progbits,_ZL26rocblas_syr2k_her2k_kernelIiLb1ELb0ELb0ELi32E19rocblas_complex_numIfEPKS1_PS1_EvbiT_T4_T5_S5_lS7_S5_lT6_S5_li,comdat
	.globl	_ZL26rocblas_syr2k_her2k_kernelIiLb1ELb0ELb0ELi32E19rocblas_complex_numIfEPKS1_PS1_EvbiT_T4_T5_S5_lS7_S5_lT6_S5_li ; -- Begin function _ZL26rocblas_syr2k_her2k_kernelIiLb1ELb0ELb0ELi32E19rocblas_complex_numIfEPKS1_PS1_EvbiT_T4_T5_S5_lS7_S5_lT6_S5_li
	.p2align	8
	.type	_ZL26rocblas_syr2k_her2k_kernelIiLb1ELb0ELb0ELi32E19rocblas_complex_numIfEPKS1_PS1_EvbiT_T4_T5_S5_lS7_S5_lT6_S5_li,@function
_ZL26rocblas_syr2k_her2k_kernelIiLb1ELb0ELb0ELi32E19rocblas_complex_numIfEPKS1_PS1_EvbiT_T4_T5_S5_lS7_S5_lT6_S5_li: ; @_ZL26rocblas_syr2k_her2k_kernelIiLb1ELb0ELb0ELi32E19rocblas_complex_numIfEPKS1_PS1_EvbiT_T4_T5_S5_lS7_S5_lT6_S5_li
; %bb.0:
	s_clause 0x1
	s_load_b128 s[4:7], s[0:1], 0x0
	s_load_b32 s3, s[0:1], 0x10
	s_waitcnt lgkmcnt(0)
	v_cmp_eq_f32_e64 s2, s7, 0
	v_cmp_eq_f32_e64 s8, s3, 0
	s_delay_alu instid0(VALU_DEP_1) | instskip(NEXT) | instid1(SALU_CYCLE_1)
	s_and_b32 s2, s2, s8
	s_and_b32 vcc_lo, exec_lo, s2
	s_cbranch_vccnz .LBB1904_17
; %bb.1:
	s_and_b32 s8, 1, s4
	s_lshl_b32 s2, s14, 5
	s_lshl_b32 s4, s13, 5
	s_cmp_eq_u32 s8, 1
	s_cselect_b32 vcc_lo, -1, 0
	s_delay_alu instid0(SALU_CYCLE_1) | instskip(SKIP_2) | instid1(SALU_CYCLE_1)
	s_and_b32 s8, vcc_lo, exec_lo
	s_cselect_b32 s8, s4, s2
	s_cselect_b32 s9, s2, s4
	s_cmp_gt_i32 s8, s9
	s_cbranch_scc1 .LBB1904_17
; %bb.2:
	s_cmp_lt_i32 s6, 1
	s_cbranch_scc1 .LBB1904_17
; %bb.3:
	s_clause 0x1
	s_load_b128 s[16:19], s[0:1], 0x28
	s_load_b128 s[8:11], s[0:1], 0x40
	v_bfe_u32 v6, v0, 10, 10
	v_and_b32_e32 v7, 0x3ff, v0
	s_clause 0x1
	s_load_b64 s[20:21], s[0:1], 0x58
	s_load_b64 s[22:23], s[0:1], 0x18
	v_add_nc_u32_e32 v0, s2, v6
	v_add_nc_u32_e32 v1, s4, v7
	s_clause 0x2
	s_load_b32 s4, s[0:1], 0x20
	s_load_b32 s12, s[0:1], 0x38
	;; [unrolled: 1-line block ×3, first 2 shown]
	v_lshlrev_b32_e32 v12, 3, v6
	v_dual_cndmask_b32 v17, v0, v1 :: v_dual_lshlrev_b32 v8, 8, v7
	v_ashrrev_i32_e32 v2, 31, v1
	v_cndmask_b32_e32 v16, v1, v0, vcc_lo
	v_cmp_gt_i32_e32 vcc_lo, s5, v1
	s_delay_alu instid0(VALU_DEP_4)
	v_add_nc_u32_e32 v11, v8, v12
	v_or_b32_e32 v12, 0x2000, v12
	v_lshlrev_b64 v[2:3], 3, v[1:2]
	s_waitcnt lgkmcnt(0)
	s_mul_i32 s1, s15, s17
	s_mul_hi_u32 s13, s15, s16
	s_mul_i32 s0, s15, s16
	s_add_i32 s1, s13, s1
	s_mul_i32 s9, s15, s9
	s_lshl_b64 s[0:1], s[0:1], 3
	s_mul_hi_u32 s14, s15, s8
	s_add_u32 s16, s22, s0
	s_mul_i32 s8, s15, s8
	s_addc_u32 s17, s23, s1
	s_add_i32 s9, s14, s9
	s_mul_i32 s13, s15, s21
	s_lshl_b64 s[0:1], s[8:9], 3
	s_mul_hi_u32 s14, s15, s20
	s_mul_i32 s8, s15, s20
	s_add_u32 s15, s18, s0
	v_mad_i64_i32 v[4:5], null, s2, v0, 0
	s_addc_u32 s18, s19, s1
	s_add_i32 s9, s14, s13
	v_ashrrev_i32_e32 v1, 31, v0
	s_lshl_b64 s[0:1], s[8:9], 3
	v_add_nc_u32_e32 v15, v12, v8
	s_add_u32 s8, s10, s0
	v_add_co_u32 v9, s0, s16, v2
	s_delay_alu instid0(VALU_DEP_1)
	v_add_co_ci_u32_e64 v10, s0, s17, v3, s0
	v_lshlrev_b64 v[18:19], 3, v[0:1]
	v_cmp_gt_i32_e64 s0, s5, v0
	v_lshlrev_b64 v[0:1], 3, v[4:5]
	s_addc_u32 s9, s11, s1
	v_add_nc_u32_e32 v20, 0x800, v12
	v_add_nc_u32_e32 v21, 0x1000, v12
	v_add_co_u32 v13, s1, s15, v18
	s_delay_alu instid0(VALU_DEP_4) | instskip(NEXT) | instid1(VALU_DEP_1)
	v_add_co_u32 v0, s2, s8, v0
	v_add_co_ci_u32_e64 v1, s2, s9, v1, s2
	v_add_co_ci_u32_e64 v14, s1, s18, v19, s1
	s_delay_alu instid0(VALU_DEP_3) | instskip(NEXT) | instid1(VALU_DEP_1)
	v_add_co_u32 v0, s2, v0, v2
	v_add_co_ci_u32_e64 v1, s2, v1, v3, s2
	v_cmp_le_i32_e64 s1, v17, v16
	v_add_co_u32 v16, s2, s15, v2
	s_delay_alu instid0(VALU_DEP_1) | instskip(SKIP_1) | instid1(VALU_DEP_1)
	v_add_co_ci_u32_e64 v17, s2, s18, v3, s2
	v_add_co_u32 v18, s2, s16, v18
	v_add_co_ci_u32_e64 v19, s2, s17, v19, s2
	v_add_nc_u32_e32 v22, 0x1800, v12
	s_and_b32 s5, s0, vcc_lo
	s_delay_alu instid0(SALU_CYCLE_1)
	s_and_b32 s2, s5, s1
	s_mov_b32 s5, 0
	s_branch .LBB1904_5
.LBB1904_4:                             ;   in Loop: Header=BB1904_5 Depth=1
	s_or_b32 exec_lo, exec_lo, s1
	s_add_i32 s5, s5, 32
	s_waitcnt_vscnt null, 0x0
	s_cmp_lt_i32 s5, s6
	s_barrier
	buffer_gl0_inv
	s_cbranch_scc0 .LBB1904_17
.LBB1904_5:                             ; =>This Inner Loop Header: Depth=1
	v_dual_mov_b32 v2, 0 :: v_dual_add_nc_u32 v23, s5, v6
	v_dual_mov_b32 v4, 0 :: v_dual_mov_b32 v5, 0
	s_delay_alu instid0(VALU_DEP_2) | instskip(NEXT) | instid1(VALU_DEP_1)
	v_cmp_gt_i32_e64 s1, s6, v23
	s_and_b32 s8, vcc_lo, s1
	s_delay_alu instid0(SALU_CYCLE_1)
	s_and_saveexec_b32 s9, s8
	s_cbranch_execz .LBB1904_7
; %bb.6:                                ;   in Loop: Header=BB1904_5 Depth=1
	v_mad_i64_i32 v[3:4], null, v23, s4, 0
	s_delay_alu instid0(VALU_DEP_1) | instskip(NEXT) | instid1(VALU_DEP_1)
	v_lshlrev_b64 v[3:4], 3, v[3:4]
	v_add_co_u32 v3, s1, v9, v3
	s_delay_alu instid0(VALU_DEP_1)
	v_add_co_ci_u32_e64 v4, s1, v10, v4, s1
	global_load_b64 v[4:5], v[3:4], off
.LBB1904_7:                             ;   in Loop: Header=BB1904_5 Depth=1
	s_or_b32 exec_lo, exec_lo, s9
	v_dual_mov_b32 v3, 0 :: v_dual_add_nc_u32 v24, s5, v7
	s_waitcnt vmcnt(0)
	ds_store_b64 v11, v[4:5]
	v_cmp_gt_i32_e64 s1, s6, v24
	s_delay_alu instid0(VALU_DEP_1) | instskip(NEXT) | instid1(SALU_CYCLE_1)
	s_and_b32 s9, s0, s1
	s_and_saveexec_b32 s10, s9
	s_cbranch_execz .LBB1904_9
; %bb.8:                                ;   in Loop: Header=BB1904_5 Depth=1
	v_mad_i64_i32 v[2:3], null, v24, s12, 0
	s_delay_alu instid0(VALU_DEP_1) | instskip(NEXT) | instid1(VALU_DEP_1)
	v_lshlrev_b64 v[2:3], 3, v[2:3]
	v_add_co_u32 v2, s1, v13, v2
	s_delay_alu instid0(VALU_DEP_1)
	v_add_co_ci_u32_e64 v3, s1, v14, v3, s1
	global_load_b64 v[2:3], v[2:3], off
.LBB1904_9:                             ;   in Loop: Header=BB1904_5 Depth=1
	s_or_b32 exec_lo, exec_lo, s10
	s_waitcnt vmcnt(0)
	ds_store_b64 v15, v[2:3]
	s_waitcnt lgkmcnt(0)
	s_barrier
	buffer_gl0_inv
	s_and_saveexec_b32 s1, s2
	s_cbranch_execz .LBB1904_11
; %bb.10:                               ;   in Loop: Header=BB1904_5 Depth=1
	ds_load_b128 v[2:5], v8
	ds_load_b128 v[25:28], v8 offset:16
	ds_load_b128 v[29:32], v8 offset:32
	;; [unrolled: 1-line block ×3, first 2 shown]
	ds_load_2addr_b64 v[37:40], v12 offset1:32
	s_waitcnt lgkmcnt(0)
	v_mul_f32_e32 v41, v38, v3
	s_delay_alu instid0(VALU_DEP_1) | instskip(SKIP_3) | instid1(VALU_DEP_3)
	v_fma_f32 v41, v37, v2, -v41
	v_mul_f32_e32 v3, v37, v3
	v_mul_f32_e32 v37, v40, v5
	;; [unrolled: 1-line block ×3, first 2 shown]
	v_dual_fmac_f32 v3, v38, v2 :: v_dual_add_f32 v2, 0, v41
	s_delay_alu instid0(VALU_DEP_3) | instskip(NEXT) | instid1(VALU_DEP_3)
	v_fma_f32 v37, v39, v4, -v37
	v_fmac_f32_e32 v5, v40, v4
	s_delay_alu instid0(VALU_DEP_3) | instskip(NEXT) | instid1(VALU_DEP_3)
	v_add_f32_e32 v3, 0, v3
	v_add_f32_e32 v37, v2, v37
	s_delay_alu instid0(VALU_DEP_2) | instskip(SKIP_3) | instid1(VALU_DEP_1)
	v_add_f32_e32 v38, v3, v5
	ds_load_2addr_b64 v[2:5], v12 offset0:64 offset1:96
	s_waitcnt lgkmcnt(0)
	v_mul_f32_e32 v39, v3, v26
	v_fma_f32 v39, v2, v25, -v39
	v_mul_f32_e32 v2, v2, v26
	s_delay_alu instid0(VALU_DEP_1) | instskip(NEXT) | instid1(VALU_DEP_1)
	v_dual_fmac_f32 v2, v3, v25 :: v_dual_mul_f32 v25, v5, v28
	v_add_f32_e32 v2, v38, v2
	s_delay_alu instid0(VALU_DEP_2) | instskip(SKIP_1) | instid1(VALU_DEP_1)
	v_fma_f32 v25, v4, v27, -v25
	v_mul_f32_e32 v4, v4, v28
	v_fmac_f32_e32 v4, v5, v27
	s_delay_alu instid0(VALU_DEP_1) | instskip(NEXT) | instid1(VALU_DEP_1)
	v_dual_add_f32 v3, v37, v39 :: v_dual_add_f32 v26, v2, v4
	v_add_f32_e32 v25, v3, v25
	ds_load_2addr_b64 v[2:5], v12 offset0:128 offset1:160
	s_waitcnt lgkmcnt(0)
	v_mul_f32_e32 v27, v3, v30
	s_delay_alu instid0(VALU_DEP_1) | instskip(SKIP_1) | instid1(VALU_DEP_1)
	v_fma_f32 v27, v2, v29, -v27
	v_mul_f32_e32 v2, v2, v30
	v_fmac_f32_e32 v2, v3, v29
	s_delay_alu instid0(VALU_DEP_1) | instskip(SKIP_1) | instid1(VALU_DEP_1)
	v_dual_add_f32 v2, v26, v2 :: v_dual_add_f32 v3, v25, v27
	v_mul_f32_e32 v25, v5, v32
	v_fma_f32 v25, v4, v31, -v25
	v_mul_f32_e32 v4, v4, v32
	s_delay_alu instid0(VALU_DEP_1) | instskip(NEXT) | instid1(VALU_DEP_1)
	v_fmac_f32_e32 v4, v5, v31
	v_dual_add_f32 v26, v2, v4 :: v_dual_add_f32 v25, v3, v25
	ds_load_2addr_b64 v[2:5], v12 offset0:192 offset1:224
	s_waitcnt lgkmcnt(0)
	v_mul_f32_e32 v27, v3, v34
	s_delay_alu instid0(VALU_DEP_1) | instskip(SKIP_1) | instid1(VALU_DEP_1)
	v_fma_f32 v27, v2, v33, -v27
	v_mul_f32_e32 v2, v2, v34
	v_fmac_f32_e32 v2, v3, v33
	s_delay_alu instid0(VALU_DEP_1) | instskip(SKIP_1) | instid1(VALU_DEP_1)
	v_dual_add_f32 v2, v26, v2 :: v_dual_add_f32 v3, v25, v27
	v_mul_f32_e32 v25, v5, v36
	v_fma_f32 v25, v4, v35, -v25
	s_delay_alu instid0(VALU_DEP_1) | instskip(NEXT) | instid1(VALU_DEP_1)
	v_dual_mul_f32 v4, v4, v36 :: v_dual_add_f32 v29, v3, v25
	v_fmac_f32_e32 v4, v5, v35
	s_delay_alu instid0(VALU_DEP_1)
	v_add_f32_e32 v30, v2, v4
	ds_load_b128 v[2:5], v8 offset:64
	ds_load_2addr_b64 v[25:28], v20 offset1:32
	s_waitcnt lgkmcnt(0)
	v_mul_f32_e32 v31, v26, v3
	v_mul_f32_e32 v3, v25, v3
	s_delay_alu instid0(VALU_DEP_2) | instskip(NEXT) | instid1(VALU_DEP_2)
	v_fma_f32 v31, v25, v2, -v31
	v_fmac_f32_e32 v3, v26, v2
	v_mul_f32_e32 v25, v28, v5
	s_delay_alu instid0(VALU_DEP_3) | instskip(NEXT) | instid1(VALU_DEP_3)
	v_dual_mul_f32 v5, v27, v5 :: v_dual_add_f32 v2, v29, v31
	v_add_f32_e32 v3, v30, v3
	s_delay_alu instid0(VALU_DEP_3) | instskip(NEXT) | instid1(VALU_DEP_3)
	v_fma_f32 v25, v27, v4, -v25
	v_fmac_f32_e32 v5, v28, v4
	s_delay_alu instid0(VALU_DEP_2) | instskip(NEXT) | instid1(VALU_DEP_2)
	v_add_f32_e32 v29, v2, v25
	v_add_f32_e32 v30, v3, v5
	ds_load_b128 v[2:5], v8 offset:80
	ds_load_2addr_b64 v[25:28], v20 offset0:64 offset1:96
	s_waitcnt lgkmcnt(0)
	v_mul_f32_e32 v31, v26, v3
	v_mul_f32_e32 v3, v25, v3
	s_delay_alu instid0(VALU_DEP_2) | instskip(NEXT) | instid1(VALU_DEP_2)
	v_fma_f32 v31, v25, v2, -v31
	v_fmac_f32_e32 v3, v26, v2
	v_mul_f32_e32 v25, v28, v5
	s_delay_alu instid0(VALU_DEP_3) | instskip(NEXT) | instid1(VALU_DEP_3)
	v_dual_mul_f32 v5, v27, v5 :: v_dual_add_f32 v2, v29, v31
	v_add_f32_e32 v3, v30, v3
	s_delay_alu instid0(VALU_DEP_3) | instskip(NEXT) | instid1(VALU_DEP_3)
	v_fma_f32 v25, v27, v4, -v25
	v_fmac_f32_e32 v5, v28, v4
	s_delay_alu instid0(VALU_DEP_2) | instskip(NEXT) | instid1(VALU_DEP_2)
	v_add_f32_e32 v29, v2, v25
	v_add_f32_e32 v30, v3, v5
	ds_load_b128 v[2:5], v8 offset:96
	ds_load_2addr_b64 v[25:28], v20 offset0:128 offset1:160
	;; [unrolled: 18-line block ×3, first 2 shown]
	s_waitcnt lgkmcnt(0)
	v_mul_f32_e32 v31, v26, v3
	v_mul_f32_e32 v3, v25, v3
	s_delay_alu instid0(VALU_DEP_2) | instskip(NEXT) | instid1(VALU_DEP_2)
	v_fma_f32 v31, v25, v2, -v31
	v_fmac_f32_e32 v3, v26, v2
	v_mul_f32_e32 v25, v28, v5
	s_delay_alu instid0(VALU_DEP_3) | instskip(NEXT) | instid1(VALU_DEP_3)
	v_dual_mul_f32 v5, v27, v5 :: v_dual_add_f32 v2, v29, v31
	v_add_f32_e32 v3, v30, v3
	s_delay_alu instid0(VALU_DEP_3) | instskip(NEXT) | instid1(VALU_DEP_3)
	v_fma_f32 v25, v27, v4, -v25
	v_fmac_f32_e32 v5, v28, v4
	s_delay_alu instid0(VALU_DEP_2) | instskip(NEXT) | instid1(VALU_DEP_2)
	v_add_f32_e32 v29, v2, v25
	v_add_f32_e32 v30, v3, v5
	ds_load_b128 v[2:5], v8 offset:128
	ds_load_2addr_b64 v[25:28], v21 offset1:32
	s_waitcnt lgkmcnt(0)
	v_mul_f32_e32 v31, v26, v3
	v_mul_f32_e32 v3, v25, v3
	s_delay_alu instid0(VALU_DEP_2) | instskip(NEXT) | instid1(VALU_DEP_2)
	v_fma_f32 v31, v25, v2, -v31
	v_fmac_f32_e32 v3, v26, v2
	v_mul_f32_e32 v25, v28, v5
	s_delay_alu instid0(VALU_DEP_3) | instskip(NEXT) | instid1(VALU_DEP_3)
	v_dual_mul_f32 v5, v27, v5 :: v_dual_add_f32 v2, v29, v31
	v_add_f32_e32 v3, v30, v3
	s_delay_alu instid0(VALU_DEP_3) | instskip(NEXT) | instid1(VALU_DEP_3)
	v_fma_f32 v25, v27, v4, -v25
	v_fmac_f32_e32 v5, v28, v4
	s_delay_alu instid0(VALU_DEP_2) | instskip(NEXT) | instid1(VALU_DEP_2)
	v_add_f32_e32 v29, v2, v25
	v_add_f32_e32 v30, v3, v5
	ds_load_b128 v[2:5], v8 offset:144
	ds_load_2addr_b64 v[25:28], v21 offset0:64 offset1:96
	s_waitcnt lgkmcnt(0)
	v_mul_f32_e32 v31, v26, v3
	v_mul_f32_e32 v3, v25, v3
	s_delay_alu instid0(VALU_DEP_2) | instskip(NEXT) | instid1(VALU_DEP_2)
	v_fma_f32 v31, v25, v2, -v31
	v_fmac_f32_e32 v3, v26, v2
	v_mul_f32_e32 v25, v28, v5
	s_delay_alu instid0(VALU_DEP_3) | instskip(NEXT) | instid1(VALU_DEP_3)
	v_dual_mul_f32 v5, v27, v5 :: v_dual_add_f32 v2, v29, v31
	v_add_f32_e32 v3, v30, v3
	s_delay_alu instid0(VALU_DEP_3) | instskip(NEXT) | instid1(VALU_DEP_3)
	v_fma_f32 v25, v27, v4, -v25
	v_fmac_f32_e32 v5, v28, v4
	s_delay_alu instid0(VALU_DEP_2) | instskip(NEXT) | instid1(VALU_DEP_2)
	v_add_f32_e32 v29, v2, v25
	v_add_f32_e32 v30, v3, v5
	ds_load_b128 v[2:5], v8 offset:160
	ds_load_2addr_b64 v[25:28], v21 offset0:128 offset1:160
	s_waitcnt lgkmcnt(0)
	v_mul_f32_e32 v31, v26, v3
	v_mul_f32_e32 v3, v25, v3
	s_delay_alu instid0(VALU_DEP_2) | instskip(NEXT) | instid1(VALU_DEP_2)
	v_fma_f32 v31, v25, v2, -v31
	v_fmac_f32_e32 v3, v26, v2
	v_mul_f32_e32 v25, v28, v5
	s_delay_alu instid0(VALU_DEP_3) | instskip(NEXT) | instid1(VALU_DEP_3)
	v_dual_mul_f32 v5, v27, v5 :: v_dual_add_f32 v2, v29, v31
	v_add_f32_e32 v3, v30, v3
	s_delay_alu instid0(VALU_DEP_3) | instskip(NEXT) | instid1(VALU_DEP_3)
	v_fma_f32 v25, v27, v4, -v25
	v_fmac_f32_e32 v5, v28, v4
	s_delay_alu instid0(VALU_DEP_2) | instskip(NEXT) | instid1(VALU_DEP_2)
	v_add_f32_e32 v29, v2, v25
	v_add_f32_e32 v30, v3, v5
	ds_load_b128 v[2:5], v8 offset:176
	ds_load_2addr_b64 v[25:28], v21 offset0:192 offset1:224
	s_waitcnt lgkmcnt(0)
	v_mul_f32_e32 v31, v26, v3
	v_mul_f32_e32 v3, v25, v3
	s_delay_alu instid0(VALU_DEP_2) | instskip(NEXT) | instid1(VALU_DEP_2)
	v_fma_f32 v31, v25, v2, -v31
	v_fmac_f32_e32 v3, v26, v2
	v_mul_f32_e32 v25, v28, v5
	s_delay_alu instid0(VALU_DEP_3) | instskip(NEXT) | instid1(VALU_DEP_3)
	v_dual_mul_f32 v5, v27, v5 :: v_dual_add_f32 v2, v29, v31
	v_add_f32_e32 v3, v30, v3
	s_delay_alu instid0(VALU_DEP_3) | instskip(NEXT) | instid1(VALU_DEP_3)
	v_fma_f32 v25, v27, v4, -v25
	v_fmac_f32_e32 v5, v28, v4
	s_delay_alu instid0(VALU_DEP_2) | instskip(NEXT) | instid1(VALU_DEP_2)
	v_add_f32_e32 v29, v2, v25
	v_add_f32_e32 v30, v3, v5
	ds_load_b128 v[2:5], v8 offset:192
	ds_load_2addr_b64 v[25:28], v22 offset1:32
	s_waitcnt lgkmcnt(0)
	v_mul_f32_e32 v31, v26, v3
	v_mul_f32_e32 v3, v25, v3
	s_delay_alu instid0(VALU_DEP_2) | instskip(NEXT) | instid1(VALU_DEP_2)
	v_fma_f32 v31, v25, v2, -v31
	v_fmac_f32_e32 v3, v26, v2
	v_mul_f32_e32 v25, v28, v5
	s_delay_alu instid0(VALU_DEP_3) | instskip(NEXT) | instid1(VALU_DEP_3)
	v_dual_mul_f32 v5, v27, v5 :: v_dual_add_f32 v2, v29, v31
	v_add_f32_e32 v3, v30, v3
	s_delay_alu instid0(VALU_DEP_3) | instskip(NEXT) | instid1(VALU_DEP_3)
	v_fma_f32 v25, v27, v4, -v25
	v_fmac_f32_e32 v5, v28, v4
	s_delay_alu instid0(VALU_DEP_2) | instskip(NEXT) | instid1(VALU_DEP_2)
	v_add_f32_e32 v29, v2, v25
	v_add_f32_e32 v30, v3, v5
	ds_load_b128 v[2:5], v8 offset:208
	ds_load_2addr_b64 v[25:28], v22 offset0:64 offset1:96
	s_waitcnt lgkmcnt(0)
	v_mul_f32_e32 v31, v26, v3
	v_mul_f32_e32 v3, v25, v3
	s_delay_alu instid0(VALU_DEP_2) | instskip(NEXT) | instid1(VALU_DEP_2)
	v_fma_f32 v31, v25, v2, -v31
	v_fmac_f32_e32 v3, v26, v2
	v_mul_f32_e32 v25, v28, v5
	s_delay_alu instid0(VALU_DEP_3) | instskip(NEXT) | instid1(VALU_DEP_3)
	v_dual_mul_f32 v5, v27, v5 :: v_dual_add_f32 v2, v29, v31
	v_add_f32_e32 v3, v30, v3
	s_delay_alu instid0(VALU_DEP_3) | instskip(NEXT) | instid1(VALU_DEP_3)
	v_fma_f32 v25, v27, v4, -v25
	v_fmac_f32_e32 v5, v28, v4
	s_delay_alu instid0(VALU_DEP_2) | instskip(NEXT) | instid1(VALU_DEP_2)
	v_add_f32_e32 v29, v2, v25
	v_add_f32_e32 v30, v3, v5
	ds_load_b128 v[2:5], v8 offset:224
	ds_load_2addr_b64 v[25:28], v22 offset0:128 offset1:160
	;; [unrolled: 18-line block ×3, first 2 shown]
	s_waitcnt lgkmcnt(0)
	v_mul_f32_e32 v31, v26, v3
	v_mul_f32_e32 v3, v25, v3
	s_delay_alu instid0(VALU_DEP_2) | instskip(NEXT) | instid1(VALU_DEP_2)
	v_fma_f32 v31, v25, v2, -v31
	v_fmac_f32_e32 v3, v26, v2
	v_mul_f32_e32 v25, v28, v5
	s_delay_alu instid0(VALU_DEP_3) | instskip(NEXT) | instid1(VALU_DEP_3)
	v_dual_mul_f32 v5, v27, v5 :: v_dual_add_f32 v2, v29, v31
	v_add_f32_e32 v3, v30, v3
	s_delay_alu instid0(VALU_DEP_3) | instskip(NEXT) | instid1(VALU_DEP_1)
	v_fma_f32 v25, v27, v4, -v25
	v_dual_fmac_f32 v5, v28, v4 :: v_dual_add_f32 v4, v2, v25
	s_delay_alu instid0(VALU_DEP_1) | instskip(NEXT) | instid1(VALU_DEP_1)
	v_add_f32_e32 v3, v3, v5
	v_mul_f32_e32 v2, s3, v3
	v_mul_f32_e32 v3, s7, v3
	s_delay_alu instid0(VALU_DEP_2) | instskip(NEXT) | instid1(VALU_DEP_2)
	v_fma_f32 v2, s7, v4, -v2
	v_fmac_f32_e32 v3, s3, v4
	global_load_b64 v[4:5], v[0:1], off
	s_waitcnt vmcnt(0)
	v_dual_add_f32 v2, v4, v2 :: v_dual_add_f32 v3, v5, v3
	global_store_b64 v[0:1], v[2:3], off
.LBB1904_11:                            ;   in Loop: Header=BB1904_5 Depth=1
	s_or_b32 exec_lo, exec_lo, s1
	v_dual_mov_b32 v3, 0 :: v_dual_mov_b32 v4, 0
	v_mov_b32_e32 v5, 0
	s_waitcnt_vscnt null, 0x0
	s_barrier
	buffer_gl0_inv
	s_and_saveexec_b32 s10, s8
	s_cbranch_execz .LBB1904_13
; %bb.12:                               ;   in Loop: Header=BB1904_5 Depth=1
	v_mad_i64_i32 v[4:5], null, v23, s12, 0
	s_delay_alu instid0(VALU_DEP_1) | instskip(NEXT) | instid1(VALU_DEP_1)
	v_lshlrev_b64 v[4:5], 3, v[4:5]
	v_add_co_u32 v4, s1, v16, v4
	s_delay_alu instid0(VALU_DEP_1)
	v_add_co_ci_u32_e64 v5, s1, v17, v5, s1
	global_load_b64 v[4:5], v[4:5], off
.LBB1904_13:                            ;   in Loop: Header=BB1904_5 Depth=1
	s_or_b32 exec_lo, exec_lo, s10
	v_mov_b32_e32 v2, 0
	s_waitcnt vmcnt(0)
	ds_store_b64 v11, v[4:5]
	s_and_saveexec_b32 s8, s9
	s_cbranch_execz .LBB1904_15
; %bb.14:                               ;   in Loop: Header=BB1904_5 Depth=1
	v_mad_i64_i32 v[2:3], null, v24, s4, 0
	s_delay_alu instid0(VALU_DEP_1) | instskip(NEXT) | instid1(VALU_DEP_1)
	v_lshlrev_b64 v[2:3], 3, v[2:3]
	v_add_co_u32 v2, s1, v18, v2
	s_delay_alu instid0(VALU_DEP_1)
	v_add_co_ci_u32_e64 v3, s1, v19, v3, s1
	global_load_b64 v[2:3], v[2:3], off
.LBB1904_15:                            ;   in Loop: Header=BB1904_5 Depth=1
	s_or_b32 exec_lo, exec_lo, s8
	s_waitcnt vmcnt(0)
	ds_store_b64 v15, v[2:3]
	s_waitcnt lgkmcnt(0)
	s_barrier
	buffer_gl0_inv
	s_and_saveexec_b32 s1, s2
	s_cbranch_execz .LBB1904_4
; %bb.16:                               ;   in Loop: Header=BB1904_5 Depth=1
	ds_load_b128 v[2:5], v8
	ds_load_b128 v[23:26], v8 offset:16
	ds_load_b128 v[27:30], v8 offset:32
	;; [unrolled: 1-line block ×3, first 2 shown]
	ds_load_2addr_b64 v[35:38], v12 offset1:32
	s_waitcnt lgkmcnt(0)
	v_mul_f32_e32 v39, v36, v3
	v_mul_f32_e32 v3, v35, v3
	s_delay_alu instid0(VALU_DEP_2) | instskip(NEXT) | instid1(VALU_DEP_2)
	v_fma_f32 v39, v35, v2, -v39
	v_fmac_f32_e32 v3, v36, v2
	v_mul_f32_e32 v35, v38, v5
	s_delay_alu instid0(VALU_DEP_3) | instskip(NEXT) | instid1(VALU_DEP_3)
	v_dual_mul_f32 v5, v37, v5 :: v_dual_add_f32 v2, 0, v39
	v_add_f32_e32 v3, 0, v3
	s_delay_alu instid0(VALU_DEP_3) | instskip(NEXT) | instid1(VALU_DEP_3)
	v_fma_f32 v35, v37, v4, -v35
	v_fmac_f32_e32 v5, v38, v4
	s_delay_alu instid0(VALU_DEP_1) | instskip(SKIP_3) | instid1(VALU_DEP_1)
	v_dual_add_f32 v35, v2, v35 :: v_dual_add_f32 v36, v3, v5
	ds_load_2addr_b64 v[2:5], v12 offset0:64 offset1:96
	s_waitcnt lgkmcnt(0)
	v_mul_f32_e32 v37, v3, v24
	v_fma_f32 v37, v2, v23, -v37
	v_mul_f32_e32 v2, v2, v24
	s_delay_alu instid0(VALU_DEP_1) | instskip(NEXT) | instid1(VALU_DEP_1)
	v_dual_fmac_f32 v2, v3, v23 :: v_dual_mul_f32 v23, v5, v26
	v_add_f32_e32 v2, v36, v2
	s_delay_alu instid0(VALU_DEP_2) | instskip(SKIP_1) | instid1(VALU_DEP_1)
	v_fma_f32 v23, v4, v25, -v23
	v_mul_f32_e32 v4, v4, v26
	v_fmac_f32_e32 v4, v5, v25
	s_delay_alu instid0(VALU_DEP_1) | instskip(NEXT) | instid1(VALU_DEP_1)
	v_dual_add_f32 v3, v35, v37 :: v_dual_add_f32 v24, v2, v4
	v_add_f32_e32 v23, v3, v23
	ds_load_2addr_b64 v[2:5], v12 offset0:128 offset1:160
	s_waitcnt lgkmcnt(0)
	v_mul_f32_e32 v25, v3, v28
	s_delay_alu instid0(VALU_DEP_1) | instskip(SKIP_1) | instid1(VALU_DEP_1)
	v_fma_f32 v25, v2, v27, -v25
	v_mul_f32_e32 v2, v2, v28
	v_fmac_f32_e32 v2, v3, v27
	s_delay_alu instid0(VALU_DEP_1) | instskip(SKIP_1) | instid1(VALU_DEP_1)
	v_dual_add_f32 v2, v24, v2 :: v_dual_add_f32 v3, v23, v25
	v_mul_f32_e32 v23, v5, v30
	v_fma_f32 v23, v4, v29, -v23
	v_mul_f32_e32 v4, v4, v30
	s_delay_alu instid0(VALU_DEP_1) | instskip(NEXT) | instid1(VALU_DEP_1)
	v_fmac_f32_e32 v4, v5, v29
	v_dual_add_f32 v24, v2, v4 :: v_dual_add_f32 v23, v3, v23
	ds_load_2addr_b64 v[2:5], v12 offset0:192 offset1:224
	s_waitcnt lgkmcnt(0)
	v_mul_f32_e32 v25, v3, v32
	s_delay_alu instid0(VALU_DEP_1) | instskip(SKIP_1) | instid1(VALU_DEP_1)
	v_fma_f32 v25, v2, v31, -v25
	v_mul_f32_e32 v2, v2, v32
	v_fmac_f32_e32 v2, v3, v31
	s_delay_alu instid0(VALU_DEP_1) | instskip(SKIP_1) | instid1(VALU_DEP_1)
	v_dual_add_f32 v2, v24, v2 :: v_dual_add_f32 v3, v23, v25
	v_mul_f32_e32 v23, v5, v34
	v_fma_f32 v23, v4, v33, -v23
	v_mul_f32_e32 v4, v4, v34
	s_delay_alu instid0(VALU_DEP_1) | instskip(NEXT) | instid1(VALU_DEP_1)
	v_fmac_f32_e32 v4, v5, v33
	v_dual_add_f32 v28, v2, v4 :: v_dual_add_f32 v27, v3, v23
	ds_load_b128 v[2:5], v8 offset:64
	ds_load_2addr_b64 v[23:26], v20 offset1:32
	s_waitcnt lgkmcnt(0)
	v_mul_f32_e32 v29, v24, v3
	v_mul_f32_e32 v3, v23, v3
	s_delay_alu instid0(VALU_DEP_2) | instskip(SKIP_1) | instid1(VALU_DEP_3)
	v_fma_f32 v29, v23, v2, -v29
	v_mul_f32_e32 v23, v26, v5
	v_fmac_f32_e32 v3, v24, v2
	v_mul_f32_e32 v5, v25, v5
	s_delay_alu instid0(VALU_DEP_4) | instskip(NEXT) | instid1(VALU_DEP_4)
	v_add_f32_e32 v2, v27, v29
	v_fma_f32 v23, v25, v4, -v23
	s_delay_alu instid0(VALU_DEP_3) | instskip(NEXT) | instid1(VALU_DEP_2)
	v_fmac_f32_e32 v5, v26, v4
	v_add_f32_e32 v27, v2, v23
	v_add_f32_e32 v3, v28, v3
	s_delay_alu instid0(VALU_DEP_1)
	v_add_f32_e32 v28, v3, v5
	ds_load_b128 v[2:5], v8 offset:80
	ds_load_2addr_b64 v[23:26], v20 offset0:64 offset1:96
	s_waitcnt lgkmcnt(0)
	v_mul_f32_e32 v29, v24, v3
	v_mul_f32_e32 v3, v23, v3
	s_delay_alu instid0(VALU_DEP_2) | instskip(NEXT) | instid1(VALU_DEP_2)
	v_fma_f32 v29, v23, v2, -v29
	v_fmac_f32_e32 v3, v24, v2
	v_mul_f32_e32 v23, v26, v5
	v_mul_f32_e32 v5, v25, v5
	s_delay_alu instid0(VALU_DEP_3) | instskip(NEXT) | instid1(VALU_DEP_3)
	v_add_f32_e32 v3, v28, v3
	v_fma_f32 v23, v25, v4, -v23
	s_delay_alu instid0(VALU_DEP_3) | instskip(NEXT) | instid1(VALU_DEP_1)
	v_fmac_f32_e32 v5, v26, v4
	v_add_f32_e32 v28, v3, v5
	v_add_f32_e32 v2, v27, v29
	s_delay_alu instid0(VALU_DEP_1)
	v_add_f32_e32 v27, v2, v23
	ds_load_b128 v[2:5], v8 offset:96
	ds_load_2addr_b64 v[23:26], v20 offset0:128 offset1:160
	s_waitcnt lgkmcnt(0)
	v_mul_f32_e32 v29, v24, v3
	v_mul_f32_e32 v3, v23, v3
	s_delay_alu instid0(VALU_DEP_2) | instskip(NEXT) | instid1(VALU_DEP_2)
	v_fma_f32 v29, v23, v2, -v29
	v_fmac_f32_e32 v3, v24, v2
	v_mul_f32_e32 v23, v26, v5
	v_mul_f32_e32 v5, v25, v5
	s_delay_alu instid0(VALU_DEP_3) | instskip(NEXT) | instid1(VALU_DEP_3)
	v_dual_add_f32 v2, v27, v29 :: v_dual_add_f32 v3, v28, v3
	v_fma_f32 v23, v25, v4, -v23
	s_delay_alu instid0(VALU_DEP_3) | instskip(NEXT) | instid1(VALU_DEP_1)
	v_fmac_f32_e32 v5, v26, v4
	v_dual_add_f32 v27, v2, v23 :: v_dual_add_f32 v28, v3, v5
	ds_load_b128 v[2:5], v8 offset:112
	ds_load_2addr_b64 v[23:26], v20 offset0:192 offset1:224
	s_waitcnt lgkmcnt(0)
	v_mul_f32_e32 v29, v24, v3
	v_mul_f32_e32 v3, v23, v3
	s_delay_alu instid0(VALU_DEP_2) | instskip(NEXT) | instid1(VALU_DEP_2)
	v_fma_f32 v29, v23, v2, -v29
	v_fmac_f32_e32 v3, v24, v2
	v_mul_f32_e32 v23, v26, v5
	v_mul_f32_e32 v5, v25, v5
	s_delay_alu instid0(VALU_DEP_3) | instskip(NEXT) | instid1(VALU_DEP_3)
	v_dual_add_f32 v2, v27, v29 :: v_dual_add_f32 v3, v28, v3
	v_fma_f32 v23, v25, v4, -v23
	s_delay_alu instid0(VALU_DEP_3) | instskip(NEXT) | instid1(VALU_DEP_1)
	v_fmac_f32_e32 v5, v26, v4
	v_dual_add_f32 v27, v2, v23 :: v_dual_add_f32 v28, v3, v5
	ds_load_b128 v[2:5], v8 offset:128
	ds_load_2addr_b64 v[23:26], v21 offset1:32
	s_waitcnt lgkmcnt(0)
	v_mul_f32_e32 v29, v24, v3
	v_mul_f32_e32 v3, v23, v3
	s_delay_alu instid0(VALU_DEP_2) | instskip(NEXT) | instid1(VALU_DEP_2)
	v_fma_f32 v29, v23, v2, -v29
	v_fmac_f32_e32 v3, v24, v2
	v_mul_f32_e32 v23, v26, v5
	v_mul_f32_e32 v5, v25, v5
	s_delay_alu instid0(VALU_DEP_3) | instskip(NEXT) | instid1(VALU_DEP_3)
	v_dual_add_f32 v2, v27, v29 :: v_dual_add_f32 v3, v28, v3
	v_fma_f32 v23, v25, v4, -v23
	s_delay_alu instid0(VALU_DEP_3) | instskip(NEXT) | instid1(VALU_DEP_1)
	v_fmac_f32_e32 v5, v26, v4
	v_dual_add_f32 v27, v2, v23 :: v_dual_add_f32 v28, v3, v5
	ds_load_b128 v[2:5], v8 offset:144
	ds_load_2addr_b64 v[23:26], v21 offset0:64 offset1:96
	s_waitcnt lgkmcnt(0)
	v_mul_f32_e32 v29, v24, v3
	v_mul_f32_e32 v3, v23, v3
	s_delay_alu instid0(VALU_DEP_2) | instskip(NEXT) | instid1(VALU_DEP_2)
	v_fma_f32 v29, v23, v2, -v29
	v_fmac_f32_e32 v3, v24, v2
	v_mul_f32_e32 v23, v26, v5
	v_mul_f32_e32 v5, v25, v5
	s_delay_alu instid0(VALU_DEP_3) | instskip(NEXT) | instid1(VALU_DEP_3)
	v_dual_add_f32 v2, v27, v29 :: v_dual_add_f32 v3, v28, v3
	v_fma_f32 v23, v25, v4, -v23
	s_delay_alu instid0(VALU_DEP_3) | instskip(NEXT) | instid1(VALU_DEP_1)
	v_fmac_f32_e32 v5, v26, v4
	v_dual_add_f32 v27, v2, v23 :: v_dual_add_f32 v28, v3, v5
	ds_load_b128 v[2:5], v8 offset:160
	ds_load_2addr_b64 v[23:26], v21 offset0:128 offset1:160
	;; [unrolled: 16-line block ×3, first 2 shown]
	s_waitcnt lgkmcnt(0)
	v_mul_f32_e32 v29, v24, v3
	v_mul_f32_e32 v3, v23, v3
	s_delay_alu instid0(VALU_DEP_2) | instskip(NEXT) | instid1(VALU_DEP_2)
	v_fma_f32 v29, v23, v2, -v29
	v_fmac_f32_e32 v3, v24, v2
	v_mul_f32_e32 v23, v26, v5
	v_mul_f32_e32 v5, v25, v5
	s_delay_alu instid0(VALU_DEP_3) | instskip(NEXT) | instid1(VALU_DEP_3)
	v_dual_add_f32 v2, v27, v29 :: v_dual_add_f32 v3, v28, v3
	v_fma_f32 v23, v25, v4, -v23
	s_delay_alu instid0(VALU_DEP_3) | instskip(NEXT) | instid1(VALU_DEP_1)
	v_fmac_f32_e32 v5, v26, v4
	v_dual_add_f32 v27, v2, v23 :: v_dual_add_f32 v28, v3, v5
	ds_load_b128 v[2:5], v8 offset:192
	ds_load_2addr_b64 v[23:26], v22 offset1:32
	s_waitcnt lgkmcnt(0)
	v_mul_f32_e32 v29, v24, v3
	v_mul_f32_e32 v3, v23, v3
	s_delay_alu instid0(VALU_DEP_2) | instskip(NEXT) | instid1(VALU_DEP_2)
	v_fma_f32 v29, v23, v2, -v29
	v_fmac_f32_e32 v3, v24, v2
	v_mul_f32_e32 v23, v26, v5
	v_mul_f32_e32 v5, v25, v5
	s_delay_alu instid0(VALU_DEP_3) | instskip(NEXT) | instid1(VALU_DEP_3)
	v_dual_add_f32 v2, v27, v29 :: v_dual_add_f32 v3, v28, v3
	v_fma_f32 v23, v25, v4, -v23
	s_delay_alu instid0(VALU_DEP_3) | instskip(NEXT) | instid1(VALU_DEP_1)
	v_fmac_f32_e32 v5, v26, v4
	v_dual_add_f32 v27, v2, v23 :: v_dual_add_f32 v28, v3, v5
	ds_load_b128 v[2:5], v8 offset:208
	ds_load_2addr_b64 v[23:26], v22 offset0:64 offset1:96
	s_waitcnt lgkmcnt(0)
	v_mul_f32_e32 v29, v24, v3
	v_mul_f32_e32 v3, v23, v3
	s_delay_alu instid0(VALU_DEP_2) | instskip(NEXT) | instid1(VALU_DEP_2)
	v_fma_f32 v29, v23, v2, -v29
	v_fmac_f32_e32 v3, v24, v2
	v_mul_f32_e32 v23, v26, v5
	v_mul_f32_e32 v5, v25, v5
	s_delay_alu instid0(VALU_DEP_3) | instskip(NEXT) | instid1(VALU_DEP_3)
	v_dual_add_f32 v2, v27, v29 :: v_dual_add_f32 v3, v28, v3
	v_fma_f32 v23, v25, v4, -v23
	s_delay_alu instid0(VALU_DEP_3) | instskip(NEXT) | instid1(VALU_DEP_1)
	v_fmac_f32_e32 v5, v26, v4
	v_dual_add_f32 v27, v2, v23 :: v_dual_add_f32 v28, v3, v5
	ds_load_b128 v[2:5], v8 offset:224
	ds_load_2addr_b64 v[23:26], v22 offset0:128 offset1:160
	;; [unrolled: 16-line block ×3, first 2 shown]
	s_waitcnt lgkmcnt(0)
	v_mul_f32_e32 v29, v24, v3
	v_mul_f32_e32 v3, v23, v3
	s_delay_alu instid0(VALU_DEP_2) | instskip(NEXT) | instid1(VALU_DEP_2)
	v_fma_f32 v29, v23, v2, -v29
	v_fmac_f32_e32 v3, v24, v2
	v_mul_f32_e32 v23, v26, v5
	v_mul_f32_e32 v5, v25, v5
	s_delay_alu instid0(VALU_DEP_3) | instskip(NEXT) | instid1(VALU_DEP_3)
	v_dual_add_f32 v2, v27, v29 :: v_dual_add_f32 v3, v28, v3
	v_fma_f32 v23, v25, v4, -v23
	s_delay_alu instid0(VALU_DEP_3) | instskip(NEXT) | instid1(VALU_DEP_1)
	v_fmac_f32_e32 v5, v26, v4
	v_dual_add_f32 v4, v2, v23 :: v_dual_add_f32 v5, v3, v5
	s_delay_alu instid0(VALU_DEP_1) | instskip(NEXT) | instid1(VALU_DEP_1)
	v_dual_mul_f32 v3, s3, v4 :: v_dual_mul_f32 v2, s3, v5
	v_fmac_f32_e32 v3, s7, v5
	s_delay_alu instid0(VALU_DEP_2)
	v_fma_f32 v2, s7, v4, -v2
	global_load_b64 v[4:5], v[0:1], off
	s_waitcnt vmcnt(0)
	v_dual_add_f32 v2, v4, v2 :: v_dual_add_f32 v3, v5, v3
	global_store_b64 v[0:1], v[2:3], off
	s_branch .LBB1904_4
.LBB1904_17:
	s_endpgm
	.section	.rodata,"a",@progbits
	.p2align	6, 0x0
	.amdhsa_kernel _ZL26rocblas_syr2k_her2k_kernelIiLb1ELb0ELb0ELi32E19rocblas_complex_numIfEPKS1_PS1_EvbiT_T4_T5_S5_lS7_S5_lT6_S5_li
		.amdhsa_group_segment_fixed_size 16384
		.amdhsa_private_segment_fixed_size 0
		.amdhsa_kernarg_size 100
		.amdhsa_user_sgpr_count 13
		.amdhsa_user_sgpr_dispatch_ptr 0
		.amdhsa_user_sgpr_queue_ptr 0
		.amdhsa_user_sgpr_kernarg_segment_ptr 1
		.amdhsa_user_sgpr_dispatch_id 0
		.amdhsa_user_sgpr_private_segment_size 0
		.amdhsa_wavefront_size32 1
		.amdhsa_uses_dynamic_stack 0
		.amdhsa_enable_private_segment 0
		.amdhsa_system_sgpr_workgroup_id_x 1
		.amdhsa_system_sgpr_workgroup_id_y 1
		.amdhsa_system_sgpr_workgroup_id_z 1
		.amdhsa_system_sgpr_workgroup_info 0
		.amdhsa_system_vgpr_workitem_id 1
		.amdhsa_next_free_vgpr 42
		.amdhsa_next_free_sgpr 24
		.amdhsa_reserve_vcc 1
		.amdhsa_float_round_mode_32 0
		.amdhsa_float_round_mode_16_64 0
		.amdhsa_float_denorm_mode_32 3
		.amdhsa_float_denorm_mode_16_64 3
		.amdhsa_dx10_clamp 1
		.amdhsa_ieee_mode 1
		.amdhsa_fp16_overflow 0
		.amdhsa_workgroup_processor_mode 1
		.amdhsa_memory_ordered 1
		.amdhsa_forward_progress 0
		.amdhsa_shared_vgpr_count 0
		.amdhsa_exception_fp_ieee_invalid_op 0
		.amdhsa_exception_fp_denorm_src 0
		.amdhsa_exception_fp_ieee_div_zero 0
		.amdhsa_exception_fp_ieee_overflow 0
		.amdhsa_exception_fp_ieee_underflow 0
		.amdhsa_exception_fp_ieee_inexact 0
		.amdhsa_exception_int_div_zero 0
	.end_amdhsa_kernel
	.section	.text._ZL26rocblas_syr2k_her2k_kernelIiLb1ELb0ELb0ELi32E19rocblas_complex_numIfEPKS1_PS1_EvbiT_T4_T5_S5_lS7_S5_lT6_S5_li,"axG",@progbits,_ZL26rocblas_syr2k_her2k_kernelIiLb1ELb0ELb0ELi32E19rocblas_complex_numIfEPKS1_PS1_EvbiT_T4_T5_S5_lS7_S5_lT6_S5_li,comdat
.Lfunc_end1904:
	.size	_ZL26rocblas_syr2k_her2k_kernelIiLb1ELb0ELb0ELi32E19rocblas_complex_numIfEPKS1_PS1_EvbiT_T4_T5_S5_lS7_S5_lT6_S5_li, .Lfunc_end1904-_ZL26rocblas_syr2k_her2k_kernelIiLb1ELb0ELb0ELi32E19rocblas_complex_numIfEPKS1_PS1_EvbiT_T4_T5_S5_lS7_S5_lT6_S5_li
                                        ; -- End function
	.section	.AMDGPU.csdata,"",@progbits
; Kernel info:
; codeLenInByte = 4004
; NumSgprs: 26
; NumVgprs: 42
; ScratchSize: 0
; MemoryBound: 0
; FloatMode: 240
; IeeeMode: 1
; LDSByteSize: 16384 bytes/workgroup (compile time only)
; SGPRBlocks: 3
; VGPRBlocks: 5
; NumSGPRsForWavesPerEU: 26
; NumVGPRsForWavesPerEU: 42
; Occupancy: 16
; WaveLimiterHint : 0
; COMPUTE_PGM_RSRC2:SCRATCH_EN: 0
; COMPUTE_PGM_RSRC2:USER_SGPR: 13
; COMPUTE_PGM_RSRC2:TRAP_HANDLER: 0
; COMPUTE_PGM_RSRC2:TGID_X_EN: 1
; COMPUTE_PGM_RSRC2:TGID_Y_EN: 1
; COMPUTE_PGM_RSRC2:TGID_Z_EN: 1
; COMPUTE_PGM_RSRC2:TIDIG_COMP_CNT: 1
	.section	.text._ZL26rocblas_syr2k_her2k_kernelIiLb1ELb0ELb1ELi32E19rocblas_complex_numIfEPKS1_PS1_EvbiT_T4_T5_S5_lS7_S5_lT6_S5_li,"axG",@progbits,_ZL26rocblas_syr2k_her2k_kernelIiLb1ELb0ELb1ELi32E19rocblas_complex_numIfEPKS1_PS1_EvbiT_T4_T5_S5_lS7_S5_lT6_S5_li,comdat
	.globl	_ZL26rocblas_syr2k_her2k_kernelIiLb1ELb0ELb1ELi32E19rocblas_complex_numIfEPKS1_PS1_EvbiT_T4_T5_S5_lS7_S5_lT6_S5_li ; -- Begin function _ZL26rocblas_syr2k_her2k_kernelIiLb1ELb0ELb1ELi32E19rocblas_complex_numIfEPKS1_PS1_EvbiT_T4_T5_S5_lS7_S5_lT6_S5_li
	.p2align	8
	.type	_ZL26rocblas_syr2k_her2k_kernelIiLb1ELb0ELb1ELi32E19rocblas_complex_numIfEPKS1_PS1_EvbiT_T4_T5_S5_lS7_S5_lT6_S5_li,@function
_ZL26rocblas_syr2k_her2k_kernelIiLb1ELb0ELb1ELi32E19rocblas_complex_numIfEPKS1_PS1_EvbiT_T4_T5_S5_lS7_S5_lT6_S5_li: ; @_ZL26rocblas_syr2k_her2k_kernelIiLb1ELb0ELb1ELi32E19rocblas_complex_numIfEPKS1_PS1_EvbiT_T4_T5_S5_lS7_S5_lT6_S5_li
; %bb.0:
	s_clause 0x1
	s_load_b128 s[4:7], s[0:1], 0x0
	s_load_b32 s3, s[0:1], 0x10
	s_waitcnt lgkmcnt(0)
	v_cmp_eq_f32_e64 s2, s7, 0
	v_cmp_eq_f32_e64 s8, s3, 0
	s_delay_alu instid0(VALU_DEP_1) | instskip(NEXT) | instid1(SALU_CYCLE_1)
	s_and_b32 s2, s2, s8
	s_and_b32 vcc_lo, exec_lo, s2
	s_cbranch_vccnz .LBB1905_17
; %bb.1:
	s_and_b32 s8, 1, s4
	s_lshl_b32 s2, s14, 5
	s_lshl_b32 s4, s13, 5
	s_cmp_eq_u32 s8, 1
	s_cselect_b32 vcc_lo, -1, 0
	s_delay_alu instid0(SALU_CYCLE_1) | instskip(SKIP_2) | instid1(SALU_CYCLE_1)
	s_and_b32 s8, vcc_lo, exec_lo
	s_cselect_b32 s8, s4, s2
	s_cselect_b32 s9, s2, s4
	s_cmp_gt_i32 s8, s9
	s_cbranch_scc1 .LBB1905_17
; %bb.2:
	s_cmp_lt_i32 s6, 1
	s_cbranch_scc1 .LBB1905_17
; %bb.3:
	v_bfe_u32 v9, v0, 10, 10
	v_and_b32_e32 v10, 0x3ff, v0
	s_clause 0x3
	s_load_b128 s[16:19], s[0:1], 0x28
	s_load_b128 s[8:11], s[0:1], 0x40
	s_load_b64 s[12:13], s[0:1], 0x58
	s_load_b64 s[20:21], s[0:1], 0x18
	v_add_nc_u32_e32 v8, s2, v9
	v_add_nc_u32_e32 v0, s4, v10
	s_clause 0x2
	s_load_b32 s2, s[0:1], 0x20
	s_load_b32 s4, s[0:1], 0x38
	;; [unrolled: 1-line block ×3, first 2 shown]
	v_lshlrev_b32_e32 v11, 8, v10
	v_dual_cndmask_b32 v6, v0, v8 :: v_dual_lshlrev_b32 v15, 3, v9
	v_cndmask_b32_e32 v7, v8, v0, vcc_lo
	v_ashrrev_i32_e32 v1, 31, v0
	s_delay_alu instid0(VALU_DEP_3)
	v_add_nc_u32_e32 v14, v11, v15
	v_cmp_gt_i32_e32 vcc_lo, s5, v0
	v_or_b32_e32 v15, 0x2000, v15
	s_waitcnt lgkmcnt(0)
	s_mul_i32 s1, s15, s17
	s_mul_hi_u32 s17, s15, s16
	s_mul_i32 s0, s15, s16
	s_add_i32 s1, s17, s1
	v_mad_i64_i32 v[2:3], null, s2, v0, 0
	s_lshl_b64 s[0:1], s[0:1], 3
	s_mul_i32 s9, s15, s9
	s_mul_hi_u32 s16, s15, s8
	s_add_u32 s20, s20, s0
	s_mul_i32 s8, s15, s8
	s_addc_u32 s21, s21, s1
	s_add_i32 s9, s16, s9
	s_mul_i32 s13, s15, s13
	s_lshl_b64 s[8:9], s[8:9], 3
	s_mul_hi_u32 s17, s15, s12
	v_lshlrev_b64 v[2:3], 3, v[2:3]
	v_mad_i64_i32 v[4:5], null, s4, v8, 0
	s_add_u32 s8, s18, s8
	s_mul_i32 s0, s15, s12
	s_addc_u32 s9, s19, s9
	s_add_i32 s1, s17, s13
	v_add_nc_u32_e32 v18, v15, v11
	s_lshl_b64 s[0:1], s[0:1], 3
	v_add_nc_u32_e32 v23, 0x800, v15
	s_add_u32 s10, s10, s0
	v_add_co_u32 v12, s0, s20, v2
	s_delay_alu instid0(VALU_DEP_1)
	v_add_co_ci_u32_e64 v13, s0, s21, v3, s0
	v_lshlrev_b64 v[2:3], 3, v[4:5]
	v_mad_i64_i32 v[4:5], null, s14, v8, 0
	s_addc_u32 s11, s11, s1
	v_cmp_gt_i32_e64 s0, s5, v8
	v_add_nc_u32_e32 v24, 0x1000, v15
	s_delay_alu instid0(VALU_DEP_4) | instskip(NEXT) | instid1(VALU_DEP_1)
	v_add_co_u32 v16, s1, s8, v2
	v_add_co_ci_u32_e64 v17, s1, s9, v3, s1
	v_lshlrev_b64 v[2:3], 3, v[4:5]
	v_mad_i64_i32 v[4:5], null, s4, v0, 0
	v_cmp_le_i32_e64 s1, v7, v6
	v_mad_i64_i32 v[6:7], null, s2, v8, 0
	v_lshlrev_b64 v[0:1], 3, v[0:1]
	v_add_co_u32 v8, s2, s10, v2
	s_delay_alu instid0(VALU_DEP_1) | instskip(SKIP_1) | instid1(VALU_DEP_3)
	v_add_co_ci_u32_e64 v19, s2, s11, v3, s2
	v_lshlrev_b64 v[2:3], 3, v[4:5]
	v_add_co_u32 v0, s2, v8, v0
	v_lshlrev_b64 v[4:5], 3, v[6:7]
	s_delay_alu instid0(VALU_DEP_4) | instskip(NEXT) | instid1(VALU_DEP_4)
	v_add_co_ci_u32_e64 v1, s2, v19, v1, s2
	v_add_co_u32 v19, s2, s8, v2
	s_delay_alu instid0(VALU_DEP_1) | instskip(NEXT) | instid1(VALU_DEP_4)
	v_add_co_ci_u32_e64 v20, s2, s9, v3, s2
	v_add_co_u32 v21, s2, s20, v4
	s_delay_alu instid0(VALU_DEP_1)
	v_add_co_ci_u32_e64 v22, s2, s21, v5, s2
	v_add_nc_u32_e32 v25, 0x1800, v15
	s_and_b32 s5, s0, vcc_lo
	s_mov_b32 s4, 0
	s_and_b32 s2, s5, s1
	s_branch .LBB1905_5
.LBB1905_4:                             ;   in Loop: Header=BB1905_5 Depth=1
	s_or_b32 exec_lo, exec_lo, s1
	s_add_i32 s4, s4, 32
	s_waitcnt_vscnt null, 0x0
	s_cmp_lt_i32 s4, s6
	s_barrier
	buffer_gl0_inv
	s_cbranch_scc0 .LBB1905_17
.LBB1905_5:                             ; =>This Inner Loop Header: Depth=1
	v_dual_mov_b32 v5, 0 :: v_dual_add_nc_u32 v2, s4, v9
	v_dual_mov_b32 v7, 0 :: v_dual_mov_b32 v8, 0
	s_delay_alu instid0(VALU_DEP_2) | instskip(NEXT) | instid1(VALU_DEP_1)
	v_cmp_gt_i32_e64 s1, s6, v2
	s_and_b32 s5, vcc_lo, s1
	s_delay_alu instid0(SALU_CYCLE_1)
	s_and_saveexec_b32 s8, s5
	s_cbranch_execz .LBB1905_7
; %bb.6:                                ;   in Loop: Header=BB1905_5 Depth=1
	v_ashrrev_i32_e32 v3, 31, v2
	s_delay_alu instid0(VALU_DEP_1) | instskip(NEXT) | instid1(VALU_DEP_1)
	v_lshlrev_b64 v[3:4], 3, v[2:3]
	v_add_co_u32 v3, s1, v12, v3
	s_delay_alu instid0(VALU_DEP_1)
	v_add_co_ci_u32_e64 v4, s1, v13, v4, s1
	global_load_b64 v[7:8], v[3:4], off
.LBB1905_7:                             ;   in Loop: Header=BB1905_5 Depth=1
	s_or_b32 exec_lo, exec_lo, s8
	v_add_nc_u32_e32 v4, s4, v10
	v_mov_b32_e32 v6, 0
	s_waitcnt vmcnt(0)
	ds_store_b64 v14, v[7:8]
	v_cmp_gt_i32_e64 s1, s6, v4
	s_delay_alu instid0(VALU_DEP_1) | instskip(NEXT) | instid1(SALU_CYCLE_1)
	s_and_b32 s8, s0, s1
	s_and_saveexec_b32 s9, s8
	s_cbranch_execz .LBB1905_9
; %bb.8:                                ;   in Loop: Header=BB1905_5 Depth=1
	v_ashrrev_i32_e32 v5, 31, v4
	s_delay_alu instid0(VALU_DEP_1) | instskip(NEXT) | instid1(VALU_DEP_1)
	v_lshlrev_b64 v[5:6], 3, v[4:5]
	v_add_co_u32 v5, s1, v16, v5
	s_delay_alu instid0(VALU_DEP_1)
	v_add_co_ci_u32_e64 v6, s1, v17, v6, s1
	global_load_b64 v[5:6], v[5:6], off
.LBB1905_9:                             ;   in Loop: Header=BB1905_5 Depth=1
	s_or_b32 exec_lo, exec_lo, s9
	s_waitcnt vmcnt(0)
	ds_store_b64 v18, v[5:6]
	s_waitcnt lgkmcnt(0)
	s_barrier
	buffer_gl0_inv
	s_and_saveexec_b32 s1, s2
	s_cbranch_execz .LBB1905_11
; %bb.10:                               ;   in Loop: Header=BB1905_5 Depth=1
	ds_load_b128 v[5:8], v11
	ds_load_b128 v[26:29], v11 offset:16
	ds_load_b128 v[30:33], v11 offset:32
	;; [unrolled: 1-line block ×3, first 2 shown]
	ds_load_2addr_b64 v[38:41], v15 offset1:32
	s_waitcnt lgkmcnt(0)
	v_mul_f32_e32 v3, v39, v6
	s_delay_alu instid0(VALU_DEP_1) | instskip(NEXT) | instid1(VALU_DEP_1)
	v_fma_f32 v3, v38, v5, -v3
	v_dual_mul_f32 v6, v38, v6 :: v_dual_add_f32 v3, 0, v3
	s_delay_alu instid0(VALU_DEP_1) | instskip(NEXT) | instid1(VALU_DEP_1)
	v_fmac_f32_e32 v6, v39, v5
	v_dual_add_f32 v5, 0, v6 :: v_dual_mul_f32 v6, v41, v8
	v_mul_f32_e32 v8, v40, v8
	s_delay_alu instid0(VALU_DEP_2) | instskip(NEXT) | instid1(VALU_DEP_1)
	v_fma_f32 v6, v40, v7, -v6
	v_dual_fmac_f32 v8, v41, v7 :: v_dual_add_f32 v3, v3, v6
	s_delay_alu instid0(VALU_DEP_1) | instskip(SKIP_3) | instid1(VALU_DEP_1)
	v_add_f32_e32 v38, v5, v8
	ds_load_2addr_b64 v[5:8], v15 offset0:64 offset1:96
	s_waitcnt lgkmcnt(0)
	v_mul_f32_e32 v39, v6, v27
	v_fma_f32 v39, v5, v26, -v39
	v_mul_f32_e32 v5, v5, v27
	s_delay_alu instid0(VALU_DEP_2) | instskip(NEXT) | instid1(VALU_DEP_2)
	v_add_f32_e32 v3, v3, v39
	v_dual_fmac_f32 v5, v6, v26 :: v_dual_mul_f32 v6, v8, v29
	s_delay_alu instid0(VALU_DEP_1) | instskip(NEXT) | instid1(VALU_DEP_2)
	v_add_f32_e32 v5, v38, v5
	v_fma_f32 v6, v7, v28, -v6
	v_mul_f32_e32 v7, v7, v29
	s_delay_alu instid0(VALU_DEP_1) | instskip(NEXT) | instid1(VALU_DEP_1)
	v_fmac_f32_e32 v7, v8, v28
	v_dual_add_f32 v3, v3, v6 :: v_dual_add_f32 v26, v5, v7
	ds_load_2addr_b64 v[5:8], v15 offset0:128 offset1:160
	s_waitcnt lgkmcnt(0)
	v_mul_f32_e32 v27, v6, v31
	s_delay_alu instid0(VALU_DEP_1) | instskip(SKIP_1) | instid1(VALU_DEP_2)
	v_fma_f32 v27, v5, v30, -v27
	v_mul_f32_e32 v5, v5, v31
	v_add_f32_e32 v3, v3, v27
	s_delay_alu instid0(VALU_DEP_2) | instskip(NEXT) | instid1(VALU_DEP_1)
	v_dual_fmac_f32 v5, v6, v30 :: v_dual_mul_f32 v6, v8, v33
	v_add_f32_e32 v5, v26, v5
	s_delay_alu instid0(VALU_DEP_2) | instskip(SKIP_1) | instid1(VALU_DEP_1)
	v_fma_f32 v6, v7, v32, -v6
	v_mul_f32_e32 v7, v7, v33
	v_fmac_f32_e32 v7, v8, v32
	s_delay_alu instid0(VALU_DEP_1) | instskip(SKIP_3) | instid1(VALU_DEP_1)
	v_dual_add_f32 v3, v3, v6 :: v_dual_add_f32 v26, v5, v7
	ds_load_2addr_b64 v[5:8], v15 offset0:192 offset1:224
	s_waitcnt lgkmcnt(0)
	v_mul_f32_e32 v27, v6, v35
	v_fma_f32 v27, v5, v34, -v27
	v_mul_f32_e32 v5, v5, v35
	s_delay_alu instid0(VALU_DEP_2) | instskip(NEXT) | instid1(VALU_DEP_2)
	v_add_f32_e32 v3, v3, v27
	v_dual_fmac_f32 v5, v6, v34 :: v_dual_mul_f32 v6, v8, v37
	s_delay_alu instid0(VALU_DEP_1) | instskip(NEXT) | instid1(VALU_DEP_2)
	v_add_f32_e32 v5, v26, v5
	v_fma_f32 v6, v7, v36, -v6
	v_mul_f32_e32 v7, v7, v37
	s_delay_alu instid0(VALU_DEP_1) | instskip(NEXT) | instid1(VALU_DEP_1)
	v_fmac_f32_e32 v7, v8, v36
	v_dual_add_f32 v3, v3, v6 :: v_dual_add_f32 v30, v5, v7
	ds_load_b128 v[5:8], v11 offset:64
	ds_load_2addr_b64 v[26:29], v23 offset1:32
	s_waitcnt lgkmcnt(0)
	v_mul_f32_e32 v31, v27, v6
	v_mul_f32_e32 v6, v26, v6
	s_delay_alu instid0(VALU_DEP_2) | instskip(NEXT) | instid1(VALU_DEP_2)
	v_fma_f32 v31, v26, v5, -v31
	v_fmac_f32_e32 v6, v27, v5
	s_delay_alu instid0(VALU_DEP_2) | instskip(NEXT) | instid1(VALU_DEP_2)
	v_add_f32_e32 v3, v3, v31
	v_dual_add_f32 v5, v30, v6 :: v_dual_mul_f32 v6, v29, v8
	v_mul_f32_e32 v8, v28, v8
	s_delay_alu instid0(VALU_DEP_2) | instskip(NEXT) | instid1(VALU_DEP_1)
	v_fma_f32 v6, v28, v7, -v6
	v_dual_fmac_f32 v8, v29, v7 :: v_dual_add_f32 v3, v3, v6
	s_delay_alu instid0(VALU_DEP_1)
	v_add_f32_e32 v30, v5, v8
	ds_load_b128 v[5:8], v11 offset:80
	ds_load_2addr_b64 v[26:29], v23 offset0:64 offset1:96
	s_waitcnt lgkmcnt(0)
	v_mul_f32_e32 v31, v27, v6
	v_mul_f32_e32 v6, v26, v6
	s_delay_alu instid0(VALU_DEP_2) | instskip(NEXT) | instid1(VALU_DEP_2)
	v_fma_f32 v31, v26, v5, -v31
	v_fmac_f32_e32 v6, v27, v5
	s_delay_alu instid0(VALU_DEP_2) | instskip(NEXT) | instid1(VALU_DEP_2)
	v_add_f32_e32 v3, v3, v31
	v_dual_add_f32 v5, v30, v6 :: v_dual_mul_f32 v6, v29, v8
	v_mul_f32_e32 v8, v28, v8
	s_delay_alu instid0(VALU_DEP_2) | instskip(NEXT) | instid1(VALU_DEP_1)
	v_fma_f32 v6, v28, v7, -v6
	v_dual_fmac_f32 v8, v29, v7 :: v_dual_add_f32 v3, v3, v6
	s_delay_alu instid0(VALU_DEP_1)
	v_add_f32_e32 v30, v5, v8
	ds_load_b128 v[5:8], v11 offset:96
	ds_load_2addr_b64 v[26:29], v23 offset0:128 offset1:160
	;; [unrolled: 17-line block ×3, first 2 shown]
	s_waitcnt lgkmcnt(0)
	v_mul_f32_e32 v31, v27, v6
	v_mul_f32_e32 v6, v26, v6
	s_delay_alu instid0(VALU_DEP_2) | instskip(NEXT) | instid1(VALU_DEP_2)
	v_fma_f32 v31, v26, v5, -v31
	v_fmac_f32_e32 v6, v27, v5
	s_delay_alu instid0(VALU_DEP_2) | instskip(NEXT) | instid1(VALU_DEP_2)
	v_add_f32_e32 v3, v3, v31
	v_dual_add_f32 v5, v30, v6 :: v_dual_mul_f32 v6, v29, v8
	v_mul_f32_e32 v8, v28, v8
	s_delay_alu instid0(VALU_DEP_2) | instskip(NEXT) | instid1(VALU_DEP_1)
	v_fma_f32 v6, v28, v7, -v6
	v_dual_fmac_f32 v8, v29, v7 :: v_dual_add_f32 v3, v3, v6
	s_delay_alu instid0(VALU_DEP_1)
	v_add_f32_e32 v30, v5, v8
	ds_load_b128 v[5:8], v11 offset:128
	ds_load_2addr_b64 v[26:29], v24 offset1:32
	s_waitcnt lgkmcnt(0)
	v_mul_f32_e32 v31, v27, v6
	v_mul_f32_e32 v6, v26, v6
	s_delay_alu instid0(VALU_DEP_2) | instskip(NEXT) | instid1(VALU_DEP_2)
	v_fma_f32 v31, v26, v5, -v31
	v_fmac_f32_e32 v6, v27, v5
	s_delay_alu instid0(VALU_DEP_2) | instskip(NEXT) | instid1(VALU_DEP_2)
	v_add_f32_e32 v3, v3, v31
	v_dual_add_f32 v5, v30, v6 :: v_dual_mul_f32 v6, v29, v8
	v_mul_f32_e32 v8, v28, v8
	s_delay_alu instid0(VALU_DEP_2) | instskip(NEXT) | instid1(VALU_DEP_1)
	v_fma_f32 v6, v28, v7, -v6
	v_dual_fmac_f32 v8, v29, v7 :: v_dual_add_f32 v3, v3, v6
	s_delay_alu instid0(VALU_DEP_1)
	v_add_f32_e32 v30, v5, v8
	ds_load_b128 v[5:8], v11 offset:144
	ds_load_2addr_b64 v[26:29], v24 offset0:64 offset1:96
	s_waitcnt lgkmcnt(0)
	v_mul_f32_e32 v31, v27, v6
	v_mul_f32_e32 v6, v26, v6
	s_delay_alu instid0(VALU_DEP_2) | instskip(NEXT) | instid1(VALU_DEP_2)
	v_fma_f32 v31, v26, v5, -v31
	v_fmac_f32_e32 v6, v27, v5
	s_delay_alu instid0(VALU_DEP_2) | instskip(NEXT) | instid1(VALU_DEP_2)
	v_add_f32_e32 v3, v3, v31
	v_dual_add_f32 v5, v30, v6 :: v_dual_mul_f32 v6, v29, v8
	v_mul_f32_e32 v8, v28, v8
	s_delay_alu instid0(VALU_DEP_2) | instskip(NEXT) | instid1(VALU_DEP_1)
	v_fma_f32 v6, v28, v7, -v6
	v_dual_fmac_f32 v8, v29, v7 :: v_dual_add_f32 v3, v3, v6
	s_delay_alu instid0(VALU_DEP_1)
	v_add_f32_e32 v30, v5, v8
	ds_load_b128 v[5:8], v11 offset:160
	ds_load_2addr_b64 v[26:29], v24 offset0:128 offset1:160
	;; [unrolled: 17-line block ×3, first 2 shown]
	s_waitcnt lgkmcnt(0)
	v_mul_f32_e32 v31, v27, v6
	v_mul_f32_e32 v6, v26, v6
	s_delay_alu instid0(VALU_DEP_2) | instskip(NEXT) | instid1(VALU_DEP_2)
	v_fma_f32 v31, v26, v5, -v31
	v_fmac_f32_e32 v6, v27, v5
	s_delay_alu instid0(VALU_DEP_1) | instskip(SKIP_1) | instid1(VALU_DEP_2)
	v_dual_add_f32 v5, v30, v6 :: v_dual_mul_f32 v6, v29, v8
	v_mul_f32_e32 v8, v28, v8
	v_fma_f32 v6, v28, v7, -v6
	s_delay_alu instid0(VALU_DEP_2) | instskip(NEXT) | instid1(VALU_DEP_1)
	v_fmac_f32_e32 v8, v29, v7
	v_dual_add_f32 v30, v5, v8 :: v_dual_add_f32 v3, v3, v31
	s_delay_alu instid0(VALU_DEP_1)
	v_add_f32_e32 v3, v3, v6
	ds_load_b128 v[5:8], v11 offset:192
	ds_load_2addr_b64 v[26:29], v25 offset1:32
	s_waitcnt lgkmcnt(0)
	v_mul_f32_e32 v31, v27, v6
	v_mul_f32_e32 v6, v26, v6
	s_delay_alu instid0(VALU_DEP_2) | instskip(NEXT) | instid1(VALU_DEP_2)
	v_fma_f32 v31, v26, v5, -v31
	v_fmac_f32_e32 v6, v27, v5
	s_delay_alu instid0(VALU_DEP_1) | instskip(SKIP_1) | instid1(VALU_DEP_2)
	v_dual_add_f32 v5, v30, v6 :: v_dual_mul_f32 v6, v29, v8
	v_mul_f32_e32 v8, v28, v8
	v_fma_f32 v6, v28, v7, -v6
	s_delay_alu instid0(VALU_DEP_2) | instskip(NEXT) | instid1(VALU_DEP_1)
	v_fmac_f32_e32 v8, v29, v7
	v_dual_add_f32 v30, v5, v8 :: v_dual_add_f32 v3, v3, v31
	s_delay_alu instid0(VALU_DEP_1)
	v_add_f32_e32 v3, v3, v6
	ds_load_b128 v[5:8], v11 offset:208
	ds_load_2addr_b64 v[26:29], v25 offset0:64 offset1:96
	s_waitcnt lgkmcnt(0)
	v_mul_f32_e32 v31, v27, v6
	v_mul_f32_e32 v6, v26, v6
	s_delay_alu instid0(VALU_DEP_2) | instskip(NEXT) | instid1(VALU_DEP_2)
	v_fma_f32 v31, v26, v5, -v31
	v_fmac_f32_e32 v6, v27, v5
	s_delay_alu instid0(VALU_DEP_1) | instskip(SKIP_1) | instid1(VALU_DEP_2)
	v_dual_add_f32 v5, v30, v6 :: v_dual_mul_f32 v6, v29, v8
	v_mul_f32_e32 v8, v28, v8
	v_fma_f32 v6, v28, v7, -v6
	s_delay_alu instid0(VALU_DEP_2) | instskip(NEXT) | instid1(VALU_DEP_1)
	v_fmac_f32_e32 v8, v29, v7
	v_dual_add_f32 v3, v3, v31 :: v_dual_add_f32 v30, v5, v8
	s_delay_alu instid0(VALU_DEP_1)
	v_add_f32_e32 v3, v3, v6
	ds_load_b128 v[5:8], v11 offset:224
	ds_load_2addr_b64 v[26:29], v25 offset0:128 offset1:160
	s_waitcnt lgkmcnt(0)
	v_mul_f32_e32 v31, v27, v6
	v_mul_f32_e32 v6, v26, v6
	s_delay_alu instid0(VALU_DEP_2) | instskip(NEXT) | instid1(VALU_DEP_2)
	v_fma_f32 v31, v26, v5, -v31
	v_fmac_f32_e32 v6, v27, v5
	s_delay_alu instid0(VALU_DEP_1) | instskip(SKIP_1) | instid1(VALU_DEP_2)
	v_dual_add_f32 v5, v30, v6 :: v_dual_mul_f32 v6, v29, v8
	v_mul_f32_e32 v8, v28, v8
	v_fma_f32 v6, v28, v7, -v6
	s_delay_alu instid0(VALU_DEP_2) | instskip(NEXT) | instid1(VALU_DEP_1)
	v_fmac_f32_e32 v8, v29, v7
	v_dual_add_f32 v3, v3, v31 :: v_dual_add_f32 v30, v5, v8
	s_delay_alu instid0(VALU_DEP_1) | instskip(SKIP_4) | instid1(VALU_DEP_1)
	v_add_f32_e32 v3, v3, v6
	ds_load_b128 v[5:8], v11 offset:240
	ds_load_2addr_b64 v[26:29], v25 offset0:192 offset1:224
	s_waitcnt lgkmcnt(0)
	v_mul_f32_e32 v31, v27, v6
	v_fma_f32 v31, v26, v5, -v31
	v_mul_f32_e32 v6, v26, v6
	s_delay_alu instid0(VALU_DEP_1) | instskip(NEXT) | instid1(VALU_DEP_1)
	v_fmac_f32_e32 v6, v27, v5
	v_dual_add_f32 v5, v30, v6 :: v_dual_mul_f32 v6, v29, v8
	s_delay_alu instid0(VALU_DEP_4) | instskip(NEXT) | instid1(VALU_DEP_2)
	v_dual_mul_f32 v8, v28, v8 :: v_dual_add_f32 v3, v3, v31
	v_fma_f32 v6, v28, v7, -v6
	s_delay_alu instid0(VALU_DEP_2) | instskip(NEXT) | instid1(VALU_DEP_1)
	v_fmac_f32_e32 v8, v29, v7
	v_dual_add_f32 v5, v5, v8 :: v_dual_add_f32 v6, v3, v6
	s_delay_alu instid0(VALU_DEP_1) | instskip(NEXT) | instid1(VALU_DEP_1)
	v_mul_f32_e32 v3, s3, v5
	v_fma_f32 v3, s7, v6, -v3
	v_mul_f32_e32 v5, s7, v5
	s_delay_alu instid0(VALU_DEP_1)
	v_fmac_f32_e32 v5, s3, v6
	global_load_b64 v[6:7], v[0:1], off
	s_waitcnt vmcnt(0)
	v_dual_add_f32 v6, v6, v3 :: v_dual_add_f32 v7, v7, v5
	global_store_b64 v[0:1], v[6:7], off
.LBB1905_11:                            ;   in Loop: Header=BB1905_5 Depth=1
	s_or_b32 exec_lo, exec_lo, s1
	v_dual_mov_b32 v6, 0 :: v_dual_mov_b32 v7, 0
	v_mov_b32_e32 v8, 0
	s_waitcnt_vscnt null, 0x0
	s_barrier
	buffer_gl0_inv
	s_and_saveexec_b32 s9, s5
	s_cbranch_execz .LBB1905_13
; %bb.12:                               ;   in Loop: Header=BB1905_5 Depth=1
	v_ashrrev_i32_e32 v3, 31, v2
	s_delay_alu instid0(VALU_DEP_1) | instskip(NEXT) | instid1(VALU_DEP_1)
	v_lshlrev_b64 v[2:3], 3, v[2:3]
	v_add_co_u32 v2, s1, v19, v2
	s_delay_alu instid0(VALU_DEP_1)
	v_add_co_ci_u32_e64 v3, s1, v20, v3, s1
	global_load_b64 v[7:8], v[2:3], off
.LBB1905_13:                            ;   in Loop: Header=BB1905_5 Depth=1
	s_or_b32 exec_lo, exec_lo, s9
	v_mov_b32_e32 v5, 0
	s_waitcnt vmcnt(0)
	ds_store_b64 v14, v[7:8]
	s_and_saveexec_b32 s5, s8
	s_cbranch_execz .LBB1905_15
; %bb.14:                               ;   in Loop: Header=BB1905_5 Depth=1
	v_ashrrev_i32_e32 v5, 31, v4
	s_delay_alu instid0(VALU_DEP_1) | instskip(NEXT) | instid1(VALU_DEP_1)
	v_lshlrev_b64 v[2:3], 3, v[4:5]
	v_add_co_u32 v2, s1, v21, v2
	s_delay_alu instid0(VALU_DEP_1)
	v_add_co_ci_u32_e64 v3, s1, v22, v3, s1
	global_load_b64 v[5:6], v[2:3], off
.LBB1905_15:                            ;   in Loop: Header=BB1905_5 Depth=1
	s_or_b32 exec_lo, exec_lo, s5
	s_waitcnt vmcnt(0)
	ds_store_b64 v18, v[5:6]
	s_waitcnt lgkmcnt(0)
	s_barrier
	buffer_gl0_inv
	s_and_saveexec_b32 s1, s2
	s_cbranch_execz .LBB1905_4
; %bb.16:                               ;   in Loop: Header=BB1905_5 Depth=1
	ds_load_b128 v[2:5], v11
	ds_load_b128 v[26:29], v11 offset:16
	ds_load_b128 v[30:33], v11 offset:32
	;; [unrolled: 1-line block ×3, first 2 shown]
	ds_load_2addr_b64 v[38:41], v15 offset1:32
	s_waitcnt lgkmcnt(0)
	v_mul_f32_e32 v6, v39, v3
	s_delay_alu instid0(VALU_DEP_1) | instskip(SKIP_1) | instid1(VALU_DEP_1)
	v_fma_f32 v6, v38, v2, -v6
	v_mul_f32_e32 v3, v38, v3
	v_fmac_f32_e32 v3, v39, v2
	s_delay_alu instid0(VALU_DEP_3) | instskip(SKIP_2) | instid1(VALU_DEP_2)
	v_add_f32_e32 v2, 0, v6
	v_mul_f32_e32 v6, v41, v5
	v_mul_f32_e32 v5, v40, v5
	v_fma_f32 v6, v40, v4, -v6
	v_add_f32_e32 v3, 0, v3
	s_delay_alu instid0(VALU_DEP_2) | instskip(NEXT) | instid1(VALU_DEP_1)
	v_dual_fmac_f32 v5, v41, v4 :: v_dual_add_f32 v6, v2, v6
	v_add_f32_e32 v7, v3, v5
	ds_load_2addr_b64 v[2:5], v15 offset0:64 offset1:96
	s_waitcnt lgkmcnt(0)
	v_mul_f32_e32 v8, v3, v27
	s_delay_alu instid0(VALU_DEP_1) | instskip(SKIP_1) | instid1(VALU_DEP_1)
	v_fma_f32 v8, v2, v26, -v8
	v_mul_f32_e32 v2, v2, v27
	v_dual_fmac_f32 v2, v3, v26 :: v_dual_add_f32 v3, v6, v8
	v_mul_f32_e32 v6, v5, v29
	s_delay_alu instid0(VALU_DEP_1) | instskip(SKIP_1) | instid1(VALU_DEP_2)
	v_fma_f32 v6, v4, v28, -v6
	v_mul_f32_e32 v4, v4, v29
	v_add_f32_e32 v6, v3, v6
	v_add_f32_e32 v2, v7, v2
	s_delay_alu instid0(VALU_DEP_3) | instskip(NEXT) | instid1(VALU_DEP_1)
	v_fmac_f32_e32 v4, v5, v28
	v_add_f32_e32 v7, v2, v4
	ds_load_2addr_b64 v[2:5], v15 offset0:128 offset1:160
	s_waitcnt lgkmcnt(0)
	v_mul_f32_e32 v8, v3, v31
	s_delay_alu instid0(VALU_DEP_1) | instskip(SKIP_1) | instid1(VALU_DEP_1)
	v_fma_f32 v8, v2, v30, -v8
	v_mul_f32_e32 v2, v2, v31
	v_dual_fmac_f32 v2, v3, v30 :: v_dual_add_f32 v3, v6, v8
	v_mul_f32_e32 v6, v5, v33
	s_delay_alu instid0(VALU_DEP_2) | instskip(NEXT) | instid1(VALU_DEP_2)
	v_add_f32_e32 v2, v7, v2
	v_fma_f32 v6, v4, v32, -v6
	v_mul_f32_e32 v4, v4, v33
	s_delay_alu instid0(VALU_DEP_2) | instskip(NEXT) | instid1(VALU_DEP_2)
	v_add_f32_e32 v6, v3, v6
	v_fmac_f32_e32 v4, v5, v32
	s_delay_alu instid0(VALU_DEP_1) | instskip(SKIP_3) | instid1(VALU_DEP_1)
	v_add_f32_e32 v7, v2, v4
	ds_load_2addr_b64 v[2:5], v15 offset0:192 offset1:224
	s_waitcnt lgkmcnt(0)
	v_mul_f32_e32 v8, v3, v35
	v_fma_f32 v8, v2, v34, -v8
	v_mul_f32_e32 v2, v2, v35
	s_delay_alu instid0(VALU_DEP_1) | instskip(SKIP_1) | instid1(VALU_DEP_2)
	v_dual_fmac_f32 v2, v3, v34 :: v_dual_add_f32 v3, v6, v8
	v_mul_f32_e32 v6, v5, v37
	v_add_f32_e32 v2, v7, v2
	s_delay_alu instid0(VALU_DEP_2) | instskip(SKIP_1) | instid1(VALU_DEP_2)
	v_fma_f32 v6, v4, v36, -v6
	v_mul_f32_e32 v4, v4, v37
	v_add_f32_e32 v6, v3, v6
	s_delay_alu instid0(VALU_DEP_2) | instskip(NEXT) | instid1(VALU_DEP_1)
	v_fmac_f32_e32 v4, v5, v36
	v_add_f32_e32 v7, v2, v4
	ds_load_b128 v[2:5], v11 offset:64
	ds_load_2addr_b64 v[26:29], v23 offset1:32
	s_waitcnt lgkmcnt(0)
	v_mul_f32_e32 v8, v27, v3
	v_mul_f32_e32 v3, v26, v3
	s_delay_alu instid0(VALU_DEP_2) | instskip(NEXT) | instid1(VALU_DEP_1)
	v_fma_f32 v8, v26, v2, -v8
	v_dual_fmac_f32 v3, v27, v2 :: v_dual_add_f32 v2, v6, v8
	v_mul_f32_e32 v6, v29, v5
	v_mul_f32_e32 v5, v28, v5
	s_delay_alu instid0(VALU_DEP_3) | instskip(NEXT) | instid1(VALU_DEP_3)
	v_add_f32_e32 v3, v7, v3
	v_fma_f32 v6, v28, v4, -v6
	s_delay_alu instid0(VALU_DEP_1) | instskip(NEXT) | instid1(VALU_DEP_1)
	v_dual_fmac_f32 v5, v29, v4 :: v_dual_add_f32 v6, v2, v6
	v_add_f32_e32 v7, v3, v5
	ds_load_b128 v[2:5], v11 offset:80
	ds_load_2addr_b64 v[26:29], v23 offset0:64 offset1:96
	s_waitcnt lgkmcnt(0)
	v_mul_f32_e32 v8, v27, v3
	v_mul_f32_e32 v3, v26, v3
	s_delay_alu instid0(VALU_DEP_2) | instskip(NEXT) | instid1(VALU_DEP_1)
	v_fma_f32 v8, v26, v2, -v8
	v_dual_fmac_f32 v3, v27, v2 :: v_dual_add_f32 v2, v6, v8
	v_mul_f32_e32 v6, v29, v5
	v_mul_f32_e32 v5, v28, v5
	s_delay_alu instid0(VALU_DEP_3) | instskip(NEXT) | instid1(VALU_DEP_3)
	v_add_f32_e32 v3, v7, v3
	v_fma_f32 v6, v28, v4, -v6
	s_delay_alu instid0(VALU_DEP_1) | instskip(NEXT) | instid1(VALU_DEP_1)
	v_dual_fmac_f32 v5, v29, v4 :: v_dual_add_f32 v6, v2, v6
	v_add_f32_e32 v7, v3, v5
	ds_load_b128 v[2:5], v11 offset:96
	ds_load_2addr_b64 v[26:29], v23 offset0:128 offset1:160
	;; [unrolled: 16-line block ×3, first 2 shown]
	s_waitcnt lgkmcnt(0)
	v_mul_f32_e32 v8, v27, v3
	v_mul_f32_e32 v3, v26, v3
	s_delay_alu instid0(VALU_DEP_2) | instskip(NEXT) | instid1(VALU_DEP_1)
	v_fma_f32 v8, v26, v2, -v8
	v_dual_fmac_f32 v3, v27, v2 :: v_dual_add_f32 v2, v6, v8
	v_mul_f32_e32 v6, v29, v5
	v_mul_f32_e32 v5, v28, v5
	s_delay_alu instid0(VALU_DEP_3) | instskip(NEXT) | instid1(VALU_DEP_3)
	v_add_f32_e32 v3, v7, v3
	v_fma_f32 v6, v28, v4, -v6
	s_delay_alu instid0(VALU_DEP_1) | instskip(NEXT) | instid1(VALU_DEP_1)
	v_dual_fmac_f32 v5, v29, v4 :: v_dual_add_f32 v6, v2, v6
	v_add_f32_e32 v7, v3, v5
	ds_load_b128 v[2:5], v11 offset:128
	ds_load_2addr_b64 v[26:29], v24 offset1:32
	s_waitcnt lgkmcnt(0)
	v_mul_f32_e32 v8, v27, v3
	v_mul_f32_e32 v3, v26, v3
	s_delay_alu instid0(VALU_DEP_2) | instskip(NEXT) | instid1(VALU_DEP_1)
	v_fma_f32 v8, v26, v2, -v8
	v_dual_fmac_f32 v3, v27, v2 :: v_dual_add_f32 v2, v6, v8
	v_mul_f32_e32 v6, v29, v5
	v_mul_f32_e32 v5, v28, v5
	s_delay_alu instid0(VALU_DEP_3) | instskip(NEXT) | instid1(VALU_DEP_3)
	v_add_f32_e32 v3, v7, v3
	v_fma_f32 v6, v28, v4, -v6
	s_delay_alu instid0(VALU_DEP_1) | instskip(NEXT) | instid1(VALU_DEP_1)
	v_dual_fmac_f32 v5, v29, v4 :: v_dual_add_f32 v6, v2, v6
	v_add_f32_e32 v7, v3, v5
	ds_load_b128 v[2:5], v11 offset:144
	ds_load_2addr_b64 v[26:29], v24 offset0:64 offset1:96
	s_waitcnt lgkmcnt(0)
	v_mul_f32_e32 v8, v27, v3
	v_mul_f32_e32 v3, v26, v3
	s_delay_alu instid0(VALU_DEP_2) | instskip(NEXT) | instid1(VALU_DEP_1)
	v_fma_f32 v8, v26, v2, -v8
	v_dual_fmac_f32 v3, v27, v2 :: v_dual_add_f32 v2, v6, v8
	v_mul_f32_e32 v6, v29, v5
	v_mul_f32_e32 v5, v28, v5
	s_delay_alu instid0(VALU_DEP_3) | instskip(NEXT) | instid1(VALU_DEP_3)
	v_add_f32_e32 v3, v7, v3
	v_fma_f32 v6, v28, v4, -v6
	s_delay_alu instid0(VALU_DEP_1) | instskip(NEXT) | instid1(VALU_DEP_1)
	v_dual_fmac_f32 v5, v29, v4 :: v_dual_add_f32 v6, v2, v6
	v_add_f32_e32 v7, v3, v5
	ds_load_b128 v[2:5], v11 offset:160
	ds_load_2addr_b64 v[26:29], v24 offset0:128 offset1:160
	;; [unrolled: 16-line block ×3, first 2 shown]
	s_waitcnt lgkmcnt(0)
	v_mul_f32_e32 v8, v27, v3
	v_mul_f32_e32 v3, v26, v3
	s_delay_alu instid0(VALU_DEP_2) | instskip(NEXT) | instid1(VALU_DEP_1)
	v_fma_f32 v8, v26, v2, -v8
	v_dual_fmac_f32 v3, v27, v2 :: v_dual_add_f32 v2, v6, v8
	s_delay_alu instid0(VALU_DEP_1) | instskip(SKIP_1) | instid1(VALU_DEP_2)
	v_dual_add_f32 v3, v7, v3 :: v_dual_mul_f32 v6, v29, v5
	v_mul_f32_e32 v5, v28, v5
	v_fma_f32 v6, v28, v4, -v6
	s_delay_alu instid0(VALU_DEP_1) | instskip(NEXT) | instid1(VALU_DEP_1)
	v_dual_fmac_f32 v5, v29, v4 :: v_dual_add_f32 v6, v2, v6
	v_add_f32_e32 v7, v3, v5
	ds_load_b128 v[2:5], v11 offset:192
	ds_load_2addr_b64 v[26:29], v25 offset1:32
	s_waitcnt lgkmcnt(0)
	v_mul_f32_e32 v8, v27, v3
	v_mul_f32_e32 v3, v26, v3
	s_delay_alu instid0(VALU_DEP_2) | instskip(NEXT) | instid1(VALU_DEP_1)
	v_fma_f32 v8, v26, v2, -v8
	v_dual_fmac_f32 v3, v27, v2 :: v_dual_add_f32 v2, v6, v8
	v_mul_f32_e32 v6, v29, v5
	v_mul_f32_e32 v5, v28, v5
	s_delay_alu instid0(VALU_DEP_2) | instskip(NEXT) | instid1(VALU_DEP_4)
	v_fma_f32 v6, v28, v4, -v6
	v_add_f32_e32 v3, v7, v3
	s_delay_alu instid0(VALU_DEP_2) | instskip(NEXT) | instid1(VALU_DEP_1)
	v_dual_fmac_f32 v5, v29, v4 :: v_dual_add_f32 v6, v2, v6
	v_add_f32_e32 v7, v3, v5
	ds_load_b128 v[2:5], v11 offset:208
	ds_load_2addr_b64 v[26:29], v25 offset0:64 offset1:96
	s_waitcnt lgkmcnt(0)
	v_mul_f32_e32 v8, v27, v3
	v_mul_f32_e32 v3, v26, v3
	s_delay_alu instid0(VALU_DEP_2) | instskip(NEXT) | instid1(VALU_DEP_1)
	v_fma_f32 v8, v26, v2, -v8
	v_dual_fmac_f32 v3, v27, v2 :: v_dual_add_f32 v2, v6, v8
	v_mul_f32_e32 v6, v29, v5
	v_mul_f32_e32 v5, v28, v5
	s_delay_alu instid0(VALU_DEP_2) | instskip(NEXT) | instid1(VALU_DEP_4)
	v_fma_f32 v6, v28, v4, -v6
	v_add_f32_e32 v3, v7, v3
	s_delay_alu instid0(VALU_DEP_2) | instskip(NEXT) | instid1(VALU_DEP_1)
	v_dual_fmac_f32 v5, v29, v4 :: v_dual_add_f32 v6, v2, v6
	v_add_f32_e32 v7, v3, v5
	ds_load_b128 v[2:5], v11 offset:224
	ds_load_2addr_b64 v[26:29], v25 offset0:128 offset1:160
	s_waitcnt lgkmcnt(0)
	v_mul_f32_e32 v8, v27, v3
	v_mul_f32_e32 v3, v26, v3
	s_delay_alu instid0(VALU_DEP_2) | instskip(NEXT) | instid1(VALU_DEP_1)
	v_fma_f32 v8, v26, v2, -v8
	v_dual_fmac_f32 v3, v27, v2 :: v_dual_add_f32 v2, v6, v8
	v_mul_f32_e32 v6, v29, v5
	v_mul_f32_e32 v5, v28, v5
	s_delay_alu instid0(VALU_DEP_3) | instskip(NEXT) | instid1(VALU_DEP_3)
	v_add_f32_e32 v3, v7, v3
	v_fma_f32 v6, v28, v4, -v6
	s_delay_alu instid0(VALU_DEP_1) | instskip(NEXT) | instid1(VALU_DEP_1)
	v_dual_fmac_f32 v5, v29, v4 :: v_dual_add_f32 v6, v2, v6
	v_add_f32_e32 v7, v3, v5
	ds_load_b128 v[2:5], v11 offset:240
	ds_load_2addr_b64 v[26:29], v25 offset0:192 offset1:224
	s_waitcnt lgkmcnt(0)
	v_mul_f32_e32 v8, v27, v3
	v_mul_f32_e32 v3, v26, v3
	s_delay_alu instid0(VALU_DEP_2) | instskip(NEXT) | instid1(VALU_DEP_1)
	v_fma_f32 v8, v26, v2, -v8
	v_dual_fmac_f32 v3, v27, v2 :: v_dual_add_f32 v2, v6, v8
	v_mul_f32_e32 v6, v29, v5
	v_mul_f32_e32 v5, v28, v5
	s_delay_alu instid0(VALU_DEP_3) | instskip(NEXT) | instid1(VALU_DEP_3)
	v_add_f32_e32 v3, v7, v3
	v_fma_f32 v6, v28, v4, -v6
	s_delay_alu instid0(VALU_DEP_1) | instskip(NEXT) | instid1(VALU_DEP_1)
	v_dual_fmac_f32 v5, v29, v4 :: v_dual_add_f32 v4, v2, v6
	v_add_f32_e32 v5, v3, v5
	s_delay_alu instid0(VALU_DEP_1) | instskip(NEXT) | instid1(VALU_DEP_1)
	v_dual_mul_f32 v3, s3, v4 :: v_dual_mul_f32 v2, s3, v5
	v_fmac_f32_e32 v3, s7, v5
	s_delay_alu instid0(VALU_DEP_2)
	v_fma_f32 v2, s7, v4, -v2
	global_load_b64 v[4:5], v[0:1], off
	s_waitcnt vmcnt(0)
	v_dual_add_f32 v2, v4, v2 :: v_dual_add_f32 v3, v5, v3
	global_store_b64 v[0:1], v[2:3], off
	s_branch .LBB1905_4
.LBB1905_17:
	s_endpgm
	.section	.rodata,"a",@progbits
	.p2align	6, 0x0
	.amdhsa_kernel _ZL26rocblas_syr2k_her2k_kernelIiLb1ELb0ELb1ELi32E19rocblas_complex_numIfEPKS1_PS1_EvbiT_T4_T5_S5_lS7_S5_lT6_S5_li
		.amdhsa_group_segment_fixed_size 16384
		.amdhsa_private_segment_fixed_size 0
		.amdhsa_kernarg_size 100
		.amdhsa_user_sgpr_count 13
		.amdhsa_user_sgpr_dispatch_ptr 0
		.amdhsa_user_sgpr_queue_ptr 0
		.amdhsa_user_sgpr_kernarg_segment_ptr 1
		.amdhsa_user_sgpr_dispatch_id 0
		.amdhsa_user_sgpr_private_segment_size 0
		.amdhsa_wavefront_size32 1
		.amdhsa_uses_dynamic_stack 0
		.amdhsa_enable_private_segment 0
		.amdhsa_system_sgpr_workgroup_id_x 1
		.amdhsa_system_sgpr_workgroup_id_y 1
		.amdhsa_system_sgpr_workgroup_id_z 1
		.amdhsa_system_sgpr_workgroup_info 0
		.amdhsa_system_vgpr_workitem_id 1
		.amdhsa_next_free_vgpr 42
		.amdhsa_next_free_sgpr 22
		.amdhsa_reserve_vcc 1
		.amdhsa_float_round_mode_32 0
		.amdhsa_float_round_mode_16_64 0
		.amdhsa_float_denorm_mode_32 3
		.amdhsa_float_denorm_mode_16_64 3
		.amdhsa_dx10_clamp 1
		.amdhsa_ieee_mode 1
		.amdhsa_fp16_overflow 0
		.amdhsa_workgroup_processor_mode 1
		.amdhsa_memory_ordered 1
		.amdhsa_forward_progress 0
		.amdhsa_shared_vgpr_count 0
		.amdhsa_exception_fp_ieee_invalid_op 0
		.amdhsa_exception_fp_denorm_src 0
		.amdhsa_exception_fp_ieee_div_zero 0
		.amdhsa_exception_fp_ieee_overflow 0
		.amdhsa_exception_fp_ieee_underflow 0
		.amdhsa_exception_fp_ieee_inexact 0
		.amdhsa_exception_int_div_zero 0
	.end_amdhsa_kernel
	.section	.text._ZL26rocblas_syr2k_her2k_kernelIiLb1ELb0ELb1ELi32E19rocblas_complex_numIfEPKS1_PS1_EvbiT_T4_T5_S5_lS7_S5_lT6_S5_li,"axG",@progbits,_ZL26rocblas_syr2k_her2k_kernelIiLb1ELb0ELb1ELi32E19rocblas_complex_numIfEPKS1_PS1_EvbiT_T4_T5_S5_lS7_S5_lT6_S5_li,comdat
.Lfunc_end1905:
	.size	_ZL26rocblas_syr2k_her2k_kernelIiLb1ELb0ELb1ELi32E19rocblas_complex_numIfEPKS1_PS1_EvbiT_T4_T5_S5_lS7_S5_lT6_S5_li, .Lfunc_end1905-_ZL26rocblas_syr2k_her2k_kernelIiLb1ELb0ELb1ELi32E19rocblas_complex_numIfEPKS1_PS1_EvbiT_T4_T5_S5_lS7_S5_lT6_S5_li
                                        ; -- End function
	.section	.AMDGPU.csdata,"",@progbits
; Kernel info:
; codeLenInByte = 4032
; NumSgprs: 24
; NumVgprs: 42
; ScratchSize: 0
; MemoryBound: 0
; FloatMode: 240
; IeeeMode: 1
; LDSByteSize: 16384 bytes/workgroup (compile time only)
; SGPRBlocks: 2
; VGPRBlocks: 5
; NumSGPRsForWavesPerEU: 24
; NumVGPRsForWavesPerEU: 42
; Occupancy: 16
; WaveLimiterHint : 0
; COMPUTE_PGM_RSRC2:SCRATCH_EN: 0
; COMPUTE_PGM_RSRC2:USER_SGPR: 13
; COMPUTE_PGM_RSRC2:TRAP_HANDLER: 0
; COMPUTE_PGM_RSRC2:TGID_X_EN: 1
; COMPUTE_PGM_RSRC2:TGID_Y_EN: 1
; COMPUTE_PGM_RSRC2:TGID_Z_EN: 1
; COMPUTE_PGM_RSRC2:TIDIG_COMP_CNT: 1
	.section	.text._ZL26rocblas_syr2k_her2k_kernelIiLb1ELb0ELb0ELi32EPK19rocblas_complex_numIfES3_PS1_EvbiT_T4_T5_S5_lS7_S5_lT6_S5_li,"axG",@progbits,_ZL26rocblas_syr2k_her2k_kernelIiLb1ELb0ELb0ELi32EPK19rocblas_complex_numIfES3_PS1_EvbiT_T4_T5_S5_lS7_S5_lT6_S5_li,comdat
	.globl	_ZL26rocblas_syr2k_her2k_kernelIiLb1ELb0ELb0ELi32EPK19rocblas_complex_numIfES3_PS1_EvbiT_T4_T5_S5_lS7_S5_lT6_S5_li ; -- Begin function _ZL26rocblas_syr2k_her2k_kernelIiLb1ELb0ELb0ELi32EPK19rocblas_complex_numIfES3_PS1_EvbiT_T4_T5_S5_lS7_S5_lT6_S5_li
	.p2align	8
	.type	_ZL26rocblas_syr2k_her2k_kernelIiLb1ELb0ELb0ELi32EPK19rocblas_complex_numIfES3_PS1_EvbiT_T4_T5_S5_lS7_S5_lT6_S5_li,@function
_ZL26rocblas_syr2k_her2k_kernelIiLb1ELb0ELb0ELi32EPK19rocblas_complex_numIfES3_PS1_EvbiT_T4_T5_S5_lS7_S5_lT6_S5_li: ; @_ZL26rocblas_syr2k_her2k_kernelIiLb1ELb0ELb0ELi32EPK19rocblas_complex_numIfES3_PS1_EvbiT_T4_T5_S5_lS7_S5_lT6_S5_li
; %bb.0:
	s_load_b128 s[8:11], s[0:1], 0x10
	s_waitcnt lgkmcnt(0)
	s_load_b64 s[8:9], s[8:9], 0x0
	s_waitcnt lgkmcnt(0)
	v_cmp_eq_f32_e64 s2, s8, 0
	v_cmp_eq_f32_e64 s3, s9, 0
	s_delay_alu instid0(VALU_DEP_1) | instskip(NEXT) | instid1(SALU_CYCLE_1)
	s_and_b32 s2, s2, s3
	s_and_b32 vcc_lo, exec_lo, s2
	s_cbranch_vccnz .LBB1906_17
; %bb.1:
	s_load_b128 s[4:7], s[0:1], 0x0
	s_lshl_b32 s2, s14, 5
	s_waitcnt lgkmcnt(0)
	s_and_b32 s3, 1, s4
	s_lshl_b32 s4, s13, 5
	s_cmp_eq_u32 s3, 1
	s_cselect_b32 vcc_lo, -1, 0
	s_delay_alu instid0(SALU_CYCLE_1) | instskip(SKIP_2) | instid1(SALU_CYCLE_1)
	s_and_b32 s3, vcc_lo, exec_lo
	s_cselect_b32 s3, s4, s2
	s_cselect_b32 s7, s2, s4
	s_cmp_gt_i32 s3, s7
	s_cbranch_scc1 .LBB1906_17
; %bb.2:
	s_cmp_lt_i32 s6, 1
	s_cbranch_scc1 .LBB1906_17
; %bb.3:
	s_clause 0x1
	s_load_b128 s[20:23], s[0:1], 0x28
	s_load_b128 s[16:19], s[0:1], 0x40
	v_bfe_u32 v6, v0, 10, 10
	v_and_b32_e32 v7, 0x3ff, v0
	s_clause 0x1
	s_load_b64 s[12:13], s[0:1], 0x58
	s_load_b32 s3, s[0:1], 0x20
	v_add_nc_u32_e32 v0, s2, v6
	v_add_nc_u32_e32 v1, s4, v7
	s_clause 0x1
	s_load_b32 s4, s[0:1], 0x38
	s_load_b32 s2, s[0:1], 0x50
	v_lshlrev_b32_e32 v12, 3, v6
	v_dual_cndmask_b32 v17, v0, v1 :: v_dual_lshlrev_b32 v8, 8, v7
	v_ashrrev_i32_e32 v2, 31, v1
	v_cndmask_b32_e32 v16, v1, v0, vcc_lo
	v_cmp_gt_i32_e32 vcc_lo, s5, v1
	s_delay_alu instid0(VALU_DEP_4)
	v_add_nc_u32_e32 v11, v8, v12
	v_or_b32_e32 v12, 0x2000, v12
	v_lshlrev_b64 v[2:3], 3, v[1:2]
	s_waitcnt lgkmcnt(0)
	s_mul_i32 s1, s15, s21
	s_mul_hi_u32 s7, s15, s20
	s_mul_i32 s0, s15, s20
	s_add_i32 s1, s7, s1
	s_mul_i32 s14, s15, s17
	s_lshl_b64 s[0:1], s[0:1], 3
	s_mul_hi_u32 s17, s15, s16
	s_mul_i32 s7, s15, s13
	s_add_u32 s13, s10, s0
	s_mul_i32 s16, s15, s16
	s_addc_u32 s20, s11, s1
	s_add_i32 s17, s17, s14
	s_mul_hi_u32 s11, s15, s12
	s_lshl_b64 s[0:1], s[16:17], 3
	s_mul_i32 s10, s15, s12
	s_add_u32 s12, s22, s0
	v_mad_i64_i32 v[4:5], null, s2, v0, 0
	s_addc_u32 s14, s23, s1
	s_add_i32 s11, s11, s7
	v_ashrrev_i32_e32 v1, 31, v0
	s_lshl_b64 s[0:1], s[10:11], 3
	v_add_nc_u32_e32 v15, v12, v8
	s_add_u32 s7, s18, s0
	v_add_co_u32 v9, s0, s13, v2
	s_delay_alu instid0(VALU_DEP_1)
	v_add_co_ci_u32_e64 v10, s0, s20, v3, s0
	v_lshlrev_b64 v[18:19], 3, v[0:1]
	v_cmp_gt_i32_e64 s0, s5, v0
	v_lshlrev_b64 v[0:1], 3, v[4:5]
	s_addc_u32 s10, s19, s1
	v_add_nc_u32_e32 v20, 0x800, v12
	v_add_nc_u32_e32 v21, 0x1000, v12
	v_add_co_u32 v13, s1, s12, v18
	s_delay_alu instid0(VALU_DEP_4) | instskip(NEXT) | instid1(VALU_DEP_1)
	v_add_co_u32 v0, s2, s7, v0
	v_add_co_ci_u32_e64 v1, s2, s10, v1, s2
	v_add_co_ci_u32_e64 v14, s1, s14, v19, s1
	s_delay_alu instid0(VALU_DEP_3) | instskip(NEXT) | instid1(VALU_DEP_1)
	v_add_co_u32 v0, s2, v0, v2
	v_add_co_ci_u32_e64 v1, s2, v1, v3, s2
	v_cmp_le_i32_e64 s1, v17, v16
	v_add_co_u32 v16, s2, s12, v2
	s_delay_alu instid0(VALU_DEP_1) | instskip(SKIP_1) | instid1(VALU_DEP_1)
	v_add_co_ci_u32_e64 v17, s2, s14, v3, s2
	v_add_co_u32 v18, s2, s13, v18
	v_add_co_ci_u32_e64 v19, s2, s20, v19, s2
	v_add_nc_u32_e32 v22, 0x1800, v12
	s_and_b32 s5, s0, vcc_lo
	s_delay_alu instid0(SALU_CYCLE_1)
	s_and_b32 s2, s5, s1
	s_mov_b32 s5, 0
	s_branch .LBB1906_5
.LBB1906_4:                             ;   in Loop: Header=BB1906_5 Depth=1
	s_or_b32 exec_lo, exec_lo, s1
	s_add_i32 s5, s5, 32
	s_waitcnt_vscnt null, 0x0
	s_cmp_lt_i32 s5, s6
	s_barrier
	buffer_gl0_inv
	s_cbranch_scc0 .LBB1906_17
.LBB1906_5:                             ; =>This Inner Loop Header: Depth=1
	v_dual_mov_b32 v2, 0 :: v_dual_add_nc_u32 v23, s5, v6
	v_dual_mov_b32 v4, 0 :: v_dual_mov_b32 v5, 0
	s_delay_alu instid0(VALU_DEP_2) | instskip(NEXT) | instid1(VALU_DEP_1)
	v_cmp_gt_i32_e64 s1, s6, v23
	s_and_b32 s7, vcc_lo, s1
	s_delay_alu instid0(SALU_CYCLE_1)
	s_and_saveexec_b32 s10, s7
	s_cbranch_execz .LBB1906_7
; %bb.6:                                ;   in Loop: Header=BB1906_5 Depth=1
	v_mad_i64_i32 v[3:4], null, v23, s3, 0
	s_delay_alu instid0(VALU_DEP_1) | instskip(NEXT) | instid1(VALU_DEP_1)
	v_lshlrev_b64 v[3:4], 3, v[3:4]
	v_add_co_u32 v3, s1, v9, v3
	s_delay_alu instid0(VALU_DEP_1)
	v_add_co_ci_u32_e64 v4, s1, v10, v4, s1
	global_load_b64 v[4:5], v[3:4], off
.LBB1906_7:                             ;   in Loop: Header=BB1906_5 Depth=1
	s_or_b32 exec_lo, exec_lo, s10
	v_dual_mov_b32 v3, 0 :: v_dual_add_nc_u32 v24, s5, v7
	s_waitcnt vmcnt(0)
	ds_store_b64 v11, v[4:5]
	v_cmp_gt_i32_e64 s1, s6, v24
	s_delay_alu instid0(VALU_DEP_1) | instskip(NEXT) | instid1(SALU_CYCLE_1)
	s_and_b32 s10, s0, s1
	s_and_saveexec_b32 s11, s10
	s_cbranch_execz .LBB1906_9
; %bb.8:                                ;   in Loop: Header=BB1906_5 Depth=1
	v_mad_i64_i32 v[2:3], null, v24, s4, 0
	s_delay_alu instid0(VALU_DEP_1) | instskip(NEXT) | instid1(VALU_DEP_1)
	v_lshlrev_b64 v[2:3], 3, v[2:3]
	v_add_co_u32 v2, s1, v13, v2
	s_delay_alu instid0(VALU_DEP_1)
	v_add_co_ci_u32_e64 v3, s1, v14, v3, s1
	global_load_b64 v[2:3], v[2:3], off
.LBB1906_9:                             ;   in Loop: Header=BB1906_5 Depth=1
	s_or_b32 exec_lo, exec_lo, s11
	s_waitcnt vmcnt(0)
	ds_store_b64 v15, v[2:3]
	s_waitcnt lgkmcnt(0)
	s_barrier
	buffer_gl0_inv
	s_and_saveexec_b32 s1, s2
	s_cbranch_execz .LBB1906_11
; %bb.10:                               ;   in Loop: Header=BB1906_5 Depth=1
	ds_load_b128 v[2:5], v8
	ds_load_b128 v[25:28], v8 offset:16
	ds_load_b128 v[29:32], v8 offset:32
	;; [unrolled: 1-line block ×3, first 2 shown]
	ds_load_2addr_b64 v[37:40], v12 offset1:32
	s_waitcnt lgkmcnt(0)
	v_mul_f32_e32 v41, v38, v3
	s_delay_alu instid0(VALU_DEP_1) | instskip(SKIP_3) | instid1(VALU_DEP_3)
	v_fma_f32 v41, v37, v2, -v41
	v_mul_f32_e32 v3, v37, v3
	v_mul_f32_e32 v37, v40, v5
	;; [unrolled: 1-line block ×3, first 2 shown]
	v_dual_fmac_f32 v3, v38, v2 :: v_dual_add_f32 v2, 0, v41
	s_delay_alu instid0(VALU_DEP_3) | instskip(NEXT) | instid1(VALU_DEP_3)
	v_fma_f32 v37, v39, v4, -v37
	v_fmac_f32_e32 v5, v40, v4
	s_delay_alu instid0(VALU_DEP_3) | instskip(NEXT) | instid1(VALU_DEP_3)
	v_add_f32_e32 v3, 0, v3
	v_add_f32_e32 v37, v2, v37
	s_delay_alu instid0(VALU_DEP_2) | instskip(SKIP_3) | instid1(VALU_DEP_1)
	v_add_f32_e32 v38, v3, v5
	ds_load_2addr_b64 v[2:5], v12 offset0:64 offset1:96
	s_waitcnt lgkmcnt(0)
	v_mul_f32_e32 v39, v3, v26
	v_fma_f32 v39, v2, v25, -v39
	v_mul_f32_e32 v2, v2, v26
	s_delay_alu instid0(VALU_DEP_1) | instskip(NEXT) | instid1(VALU_DEP_1)
	v_dual_fmac_f32 v2, v3, v25 :: v_dual_mul_f32 v25, v5, v28
	v_add_f32_e32 v2, v38, v2
	s_delay_alu instid0(VALU_DEP_2) | instskip(SKIP_1) | instid1(VALU_DEP_1)
	v_fma_f32 v25, v4, v27, -v25
	v_mul_f32_e32 v4, v4, v28
	v_fmac_f32_e32 v4, v5, v27
	s_delay_alu instid0(VALU_DEP_1) | instskip(NEXT) | instid1(VALU_DEP_1)
	v_dual_add_f32 v3, v37, v39 :: v_dual_add_f32 v26, v2, v4
	v_add_f32_e32 v25, v3, v25
	ds_load_2addr_b64 v[2:5], v12 offset0:128 offset1:160
	s_waitcnt lgkmcnt(0)
	v_mul_f32_e32 v27, v3, v30
	s_delay_alu instid0(VALU_DEP_1) | instskip(SKIP_1) | instid1(VALU_DEP_1)
	v_fma_f32 v27, v2, v29, -v27
	v_mul_f32_e32 v2, v2, v30
	v_fmac_f32_e32 v2, v3, v29
	s_delay_alu instid0(VALU_DEP_1) | instskip(SKIP_1) | instid1(VALU_DEP_1)
	v_dual_add_f32 v2, v26, v2 :: v_dual_add_f32 v3, v25, v27
	v_mul_f32_e32 v25, v5, v32
	v_fma_f32 v25, v4, v31, -v25
	v_mul_f32_e32 v4, v4, v32
	s_delay_alu instid0(VALU_DEP_1) | instskip(NEXT) | instid1(VALU_DEP_1)
	v_fmac_f32_e32 v4, v5, v31
	v_dual_add_f32 v26, v2, v4 :: v_dual_add_f32 v25, v3, v25
	ds_load_2addr_b64 v[2:5], v12 offset0:192 offset1:224
	s_waitcnt lgkmcnt(0)
	v_mul_f32_e32 v27, v3, v34
	s_delay_alu instid0(VALU_DEP_1) | instskip(SKIP_1) | instid1(VALU_DEP_1)
	v_fma_f32 v27, v2, v33, -v27
	v_mul_f32_e32 v2, v2, v34
	v_fmac_f32_e32 v2, v3, v33
	s_delay_alu instid0(VALU_DEP_1) | instskip(SKIP_1) | instid1(VALU_DEP_1)
	v_dual_add_f32 v2, v26, v2 :: v_dual_add_f32 v3, v25, v27
	v_mul_f32_e32 v25, v5, v36
	v_fma_f32 v25, v4, v35, -v25
	s_delay_alu instid0(VALU_DEP_1) | instskip(NEXT) | instid1(VALU_DEP_1)
	v_dual_mul_f32 v4, v4, v36 :: v_dual_add_f32 v29, v3, v25
	v_fmac_f32_e32 v4, v5, v35
	s_delay_alu instid0(VALU_DEP_1)
	v_add_f32_e32 v30, v2, v4
	ds_load_b128 v[2:5], v8 offset:64
	ds_load_2addr_b64 v[25:28], v20 offset1:32
	s_waitcnt lgkmcnt(0)
	v_mul_f32_e32 v31, v26, v3
	v_mul_f32_e32 v3, v25, v3
	s_delay_alu instid0(VALU_DEP_2) | instskip(NEXT) | instid1(VALU_DEP_2)
	v_fma_f32 v31, v25, v2, -v31
	v_fmac_f32_e32 v3, v26, v2
	v_mul_f32_e32 v25, v28, v5
	s_delay_alu instid0(VALU_DEP_3) | instskip(NEXT) | instid1(VALU_DEP_3)
	v_dual_mul_f32 v5, v27, v5 :: v_dual_add_f32 v2, v29, v31
	v_add_f32_e32 v3, v30, v3
	s_delay_alu instid0(VALU_DEP_3) | instskip(NEXT) | instid1(VALU_DEP_3)
	v_fma_f32 v25, v27, v4, -v25
	v_fmac_f32_e32 v5, v28, v4
	s_delay_alu instid0(VALU_DEP_2) | instskip(NEXT) | instid1(VALU_DEP_2)
	v_add_f32_e32 v29, v2, v25
	v_add_f32_e32 v30, v3, v5
	ds_load_b128 v[2:5], v8 offset:80
	ds_load_2addr_b64 v[25:28], v20 offset0:64 offset1:96
	s_waitcnt lgkmcnt(0)
	v_mul_f32_e32 v31, v26, v3
	v_mul_f32_e32 v3, v25, v3
	s_delay_alu instid0(VALU_DEP_2) | instskip(NEXT) | instid1(VALU_DEP_2)
	v_fma_f32 v31, v25, v2, -v31
	v_fmac_f32_e32 v3, v26, v2
	v_mul_f32_e32 v25, v28, v5
	s_delay_alu instid0(VALU_DEP_3) | instskip(NEXT) | instid1(VALU_DEP_3)
	v_dual_mul_f32 v5, v27, v5 :: v_dual_add_f32 v2, v29, v31
	v_add_f32_e32 v3, v30, v3
	s_delay_alu instid0(VALU_DEP_3) | instskip(NEXT) | instid1(VALU_DEP_3)
	v_fma_f32 v25, v27, v4, -v25
	v_fmac_f32_e32 v5, v28, v4
	s_delay_alu instid0(VALU_DEP_2) | instskip(NEXT) | instid1(VALU_DEP_2)
	v_add_f32_e32 v29, v2, v25
	v_add_f32_e32 v30, v3, v5
	ds_load_b128 v[2:5], v8 offset:96
	ds_load_2addr_b64 v[25:28], v20 offset0:128 offset1:160
	;; [unrolled: 18-line block ×3, first 2 shown]
	s_waitcnt lgkmcnt(0)
	v_mul_f32_e32 v31, v26, v3
	v_mul_f32_e32 v3, v25, v3
	s_delay_alu instid0(VALU_DEP_2) | instskip(NEXT) | instid1(VALU_DEP_2)
	v_fma_f32 v31, v25, v2, -v31
	v_fmac_f32_e32 v3, v26, v2
	v_mul_f32_e32 v25, v28, v5
	s_delay_alu instid0(VALU_DEP_3) | instskip(NEXT) | instid1(VALU_DEP_3)
	v_dual_mul_f32 v5, v27, v5 :: v_dual_add_f32 v2, v29, v31
	v_add_f32_e32 v3, v30, v3
	s_delay_alu instid0(VALU_DEP_3) | instskip(NEXT) | instid1(VALU_DEP_3)
	v_fma_f32 v25, v27, v4, -v25
	v_fmac_f32_e32 v5, v28, v4
	s_delay_alu instid0(VALU_DEP_2) | instskip(NEXT) | instid1(VALU_DEP_2)
	v_add_f32_e32 v29, v2, v25
	v_add_f32_e32 v30, v3, v5
	ds_load_b128 v[2:5], v8 offset:128
	ds_load_2addr_b64 v[25:28], v21 offset1:32
	s_waitcnt lgkmcnt(0)
	v_mul_f32_e32 v31, v26, v3
	v_mul_f32_e32 v3, v25, v3
	s_delay_alu instid0(VALU_DEP_2) | instskip(NEXT) | instid1(VALU_DEP_2)
	v_fma_f32 v31, v25, v2, -v31
	v_fmac_f32_e32 v3, v26, v2
	v_mul_f32_e32 v25, v28, v5
	s_delay_alu instid0(VALU_DEP_3) | instskip(NEXT) | instid1(VALU_DEP_3)
	v_dual_mul_f32 v5, v27, v5 :: v_dual_add_f32 v2, v29, v31
	v_add_f32_e32 v3, v30, v3
	s_delay_alu instid0(VALU_DEP_3) | instskip(NEXT) | instid1(VALU_DEP_3)
	v_fma_f32 v25, v27, v4, -v25
	v_fmac_f32_e32 v5, v28, v4
	s_delay_alu instid0(VALU_DEP_2) | instskip(NEXT) | instid1(VALU_DEP_2)
	v_add_f32_e32 v29, v2, v25
	v_add_f32_e32 v30, v3, v5
	ds_load_b128 v[2:5], v8 offset:144
	ds_load_2addr_b64 v[25:28], v21 offset0:64 offset1:96
	s_waitcnt lgkmcnt(0)
	v_mul_f32_e32 v31, v26, v3
	v_mul_f32_e32 v3, v25, v3
	s_delay_alu instid0(VALU_DEP_2) | instskip(NEXT) | instid1(VALU_DEP_2)
	v_fma_f32 v31, v25, v2, -v31
	v_fmac_f32_e32 v3, v26, v2
	v_mul_f32_e32 v25, v28, v5
	s_delay_alu instid0(VALU_DEP_3) | instskip(NEXT) | instid1(VALU_DEP_3)
	v_dual_mul_f32 v5, v27, v5 :: v_dual_add_f32 v2, v29, v31
	v_add_f32_e32 v3, v30, v3
	s_delay_alu instid0(VALU_DEP_3) | instskip(NEXT) | instid1(VALU_DEP_3)
	v_fma_f32 v25, v27, v4, -v25
	v_fmac_f32_e32 v5, v28, v4
	s_delay_alu instid0(VALU_DEP_2) | instskip(NEXT) | instid1(VALU_DEP_2)
	v_add_f32_e32 v29, v2, v25
	v_add_f32_e32 v30, v3, v5
	ds_load_b128 v[2:5], v8 offset:160
	ds_load_2addr_b64 v[25:28], v21 offset0:128 offset1:160
	;; [unrolled: 18-line block ×3, first 2 shown]
	s_waitcnt lgkmcnt(0)
	v_mul_f32_e32 v31, v26, v3
	v_mul_f32_e32 v3, v25, v3
	s_delay_alu instid0(VALU_DEP_2) | instskip(NEXT) | instid1(VALU_DEP_2)
	v_fma_f32 v31, v25, v2, -v31
	v_fmac_f32_e32 v3, v26, v2
	v_mul_f32_e32 v25, v28, v5
	s_delay_alu instid0(VALU_DEP_3) | instskip(NEXT) | instid1(VALU_DEP_3)
	v_dual_mul_f32 v5, v27, v5 :: v_dual_add_f32 v2, v29, v31
	v_add_f32_e32 v3, v30, v3
	s_delay_alu instid0(VALU_DEP_3) | instskip(NEXT) | instid1(VALU_DEP_3)
	v_fma_f32 v25, v27, v4, -v25
	v_fmac_f32_e32 v5, v28, v4
	s_delay_alu instid0(VALU_DEP_2) | instskip(NEXT) | instid1(VALU_DEP_2)
	v_add_f32_e32 v29, v2, v25
	v_add_f32_e32 v30, v3, v5
	ds_load_b128 v[2:5], v8 offset:192
	ds_load_2addr_b64 v[25:28], v22 offset1:32
	s_waitcnt lgkmcnt(0)
	v_mul_f32_e32 v31, v26, v3
	v_mul_f32_e32 v3, v25, v3
	s_delay_alu instid0(VALU_DEP_2) | instskip(NEXT) | instid1(VALU_DEP_2)
	v_fma_f32 v31, v25, v2, -v31
	v_fmac_f32_e32 v3, v26, v2
	v_mul_f32_e32 v25, v28, v5
	s_delay_alu instid0(VALU_DEP_3) | instskip(NEXT) | instid1(VALU_DEP_3)
	v_dual_mul_f32 v5, v27, v5 :: v_dual_add_f32 v2, v29, v31
	v_add_f32_e32 v3, v30, v3
	s_delay_alu instid0(VALU_DEP_3) | instskip(NEXT) | instid1(VALU_DEP_3)
	v_fma_f32 v25, v27, v4, -v25
	v_fmac_f32_e32 v5, v28, v4
	s_delay_alu instid0(VALU_DEP_2) | instskip(NEXT) | instid1(VALU_DEP_2)
	v_add_f32_e32 v29, v2, v25
	v_add_f32_e32 v30, v3, v5
	ds_load_b128 v[2:5], v8 offset:208
	ds_load_2addr_b64 v[25:28], v22 offset0:64 offset1:96
	s_waitcnt lgkmcnt(0)
	v_mul_f32_e32 v31, v26, v3
	v_mul_f32_e32 v3, v25, v3
	s_delay_alu instid0(VALU_DEP_2) | instskip(NEXT) | instid1(VALU_DEP_2)
	v_fma_f32 v31, v25, v2, -v31
	v_fmac_f32_e32 v3, v26, v2
	v_mul_f32_e32 v25, v28, v5
	s_delay_alu instid0(VALU_DEP_3) | instskip(NEXT) | instid1(VALU_DEP_3)
	v_dual_mul_f32 v5, v27, v5 :: v_dual_add_f32 v2, v29, v31
	v_add_f32_e32 v3, v30, v3
	s_delay_alu instid0(VALU_DEP_3) | instskip(NEXT) | instid1(VALU_DEP_3)
	v_fma_f32 v25, v27, v4, -v25
	v_fmac_f32_e32 v5, v28, v4
	s_delay_alu instid0(VALU_DEP_2) | instskip(NEXT) | instid1(VALU_DEP_2)
	v_add_f32_e32 v29, v2, v25
	v_add_f32_e32 v30, v3, v5
	ds_load_b128 v[2:5], v8 offset:224
	ds_load_2addr_b64 v[25:28], v22 offset0:128 offset1:160
	;; [unrolled: 18-line block ×3, first 2 shown]
	s_waitcnt lgkmcnt(0)
	v_mul_f32_e32 v31, v26, v3
	v_mul_f32_e32 v3, v25, v3
	s_delay_alu instid0(VALU_DEP_2) | instskip(NEXT) | instid1(VALU_DEP_2)
	v_fma_f32 v31, v25, v2, -v31
	v_fmac_f32_e32 v3, v26, v2
	v_mul_f32_e32 v25, v28, v5
	s_delay_alu instid0(VALU_DEP_3) | instskip(NEXT) | instid1(VALU_DEP_3)
	v_dual_mul_f32 v5, v27, v5 :: v_dual_add_f32 v2, v29, v31
	v_add_f32_e32 v3, v30, v3
	s_delay_alu instid0(VALU_DEP_3) | instskip(NEXT) | instid1(VALU_DEP_1)
	v_fma_f32 v25, v27, v4, -v25
	v_dual_fmac_f32 v5, v28, v4 :: v_dual_add_f32 v4, v2, v25
	s_delay_alu instid0(VALU_DEP_1) | instskip(NEXT) | instid1(VALU_DEP_1)
	v_add_f32_e32 v3, v3, v5
	v_mul_f32_e32 v2, s9, v3
	v_mul_f32_e32 v3, s8, v3
	s_delay_alu instid0(VALU_DEP_2) | instskip(NEXT) | instid1(VALU_DEP_2)
	v_fma_f32 v2, s8, v4, -v2
	v_fmac_f32_e32 v3, s9, v4
	global_load_b64 v[4:5], v[0:1], off
	s_waitcnt vmcnt(0)
	v_dual_add_f32 v2, v4, v2 :: v_dual_add_f32 v3, v5, v3
	global_store_b64 v[0:1], v[2:3], off
.LBB1906_11:                            ;   in Loop: Header=BB1906_5 Depth=1
	s_or_b32 exec_lo, exec_lo, s1
	v_dual_mov_b32 v3, 0 :: v_dual_mov_b32 v4, 0
	v_mov_b32_e32 v5, 0
	s_waitcnt_vscnt null, 0x0
	s_barrier
	buffer_gl0_inv
	s_and_saveexec_b32 s11, s7
	s_cbranch_execz .LBB1906_13
; %bb.12:                               ;   in Loop: Header=BB1906_5 Depth=1
	v_mad_i64_i32 v[4:5], null, v23, s4, 0
	s_delay_alu instid0(VALU_DEP_1) | instskip(NEXT) | instid1(VALU_DEP_1)
	v_lshlrev_b64 v[4:5], 3, v[4:5]
	v_add_co_u32 v4, s1, v16, v4
	s_delay_alu instid0(VALU_DEP_1)
	v_add_co_ci_u32_e64 v5, s1, v17, v5, s1
	global_load_b64 v[4:5], v[4:5], off
.LBB1906_13:                            ;   in Loop: Header=BB1906_5 Depth=1
	s_or_b32 exec_lo, exec_lo, s11
	v_mov_b32_e32 v2, 0
	s_waitcnt vmcnt(0)
	ds_store_b64 v11, v[4:5]
	s_and_saveexec_b32 s7, s10
	s_cbranch_execz .LBB1906_15
; %bb.14:                               ;   in Loop: Header=BB1906_5 Depth=1
	v_mad_i64_i32 v[2:3], null, v24, s3, 0
	s_delay_alu instid0(VALU_DEP_1) | instskip(NEXT) | instid1(VALU_DEP_1)
	v_lshlrev_b64 v[2:3], 3, v[2:3]
	v_add_co_u32 v2, s1, v18, v2
	s_delay_alu instid0(VALU_DEP_1)
	v_add_co_ci_u32_e64 v3, s1, v19, v3, s1
	global_load_b64 v[2:3], v[2:3], off
.LBB1906_15:                            ;   in Loop: Header=BB1906_5 Depth=1
	s_or_b32 exec_lo, exec_lo, s7
	s_waitcnt vmcnt(0)
	ds_store_b64 v15, v[2:3]
	s_waitcnt lgkmcnt(0)
	s_barrier
	buffer_gl0_inv
	s_and_saveexec_b32 s1, s2
	s_cbranch_execz .LBB1906_4
; %bb.16:                               ;   in Loop: Header=BB1906_5 Depth=1
	ds_load_b128 v[2:5], v8
	ds_load_b128 v[23:26], v8 offset:16
	ds_load_b128 v[27:30], v8 offset:32
	;; [unrolled: 1-line block ×3, first 2 shown]
	ds_load_2addr_b64 v[35:38], v12 offset1:32
	s_waitcnt lgkmcnt(0)
	v_mul_f32_e32 v39, v36, v3
	v_mul_f32_e32 v3, v35, v3
	s_delay_alu instid0(VALU_DEP_2) | instskip(NEXT) | instid1(VALU_DEP_2)
	v_fma_f32 v39, v35, v2, -v39
	v_fmac_f32_e32 v3, v36, v2
	v_mul_f32_e32 v35, v38, v5
	s_delay_alu instid0(VALU_DEP_3) | instskip(NEXT) | instid1(VALU_DEP_3)
	v_dual_mul_f32 v5, v37, v5 :: v_dual_add_f32 v2, 0, v39
	v_add_f32_e32 v3, 0, v3
	s_delay_alu instid0(VALU_DEP_3) | instskip(NEXT) | instid1(VALU_DEP_3)
	v_fma_f32 v35, v37, v4, -v35
	v_fmac_f32_e32 v5, v38, v4
	s_delay_alu instid0(VALU_DEP_1) | instskip(SKIP_3) | instid1(VALU_DEP_1)
	v_dual_add_f32 v35, v2, v35 :: v_dual_add_f32 v36, v3, v5
	ds_load_2addr_b64 v[2:5], v12 offset0:64 offset1:96
	s_waitcnt lgkmcnt(0)
	v_mul_f32_e32 v37, v3, v24
	v_fma_f32 v37, v2, v23, -v37
	v_mul_f32_e32 v2, v2, v24
	s_delay_alu instid0(VALU_DEP_1) | instskip(NEXT) | instid1(VALU_DEP_1)
	v_dual_fmac_f32 v2, v3, v23 :: v_dual_mul_f32 v23, v5, v26
	v_add_f32_e32 v2, v36, v2
	s_delay_alu instid0(VALU_DEP_2) | instskip(SKIP_1) | instid1(VALU_DEP_1)
	v_fma_f32 v23, v4, v25, -v23
	v_mul_f32_e32 v4, v4, v26
	v_fmac_f32_e32 v4, v5, v25
	s_delay_alu instid0(VALU_DEP_1) | instskip(NEXT) | instid1(VALU_DEP_1)
	v_dual_add_f32 v3, v35, v37 :: v_dual_add_f32 v24, v2, v4
	v_add_f32_e32 v23, v3, v23
	ds_load_2addr_b64 v[2:5], v12 offset0:128 offset1:160
	s_waitcnt lgkmcnt(0)
	v_mul_f32_e32 v25, v3, v28
	s_delay_alu instid0(VALU_DEP_1) | instskip(SKIP_1) | instid1(VALU_DEP_1)
	v_fma_f32 v25, v2, v27, -v25
	v_mul_f32_e32 v2, v2, v28
	v_fmac_f32_e32 v2, v3, v27
	s_delay_alu instid0(VALU_DEP_1) | instskip(SKIP_1) | instid1(VALU_DEP_1)
	v_dual_add_f32 v2, v24, v2 :: v_dual_add_f32 v3, v23, v25
	v_mul_f32_e32 v23, v5, v30
	v_fma_f32 v23, v4, v29, -v23
	v_mul_f32_e32 v4, v4, v30
	s_delay_alu instid0(VALU_DEP_1) | instskip(NEXT) | instid1(VALU_DEP_1)
	v_fmac_f32_e32 v4, v5, v29
	v_dual_add_f32 v24, v2, v4 :: v_dual_add_f32 v23, v3, v23
	ds_load_2addr_b64 v[2:5], v12 offset0:192 offset1:224
	s_waitcnt lgkmcnt(0)
	v_mul_f32_e32 v25, v3, v32
	s_delay_alu instid0(VALU_DEP_1) | instskip(SKIP_1) | instid1(VALU_DEP_1)
	v_fma_f32 v25, v2, v31, -v25
	v_mul_f32_e32 v2, v2, v32
	v_fmac_f32_e32 v2, v3, v31
	s_delay_alu instid0(VALU_DEP_1) | instskip(SKIP_1) | instid1(VALU_DEP_1)
	v_dual_add_f32 v2, v24, v2 :: v_dual_add_f32 v3, v23, v25
	v_mul_f32_e32 v23, v5, v34
	v_fma_f32 v23, v4, v33, -v23
	v_mul_f32_e32 v4, v4, v34
	s_delay_alu instid0(VALU_DEP_1) | instskip(NEXT) | instid1(VALU_DEP_1)
	v_fmac_f32_e32 v4, v5, v33
	v_dual_add_f32 v28, v2, v4 :: v_dual_add_f32 v27, v3, v23
	ds_load_b128 v[2:5], v8 offset:64
	ds_load_2addr_b64 v[23:26], v20 offset1:32
	s_waitcnt lgkmcnt(0)
	v_mul_f32_e32 v29, v24, v3
	v_mul_f32_e32 v3, v23, v3
	s_delay_alu instid0(VALU_DEP_2) | instskip(SKIP_1) | instid1(VALU_DEP_3)
	v_fma_f32 v29, v23, v2, -v29
	v_mul_f32_e32 v23, v26, v5
	v_fmac_f32_e32 v3, v24, v2
	v_mul_f32_e32 v5, v25, v5
	s_delay_alu instid0(VALU_DEP_4) | instskip(NEXT) | instid1(VALU_DEP_4)
	v_add_f32_e32 v2, v27, v29
	v_fma_f32 v23, v25, v4, -v23
	s_delay_alu instid0(VALU_DEP_3) | instskip(NEXT) | instid1(VALU_DEP_2)
	v_fmac_f32_e32 v5, v26, v4
	v_add_f32_e32 v27, v2, v23
	v_add_f32_e32 v3, v28, v3
	s_delay_alu instid0(VALU_DEP_1)
	v_add_f32_e32 v28, v3, v5
	ds_load_b128 v[2:5], v8 offset:80
	ds_load_2addr_b64 v[23:26], v20 offset0:64 offset1:96
	s_waitcnt lgkmcnt(0)
	v_mul_f32_e32 v29, v24, v3
	v_mul_f32_e32 v3, v23, v3
	s_delay_alu instid0(VALU_DEP_2) | instskip(NEXT) | instid1(VALU_DEP_2)
	v_fma_f32 v29, v23, v2, -v29
	v_fmac_f32_e32 v3, v24, v2
	v_mul_f32_e32 v23, v26, v5
	v_mul_f32_e32 v5, v25, v5
	s_delay_alu instid0(VALU_DEP_3) | instskip(NEXT) | instid1(VALU_DEP_3)
	v_add_f32_e32 v3, v28, v3
	v_fma_f32 v23, v25, v4, -v23
	s_delay_alu instid0(VALU_DEP_3) | instskip(NEXT) | instid1(VALU_DEP_1)
	v_fmac_f32_e32 v5, v26, v4
	v_add_f32_e32 v28, v3, v5
	v_add_f32_e32 v2, v27, v29
	s_delay_alu instid0(VALU_DEP_1)
	v_add_f32_e32 v27, v2, v23
	ds_load_b128 v[2:5], v8 offset:96
	ds_load_2addr_b64 v[23:26], v20 offset0:128 offset1:160
	s_waitcnt lgkmcnt(0)
	v_mul_f32_e32 v29, v24, v3
	v_mul_f32_e32 v3, v23, v3
	s_delay_alu instid0(VALU_DEP_2) | instskip(NEXT) | instid1(VALU_DEP_2)
	v_fma_f32 v29, v23, v2, -v29
	v_fmac_f32_e32 v3, v24, v2
	v_mul_f32_e32 v23, v26, v5
	v_mul_f32_e32 v5, v25, v5
	s_delay_alu instid0(VALU_DEP_3) | instskip(NEXT) | instid1(VALU_DEP_3)
	v_dual_add_f32 v2, v27, v29 :: v_dual_add_f32 v3, v28, v3
	v_fma_f32 v23, v25, v4, -v23
	s_delay_alu instid0(VALU_DEP_3) | instskip(NEXT) | instid1(VALU_DEP_1)
	v_fmac_f32_e32 v5, v26, v4
	v_dual_add_f32 v27, v2, v23 :: v_dual_add_f32 v28, v3, v5
	ds_load_b128 v[2:5], v8 offset:112
	ds_load_2addr_b64 v[23:26], v20 offset0:192 offset1:224
	s_waitcnt lgkmcnt(0)
	v_mul_f32_e32 v29, v24, v3
	v_mul_f32_e32 v3, v23, v3
	s_delay_alu instid0(VALU_DEP_2) | instskip(NEXT) | instid1(VALU_DEP_2)
	v_fma_f32 v29, v23, v2, -v29
	v_fmac_f32_e32 v3, v24, v2
	v_mul_f32_e32 v23, v26, v5
	v_mul_f32_e32 v5, v25, v5
	s_delay_alu instid0(VALU_DEP_3) | instskip(NEXT) | instid1(VALU_DEP_3)
	v_dual_add_f32 v2, v27, v29 :: v_dual_add_f32 v3, v28, v3
	v_fma_f32 v23, v25, v4, -v23
	s_delay_alu instid0(VALU_DEP_3) | instskip(NEXT) | instid1(VALU_DEP_1)
	v_fmac_f32_e32 v5, v26, v4
	v_dual_add_f32 v27, v2, v23 :: v_dual_add_f32 v28, v3, v5
	ds_load_b128 v[2:5], v8 offset:128
	ds_load_2addr_b64 v[23:26], v21 offset1:32
	s_waitcnt lgkmcnt(0)
	v_mul_f32_e32 v29, v24, v3
	v_mul_f32_e32 v3, v23, v3
	s_delay_alu instid0(VALU_DEP_2) | instskip(NEXT) | instid1(VALU_DEP_2)
	v_fma_f32 v29, v23, v2, -v29
	v_fmac_f32_e32 v3, v24, v2
	v_mul_f32_e32 v23, v26, v5
	v_mul_f32_e32 v5, v25, v5
	s_delay_alu instid0(VALU_DEP_3) | instskip(NEXT) | instid1(VALU_DEP_3)
	v_dual_add_f32 v2, v27, v29 :: v_dual_add_f32 v3, v28, v3
	v_fma_f32 v23, v25, v4, -v23
	s_delay_alu instid0(VALU_DEP_3) | instskip(NEXT) | instid1(VALU_DEP_1)
	v_fmac_f32_e32 v5, v26, v4
	v_dual_add_f32 v27, v2, v23 :: v_dual_add_f32 v28, v3, v5
	ds_load_b128 v[2:5], v8 offset:144
	ds_load_2addr_b64 v[23:26], v21 offset0:64 offset1:96
	s_waitcnt lgkmcnt(0)
	v_mul_f32_e32 v29, v24, v3
	v_mul_f32_e32 v3, v23, v3
	s_delay_alu instid0(VALU_DEP_2) | instskip(NEXT) | instid1(VALU_DEP_2)
	v_fma_f32 v29, v23, v2, -v29
	v_fmac_f32_e32 v3, v24, v2
	v_mul_f32_e32 v23, v26, v5
	v_mul_f32_e32 v5, v25, v5
	s_delay_alu instid0(VALU_DEP_3) | instskip(NEXT) | instid1(VALU_DEP_3)
	v_dual_add_f32 v2, v27, v29 :: v_dual_add_f32 v3, v28, v3
	v_fma_f32 v23, v25, v4, -v23
	s_delay_alu instid0(VALU_DEP_3) | instskip(NEXT) | instid1(VALU_DEP_1)
	v_fmac_f32_e32 v5, v26, v4
	v_dual_add_f32 v27, v2, v23 :: v_dual_add_f32 v28, v3, v5
	ds_load_b128 v[2:5], v8 offset:160
	ds_load_2addr_b64 v[23:26], v21 offset0:128 offset1:160
	s_waitcnt lgkmcnt(0)
	v_mul_f32_e32 v29, v24, v3
	v_mul_f32_e32 v3, v23, v3
	s_delay_alu instid0(VALU_DEP_2) | instskip(NEXT) | instid1(VALU_DEP_2)
	v_fma_f32 v29, v23, v2, -v29
	v_fmac_f32_e32 v3, v24, v2
	v_mul_f32_e32 v23, v26, v5
	v_mul_f32_e32 v5, v25, v5
	s_delay_alu instid0(VALU_DEP_3) | instskip(NEXT) | instid1(VALU_DEP_3)
	v_dual_add_f32 v2, v27, v29 :: v_dual_add_f32 v3, v28, v3
	v_fma_f32 v23, v25, v4, -v23
	s_delay_alu instid0(VALU_DEP_3) | instskip(NEXT) | instid1(VALU_DEP_1)
	v_fmac_f32_e32 v5, v26, v4
	v_dual_add_f32 v27, v2, v23 :: v_dual_add_f32 v28, v3, v5
	ds_load_b128 v[2:5], v8 offset:176
	ds_load_2addr_b64 v[23:26], v21 offset0:192 offset1:224
	s_waitcnt lgkmcnt(0)
	v_mul_f32_e32 v29, v24, v3
	v_mul_f32_e32 v3, v23, v3
	s_delay_alu instid0(VALU_DEP_2) | instskip(NEXT) | instid1(VALU_DEP_2)
	v_fma_f32 v29, v23, v2, -v29
	v_fmac_f32_e32 v3, v24, v2
	v_mul_f32_e32 v23, v26, v5
	v_mul_f32_e32 v5, v25, v5
	s_delay_alu instid0(VALU_DEP_3) | instskip(NEXT) | instid1(VALU_DEP_3)
	v_dual_add_f32 v2, v27, v29 :: v_dual_add_f32 v3, v28, v3
	v_fma_f32 v23, v25, v4, -v23
	s_delay_alu instid0(VALU_DEP_3) | instskip(NEXT) | instid1(VALU_DEP_1)
	v_fmac_f32_e32 v5, v26, v4
	v_dual_add_f32 v27, v2, v23 :: v_dual_add_f32 v28, v3, v5
	ds_load_b128 v[2:5], v8 offset:192
	ds_load_2addr_b64 v[23:26], v22 offset1:32
	s_waitcnt lgkmcnt(0)
	v_mul_f32_e32 v29, v24, v3
	v_mul_f32_e32 v3, v23, v3
	s_delay_alu instid0(VALU_DEP_2) | instskip(NEXT) | instid1(VALU_DEP_2)
	v_fma_f32 v29, v23, v2, -v29
	v_fmac_f32_e32 v3, v24, v2
	v_mul_f32_e32 v23, v26, v5
	v_mul_f32_e32 v5, v25, v5
	s_delay_alu instid0(VALU_DEP_3) | instskip(NEXT) | instid1(VALU_DEP_3)
	v_dual_add_f32 v2, v27, v29 :: v_dual_add_f32 v3, v28, v3
	v_fma_f32 v23, v25, v4, -v23
	s_delay_alu instid0(VALU_DEP_3) | instskip(NEXT) | instid1(VALU_DEP_1)
	v_fmac_f32_e32 v5, v26, v4
	v_dual_add_f32 v27, v2, v23 :: v_dual_add_f32 v28, v3, v5
	ds_load_b128 v[2:5], v8 offset:208
	ds_load_2addr_b64 v[23:26], v22 offset0:64 offset1:96
	s_waitcnt lgkmcnt(0)
	v_mul_f32_e32 v29, v24, v3
	v_mul_f32_e32 v3, v23, v3
	s_delay_alu instid0(VALU_DEP_2) | instskip(NEXT) | instid1(VALU_DEP_2)
	v_fma_f32 v29, v23, v2, -v29
	v_fmac_f32_e32 v3, v24, v2
	v_mul_f32_e32 v23, v26, v5
	v_mul_f32_e32 v5, v25, v5
	s_delay_alu instid0(VALU_DEP_3) | instskip(NEXT) | instid1(VALU_DEP_3)
	v_dual_add_f32 v2, v27, v29 :: v_dual_add_f32 v3, v28, v3
	v_fma_f32 v23, v25, v4, -v23
	s_delay_alu instid0(VALU_DEP_3) | instskip(NEXT) | instid1(VALU_DEP_1)
	v_fmac_f32_e32 v5, v26, v4
	v_dual_add_f32 v27, v2, v23 :: v_dual_add_f32 v28, v3, v5
	ds_load_b128 v[2:5], v8 offset:224
	ds_load_2addr_b64 v[23:26], v22 offset0:128 offset1:160
	;; [unrolled: 16-line block ×3, first 2 shown]
	s_waitcnt lgkmcnt(0)
	v_mul_f32_e32 v29, v24, v3
	v_mul_f32_e32 v3, v23, v3
	s_delay_alu instid0(VALU_DEP_2) | instskip(NEXT) | instid1(VALU_DEP_2)
	v_fma_f32 v29, v23, v2, -v29
	v_fmac_f32_e32 v3, v24, v2
	v_mul_f32_e32 v23, v26, v5
	v_mul_f32_e32 v5, v25, v5
	s_delay_alu instid0(VALU_DEP_3) | instskip(NEXT) | instid1(VALU_DEP_3)
	v_dual_add_f32 v2, v27, v29 :: v_dual_add_f32 v3, v28, v3
	v_fma_f32 v23, v25, v4, -v23
	s_delay_alu instid0(VALU_DEP_3) | instskip(NEXT) | instid1(VALU_DEP_1)
	v_fmac_f32_e32 v5, v26, v4
	v_dual_add_f32 v4, v2, v23 :: v_dual_add_f32 v5, v3, v5
	s_delay_alu instid0(VALU_DEP_1) | instskip(NEXT) | instid1(VALU_DEP_1)
	v_dual_mul_f32 v3, s9, v4 :: v_dual_mul_f32 v2, s9, v5
	v_fmac_f32_e32 v3, s8, v5
	s_delay_alu instid0(VALU_DEP_2)
	v_fma_f32 v2, s8, v4, -v2
	global_load_b64 v[4:5], v[0:1], off
	s_waitcnt vmcnt(0)
	v_dual_add_f32 v2, v4, v2 :: v_dual_add_f32 v3, v5, v3
	global_store_b64 v[0:1], v[2:3], off
	s_branch .LBB1906_4
.LBB1906_17:
	s_endpgm
	.section	.rodata,"a",@progbits
	.p2align	6, 0x0
	.amdhsa_kernel _ZL26rocblas_syr2k_her2k_kernelIiLb1ELb0ELb0ELi32EPK19rocblas_complex_numIfES3_PS1_EvbiT_T4_T5_S5_lS7_S5_lT6_S5_li
		.amdhsa_group_segment_fixed_size 16384
		.amdhsa_private_segment_fixed_size 0
		.amdhsa_kernarg_size 100
		.amdhsa_user_sgpr_count 13
		.amdhsa_user_sgpr_dispatch_ptr 0
		.amdhsa_user_sgpr_queue_ptr 0
		.amdhsa_user_sgpr_kernarg_segment_ptr 1
		.amdhsa_user_sgpr_dispatch_id 0
		.amdhsa_user_sgpr_private_segment_size 0
		.amdhsa_wavefront_size32 1
		.amdhsa_uses_dynamic_stack 0
		.amdhsa_enable_private_segment 0
		.amdhsa_system_sgpr_workgroup_id_x 1
		.amdhsa_system_sgpr_workgroup_id_y 1
		.amdhsa_system_sgpr_workgroup_id_z 1
		.amdhsa_system_sgpr_workgroup_info 0
		.amdhsa_system_vgpr_workitem_id 1
		.amdhsa_next_free_vgpr 42
		.amdhsa_next_free_sgpr 24
		.amdhsa_reserve_vcc 1
		.amdhsa_float_round_mode_32 0
		.amdhsa_float_round_mode_16_64 0
		.amdhsa_float_denorm_mode_32 3
		.amdhsa_float_denorm_mode_16_64 3
		.amdhsa_dx10_clamp 1
		.amdhsa_ieee_mode 1
		.amdhsa_fp16_overflow 0
		.amdhsa_workgroup_processor_mode 1
		.amdhsa_memory_ordered 1
		.amdhsa_forward_progress 0
		.amdhsa_shared_vgpr_count 0
		.amdhsa_exception_fp_ieee_invalid_op 0
		.amdhsa_exception_fp_denorm_src 0
		.amdhsa_exception_fp_ieee_div_zero 0
		.amdhsa_exception_fp_ieee_overflow 0
		.amdhsa_exception_fp_ieee_underflow 0
		.amdhsa_exception_fp_ieee_inexact 0
		.amdhsa_exception_int_div_zero 0
	.end_amdhsa_kernel
	.section	.text._ZL26rocblas_syr2k_her2k_kernelIiLb1ELb0ELb0ELi32EPK19rocblas_complex_numIfES3_PS1_EvbiT_T4_T5_S5_lS7_S5_lT6_S5_li,"axG",@progbits,_ZL26rocblas_syr2k_her2k_kernelIiLb1ELb0ELb0ELi32EPK19rocblas_complex_numIfES3_PS1_EvbiT_T4_T5_S5_lS7_S5_lT6_S5_li,comdat
.Lfunc_end1906:
	.size	_ZL26rocblas_syr2k_her2k_kernelIiLb1ELb0ELb0ELi32EPK19rocblas_complex_numIfES3_PS1_EvbiT_T4_T5_S5_lS7_S5_lT6_S5_li, .Lfunc_end1906-_ZL26rocblas_syr2k_her2k_kernelIiLb1ELb0ELb0ELi32EPK19rocblas_complex_numIfES3_PS1_EvbiT_T4_T5_S5_lS7_S5_lT6_S5_li
                                        ; -- End function
	.section	.AMDGPU.csdata,"",@progbits
; Kernel info:
; codeLenInByte = 4008
; NumSgprs: 26
; NumVgprs: 42
; ScratchSize: 0
; MemoryBound: 0
; FloatMode: 240
; IeeeMode: 1
; LDSByteSize: 16384 bytes/workgroup (compile time only)
; SGPRBlocks: 3
; VGPRBlocks: 5
; NumSGPRsForWavesPerEU: 26
; NumVGPRsForWavesPerEU: 42
; Occupancy: 16
; WaveLimiterHint : 0
; COMPUTE_PGM_RSRC2:SCRATCH_EN: 0
; COMPUTE_PGM_RSRC2:USER_SGPR: 13
; COMPUTE_PGM_RSRC2:TRAP_HANDLER: 0
; COMPUTE_PGM_RSRC2:TGID_X_EN: 1
; COMPUTE_PGM_RSRC2:TGID_Y_EN: 1
; COMPUTE_PGM_RSRC2:TGID_Z_EN: 1
; COMPUTE_PGM_RSRC2:TIDIG_COMP_CNT: 1
	.section	.text._ZL26rocblas_syr2k_her2k_kernelIiLb1ELb0ELb1ELi32EPK19rocblas_complex_numIfES3_PS1_EvbiT_T4_T5_S5_lS7_S5_lT6_S5_li,"axG",@progbits,_ZL26rocblas_syr2k_her2k_kernelIiLb1ELb0ELb1ELi32EPK19rocblas_complex_numIfES3_PS1_EvbiT_T4_T5_S5_lS7_S5_lT6_S5_li,comdat
	.globl	_ZL26rocblas_syr2k_her2k_kernelIiLb1ELb0ELb1ELi32EPK19rocblas_complex_numIfES3_PS1_EvbiT_T4_T5_S5_lS7_S5_lT6_S5_li ; -- Begin function _ZL26rocblas_syr2k_her2k_kernelIiLb1ELb0ELb1ELi32EPK19rocblas_complex_numIfES3_PS1_EvbiT_T4_T5_S5_lS7_S5_lT6_S5_li
	.p2align	8
	.type	_ZL26rocblas_syr2k_her2k_kernelIiLb1ELb0ELb1ELi32EPK19rocblas_complex_numIfES3_PS1_EvbiT_T4_T5_S5_lS7_S5_lT6_S5_li,@function
_ZL26rocblas_syr2k_her2k_kernelIiLb1ELb0ELb1ELi32EPK19rocblas_complex_numIfES3_PS1_EvbiT_T4_T5_S5_lS7_S5_lT6_S5_li: ; @_ZL26rocblas_syr2k_her2k_kernelIiLb1ELb0ELb1ELi32EPK19rocblas_complex_numIfES3_PS1_EvbiT_T4_T5_S5_lS7_S5_lT6_S5_li
; %bb.0:
	s_load_b128 s[8:11], s[0:1], 0x10
	s_waitcnt lgkmcnt(0)
	s_load_b64 s[8:9], s[8:9], 0x0
	s_waitcnt lgkmcnt(0)
	v_cmp_eq_f32_e64 s2, s8, 0
	v_cmp_eq_f32_e64 s3, s9, 0
	s_delay_alu instid0(VALU_DEP_1) | instskip(NEXT) | instid1(SALU_CYCLE_1)
	s_and_b32 s2, s2, s3
	s_and_b32 vcc_lo, exec_lo, s2
	s_cbranch_vccnz .LBB1907_17
; %bb.1:
	s_load_b128 s[4:7], s[0:1], 0x0
	s_lshl_b32 s2, s14, 5
	s_lshl_b32 s3, s13, 5
	s_waitcnt lgkmcnt(0)
	s_and_b32 s4, 1, s4
	s_delay_alu instid0(SALU_CYCLE_1) | instskip(SKIP_1) | instid1(SALU_CYCLE_1)
	s_cmp_eq_u32 s4, 1
	s_cselect_b32 vcc_lo, -1, 0
	s_and_b32 s4, vcc_lo, exec_lo
	s_cselect_b32 s4, s3, s2
	s_cselect_b32 s7, s2, s3
	s_delay_alu instid0(SALU_CYCLE_1)
	s_cmp_gt_i32 s4, s7
	s_cbranch_scc1 .LBB1907_17
; %bb.2:
	s_cmp_lt_i32 s6, 1
	s_cbranch_scc1 .LBB1907_17
; %bb.3:
	s_clause 0x5
	s_load_b128 s[20:23], s[0:1], 0x28
	s_load_b128 s[16:19], s[0:1], 0x40
	s_load_b32 s4, s[0:1], 0x20
	s_load_b32 s7, s[0:1], 0x38
	;; [unrolled: 1-line block ×3, first 2 shown]
	s_load_b64 s[12:13], s[0:1], 0x58
	v_and_b32_e32 v9, 0x3ff, v0
	v_bfe_u32 v10, v0, 10, 10
	s_delay_alu instid0(VALU_DEP_2) | instskip(NEXT) | instid1(VALU_DEP_2)
	v_add_nc_u32_e32 v0, s3, v9
	v_add_nc_u32_e32 v8, s2, v10
	v_lshlrev_b32_e32 v15, 3, v10
	v_lshlrev_b32_e32 v11, 8, v9
	s_delay_alu instid0(VALU_DEP_4) | instskip(NEXT) | instid1(VALU_DEP_4)
	v_ashrrev_i32_e32 v1, 31, v0
	v_cndmask_b32_e32 v6, v0, v8, vcc_lo
	s_delay_alu instid0(VALU_DEP_3)
	v_dual_cndmask_b32 v7, v8, v0 :: v_dual_add_nc_u32 v14, v11, v15
	v_cmp_gt_i32_e32 vcc_lo, s5, v0
	v_or_b32_e32 v15, 0x2000, v15
	s_waitcnt lgkmcnt(0)
	s_mul_i32 s1, s15, s21
	s_mul_hi_u32 s3, s15, s20
	s_mul_i32 s0, s15, s20
	s_add_i32 s1, s3, s1
	v_mad_i64_i32 v[2:3], null, s4, v0, 0
	s_lshl_b64 s[0:1], s[0:1], 3
	s_mul_i32 s17, s15, s17
	s_mul_hi_u32 s20, s15, s16
	s_add_u32 s10, s10, s0
	s_mul_i32 s2, s15, s16
	s_addc_u32 s11, s11, s1
	s_add_i32 s3, s20, s17
	s_mul_i32 s13, s15, s13
	s_lshl_b64 s[0:1], s[2:3], 3
	s_mul_hi_u32 s16, s15, s12
	v_lshlrev_b64 v[2:3], 3, v[2:3]
	v_mad_i64_i32 v[4:5], null, s7, v8, 0
	s_mul_i32 s2, s15, s12
	s_add_u32 s12, s22, s0
	s_addc_u32 s15, s23, s1
	s_add_i32 s3, s16, s13
	v_add_nc_u32_e32 v18, v15, v11
	s_lshl_b64 s[0:1], s[2:3], 3
	v_add_nc_u32_e32 v23, 0x800, v15
	s_add_u32 s2, s18, s0
	v_add_co_u32 v12, s0, s10, v2
	s_delay_alu instid0(VALU_DEP_1)
	v_add_co_ci_u32_e64 v13, s0, s11, v3, s0
	v_lshlrev_b64 v[2:3], 3, v[4:5]
	v_mad_i64_i32 v[4:5], null, s14, v8, 0
	s_addc_u32 s3, s19, s1
	v_cmp_gt_i32_e64 s0, s5, v8
	v_add_nc_u32_e32 v24, 0x1000, v15
	s_delay_alu instid0(VALU_DEP_4) | instskip(NEXT) | instid1(VALU_DEP_1)
	v_add_co_u32 v16, s1, s12, v2
	v_add_co_ci_u32_e64 v17, s1, s15, v3, s1
	v_lshlrev_b64 v[2:3], 3, v[4:5]
	v_mad_i64_i32 v[4:5], null, s7, v0, 0
	v_cmp_le_i32_e64 s1, v7, v6
	v_mad_i64_i32 v[6:7], null, s4, v8, 0
	v_lshlrev_b64 v[0:1], 3, v[0:1]
	v_add_co_u32 v8, s2, s2, v2
	s_delay_alu instid0(VALU_DEP_1) | instskip(SKIP_1) | instid1(VALU_DEP_3)
	v_add_co_ci_u32_e64 v19, s2, s3, v3, s2
	v_lshlrev_b64 v[2:3], 3, v[4:5]
	v_add_co_u32 v0, s2, v8, v0
	v_lshlrev_b64 v[4:5], 3, v[6:7]
	s_delay_alu instid0(VALU_DEP_4) | instskip(NEXT) | instid1(VALU_DEP_4)
	v_add_co_ci_u32_e64 v1, s2, v19, v1, s2
	v_add_co_u32 v19, s2, s12, v2
	s_delay_alu instid0(VALU_DEP_1) | instskip(NEXT) | instid1(VALU_DEP_4)
	v_add_co_ci_u32_e64 v20, s2, s15, v3, s2
	v_add_co_u32 v21, s2, s10, v4
	s_delay_alu instid0(VALU_DEP_1)
	v_add_co_ci_u32_e64 v22, s2, s11, v5, s2
	v_add_nc_u32_e32 v25, 0x1800, v15
	s_and_b32 s5, s0, vcc_lo
	s_mov_b32 s3, 0
	s_and_b32 s2, s5, s1
	s_branch .LBB1907_5
.LBB1907_4:                             ;   in Loop: Header=BB1907_5 Depth=1
	s_or_b32 exec_lo, exec_lo, s1
	s_add_i32 s3, s3, 32
	s_waitcnt_vscnt null, 0x0
	s_cmp_lt_i32 s3, s6
	s_barrier
	buffer_gl0_inv
	s_cbranch_scc0 .LBB1907_17
.LBB1907_5:                             ; =>This Inner Loop Header: Depth=1
	v_dual_mov_b32 v5, 0 :: v_dual_add_nc_u32 v2, s3, v10
	v_dual_mov_b32 v7, 0 :: v_dual_mov_b32 v8, 0
	s_delay_alu instid0(VALU_DEP_2) | instskip(NEXT) | instid1(VALU_DEP_1)
	v_cmp_gt_i32_e64 s1, s6, v2
	s_and_b32 s4, vcc_lo, s1
	s_delay_alu instid0(SALU_CYCLE_1)
	s_and_saveexec_b32 s5, s4
	s_cbranch_execz .LBB1907_7
; %bb.6:                                ;   in Loop: Header=BB1907_5 Depth=1
	v_ashrrev_i32_e32 v3, 31, v2
	s_delay_alu instid0(VALU_DEP_1) | instskip(NEXT) | instid1(VALU_DEP_1)
	v_lshlrev_b64 v[3:4], 3, v[2:3]
	v_add_co_u32 v3, s1, v12, v3
	s_delay_alu instid0(VALU_DEP_1)
	v_add_co_ci_u32_e64 v4, s1, v13, v4, s1
	global_load_b64 v[7:8], v[3:4], off
.LBB1907_7:                             ;   in Loop: Header=BB1907_5 Depth=1
	s_or_b32 exec_lo, exec_lo, s5
	v_add_nc_u32_e32 v4, s3, v9
	v_mov_b32_e32 v6, 0
	s_waitcnt vmcnt(0)
	ds_store_b64 v14, v[7:8]
	v_cmp_gt_i32_e64 s1, s6, v4
	s_delay_alu instid0(VALU_DEP_1) | instskip(NEXT) | instid1(SALU_CYCLE_1)
	s_and_b32 s5, s0, s1
	s_and_saveexec_b32 s7, s5
	s_cbranch_execz .LBB1907_9
; %bb.8:                                ;   in Loop: Header=BB1907_5 Depth=1
	v_ashrrev_i32_e32 v5, 31, v4
	s_delay_alu instid0(VALU_DEP_1) | instskip(NEXT) | instid1(VALU_DEP_1)
	v_lshlrev_b64 v[5:6], 3, v[4:5]
	v_add_co_u32 v5, s1, v16, v5
	s_delay_alu instid0(VALU_DEP_1)
	v_add_co_ci_u32_e64 v6, s1, v17, v6, s1
	global_load_b64 v[5:6], v[5:6], off
.LBB1907_9:                             ;   in Loop: Header=BB1907_5 Depth=1
	s_or_b32 exec_lo, exec_lo, s7
	s_waitcnt vmcnt(0)
	ds_store_b64 v18, v[5:6]
	s_waitcnt lgkmcnt(0)
	s_barrier
	buffer_gl0_inv
	s_and_saveexec_b32 s1, s2
	s_cbranch_execz .LBB1907_11
; %bb.10:                               ;   in Loop: Header=BB1907_5 Depth=1
	ds_load_b128 v[5:8], v11
	ds_load_b128 v[26:29], v11 offset:16
	ds_load_b128 v[30:33], v11 offset:32
	ds_load_b128 v[34:37], v11 offset:48
	ds_load_2addr_b64 v[38:41], v15 offset1:32
	s_waitcnt lgkmcnt(0)
	v_mul_f32_e32 v3, v39, v6
	s_delay_alu instid0(VALU_DEP_1) | instskip(NEXT) | instid1(VALU_DEP_1)
	v_fma_f32 v3, v38, v5, -v3
	v_dual_mul_f32 v6, v38, v6 :: v_dual_add_f32 v3, 0, v3
	s_delay_alu instid0(VALU_DEP_1) | instskip(NEXT) | instid1(VALU_DEP_1)
	v_fmac_f32_e32 v6, v39, v5
	v_dual_add_f32 v5, 0, v6 :: v_dual_mul_f32 v6, v41, v8
	v_mul_f32_e32 v8, v40, v8
	s_delay_alu instid0(VALU_DEP_2) | instskip(NEXT) | instid1(VALU_DEP_1)
	v_fma_f32 v6, v40, v7, -v6
	v_dual_fmac_f32 v8, v41, v7 :: v_dual_add_f32 v3, v3, v6
	s_delay_alu instid0(VALU_DEP_1) | instskip(SKIP_3) | instid1(VALU_DEP_1)
	v_add_f32_e32 v38, v5, v8
	ds_load_2addr_b64 v[5:8], v15 offset0:64 offset1:96
	s_waitcnt lgkmcnt(0)
	v_mul_f32_e32 v39, v6, v27
	v_fma_f32 v39, v5, v26, -v39
	v_mul_f32_e32 v5, v5, v27
	s_delay_alu instid0(VALU_DEP_2) | instskip(NEXT) | instid1(VALU_DEP_2)
	v_add_f32_e32 v3, v3, v39
	v_dual_fmac_f32 v5, v6, v26 :: v_dual_mul_f32 v6, v8, v29
	s_delay_alu instid0(VALU_DEP_1) | instskip(NEXT) | instid1(VALU_DEP_2)
	v_add_f32_e32 v5, v38, v5
	v_fma_f32 v6, v7, v28, -v6
	v_mul_f32_e32 v7, v7, v29
	s_delay_alu instid0(VALU_DEP_1) | instskip(NEXT) | instid1(VALU_DEP_1)
	v_fmac_f32_e32 v7, v8, v28
	v_dual_add_f32 v3, v3, v6 :: v_dual_add_f32 v26, v5, v7
	ds_load_2addr_b64 v[5:8], v15 offset0:128 offset1:160
	s_waitcnt lgkmcnt(0)
	v_mul_f32_e32 v27, v6, v31
	s_delay_alu instid0(VALU_DEP_1) | instskip(SKIP_1) | instid1(VALU_DEP_2)
	v_fma_f32 v27, v5, v30, -v27
	v_mul_f32_e32 v5, v5, v31
	v_add_f32_e32 v3, v3, v27
	s_delay_alu instid0(VALU_DEP_2) | instskip(NEXT) | instid1(VALU_DEP_1)
	v_dual_fmac_f32 v5, v6, v30 :: v_dual_mul_f32 v6, v8, v33
	v_add_f32_e32 v5, v26, v5
	s_delay_alu instid0(VALU_DEP_2) | instskip(SKIP_1) | instid1(VALU_DEP_1)
	v_fma_f32 v6, v7, v32, -v6
	v_mul_f32_e32 v7, v7, v33
	v_fmac_f32_e32 v7, v8, v32
	s_delay_alu instid0(VALU_DEP_1) | instskip(SKIP_3) | instid1(VALU_DEP_1)
	v_dual_add_f32 v3, v3, v6 :: v_dual_add_f32 v26, v5, v7
	ds_load_2addr_b64 v[5:8], v15 offset0:192 offset1:224
	s_waitcnt lgkmcnt(0)
	v_mul_f32_e32 v27, v6, v35
	v_fma_f32 v27, v5, v34, -v27
	v_mul_f32_e32 v5, v5, v35
	s_delay_alu instid0(VALU_DEP_2) | instskip(NEXT) | instid1(VALU_DEP_2)
	v_add_f32_e32 v3, v3, v27
	v_dual_fmac_f32 v5, v6, v34 :: v_dual_mul_f32 v6, v8, v37
	s_delay_alu instid0(VALU_DEP_1) | instskip(NEXT) | instid1(VALU_DEP_2)
	v_add_f32_e32 v5, v26, v5
	v_fma_f32 v6, v7, v36, -v6
	v_mul_f32_e32 v7, v7, v37
	s_delay_alu instid0(VALU_DEP_1) | instskip(NEXT) | instid1(VALU_DEP_1)
	v_fmac_f32_e32 v7, v8, v36
	v_dual_add_f32 v3, v3, v6 :: v_dual_add_f32 v30, v5, v7
	ds_load_b128 v[5:8], v11 offset:64
	ds_load_2addr_b64 v[26:29], v23 offset1:32
	s_waitcnt lgkmcnt(0)
	v_mul_f32_e32 v31, v27, v6
	v_mul_f32_e32 v6, v26, v6
	s_delay_alu instid0(VALU_DEP_2) | instskip(NEXT) | instid1(VALU_DEP_2)
	v_fma_f32 v31, v26, v5, -v31
	v_fmac_f32_e32 v6, v27, v5
	s_delay_alu instid0(VALU_DEP_2) | instskip(NEXT) | instid1(VALU_DEP_2)
	v_add_f32_e32 v3, v3, v31
	v_dual_add_f32 v5, v30, v6 :: v_dual_mul_f32 v6, v29, v8
	v_mul_f32_e32 v8, v28, v8
	s_delay_alu instid0(VALU_DEP_2) | instskip(NEXT) | instid1(VALU_DEP_1)
	v_fma_f32 v6, v28, v7, -v6
	v_dual_fmac_f32 v8, v29, v7 :: v_dual_add_f32 v3, v3, v6
	s_delay_alu instid0(VALU_DEP_1)
	v_add_f32_e32 v30, v5, v8
	ds_load_b128 v[5:8], v11 offset:80
	ds_load_2addr_b64 v[26:29], v23 offset0:64 offset1:96
	s_waitcnt lgkmcnt(0)
	v_mul_f32_e32 v31, v27, v6
	v_mul_f32_e32 v6, v26, v6
	s_delay_alu instid0(VALU_DEP_2) | instskip(NEXT) | instid1(VALU_DEP_2)
	v_fma_f32 v31, v26, v5, -v31
	v_fmac_f32_e32 v6, v27, v5
	s_delay_alu instid0(VALU_DEP_2) | instskip(NEXT) | instid1(VALU_DEP_2)
	v_add_f32_e32 v3, v3, v31
	v_dual_add_f32 v5, v30, v6 :: v_dual_mul_f32 v6, v29, v8
	v_mul_f32_e32 v8, v28, v8
	s_delay_alu instid0(VALU_DEP_2) | instskip(NEXT) | instid1(VALU_DEP_1)
	v_fma_f32 v6, v28, v7, -v6
	v_dual_fmac_f32 v8, v29, v7 :: v_dual_add_f32 v3, v3, v6
	s_delay_alu instid0(VALU_DEP_1)
	v_add_f32_e32 v30, v5, v8
	ds_load_b128 v[5:8], v11 offset:96
	ds_load_2addr_b64 v[26:29], v23 offset0:128 offset1:160
	;; [unrolled: 17-line block ×3, first 2 shown]
	s_waitcnt lgkmcnt(0)
	v_mul_f32_e32 v31, v27, v6
	v_mul_f32_e32 v6, v26, v6
	s_delay_alu instid0(VALU_DEP_2) | instskip(NEXT) | instid1(VALU_DEP_2)
	v_fma_f32 v31, v26, v5, -v31
	v_fmac_f32_e32 v6, v27, v5
	s_delay_alu instid0(VALU_DEP_2) | instskip(NEXT) | instid1(VALU_DEP_2)
	v_add_f32_e32 v3, v3, v31
	v_dual_add_f32 v5, v30, v6 :: v_dual_mul_f32 v6, v29, v8
	v_mul_f32_e32 v8, v28, v8
	s_delay_alu instid0(VALU_DEP_2) | instskip(NEXT) | instid1(VALU_DEP_1)
	v_fma_f32 v6, v28, v7, -v6
	v_dual_fmac_f32 v8, v29, v7 :: v_dual_add_f32 v3, v3, v6
	s_delay_alu instid0(VALU_DEP_1)
	v_add_f32_e32 v30, v5, v8
	ds_load_b128 v[5:8], v11 offset:128
	ds_load_2addr_b64 v[26:29], v24 offset1:32
	s_waitcnt lgkmcnt(0)
	v_mul_f32_e32 v31, v27, v6
	v_mul_f32_e32 v6, v26, v6
	s_delay_alu instid0(VALU_DEP_2) | instskip(NEXT) | instid1(VALU_DEP_2)
	v_fma_f32 v31, v26, v5, -v31
	v_fmac_f32_e32 v6, v27, v5
	s_delay_alu instid0(VALU_DEP_2) | instskip(NEXT) | instid1(VALU_DEP_2)
	v_add_f32_e32 v3, v3, v31
	v_dual_add_f32 v5, v30, v6 :: v_dual_mul_f32 v6, v29, v8
	v_mul_f32_e32 v8, v28, v8
	s_delay_alu instid0(VALU_DEP_2) | instskip(NEXT) | instid1(VALU_DEP_1)
	v_fma_f32 v6, v28, v7, -v6
	v_dual_fmac_f32 v8, v29, v7 :: v_dual_add_f32 v3, v3, v6
	s_delay_alu instid0(VALU_DEP_1)
	v_add_f32_e32 v30, v5, v8
	ds_load_b128 v[5:8], v11 offset:144
	ds_load_2addr_b64 v[26:29], v24 offset0:64 offset1:96
	s_waitcnt lgkmcnt(0)
	v_mul_f32_e32 v31, v27, v6
	v_mul_f32_e32 v6, v26, v6
	s_delay_alu instid0(VALU_DEP_2) | instskip(NEXT) | instid1(VALU_DEP_2)
	v_fma_f32 v31, v26, v5, -v31
	v_fmac_f32_e32 v6, v27, v5
	s_delay_alu instid0(VALU_DEP_2) | instskip(NEXT) | instid1(VALU_DEP_2)
	v_add_f32_e32 v3, v3, v31
	v_dual_add_f32 v5, v30, v6 :: v_dual_mul_f32 v6, v29, v8
	v_mul_f32_e32 v8, v28, v8
	s_delay_alu instid0(VALU_DEP_2) | instskip(NEXT) | instid1(VALU_DEP_1)
	v_fma_f32 v6, v28, v7, -v6
	v_dual_fmac_f32 v8, v29, v7 :: v_dual_add_f32 v3, v3, v6
	s_delay_alu instid0(VALU_DEP_1)
	v_add_f32_e32 v30, v5, v8
	ds_load_b128 v[5:8], v11 offset:160
	ds_load_2addr_b64 v[26:29], v24 offset0:128 offset1:160
	;; [unrolled: 17-line block ×3, first 2 shown]
	s_waitcnt lgkmcnt(0)
	v_mul_f32_e32 v31, v27, v6
	v_mul_f32_e32 v6, v26, v6
	s_delay_alu instid0(VALU_DEP_2) | instskip(NEXT) | instid1(VALU_DEP_2)
	v_fma_f32 v31, v26, v5, -v31
	v_fmac_f32_e32 v6, v27, v5
	s_delay_alu instid0(VALU_DEP_1) | instskip(SKIP_1) | instid1(VALU_DEP_2)
	v_dual_add_f32 v5, v30, v6 :: v_dual_mul_f32 v6, v29, v8
	v_mul_f32_e32 v8, v28, v8
	v_fma_f32 v6, v28, v7, -v6
	s_delay_alu instid0(VALU_DEP_2) | instskip(NEXT) | instid1(VALU_DEP_1)
	v_fmac_f32_e32 v8, v29, v7
	v_dual_add_f32 v30, v5, v8 :: v_dual_add_f32 v3, v3, v31
	s_delay_alu instid0(VALU_DEP_1)
	v_add_f32_e32 v3, v3, v6
	ds_load_b128 v[5:8], v11 offset:192
	ds_load_2addr_b64 v[26:29], v25 offset1:32
	s_waitcnt lgkmcnt(0)
	v_mul_f32_e32 v31, v27, v6
	v_mul_f32_e32 v6, v26, v6
	s_delay_alu instid0(VALU_DEP_2) | instskip(NEXT) | instid1(VALU_DEP_2)
	v_fma_f32 v31, v26, v5, -v31
	v_fmac_f32_e32 v6, v27, v5
	s_delay_alu instid0(VALU_DEP_1) | instskip(SKIP_1) | instid1(VALU_DEP_2)
	v_dual_add_f32 v5, v30, v6 :: v_dual_mul_f32 v6, v29, v8
	v_mul_f32_e32 v8, v28, v8
	v_fma_f32 v6, v28, v7, -v6
	s_delay_alu instid0(VALU_DEP_2) | instskip(NEXT) | instid1(VALU_DEP_1)
	v_fmac_f32_e32 v8, v29, v7
	v_dual_add_f32 v30, v5, v8 :: v_dual_add_f32 v3, v3, v31
	s_delay_alu instid0(VALU_DEP_1)
	v_add_f32_e32 v3, v3, v6
	ds_load_b128 v[5:8], v11 offset:208
	ds_load_2addr_b64 v[26:29], v25 offset0:64 offset1:96
	s_waitcnt lgkmcnt(0)
	v_mul_f32_e32 v31, v27, v6
	v_mul_f32_e32 v6, v26, v6
	s_delay_alu instid0(VALU_DEP_2) | instskip(NEXT) | instid1(VALU_DEP_2)
	v_fma_f32 v31, v26, v5, -v31
	v_fmac_f32_e32 v6, v27, v5
	s_delay_alu instid0(VALU_DEP_1) | instskip(SKIP_1) | instid1(VALU_DEP_2)
	v_dual_add_f32 v5, v30, v6 :: v_dual_mul_f32 v6, v29, v8
	v_mul_f32_e32 v8, v28, v8
	v_fma_f32 v6, v28, v7, -v6
	s_delay_alu instid0(VALU_DEP_2) | instskip(NEXT) | instid1(VALU_DEP_1)
	v_fmac_f32_e32 v8, v29, v7
	v_dual_add_f32 v3, v3, v31 :: v_dual_add_f32 v30, v5, v8
	s_delay_alu instid0(VALU_DEP_1)
	v_add_f32_e32 v3, v3, v6
	ds_load_b128 v[5:8], v11 offset:224
	ds_load_2addr_b64 v[26:29], v25 offset0:128 offset1:160
	s_waitcnt lgkmcnt(0)
	v_mul_f32_e32 v31, v27, v6
	v_mul_f32_e32 v6, v26, v6
	s_delay_alu instid0(VALU_DEP_2) | instskip(NEXT) | instid1(VALU_DEP_2)
	v_fma_f32 v31, v26, v5, -v31
	v_fmac_f32_e32 v6, v27, v5
	s_delay_alu instid0(VALU_DEP_1) | instskip(SKIP_1) | instid1(VALU_DEP_2)
	v_dual_add_f32 v5, v30, v6 :: v_dual_mul_f32 v6, v29, v8
	v_mul_f32_e32 v8, v28, v8
	v_fma_f32 v6, v28, v7, -v6
	s_delay_alu instid0(VALU_DEP_2) | instskip(NEXT) | instid1(VALU_DEP_1)
	v_fmac_f32_e32 v8, v29, v7
	v_dual_add_f32 v3, v3, v31 :: v_dual_add_f32 v30, v5, v8
	s_delay_alu instid0(VALU_DEP_1) | instskip(SKIP_4) | instid1(VALU_DEP_1)
	v_add_f32_e32 v3, v3, v6
	ds_load_b128 v[5:8], v11 offset:240
	ds_load_2addr_b64 v[26:29], v25 offset0:192 offset1:224
	s_waitcnt lgkmcnt(0)
	v_mul_f32_e32 v31, v27, v6
	v_fma_f32 v31, v26, v5, -v31
	v_mul_f32_e32 v6, v26, v6
	s_delay_alu instid0(VALU_DEP_1) | instskip(NEXT) | instid1(VALU_DEP_1)
	v_fmac_f32_e32 v6, v27, v5
	v_dual_add_f32 v5, v30, v6 :: v_dual_mul_f32 v6, v29, v8
	s_delay_alu instid0(VALU_DEP_4) | instskip(NEXT) | instid1(VALU_DEP_2)
	v_dual_mul_f32 v8, v28, v8 :: v_dual_add_f32 v3, v3, v31
	v_fma_f32 v6, v28, v7, -v6
	s_delay_alu instid0(VALU_DEP_2) | instskip(NEXT) | instid1(VALU_DEP_1)
	v_fmac_f32_e32 v8, v29, v7
	v_dual_add_f32 v5, v5, v8 :: v_dual_add_f32 v6, v3, v6
	s_delay_alu instid0(VALU_DEP_1) | instskip(NEXT) | instid1(VALU_DEP_1)
	v_mul_f32_e32 v3, s9, v5
	v_fma_f32 v3, s8, v6, -v3
	v_mul_f32_e32 v5, s8, v5
	s_delay_alu instid0(VALU_DEP_1)
	v_fmac_f32_e32 v5, s9, v6
	global_load_b64 v[6:7], v[0:1], off
	s_waitcnt vmcnt(0)
	v_dual_add_f32 v6, v6, v3 :: v_dual_add_f32 v7, v7, v5
	global_store_b64 v[0:1], v[6:7], off
.LBB1907_11:                            ;   in Loop: Header=BB1907_5 Depth=1
	s_or_b32 exec_lo, exec_lo, s1
	v_dual_mov_b32 v6, 0 :: v_dual_mov_b32 v7, 0
	v_mov_b32_e32 v8, 0
	s_waitcnt_vscnt null, 0x0
	s_barrier
	buffer_gl0_inv
	s_and_saveexec_b32 s7, s4
	s_cbranch_execz .LBB1907_13
; %bb.12:                               ;   in Loop: Header=BB1907_5 Depth=1
	v_ashrrev_i32_e32 v3, 31, v2
	s_delay_alu instid0(VALU_DEP_1) | instskip(NEXT) | instid1(VALU_DEP_1)
	v_lshlrev_b64 v[2:3], 3, v[2:3]
	v_add_co_u32 v2, s1, v19, v2
	s_delay_alu instid0(VALU_DEP_1)
	v_add_co_ci_u32_e64 v3, s1, v20, v3, s1
	global_load_b64 v[7:8], v[2:3], off
.LBB1907_13:                            ;   in Loop: Header=BB1907_5 Depth=1
	s_or_b32 exec_lo, exec_lo, s7
	v_mov_b32_e32 v5, 0
	s_waitcnt vmcnt(0)
	ds_store_b64 v14, v[7:8]
	s_and_saveexec_b32 s4, s5
	s_cbranch_execz .LBB1907_15
; %bb.14:                               ;   in Loop: Header=BB1907_5 Depth=1
	v_ashrrev_i32_e32 v5, 31, v4
	s_delay_alu instid0(VALU_DEP_1) | instskip(NEXT) | instid1(VALU_DEP_1)
	v_lshlrev_b64 v[2:3], 3, v[4:5]
	v_add_co_u32 v2, s1, v21, v2
	s_delay_alu instid0(VALU_DEP_1)
	v_add_co_ci_u32_e64 v3, s1, v22, v3, s1
	global_load_b64 v[5:6], v[2:3], off
.LBB1907_15:                            ;   in Loop: Header=BB1907_5 Depth=1
	s_or_b32 exec_lo, exec_lo, s4
	s_waitcnt vmcnt(0)
	ds_store_b64 v18, v[5:6]
	s_waitcnt lgkmcnt(0)
	s_barrier
	buffer_gl0_inv
	s_and_saveexec_b32 s1, s2
	s_cbranch_execz .LBB1907_4
; %bb.16:                               ;   in Loop: Header=BB1907_5 Depth=1
	ds_load_b128 v[2:5], v11
	ds_load_b128 v[26:29], v11 offset:16
	ds_load_b128 v[30:33], v11 offset:32
	;; [unrolled: 1-line block ×3, first 2 shown]
	ds_load_2addr_b64 v[38:41], v15 offset1:32
	s_waitcnt lgkmcnt(0)
	v_mul_f32_e32 v6, v39, v3
	s_delay_alu instid0(VALU_DEP_1) | instskip(SKIP_1) | instid1(VALU_DEP_1)
	v_fma_f32 v6, v38, v2, -v6
	v_mul_f32_e32 v3, v38, v3
	v_fmac_f32_e32 v3, v39, v2
	s_delay_alu instid0(VALU_DEP_3) | instskip(SKIP_2) | instid1(VALU_DEP_2)
	v_add_f32_e32 v2, 0, v6
	v_mul_f32_e32 v6, v41, v5
	v_mul_f32_e32 v5, v40, v5
	v_fma_f32 v6, v40, v4, -v6
	v_add_f32_e32 v3, 0, v3
	s_delay_alu instid0(VALU_DEP_2) | instskip(NEXT) | instid1(VALU_DEP_1)
	v_dual_fmac_f32 v5, v41, v4 :: v_dual_add_f32 v6, v2, v6
	v_add_f32_e32 v7, v3, v5
	ds_load_2addr_b64 v[2:5], v15 offset0:64 offset1:96
	s_waitcnt lgkmcnt(0)
	v_mul_f32_e32 v8, v3, v27
	s_delay_alu instid0(VALU_DEP_1) | instskip(SKIP_1) | instid1(VALU_DEP_1)
	v_fma_f32 v8, v2, v26, -v8
	v_mul_f32_e32 v2, v2, v27
	v_dual_fmac_f32 v2, v3, v26 :: v_dual_add_f32 v3, v6, v8
	v_mul_f32_e32 v6, v5, v29
	s_delay_alu instid0(VALU_DEP_1) | instskip(SKIP_1) | instid1(VALU_DEP_2)
	v_fma_f32 v6, v4, v28, -v6
	v_mul_f32_e32 v4, v4, v29
	v_add_f32_e32 v6, v3, v6
	v_add_f32_e32 v2, v7, v2
	s_delay_alu instid0(VALU_DEP_3) | instskip(NEXT) | instid1(VALU_DEP_1)
	v_fmac_f32_e32 v4, v5, v28
	v_add_f32_e32 v7, v2, v4
	ds_load_2addr_b64 v[2:5], v15 offset0:128 offset1:160
	s_waitcnt lgkmcnt(0)
	v_mul_f32_e32 v8, v3, v31
	s_delay_alu instid0(VALU_DEP_1) | instskip(SKIP_1) | instid1(VALU_DEP_1)
	v_fma_f32 v8, v2, v30, -v8
	v_mul_f32_e32 v2, v2, v31
	v_dual_fmac_f32 v2, v3, v30 :: v_dual_add_f32 v3, v6, v8
	v_mul_f32_e32 v6, v5, v33
	s_delay_alu instid0(VALU_DEP_2) | instskip(NEXT) | instid1(VALU_DEP_2)
	v_add_f32_e32 v2, v7, v2
	v_fma_f32 v6, v4, v32, -v6
	v_mul_f32_e32 v4, v4, v33
	s_delay_alu instid0(VALU_DEP_2) | instskip(NEXT) | instid1(VALU_DEP_2)
	v_add_f32_e32 v6, v3, v6
	v_fmac_f32_e32 v4, v5, v32
	s_delay_alu instid0(VALU_DEP_1) | instskip(SKIP_3) | instid1(VALU_DEP_1)
	v_add_f32_e32 v7, v2, v4
	ds_load_2addr_b64 v[2:5], v15 offset0:192 offset1:224
	s_waitcnt lgkmcnt(0)
	v_mul_f32_e32 v8, v3, v35
	v_fma_f32 v8, v2, v34, -v8
	v_mul_f32_e32 v2, v2, v35
	s_delay_alu instid0(VALU_DEP_1) | instskip(SKIP_1) | instid1(VALU_DEP_2)
	v_dual_fmac_f32 v2, v3, v34 :: v_dual_add_f32 v3, v6, v8
	v_mul_f32_e32 v6, v5, v37
	v_add_f32_e32 v2, v7, v2
	s_delay_alu instid0(VALU_DEP_2) | instskip(SKIP_1) | instid1(VALU_DEP_2)
	v_fma_f32 v6, v4, v36, -v6
	v_mul_f32_e32 v4, v4, v37
	v_add_f32_e32 v6, v3, v6
	s_delay_alu instid0(VALU_DEP_2) | instskip(NEXT) | instid1(VALU_DEP_1)
	v_fmac_f32_e32 v4, v5, v36
	v_add_f32_e32 v7, v2, v4
	ds_load_b128 v[2:5], v11 offset:64
	ds_load_2addr_b64 v[26:29], v23 offset1:32
	s_waitcnt lgkmcnt(0)
	v_mul_f32_e32 v8, v27, v3
	v_mul_f32_e32 v3, v26, v3
	s_delay_alu instid0(VALU_DEP_2) | instskip(NEXT) | instid1(VALU_DEP_1)
	v_fma_f32 v8, v26, v2, -v8
	v_dual_fmac_f32 v3, v27, v2 :: v_dual_add_f32 v2, v6, v8
	v_mul_f32_e32 v6, v29, v5
	v_mul_f32_e32 v5, v28, v5
	s_delay_alu instid0(VALU_DEP_3) | instskip(NEXT) | instid1(VALU_DEP_3)
	v_add_f32_e32 v3, v7, v3
	v_fma_f32 v6, v28, v4, -v6
	s_delay_alu instid0(VALU_DEP_1) | instskip(NEXT) | instid1(VALU_DEP_1)
	v_dual_fmac_f32 v5, v29, v4 :: v_dual_add_f32 v6, v2, v6
	v_add_f32_e32 v7, v3, v5
	ds_load_b128 v[2:5], v11 offset:80
	ds_load_2addr_b64 v[26:29], v23 offset0:64 offset1:96
	s_waitcnt lgkmcnt(0)
	v_mul_f32_e32 v8, v27, v3
	v_mul_f32_e32 v3, v26, v3
	s_delay_alu instid0(VALU_DEP_2) | instskip(NEXT) | instid1(VALU_DEP_1)
	v_fma_f32 v8, v26, v2, -v8
	v_dual_fmac_f32 v3, v27, v2 :: v_dual_add_f32 v2, v6, v8
	v_mul_f32_e32 v6, v29, v5
	v_mul_f32_e32 v5, v28, v5
	s_delay_alu instid0(VALU_DEP_3) | instskip(NEXT) | instid1(VALU_DEP_3)
	v_add_f32_e32 v3, v7, v3
	v_fma_f32 v6, v28, v4, -v6
	s_delay_alu instid0(VALU_DEP_1) | instskip(NEXT) | instid1(VALU_DEP_1)
	v_dual_fmac_f32 v5, v29, v4 :: v_dual_add_f32 v6, v2, v6
	v_add_f32_e32 v7, v3, v5
	ds_load_b128 v[2:5], v11 offset:96
	ds_load_2addr_b64 v[26:29], v23 offset0:128 offset1:160
	;; [unrolled: 16-line block ×3, first 2 shown]
	s_waitcnt lgkmcnt(0)
	v_mul_f32_e32 v8, v27, v3
	v_mul_f32_e32 v3, v26, v3
	s_delay_alu instid0(VALU_DEP_2) | instskip(NEXT) | instid1(VALU_DEP_1)
	v_fma_f32 v8, v26, v2, -v8
	v_dual_fmac_f32 v3, v27, v2 :: v_dual_add_f32 v2, v6, v8
	v_mul_f32_e32 v6, v29, v5
	v_mul_f32_e32 v5, v28, v5
	s_delay_alu instid0(VALU_DEP_3) | instskip(NEXT) | instid1(VALU_DEP_3)
	v_add_f32_e32 v3, v7, v3
	v_fma_f32 v6, v28, v4, -v6
	s_delay_alu instid0(VALU_DEP_1) | instskip(NEXT) | instid1(VALU_DEP_1)
	v_dual_fmac_f32 v5, v29, v4 :: v_dual_add_f32 v6, v2, v6
	v_add_f32_e32 v7, v3, v5
	ds_load_b128 v[2:5], v11 offset:128
	ds_load_2addr_b64 v[26:29], v24 offset1:32
	s_waitcnt lgkmcnt(0)
	v_mul_f32_e32 v8, v27, v3
	v_mul_f32_e32 v3, v26, v3
	s_delay_alu instid0(VALU_DEP_2) | instskip(NEXT) | instid1(VALU_DEP_1)
	v_fma_f32 v8, v26, v2, -v8
	v_dual_fmac_f32 v3, v27, v2 :: v_dual_add_f32 v2, v6, v8
	v_mul_f32_e32 v6, v29, v5
	v_mul_f32_e32 v5, v28, v5
	s_delay_alu instid0(VALU_DEP_3) | instskip(NEXT) | instid1(VALU_DEP_3)
	v_add_f32_e32 v3, v7, v3
	v_fma_f32 v6, v28, v4, -v6
	s_delay_alu instid0(VALU_DEP_1) | instskip(NEXT) | instid1(VALU_DEP_1)
	v_dual_fmac_f32 v5, v29, v4 :: v_dual_add_f32 v6, v2, v6
	v_add_f32_e32 v7, v3, v5
	ds_load_b128 v[2:5], v11 offset:144
	ds_load_2addr_b64 v[26:29], v24 offset0:64 offset1:96
	s_waitcnt lgkmcnt(0)
	v_mul_f32_e32 v8, v27, v3
	v_mul_f32_e32 v3, v26, v3
	s_delay_alu instid0(VALU_DEP_2) | instskip(NEXT) | instid1(VALU_DEP_1)
	v_fma_f32 v8, v26, v2, -v8
	v_dual_fmac_f32 v3, v27, v2 :: v_dual_add_f32 v2, v6, v8
	v_mul_f32_e32 v6, v29, v5
	v_mul_f32_e32 v5, v28, v5
	s_delay_alu instid0(VALU_DEP_3) | instskip(NEXT) | instid1(VALU_DEP_3)
	v_add_f32_e32 v3, v7, v3
	v_fma_f32 v6, v28, v4, -v6
	s_delay_alu instid0(VALU_DEP_1) | instskip(NEXT) | instid1(VALU_DEP_1)
	v_dual_fmac_f32 v5, v29, v4 :: v_dual_add_f32 v6, v2, v6
	v_add_f32_e32 v7, v3, v5
	ds_load_b128 v[2:5], v11 offset:160
	ds_load_2addr_b64 v[26:29], v24 offset0:128 offset1:160
	s_waitcnt lgkmcnt(0)
	v_mul_f32_e32 v8, v27, v3
	v_mul_f32_e32 v3, v26, v3
	s_delay_alu instid0(VALU_DEP_2) | instskip(NEXT) | instid1(VALU_DEP_1)
	v_fma_f32 v8, v26, v2, -v8
	v_dual_fmac_f32 v3, v27, v2 :: v_dual_add_f32 v2, v6, v8
	v_mul_f32_e32 v6, v29, v5
	v_mul_f32_e32 v5, v28, v5
	s_delay_alu instid0(VALU_DEP_3) | instskip(NEXT) | instid1(VALU_DEP_3)
	v_add_f32_e32 v3, v7, v3
	v_fma_f32 v6, v28, v4, -v6
	s_delay_alu instid0(VALU_DEP_1) | instskip(NEXT) | instid1(VALU_DEP_1)
	v_dual_fmac_f32 v5, v29, v4 :: v_dual_add_f32 v6, v2, v6
	v_add_f32_e32 v7, v3, v5
	ds_load_b128 v[2:5], v11 offset:176
	ds_load_2addr_b64 v[26:29], v24 offset0:192 offset1:224
	s_waitcnt lgkmcnt(0)
	v_mul_f32_e32 v8, v27, v3
	v_mul_f32_e32 v3, v26, v3
	s_delay_alu instid0(VALU_DEP_2) | instskip(NEXT) | instid1(VALU_DEP_1)
	v_fma_f32 v8, v26, v2, -v8
	v_dual_fmac_f32 v3, v27, v2 :: v_dual_add_f32 v2, v6, v8
	s_delay_alu instid0(VALU_DEP_1) | instskip(SKIP_1) | instid1(VALU_DEP_2)
	v_dual_add_f32 v3, v7, v3 :: v_dual_mul_f32 v6, v29, v5
	v_mul_f32_e32 v5, v28, v5
	v_fma_f32 v6, v28, v4, -v6
	s_delay_alu instid0(VALU_DEP_1) | instskip(NEXT) | instid1(VALU_DEP_1)
	v_dual_fmac_f32 v5, v29, v4 :: v_dual_add_f32 v6, v2, v6
	v_add_f32_e32 v7, v3, v5
	ds_load_b128 v[2:5], v11 offset:192
	ds_load_2addr_b64 v[26:29], v25 offset1:32
	s_waitcnt lgkmcnt(0)
	v_mul_f32_e32 v8, v27, v3
	v_mul_f32_e32 v3, v26, v3
	s_delay_alu instid0(VALU_DEP_2) | instskip(NEXT) | instid1(VALU_DEP_1)
	v_fma_f32 v8, v26, v2, -v8
	v_dual_fmac_f32 v3, v27, v2 :: v_dual_add_f32 v2, v6, v8
	v_mul_f32_e32 v6, v29, v5
	v_mul_f32_e32 v5, v28, v5
	s_delay_alu instid0(VALU_DEP_2) | instskip(NEXT) | instid1(VALU_DEP_4)
	v_fma_f32 v6, v28, v4, -v6
	v_add_f32_e32 v3, v7, v3
	s_delay_alu instid0(VALU_DEP_2) | instskip(NEXT) | instid1(VALU_DEP_1)
	v_dual_fmac_f32 v5, v29, v4 :: v_dual_add_f32 v6, v2, v6
	v_add_f32_e32 v7, v3, v5
	ds_load_b128 v[2:5], v11 offset:208
	ds_load_2addr_b64 v[26:29], v25 offset0:64 offset1:96
	s_waitcnt lgkmcnt(0)
	v_mul_f32_e32 v8, v27, v3
	v_mul_f32_e32 v3, v26, v3
	s_delay_alu instid0(VALU_DEP_2) | instskip(NEXT) | instid1(VALU_DEP_1)
	v_fma_f32 v8, v26, v2, -v8
	v_dual_fmac_f32 v3, v27, v2 :: v_dual_add_f32 v2, v6, v8
	v_mul_f32_e32 v6, v29, v5
	v_mul_f32_e32 v5, v28, v5
	s_delay_alu instid0(VALU_DEP_2) | instskip(NEXT) | instid1(VALU_DEP_4)
	v_fma_f32 v6, v28, v4, -v6
	v_add_f32_e32 v3, v7, v3
	s_delay_alu instid0(VALU_DEP_2) | instskip(NEXT) | instid1(VALU_DEP_1)
	v_dual_fmac_f32 v5, v29, v4 :: v_dual_add_f32 v6, v2, v6
	v_add_f32_e32 v7, v3, v5
	ds_load_b128 v[2:5], v11 offset:224
	ds_load_2addr_b64 v[26:29], v25 offset0:128 offset1:160
	s_waitcnt lgkmcnt(0)
	v_mul_f32_e32 v8, v27, v3
	v_mul_f32_e32 v3, v26, v3
	s_delay_alu instid0(VALU_DEP_2) | instskip(NEXT) | instid1(VALU_DEP_1)
	v_fma_f32 v8, v26, v2, -v8
	v_dual_fmac_f32 v3, v27, v2 :: v_dual_add_f32 v2, v6, v8
	v_mul_f32_e32 v6, v29, v5
	v_mul_f32_e32 v5, v28, v5
	s_delay_alu instid0(VALU_DEP_3) | instskip(NEXT) | instid1(VALU_DEP_3)
	v_add_f32_e32 v3, v7, v3
	v_fma_f32 v6, v28, v4, -v6
	s_delay_alu instid0(VALU_DEP_1) | instskip(NEXT) | instid1(VALU_DEP_1)
	v_dual_fmac_f32 v5, v29, v4 :: v_dual_add_f32 v6, v2, v6
	v_add_f32_e32 v7, v3, v5
	ds_load_b128 v[2:5], v11 offset:240
	ds_load_2addr_b64 v[26:29], v25 offset0:192 offset1:224
	s_waitcnt lgkmcnt(0)
	v_mul_f32_e32 v8, v27, v3
	v_mul_f32_e32 v3, v26, v3
	s_delay_alu instid0(VALU_DEP_2) | instskip(NEXT) | instid1(VALU_DEP_1)
	v_fma_f32 v8, v26, v2, -v8
	v_dual_fmac_f32 v3, v27, v2 :: v_dual_add_f32 v2, v6, v8
	v_mul_f32_e32 v6, v29, v5
	v_mul_f32_e32 v5, v28, v5
	s_delay_alu instid0(VALU_DEP_3) | instskip(NEXT) | instid1(VALU_DEP_3)
	v_add_f32_e32 v3, v7, v3
	v_fma_f32 v6, v28, v4, -v6
	s_delay_alu instid0(VALU_DEP_1) | instskip(NEXT) | instid1(VALU_DEP_1)
	v_dual_fmac_f32 v5, v29, v4 :: v_dual_add_f32 v4, v2, v6
	v_add_f32_e32 v5, v3, v5
	s_delay_alu instid0(VALU_DEP_1) | instskip(NEXT) | instid1(VALU_DEP_1)
	v_dual_mul_f32 v3, s9, v4 :: v_dual_mul_f32 v2, s9, v5
	v_fmac_f32_e32 v3, s8, v5
	s_delay_alu instid0(VALU_DEP_2)
	v_fma_f32 v2, s8, v4, -v2
	global_load_b64 v[4:5], v[0:1], off
	s_waitcnt vmcnt(0)
	v_dual_add_f32 v2, v4, v2 :: v_dual_add_f32 v3, v5, v3
	global_store_b64 v[0:1], v[2:3], off
	s_branch .LBB1907_4
.LBB1907_17:
	s_endpgm
	.section	.rodata,"a",@progbits
	.p2align	6, 0x0
	.amdhsa_kernel _ZL26rocblas_syr2k_her2k_kernelIiLb1ELb0ELb1ELi32EPK19rocblas_complex_numIfES3_PS1_EvbiT_T4_T5_S5_lS7_S5_lT6_S5_li
		.amdhsa_group_segment_fixed_size 16384
		.amdhsa_private_segment_fixed_size 0
		.amdhsa_kernarg_size 100
		.amdhsa_user_sgpr_count 13
		.amdhsa_user_sgpr_dispatch_ptr 0
		.amdhsa_user_sgpr_queue_ptr 0
		.amdhsa_user_sgpr_kernarg_segment_ptr 1
		.amdhsa_user_sgpr_dispatch_id 0
		.amdhsa_user_sgpr_private_segment_size 0
		.amdhsa_wavefront_size32 1
		.amdhsa_uses_dynamic_stack 0
		.amdhsa_enable_private_segment 0
		.amdhsa_system_sgpr_workgroup_id_x 1
		.amdhsa_system_sgpr_workgroup_id_y 1
		.amdhsa_system_sgpr_workgroup_id_z 1
		.amdhsa_system_sgpr_workgroup_info 0
		.amdhsa_system_vgpr_workitem_id 1
		.amdhsa_next_free_vgpr 42
		.amdhsa_next_free_sgpr 24
		.amdhsa_reserve_vcc 1
		.amdhsa_float_round_mode_32 0
		.amdhsa_float_round_mode_16_64 0
		.amdhsa_float_denorm_mode_32 3
		.amdhsa_float_denorm_mode_16_64 3
		.amdhsa_dx10_clamp 1
		.amdhsa_ieee_mode 1
		.amdhsa_fp16_overflow 0
		.amdhsa_workgroup_processor_mode 1
		.amdhsa_memory_ordered 1
		.amdhsa_forward_progress 0
		.amdhsa_shared_vgpr_count 0
		.amdhsa_exception_fp_ieee_invalid_op 0
		.amdhsa_exception_fp_denorm_src 0
		.amdhsa_exception_fp_ieee_div_zero 0
		.amdhsa_exception_fp_ieee_overflow 0
		.amdhsa_exception_fp_ieee_underflow 0
		.amdhsa_exception_fp_ieee_inexact 0
		.amdhsa_exception_int_div_zero 0
	.end_amdhsa_kernel
	.section	.text._ZL26rocblas_syr2k_her2k_kernelIiLb1ELb0ELb1ELi32EPK19rocblas_complex_numIfES3_PS1_EvbiT_T4_T5_S5_lS7_S5_lT6_S5_li,"axG",@progbits,_ZL26rocblas_syr2k_her2k_kernelIiLb1ELb0ELb1ELi32EPK19rocblas_complex_numIfES3_PS1_EvbiT_T4_T5_S5_lS7_S5_lT6_S5_li,comdat
.Lfunc_end1907:
	.size	_ZL26rocblas_syr2k_her2k_kernelIiLb1ELb0ELb1ELi32EPK19rocblas_complex_numIfES3_PS1_EvbiT_T4_T5_S5_lS7_S5_lT6_S5_li, .Lfunc_end1907-_ZL26rocblas_syr2k_her2k_kernelIiLb1ELb0ELb1ELi32EPK19rocblas_complex_numIfES3_PS1_EvbiT_T4_T5_S5_lS7_S5_lT6_S5_li
                                        ; -- End function
	.section	.AMDGPU.csdata,"",@progbits
; Kernel info:
; codeLenInByte = 4044
; NumSgprs: 26
; NumVgprs: 42
; ScratchSize: 0
; MemoryBound: 0
; FloatMode: 240
; IeeeMode: 1
; LDSByteSize: 16384 bytes/workgroup (compile time only)
; SGPRBlocks: 3
; VGPRBlocks: 5
; NumSGPRsForWavesPerEU: 26
; NumVGPRsForWavesPerEU: 42
; Occupancy: 16
; WaveLimiterHint : 0
; COMPUTE_PGM_RSRC2:SCRATCH_EN: 0
; COMPUTE_PGM_RSRC2:USER_SGPR: 13
; COMPUTE_PGM_RSRC2:TRAP_HANDLER: 0
; COMPUTE_PGM_RSRC2:TGID_X_EN: 1
; COMPUTE_PGM_RSRC2:TGID_Y_EN: 1
; COMPUTE_PGM_RSRC2:TGID_Z_EN: 1
; COMPUTE_PGM_RSRC2:TIDIG_COMP_CNT: 1
	.section	.text._ZL26rocblas_syr2k_her2k_kernelIiLb1ELb0ELb0ELi32E19rocblas_complex_numIdEPKS1_PS1_EvbiT_T4_T5_S5_lS7_S5_lT6_S5_li,"axG",@progbits,_ZL26rocblas_syr2k_her2k_kernelIiLb1ELb0ELb0ELi32E19rocblas_complex_numIdEPKS1_PS1_EvbiT_T4_T5_S5_lS7_S5_lT6_S5_li,comdat
	.globl	_ZL26rocblas_syr2k_her2k_kernelIiLb1ELb0ELb0ELi32E19rocblas_complex_numIdEPKS1_PS1_EvbiT_T4_T5_S5_lS7_S5_lT6_S5_li ; -- Begin function _ZL26rocblas_syr2k_her2k_kernelIiLb1ELb0ELb0ELi32E19rocblas_complex_numIdEPKS1_PS1_EvbiT_T4_T5_S5_lS7_S5_lT6_S5_li
	.p2align	8
	.type	_ZL26rocblas_syr2k_her2k_kernelIiLb1ELb0ELb0ELi32E19rocblas_complex_numIdEPKS1_PS1_EvbiT_T4_T5_S5_lS7_S5_lT6_S5_li,@function
_ZL26rocblas_syr2k_her2k_kernelIiLb1ELb0ELb0ELi32E19rocblas_complex_numIdEPKS1_PS1_EvbiT_T4_T5_S5_lS7_S5_lT6_S5_li: ; @_ZL26rocblas_syr2k_her2k_kernelIiLb1ELb0ELb0ELi32E19rocblas_complex_numIdEPKS1_PS1_EvbiT_T4_T5_S5_lS7_S5_lT6_S5_li
; %bb.0:
	s_load_b128 s[4:7], s[0:1], 0x10
	s_waitcnt lgkmcnt(0)
	v_cmp_eq_f64_e64 s2, s[4:5], 0
	v_cmp_eq_f64_e64 s3, s[6:7], 0
	s_delay_alu instid0(VALU_DEP_1) | instskip(NEXT) | instid1(SALU_CYCLE_1)
	s_and_b32 s2, s2, s3
	s_and_b32 vcc_lo, exec_lo, s2
	s_cbranch_vccnz .LBB1908_17
; %bb.1:
	s_load_b128 s[8:11], s[0:1], 0x0
	s_lshl_b32 s2, s14, 5
	s_lshl_b32 s3, s13, 5
	s_waitcnt lgkmcnt(0)
	s_and_b32 s8, 1, s8
	s_delay_alu instid0(SALU_CYCLE_1) | instskip(SKIP_1) | instid1(SALU_CYCLE_1)
	s_cmp_eq_u32 s8, 1
	s_cselect_b32 vcc_lo, -1, 0
	s_and_b32 s8, vcc_lo, exec_lo
	s_cselect_b32 s8, s3, s2
	s_cselect_b32 s11, s2, s3
	s_delay_alu instid0(SALU_CYCLE_1)
	s_cmp_gt_i32 s8, s11
	s_cbranch_scc1 .LBB1908_17
; %bb.2:
	s_cmp_lt_i32 s10, 1
	s_cbranch_scc1 .LBB1908_17
; %bb.3:
	s_clause 0x1
	s_load_b128 s[20:23], s[0:1], 0x30
	s_load_b128 s[16:19], s[0:1], 0x48
	v_bfe_u32 v10, v0, 10, 10
	v_and_b32_e32 v11, 0x3ff, v0
	s_clause 0x1
	s_load_b64 s[12:13], s[0:1], 0x60
	s_load_b64 s[24:25], s[0:1], 0x20
	v_add_nc_u32_e32 v0, s2, v10
	v_add_nc_u32_e32 v1, s3, v11
	s_clause 0x2
	s_load_b32 s3, s[0:1], 0x28
	s_load_b32 s8, s[0:1], 0x40
	;; [unrolled: 1-line block ×3, first 2 shown]
	v_dual_cndmask_b32 v9, v1, v0 :: v_dual_lshlrev_b32 v8, 4, v10
	v_ashrrev_i32_e32 v2, 31, v1
	v_cndmask_b32_e32 v20, v0, v1, vcc_lo
	v_cmp_gt_i32_e32 vcc_lo, s9, v1
	v_lshlrev_b32_e32 v12, 9, v11
	v_or_b32_e32 v16, 0x4000, v8
	v_lshlrev_b64 v[2:3], 4, v[1:2]
	s_waitcnt lgkmcnt(0)
	s_mul_i32 s1, s15, s21
	s_mul_hi_u32 s11, s15, s20
	s_mul_i32 s0, s15, s20
	s_add_i32 s1, s11, s1
	s_mul_i32 s14, s15, s17
	s_lshl_b64 s[0:1], s[0:1], 4
	s_mul_hi_u32 s17, s15, s16
	s_add_u32 s20, s24, s0
	s_mul_i32 s16, s15, s16
	s_addc_u32 s21, s25, s1
	s_add_i32 s17, s17, s14
	s_mul_i32 s11, s15, s13
	s_lshl_b64 s[0:1], s[16:17], 4
	s_mul_hi_u32 s13, s15, s12
	s_add_u32 s14, s22, s0
	v_mad_i64_i32 v[4:5], null, s2, v0, 0
	s_mul_i32 s12, s15, s12
	s_addc_u32 s15, s23, s1
	s_add_i32 s13, s13, s11
	v_ashrrev_i32_e32 v1, 31, v0
	s_lshl_b64 s[0:1], s[12:13], 4
	v_add_nc_u32_e32 v15, v12, v8
	s_add_u32 s11, s18, s0
	v_add_co_u32 v13, s0, s20, v2
	s_delay_alu instid0(VALU_DEP_1)
	v_add_co_ci_u32_e64 v14, s0, s21, v3, s0
	v_lshlrev_b64 v[6:7], 4, v[0:1]
	v_cmp_gt_i32_e64 s0, s9, v0
	v_lshlrev_b64 v[0:1], 4, v[4:5]
	s_addc_u32 s12, s19, s1
	v_add_nc_u32_e32 v19, v16, v12
	s_delay_alu instid0(VALU_DEP_4) | instskip(NEXT) | instid1(VALU_DEP_3)
	v_add_co_u32 v17, s1, s14, v6
	v_add_co_u32 v0, s2, s11, v0
	s_delay_alu instid0(VALU_DEP_1) | instskip(SKIP_1) | instid1(VALU_DEP_3)
	v_add_co_ci_u32_e64 v1, s2, s12, v1, s2
	v_add_co_ci_u32_e64 v18, s1, s15, v7, s1
	v_add_co_u32 v8, s2, v0, v2
	v_cmp_le_i32_e64 s1, v20, v9
	s_delay_alu instid0(VALU_DEP_4) | instskip(SKIP_1) | instid1(VALU_DEP_1)
	v_add_co_ci_u32_e64 v9, s2, v1, v3, s2
	v_add_co_u32 v20, s2, s14, v2
	v_add_co_ci_u32_e64 v21, s2, s15, v3, s2
	v_add_co_u32 v22, s2, s20, v6
	s_delay_alu instid0(VALU_DEP_1) | instskip(SKIP_1) | instid1(SALU_CYCLE_1)
	v_add_co_ci_u32_e64 v23, s2, s21, v7, s2
	s_and_b32 s9, s0, vcc_lo
	s_and_b32 s2, s9, s1
	s_mov_b32 s9, 0
	s_branch .LBB1908_5
.LBB1908_4:                             ;   in Loop: Header=BB1908_5 Depth=1
	s_or_b32 exec_lo, exec_lo, s1
	s_add_i32 s9, s9, 32
	s_waitcnt_vscnt null, 0x0
	s_cmp_lt_i32 s9, s10
	s_barrier
	buffer_gl0_inv
	s_cbranch_scc0 .LBB1908_17
.LBB1908_5:                             ; =>This Inner Loop Header: Depth=1
	v_add_nc_u32_e32 v24, s9, v10
	v_mov_b32_e32 v0, 0
	v_mov_b32_e32 v1, 0
	s_delay_alu instid0(VALU_DEP_3) | instskip(NEXT) | instid1(VALU_DEP_2)
	v_cmp_gt_i32_e64 s1, s10, v24
	v_dual_mov_b32 v5, v1 :: v_dual_mov_b32 v4, v0
	v_dual_mov_b32 v7, v1 :: v_dual_mov_b32 v6, v0
	s_delay_alu instid0(VALU_DEP_3) | instskip(NEXT) | instid1(SALU_CYCLE_1)
	s_and_b32 s11, vcc_lo, s1
	s_and_saveexec_b32 s12, s11
	s_cbranch_execz .LBB1908_7
; %bb.6:                                ;   in Loop: Header=BB1908_5 Depth=1
	v_mad_i64_i32 v[2:3], null, v24, s3, 0
	s_delay_alu instid0(VALU_DEP_1) | instskip(NEXT) | instid1(VALU_DEP_1)
	v_lshlrev_b64 v[2:3], 4, v[2:3]
	v_add_co_u32 v2, s1, v13, v2
	s_delay_alu instid0(VALU_DEP_1)
	v_add_co_ci_u32_e64 v3, s1, v14, v3, s1
	global_load_b128 v[4:7], v[2:3], off
.LBB1908_7:                             ;   in Loop: Header=BB1908_5 Depth=1
	s_or_b32 exec_lo, exec_lo, s12
	v_add_nc_u32_e32 v25, s9, v11
	v_dual_mov_b32 v3, v1 :: v_dual_mov_b32 v2, v0
	s_waitcnt vmcnt(0)
	ds_store_b128 v15, v[4:7]
	v_cmp_gt_i32_e64 s1, s10, v25
	s_delay_alu instid0(VALU_DEP_1) | instskip(NEXT) | instid1(SALU_CYCLE_1)
	s_and_b32 s12, s0, s1
	s_and_saveexec_b32 s13, s12
	s_cbranch_execz .LBB1908_9
; %bb.8:                                ;   in Loop: Header=BB1908_5 Depth=1
	v_mad_i64_i32 v[0:1], null, v25, s8, 0
	s_delay_alu instid0(VALU_DEP_1) | instskip(NEXT) | instid1(VALU_DEP_1)
	v_lshlrev_b64 v[0:1], 4, v[0:1]
	v_add_co_u32 v0, s1, v17, v0
	s_delay_alu instid0(VALU_DEP_1)
	v_add_co_ci_u32_e64 v1, s1, v18, v1, s1
	global_load_b128 v[0:3], v[0:1], off
.LBB1908_9:                             ;   in Loop: Header=BB1908_5 Depth=1
	s_or_b32 exec_lo, exec_lo, s13
	s_waitcnt vmcnt(0)
	ds_store_b128 v19, v[0:3]
	s_waitcnt lgkmcnt(0)
	s_barrier
	buffer_gl0_inv
	s_and_saveexec_b32 s1, s2
	s_cbranch_execz .LBB1908_11
; %bb.10:                               ;   in Loop: Header=BB1908_5 Depth=1
	ds_load_b128 v[0:3], v16
	ds_load_b128 v[4:7], v12
	ds_load_b128 v[26:29], v12 offset:16
	ds_load_b128 v[30:33], v16 offset:512
	s_waitcnt lgkmcnt(2)
	v_mul_f64 v[34:35], v[0:1], v[6:7]
	v_mul_f64 v[6:7], v[2:3], v[6:7]
	s_waitcnt lgkmcnt(0)
	v_mul_f64 v[50:51], v[30:31], v[28:29]
	v_mul_f64 v[28:29], v[32:33], v[28:29]
	s_delay_alu instid0(VALU_DEP_4)
	v_fma_f64 v[2:3], v[2:3], v[4:5], v[34:35]
	ds_load_b128 v[34:37], v16 offset:1024
	ds_load_b128 v[38:41], v12 offset:32
	;; [unrolled: 1-line block ×4, first 2 shown]
	v_fma_f64 v[0:1], v[0:1], v[4:5], -v[6:7]
	v_fma_f64 v[4:5], v[32:33], v[26:27], v[50:51]
	v_fma_f64 v[54:55], v[30:31], v[26:27], -v[28:29]
	s_waitcnt lgkmcnt(2)
	v_mul_f64 v[52:53], v[34:35], v[40:41]
	v_mul_f64 v[40:41], v[36:37], v[40:41]
	s_waitcnt lgkmcnt(0)
	v_mul_f64 v[50:51], v[46:47], v[44:45]
	v_mul_f64 v[44:45], v[48:49], v[44:45]
	v_add_f64 v[2:3], v[2:3], 0
	v_fma_f64 v[36:37], v[36:37], v[38:39], v[52:53]
	v_add_f64 v[52:53], v[0:1], 0
	v_fma_f64 v[34:35], v[34:35], v[38:39], -v[40:41]
	v_fma_f64 v[38:39], v[48:49], v[42:43], v[50:51]
	v_add_f64 v[56:57], v[2:3], v[4:5]
	ds_load_b128 v[0:3], v12 offset:64
	ds_load_b128 v[4:7], v16 offset:2048
	ds_load_b128 v[26:29], v16 offset:2560
	ds_load_b128 v[30:33], v12 offset:80
	s_waitcnt lgkmcnt(2)
	v_mul_f64 v[58:59], v[4:5], v[2:3]
	v_add_f64 v[40:41], v[52:53], v[54:55]
	v_mul_f64 v[2:3], v[6:7], v[2:3]
	s_waitcnt lgkmcnt(0)
	v_mul_f64 v[50:51], v[26:27], v[32:33]
	v_fma_f64 v[52:53], v[46:47], v[42:43], -v[44:45]
	v_mul_f64 v[32:33], v[28:29], v[32:33]
	v_add_f64 v[36:37], v[56:57], v[36:37]
	v_fma_f64 v[6:7], v[6:7], v[0:1], v[58:59]
	v_add_f64 v[54:55], v[40:41], v[34:35]
	v_fma_f64 v[0:1], v[4:5], v[0:1], -v[2:3]
	v_fma_f64 v[2:3], v[28:29], v[30:31], v[50:51]
	v_add_f64 v[56:57], v[36:37], v[38:39]
	ds_load_b128 v[34:37], v12 offset:96
	ds_load_b128 v[38:41], v16 offset:3072
	ds_load_b128 v[42:45], v16 offset:3584
	ds_load_b128 v[46:49], v12 offset:112
	s_waitcnt lgkmcnt(2)
	v_mul_f64 v[58:59], v[38:39], v[36:37]
	v_add_f64 v[4:5], v[54:55], v[52:53]
	v_mul_f64 v[36:37], v[40:41], v[36:37]
	s_waitcnt lgkmcnt(0)
	v_mul_f64 v[50:51], v[42:43], v[48:49]
	v_fma_f64 v[52:53], v[26:27], v[30:31], -v[32:33]
	;; [unrolled: 18-line block ×11, first 2 shown]
	v_mul_f64 v[32:33], v[28:29], v[32:33]
	v_add_f64 v[40:41], v[56:57], v[40:41]
	v_fma_f64 v[6:7], v[6:7], v[0:1], v[58:59]
	v_add_f64 v[54:55], v[38:39], v[34:35]
	v_fma_f64 v[0:1], v[4:5], v[0:1], -v[2:3]
	v_fma_f64 v[2:3], v[28:29], v[30:31], v[50:51]
	v_add_f64 v[56:57], v[40:41], v[36:37]
	ds_load_b128 v[34:37], v12 offset:416
	ds_load_b128 v[38:41], v16 offset:13312
	ds_load_b128 v[42:45], v16 offset:13824
	ds_load_b128 v[46:49], v12 offset:432
	s_waitcnt lgkmcnt(2)
	v_mul_f64 v[58:59], v[38:39], v[36:37]
	v_add_f64 v[4:5], v[54:55], v[52:53]
	v_mul_f64 v[36:37], v[40:41], v[36:37]
	s_waitcnt lgkmcnt(0)
	v_mul_f64 v[54:55], v[42:43], v[48:49]
	v_mul_f64 v[48:49], v[44:45], v[48:49]
	v_add_f64 v[6:7], v[56:57], v[6:7]
	v_fma_f64 v[56:57], v[26:27], v[30:31], -v[32:33]
	v_fma_f64 v[40:41], v[40:41], v[34:35], v[58:59]
	v_add_f64 v[58:59], v[4:5], v[0:1]
	v_fma_f64 v[34:35], v[38:39], v[34:35], -v[36:37]
	v_fma_f64 v[36:37], v[44:45], v[46:47], v[54:55]
	v_add_f64 v[60:61], v[6:7], v[2:3]
	ds_load_b128 v[0:3], v12 offset:448
	ds_load_b128 v[4:7], v16 offset:14336
	global_load_b128 v[26:29], v[8:9], off
	ds_load_b128 v[30:33], v16 offset:14848
	ds_load_b128 v[50:53], v12 offset:464
	v_add_f64 v[38:39], v[58:59], v[56:57]
	s_waitcnt lgkmcnt(2)
	v_mul_f64 v[62:63], v[4:5], v[2:3]
	v_mul_f64 v[2:3], v[6:7], v[2:3]
	s_waitcnt lgkmcnt(0)
	v_mul_f64 v[54:55], v[30:31], v[52:53]
	v_fma_f64 v[56:57], v[42:43], v[46:47], -v[48:49]
	v_mul_f64 v[52:53], v[32:33], v[52:53]
	v_add_f64 v[40:41], v[60:61], v[40:41]
	v_add_f64 v[58:59], v[38:39], v[34:35]
	v_fma_f64 v[6:7], v[6:7], v[0:1], v[62:63]
	v_fma_f64 v[0:1], v[4:5], v[0:1], -v[2:3]
	v_fma_f64 v[2:3], v[32:33], v[50:51], v[54:55]
	v_fma_f64 v[30:31], v[30:31], v[50:51], -v[52:53]
	v_add_f64 v[60:61], v[40:41], v[36:37]
	ds_load_b128 v[34:37], v12 offset:480
	ds_load_b128 v[38:41], v16 offset:15360
	;; [unrolled: 1-line block ×4, first 2 shown]
	s_waitcnt lgkmcnt(2)
	v_mul_f64 v[62:63], v[38:39], v[36:37]
	v_add_f64 v[4:5], v[58:59], v[56:57]
	v_mul_f64 v[32:33], v[40:41], v[36:37]
	s_waitcnt lgkmcnt(0)
	v_mul_f64 v[36:37], v[42:43], v[48:49]
	v_add_f64 v[6:7], v[60:61], v[6:7]
	v_fma_f64 v[40:41], v[40:41], v[34:35], v[62:63]
	v_add_f64 v[0:1], v[4:5], v[0:1]
	v_mul_f64 v[4:5], v[44:45], v[48:49]
	s_delay_alu instid0(VALU_DEP_4)
	v_add_f64 v[2:3], v[6:7], v[2:3]
	v_fma_f64 v[6:7], v[38:39], v[34:35], -v[32:33]
	v_fma_f64 v[32:33], v[44:45], v[46:47], v[36:37]
	v_add_f64 v[0:1], v[0:1], v[30:31]
	v_fma_f64 v[4:5], v[42:43], v[46:47], -v[4:5]
	v_add_f64 v[2:3], v[2:3], v[40:41]
	s_delay_alu instid0(VALU_DEP_3) | instskip(NEXT) | instid1(VALU_DEP_2)
	v_add_f64 v[0:1], v[0:1], v[6:7]
	v_add_f64 v[2:3], v[2:3], v[32:33]
	s_delay_alu instid0(VALU_DEP_2) | instskip(NEXT) | instid1(VALU_DEP_2)
	v_add_f64 v[0:1], v[0:1], v[4:5]
	v_mul_f64 v[4:5], s[6:7], v[2:3]
	v_mul_f64 v[2:3], s[4:5], v[2:3]
	s_delay_alu instid0(VALU_DEP_2) | instskip(NEXT) | instid1(VALU_DEP_2)
	v_fma_f64 v[4:5], s[4:5], v[0:1], -v[4:5]
	v_fma_f64 v[2:3], s[6:7], v[0:1], v[2:3]
	s_waitcnt vmcnt(0)
	s_delay_alu instid0(VALU_DEP_2) | instskip(NEXT) | instid1(VALU_DEP_2)
	v_add_f64 v[0:1], v[26:27], v[4:5]
	v_add_f64 v[2:3], v[28:29], v[2:3]
	global_store_b128 v[8:9], v[0:3], off
.LBB1908_11:                            ;   in Loop: Header=BB1908_5 Depth=1
	s_or_b32 exec_lo, exec_lo, s1
	v_mov_b32_e32 v2, 0
	v_mov_b32_e32 v3, 0
	s_waitcnt_vscnt null, 0x0
	s_barrier
	buffer_gl0_inv
	v_dual_mov_b32 v7, v3 :: v_dual_mov_b32 v6, v2
	v_dual_mov_b32 v5, v3 :: v_dual_mov_b32 v4, v2
	s_and_saveexec_b32 s13, s11
	s_cbranch_execz .LBB1908_13
; %bb.12:                               ;   in Loop: Header=BB1908_5 Depth=1
	v_mad_i64_i32 v[0:1], null, v24, s8, 0
	s_delay_alu instid0(VALU_DEP_1) | instskip(NEXT) | instid1(VALU_DEP_1)
	v_lshlrev_b64 v[0:1], 4, v[0:1]
	v_add_co_u32 v0, s1, v20, v0
	s_delay_alu instid0(VALU_DEP_1)
	v_add_co_ci_u32_e64 v1, s1, v21, v1, s1
	global_load_b128 v[4:7], v[0:1], off
.LBB1908_13:                            ;   in Loop: Header=BB1908_5 Depth=1
	s_or_b32 exec_lo, exec_lo, s13
	v_dual_mov_b32 v0, v2 :: v_dual_mov_b32 v1, v3
	s_waitcnt vmcnt(0)
	ds_store_b128 v15, v[4:7]
	s_and_saveexec_b32 s11, s12
	s_cbranch_execz .LBB1908_15
; %bb.14:                               ;   in Loop: Header=BB1908_5 Depth=1
	v_mad_i64_i32 v[0:1], null, v25, s3, 0
	s_delay_alu instid0(VALU_DEP_1) | instskip(NEXT) | instid1(VALU_DEP_1)
	v_lshlrev_b64 v[0:1], 4, v[0:1]
	v_add_co_u32 v0, s1, v22, v0
	s_delay_alu instid0(VALU_DEP_1)
	v_add_co_ci_u32_e64 v1, s1, v23, v1, s1
	global_load_b128 v[0:3], v[0:1], off
.LBB1908_15:                            ;   in Loop: Header=BB1908_5 Depth=1
	s_or_b32 exec_lo, exec_lo, s11
	s_waitcnt vmcnt(0)
	ds_store_b128 v19, v[0:3]
	s_waitcnt lgkmcnt(0)
	s_barrier
	buffer_gl0_inv
	s_and_saveexec_b32 s1, s2
	s_cbranch_execz .LBB1908_4
; %bb.16:                               ;   in Loop: Header=BB1908_5 Depth=1
	ds_load_b128 v[0:3], v16
	ds_load_b128 v[4:7], v12
	ds_load_b128 v[24:27], v12 offset:16
	ds_load_b128 v[28:31], v16 offset:512
	s_waitcnt lgkmcnt(2)
	v_mul_f64 v[32:33], v[0:1], v[6:7]
	v_mul_f64 v[6:7], v[2:3], v[6:7]
	s_waitcnt lgkmcnt(0)
	v_mul_f64 v[40:41], v[30:31], v[26:27]
	v_mul_f64 v[26:27], v[28:29], v[26:27]
	s_delay_alu instid0(VALU_DEP_4) | instskip(NEXT) | instid1(VALU_DEP_4)
	v_fma_f64 v[42:43], v[2:3], v[4:5], v[32:33]
	v_fma_f64 v[44:45], v[0:1], v[4:5], -v[6:7]
	ds_load_b128 v[0:3], v16 offset:1024
	ds_load_b128 v[4:7], v12 offset:32
	;; [unrolled: 1-line block ×4, first 2 shown]
	v_fma_f64 v[28:29], v[28:29], v[24:25], -v[40:41]
	v_fma_f64 v[24:25], v[30:31], v[24:25], v[26:27]
	s_waitcnt lgkmcnt(2)
	v_mul_f64 v[46:47], v[2:3], v[6:7]
	v_mul_f64 v[6:7], v[0:1], v[6:7]
	s_waitcnt lgkmcnt(0)
	v_mul_f64 v[40:41], v[38:39], v[34:35]
	v_mul_f64 v[34:35], v[36:37], v[34:35]
	v_add_f64 v[26:27], v[42:43], 0
	v_add_f64 v[30:31], v[44:45], 0
	v_fma_f64 v[42:43], v[0:1], v[4:5], -v[46:47]
	v_fma_f64 v[44:45], v[2:3], v[4:5], v[6:7]
	v_fma_f64 v[36:37], v[36:37], v[32:33], -v[40:41]
	v_fma_f64 v[32:33], v[38:39], v[32:33], v[34:35]
	v_add_f64 v[46:47], v[26:27], v[24:25]
	v_add_f64 v[48:49], v[30:31], v[28:29]
	ds_load_b128 v[0:3], v12 offset:64
	ds_load_b128 v[4:7], v16 offset:2048
	ds_load_b128 v[24:27], v16 offset:2560
	ds_load_b128 v[28:31], v12 offset:80
	s_waitcnt lgkmcnt(2)
	v_mul_f64 v[50:51], v[6:7], v[2:3]
	v_mul_f64 v[2:3], v[4:5], v[2:3]
	s_waitcnt lgkmcnt(0)
	v_mul_f64 v[40:41], v[26:27], v[30:31]
	v_add_f64 v[34:35], v[46:47], v[44:45]
	v_add_f64 v[38:39], v[48:49], v[42:43]
	v_mul_f64 v[42:43], v[24:25], v[30:31]
	v_fma_f64 v[44:45], v[4:5], v[0:1], -v[50:51]
	v_fma_f64 v[46:47], v[6:7], v[0:1], v[2:3]
	v_fma_f64 v[24:25], v[24:25], v[28:29], -v[40:41]
	v_add_f64 v[48:49], v[34:35], v[32:33]
	v_add_f64 v[38:39], v[38:39], v[36:37]
	ds_load_b128 v[0:3], v12 offset:96
	ds_load_b128 v[4:7], v16 offset:3072
	ds_load_b128 v[30:33], v16 offset:3584
	ds_load_b128 v[34:37], v12 offset:112
	v_fma_f64 v[26:27], v[26:27], v[28:29], v[42:43]
	s_waitcnt lgkmcnt(2)
	v_mul_f64 v[50:51], v[6:7], v[2:3]
	v_mul_f64 v[2:3], v[4:5], v[2:3]
	s_waitcnt lgkmcnt(0)
	v_mul_f64 v[40:41], v[32:33], v[36:37]
	v_mul_f64 v[42:43], v[30:31], v[36:37]
	v_add_f64 v[28:29], v[48:49], v[46:47]
	v_add_f64 v[38:39], v[38:39], v[44:45]
	v_fma_f64 v[44:45], v[4:5], v[0:1], -v[50:51]
	v_fma_f64 v[46:47], v[6:7], v[0:1], v[2:3]
	v_fma_f64 v[30:31], v[30:31], v[34:35], -v[40:41]
	v_fma_f64 v[32:33], v[32:33], v[34:35], v[42:43]
	v_add_f64 v[28:29], v[28:29], v[26:27]
	v_add_f64 v[48:49], v[38:39], v[24:25]
	ds_load_b128 v[0:3], v12 offset:128
	ds_load_b128 v[4:7], v16 offset:4096
	ds_load_b128 v[24:27], v16 offset:4608
	ds_load_b128 v[36:39], v12 offset:144
	s_waitcnt lgkmcnt(2)
	v_mul_f64 v[50:51], v[6:7], v[2:3]
	v_mul_f64 v[2:3], v[4:5], v[2:3]
	s_waitcnt lgkmcnt(0)
	v_mul_f64 v[40:41], v[26:27], v[38:39]
	v_mul_f64 v[38:39], v[24:25], v[38:39]
	v_add_f64 v[28:29], v[28:29], v[46:47]
	v_add_f64 v[34:35], v[48:49], v[44:45]
	v_fma_f64 v[42:43], v[4:5], v[0:1], -v[50:51]
	v_fma_f64 v[44:45], v[6:7], v[0:1], v[2:3]
	v_fma_f64 v[24:25], v[24:25], v[36:37], -v[40:41]
	v_fma_f64 v[26:27], v[26:27], v[36:37], v[38:39]
	v_add_f64 v[46:47], v[28:29], v[32:33]
	v_add_f64 v[48:49], v[34:35], v[30:31]
	ds_load_b128 v[0:3], v12 offset:160
	ds_load_b128 v[4:7], v16 offset:5120
	ds_load_b128 v[28:31], v16 offset:5632
	ds_load_b128 v[32:35], v12 offset:176
	s_waitcnt lgkmcnt(2)
	v_mul_f64 v[50:51], v[6:7], v[2:3]
	v_mul_f64 v[2:3], v[4:5], v[2:3]
	s_waitcnt lgkmcnt(0)
	v_mul_f64 v[40:41], v[30:31], v[34:35]
	v_add_f64 v[36:37], v[46:47], v[44:45]
	v_add_f64 v[38:39], v[48:49], v[42:43]
	v_mul_f64 v[42:43], v[28:29], v[34:35]
	v_fma_f64 v[44:45], v[4:5], v[0:1], -v[50:51]
	v_fma_f64 v[46:47], v[6:7], v[0:1], v[2:3]
	v_fma_f64 v[28:29], v[28:29], v[32:33], -v[40:41]
	v_add_f64 v[48:49], v[36:37], v[26:27]
	v_add_f64 v[38:39], v[38:39], v[24:25]
	ds_load_b128 v[0:3], v12 offset:192
	ds_load_b128 v[4:7], v16 offset:6144
	ds_load_b128 v[24:27], v16 offset:6656
	ds_load_b128 v[34:37], v12 offset:208
	v_fma_f64 v[30:31], v[30:31], v[32:33], v[42:43]
	s_waitcnt lgkmcnt(2)
	v_mul_f64 v[50:51], v[6:7], v[2:3]
	v_mul_f64 v[2:3], v[4:5], v[2:3]
	s_waitcnt lgkmcnt(0)
	v_mul_f64 v[40:41], v[26:27], v[36:37]
	v_mul_f64 v[42:43], v[24:25], v[36:37]
	v_add_f64 v[32:33], v[48:49], v[46:47]
	v_add_f64 v[38:39], v[38:39], v[44:45]
	v_fma_f64 v[44:45], v[4:5], v[0:1], -v[50:51]
	v_fma_f64 v[46:47], v[6:7], v[0:1], v[2:3]
	v_fma_f64 v[24:25], v[24:25], v[34:35], -v[40:41]
	v_fma_f64 v[26:27], v[26:27], v[34:35], v[42:43]
	v_add_f64 v[32:33], v[32:33], v[30:31]
	v_add_f64 v[48:49], v[38:39], v[28:29]
	ds_load_b128 v[0:3], v12 offset:224
	ds_load_b128 v[4:7], v16 offset:7168
	ds_load_b128 v[28:31], v16 offset:7680
	ds_load_b128 v[36:39], v12 offset:240
	;; [unrolled: 54-line block ×4, first 2 shown]
	s_waitcnt lgkmcnt(2)
	v_mul_f64 v[50:51], v[6:7], v[2:3]
	v_mul_f64 v[2:3], v[4:5], v[2:3]
	s_waitcnt lgkmcnt(0)
	v_mul_f64 v[42:43], v[30:31], v[38:39]
	v_add_f64 v[32:33], v[32:33], v[46:47]
	v_add_f64 v[34:35], v[48:49], v[44:45]
	v_mul_f64 v[44:45], v[28:29], v[38:39]
	v_fma_f64 v[46:47], v[4:5], v[0:1], -v[50:51]
	v_fma_f64 v[48:49], v[6:7], v[0:1], v[2:3]
	ds_load_b128 v[0:3], v12 offset:448
	ds_load_b128 v[4:7], v16 offset:14336
	v_fma_f64 v[28:29], v[28:29], v[36:37], -v[42:43]
	v_add_f64 v[50:51], v[32:33], v[26:27]
	v_add_f64 v[52:53], v[34:35], v[24:25]
	global_load_b128 v[24:27], v[8:9], off
	v_fma_f64 v[30:31], v[30:31], v[36:37], v[44:45]
	s_waitcnt lgkmcnt(0)
	v_mul_f64 v[54:55], v[6:7], v[2:3]
	v_mul_f64 v[2:3], v[4:5], v[2:3]
	ds_load_b128 v[32:35], v16 offset:14848
	ds_load_b128 v[38:41], v12 offset:464
	s_waitcnt lgkmcnt(0)
	v_mul_f64 v[44:45], v[34:35], v[40:41]
	v_add_f64 v[36:37], v[50:51], v[48:49]
	v_add_f64 v[42:43], v[52:53], v[46:47]
	v_mul_f64 v[46:47], v[32:33], v[40:41]
	v_fma_f64 v[48:49], v[4:5], v[0:1], -v[54:55]
	v_fma_f64 v[50:51], v[6:7], v[0:1], v[2:3]
	v_fma_f64 v[32:33], v[32:33], v[38:39], -v[44:45]
	v_add_f64 v[36:37], v[36:37], v[30:31]
	v_add_f64 v[52:53], v[42:43], v[28:29]
	ds_load_b128 v[0:3], v12 offset:480
	ds_load_b128 v[4:7], v16 offset:15360
	;; [unrolled: 1-line block ×4, first 2 shown]
	v_fma_f64 v[34:35], v[34:35], v[38:39], v[46:47]
	s_waitcnt lgkmcnt(2)
	v_mul_f64 v[54:55], v[6:7], v[2:3]
	v_mul_f64 v[2:3], v[4:5], v[2:3]
	s_waitcnt lgkmcnt(0)
	v_mul_f64 v[44:45], v[30:31], v[42:43]
	v_mul_f64 v[42:43], v[28:29], v[42:43]
	v_add_f64 v[36:37], v[36:37], v[50:51]
	v_add_f64 v[38:39], v[52:53], v[48:49]
	v_fma_f64 v[4:5], v[4:5], v[0:1], -v[54:55]
	v_fma_f64 v[0:1], v[6:7], v[0:1], v[2:3]
	v_fma_f64 v[28:29], v[28:29], v[40:41], -v[44:45]
	v_fma_f64 v[30:31], v[30:31], v[40:41], v[42:43]
	v_add_f64 v[2:3], v[36:37], v[34:35]
	v_add_f64 v[6:7], v[38:39], v[32:33]
	s_delay_alu instid0(VALU_DEP_2) | instskip(NEXT) | instid1(VALU_DEP_2)
	v_add_f64 v[0:1], v[2:3], v[0:1]
	v_add_f64 v[2:3], v[6:7], v[4:5]
	s_delay_alu instid0(VALU_DEP_2) | instskip(NEXT) | instid1(VALU_DEP_2)
	v_add_f64 v[0:1], v[0:1], v[30:31]
	v_add_f64 v[2:3], v[2:3], v[28:29]
	s_delay_alu instid0(VALU_DEP_2) | instskip(NEXT) | instid1(VALU_DEP_2)
	v_mul_f64 v[4:5], s[6:7], v[0:1]
	v_mul_f64 v[6:7], s[6:7], v[2:3]
	s_delay_alu instid0(VALU_DEP_2) | instskip(NEXT) | instid1(VALU_DEP_2)
	v_fma_f64 v[2:3], s[4:5], v[2:3], -v[4:5]
	v_fma_f64 v[4:5], s[4:5], v[0:1], v[6:7]
	s_waitcnt vmcnt(0)
	s_delay_alu instid0(VALU_DEP_2) | instskip(NEXT) | instid1(VALU_DEP_2)
	v_add_f64 v[0:1], v[24:25], v[2:3]
	v_add_f64 v[2:3], v[26:27], v[4:5]
	global_store_b128 v[8:9], v[0:3], off
	s_branch .LBB1908_4
.LBB1908_17:
	s_endpgm
	.section	.rodata,"a",@progbits
	.p2align	6, 0x0
	.amdhsa_kernel _ZL26rocblas_syr2k_her2k_kernelIiLb1ELb0ELb0ELi32E19rocblas_complex_numIdEPKS1_PS1_EvbiT_T4_T5_S5_lS7_S5_lT6_S5_li
		.amdhsa_group_segment_fixed_size 32768
		.amdhsa_private_segment_fixed_size 0
		.amdhsa_kernarg_size 108
		.amdhsa_user_sgpr_count 13
		.amdhsa_user_sgpr_dispatch_ptr 0
		.amdhsa_user_sgpr_queue_ptr 0
		.amdhsa_user_sgpr_kernarg_segment_ptr 1
		.amdhsa_user_sgpr_dispatch_id 0
		.amdhsa_user_sgpr_private_segment_size 0
		.amdhsa_wavefront_size32 1
		.amdhsa_uses_dynamic_stack 0
		.amdhsa_enable_private_segment 0
		.amdhsa_system_sgpr_workgroup_id_x 1
		.amdhsa_system_sgpr_workgroup_id_y 1
		.amdhsa_system_sgpr_workgroup_id_z 1
		.amdhsa_system_sgpr_workgroup_info 0
		.amdhsa_system_vgpr_workitem_id 1
		.amdhsa_next_free_vgpr 64
		.amdhsa_next_free_sgpr 26
		.amdhsa_reserve_vcc 1
		.amdhsa_float_round_mode_32 0
		.amdhsa_float_round_mode_16_64 0
		.amdhsa_float_denorm_mode_32 3
		.amdhsa_float_denorm_mode_16_64 3
		.amdhsa_dx10_clamp 1
		.amdhsa_ieee_mode 1
		.amdhsa_fp16_overflow 0
		.amdhsa_workgroup_processor_mode 1
		.amdhsa_memory_ordered 1
		.amdhsa_forward_progress 0
		.amdhsa_shared_vgpr_count 0
		.amdhsa_exception_fp_ieee_invalid_op 0
		.amdhsa_exception_fp_denorm_src 0
		.amdhsa_exception_fp_ieee_div_zero 0
		.amdhsa_exception_fp_ieee_overflow 0
		.amdhsa_exception_fp_ieee_underflow 0
		.amdhsa_exception_fp_ieee_inexact 0
		.amdhsa_exception_int_div_zero 0
	.end_amdhsa_kernel
	.section	.text._ZL26rocblas_syr2k_her2k_kernelIiLb1ELb0ELb0ELi32E19rocblas_complex_numIdEPKS1_PS1_EvbiT_T4_T5_S5_lS7_S5_lT6_S5_li,"axG",@progbits,_ZL26rocblas_syr2k_her2k_kernelIiLb1ELb0ELb0ELi32E19rocblas_complex_numIdEPKS1_PS1_EvbiT_T4_T5_S5_lS7_S5_lT6_S5_li,comdat
.Lfunc_end1908:
	.size	_ZL26rocblas_syr2k_her2k_kernelIiLb1ELb0ELb0ELi32E19rocblas_complex_numIdEPKS1_PS1_EvbiT_T4_T5_S5_lS7_S5_lT6_S5_li, .Lfunc_end1908-_ZL26rocblas_syr2k_her2k_kernelIiLb1ELb0ELb0ELi32E19rocblas_complex_numIdEPKS1_PS1_EvbiT_T4_T5_S5_lS7_S5_lT6_S5_li
                                        ; -- End function
	.section	.AMDGPU.csdata,"",@progbits
; Kernel info:
; codeLenInByte = 5556
; NumSgprs: 28
; NumVgprs: 64
; ScratchSize: 0
; MemoryBound: 1
; FloatMode: 240
; IeeeMode: 1
; LDSByteSize: 32768 bytes/workgroup (compile time only)
; SGPRBlocks: 3
; VGPRBlocks: 7
; NumSGPRsForWavesPerEU: 28
; NumVGPRsForWavesPerEU: 64
; Occupancy: 16
; WaveLimiterHint : 0
; COMPUTE_PGM_RSRC2:SCRATCH_EN: 0
; COMPUTE_PGM_RSRC2:USER_SGPR: 13
; COMPUTE_PGM_RSRC2:TRAP_HANDLER: 0
; COMPUTE_PGM_RSRC2:TGID_X_EN: 1
; COMPUTE_PGM_RSRC2:TGID_Y_EN: 1
; COMPUTE_PGM_RSRC2:TGID_Z_EN: 1
; COMPUTE_PGM_RSRC2:TIDIG_COMP_CNT: 1
	.section	.text._ZL26rocblas_syr2k_her2k_kernelIiLb1ELb0ELb1ELi32E19rocblas_complex_numIdEPKS1_PS1_EvbiT_T4_T5_S5_lS7_S5_lT6_S5_li,"axG",@progbits,_ZL26rocblas_syr2k_her2k_kernelIiLb1ELb0ELb1ELi32E19rocblas_complex_numIdEPKS1_PS1_EvbiT_T4_T5_S5_lS7_S5_lT6_S5_li,comdat
	.globl	_ZL26rocblas_syr2k_her2k_kernelIiLb1ELb0ELb1ELi32E19rocblas_complex_numIdEPKS1_PS1_EvbiT_T4_T5_S5_lS7_S5_lT6_S5_li ; -- Begin function _ZL26rocblas_syr2k_her2k_kernelIiLb1ELb0ELb1ELi32E19rocblas_complex_numIdEPKS1_PS1_EvbiT_T4_T5_S5_lS7_S5_lT6_S5_li
	.p2align	8
	.type	_ZL26rocblas_syr2k_her2k_kernelIiLb1ELb0ELb1ELi32E19rocblas_complex_numIdEPKS1_PS1_EvbiT_T4_T5_S5_lS7_S5_lT6_S5_li,@function
_ZL26rocblas_syr2k_her2k_kernelIiLb1ELb0ELb1ELi32E19rocblas_complex_numIdEPKS1_PS1_EvbiT_T4_T5_S5_lS7_S5_lT6_S5_li: ; @_ZL26rocblas_syr2k_her2k_kernelIiLb1ELb0ELb1ELi32E19rocblas_complex_numIdEPKS1_PS1_EvbiT_T4_T5_S5_lS7_S5_lT6_S5_li
; %bb.0:
	s_load_b128 s[4:7], s[0:1], 0x10
	s_waitcnt lgkmcnt(0)
	v_cmp_eq_f64_e64 s2, s[4:5], 0
	v_cmp_eq_f64_e64 s3, s[6:7], 0
	s_delay_alu instid0(VALU_DEP_1) | instskip(NEXT) | instid1(SALU_CYCLE_1)
	s_and_b32 s2, s2, s3
	s_and_b32 vcc_lo, exec_lo, s2
	s_cbranch_vccnz .LBB1909_17
; %bb.1:
	s_load_b128 s[8:11], s[0:1], 0x0
	s_lshl_b32 s2, s14, 5
	s_lshl_b32 s3, s13, 5
	s_waitcnt lgkmcnt(0)
	s_and_b32 s8, 1, s8
	s_delay_alu instid0(SALU_CYCLE_1) | instskip(SKIP_1) | instid1(SALU_CYCLE_1)
	s_cmp_eq_u32 s8, 1
	s_cselect_b32 vcc_lo, -1, 0
	s_and_b32 s8, vcc_lo, exec_lo
	s_cselect_b32 s8, s3, s2
	s_cselect_b32 s11, s2, s3
	s_delay_alu instid0(SALU_CYCLE_1)
	s_cmp_gt_i32 s8, s11
	s_cbranch_scc1 .LBB1909_17
; %bb.2:
	s_cmp_lt_i32 s10, 1
	s_cbranch_scc1 .LBB1909_17
; %bb.3:
	s_clause 0x6
	s_load_b128 s[20:23], s[0:1], 0x30
	s_load_b128 s[16:19], s[0:1], 0x48
	s_load_b32 s8, s[0:1], 0x28
	s_load_b32 s11, s[0:1], 0x40
	;; [unrolled: 1-line block ×3, first 2 shown]
	s_load_b64 s[12:13], s[0:1], 0x60
	s_load_b64 s[24:25], s[0:1], 0x20
	v_and_b32_e32 v15, 0x3ff, v0
	v_bfe_u32 v14, v0, 10, 10
	s_delay_alu instid0(VALU_DEP_2) | instskip(NEXT) | instid1(VALU_DEP_2)
	v_add_nc_u32_e32 v0, s3, v15
	v_add_nc_u32_e32 v8, s2, v14
	v_lshlrev_b32_e32 v9, 4, v14
	v_lshlrev_b32_e32 v16, 9, v15
	s_delay_alu instid0(VALU_DEP_4) | instskip(NEXT) | instid1(VALU_DEP_4)
	v_ashrrev_i32_e32 v1, 31, v0
	v_cndmask_b32_e32 v6, v0, v8, vcc_lo
	v_cndmask_b32_e32 v7, v8, v0, vcc_lo
	v_cmp_gt_i32_e32 vcc_lo, s9, v0
	v_add_nc_u32_e32 v19, v16, v9
	s_waitcnt lgkmcnt(0)
	s_mul_i32 s1, s15, s21
	s_mul_hi_u32 s3, s15, s20
	s_mul_i32 s0, s15, s20
	s_add_i32 s1, s3, s1
	v_mad_i64_i32 v[2:3], null, s8, v0, 0
	s_lshl_b64 s[0:1], s[0:1], 4
	s_mul_i32 s17, s15, s17
	s_mul_hi_u32 s20, s15, s16
	s_add_u32 s21, s24, s0
	s_mul_i32 s2, s15, s16
	s_addc_u32 s24, s25, s1
	s_add_i32 s3, s20, s17
	s_mul_i32 s13, s15, s13
	s_lshl_b64 s[2:3], s[2:3], 4
	s_mul_hi_u32 s16, s15, s12
	v_lshlrev_b64 v[2:3], 4, v[2:3]
	v_mad_i64_i32 v[4:5], null, s11, v8, 0
	s_mul_i32 s0, s15, s12
	s_add_u32 s12, s22, s2
	s_addc_u32 s3, s23, s3
	s_add_i32 s1, s16, s13
	v_or_b32_e32 v20, 0x4000, v9
	s_lshl_b64 s[0:1], s[0:1], 4
	s_delay_alu instid0(SALU_CYCLE_1) | instskip(SKIP_1) | instid1(VALU_DEP_1)
	s_add_u32 s2, s18, s0
	v_add_co_u32 v17, s0, s21, v2
	v_add_co_ci_u32_e64 v18, s0, s24, v3, s0
	v_lshlrev_b64 v[2:3], 4, v[4:5]
	v_mad_i64_i32 v[4:5], null, s14, v8, 0
	s_addc_u32 s13, s19, s1
	v_cmp_gt_i32_e64 s0, s9, v8
	v_add_nc_u32_e32 v23, v20, v16
	s_delay_alu instid0(VALU_DEP_4) | instskip(NEXT) | instid1(VALU_DEP_1)
	v_add_co_u32 v21, s1, s12, v2
	v_add_co_ci_u32_e64 v22, s1, s3, v3, s1
	v_lshlrev_b64 v[2:3], 4, v[4:5]
	v_mad_i64_i32 v[4:5], null, s11, v0, 0
	v_cmp_le_i32_e64 s1, v7, v6
	v_lshlrev_b64 v[0:1], 4, v[0:1]
	v_mad_i64_i32 v[6:7], null, s8, v8, 0
	v_add_co_u32 v8, s2, s2, v2
	s_delay_alu instid0(VALU_DEP_1) | instskip(SKIP_1) | instid1(VALU_DEP_3)
	v_add_co_ci_u32_e64 v9, s2, s13, v3, s2
	v_lshlrev_b64 v[2:3], 4, v[4:5]
	v_add_co_u32 v8, s2, v8, v0
	s_delay_alu instid0(VALU_DEP_1) | instskip(SKIP_1) | instid1(VALU_DEP_4)
	v_add_co_ci_u32_e64 v9, s2, v9, v1, s2
	v_lshlrev_b64 v[0:1], 4, v[6:7]
	v_add_co_u32 v24, s2, s12, v2
	s_delay_alu instid0(VALU_DEP_1) | instskip(SKIP_1) | instid1(VALU_DEP_3)
	v_add_co_ci_u32_e64 v25, s2, s3, v3, s2
	s_and_b32 s9, s0, vcc_lo
	v_add_co_u32 v26, s2, s21, v0
	s_delay_alu instid0(VALU_DEP_1)
	v_add_co_ci_u32_e64 v27, s2, s24, v1, s2
	s_and_b32 s2, s9, s1
	s_mov_b32 s3, 0
	s_branch .LBB1909_5
.LBB1909_4:                             ;   in Loop: Header=BB1909_5 Depth=1
	s_or_b32 exec_lo, exec_lo, s1
	s_add_i32 s3, s3, 32
	s_waitcnt_vscnt null, 0x0
	s_cmp_lt_i32 s3, s10
	s_barrier
	buffer_gl0_inv
	s_cbranch_scc0 .LBB1909_17
.LBB1909_5:                             ; =>This Inner Loop Header: Depth=1
	v_add_nc_u32_e32 v10, s3, v14
	v_mov_b32_e32 v0, 0
	v_mov_b32_e32 v1, 0
	s_delay_alu instid0(VALU_DEP_3) | instskip(NEXT) | instid1(VALU_DEP_2)
	v_cmp_gt_i32_e64 s1, s10, v10
	v_dual_mov_b32 v5, v1 :: v_dual_mov_b32 v4, v0
	v_dual_mov_b32 v7, v1 :: v_dual_mov_b32 v6, v0
	s_delay_alu instid0(VALU_DEP_3) | instskip(NEXT) | instid1(SALU_CYCLE_1)
	s_and_b32 s8, vcc_lo, s1
	s_and_saveexec_b32 s9, s8
	s_cbranch_execz .LBB1909_7
; %bb.6:                                ;   in Loop: Header=BB1909_5 Depth=1
	v_ashrrev_i32_e32 v11, 31, v10
	s_delay_alu instid0(VALU_DEP_1) | instskip(NEXT) | instid1(VALU_DEP_1)
	v_lshlrev_b64 v[2:3], 4, v[10:11]
	v_add_co_u32 v2, s1, v17, v2
	s_delay_alu instid0(VALU_DEP_1)
	v_add_co_ci_u32_e64 v3, s1, v18, v3, s1
	global_load_b128 v[4:7], v[2:3], off
.LBB1909_7:                             ;   in Loop: Header=BB1909_5 Depth=1
	s_or_b32 exec_lo, exec_lo, s9
	v_dual_mov_b32 v3, v1 :: v_dual_add_nc_u32 v12, s3, v15
	v_mov_b32_e32 v2, v0
	s_waitcnt vmcnt(0)
	ds_store_b128 v19, v[4:7]
	v_cmp_gt_i32_e64 s1, s10, v12
	s_delay_alu instid0(VALU_DEP_1) | instskip(NEXT) | instid1(SALU_CYCLE_1)
	s_and_b32 s9, s0, s1
	s_and_saveexec_b32 s11, s9
	s_cbranch_execz .LBB1909_9
; %bb.8:                                ;   in Loop: Header=BB1909_5 Depth=1
	v_ashrrev_i32_e32 v13, 31, v12
	s_delay_alu instid0(VALU_DEP_1) | instskip(NEXT) | instid1(VALU_DEP_1)
	v_lshlrev_b64 v[0:1], 4, v[12:13]
	v_add_co_u32 v0, s1, v21, v0
	s_delay_alu instid0(VALU_DEP_1)
	v_add_co_ci_u32_e64 v1, s1, v22, v1, s1
	global_load_b128 v[0:3], v[0:1], off
.LBB1909_9:                             ;   in Loop: Header=BB1909_5 Depth=1
	s_or_b32 exec_lo, exec_lo, s11
	s_waitcnt vmcnt(0)
	ds_store_b128 v23, v[0:3]
	s_waitcnt lgkmcnt(0)
	s_barrier
	buffer_gl0_inv
	s_and_saveexec_b32 s1, s2
	s_cbranch_execz .LBB1909_11
; %bb.10:                               ;   in Loop: Header=BB1909_5 Depth=1
	ds_load_b128 v[0:3], v20
	ds_load_b128 v[4:7], v16
	ds_load_b128 v[28:31], v16 offset:16
	ds_load_b128 v[32:35], v20 offset:512
	s_waitcnt lgkmcnt(2)
	v_mul_f64 v[36:37], v[0:1], v[6:7]
	v_mul_f64 v[6:7], v[2:3], v[6:7]
	s_waitcnt lgkmcnt(0)
	v_mul_f64 v[52:53], v[32:33], v[30:31]
	v_mul_f64 v[30:31], v[34:35], v[30:31]
	s_delay_alu instid0(VALU_DEP_4)
	v_fma_f64 v[2:3], v[2:3], v[4:5], v[36:37]
	ds_load_b128 v[36:39], v20 offset:1024
	ds_load_b128 v[40:43], v16 offset:32
	ds_load_b128 v[44:47], v16 offset:48
	ds_load_b128 v[48:51], v20 offset:1536
	v_fma_f64 v[0:1], v[0:1], v[4:5], -v[6:7]
	v_fma_f64 v[4:5], v[34:35], v[28:29], v[52:53]
	v_fma_f64 v[56:57], v[32:33], v[28:29], -v[30:31]
	s_waitcnt lgkmcnt(2)
	v_mul_f64 v[54:55], v[36:37], v[42:43]
	v_mul_f64 v[42:43], v[38:39], v[42:43]
	s_waitcnt lgkmcnt(0)
	v_mul_f64 v[52:53], v[48:49], v[46:47]
	v_mul_f64 v[46:47], v[50:51], v[46:47]
	v_add_f64 v[2:3], v[2:3], 0
	v_fma_f64 v[38:39], v[38:39], v[40:41], v[54:55]
	v_add_f64 v[54:55], v[0:1], 0
	v_fma_f64 v[36:37], v[36:37], v[40:41], -v[42:43]
	v_fma_f64 v[40:41], v[50:51], v[44:45], v[52:53]
	v_add_f64 v[58:59], v[2:3], v[4:5]
	ds_load_b128 v[0:3], v16 offset:64
	ds_load_b128 v[4:7], v20 offset:2048
	ds_load_b128 v[28:31], v20 offset:2560
	ds_load_b128 v[32:35], v16 offset:80
	s_waitcnt lgkmcnt(2)
	v_mul_f64 v[60:61], v[4:5], v[2:3]
	v_add_f64 v[42:43], v[54:55], v[56:57]
	v_mul_f64 v[2:3], v[6:7], v[2:3]
	s_waitcnt lgkmcnt(0)
	v_mul_f64 v[52:53], v[28:29], v[34:35]
	v_fma_f64 v[54:55], v[48:49], v[44:45], -v[46:47]
	v_mul_f64 v[34:35], v[30:31], v[34:35]
	v_add_f64 v[38:39], v[58:59], v[38:39]
	v_fma_f64 v[6:7], v[6:7], v[0:1], v[60:61]
	v_add_f64 v[56:57], v[42:43], v[36:37]
	v_fma_f64 v[0:1], v[4:5], v[0:1], -v[2:3]
	v_fma_f64 v[2:3], v[30:31], v[32:33], v[52:53]
	v_add_f64 v[58:59], v[38:39], v[40:41]
	ds_load_b128 v[36:39], v16 offset:96
	ds_load_b128 v[40:43], v20 offset:3072
	ds_load_b128 v[44:47], v20 offset:3584
	ds_load_b128 v[48:51], v16 offset:112
	s_waitcnt lgkmcnt(2)
	v_mul_f64 v[60:61], v[40:41], v[38:39]
	v_add_f64 v[4:5], v[56:57], v[54:55]
	v_mul_f64 v[38:39], v[42:43], v[38:39]
	s_waitcnt lgkmcnt(0)
	v_mul_f64 v[52:53], v[44:45], v[50:51]
	v_fma_f64 v[54:55], v[28:29], v[32:33], -v[34:35]
	;; [unrolled: 18-line block ×11, first 2 shown]
	v_mul_f64 v[34:35], v[30:31], v[34:35]
	v_add_f64 v[42:43], v[58:59], v[42:43]
	v_fma_f64 v[6:7], v[6:7], v[0:1], v[60:61]
	v_add_f64 v[56:57], v[40:41], v[36:37]
	v_fma_f64 v[0:1], v[4:5], v[0:1], -v[2:3]
	v_fma_f64 v[2:3], v[30:31], v[32:33], v[52:53]
	v_add_f64 v[58:59], v[42:43], v[38:39]
	ds_load_b128 v[36:39], v16 offset:416
	ds_load_b128 v[40:43], v20 offset:13312
	;; [unrolled: 1-line block ×4, first 2 shown]
	s_waitcnt lgkmcnt(2)
	v_mul_f64 v[60:61], v[40:41], v[38:39]
	v_add_f64 v[4:5], v[56:57], v[54:55]
	v_mul_f64 v[38:39], v[42:43], v[38:39]
	s_waitcnt lgkmcnt(0)
	v_mul_f64 v[56:57], v[44:45], v[50:51]
	v_mul_f64 v[50:51], v[46:47], v[50:51]
	v_add_f64 v[6:7], v[58:59], v[6:7]
	v_fma_f64 v[58:59], v[28:29], v[32:33], -v[34:35]
	v_fma_f64 v[42:43], v[42:43], v[36:37], v[60:61]
	v_add_f64 v[60:61], v[4:5], v[0:1]
	v_fma_f64 v[36:37], v[40:41], v[36:37], -v[38:39]
	v_fma_f64 v[38:39], v[46:47], v[48:49], v[56:57]
	v_add_f64 v[62:63], v[6:7], v[2:3]
	ds_load_b128 v[0:3], v16 offset:448
	ds_load_b128 v[4:7], v20 offset:14336
	global_load_b128 v[28:31], v[8:9], off
	ds_load_b128 v[32:35], v20 offset:14848
	ds_load_b128 v[52:55], v16 offset:464
	v_add_f64 v[40:41], v[60:61], v[58:59]
	s_waitcnt lgkmcnt(2)
	v_mul_f64 v[64:65], v[4:5], v[2:3]
	v_mul_f64 v[2:3], v[6:7], v[2:3]
	s_waitcnt lgkmcnt(0)
	v_mul_f64 v[56:57], v[32:33], v[54:55]
	v_fma_f64 v[58:59], v[44:45], v[48:49], -v[50:51]
	v_mul_f64 v[54:55], v[34:35], v[54:55]
	v_add_f64 v[42:43], v[62:63], v[42:43]
	v_add_f64 v[60:61], v[40:41], v[36:37]
	v_fma_f64 v[6:7], v[6:7], v[0:1], v[64:65]
	v_fma_f64 v[0:1], v[4:5], v[0:1], -v[2:3]
	v_fma_f64 v[2:3], v[34:35], v[52:53], v[56:57]
	v_fma_f64 v[32:33], v[32:33], v[52:53], -v[54:55]
	v_add_f64 v[62:63], v[42:43], v[38:39]
	ds_load_b128 v[36:39], v16 offset:480
	ds_load_b128 v[40:43], v20 offset:15360
	;; [unrolled: 1-line block ×4, first 2 shown]
	s_waitcnt lgkmcnt(2)
	v_mul_f64 v[64:65], v[40:41], v[38:39]
	v_add_f64 v[4:5], v[60:61], v[58:59]
	v_mul_f64 v[34:35], v[42:43], v[38:39]
	s_waitcnt lgkmcnt(0)
	v_mul_f64 v[38:39], v[44:45], v[50:51]
	v_add_f64 v[6:7], v[62:63], v[6:7]
	v_fma_f64 v[42:43], v[42:43], v[36:37], v[64:65]
	v_add_f64 v[0:1], v[4:5], v[0:1]
	v_mul_f64 v[4:5], v[46:47], v[50:51]
	s_delay_alu instid0(VALU_DEP_4)
	v_add_f64 v[2:3], v[6:7], v[2:3]
	v_fma_f64 v[6:7], v[40:41], v[36:37], -v[34:35]
	v_fma_f64 v[34:35], v[46:47], v[48:49], v[38:39]
	v_add_f64 v[0:1], v[0:1], v[32:33]
	v_fma_f64 v[4:5], v[44:45], v[48:49], -v[4:5]
	v_add_f64 v[2:3], v[2:3], v[42:43]
	s_delay_alu instid0(VALU_DEP_3) | instskip(NEXT) | instid1(VALU_DEP_2)
	v_add_f64 v[0:1], v[0:1], v[6:7]
	v_add_f64 v[2:3], v[2:3], v[34:35]
	s_delay_alu instid0(VALU_DEP_2) | instskip(NEXT) | instid1(VALU_DEP_2)
	v_add_f64 v[0:1], v[0:1], v[4:5]
	v_mul_f64 v[4:5], s[6:7], v[2:3]
	v_mul_f64 v[2:3], s[4:5], v[2:3]
	s_delay_alu instid0(VALU_DEP_2) | instskip(NEXT) | instid1(VALU_DEP_2)
	v_fma_f64 v[4:5], s[4:5], v[0:1], -v[4:5]
	v_fma_f64 v[2:3], s[6:7], v[0:1], v[2:3]
	s_waitcnt vmcnt(0)
	s_delay_alu instid0(VALU_DEP_2) | instskip(NEXT) | instid1(VALU_DEP_2)
	v_add_f64 v[0:1], v[28:29], v[4:5]
	v_add_f64 v[2:3], v[30:31], v[2:3]
	global_store_b128 v[8:9], v[0:3], off
.LBB1909_11:                            ;   in Loop: Header=BB1909_5 Depth=1
	s_or_b32 exec_lo, exec_lo, s1
	v_mov_b32_e32 v2, 0
	v_mov_b32_e32 v3, 0
	s_waitcnt_vscnt null, 0x0
	s_barrier
	buffer_gl0_inv
	v_dual_mov_b32 v7, v3 :: v_dual_mov_b32 v6, v2
	v_dual_mov_b32 v5, v3 :: v_dual_mov_b32 v4, v2
	s_and_saveexec_b32 s11, s8
	s_cbranch_execz .LBB1909_13
; %bb.12:                               ;   in Loop: Header=BB1909_5 Depth=1
	v_ashrrev_i32_e32 v11, 31, v10
	s_delay_alu instid0(VALU_DEP_1) | instskip(NEXT) | instid1(VALU_DEP_1)
	v_lshlrev_b64 v[0:1], 4, v[10:11]
	v_add_co_u32 v0, s1, v24, v0
	s_delay_alu instid0(VALU_DEP_1)
	v_add_co_ci_u32_e64 v1, s1, v25, v1, s1
	global_load_b128 v[4:7], v[0:1], off
.LBB1909_13:                            ;   in Loop: Header=BB1909_5 Depth=1
	s_or_b32 exec_lo, exec_lo, s11
	v_dual_mov_b32 v0, v2 :: v_dual_mov_b32 v1, v3
	s_waitcnt vmcnt(0)
	ds_store_b128 v19, v[4:7]
	s_and_saveexec_b32 s8, s9
	s_cbranch_execz .LBB1909_15
; %bb.14:                               ;   in Loop: Header=BB1909_5 Depth=1
	v_ashrrev_i32_e32 v13, 31, v12
	s_delay_alu instid0(VALU_DEP_1) | instskip(NEXT) | instid1(VALU_DEP_1)
	v_lshlrev_b64 v[0:1], 4, v[12:13]
	v_add_co_u32 v0, s1, v26, v0
	s_delay_alu instid0(VALU_DEP_1)
	v_add_co_ci_u32_e64 v1, s1, v27, v1, s1
	global_load_b128 v[0:3], v[0:1], off
.LBB1909_15:                            ;   in Loop: Header=BB1909_5 Depth=1
	s_or_b32 exec_lo, exec_lo, s8
	s_waitcnt vmcnt(0)
	ds_store_b128 v23, v[0:3]
	s_waitcnt lgkmcnt(0)
	s_barrier
	buffer_gl0_inv
	s_and_saveexec_b32 s1, s2
	s_cbranch_execz .LBB1909_4
; %bb.16:                               ;   in Loop: Header=BB1909_5 Depth=1
	ds_load_b128 v[0:3], v20
	ds_load_b128 v[4:7], v16
	ds_load_b128 v[10:13], v16 offset:16
	ds_load_b128 v[28:31], v20 offset:512
	s_waitcnt lgkmcnt(2)
	v_mul_f64 v[32:33], v[0:1], v[6:7]
	v_mul_f64 v[6:7], v[2:3], v[6:7]
	s_waitcnt lgkmcnt(0)
	v_mul_f64 v[40:41], v[30:31], v[12:13]
	v_mul_f64 v[12:13], v[28:29], v[12:13]
	s_delay_alu instid0(VALU_DEP_4) | instskip(NEXT) | instid1(VALU_DEP_4)
	v_fma_f64 v[42:43], v[2:3], v[4:5], v[32:33]
	v_fma_f64 v[44:45], v[0:1], v[4:5], -v[6:7]
	ds_load_b128 v[0:3], v20 offset:1024
	ds_load_b128 v[4:7], v16 offset:32
	;; [unrolled: 1-line block ×4, first 2 shown]
	v_fma_f64 v[28:29], v[28:29], v[10:11], -v[40:41]
	v_fma_f64 v[10:11], v[30:31], v[10:11], v[12:13]
	s_waitcnt lgkmcnt(2)
	v_mul_f64 v[46:47], v[2:3], v[6:7]
	v_mul_f64 v[6:7], v[0:1], v[6:7]
	s_waitcnt lgkmcnt(0)
	v_mul_f64 v[40:41], v[38:39], v[34:35]
	v_mul_f64 v[34:35], v[36:37], v[34:35]
	v_add_f64 v[12:13], v[42:43], 0
	v_add_f64 v[30:31], v[44:45], 0
	v_fma_f64 v[42:43], v[0:1], v[4:5], -v[46:47]
	v_fma_f64 v[44:45], v[2:3], v[4:5], v[6:7]
	v_fma_f64 v[36:37], v[36:37], v[32:33], -v[40:41]
	v_fma_f64 v[32:33], v[38:39], v[32:33], v[34:35]
	v_add_f64 v[46:47], v[12:13], v[10:11]
	v_add_f64 v[48:49], v[30:31], v[28:29]
	ds_load_b128 v[0:3], v16 offset:64
	ds_load_b128 v[4:7], v20 offset:2048
	ds_load_b128 v[10:13], v20 offset:2560
	ds_load_b128 v[28:31], v16 offset:80
	s_waitcnt lgkmcnt(2)
	v_mul_f64 v[50:51], v[6:7], v[2:3]
	v_mul_f64 v[2:3], v[4:5], v[2:3]
	s_waitcnt lgkmcnt(0)
	v_mul_f64 v[40:41], v[12:13], v[30:31]
	v_add_f64 v[34:35], v[46:47], v[44:45]
	v_add_f64 v[38:39], v[48:49], v[42:43]
	v_mul_f64 v[42:43], v[10:11], v[30:31]
	v_fma_f64 v[44:45], v[4:5], v[0:1], -v[50:51]
	v_fma_f64 v[46:47], v[6:7], v[0:1], v[2:3]
	v_fma_f64 v[10:11], v[10:11], v[28:29], -v[40:41]
	v_add_f64 v[48:49], v[34:35], v[32:33]
	v_add_f64 v[38:39], v[38:39], v[36:37]
	ds_load_b128 v[0:3], v16 offset:96
	ds_load_b128 v[4:7], v20 offset:3072
	ds_load_b128 v[30:33], v20 offset:3584
	ds_load_b128 v[34:37], v16 offset:112
	v_fma_f64 v[12:13], v[12:13], v[28:29], v[42:43]
	s_waitcnt lgkmcnt(2)
	v_mul_f64 v[50:51], v[6:7], v[2:3]
	v_mul_f64 v[2:3], v[4:5], v[2:3]
	s_waitcnt lgkmcnt(0)
	v_mul_f64 v[40:41], v[32:33], v[36:37]
	v_mul_f64 v[42:43], v[30:31], v[36:37]
	v_add_f64 v[28:29], v[48:49], v[46:47]
	v_add_f64 v[38:39], v[38:39], v[44:45]
	v_fma_f64 v[44:45], v[4:5], v[0:1], -v[50:51]
	v_fma_f64 v[46:47], v[6:7], v[0:1], v[2:3]
	v_fma_f64 v[30:31], v[30:31], v[34:35], -v[40:41]
	v_fma_f64 v[32:33], v[32:33], v[34:35], v[42:43]
	v_add_f64 v[28:29], v[28:29], v[12:13]
	v_add_f64 v[48:49], v[38:39], v[10:11]
	ds_load_b128 v[0:3], v16 offset:128
	ds_load_b128 v[4:7], v20 offset:4096
	ds_load_b128 v[10:13], v20 offset:4608
	ds_load_b128 v[36:39], v16 offset:144
	s_waitcnt lgkmcnt(2)
	v_mul_f64 v[50:51], v[6:7], v[2:3]
	v_mul_f64 v[2:3], v[4:5], v[2:3]
	s_waitcnt lgkmcnt(0)
	v_mul_f64 v[40:41], v[12:13], v[38:39]
	v_mul_f64 v[38:39], v[10:11], v[38:39]
	v_add_f64 v[28:29], v[28:29], v[46:47]
	v_add_f64 v[34:35], v[48:49], v[44:45]
	v_fma_f64 v[42:43], v[4:5], v[0:1], -v[50:51]
	v_fma_f64 v[44:45], v[6:7], v[0:1], v[2:3]
	v_fma_f64 v[10:11], v[10:11], v[36:37], -v[40:41]
	v_fma_f64 v[12:13], v[12:13], v[36:37], v[38:39]
	v_add_f64 v[46:47], v[28:29], v[32:33]
	v_add_f64 v[48:49], v[34:35], v[30:31]
	ds_load_b128 v[0:3], v16 offset:160
	ds_load_b128 v[4:7], v20 offset:5120
	ds_load_b128 v[28:31], v20 offset:5632
	ds_load_b128 v[32:35], v16 offset:176
	s_waitcnt lgkmcnt(2)
	v_mul_f64 v[50:51], v[6:7], v[2:3]
	v_mul_f64 v[2:3], v[4:5], v[2:3]
	s_waitcnt lgkmcnt(0)
	v_mul_f64 v[40:41], v[30:31], v[34:35]
	v_add_f64 v[36:37], v[46:47], v[44:45]
	v_add_f64 v[38:39], v[48:49], v[42:43]
	v_mul_f64 v[42:43], v[28:29], v[34:35]
	v_fma_f64 v[44:45], v[4:5], v[0:1], -v[50:51]
	v_fma_f64 v[46:47], v[6:7], v[0:1], v[2:3]
	v_fma_f64 v[28:29], v[28:29], v[32:33], -v[40:41]
	v_add_f64 v[48:49], v[36:37], v[12:13]
	v_add_f64 v[38:39], v[38:39], v[10:11]
	ds_load_b128 v[0:3], v16 offset:192
	ds_load_b128 v[4:7], v20 offset:6144
	ds_load_b128 v[10:13], v20 offset:6656
	ds_load_b128 v[34:37], v16 offset:208
	v_fma_f64 v[30:31], v[30:31], v[32:33], v[42:43]
	s_waitcnt lgkmcnt(2)
	v_mul_f64 v[50:51], v[6:7], v[2:3]
	v_mul_f64 v[2:3], v[4:5], v[2:3]
	s_waitcnt lgkmcnt(0)
	v_mul_f64 v[40:41], v[12:13], v[36:37]
	v_mul_f64 v[42:43], v[10:11], v[36:37]
	v_add_f64 v[32:33], v[48:49], v[46:47]
	v_add_f64 v[38:39], v[38:39], v[44:45]
	v_fma_f64 v[44:45], v[4:5], v[0:1], -v[50:51]
	v_fma_f64 v[46:47], v[6:7], v[0:1], v[2:3]
	v_fma_f64 v[10:11], v[10:11], v[34:35], -v[40:41]
	v_fma_f64 v[12:13], v[12:13], v[34:35], v[42:43]
	v_add_f64 v[32:33], v[32:33], v[30:31]
	v_add_f64 v[48:49], v[38:39], v[28:29]
	ds_load_b128 v[0:3], v16 offset:224
	ds_load_b128 v[4:7], v20 offset:7168
	ds_load_b128 v[28:31], v20 offset:7680
	ds_load_b128 v[36:39], v16 offset:240
	;; [unrolled: 54-line block ×4, first 2 shown]
	s_waitcnt lgkmcnt(2)
	v_mul_f64 v[50:51], v[6:7], v[2:3]
	v_mul_f64 v[2:3], v[4:5], v[2:3]
	s_waitcnt lgkmcnt(0)
	v_mul_f64 v[42:43], v[30:31], v[38:39]
	v_add_f64 v[32:33], v[32:33], v[46:47]
	v_add_f64 v[34:35], v[48:49], v[44:45]
	v_mul_f64 v[44:45], v[28:29], v[38:39]
	v_fma_f64 v[46:47], v[4:5], v[0:1], -v[50:51]
	v_fma_f64 v[48:49], v[6:7], v[0:1], v[2:3]
	ds_load_b128 v[0:3], v16 offset:448
	ds_load_b128 v[4:7], v20 offset:14336
	v_fma_f64 v[28:29], v[28:29], v[36:37], -v[42:43]
	v_add_f64 v[50:51], v[32:33], v[12:13]
	v_add_f64 v[52:53], v[34:35], v[10:11]
	global_load_b128 v[10:13], v[8:9], off
	v_fma_f64 v[30:31], v[30:31], v[36:37], v[44:45]
	s_waitcnt lgkmcnt(0)
	v_mul_f64 v[54:55], v[6:7], v[2:3]
	v_mul_f64 v[2:3], v[4:5], v[2:3]
	ds_load_b128 v[32:35], v20 offset:14848
	ds_load_b128 v[38:41], v16 offset:464
	s_waitcnt lgkmcnt(0)
	v_mul_f64 v[44:45], v[34:35], v[40:41]
	v_add_f64 v[36:37], v[50:51], v[48:49]
	v_add_f64 v[42:43], v[52:53], v[46:47]
	v_mul_f64 v[46:47], v[32:33], v[40:41]
	v_fma_f64 v[48:49], v[4:5], v[0:1], -v[54:55]
	v_fma_f64 v[50:51], v[6:7], v[0:1], v[2:3]
	v_fma_f64 v[32:33], v[32:33], v[38:39], -v[44:45]
	v_add_f64 v[36:37], v[36:37], v[30:31]
	v_add_f64 v[52:53], v[42:43], v[28:29]
	ds_load_b128 v[0:3], v16 offset:480
	ds_load_b128 v[4:7], v20 offset:15360
	;; [unrolled: 1-line block ×4, first 2 shown]
	v_fma_f64 v[34:35], v[34:35], v[38:39], v[46:47]
	s_waitcnt lgkmcnt(2)
	v_mul_f64 v[54:55], v[6:7], v[2:3]
	v_mul_f64 v[2:3], v[4:5], v[2:3]
	s_waitcnt lgkmcnt(0)
	v_mul_f64 v[44:45], v[30:31], v[42:43]
	v_mul_f64 v[42:43], v[28:29], v[42:43]
	v_add_f64 v[36:37], v[36:37], v[50:51]
	v_add_f64 v[38:39], v[52:53], v[48:49]
	v_fma_f64 v[4:5], v[4:5], v[0:1], -v[54:55]
	v_fma_f64 v[0:1], v[6:7], v[0:1], v[2:3]
	v_fma_f64 v[28:29], v[28:29], v[40:41], -v[44:45]
	v_fma_f64 v[30:31], v[30:31], v[40:41], v[42:43]
	v_add_f64 v[2:3], v[36:37], v[34:35]
	v_add_f64 v[6:7], v[38:39], v[32:33]
	s_delay_alu instid0(VALU_DEP_2) | instskip(NEXT) | instid1(VALU_DEP_2)
	v_add_f64 v[0:1], v[2:3], v[0:1]
	v_add_f64 v[2:3], v[6:7], v[4:5]
	s_delay_alu instid0(VALU_DEP_2) | instskip(NEXT) | instid1(VALU_DEP_2)
	;; [unrolled: 3-line block ×3, first 2 shown]
	v_mul_f64 v[4:5], s[6:7], v[0:1]
	v_mul_f64 v[6:7], s[6:7], v[2:3]
	s_delay_alu instid0(VALU_DEP_2) | instskip(NEXT) | instid1(VALU_DEP_2)
	v_fma_f64 v[2:3], s[4:5], v[2:3], -v[4:5]
	v_fma_f64 v[4:5], s[4:5], v[0:1], v[6:7]
	s_waitcnt vmcnt(0)
	s_delay_alu instid0(VALU_DEP_2) | instskip(NEXT) | instid1(VALU_DEP_2)
	v_add_f64 v[0:1], v[10:11], v[2:3]
	v_add_f64 v[2:3], v[12:13], v[4:5]
	global_store_b128 v[8:9], v[0:3], off
	s_branch .LBB1909_4
.LBB1909_17:
	s_endpgm
	.section	.rodata,"a",@progbits
	.p2align	6, 0x0
	.amdhsa_kernel _ZL26rocblas_syr2k_her2k_kernelIiLb1ELb0ELb1ELi32E19rocblas_complex_numIdEPKS1_PS1_EvbiT_T4_T5_S5_lS7_S5_lT6_S5_li
		.amdhsa_group_segment_fixed_size 32768
		.amdhsa_private_segment_fixed_size 0
		.amdhsa_kernarg_size 108
		.amdhsa_user_sgpr_count 13
		.amdhsa_user_sgpr_dispatch_ptr 0
		.amdhsa_user_sgpr_queue_ptr 0
		.amdhsa_user_sgpr_kernarg_segment_ptr 1
		.amdhsa_user_sgpr_dispatch_id 0
		.amdhsa_user_sgpr_private_segment_size 0
		.amdhsa_wavefront_size32 1
		.amdhsa_uses_dynamic_stack 0
		.amdhsa_enable_private_segment 0
		.amdhsa_system_sgpr_workgroup_id_x 1
		.amdhsa_system_sgpr_workgroup_id_y 1
		.amdhsa_system_sgpr_workgroup_id_z 1
		.amdhsa_system_sgpr_workgroup_info 0
		.amdhsa_system_vgpr_workitem_id 1
		.amdhsa_next_free_vgpr 66
		.amdhsa_next_free_sgpr 26
		.amdhsa_reserve_vcc 1
		.amdhsa_float_round_mode_32 0
		.amdhsa_float_round_mode_16_64 0
		.amdhsa_float_denorm_mode_32 3
		.amdhsa_float_denorm_mode_16_64 3
		.amdhsa_dx10_clamp 1
		.amdhsa_ieee_mode 1
		.amdhsa_fp16_overflow 0
		.amdhsa_workgroup_processor_mode 1
		.amdhsa_memory_ordered 1
		.amdhsa_forward_progress 0
		.amdhsa_shared_vgpr_count 0
		.amdhsa_exception_fp_ieee_invalid_op 0
		.amdhsa_exception_fp_denorm_src 0
		.amdhsa_exception_fp_ieee_div_zero 0
		.amdhsa_exception_fp_ieee_overflow 0
		.amdhsa_exception_fp_ieee_underflow 0
		.amdhsa_exception_fp_ieee_inexact 0
		.amdhsa_exception_int_div_zero 0
	.end_amdhsa_kernel
	.section	.text._ZL26rocblas_syr2k_her2k_kernelIiLb1ELb0ELb1ELi32E19rocblas_complex_numIdEPKS1_PS1_EvbiT_T4_T5_S5_lS7_S5_lT6_S5_li,"axG",@progbits,_ZL26rocblas_syr2k_her2k_kernelIiLb1ELb0ELb1ELi32E19rocblas_complex_numIdEPKS1_PS1_EvbiT_T4_T5_S5_lS7_S5_lT6_S5_li,comdat
.Lfunc_end1909:
	.size	_ZL26rocblas_syr2k_her2k_kernelIiLb1ELb0ELb1ELi32E19rocblas_complex_numIdEPKS1_PS1_EvbiT_T4_T5_S5_lS7_S5_lT6_S5_li, .Lfunc_end1909-_ZL26rocblas_syr2k_her2k_kernelIiLb1ELb0ELb1ELi32E19rocblas_complex_numIdEPKS1_PS1_EvbiT_T4_T5_S5_lS7_S5_lT6_S5_li
                                        ; -- End function
	.section	.AMDGPU.csdata,"",@progbits
; Kernel info:
; codeLenInByte = 5596
; NumSgprs: 28
; NumVgprs: 66
; ScratchSize: 0
; MemoryBound: 1
; FloatMode: 240
; IeeeMode: 1
; LDSByteSize: 32768 bytes/workgroup (compile time only)
; SGPRBlocks: 3
; VGPRBlocks: 8
; NumSGPRsForWavesPerEU: 28
; NumVGPRsForWavesPerEU: 66
; Occupancy: 16
; WaveLimiterHint : 0
; COMPUTE_PGM_RSRC2:SCRATCH_EN: 0
; COMPUTE_PGM_RSRC2:USER_SGPR: 13
; COMPUTE_PGM_RSRC2:TRAP_HANDLER: 0
; COMPUTE_PGM_RSRC2:TGID_X_EN: 1
; COMPUTE_PGM_RSRC2:TGID_Y_EN: 1
; COMPUTE_PGM_RSRC2:TGID_Z_EN: 1
; COMPUTE_PGM_RSRC2:TIDIG_COMP_CNT: 1
	.section	.text._ZL26rocblas_syr2k_her2k_kernelIiLb1ELb0ELb0ELi32EPK19rocblas_complex_numIdES3_PS1_EvbiT_T4_T5_S5_lS7_S5_lT6_S5_li,"axG",@progbits,_ZL26rocblas_syr2k_her2k_kernelIiLb1ELb0ELb0ELi32EPK19rocblas_complex_numIdES3_PS1_EvbiT_T4_T5_S5_lS7_S5_lT6_S5_li,comdat
	.globl	_ZL26rocblas_syr2k_her2k_kernelIiLb1ELb0ELb0ELi32EPK19rocblas_complex_numIdES3_PS1_EvbiT_T4_T5_S5_lS7_S5_lT6_S5_li ; -- Begin function _ZL26rocblas_syr2k_her2k_kernelIiLb1ELb0ELb0ELi32EPK19rocblas_complex_numIdES3_PS1_EvbiT_T4_T5_S5_lS7_S5_lT6_S5_li
	.p2align	8
	.type	_ZL26rocblas_syr2k_her2k_kernelIiLb1ELb0ELb0ELi32EPK19rocblas_complex_numIdES3_PS1_EvbiT_T4_T5_S5_lS7_S5_lT6_S5_li,@function
_ZL26rocblas_syr2k_her2k_kernelIiLb1ELb0ELb0ELi32EPK19rocblas_complex_numIdES3_PS1_EvbiT_T4_T5_S5_lS7_S5_lT6_S5_li: ; @_ZL26rocblas_syr2k_her2k_kernelIiLb1ELb0ELb0ELi32EPK19rocblas_complex_numIdES3_PS1_EvbiT_T4_T5_S5_lS7_S5_lT6_S5_li
; %bb.0:
	s_load_b128 s[16:19], s[0:1], 0x10
	s_waitcnt lgkmcnt(0)
	s_load_b128 s[4:7], s[16:17], 0x0
	s_waitcnt lgkmcnt(0)
	v_cmp_eq_f64_e64 s2, s[4:5], 0
	v_cmp_eq_f64_e64 s3, s[6:7], 0
	s_delay_alu instid0(VALU_DEP_1) | instskip(NEXT) | instid1(SALU_CYCLE_1)
	s_and_b32 s2, s2, s3
	s_and_b32 vcc_lo, exec_lo, s2
	s_cbranch_vccnz .LBB1910_17
; %bb.1:
	s_load_b128 s[8:11], s[0:1], 0x0
	s_lshl_b32 s2, s14, 5
	s_waitcnt lgkmcnt(0)
	s_and_b32 s3, 1, s8
	s_lshl_b32 s8, s13, 5
	s_cmp_eq_u32 s3, 1
	s_cselect_b32 vcc_lo, -1, 0
	s_delay_alu instid0(SALU_CYCLE_1) | instskip(SKIP_2) | instid1(SALU_CYCLE_1)
	s_and_b32 s3, vcc_lo, exec_lo
	s_cselect_b32 s3, s8, s2
	s_cselect_b32 s11, s2, s8
	s_cmp_gt_i32 s3, s11
	s_cbranch_scc1 .LBB1910_17
; %bb.2:
	s_cmp_lt_i32 s10, 1
	s_cbranch_scc1 .LBB1910_17
; %bb.3:
	s_clause 0x1
	s_load_b128 s[24:27], s[0:1], 0x28
	s_load_b128 s[20:23], s[0:1], 0x40
	v_bfe_u32 v10, v0, 10, 10
	v_and_b32_e32 v11, 0x3ff, v0
	s_clause 0x1
	s_load_b64 s[12:13], s[0:1], 0x58
	s_load_b32 s3, s[0:1], 0x20
	v_add_nc_u32_e32 v0, s2, v10
	v_add_nc_u32_e32 v1, s8, v11
	s_clause 0x1
	s_load_b32 s8, s[0:1], 0x38
	s_load_b32 s2, s[0:1], 0x50
	s_delay_alu instid0(VALU_DEP_1)
	v_dual_cndmask_b32 v9, v1, v0 :: v_dual_lshlrev_b32 v8, 4, v10
	v_ashrrev_i32_e32 v2, 31, v1
	v_cndmask_b32_e32 v20, v0, v1, vcc_lo
	v_cmp_gt_i32_e32 vcc_lo, s9, v1
	v_lshlrev_b32_e32 v12, 9, v11
	v_or_b32_e32 v16, 0x4000, v8
	v_lshlrev_b64 v[2:3], 4, v[1:2]
	s_waitcnt lgkmcnt(0)
	s_mul_i32 s1, s15, s25
	s_mul_hi_u32 s11, s15, s24
	s_mul_i32 s0, s15, s24
	s_add_i32 s1, s11, s1
	s_mul_i32 s14, s15, s21
	s_lshl_b64 s[0:1], s[0:1], 4
	s_mul_hi_u32 s17, s15, s20
	s_add_u32 s18, s18, s0
	s_mul_i32 s16, s15, s20
	s_addc_u32 s19, s19, s1
	s_add_i32 s17, s17, s14
	s_mul_i32 s11, s15, s13
	s_lshl_b64 s[0:1], s[16:17], 4
	s_mul_hi_u32 s13, s15, s12
	s_add_u32 s14, s26, s0
	v_mad_i64_i32 v[4:5], null, s2, v0, 0
	s_mul_i32 s12, s15, s12
	s_addc_u32 s15, s27, s1
	s_add_i32 s13, s13, s11
	v_ashrrev_i32_e32 v1, 31, v0
	s_lshl_b64 s[0:1], s[12:13], 4
	v_add_nc_u32_e32 v15, v12, v8
	s_add_u32 s11, s22, s0
	v_add_co_u32 v13, s0, s18, v2
	s_delay_alu instid0(VALU_DEP_1)
	v_add_co_ci_u32_e64 v14, s0, s19, v3, s0
	v_lshlrev_b64 v[6:7], 4, v[0:1]
	v_cmp_gt_i32_e64 s0, s9, v0
	v_lshlrev_b64 v[0:1], 4, v[4:5]
	s_addc_u32 s12, s23, s1
	v_add_nc_u32_e32 v19, v16, v12
	s_delay_alu instid0(VALU_DEP_4) | instskip(NEXT) | instid1(VALU_DEP_3)
	v_add_co_u32 v17, s1, s14, v6
	v_add_co_u32 v0, s2, s11, v0
	s_delay_alu instid0(VALU_DEP_1) | instskip(SKIP_1) | instid1(VALU_DEP_3)
	v_add_co_ci_u32_e64 v1, s2, s12, v1, s2
	v_add_co_ci_u32_e64 v18, s1, s15, v7, s1
	v_add_co_u32 v8, s2, v0, v2
	v_cmp_le_i32_e64 s1, v20, v9
	s_delay_alu instid0(VALU_DEP_4) | instskip(SKIP_1) | instid1(VALU_DEP_1)
	v_add_co_ci_u32_e64 v9, s2, v1, v3, s2
	v_add_co_u32 v20, s2, s14, v2
	v_add_co_ci_u32_e64 v21, s2, s15, v3, s2
	v_add_co_u32 v22, s2, s18, v6
	s_delay_alu instid0(VALU_DEP_1) | instskip(SKIP_1) | instid1(SALU_CYCLE_1)
	v_add_co_ci_u32_e64 v23, s2, s19, v7, s2
	s_and_b32 s9, s0, vcc_lo
	s_and_b32 s2, s9, s1
	s_mov_b32 s9, 0
	s_branch .LBB1910_5
.LBB1910_4:                             ;   in Loop: Header=BB1910_5 Depth=1
	s_or_b32 exec_lo, exec_lo, s1
	s_add_i32 s9, s9, 32
	s_waitcnt_vscnt null, 0x0
	s_cmp_lt_i32 s9, s10
	s_barrier
	buffer_gl0_inv
	s_cbranch_scc0 .LBB1910_17
.LBB1910_5:                             ; =>This Inner Loop Header: Depth=1
	v_add_nc_u32_e32 v24, s9, v10
	v_mov_b32_e32 v0, 0
	v_mov_b32_e32 v1, 0
	s_delay_alu instid0(VALU_DEP_3) | instskip(NEXT) | instid1(VALU_DEP_2)
	v_cmp_gt_i32_e64 s1, s10, v24
	v_dual_mov_b32 v5, v1 :: v_dual_mov_b32 v4, v0
	v_dual_mov_b32 v7, v1 :: v_dual_mov_b32 v6, v0
	s_delay_alu instid0(VALU_DEP_3) | instskip(NEXT) | instid1(SALU_CYCLE_1)
	s_and_b32 s11, vcc_lo, s1
	s_and_saveexec_b32 s12, s11
	s_cbranch_execz .LBB1910_7
; %bb.6:                                ;   in Loop: Header=BB1910_5 Depth=1
	v_mad_i64_i32 v[2:3], null, v24, s3, 0
	s_delay_alu instid0(VALU_DEP_1) | instskip(NEXT) | instid1(VALU_DEP_1)
	v_lshlrev_b64 v[2:3], 4, v[2:3]
	v_add_co_u32 v2, s1, v13, v2
	s_delay_alu instid0(VALU_DEP_1)
	v_add_co_ci_u32_e64 v3, s1, v14, v3, s1
	global_load_b128 v[4:7], v[2:3], off
.LBB1910_7:                             ;   in Loop: Header=BB1910_5 Depth=1
	s_or_b32 exec_lo, exec_lo, s12
	v_add_nc_u32_e32 v25, s9, v11
	v_dual_mov_b32 v3, v1 :: v_dual_mov_b32 v2, v0
	s_waitcnt vmcnt(0)
	ds_store_b128 v15, v[4:7]
	v_cmp_gt_i32_e64 s1, s10, v25
	s_delay_alu instid0(VALU_DEP_1) | instskip(NEXT) | instid1(SALU_CYCLE_1)
	s_and_b32 s12, s0, s1
	s_and_saveexec_b32 s13, s12
	s_cbranch_execz .LBB1910_9
; %bb.8:                                ;   in Loop: Header=BB1910_5 Depth=1
	v_mad_i64_i32 v[0:1], null, v25, s8, 0
	s_delay_alu instid0(VALU_DEP_1) | instskip(NEXT) | instid1(VALU_DEP_1)
	v_lshlrev_b64 v[0:1], 4, v[0:1]
	v_add_co_u32 v0, s1, v17, v0
	s_delay_alu instid0(VALU_DEP_1)
	v_add_co_ci_u32_e64 v1, s1, v18, v1, s1
	global_load_b128 v[0:3], v[0:1], off
.LBB1910_9:                             ;   in Loop: Header=BB1910_5 Depth=1
	s_or_b32 exec_lo, exec_lo, s13
	s_waitcnt vmcnt(0)
	ds_store_b128 v19, v[0:3]
	s_waitcnt lgkmcnt(0)
	s_barrier
	buffer_gl0_inv
	s_and_saveexec_b32 s1, s2
	s_cbranch_execz .LBB1910_11
; %bb.10:                               ;   in Loop: Header=BB1910_5 Depth=1
	ds_load_b128 v[0:3], v16
	ds_load_b128 v[4:7], v12
	ds_load_b128 v[26:29], v12 offset:16
	ds_load_b128 v[30:33], v16 offset:512
	s_waitcnt lgkmcnt(2)
	v_mul_f64 v[34:35], v[0:1], v[6:7]
	v_mul_f64 v[6:7], v[2:3], v[6:7]
	s_waitcnt lgkmcnt(0)
	v_mul_f64 v[50:51], v[30:31], v[28:29]
	v_mul_f64 v[28:29], v[32:33], v[28:29]
	s_delay_alu instid0(VALU_DEP_4)
	v_fma_f64 v[2:3], v[2:3], v[4:5], v[34:35]
	ds_load_b128 v[34:37], v16 offset:1024
	ds_load_b128 v[38:41], v12 offset:32
	ds_load_b128 v[42:45], v12 offset:48
	ds_load_b128 v[46:49], v16 offset:1536
	v_fma_f64 v[0:1], v[0:1], v[4:5], -v[6:7]
	v_fma_f64 v[4:5], v[32:33], v[26:27], v[50:51]
	v_fma_f64 v[54:55], v[30:31], v[26:27], -v[28:29]
	s_waitcnt lgkmcnt(2)
	v_mul_f64 v[52:53], v[34:35], v[40:41]
	v_mul_f64 v[40:41], v[36:37], v[40:41]
	s_waitcnt lgkmcnt(0)
	v_mul_f64 v[50:51], v[46:47], v[44:45]
	v_mul_f64 v[44:45], v[48:49], v[44:45]
	v_add_f64 v[2:3], v[2:3], 0
	v_fma_f64 v[36:37], v[36:37], v[38:39], v[52:53]
	v_add_f64 v[52:53], v[0:1], 0
	v_fma_f64 v[34:35], v[34:35], v[38:39], -v[40:41]
	v_fma_f64 v[38:39], v[48:49], v[42:43], v[50:51]
	v_add_f64 v[56:57], v[2:3], v[4:5]
	ds_load_b128 v[0:3], v12 offset:64
	ds_load_b128 v[4:7], v16 offset:2048
	ds_load_b128 v[26:29], v16 offset:2560
	ds_load_b128 v[30:33], v12 offset:80
	s_waitcnt lgkmcnt(2)
	v_mul_f64 v[58:59], v[4:5], v[2:3]
	v_add_f64 v[40:41], v[52:53], v[54:55]
	v_mul_f64 v[2:3], v[6:7], v[2:3]
	s_waitcnt lgkmcnt(0)
	v_mul_f64 v[50:51], v[26:27], v[32:33]
	v_fma_f64 v[52:53], v[46:47], v[42:43], -v[44:45]
	v_mul_f64 v[32:33], v[28:29], v[32:33]
	v_add_f64 v[36:37], v[56:57], v[36:37]
	v_fma_f64 v[6:7], v[6:7], v[0:1], v[58:59]
	v_add_f64 v[54:55], v[40:41], v[34:35]
	v_fma_f64 v[0:1], v[4:5], v[0:1], -v[2:3]
	v_fma_f64 v[2:3], v[28:29], v[30:31], v[50:51]
	v_add_f64 v[56:57], v[36:37], v[38:39]
	ds_load_b128 v[34:37], v12 offset:96
	ds_load_b128 v[38:41], v16 offset:3072
	ds_load_b128 v[42:45], v16 offset:3584
	ds_load_b128 v[46:49], v12 offset:112
	s_waitcnt lgkmcnt(2)
	v_mul_f64 v[58:59], v[38:39], v[36:37]
	v_add_f64 v[4:5], v[54:55], v[52:53]
	v_mul_f64 v[36:37], v[40:41], v[36:37]
	s_waitcnt lgkmcnt(0)
	v_mul_f64 v[50:51], v[42:43], v[48:49]
	v_fma_f64 v[52:53], v[26:27], v[30:31], -v[32:33]
	;; [unrolled: 18-line block ×11, first 2 shown]
	v_mul_f64 v[32:33], v[28:29], v[32:33]
	v_add_f64 v[40:41], v[56:57], v[40:41]
	v_fma_f64 v[6:7], v[6:7], v[0:1], v[58:59]
	v_add_f64 v[54:55], v[38:39], v[34:35]
	v_fma_f64 v[0:1], v[4:5], v[0:1], -v[2:3]
	v_fma_f64 v[2:3], v[28:29], v[30:31], v[50:51]
	v_add_f64 v[56:57], v[40:41], v[36:37]
	ds_load_b128 v[34:37], v12 offset:416
	ds_load_b128 v[38:41], v16 offset:13312
	;; [unrolled: 1-line block ×4, first 2 shown]
	s_waitcnt lgkmcnt(2)
	v_mul_f64 v[58:59], v[38:39], v[36:37]
	v_add_f64 v[4:5], v[54:55], v[52:53]
	v_mul_f64 v[36:37], v[40:41], v[36:37]
	s_waitcnt lgkmcnt(0)
	v_mul_f64 v[54:55], v[42:43], v[48:49]
	v_mul_f64 v[48:49], v[44:45], v[48:49]
	v_add_f64 v[6:7], v[56:57], v[6:7]
	v_fma_f64 v[56:57], v[26:27], v[30:31], -v[32:33]
	v_fma_f64 v[40:41], v[40:41], v[34:35], v[58:59]
	v_add_f64 v[58:59], v[4:5], v[0:1]
	v_fma_f64 v[34:35], v[38:39], v[34:35], -v[36:37]
	v_fma_f64 v[36:37], v[44:45], v[46:47], v[54:55]
	v_add_f64 v[60:61], v[6:7], v[2:3]
	ds_load_b128 v[0:3], v12 offset:448
	ds_load_b128 v[4:7], v16 offset:14336
	global_load_b128 v[26:29], v[8:9], off
	ds_load_b128 v[30:33], v16 offset:14848
	ds_load_b128 v[50:53], v12 offset:464
	v_add_f64 v[38:39], v[58:59], v[56:57]
	s_waitcnt lgkmcnt(2)
	v_mul_f64 v[62:63], v[4:5], v[2:3]
	v_mul_f64 v[2:3], v[6:7], v[2:3]
	s_waitcnt lgkmcnt(0)
	v_mul_f64 v[54:55], v[30:31], v[52:53]
	v_fma_f64 v[56:57], v[42:43], v[46:47], -v[48:49]
	v_mul_f64 v[52:53], v[32:33], v[52:53]
	v_add_f64 v[40:41], v[60:61], v[40:41]
	v_add_f64 v[58:59], v[38:39], v[34:35]
	v_fma_f64 v[6:7], v[6:7], v[0:1], v[62:63]
	v_fma_f64 v[0:1], v[4:5], v[0:1], -v[2:3]
	v_fma_f64 v[2:3], v[32:33], v[50:51], v[54:55]
	v_fma_f64 v[30:31], v[30:31], v[50:51], -v[52:53]
	v_add_f64 v[60:61], v[40:41], v[36:37]
	ds_load_b128 v[34:37], v12 offset:480
	ds_load_b128 v[38:41], v16 offset:15360
	;; [unrolled: 1-line block ×4, first 2 shown]
	s_waitcnt lgkmcnt(2)
	v_mul_f64 v[62:63], v[38:39], v[36:37]
	v_add_f64 v[4:5], v[58:59], v[56:57]
	v_mul_f64 v[32:33], v[40:41], v[36:37]
	s_waitcnt lgkmcnt(0)
	v_mul_f64 v[36:37], v[42:43], v[48:49]
	v_add_f64 v[6:7], v[60:61], v[6:7]
	v_fma_f64 v[40:41], v[40:41], v[34:35], v[62:63]
	v_add_f64 v[0:1], v[4:5], v[0:1]
	v_mul_f64 v[4:5], v[44:45], v[48:49]
	s_delay_alu instid0(VALU_DEP_4)
	v_add_f64 v[2:3], v[6:7], v[2:3]
	v_fma_f64 v[6:7], v[38:39], v[34:35], -v[32:33]
	v_fma_f64 v[32:33], v[44:45], v[46:47], v[36:37]
	v_add_f64 v[0:1], v[0:1], v[30:31]
	v_fma_f64 v[4:5], v[42:43], v[46:47], -v[4:5]
	v_add_f64 v[2:3], v[2:3], v[40:41]
	s_delay_alu instid0(VALU_DEP_3) | instskip(NEXT) | instid1(VALU_DEP_2)
	v_add_f64 v[0:1], v[0:1], v[6:7]
	v_add_f64 v[2:3], v[2:3], v[32:33]
	s_delay_alu instid0(VALU_DEP_2) | instskip(NEXT) | instid1(VALU_DEP_2)
	v_add_f64 v[0:1], v[0:1], v[4:5]
	v_mul_f64 v[4:5], s[6:7], v[2:3]
	v_mul_f64 v[2:3], s[4:5], v[2:3]
	s_delay_alu instid0(VALU_DEP_2) | instskip(NEXT) | instid1(VALU_DEP_2)
	v_fma_f64 v[4:5], s[4:5], v[0:1], -v[4:5]
	v_fma_f64 v[2:3], s[6:7], v[0:1], v[2:3]
	s_waitcnt vmcnt(0)
	s_delay_alu instid0(VALU_DEP_2) | instskip(NEXT) | instid1(VALU_DEP_2)
	v_add_f64 v[0:1], v[26:27], v[4:5]
	v_add_f64 v[2:3], v[28:29], v[2:3]
	global_store_b128 v[8:9], v[0:3], off
.LBB1910_11:                            ;   in Loop: Header=BB1910_5 Depth=1
	s_or_b32 exec_lo, exec_lo, s1
	v_mov_b32_e32 v2, 0
	v_mov_b32_e32 v3, 0
	s_waitcnt_vscnt null, 0x0
	s_barrier
	buffer_gl0_inv
	v_dual_mov_b32 v7, v3 :: v_dual_mov_b32 v6, v2
	v_dual_mov_b32 v5, v3 :: v_dual_mov_b32 v4, v2
	s_and_saveexec_b32 s13, s11
	s_cbranch_execz .LBB1910_13
; %bb.12:                               ;   in Loop: Header=BB1910_5 Depth=1
	v_mad_i64_i32 v[0:1], null, v24, s8, 0
	s_delay_alu instid0(VALU_DEP_1) | instskip(NEXT) | instid1(VALU_DEP_1)
	v_lshlrev_b64 v[0:1], 4, v[0:1]
	v_add_co_u32 v0, s1, v20, v0
	s_delay_alu instid0(VALU_DEP_1)
	v_add_co_ci_u32_e64 v1, s1, v21, v1, s1
	global_load_b128 v[4:7], v[0:1], off
.LBB1910_13:                            ;   in Loop: Header=BB1910_5 Depth=1
	s_or_b32 exec_lo, exec_lo, s13
	v_dual_mov_b32 v0, v2 :: v_dual_mov_b32 v1, v3
	s_waitcnt vmcnt(0)
	ds_store_b128 v15, v[4:7]
	s_and_saveexec_b32 s11, s12
	s_cbranch_execz .LBB1910_15
; %bb.14:                               ;   in Loop: Header=BB1910_5 Depth=1
	v_mad_i64_i32 v[0:1], null, v25, s3, 0
	s_delay_alu instid0(VALU_DEP_1) | instskip(NEXT) | instid1(VALU_DEP_1)
	v_lshlrev_b64 v[0:1], 4, v[0:1]
	v_add_co_u32 v0, s1, v22, v0
	s_delay_alu instid0(VALU_DEP_1)
	v_add_co_ci_u32_e64 v1, s1, v23, v1, s1
	global_load_b128 v[0:3], v[0:1], off
.LBB1910_15:                            ;   in Loop: Header=BB1910_5 Depth=1
	s_or_b32 exec_lo, exec_lo, s11
	s_waitcnt vmcnt(0)
	ds_store_b128 v19, v[0:3]
	s_waitcnt lgkmcnt(0)
	s_barrier
	buffer_gl0_inv
	s_and_saveexec_b32 s1, s2
	s_cbranch_execz .LBB1910_4
; %bb.16:                               ;   in Loop: Header=BB1910_5 Depth=1
	ds_load_b128 v[0:3], v16
	ds_load_b128 v[4:7], v12
	ds_load_b128 v[24:27], v12 offset:16
	ds_load_b128 v[28:31], v16 offset:512
	s_waitcnt lgkmcnt(2)
	v_mul_f64 v[32:33], v[0:1], v[6:7]
	v_mul_f64 v[6:7], v[2:3], v[6:7]
	s_waitcnt lgkmcnt(0)
	v_mul_f64 v[40:41], v[30:31], v[26:27]
	v_mul_f64 v[26:27], v[28:29], v[26:27]
	s_delay_alu instid0(VALU_DEP_4) | instskip(NEXT) | instid1(VALU_DEP_4)
	v_fma_f64 v[42:43], v[2:3], v[4:5], v[32:33]
	v_fma_f64 v[44:45], v[0:1], v[4:5], -v[6:7]
	ds_load_b128 v[0:3], v16 offset:1024
	ds_load_b128 v[4:7], v12 offset:32
	;; [unrolled: 1-line block ×4, first 2 shown]
	v_fma_f64 v[28:29], v[28:29], v[24:25], -v[40:41]
	v_fma_f64 v[24:25], v[30:31], v[24:25], v[26:27]
	s_waitcnt lgkmcnt(2)
	v_mul_f64 v[46:47], v[2:3], v[6:7]
	v_mul_f64 v[6:7], v[0:1], v[6:7]
	s_waitcnt lgkmcnt(0)
	v_mul_f64 v[40:41], v[38:39], v[34:35]
	v_mul_f64 v[34:35], v[36:37], v[34:35]
	v_add_f64 v[26:27], v[42:43], 0
	v_add_f64 v[30:31], v[44:45], 0
	v_fma_f64 v[42:43], v[0:1], v[4:5], -v[46:47]
	v_fma_f64 v[44:45], v[2:3], v[4:5], v[6:7]
	v_fma_f64 v[36:37], v[36:37], v[32:33], -v[40:41]
	v_fma_f64 v[32:33], v[38:39], v[32:33], v[34:35]
	v_add_f64 v[46:47], v[26:27], v[24:25]
	v_add_f64 v[48:49], v[30:31], v[28:29]
	ds_load_b128 v[0:3], v12 offset:64
	ds_load_b128 v[4:7], v16 offset:2048
	ds_load_b128 v[24:27], v16 offset:2560
	ds_load_b128 v[28:31], v12 offset:80
	s_waitcnt lgkmcnt(2)
	v_mul_f64 v[50:51], v[6:7], v[2:3]
	v_mul_f64 v[2:3], v[4:5], v[2:3]
	s_waitcnt lgkmcnt(0)
	v_mul_f64 v[40:41], v[26:27], v[30:31]
	v_add_f64 v[34:35], v[46:47], v[44:45]
	v_add_f64 v[38:39], v[48:49], v[42:43]
	v_mul_f64 v[42:43], v[24:25], v[30:31]
	v_fma_f64 v[44:45], v[4:5], v[0:1], -v[50:51]
	v_fma_f64 v[46:47], v[6:7], v[0:1], v[2:3]
	v_fma_f64 v[24:25], v[24:25], v[28:29], -v[40:41]
	v_add_f64 v[48:49], v[34:35], v[32:33]
	v_add_f64 v[38:39], v[38:39], v[36:37]
	ds_load_b128 v[0:3], v12 offset:96
	ds_load_b128 v[4:7], v16 offset:3072
	ds_load_b128 v[30:33], v16 offset:3584
	ds_load_b128 v[34:37], v12 offset:112
	v_fma_f64 v[26:27], v[26:27], v[28:29], v[42:43]
	s_waitcnt lgkmcnt(2)
	v_mul_f64 v[50:51], v[6:7], v[2:3]
	v_mul_f64 v[2:3], v[4:5], v[2:3]
	s_waitcnt lgkmcnt(0)
	v_mul_f64 v[40:41], v[32:33], v[36:37]
	v_mul_f64 v[42:43], v[30:31], v[36:37]
	v_add_f64 v[28:29], v[48:49], v[46:47]
	v_add_f64 v[38:39], v[38:39], v[44:45]
	v_fma_f64 v[44:45], v[4:5], v[0:1], -v[50:51]
	v_fma_f64 v[46:47], v[6:7], v[0:1], v[2:3]
	v_fma_f64 v[30:31], v[30:31], v[34:35], -v[40:41]
	v_fma_f64 v[32:33], v[32:33], v[34:35], v[42:43]
	v_add_f64 v[28:29], v[28:29], v[26:27]
	v_add_f64 v[48:49], v[38:39], v[24:25]
	ds_load_b128 v[0:3], v12 offset:128
	ds_load_b128 v[4:7], v16 offset:4096
	ds_load_b128 v[24:27], v16 offset:4608
	ds_load_b128 v[36:39], v12 offset:144
	s_waitcnt lgkmcnt(2)
	v_mul_f64 v[50:51], v[6:7], v[2:3]
	v_mul_f64 v[2:3], v[4:5], v[2:3]
	s_waitcnt lgkmcnt(0)
	v_mul_f64 v[40:41], v[26:27], v[38:39]
	v_mul_f64 v[38:39], v[24:25], v[38:39]
	v_add_f64 v[28:29], v[28:29], v[46:47]
	v_add_f64 v[34:35], v[48:49], v[44:45]
	v_fma_f64 v[42:43], v[4:5], v[0:1], -v[50:51]
	v_fma_f64 v[44:45], v[6:7], v[0:1], v[2:3]
	v_fma_f64 v[24:25], v[24:25], v[36:37], -v[40:41]
	v_fma_f64 v[26:27], v[26:27], v[36:37], v[38:39]
	v_add_f64 v[46:47], v[28:29], v[32:33]
	v_add_f64 v[48:49], v[34:35], v[30:31]
	ds_load_b128 v[0:3], v12 offset:160
	ds_load_b128 v[4:7], v16 offset:5120
	ds_load_b128 v[28:31], v16 offset:5632
	ds_load_b128 v[32:35], v12 offset:176
	s_waitcnt lgkmcnt(2)
	v_mul_f64 v[50:51], v[6:7], v[2:3]
	v_mul_f64 v[2:3], v[4:5], v[2:3]
	s_waitcnt lgkmcnt(0)
	v_mul_f64 v[40:41], v[30:31], v[34:35]
	v_add_f64 v[36:37], v[46:47], v[44:45]
	v_add_f64 v[38:39], v[48:49], v[42:43]
	v_mul_f64 v[42:43], v[28:29], v[34:35]
	v_fma_f64 v[44:45], v[4:5], v[0:1], -v[50:51]
	v_fma_f64 v[46:47], v[6:7], v[0:1], v[2:3]
	v_fma_f64 v[28:29], v[28:29], v[32:33], -v[40:41]
	v_add_f64 v[48:49], v[36:37], v[26:27]
	v_add_f64 v[38:39], v[38:39], v[24:25]
	ds_load_b128 v[0:3], v12 offset:192
	ds_load_b128 v[4:7], v16 offset:6144
	ds_load_b128 v[24:27], v16 offset:6656
	ds_load_b128 v[34:37], v12 offset:208
	v_fma_f64 v[30:31], v[30:31], v[32:33], v[42:43]
	s_waitcnt lgkmcnt(2)
	v_mul_f64 v[50:51], v[6:7], v[2:3]
	v_mul_f64 v[2:3], v[4:5], v[2:3]
	s_waitcnt lgkmcnt(0)
	v_mul_f64 v[40:41], v[26:27], v[36:37]
	v_mul_f64 v[42:43], v[24:25], v[36:37]
	v_add_f64 v[32:33], v[48:49], v[46:47]
	v_add_f64 v[38:39], v[38:39], v[44:45]
	v_fma_f64 v[44:45], v[4:5], v[0:1], -v[50:51]
	v_fma_f64 v[46:47], v[6:7], v[0:1], v[2:3]
	v_fma_f64 v[24:25], v[24:25], v[34:35], -v[40:41]
	v_fma_f64 v[26:27], v[26:27], v[34:35], v[42:43]
	v_add_f64 v[32:33], v[32:33], v[30:31]
	v_add_f64 v[48:49], v[38:39], v[28:29]
	ds_load_b128 v[0:3], v12 offset:224
	ds_load_b128 v[4:7], v16 offset:7168
	ds_load_b128 v[28:31], v16 offset:7680
	ds_load_b128 v[36:39], v12 offset:240
	;; [unrolled: 54-line block ×4, first 2 shown]
	s_waitcnt lgkmcnt(2)
	v_mul_f64 v[50:51], v[6:7], v[2:3]
	v_mul_f64 v[2:3], v[4:5], v[2:3]
	s_waitcnt lgkmcnt(0)
	v_mul_f64 v[42:43], v[30:31], v[38:39]
	v_add_f64 v[32:33], v[32:33], v[46:47]
	v_add_f64 v[34:35], v[48:49], v[44:45]
	v_mul_f64 v[44:45], v[28:29], v[38:39]
	v_fma_f64 v[46:47], v[4:5], v[0:1], -v[50:51]
	v_fma_f64 v[48:49], v[6:7], v[0:1], v[2:3]
	ds_load_b128 v[0:3], v12 offset:448
	ds_load_b128 v[4:7], v16 offset:14336
	v_fma_f64 v[28:29], v[28:29], v[36:37], -v[42:43]
	v_add_f64 v[50:51], v[32:33], v[26:27]
	v_add_f64 v[52:53], v[34:35], v[24:25]
	global_load_b128 v[24:27], v[8:9], off
	v_fma_f64 v[30:31], v[30:31], v[36:37], v[44:45]
	s_waitcnt lgkmcnt(0)
	v_mul_f64 v[54:55], v[6:7], v[2:3]
	v_mul_f64 v[2:3], v[4:5], v[2:3]
	ds_load_b128 v[32:35], v16 offset:14848
	ds_load_b128 v[38:41], v12 offset:464
	s_waitcnt lgkmcnt(0)
	v_mul_f64 v[44:45], v[34:35], v[40:41]
	v_add_f64 v[36:37], v[50:51], v[48:49]
	v_add_f64 v[42:43], v[52:53], v[46:47]
	v_mul_f64 v[46:47], v[32:33], v[40:41]
	v_fma_f64 v[48:49], v[4:5], v[0:1], -v[54:55]
	v_fma_f64 v[50:51], v[6:7], v[0:1], v[2:3]
	v_fma_f64 v[32:33], v[32:33], v[38:39], -v[44:45]
	v_add_f64 v[36:37], v[36:37], v[30:31]
	v_add_f64 v[52:53], v[42:43], v[28:29]
	ds_load_b128 v[0:3], v12 offset:480
	ds_load_b128 v[4:7], v16 offset:15360
	;; [unrolled: 1-line block ×4, first 2 shown]
	v_fma_f64 v[34:35], v[34:35], v[38:39], v[46:47]
	s_waitcnt lgkmcnt(2)
	v_mul_f64 v[54:55], v[6:7], v[2:3]
	v_mul_f64 v[2:3], v[4:5], v[2:3]
	s_waitcnt lgkmcnt(0)
	v_mul_f64 v[44:45], v[30:31], v[42:43]
	v_mul_f64 v[42:43], v[28:29], v[42:43]
	v_add_f64 v[36:37], v[36:37], v[50:51]
	v_add_f64 v[38:39], v[52:53], v[48:49]
	v_fma_f64 v[4:5], v[4:5], v[0:1], -v[54:55]
	v_fma_f64 v[0:1], v[6:7], v[0:1], v[2:3]
	v_fma_f64 v[28:29], v[28:29], v[40:41], -v[44:45]
	v_fma_f64 v[30:31], v[30:31], v[40:41], v[42:43]
	v_add_f64 v[2:3], v[36:37], v[34:35]
	v_add_f64 v[6:7], v[38:39], v[32:33]
	s_delay_alu instid0(VALU_DEP_2) | instskip(NEXT) | instid1(VALU_DEP_2)
	v_add_f64 v[0:1], v[2:3], v[0:1]
	v_add_f64 v[2:3], v[6:7], v[4:5]
	s_delay_alu instid0(VALU_DEP_2) | instskip(NEXT) | instid1(VALU_DEP_2)
	v_add_f64 v[0:1], v[0:1], v[30:31]
	v_add_f64 v[2:3], v[2:3], v[28:29]
	s_delay_alu instid0(VALU_DEP_2) | instskip(NEXT) | instid1(VALU_DEP_2)
	v_mul_f64 v[4:5], s[6:7], v[0:1]
	v_mul_f64 v[6:7], s[6:7], v[2:3]
	s_delay_alu instid0(VALU_DEP_2) | instskip(NEXT) | instid1(VALU_DEP_2)
	v_fma_f64 v[2:3], s[4:5], v[2:3], -v[4:5]
	v_fma_f64 v[4:5], s[4:5], v[0:1], v[6:7]
	s_waitcnt vmcnt(0)
	s_delay_alu instid0(VALU_DEP_2) | instskip(NEXT) | instid1(VALU_DEP_2)
	v_add_f64 v[0:1], v[24:25], v[2:3]
	v_add_f64 v[2:3], v[26:27], v[4:5]
	global_store_b128 v[8:9], v[0:3], off
	s_branch .LBB1910_4
.LBB1910_17:
	s_endpgm
	.section	.rodata,"a",@progbits
	.p2align	6, 0x0
	.amdhsa_kernel _ZL26rocblas_syr2k_her2k_kernelIiLb1ELb0ELb0ELi32EPK19rocblas_complex_numIdES3_PS1_EvbiT_T4_T5_S5_lS7_S5_lT6_S5_li
		.amdhsa_group_segment_fixed_size 32768
		.amdhsa_private_segment_fixed_size 0
		.amdhsa_kernarg_size 100
		.amdhsa_user_sgpr_count 13
		.amdhsa_user_sgpr_dispatch_ptr 0
		.amdhsa_user_sgpr_queue_ptr 0
		.amdhsa_user_sgpr_kernarg_segment_ptr 1
		.amdhsa_user_sgpr_dispatch_id 0
		.amdhsa_user_sgpr_private_segment_size 0
		.amdhsa_wavefront_size32 1
		.amdhsa_uses_dynamic_stack 0
		.amdhsa_enable_private_segment 0
		.amdhsa_system_sgpr_workgroup_id_x 1
		.amdhsa_system_sgpr_workgroup_id_y 1
		.amdhsa_system_sgpr_workgroup_id_z 1
		.amdhsa_system_sgpr_workgroup_info 0
		.amdhsa_system_vgpr_workitem_id 1
		.amdhsa_next_free_vgpr 64
		.amdhsa_next_free_sgpr 28
		.amdhsa_reserve_vcc 1
		.amdhsa_float_round_mode_32 0
		.amdhsa_float_round_mode_16_64 0
		.amdhsa_float_denorm_mode_32 3
		.amdhsa_float_denorm_mode_16_64 3
		.amdhsa_dx10_clamp 1
		.amdhsa_ieee_mode 1
		.amdhsa_fp16_overflow 0
		.amdhsa_workgroup_processor_mode 1
		.amdhsa_memory_ordered 1
		.amdhsa_forward_progress 0
		.amdhsa_shared_vgpr_count 0
		.amdhsa_exception_fp_ieee_invalid_op 0
		.amdhsa_exception_fp_denorm_src 0
		.amdhsa_exception_fp_ieee_div_zero 0
		.amdhsa_exception_fp_ieee_overflow 0
		.amdhsa_exception_fp_ieee_underflow 0
		.amdhsa_exception_fp_ieee_inexact 0
		.amdhsa_exception_int_div_zero 0
	.end_amdhsa_kernel
	.section	.text._ZL26rocblas_syr2k_her2k_kernelIiLb1ELb0ELb0ELi32EPK19rocblas_complex_numIdES3_PS1_EvbiT_T4_T5_S5_lS7_S5_lT6_S5_li,"axG",@progbits,_ZL26rocblas_syr2k_her2k_kernelIiLb1ELb0ELb0ELi32EPK19rocblas_complex_numIdES3_PS1_EvbiT_T4_T5_S5_lS7_S5_lT6_S5_li,comdat
.Lfunc_end1910:
	.size	_ZL26rocblas_syr2k_her2k_kernelIiLb1ELb0ELb0ELi32EPK19rocblas_complex_numIdES3_PS1_EvbiT_T4_T5_S5_lS7_S5_lT6_S5_li, .Lfunc_end1910-_ZL26rocblas_syr2k_her2k_kernelIiLb1ELb0ELb0ELi32EPK19rocblas_complex_numIdES3_PS1_EvbiT_T4_T5_S5_lS7_S5_lT6_S5_li
                                        ; -- End function
	.section	.AMDGPU.csdata,"",@progbits
; Kernel info:
; codeLenInByte = 5560
; NumSgprs: 30
; NumVgprs: 64
; ScratchSize: 0
; MemoryBound: 1
; FloatMode: 240
; IeeeMode: 1
; LDSByteSize: 32768 bytes/workgroup (compile time only)
; SGPRBlocks: 3
; VGPRBlocks: 7
; NumSGPRsForWavesPerEU: 30
; NumVGPRsForWavesPerEU: 64
; Occupancy: 16
; WaveLimiterHint : 0
; COMPUTE_PGM_RSRC2:SCRATCH_EN: 0
; COMPUTE_PGM_RSRC2:USER_SGPR: 13
; COMPUTE_PGM_RSRC2:TRAP_HANDLER: 0
; COMPUTE_PGM_RSRC2:TGID_X_EN: 1
; COMPUTE_PGM_RSRC2:TGID_Y_EN: 1
; COMPUTE_PGM_RSRC2:TGID_Z_EN: 1
; COMPUTE_PGM_RSRC2:TIDIG_COMP_CNT: 1
	.section	.text._ZL26rocblas_syr2k_her2k_kernelIiLb1ELb0ELb1ELi32EPK19rocblas_complex_numIdES3_PS1_EvbiT_T4_T5_S5_lS7_S5_lT6_S5_li,"axG",@progbits,_ZL26rocblas_syr2k_her2k_kernelIiLb1ELb0ELb1ELi32EPK19rocblas_complex_numIdES3_PS1_EvbiT_T4_T5_S5_lS7_S5_lT6_S5_li,comdat
	.globl	_ZL26rocblas_syr2k_her2k_kernelIiLb1ELb0ELb1ELi32EPK19rocblas_complex_numIdES3_PS1_EvbiT_T4_T5_S5_lS7_S5_lT6_S5_li ; -- Begin function _ZL26rocblas_syr2k_her2k_kernelIiLb1ELb0ELb1ELi32EPK19rocblas_complex_numIdES3_PS1_EvbiT_T4_T5_S5_lS7_S5_lT6_S5_li
	.p2align	8
	.type	_ZL26rocblas_syr2k_her2k_kernelIiLb1ELb0ELb1ELi32EPK19rocblas_complex_numIdES3_PS1_EvbiT_T4_T5_S5_lS7_S5_lT6_S5_li,@function
_ZL26rocblas_syr2k_her2k_kernelIiLb1ELb0ELb1ELi32EPK19rocblas_complex_numIdES3_PS1_EvbiT_T4_T5_S5_lS7_S5_lT6_S5_li: ; @_ZL26rocblas_syr2k_her2k_kernelIiLb1ELb0ELb1ELi32EPK19rocblas_complex_numIdES3_PS1_EvbiT_T4_T5_S5_lS7_S5_lT6_S5_li
; %bb.0:
	s_load_b128 s[16:19], s[0:1], 0x10
	s_waitcnt lgkmcnt(0)
	s_load_b128 s[4:7], s[16:17], 0x0
	s_waitcnt lgkmcnt(0)
	v_cmp_eq_f64_e64 s2, s[4:5], 0
	v_cmp_eq_f64_e64 s3, s[6:7], 0
	s_delay_alu instid0(VALU_DEP_1) | instskip(NEXT) | instid1(SALU_CYCLE_1)
	s_and_b32 s2, s2, s3
	s_and_b32 vcc_lo, exec_lo, s2
	s_cbranch_vccnz .LBB1911_17
; %bb.1:
	s_load_b128 s[8:11], s[0:1], 0x0
	s_lshl_b32 s2, s14, 5
	s_lshl_b32 s3, s13, 5
	s_waitcnt lgkmcnt(0)
	s_and_b32 s8, 1, s8
	s_delay_alu instid0(SALU_CYCLE_1) | instskip(SKIP_1) | instid1(SALU_CYCLE_1)
	s_cmp_eq_u32 s8, 1
	s_cselect_b32 vcc_lo, -1, 0
	s_and_b32 s8, vcc_lo, exec_lo
	s_cselect_b32 s8, s3, s2
	s_cselect_b32 s11, s2, s3
	s_delay_alu instid0(SALU_CYCLE_1)
	s_cmp_gt_i32 s8, s11
	s_cbranch_scc1 .LBB1911_17
; %bb.2:
	s_cmp_lt_i32 s10, 1
	s_cbranch_scc1 .LBB1911_17
; %bb.3:
	s_clause 0x5
	s_load_b128 s[24:27], s[0:1], 0x28
	s_load_b128 s[20:23], s[0:1], 0x40
	s_load_b32 s8, s[0:1], 0x20
	s_load_b32 s11, s[0:1], 0x38
	;; [unrolled: 1-line block ×3, first 2 shown]
	s_load_b64 s[12:13], s[0:1], 0x58
	v_and_b32_e32 v14, 0x3ff, v0
	v_bfe_u32 v15, v0, 10, 10
	s_delay_alu instid0(VALU_DEP_2) | instskip(NEXT) | instid1(VALU_DEP_2)
	v_add_nc_u32_e32 v0, s3, v14
	v_add_nc_u32_e32 v8, s2, v15
	v_lshlrev_b32_e32 v9, 4, v15
	v_lshlrev_b32_e32 v16, 9, v14
	s_delay_alu instid0(VALU_DEP_4) | instskip(NEXT) | instid1(VALU_DEP_4)
	v_ashrrev_i32_e32 v1, 31, v0
	v_cndmask_b32_e32 v6, v0, v8, vcc_lo
	v_cndmask_b32_e32 v7, v8, v0, vcc_lo
	v_cmp_gt_i32_e32 vcc_lo, s9, v0
	v_add_nc_u32_e32 v19, v16, v9
	v_or_b32_e32 v20, 0x4000, v9
	s_waitcnt lgkmcnt(0)
	s_mul_i32 s1, s15, s25
	s_mul_hi_u32 s3, s15, s24
	s_mul_i32 s0, s15, s24
	s_add_i32 s1, s3, s1
	v_mad_i64_i32 v[2:3], null, s8, v0, 0
	s_lshl_b64 s[0:1], s[0:1], 4
	s_mul_i32 s16, s15, s21
	s_mul_hi_u32 s17, s15, s20
	s_add_u32 s18, s18, s0
	s_mul_i32 s2, s15, s20
	s_addc_u32 s19, s19, s1
	s_add_i32 s3, s17, s16
	s_mul_i32 s13, s15, s13
	s_lshl_b64 s[0:1], s[2:3], 4
	s_mul_hi_u32 s20, s15, s12
	v_lshlrev_b64 v[2:3], 4, v[2:3]
	v_mad_i64_i32 v[4:5], null, s11, v8, 0
	s_mul_i32 s2, s15, s12
	s_add_u32 s12, s26, s0
	s_addc_u32 s15, s27, s1
	s_add_i32 s3, s20, s13
	v_add_nc_u32_e32 v23, v20, v16
	s_lshl_b64 s[0:1], s[2:3], 4
	s_delay_alu instid0(SALU_CYCLE_1) | instskip(SKIP_1) | instid1(VALU_DEP_1)
	s_add_u32 s2, s22, s0
	v_add_co_u32 v17, s0, s18, v2
	v_add_co_ci_u32_e64 v18, s0, s19, v3, s0
	v_lshlrev_b64 v[2:3], 4, v[4:5]
	v_mad_i64_i32 v[4:5], null, s14, v8, 0
	s_addc_u32 s3, s23, s1
	v_cmp_gt_i32_e64 s0, s9, v8
	s_delay_alu instid0(VALU_DEP_3) | instskip(NEXT) | instid1(VALU_DEP_1)
	v_add_co_u32 v21, s1, s12, v2
	v_add_co_ci_u32_e64 v22, s1, s15, v3, s1
	s_delay_alu instid0(VALU_DEP_4)
	v_lshlrev_b64 v[2:3], 4, v[4:5]
	v_mad_i64_i32 v[4:5], null, s11, v0, 0
	v_cmp_le_i32_e64 s1, v7, v6
	v_lshlrev_b64 v[0:1], 4, v[0:1]
	v_mad_i64_i32 v[6:7], null, s8, v8, 0
	v_add_co_u32 v8, s2, s2, v2
	s_delay_alu instid0(VALU_DEP_1) | instskip(SKIP_1) | instid1(VALU_DEP_3)
	v_add_co_ci_u32_e64 v9, s2, s3, v3, s2
	v_lshlrev_b64 v[2:3], 4, v[4:5]
	v_add_co_u32 v8, s2, v8, v0
	s_delay_alu instid0(VALU_DEP_1) | instskip(SKIP_1) | instid1(VALU_DEP_4)
	v_add_co_ci_u32_e64 v9, s2, v9, v1, s2
	v_lshlrev_b64 v[0:1], 4, v[6:7]
	v_add_co_u32 v24, s2, s12, v2
	s_delay_alu instid0(VALU_DEP_1) | instskip(SKIP_1) | instid1(VALU_DEP_3)
	v_add_co_ci_u32_e64 v25, s2, s15, v3, s2
	s_and_b32 s9, s0, vcc_lo
	v_add_co_u32 v26, s2, s18, v0
	s_delay_alu instid0(VALU_DEP_1)
	v_add_co_ci_u32_e64 v27, s2, s19, v1, s2
	s_and_b32 s2, s9, s1
	s_mov_b32 s3, 0
	s_branch .LBB1911_5
.LBB1911_4:                             ;   in Loop: Header=BB1911_5 Depth=1
	s_or_b32 exec_lo, exec_lo, s1
	s_add_i32 s3, s3, 32
	s_waitcnt_vscnt null, 0x0
	s_cmp_lt_i32 s3, s10
	s_barrier
	buffer_gl0_inv
	s_cbranch_scc0 .LBB1911_17
.LBB1911_5:                             ; =>This Inner Loop Header: Depth=1
	v_add_nc_u32_e32 v10, s3, v15
	v_mov_b32_e32 v0, 0
	v_mov_b32_e32 v1, 0
	s_delay_alu instid0(VALU_DEP_3) | instskip(NEXT) | instid1(VALU_DEP_2)
	v_cmp_gt_i32_e64 s1, s10, v10
	v_dual_mov_b32 v5, v1 :: v_dual_mov_b32 v4, v0
	v_dual_mov_b32 v7, v1 :: v_dual_mov_b32 v6, v0
	s_delay_alu instid0(VALU_DEP_3) | instskip(NEXT) | instid1(SALU_CYCLE_1)
	s_and_b32 s8, vcc_lo, s1
	s_and_saveexec_b32 s9, s8
	s_cbranch_execz .LBB1911_7
; %bb.6:                                ;   in Loop: Header=BB1911_5 Depth=1
	v_ashrrev_i32_e32 v11, 31, v10
	s_delay_alu instid0(VALU_DEP_1) | instskip(NEXT) | instid1(VALU_DEP_1)
	v_lshlrev_b64 v[2:3], 4, v[10:11]
	v_add_co_u32 v2, s1, v17, v2
	s_delay_alu instid0(VALU_DEP_1)
	v_add_co_ci_u32_e64 v3, s1, v18, v3, s1
	global_load_b128 v[4:7], v[2:3], off
.LBB1911_7:                             ;   in Loop: Header=BB1911_5 Depth=1
	s_or_b32 exec_lo, exec_lo, s9
	v_dual_mov_b32 v3, v1 :: v_dual_add_nc_u32 v12, s3, v14
	v_mov_b32_e32 v2, v0
	s_waitcnt vmcnt(0)
	ds_store_b128 v19, v[4:7]
	v_cmp_gt_i32_e64 s1, s10, v12
	s_delay_alu instid0(VALU_DEP_1) | instskip(NEXT) | instid1(SALU_CYCLE_1)
	s_and_b32 s9, s0, s1
	s_and_saveexec_b32 s11, s9
	s_cbranch_execz .LBB1911_9
; %bb.8:                                ;   in Loop: Header=BB1911_5 Depth=1
	v_ashrrev_i32_e32 v13, 31, v12
	s_delay_alu instid0(VALU_DEP_1) | instskip(NEXT) | instid1(VALU_DEP_1)
	v_lshlrev_b64 v[0:1], 4, v[12:13]
	v_add_co_u32 v0, s1, v21, v0
	s_delay_alu instid0(VALU_DEP_1)
	v_add_co_ci_u32_e64 v1, s1, v22, v1, s1
	global_load_b128 v[0:3], v[0:1], off
.LBB1911_9:                             ;   in Loop: Header=BB1911_5 Depth=1
	s_or_b32 exec_lo, exec_lo, s11
	s_waitcnt vmcnt(0)
	ds_store_b128 v23, v[0:3]
	s_waitcnt lgkmcnt(0)
	s_barrier
	buffer_gl0_inv
	s_and_saveexec_b32 s1, s2
	s_cbranch_execz .LBB1911_11
; %bb.10:                               ;   in Loop: Header=BB1911_5 Depth=1
	ds_load_b128 v[0:3], v20
	ds_load_b128 v[4:7], v16
	ds_load_b128 v[28:31], v16 offset:16
	ds_load_b128 v[32:35], v20 offset:512
	s_waitcnt lgkmcnt(2)
	v_mul_f64 v[36:37], v[0:1], v[6:7]
	v_mul_f64 v[6:7], v[2:3], v[6:7]
	s_waitcnt lgkmcnt(0)
	v_mul_f64 v[52:53], v[32:33], v[30:31]
	v_mul_f64 v[30:31], v[34:35], v[30:31]
	s_delay_alu instid0(VALU_DEP_4)
	v_fma_f64 v[2:3], v[2:3], v[4:5], v[36:37]
	ds_load_b128 v[36:39], v20 offset:1024
	ds_load_b128 v[40:43], v16 offset:32
	;; [unrolled: 1-line block ×4, first 2 shown]
	v_fma_f64 v[0:1], v[0:1], v[4:5], -v[6:7]
	v_fma_f64 v[4:5], v[34:35], v[28:29], v[52:53]
	v_fma_f64 v[56:57], v[32:33], v[28:29], -v[30:31]
	s_waitcnt lgkmcnt(2)
	v_mul_f64 v[54:55], v[36:37], v[42:43]
	v_mul_f64 v[42:43], v[38:39], v[42:43]
	s_waitcnt lgkmcnt(0)
	v_mul_f64 v[52:53], v[48:49], v[46:47]
	v_mul_f64 v[46:47], v[50:51], v[46:47]
	v_add_f64 v[2:3], v[2:3], 0
	v_fma_f64 v[38:39], v[38:39], v[40:41], v[54:55]
	v_add_f64 v[54:55], v[0:1], 0
	v_fma_f64 v[36:37], v[36:37], v[40:41], -v[42:43]
	v_fma_f64 v[40:41], v[50:51], v[44:45], v[52:53]
	v_add_f64 v[58:59], v[2:3], v[4:5]
	ds_load_b128 v[0:3], v16 offset:64
	ds_load_b128 v[4:7], v20 offset:2048
	ds_load_b128 v[28:31], v20 offset:2560
	ds_load_b128 v[32:35], v16 offset:80
	s_waitcnt lgkmcnt(2)
	v_mul_f64 v[60:61], v[4:5], v[2:3]
	v_add_f64 v[42:43], v[54:55], v[56:57]
	v_mul_f64 v[2:3], v[6:7], v[2:3]
	s_waitcnt lgkmcnt(0)
	v_mul_f64 v[52:53], v[28:29], v[34:35]
	v_fma_f64 v[54:55], v[48:49], v[44:45], -v[46:47]
	v_mul_f64 v[34:35], v[30:31], v[34:35]
	v_add_f64 v[38:39], v[58:59], v[38:39]
	v_fma_f64 v[6:7], v[6:7], v[0:1], v[60:61]
	v_add_f64 v[56:57], v[42:43], v[36:37]
	v_fma_f64 v[0:1], v[4:5], v[0:1], -v[2:3]
	v_fma_f64 v[2:3], v[30:31], v[32:33], v[52:53]
	v_add_f64 v[58:59], v[38:39], v[40:41]
	ds_load_b128 v[36:39], v16 offset:96
	ds_load_b128 v[40:43], v20 offset:3072
	ds_load_b128 v[44:47], v20 offset:3584
	ds_load_b128 v[48:51], v16 offset:112
	s_waitcnt lgkmcnt(2)
	v_mul_f64 v[60:61], v[40:41], v[38:39]
	v_add_f64 v[4:5], v[56:57], v[54:55]
	v_mul_f64 v[38:39], v[42:43], v[38:39]
	s_waitcnt lgkmcnt(0)
	v_mul_f64 v[52:53], v[44:45], v[50:51]
	v_fma_f64 v[54:55], v[28:29], v[32:33], -v[34:35]
	v_mul_f64 v[50:51], v[46:47], v[50:51]
	v_add_f64 v[6:7], v[58:59], v[6:7]
	v_fma_f64 v[42:43], v[42:43], v[36:37], v[60:61]
	v_add_f64 v[56:57], v[4:5], v[0:1]
	v_fma_f64 v[36:37], v[40:41], v[36:37], -v[38:39]
	v_fma_f64 v[38:39], v[46:47], v[48:49], v[52:53]
	v_add_f64 v[58:59], v[6:7], v[2:3]
	ds_load_b128 v[0:3], v16 offset:128
	ds_load_b128 v[4:7], v20 offset:4096
	ds_load_b128 v[28:31], v20 offset:4608
	ds_load_b128 v[32:35], v16 offset:144
	s_waitcnt lgkmcnt(2)
	v_mul_f64 v[60:61], v[4:5], v[2:3]
	v_add_f64 v[40:41], v[56:57], v[54:55]
	v_mul_f64 v[2:3], v[6:7], v[2:3]
	s_waitcnt lgkmcnt(0)
	v_mul_f64 v[52:53], v[28:29], v[34:35]
	v_fma_f64 v[54:55], v[44:45], v[48:49], -v[50:51]
	v_mul_f64 v[34:35], v[30:31], v[34:35]
	v_add_f64 v[42:43], v[58:59], v[42:43]
	v_fma_f64 v[6:7], v[6:7], v[0:1], v[60:61]
	v_add_f64 v[56:57], v[40:41], v[36:37]
	v_fma_f64 v[0:1], v[4:5], v[0:1], -v[2:3]
	v_fma_f64 v[2:3], v[30:31], v[32:33], v[52:53]
	v_add_f64 v[58:59], v[42:43], v[38:39]
	ds_load_b128 v[36:39], v16 offset:160
	ds_load_b128 v[40:43], v20 offset:5120
	ds_load_b128 v[44:47], v20 offset:5632
	ds_load_b128 v[48:51], v16 offset:176
	s_waitcnt lgkmcnt(2)
	v_mul_f64 v[60:61], v[40:41], v[38:39]
	v_add_f64 v[4:5], v[56:57], v[54:55]
	v_mul_f64 v[38:39], v[42:43], v[38:39]
	s_waitcnt lgkmcnt(0)
	v_mul_f64 v[52:53], v[44:45], v[50:51]
	v_fma_f64 v[54:55], v[28:29], v[32:33], -v[34:35]
	v_mul_f64 v[50:51], v[46:47], v[50:51]
	v_add_f64 v[6:7], v[58:59], v[6:7]
	v_fma_f64 v[42:43], v[42:43], v[36:37], v[60:61]
	v_add_f64 v[56:57], v[4:5], v[0:1]
	v_fma_f64 v[36:37], v[40:41], v[36:37], -v[38:39]
	v_fma_f64 v[38:39], v[46:47], v[48:49], v[52:53]
	v_add_f64 v[58:59], v[6:7], v[2:3]
	ds_load_b128 v[0:3], v16 offset:192
	ds_load_b128 v[4:7], v20 offset:6144
	ds_load_b128 v[28:31], v20 offset:6656
	ds_load_b128 v[32:35], v16 offset:208
	s_waitcnt lgkmcnt(2)
	v_mul_f64 v[60:61], v[4:5], v[2:3]
	v_add_f64 v[40:41], v[56:57], v[54:55]
	v_mul_f64 v[2:3], v[6:7], v[2:3]
	s_waitcnt lgkmcnt(0)
	v_mul_f64 v[52:53], v[28:29], v[34:35]
	v_fma_f64 v[54:55], v[44:45], v[48:49], -v[50:51]
	v_mul_f64 v[34:35], v[30:31], v[34:35]
	v_add_f64 v[42:43], v[58:59], v[42:43]
	v_fma_f64 v[6:7], v[6:7], v[0:1], v[60:61]
	v_add_f64 v[56:57], v[40:41], v[36:37]
	v_fma_f64 v[0:1], v[4:5], v[0:1], -v[2:3]
	v_fma_f64 v[2:3], v[30:31], v[32:33], v[52:53]
	v_add_f64 v[58:59], v[42:43], v[38:39]
	ds_load_b128 v[36:39], v16 offset:224
	ds_load_b128 v[40:43], v20 offset:7168
	ds_load_b128 v[44:47], v20 offset:7680
	ds_load_b128 v[48:51], v16 offset:240
	s_waitcnt lgkmcnt(2)
	v_mul_f64 v[60:61], v[40:41], v[38:39]
	v_add_f64 v[4:5], v[56:57], v[54:55]
	v_mul_f64 v[38:39], v[42:43], v[38:39]
	s_waitcnt lgkmcnt(0)
	v_mul_f64 v[52:53], v[44:45], v[50:51]
	v_fma_f64 v[54:55], v[28:29], v[32:33], -v[34:35]
	v_mul_f64 v[50:51], v[46:47], v[50:51]
	v_add_f64 v[6:7], v[58:59], v[6:7]
	v_fma_f64 v[42:43], v[42:43], v[36:37], v[60:61]
	v_add_f64 v[56:57], v[4:5], v[0:1]
	v_fma_f64 v[36:37], v[40:41], v[36:37], -v[38:39]
	v_fma_f64 v[38:39], v[46:47], v[48:49], v[52:53]
	v_add_f64 v[58:59], v[6:7], v[2:3]
	ds_load_b128 v[0:3], v16 offset:256
	ds_load_b128 v[4:7], v20 offset:8192
	ds_load_b128 v[28:31], v20 offset:8704
	ds_load_b128 v[32:35], v16 offset:272
	s_waitcnt lgkmcnt(2)
	v_mul_f64 v[60:61], v[4:5], v[2:3]
	v_add_f64 v[40:41], v[56:57], v[54:55]
	v_mul_f64 v[2:3], v[6:7], v[2:3]
	s_waitcnt lgkmcnt(0)
	v_mul_f64 v[52:53], v[28:29], v[34:35]
	v_fma_f64 v[54:55], v[44:45], v[48:49], -v[50:51]
	v_mul_f64 v[34:35], v[30:31], v[34:35]
	v_add_f64 v[42:43], v[58:59], v[42:43]
	v_fma_f64 v[6:7], v[6:7], v[0:1], v[60:61]
	v_add_f64 v[56:57], v[40:41], v[36:37]
	v_fma_f64 v[0:1], v[4:5], v[0:1], -v[2:3]
	v_fma_f64 v[2:3], v[30:31], v[32:33], v[52:53]
	v_add_f64 v[58:59], v[42:43], v[38:39]
	ds_load_b128 v[36:39], v16 offset:288
	ds_load_b128 v[40:43], v20 offset:9216
	ds_load_b128 v[44:47], v20 offset:9728
	ds_load_b128 v[48:51], v16 offset:304
	s_waitcnt lgkmcnt(2)
	v_mul_f64 v[60:61], v[40:41], v[38:39]
	v_add_f64 v[4:5], v[56:57], v[54:55]
	v_mul_f64 v[38:39], v[42:43], v[38:39]
	s_waitcnt lgkmcnt(0)
	v_mul_f64 v[52:53], v[44:45], v[50:51]
	v_fma_f64 v[54:55], v[28:29], v[32:33], -v[34:35]
	v_mul_f64 v[50:51], v[46:47], v[50:51]
	v_add_f64 v[6:7], v[58:59], v[6:7]
	v_fma_f64 v[42:43], v[42:43], v[36:37], v[60:61]
	v_add_f64 v[56:57], v[4:5], v[0:1]
	v_fma_f64 v[36:37], v[40:41], v[36:37], -v[38:39]
	v_fma_f64 v[38:39], v[46:47], v[48:49], v[52:53]
	v_add_f64 v[58:59], v[6:7], v[2:3]
	ds_load_b128 v[0:3], v16 offset:320
	ds_load_b128 v[4:7], v20 offset:10240
	ds_load_b128 v[28:31], v20 offset:10752
	ds_load_b128 v[32:35], v16 offset:336
	s_waitcnt lgkmcnt(2)
	v_mul_f64 v[60:61], v[4:5], v[2:3]
	v_add_f64 v[40:41], v[56:57], v[54:55]
	v_mul_f64 v[2:3], v[6:7], v[2:3]
	s_waitcnt lgkmcnt(0)
	v_mul_f64 v[52:53], v[28:29], v[34:35]
	v_fma_f64 v[54:55], v[44:45], v[48:49], -v[50:51]
	v_mul_f64 v[34:35], v[30:31], v[34:35]
	v_add_f64 v[42:43], v[58:59], v[42:43]
	v_fma_f64 v[6:7], v[6:7], v[0:1], v[60:61]
	v_add_f64 v[56:57], v[40:41], v[36:37]
	v_fma_f64 v[0:1], v[4:5], v[0:1], -v[2:3]
	v_fma_f64 v[2:3], v[30:31], v[32:33], v[52:53]
	v_add_f64 v[58:59], v[42:43], v[38:39]
	ds_load_b128 v[36:39], v16 offset:352
	ds_load_b128 v[40:43], v20 offset:11264
	ds_load_b128 v[44:47], v20 offset:11776
	ds_load_b128 v[48:51], v16 offset:368
	s_waitcnt lgkmcnt(2)
	v_mul_f64 v[60:61], v[40:41], v[38:39]
	v_add_f64 v[4:5], v[56:57], v[54:55]
	v_mul_f64 v[38:39], v[42:43], v[38:39]
	s_waitcnt lgkmcnt(0)
	v_mul_f64 v[52:53], v[44:45], v[50:51]
	v_fma_f64 v[54:55], v[28:29], v[32:33], -v[34:35]
	v_mul_f64 v[50:51], v[46:47], v[50:51]
	v_add_f64 v[6:7], v[58:59], v[6:7]
	v_fma_f64 v[42:43], v[42:43], v[36:37], v[60:61]
	v_add_f64 v[56:57], v[4:5], v[0:1]
	v_fma_f64 v[36:37], v[40:41], v[36:37], -v[38:39]
	v_fma_f64 v[38:39], v[46:47], v[48:49], v[52:53]
	v_add_f64 v[58:59], v[6:7], v[2:3]
	ds_load_b128 v[0:3], v16 offset:384
	ds_load_b128 v[4:7], v20 offset:12288
	ds_load_b128 v[28:31], v20 offset:12800
	ds_load_b128 v[32:35], v16 offset:400
	s_waitcnt lgkmcnt(2)
	v_mul_f64 v[60:61], v[4:5], v[2:3]
	v_add_f64 v[40:41], v[56:57], v[54:55]
	v_mul_f64 v[2:3], v[6:7], v[2:3]
	s_waitcnt lgkmcnt(0)
	v_mul_f64 v[52:53], v[28:29], v[34:35]
	v_fma_f64 v[54:55], v[44:45], v[48:49], -v[50:51]
	v_mul_f64 v[34:35], v[30:31], v[34:35]
	v_add_f64 v[42:43], v[58:59], v[42:43]
	v_fma_f64 v[6:7], v[6:7], v[0:1], v[60:61]
	v_add_f64 v[56:57], v[40:41], v[36:37]
	v_fma_f64 v[0:1], v[4:5], v[0:1], -v[2:3]
	v_fma_f64 v[2:3], v[30:31], v[32:33], v[52:53]
	v_add_f64 v[58:59], v[42:43], v[38:39]
	ds_load_b128 v[36:39], v16 offset:416
	ds_load_b128 v[40:43], v20 offset:13312
	;; [unrolled: 1-line block ×4, first 2 shown]
	s_waitcnt lgkmcnt(2)
	v_mul_f64 v[60:61], v[40:41], v[38:39]
	v_add_f64 v[4:5], v[56:57], v[54:55]
	v_mul_f64 v[38:39], v[42:43], v[38:39]
	s_waitcnt lgkmcnt(0)
	v_mul_f64 v[56:57], v[44:45], v[50:51]
	v_mul_f64 v[50:51], v[46:47], v[50:51]
	v_add_f64 v[6:7], v[58:59], v[6:7]
	v_fma_f64 v[58:59], v[28:29], v[32:33], -v[34:35]
	v_fma_f64 v[42:43], v[42:43], v[36:37], v[60:61]
	v_add_f64 v[60:61], v[4:5], v[0:1]
	v_fma_f64 v[36:37], v[40:41], v[36:37], -v[38:39]
	v_fma_f64 v[38:39], v[46:47], v[48:49], v[56:57]
	v_add_f64 v[62:63], v[6:7], v[2:3]
	ds_load_b128 v[0:3], v16 offset:448
	ds_load_b128 v[4:7], v20 offset:14336
	global_load_b128 v[28:31], v[8:9], off
	ds_load_b128 v[32:35], v20 offset:14848
	ds_load_b128 v[52:55], v16 offset:464
	v_add_f64 v[40:41], v[60:61], v[58:59]
	s_waitcnt lgkmcnt(2)
	v_mul_f64 v[64:65], v[4:5], v[2:3]
	v_mul_f64 v[2:3], v[6:7], v[2:3]
	s_waitcnt lgkmcnt(0)
	v_mul_f64 v[56:57], v[32:33], v[54:55]
	v_fma_f64 v[58:59], v[44:45], v[48:49], -v[50:51]
	v_mul_f64 v[54:55], v[34:35], v[54:55]
	v_add_f64 v[42:43], v[62:63], v[42:43]
	v_add_f64 v[60:61], v[40:41], v[36:37]
	v_fma_f64 v[6:7], v[6:7], v[0:1], v[64:65]
	v_fma_f64 v[0:1], v[4:5], v[0:1], -v[2:3]
	v_fma_f64 v[2:3], v[34:35], v[52:53], v[56:57]
	v_fma_f64 v[32:33], v[32:33], v[52:53], -v[54:55]
	v_add_f64 v[62:63], v[42:43], v[38:39]
	ds_load_b128 v[36:39], v16 offset:480
	ds_load_b128 v[40:43], v20 offset:15360
	;; [unrolled: 1-line block ×4, first 2 shown]
	s_waitcnt lgkmcnt(2)
	v_mul_f64 v[64:65], v[40:41], v[38:39]
	v_add_f64 v[4:5], v[60:61], v[58:59]
	v_mul_f64 v[34:35], v[42:43], v[38:39]
	s_waitcnt lgkmcnt(0)
	v_mul_f64 v[38:39], v[44:45], v[50:51]
	v_add_f64 v[6:7], v[62:63], v[6:7]
	v_fma_f64 v[42:43], v[42:43], v[36:37], v[64:65]
	v_add_f64 v[0:1], v[4:5], v[0:1]
	v_mul_f64 v[4:5], v[46:47], v[50:51]
	s_delay_alu instid0(VALU_DEP_4)
	v_add_f64 v[2:3], v[6:7], v[2:3]
	v_fma_f64 v[6:7], v[40:41], v[36:37], -v[34:35]
	v_fma_f64 v[34:35], v[46:47], v[48:49], v[38:39]
	v_add_f64 v[0:1], v[0:1], v[32:33]
	v_fma_f64 v[4:5], v[44:45], v[48:49], -v[4:5]
	v_add_f64 v[2:3], v[2:3], v[42:43]
	s_delay_alu instid0(VALU_DEP_3) | instskip(NEXT) | instid1(VALU_DEP_2)
	v_add_f64 v[0:1], v[0:1], v[6:7]
	v_add_f64 v[2:3], v[2:3], v[34:35]
	s_delay_alu instid0(VALU_DEP_2) | instskip(NEXT) | instid1(VALU_DEP_2)
	v_add_f64 v[0:1], v[0:1], v[4:5]
	v_mul_f64 v[4:5], s[6:7], v[2:3]
	v_mul_f64 v[2:3], s[4:5], v[2:3]
	s_delay_alu instid0(VALU_DEP_2) | instskip(NEXT) | instid1(VALU_DEP_2)
	v_fma_f64 v[4:5], s[4:5], v[0:1], -v[4:5]
	v_fma_f64 v[2:3], s[6:7], v[0:1], v[2:3]
	s_waitcnt vmcnt(0)
	s_delay_alu instid0(VALU_DEP_2) | instskip(NEXT) | instid1(VALU_DEP_2)
	v_add_f64 v[0:1], v[28:29], v[4:5]
	v_add_f64 v[2:3], v[30:31], v[2:3]
	global_store_b128 v[8:9], v[0:3], off
.LBB1911_11:                            ;   in Loop: Header=BB1911_5 Depth=1
	s_or_b32 exec_lo, exec_lo, s1
	v_mov_b32_e32 v2, 0
	v_mov_b32_e32 v3, 0
	s_waitcnt_vscnt null, 0x0
	s_barrier
	buffer_gl0_inv
	v_dual_mov_b32 v7, v3 :: v_dual_mov_b32 v6, v2
	v_dual_mov_b32 v5, v3 :: v_dual_mov_b32 v4, v2
	s_and_saveexec_b32 s11, s8
	s_cbranch_execz .LBB1911_13
; %bb.12:                               ;   in Loop: Header=BB1911_5 Depth=1
	v_ashrrev_i32_e32 v11, 31, v10
	s_delay_alu instid0(VALU_DEP_1) | instskip(NEXT) | instid1(VALU_DEP_1)
	v_lshlrev_b64 v[0:1], 4, v[10:11]
	v_add_co_u32 v0, s1, v24, v0
	s_delay_alu instid0(VALU_DEP_1)
	v_add_co_ci_u32_e64 v1, s1, v25, v1, s1
	global_load_b128 v[4:7], v[0:1], off
.LBB1911_13:                            ;   in Loop: Header=BB1911_5 Depth=1
	s_or_b32 exec_lo, exec_lo, s11
	v_dual_mov_b32 v0, v2 :: v_dual_mov_b32 v1, v3
	s_waitcnt vmcnt(0)
	ds_store_b128 v19, v[4:7]
	s_and_saveexec_b32 s8, s9
	s_cbranch_execz .LBB1911_15
; %bb.14:                               ;   in Loop: Header=BB1911_5 Depth=1
	v_ashrrev_i32_e32 v13, 31, v12
	s_delay_alu instid0(VALU_DEP_1) | instskip(NEXT) | instid1(VALU_DEP_1)
	v_lshlrev_b64 v[0:1], 4, v[12:13]
	v_add_co_u32 v0, s1, v26, v0
	s_delay_alu instid0(VALU_DEP_1)
	v_add_co_ci_u32_e64 v1, s1, v27, v1, s1
	global_load_b128 v[0:3], v[0:1], off
.LBB1911_15:                            ;   in Loop: Header=BB1911_5 Depth=1
	s_or_b32 exec_lo, exec_lo, s8
	s_waitcnt vmcnt(0)
	ds_store_b128 v23, v[0:3]
	s_waitcnt lgkmcnt(0)
	s_barrier
	buffer_gl0_inv
	s_and_saveexec_b32 s1, s2
	s_cbranch_execz .LBB1911_4
; %bb.16:                               ;   in Loop: Header=BB1911_5 Depth=1
	ds_load_b128 v[0:3], v20
	ds_load_b128 v[4:7], v16
	ds_load_b128 v[10:13], v16 offset:16
	ds_load_b128 v[28:31], v20 offset:512
	s_waitcnt lgkmcnt(2)
	v_mul_f64 v[32:33], v[0:1], v[6:7]
	v_mul_f64 v[6:7], v[2:3], v[6:7]
	s_waitcnt lgkmcnt(0)
	v_mul_f64 v[40:41], v[30:31], v[12:13]
	v_mul_f64 v[12:13], v[28:29], v[12:13]
	s_delay_alu instid0(VALU_DEP_4) | instskip(NEXT) | instid1(VALU_DEP_4)
	v_fma_f64 v[42:43], v[2:3], v[4:5], v[32:33]
	v_fma_f64 v[44:45], v[0:1], v[4:5], -v[6:7]
	ds_load_b128 v[0:3], v20 offset:1024
	ds_load_b128 v[4:7], v16 offset:32
	;; [unrolled: 1-line block ×4, first 2 shown]
	v_fma_f64 v[28:29], v[28:29], v[10:11], -v[40:41]
	v_fma_f64 v[10:11], v[30:31], v[10:11], v[12:13]
	s_waitcnt lgkmcnt(2)
	v_mul_f64 v[46:47], v[2:3], v[6:7]
	v_mul_f64 v[6:7], v[0:1], v[6:7]
	s_waitcnt lgkmcnt(0)
	v_mul_f64 v[40:41], v[38:39], v[34:35]
	v_mul_f64 v[34:35], v[36:37], v[34:35]
	v_add_f64 v[12:13], v[42:43], 0
	v_add_f64 v[30:31], v[44:45], 0
	v_fma_f64 v[42:43], v[0:1], v[4:5], -v[46:47]
	v_fma_f64 v[44:45], v[2:3], v[4:5], v[6:7]
	v_fma_f64 v[36:37], v[36:37], v[32:33], -v[40:41]
	v_fma_f64 v[32:33], v[38:39], v[32:33], v[34:35]
	v_add_f64 v[46:47], v[12:13], v[10:11]
	v_add_f64 v[48:49], v[30:31], v[28:29]
	ds_load_b128 v[0:3], v16 offset:64
	ds_load_b128 v[4:7], v20 offset:2048
	ds_load_b128 v[10:13], v20 offset:2560
	ds_load_b128 v[28:31], v16 offset:80
	s_waitcnt lgkmcnt(2)
	v_mul_f64 v[50:51], v[6:7], v[2:3]
	v_mul_f64 v[2:3], v[4:5], v[2:3]
	s_waitcnt lgkmcnt(0)
	v_mul_f64 v[40:41], v[12:13], v[30:31]
	v_add_f64 v[34:35], v[46:47], v[44:45]
	v_add_f64 v[38:39], v[48:49], v[42:43]
	v_mul_f64 v[42:43], v[10:11], v[30:31]
	v_fma_f64 v[44:45], v[4:5], v[0:1], -v[50:51]
	v_fma_f64 v[46:47], v[6:7], v[0:1], v[2:3]
	v_fma_f64 v[10:11], v[10:11], v[28:29], -v[40:41]
	v_add_f64 v[48:49], v[34:35], v[32:33]
	v_add_f64 v[38:39], v[38:39], v[36:37]
	ds_load_b128 v[0:3], v16 offset:96
	ds_load_b128 v[4:7], v20 offset:3072
	ds_load_b128 v[30:33], v20 offset:3584
	ds_load_b128 v[34:37], v16 offset:112
	v_fma_f64 v[12:13], v[12:13], v[28:29], v[42:43]
	s_waitcnt lgkmcnt(2)
	v_mul_f64 v[50:51], v[6:7], v[2:3]
	v_mul_f64 v[2:3], v[4:5], v[2:3]
	s_waitcnt lgkmcnt(0)
	v_mul_f64 v[40:41], v[32:33], v[36:37]
	v_mul_f64 v[42:43], v[30:31], v[36:37]
	v_add_f64 v[28:29], v[48:49], v[46:47]
	v_add_f64 v[38:39], v[38:39], v[44:45]
	v_fma_f64 v[44:45], v[4:5], v[0:1], -v[50:51]
	v_fma_f64 v[46:47], v[6:7], v[0:1], v[2:3]
	v_fma_f64 v[30:31], v[30:31], v[34:35], -v[40:41]
	v_fma_f64 v[32:33], v[32:33], v[34:35], v[42:43]
	v_add_f64 v[28:29], v[28:29], v[12:13]
	v_add_f64 v[48:49], v[38:39], v[10:11]
	ds_load_b128 v[0:3], v16 offset:128
	ds_load_b128 v[4:7], v20 offset:4096
	ds_load_b128 v[10:13], v20 offset:4608
	ds_load_b128 v[36:39], v16 offset:144
	s_waitcnt lgkmcnt(2)
	v_mul_f64 v[50:51], v[6:7], v[2:3]
	v_mul_f64 v[2:3], v[4:5], v[2:3]
	s_waitcnt lgkmcnt(0)
	v_mul_f64 v[40:41], v[12:13], v[38:39]
	v_mul_f64 v[38:39], v[10:11], v[38:39]
	v_add_f64 v[28:29], v[28:29], v[46:47]
	v_add_f64 v[34:35], v[48:49], v[44:45]
	v_fma_f64 v[42:43], v[4:5], v[0:1], -v[50:51]
	v_fma_f64 v[44:45], v[6:7], v[0:1], v[2:3]
	v_fma_f64 v[10:11], v[10:11], v[36:37], -v[40:41]
	v_fma_f64 v[12:13], v[12:13], v[36:37], v[38:39]
	v_add_f64 v[46:47], v[28:29], v[32:33]
	v_add_f64 v[48:49], v[34:35], v[30:31]
	ds_load_b128 v[0:3], v16 offset:160
	ds_load_b128 v[4:7], v20 offset:5120
	ds_load_b128 v[28:31], v20 offset:5632
	ds_load_b128 v[32:35], v16 offset:176
	s_waitcnt lgkmcnt(2)
	v_mul_f64 v[50:51], v[6:7], v[2:3]
	v_mul_f64 v[2:3], v[4:5], v[2:3]
	s_waitcnt lgkmcnt(0)
	v_mul_f64 v[40:41], v[30:31], v[34:35]
	v_add_f64 v[36:37], v[46:47], v[44:45]
	v_add_f64 v[38:39], v[48:49], v[42:43]
	v_mul_f64 v[42:43], v[28:29], v[34:35]
	v_fma_f64 v[44:45], v[4:5], v[0:1], -v[50:51]
	v_fma_f64 v[46:47], v[6:7], v[0:1], v[2:3]
	v_fma_f64 v[28:29], v[28:29], v[32:33], -v[40:41]
	v_add_f64 v[48:49], v[36:37], v[12:13]
	v_add_f64 v[38:39], v[38:39], v[10:11]
	ds_load_b128 v[0:3], v16 offset:192
	ds_load_b128 v[4:7], v20 offset:6144
	ds_load_b128 v[10:13], v20 offset:6656
	ds_load_b128 v[34:37], v16 offset:208
	v_fma_f64 v[30:31], v[30:31], v[32:33], v[42:43]
	s_waitcnt lgkmcnt(2)
	v_mul_f64 v[50:51], v[6:7], v[2:3]
	v_mul_f64 v[2:3], v[4:5], v[2:3]
	s_waitcnt lgkmcnt(0)
	v_mul_f64 v[40:41], v[12:13], v[36:37]
	v_mul_f64 v[42:43], v[10:11], v[36:37]
	v_add_f64 v[32:33], v[48:49], v[46:47]
	v_add_f64 v[38:39], v[38:39], v[44:45]
	v_fma_f64 v[44:45], v[4:5], v[0:1], -v[50:51]
	v_fma_f64 v[46:47], v[6:7], v[0:1], v[2:3]
	v_fma_f64 v[10:11], v[10:11], v[34:35], -v[40:41]
	v_fma_f64 v[12:13], v[12:13], v[34:35], v[42:43]
	v_add_f64 v[32:33], v[32:33], v[30:31]
	v_add_f64 v[48:49], v[38:39], v[28:29]
	ds_load_b128 v[0:3], v16 offset:224
	ds_load_b128 v[4:7], v20 offset:7168
	ds_load_b128 v[28:31], v20 offset:7680
	ds_load_b128 v[36:39], v16 offset:240
	;; [unrolled: 54-line block ×4, first 2 shown]
	s_waitcnt lgkmcnt(2)
	v_mul_f64 v[50:51], v[6:7], v[2:3]
	v_mul_f64 v[2:3], v[4:5], v[2:3]
	s_waitcnt lgkmcnt(0)
	v_mul_f64 v[42:43], v[30:31], v[38:39]
	v_add_f64 v[32:33], v[32:33], v[46:47]
	v_add_f64 v[34:35], v[48:49], v[44:45]
	v_mul_f64 v[44:45], v[28:29], v[38:39]
	v_fma_f64 v[46:47], v[4:5], v[0:1], -v[50:51]
	v_fma_f64 v[48:49], v[6:7], v[0:1], v[2:3]
	ds_load_b128 v[0:3], v16 offset:448
	ds_load_b128 v[4:7], v20 offset:14336
	v_fma_f64 v[28:29], v[28:29], v[36:37], -v[42:43]
	v_add_f64 v[50:51], v[32:33], v[12:13]
	v_add_f64 v[52:53], v[34:35], v[10:11]
	global_load_b128 v[10:13], v[8:9], off
	v_fma_f64 v[30:31], v[30:31], v[36:37], v[44:45]
	s_waitcnt lgkmcnt(0)
	v_mul_f64 v[54:55], v[6:7], v[2:3]
	v_mul_f64 v[2:3], v[4:5], v[2:3]
	ds_load_b128 v[32:35], v20 offset:14848
	ds_load_b128 v[38:41], v16 offset:464
	s_waitcnt lgkmcnt(0)
	v_mul_f64 v[44:45], v[34:35], v[40:41]
	v_add_f64 v[36:37], v[50:51], v[48:49]
	v_add_f64 v[42:43], v[52:53], v[46:47]
	v_mul_f64 v[46:47], v[32:33], v[40:41]
	v_fma_f64 v[48:49], v[4:5], v[0:1], -v[54:55]
	v_fma_f64 v[50:51], v[6:7], v[0:1], v[2:3]
	v_fma_f64 v[32:33], v[32:33], v[38:39], -v[44:45]
	v_add_f64 v[36:37], v[36:37], v[30:31]
	v_add_f64 v[52:53], v[42:43], v[28:29]
	ds_load_b128 v[0:3], v16 offset:480
	ds_load_b128 v[4:7], v20 offset:15360
	;; [unrolled: 1-line block ×4, first 2 shown]
	v_fma_f64 v[34:35], v[34:35], v[38:39], v[46:47]
	s_waitcnt lgkmcnt(2)
	v_mul_f64 v[54:55], v[6:7], v[2:3]
	v_mul_f64 v[2:3], v[4:5], v[2:3]
	s_waitcnt lgkmcnt(0)
	v_mul_f64 v[44:45], v[30:31], v[42:43]
	v_mul_f64 v[42:43], v[28:29], v[42:43]
	v_add_f64 v[36:37], v[36:37], v[50:51]
	v_add_f64 v[38:39], v[52:53], v[48:49]
	v_fma_f64 v[4:5], v[4:5], v[0:1], -v[54:55]
	v_fma_f64 v[0:1], v[6:7], v[0:1], v[2:3]
	v_fma_f64 v[28:29], v[28:29], v[40:41], -v[44:45]
	v_fma_f64 v[30:31], v[30:31], v[40:41], v[42:43]
	v_add_f64 v[2:3], v[36:37], v[34:35]
	v_add_f64 v[6:7], v[38:39], v[32:33]
	s_delay_alu instid0(VALU_DEP_2) | instskip(NEXT) | instid1(VALU_DEP_2)
	v_add_f64 v[0:1], v[2:3], v[0:1]
	v_add_f64 v[2:3], v[6:7], v[4:5]
	s_delay_alu instid0(VALU_DEP_2) | instskip(NEXT) | instid1(VALU_DEP_2)
	v_add_f64 v[0:1], v[0:1], v[30:31]
	v_add_f64 v[2:3], v[2:3], v[28:29]
	s_delay_alu instid0(VALU_DEP_2) | instskip(NEXT) | instid1(VALU_DEP_2)
	v_mul_f64 v[4:5], s[6:7], v[0:1]
	v_mul_f64 v[6:7], s[6:7], v[2:3]
	s_delay_alu instid0(VALU_DEP_2) | instskip(NEXT) | instid1(VALU_DEP_2)
	v_fma_f64 v[2:3], s[4:5], v[2:3], -v[4:5]
	v_fma_f64 v[4:5], s[4:5], v[0:1], v[6:7]
	s_waitcnt vmcnt(0)
	s_delay_alu instid0(VALU_DEP_2) | instskip(NEXT) | instid1(VALU_DEP_2)
	v_add_f64 v[0:1], v[10:11], v[2:3]
	v_add_f64 v[2:3], v[12:13], v[4:5]
	global_store_b128 v[8:9], v[0:3], off
	s_branch .LBB1911_4
.LBB1911_17:
	s_endpgm
	.section	.rodata,"a",@progbits
	.p2align	6, 0x0
	.amdhsa_kernel _ZL26rocblas_syr2k_her2k_kernelIiLb1ELb0ELb1ELi32EPK19rocblas_complex_numIdES3_PS1_EvbiT_T4_T5_S5_lS7_S5_lT6_S5_li
		.amdhsa_group_segment_fixed_size 32768
		.amdhsa_private_segment_fixed_size 0
		.amdhsa_kernarg_size 100
		.amdhsa_user_sgpr_count 13
		.amdhsa_user_sgpr_dispatch_ptr 0
		.amdhsa_user_sgpr_queue_ptr 0
		.amdhsa_user_sgpr_kernarg_segment_ptr 1
		.amdhsa_user_sgpr_dispatch_id 0
		.amdhsa_user_sgpr_private_segment_size 0
		.amdhsa_wavefront_size32 1
		.amdhsa_uses_dynamic_stack 0
		.amdhsa_enable_private_segment 0
		.amdhsa_system_sgpr_workgroup_id_x 1
		.amdhsa_system_sgpr_workgroup_id_y 1
		.amdhsa_system_sgpr_workgroup_id_z 1
		.amdhsa_system_sgpr_workgroup_info 0
		.amdhsa_system_vgpr_workitem_id 1
		.amdhsa_next_free_vgpr 66
		.amdhsa_next_free_sgpr 28
		.amdhsa_reserve_vcc 1
		.amdhsa_float_round_mode_32 0
		.amdhsa_float_round_mode_16_64 0
		.amdhsa_float_denorm_mode_32 3
		.amdhsa_float_denorm_mode_16_64 3
		.amdhsa_dx10_clamp 1
		.amdhsa_ieee_mode 1
		.amdhsa_fp16_overflow 0
		.amdhsa_workgroup_processor_mode 1
		.amdhsa_memory_ordered 1
		.amdhsa_forward_progress 0
		.amdhsa_shared_vgpr_count 0
		.amdhsa_exception_fp_ieee_invalid_op 0
		.amdhsa_exception_fp_denorm_src 0
		.amdhsa_exception_fp_ieee_div_zero 0
		.amdhsa_exception_fp_ieee_overflow 0
		.amdhsa_exception_fp_ieee_underflow 0
		.amdhsa_exception_fp_ieee_inexact 0
		.amdhsa_exception_int_div_zero 0
	.end_amdhsa_kernel
	.section	.text._ZL26rocblas_syr2k_her2k_kernelIiLb1ELb0ELb1ELi32EPK19rocblas_complex_numIdES3_PS1_EvbiT_T4_T5_S5_lS7_S5_lT6_S5_li,"axG",@progbits,_ZL26rocblas_syr2k_her2k_kernelIiLb1ELb0ELb1ELi32EPK19rocblas_complex_numIdES3_PS1_EvbiT_T4_T5_S5_lS7_S5_lT6_S5_li,comdat
.Lfunc_end1911:
	.size	_ZL26rocblas_syr2k_her2k_kernelIiLb1ELb0ELb1ELi32EPK19rocblas_complex_numIdES3_PS1_EvbiT_T4_T5_S5_lS7_S5_lT6_S5_li, .Lfunc_end1911-_ZL26rocblas_syr2k_her2k_kernelIiLb1ELb0ELb1ELi32EPK19rocblas_complex_numIdES3_PS1_EvbiT_T4_T5_S5_lS7_S5_lT6_S5_li
                                        ; -- End function
	.section	.AMDGPU.csdata,"",@progbits
; Kernel info:
; codeLenInByte = 5604
; NumSgprs: 30
; NumVgprs: 66
; ScratchSize: 0
; MemoryBound: 1
; FloatMode: 240
; IeeeMode: 1
; LDSByteSize: 32768 bytes/workgroup (compile time only)
; SGPRBlocks: 3
; VGPRBlocks: 8
; NumSGPRsForWavesPerEU: 30
; NumVGPRsForWavesPerEU: 66
; Occupancy: 16
; WaveLimiterHint : 0
; COMPUTE_PGM_RSRC2:SCRATCH_EN: 0
; COMPUTE_PGM_RSRC2:USER_SGPR: 13
; COMPUTE_PGM_RSRC2:TRAP_HANDLER: 0
; COMPUTE_PGM_RSRC2:TGID_X_EN: 1
; COMPUTE_PGM_RSRC2:TGID_Y_EN: 1
; COMPUTE_PGM_RSRC2:TGID_Z_EN: 1
; COMPUTE_PGM_RSRC2:TIDIG_COMP_CNT: 1
	.section	.text._ZL26rocblas_syr2k_her2k_kernelIiLb1ELb0ELb0ELi32EfPKPKfPKPfEvbiT_T4_T5_S7_lS9_S7_lT6_S7_li,"axG",@progbits,_ZL26rocblas_syr2k_her2k_kernelIiLb1ELb0ELb0ELi32EfPKPKfPKPfEvbiT_T4_T5_S7_lS9_S7_lT6_S7_li,comdat
	.globl	_ZL26rocblas_syr2k_her2k_kernelIiLb1ELb0ELb0ELi32EfPKPKfPKPfEvbiT_T4_T5_S7_lS9_S7_lT6_S7_li ; -- Begin function _ZL26rocblas_syr2k_her2k_kernelIiLb1ELb0ELb0ELi32EfPKPKfPKPfEvbiT_T4_T5_S7_lS9_S7_lT6_S7_li
	.p2align	8
	.type	_ZL26rocblas_syr2k_her2k_kernelIiLb1ELb0ELb0ELi32EfPKPKfPKPfEvbiT_T4_T5_S7_lS9_S7_lT6_S7_li,@function
_ZL26rocblas_syr2k_her2k_kernelIiLb1ELb0ELb0ELi32EfPKPKfPKPfEvbiT_T4_T5_S7_lS9_S7_lT6_S7_li: ; @_ZL26rocblas_syr2k_her2k_kernelIiLb1ELb0ELb0ELi32EfPKPKfPKPfEvbiT_T4_T5_S7_lS9_S7_lT6_S7_li
; %bb.0:
	s_load_b128 s[4:7], s[0:1], 0x0
	s_waitcnt lgkmcnt(0)
	v_cmp_eq_f32_e64 s3, s7, 0
	s_delay_alu instid0(VALU_DEP_1)
	s_and_b32 vcc_lo, exec_lo, s3
	s_cbranch_vccnz .LBB1912_17
; %bb.1:
	s_and_b32 s3, 1, s4
	s_lshl_b32 s17, s14, 5
	s_lshl_b32 s18, s13, 5
	s_cmp_eq_u32 s3, 1
	s_cselect_b32 vcc_lo, -1, 0
	s_delay_alu instid0(SALU_CYCLE_1) | instskip(SKIP_2) | instid1(SALU_CYCLE_1)
	s_and_b32 s3, vcc_lo, exec_lo
	s_cselect_b32 s3, s18, s17
	s_cselect_b32 s4, s17, s18
	s_cmp_gt_i32 s3, s4
	s_cbranch_scc1 .LBB1912_17
; %bb.2:
	s_cmp_lt_i32 s6, 1
	s_cbranch_scc1 .LBB1912_17
; %bb.3:
	s_mov_b32 s2, s15
	s_clause 0x5
	s_load_b64 s[20:21], s[0:1], 0x10
	s_load_b128 s[12:15], s[0:1], 0x20
	s_load_b32 s4, s[0:1], 0x18
	s_load_b32 s16, s[0:1], 0x30
	s_load_b128 s[8:11], s[0:1], 0x38
	s_load_b32 s24, s[0:1], 0x48
	v_and_b32_e32 v3, 0x3ff, v0
	s_mov_b32 s3, 0
	s_load_b64 s[22:23], s[0:1], 0x50
	s_lshl_b64 s[0:1], s[2:3], 3
	v_bfe_u32 v2, v0, 10, 10
	v_add_nc_u32_e32 v7, s18, v3
	v_lshlrev_b32_e32 v4, 7, v3
	s_delay_alu instid0(VALU_DEP_3) | instskip(NEXT) | instid1(VALU_DEP_3)
	v_add_nc_u32_e32 v0, s17, v2
	v_ashrrev_i32_e32 v8, 31, v7
	s_delay_alu instid0(VALU_DEP_2)
	v_dual_cndmask_b32 v17, v0, v7 :: v_dual_lshlrev_b32 v6, 2, v2
	s_waitcnt lgkmcnt(0)
	s_add_u32 s18, s20, s0
	s_addc_u32 s19, s21, s1
	s_add_u32 s14, s14, s0
	s_load_b64 s[18:19], s[18:19], 0x0
	s_addc_u32 s15, s15, s1
	s_add_u32 s0, s10, s0
	s_load_b64 s[14:15], s[14:15], 0x0
	s_addc_u32 s1, s11, s1
	v_ashrrev_i32_e32 v1, 31, v0
	s_load_b64 s[10:11], s[0:1], 0x0
	v_mad_i64_i32 v[9:10], null, s24, v0, 0
	v_lshlrev_b64 v[12:13], 2, v[7:8]
	s_lshl_b64 s[12:13], s[12:13], 2
	v_lshlrev_b64 v[14:15], 2, v[0:1]
	v_dual_cndmask_b32 v16, v7, v0 :: v_dual_add_nc_u32 v5, v4, v6
	v_cmp_gt_i32_e32 vcc_lo, s5, v7
	v_cmp_gt_i32_e64 s0, s5, v0
	v_lshlrev_b64 v[0:1], 2, v[9:10]
	v_or_b32_e32 v6, 0x1000, v6
	s_waitcnt lgkmcnt(0)
	s_add_u32 s5, s18, s12
	s_addc_u32 s12, s19, s13
	s_lshl_b64 s[8:9], s[8:9], 2
	v_add_co_u32 v7, s1, s5, v12
	s_add_u32 s13, s14, s8
	s_addc_u32 s14, s15, s9
	s_lshl_b64 s[8:9], s[22:23], 2
	v_add_co_ci_u32_e64 v8, s1, s12, v13, s1
	v_add_co_u32 v9, s1, s13, v14
	s_add_u32 s2, s10, s8
	v_add_co_ci_u32_e64 v10, s1, s14, v15, s1
	s_addc_u32 s8, s11, s9
	v_add_co_u32 v0, s1, s2, v0
	s_delay_alu instid0(VALU_DEP_1) | instskip(SKIP_1) | instid1(VALU_DEP_3)
	v_add_co_ci_u32_e64 v1, s1, s8, v1, s1
	v_cmp_le_i32_e64 s1, v17, v16
	v_add_co_u32 v0, s2, v0, v12
	s_delay_alu instid0(VALU_DEP_1) | instskip(SKIP_1) | instid1(VALU_DEP_1)
	v_add_co_ci_u32_e64 v1, s2, v1, v13, s2
	v_add_co_u32 v12, s2, s13, v12
	v_add_co_ci_u32_e64 v13, s2, s14, v13, s2
	v_add_co_u32 v14, s2, s5, v14
	v_add_nc_u32_e32 v11, v6, v4
	v_add_co_ci_u32_e64 v15, s2, s12, v15, s2
	v_add_nc_u32_e32 v16, 0x400, v6
	v_add_nc_u32_e32 v17, 0x800, v6
	;; [unrolled: 1-line block ×3, first 2 shown]
	s_and_b32 s2, s0, vcc_lo
	s_delay_alu instid0(SALU_CYCLE_1)
	s_and_b32 s2, s2, s1
	s_branch .LBB1912_5
.LBB1912_4:                             ;   in Loop: Header=BB1912_5 Depth=1
	s_or_b32 exec_lo, exec_lo, s1
	s_add_i32 s3, s3, 32
	s_waitcnt_vscnt null, 0x0
	s_cmp_lt_i32 s3, s6
	s_barrier
	buffer_gl0_inv
	s_cbranch_scc0 .LBB1912_17
.LBB1912_5:                             ; =>This Inner Loop Header: Depth=1
	v_add_nc_u32_e32 v19, s3, v2
	v_mov_b32_e32 v21, 0
	s_delay_alu instid0(VALU_DEP_2) | instskip(NEXT) | instid1(VALU_DEP_1)
	v_cmp_gt_i32_e64 s1, s6, v19
	s_and_b32 s5, vcc_lo, s1
	s_delay_alu instid0(SALU_CYCLE_1)
	s_and_saveexec_b32 s8, s5
	s_cbranch_execz .LBB1912_7
; %bb.6:                                ;   in Loop: Header=BB1912_5 Depth=1
	v_mad_i64_i32 v[20:21], null, v19, s4, 0
	s_delay_alu instid0(VALU_DEP_1) | instskip(NEXT) | instid1(VALU_DEP_1)
	v_lshlrev_b64 v[20:21], 2, v[20:21]
	v_add_co_u32 v20, s1, v7, v20
	s_delay_alu instid0(VALU_DEP_1)
	v_add_co_ci_u32_e64 v21, s1, v8, v21, s1
	global_load_b32 v21, v[20:21], off
.LBB1912_7:                             ;   in Loop: Header=BB1912_5 Depth=1
	s_or_b32 exec_lo, exec_lo, s8
	v_add_nc_u32_e32 v20, s3, v3
	v_mov_b32_e32 v22, 0
	s_waitcnt vmcnt(0)
	ds_store_b32 v5, v21
	v_cmp_gt_i32_e64 s1, s6, v20
	s_delay_alu instid0(VALU_DEP_1) | instskip(NEXT) | instid1(SALU_CYCLE_1)
	s_and_b32 s8, s0, s1
	s_and_saveexec_b32 s9, s8
	s_cbranch_execz .LBB1912_9
; %bb.8:                                ;   in Loop: Header=BB1912_5 Depth=1
	v_mad_i64_i32 v[21:22], null, v20, s16, 0
	s_delay_alu instid0(VALU_DEP_1) | instskip(NEXT) | instid1(VALU_DEP_1)
	v_lshlrev_b64 v[21:22], 2, v[21:22]
	v_add_co_u32 v21, s1, v9, v21
	s_delay_alu instid0(VALU_DEP_1)
	v_add_co_ci_u32_e64 v22, s1, v10, v22, s1
	global_load_b32 v22, v[21:22], off
.LBB1912_9:                             ;   in Loop: Header=BB1912_5 Depth=1
	s_or_b32 exec_lo, exec_lo, s9
	s_waitcnt vmcnt(0)
	ds_store_b32 v11, v22
	s_waitcnt lgkmcnt(0)
	s_barrier
	buffer_gl0_inv
	s_and_saveexec_b32 s1, s2
	s_cbranch_execz .LBB1912_11
; %bb.10:                               ;   in Loop: Header=BB1912_5 Depth=1
	global_load_b32 v35, v[0:1], off
	ds_load_2addr_b32 v[29:30], v6 offset1:32
	ds_load_b128 v[21:24], v4
	ds_load_2addr_b32 v[31:32], v6 offset0:64 offset1:96
	ds_load_b128 v[25:28], v4 offset:16
	ds_load_2addr_b32 v[33:34], v6 offset0:128 offset1:160
	s_waitcnt lgkmcnt(3)
	v_fma_f32 v36, v21, v29, 0
	s_delay_alu instid0(VALU_DEP_1) | instskip(SKIP_3) | instid1(VALU_DEP_1)
	v_fmac_f32_e32 v36, v22, v30
	ds_load_2addr_b32 v[29:30], v6 offset0:192 offset1:224
	s_waitcnt lgkmcnt(3)
	v_fmac_f32_e32 v36, v23, v31
	v_fmac_f32_e32 v36, v24, v32
	ds_load_2addr_b32 v[31:32], v16 offset1:32
	ds_load_b128 v[21:24], v4 offset:32
	s_waitcnt lgkmcnt(3)
	v_fmac_f32_e32 v36, v25, v33
	s_delay_alu instid0(VALU_DEP_1) | instskip(SKIP_3) | instid1(VALU_DEP_1)
	v_fmac_f32_e32 v36, v26, v34
	ds_load_2addr_b32 v[33:34], v16 offset0:64 offset1:96
	s_waitcnt lgkmcnt(3)
	v_fmac_f32_e32 v36, v27, v29
	v_fmac_f32_e32 v36, v28, v30
	ds_load_b128 v[25:28], v4 offset:48
	ds_load_2addr_b32 v[29:30], v16 offset0:128 offset1:160
	s_waitcnt lgkmcnt(3)
	v_fmac_f32_e32 v36, v21, v31
	s_delay_alu instid0(VALU_DEP_1) | instskip(SKIP_3) | instid1(VALU_DEP_1)
	v_fmac_f32_e32 v36, v22, v32
	ds_load_2addr_b32 v[31:32], v16 offset0:192 offset1:224
	s_waitcnt lgkmcnt(3)
	v_fmac_f32_e32 v36, v23, v33
	v_fmac_f32_e32 v36, v24, v34
	ds_load_2addr_b32 v[33:34], v17 offset1:32
	ds_load_b128 v[21:24], v4 offset:64
	s_waitcnt lgkmcnt(3)
	v_fmac_f32_e32 v36, v25, v29
	s_delay_alu instid0(VALU_DEP_1) | instskip(SKIP_3) | instid1(VALU_DEP_1)
	v_fmac_f32_e32 v36, v26, v30
	ds_load_2addr_b32 v[29:30], v17 offset0:64 offset1:96
	s_waitcnt lgkmcnt(3)
	v_fmac_f32_e32 v36, v27, v31
	v_fmac_f32_e32 v36, v28, v32
	ds_load_b128 v[25:28], v4 offset:80
	ds_load_2addr_b32 v[31:32], v17 offset0:128 offset1:160
	s_waitcnt lgkmcnt(3)
	v_fmac_f32_e32 v36, v21, v33
	s_delay_alu instid0(VALU_DEP_1) | instskip(SKIP_3) | instid1(VALU_DEP_1)
	v_fmac_f32_e32 v36, v22, v34
	ds_load_2addr_b32 v[33:34], v17 offset0:192 offset1:224
	s_waitcnt lgkmcnt(3)
	v_fmac_f32_e32 v36, v23, v29
	v_fmac_f32_e32 v36, v24, v30
	ds_load_2addr_b32 v[29:30], v18 offset1:32
	ds_load_b128 v[21:24], v4 offset:96
	s_waitcnt lgkmcnt(3)
	v_fmac_f32_e32 v36, v25, v31
	s_delay_alu instid0(VALU_DEP_1) | instskip(SKIP_3) | instid1(VALU_DEP_1)
	v_fmac_f32_e32 v36, v26, v32
	ds_load_2addr_b32 v[31:32], v18 offset0:64 offset1:96
	s_waitcnt lgkmcnt(3)
	v_fmac_f32_e32 v36, v27, v33
	v_fmac_f32_e32 v36, v28, v34
	ds_load_b128 v[25:28], v4 offset:112
	ds_load_2addr_b32 v[33:34], v18 offset0:128 offset1:160
	s_waitcnt lgkmcnt(3)
	v_fmac_f32_e32 v36, v21, v29
	s_delay_alu instid0(VALU_DEP_1) | instskip(SKIP_3) | instid1(VALU_DEP_1)
	v_fmac_f32_e32 v36, v22, v30
	ds_load_2addr_b32 v[21:22], v18 offset0:192 offset1:224
	s_waitcnt lgkmcnt(3)
	v_fmac_f32_e32 v36, v23, v31
	v_fmac_f32_e32 v36, v24, v32
	s_waitcnt lgkmcnt(1)
	s_delay_alu instid0(VALU_DEP_1) | instskip(NEXT) | instid1(VALU_DEP_1)
	v_fmac_f32_e32 v36, v25, v33
	v_fmac_f32_e32 v36, v26, v34
	s_waitcnt lgkmcnt(0)
	s_delay_alu instid0(VALU_DEP_1) | instskip(NEXT) | instid1(VALU_DEP_1)
	v_fmac_f32_e32 v36, v27, v21
	v_fmac_f32_e32 v36, v28, v22
	s_waitcnt vmcnt(0)
	s_delay_alu instid0(VALU_DEP_1)
	v_fmac_f32_e32 v35, s7, v36
	global_store_b32 v[0:1], v35, off
.LBB1912_11:                            ;   in Loop: Header=BB1912_5 Depth=1
	s_or_b32 exec_lo, exec_lo, s1
	v_dual_mov_b32 v21, 0 :: v_dual_mov_b32 v22, 0
	s_waitcnt_vscnt null, 0x0
	s_barrier
	buffer_gl0_inv
	s_and_saveexec_b32 s9, s5
	s_cbranch_execz .LBB1912_13
; %bb.12:                               ;   in Loop: Header=BB1912_5 Depth=1
	v_mad_i64_i32 v[22:23], null, v19, s16, 0
	s_delay_alu instid0(VALU_DEP_1) | instskip(NEXT) | instid1(VALU_DEP_1)
	v_lshlrev_b64 v[22:23], 2, v[22:23]
	v_add_co_u32 v22, s1, v12, v22
	s_delay_alu instid0(VALU_DEP_1)
	v_add_co_ci_u32_e64 v23, s1, v13, v23, s1
	global_load_b32 v22, v[22:23], off
.LBB1912_13:                            ;   in Loop: Header=BB1912_5 Depth=1
	s_or_b32 exec_lo, exec_lo, s9
	s_waitcnt vmcnt(0)
	ds_store_b32 v5, v22
	s_and_saveexec_b32 s5, s8
	s_cbranch_execz .LBB1912_15
; %bb.14:                               ;   in Loop: Header=BB1912_5 Depth=1
	v_mad_i64_i32 v[21:22], null, v20, s4, 0
	s_delay_alu instid0(VALU_DEP_1) | instskip(NEXT) | instid1(VALU_DEP_1)
	v_lshlrev_b64 v[19:20], 2, v[21:22]
	v_add_co_u32 v19, s1, v14, v19
	s_delay_alu instid0(VALU_DEP_1)
	v_add_co_ci_u32_e64 v20, s1, v15, v20, s1
	global_load_b32 v21, v[19:20], off
.LBB1912_15:                            ;   in Loop: Header=BB1912_5 Depth=1
	s_or_b32 exec_lo, exec_lo, s5
	s_waitcnt vmcnt(0)
	ds_store_b32 v11, v21
	s_waitcnt lgkmcnt(0)
	s_barrier
	buffer_gl0_inv
	s_and_saveexec_b32 s1, s2
	s_cbranch_execz .LBB1912_4
; %bb.16:                               ;   in Loop: Header=BB1912_5 Depth=1
	global_load_b32 v33, v[0:1], off
	ds_load_2addr_b32 v[27:28], v6 offset1:32
	ds_load_b128 v[19:22], v4
	ds_load_2addr_b32 v[29:30], v6 offset0:64 offset1:96
	ds_load_b128 v[23:26], v4 offset:16
	ds_load_2addr_b32 v[31:32], v6 offset0:128 offset1:160
	s_waitcnt lgkmcnt(3)
	v_fma_f32 v34, v19, v27, 0
	s_delay_alu instid0(VALU_DEP_1) | instskip(SKIP_3) | instid1(VALU_DEP_1)
	v_fmac_f32_e32 v34, v20, v28
	ds_load_2addr_b32 v[27:28], v6 offset0:192 offset1:224
	s_waitcnt lgkmcnt(3)
	v_fmac_f32_e32 v34, v21, v29
	v_fmac_f32_e32 v34, v22, v30
	ds_load_2addr_b32 v[29:30], v16 offset1:32
	ds_load_b128 v[19:22], v4 offset:32
	s_waitcnt lgkmcnt(3)
	v_fmac_f32_e32 v34, v23, v31
	s_delay_alu instid0(VALU_DEP_1) | instskip(SKIP_3) | instid1(VALU_DEP_1)
	v_fmac_f32_e32 v34, v24, v32
	ds_load_2addr_b32 v[31:32], v16 offset0:64 offset1:96
	s_waitcnt lgkmcnt(3)
	v_fmac_f32_e32 v34, v25, v27
	v_fmac_f32_e32 v34, v26, v28
	ds_load_b128 v[23:26], v4 offset:48
	ds_load_2addr_b32 v[27:28], v16 offset0:128 offset1:160
	s_waitcnt lgkmcnt(3)
	v_fmac_f32_e32 v34, v19, v29
	s_delay_alu instid0(VALU_DEP_1) | instskip(SKIP_3) | instid1(VALU_DEP_1)
	v_fmac_f32_e32 v34, v20, v30
	ds_load_2addr_b32 v[29:30], v16 offset0:192 offset1:224
	s_waitcnt lgkmcnt(3)
	v_fmac_f32_e32 v34, v21, v31
	v_fmac_f32_e32 v34, v22, v32
	ds_load_2addr_b32 v[31:32], v17 offset1:32
	ds_load_b128 v[19:22], v4 offset:64
	s_waitcnt lgkmcnt(3)
	v_fmac_f32_e32 v34, v23, v27
	s_delay_alu instid0(VALU_DEP_1) | instskip(SKIP_3) | instid1(VALU_DEP_1)
	v_fmac_f32_e32 v34, v24, v28
	ds_load_2addr_b32 v[27:28], v17 offset0:64 offset1:96
	s_waitcnt lgkmcnt(3)
	v_fmac_f32_e32 v34, v25, v29
	v_fmac_f32_e32 v34, v26, v30
	ds_load_b128 v[23:26], v4 offset:80
	ds_load_2addr_b32 v[29:30], v17 offset0:128 offset1:160
	s_waitcnt lgkmcnt(3)
	v_fmac_f32_e32 v34, v19, v31
	;; [unrolled: 20-line block ×3, first 2 shown]
	s_delay_alu instid0(VALU_DEP_1) | instskip(SKIP_3) | instid1(VALU_DEP_1)
	v_fmac_f32_e32 v34, v20, v28
	ds_load_2addr_b32 v[19:20], v18 offset0:192 offset1:224
	s_waitcnt lgkmcnt(3)
	v_fmac_f32_e32 v34, v21, v29
	v_fmac_f32_e32 v34, v22, v30
	s_waitcnt lgkmcnt(1)
	s_delay_alu instid0(VALU_DEP_1) | instskip(NEXT) | instid1(VALU_DEP_1)
	v_fmac_f32_e32 v34, v23, v31
	v_fmac_f32_e32 v34, v24, v32
	s_waitcnt lgkmcnt(0)
	s_delay_alu instid0(VALU_DEP_1) | instskip(NEXT) | instid1(VALU_DEP_1)
	v_fmac_f32_e32 v34, v25, v19
	v_fmac_f32_e32 v34, v26, v20
	s_waitcnt vmcnt(0)
	s_delay_alu instid0(VALU_DEP_1)
	v_fmac_f32_e32 v33, s7, v34
	global_store_b32 v[0:1], v33, off
	s_branch .LBB1912_4
.LBB1912_17:
	s_endpgm
	.section	.rodata,"a",@progbits
	.p2align	6, 0x0
	.amdhsa_kernel _ZL26rocblas_syr2k_her2k_kernelIiLb1ELb0ELb0ELi32EfPKPKfPKPfEvbiT_T4_T5_S7_lS9_S7_lT6_S7_li
		.amdhsa_group_segment_fixed_size 8192
		.amdhsa_private_segment_fixed_size 0
		.amdhsa_kernarg_size 92
		.amdhsa_user_sgpr_count 13
		.amdhsa_user_sgpr_dispatch_ptr 0
		.amdhsa_user_sgpr_queue_ptr 0
		.amdhsa_user_sgpr_kernarg_segment_ptr 1
		.amdhsa_user_sgpr_dispatch_id 0
		.amdhsa_user_sgpr_private_segment_size 0
		.amdhsa_wavefront_size32 1
		.amdhsa_uses_dynamic_stack 0
		.amdhsa_enable_private_segment 0
		.amdhsa_system_sgpr_workgroup_id_x 1
		.amdhsa_system_sgpr_workgroup_id_y 1
		.amdhsa_system_sgpr_workgroup_id_z 1
		.amdhsa_system_sgpr_workgroup_info 0
		.amdhsa_system_vgpr_workitem_id 1
		.amdhsa_next_free_vgpr 37
		.amdhsa_next_free_sgpr 25
		.amdhsa_reserve_vcc 1
		.amdhsa_float_round_mode_32 0
		.amdhsa_float_round_mode_16_64 0
		.amdhsa_float_denorm_mode_32 3
		.amdhsa_float_denorm_mode_16_64 3
		.amdhsa_dx10_clamp 1
		.amdhsa_ieee_mode 1
		.amdhsa_fp16_overflow 0
		.amdhsa_workgroup_processor_mode 1
		.amdhsa_memory_ordered 1
		.amdhsa_forward_progress 0
		.amdhsa_shared_vgpr_count 0
		.amdhsa_exception_fp_ieee_invalid_op 0
		.amdhsa_exception_fp_denorm_src 0
		.amdhsa_exception_fp_ieee_div_zero 0
		.amdhsa_exception_fp_ieee_overflow 0
		.amdhsa_exception_fp_ieee_underflow 0
		.amdhsa_exception_fp_ieee_inexact 0
		.amdhsa_exception_int_div_zero 0
	.end_amdhsa_kernel
	.section	.text._ZL26rocblas_syr2k_her2k_kernelIiLb1ELb0ELb0ELi32EfPKPKfPKPfEvbiT_T4_T5_S7_lS9_S7_lT6_S7_li,"axG",@progbits,_ZL26rocblas_syr2k_her2k_kernelIiLb1ELb0ELb0ELi32EfPKPKfPKPfEvbiT_T4_T5_S7_lS9_S7_lT6_S7_li,comdat
.Lfunc_end1912:
	.size	_ZL26rocblas_syr2k_her2k_kernelIiLb1ELb0ELb0ELi32EfPKPKfPKPfEvbiT_T4_T5_S7_lS9_S7_lT6_S7_li, .Lfunc_end1912-_ZL26rocblas_syr2k_her2k_kernelIiLb1ELb0ELb0ELi32EfPKPKfPKPfEvbiT_T4_T5_S7_lS9_S7_lT6_S7_li
                                        ; -- End function
	.section	.AMDGPU.csdata,"",@progbits
; Kernel info:
; codeLenInByte = 1876
; NumSgprs: 27
; NumVgprs: 37
; ScratchSize: 0
; MemoryBound: 0
; FloatMode: 240
; IeeeMode: 1
; LDSByteSize: 8192 bytes/workgroup (compile time only)
; SGPRBlocks: 3
; VGPRBlocks: 4
; NumSGPRsForWavesPerEU: 27
; NumVGPRsForWavesPerEU: 37
; Occupancy: 16
; WaveLimiterHint : 1
; COMPUTE_PGM_RSRC2:SCRATCH_EN: 0
; COMPUTE_PGM_RSRC2:USER_SGPR: 13
; COMPUTE_PGM_RSRC2:TRAP_HANDLER: 0
; COMPUTE_PGM_RSRC2:TGID_X_EN: 1
; COMPUTE_PGM_RSRC2:TGID_Y_EN: 1
; COMPUTE_PGM_RSRC2:TGID_Z_EN: 1
; COMPUTE_PGM_RSRC2:TIDIG_COMP_CNT: 1
	.section	.text._ZL26rocblas_syr2k_her2k_kernelIiLb1ELb0ELb1ELi32EfPKPKfPKPfEvbiT_T4_T5_S7_lS9_S7_lT6_S7_li,"axG",@progbits,_ZL26rocblas_syr2k_her2k_kernelIiLb1ELb0ELb1ELi32EfPKPKfPKPfEvbiT_T4_T5_S7_lS9_S7_lT6_S7_li,comdat
	.globl	_ZL26rocblas_syr2k_her2k_kernelIiLb1ELb0ELb1ELi32EfPKPKfPKPfEvbiT_T4_T5_S7_lS9_S7_lT6_S7_li ; -- Begin function _ZL26rocblas_syr2k_her2k_kernelIiLb1ELb0ELb1ELi32EfPKPKfPKPfEvbiT_T4_T5_S7_lS9_S7_lT6_S7_li
	.p2align	8
	.type	_ZL26rocblas_syr2k_her2k_kernelIiLb1ELb0ELb1ELi32EfPKPKfPKPfEvbiT_T4_T5_S7_lS9_S7_lT6_S7_li,@function
_ZL26rocblas_syr2k_her2k_kernelIiLb1ELb0ELb1ELi32EfPKPKfPKPfEvbiT_T4_T5_S7_lS9_S7_lT6_S7_li: ; @_ZL26rocblas_syr2k_her2k_kernelIiLb1ELb0ELb1ELi32EfPKPKfPKPfEvbiT_T4_T5_S7_lS9_S7_lT6_S7_li
; %bb.0:
	s_load_b128 s[4:7], s[0:1], 0x0
	s_waitcnt lgkmcnt(0)
	v_cmp_eq_f32_e64 s3, s7, 0
	s_delay_alu instid0(VALU_DEP_1)
	s_and_b32 vcc_lo, exec_lo, s3
	s_cbranch_vccnz .LBB1913_17
; %bb.1:
	s_and_b32 s3, 1, s4
	s_lshl_b32 s4, s14, 5
	s_lshl_b32 s16, s13, 5
	s_cmp_eq_u32 s3, 1
	s_cselect_b32 vcc_lo, -1, 0
	s_delay_alu instid0(SALU_CYCLE_1) | instskip(SKIP_2) | instid1(SALU_CYCLE_1)
	s_and_b32 s3, vcc_lo, exec_lo
	s_cselect_b32 s3, s16, s4
	s_cselect_b32 s8, s4, s16
	s_cmp_gt_i32 s3, s8
	s_cbranch_scc1 .LBB1913_17
; %bb.2:
	s_cmp_lt_i32 s6, 1
	s_cbranch_scc1 .LBB1913_17
; %bb.3:
	s_mov_b32 s2, s15
	s_clause 0x5
	s_load_b64 s[18:19], s[0:1], 0x10
	s_load_b128 s[12:15], s[0:1], 0x20
	s_load_b32 s22, s[0:1], 0x18
	s_load_b32 s23, s[0:1], 0x30
	s_load_b128 s[8:11], s[0:1], 0x38
	s_load_b32 s24, s[0:1], 0x48
	v_and_b32_e32 v7, 0x3ff, v0
	s_mov_b32 s3, 0
	s_load_b64 s[20:21], s[0:1], 0x50
	s_lshl_b64 s[0:1], s[2:3], 3
	v_bfe_u32 v6, v0, 10, 10
	v_add_nc_u32_e32 v0, s16, v7
	s_delay_alu instid0(VALU_DEP_2) | instskip(SKIP_1) | instid1(VALU_DEP_3)
	v_add_nc_u32_e32 v18, s4, v6
	v_lshlrev_b32_e32 v8, 7, v7
	v_ashrrev_i32_e32 v1, 31, v0
	v_lshlrev_b32_e32 v12, 2, v6
	s_delay_alu instid0(VALU_DEP_4)
	v_cndmask_b32_e32 v19, v0, v18, vcc_lo
	s_waitcnt lgkmcnt(0)
	s_add_u32 s16, s18, s0
	s_addc_u32 s17, s19, s1
	s_add_u32 s14, s14, s0
	s_load_b64 s[16:17], s[16:17], 0x0
	s_addc_u32 s15, s15, s1
	s_add_u32 s0, s10, s0
	s_load_b64 s[14:15], s[14:15], 0x0
	v_mad_i64_i32 v[2:3], null, s22, v0, 0
	s_addc_u32 s1, s11, s1
	v_mad_i64_i32 v[4:5], null, s23, v18, 0
	s_load_b64 s[10:11], s[0:1], 0x0
	v_cndmask_b32_e32 v20, v18, v0, vcc_lo
	v_cmp_gt_i32_e32 vcc_lo, s5, v0
	s_delay_alu instid0(VALU_DEP_4)
	v_lshlrev_b64 v[2:3], 2, v[2:3]
	v_cmp_gt_i32_e64 s0, s5, v18
	s_lshl_b64 s[4:5], s[12:13], 2
	v_mad_i64_i32 v[16:17], null, s24, v18, 0
	v_lshlrev_b64 v[4:5], 2, v[4:5]
	v_add_nc_u32_e32 v9, v8, v12
	v_or_b32_e32 v12, 0x1000, v12
	s_waitcnt lgkmcnt(0)
	s_add_u32 s12, s16, s4
	s_addc_u32 s13, s17, s5
	s_lshl_b64 s[4:5], s[8:9], 2
	v_add_co_u32 v10, s1, s12, v2
	s_add_u32 s8, s14, s4
	v_add_co_ci_u32_e64 v11, s1, s13, v3, s1
	s_addc_u32 s9, s15, s5
	v_add_co_u32 v13, s1, s8, v4
	s_delay_alu instid0(VALU_DEP_1)
	v_add_co_ci_u32_e64 v14, s1, s9, v5, s1
	v_lshlrev_b64 v[2:3], 2, v[16:17]
	v_mad_i64_i32 v[4:5], null, s23, v0, 0
	s_lshl_b64 s[4:5], s[20:21], 2
	v_mad_i64_i32 v[16:17], null, s22, v18, 0
	s_add_u32 s2, s10, s4
	v_lshlrev_b64 v[0:1], 2, v[0:1]
	s_addc_u32 s4, s11, s5
	v_add_co_u32 v18, s2, s2, v2
	v_cmp_le_i32_e64 s1, v20, v19
	v_add_co_ci_u32_e64 v19, s2, s4, v3, s2
	v_lshlrev_b64 v[2:3], 2, v[4:5]
	s_delay_alu instid0(VALU_DEP_4) | instskip(SKIP_1) | instid1(VALU_DEP_4)
	v_add_co_u32 v0, s2, v18, v0
	v_lshlrev_b64 v[4:5], 2, v[16:17]
	v_add_co_ci_u32_e64 v1, s2, v19, v1, s2
	s_delay_alu instid0(VALU_DEP_4) | instskip(NEXT) | instid1(VALU_DEP_1)
	v_add_co_u32 v16, s2, s8, v2
	v_add_co_ci_u32_e64 v17, s2, s9, v3, s2
	s_delay_alu instid0(VALU_DEP_4)
	v_add_co_u32 v18, s2, s12, v4
	v_add_nc_u32_e32 v15, v12, v8
	v_add_co_ci_u32_e64 v19, s2, s13, v5, s2
	v_add_nc_u32_e32 v20, 0x400, v12
	v_add_nc_u32_e32 v21, 0x800, v12
	v_add_nc_u32_e32 v22, 0xc00, v12
	s_and_b32 s2, s0, vcc_lo
	s_delay_alu instid0(SALU_CYCLE_1)
	s_and_b32 s2, s2, s1
	s_branch .LBB1913_5
.LBB1913_4:                             ;   in Loop: Header=BB1913_5 Depth=1
	s_or_b32 exec_lo, exec_lo, s1
	s_add_i32 s3, s3, 32
	s_waitcnt_vscnt null, 0x0
	s_cmp_lt_i32 s3, s6
	s_barrier
	buffer_gl0_inv
	s_cbranch_scc0 .LBB1913_17
.LBB1913_5:                             ; =>This Inner Loop Header: Depth=1
	v_dual_mov_b32 v23, 0 :: v_dual_add_nc_u32 v2, s3, v6
	s_delay_alu instid0(VALU_DEP_1) | instskip(SKIP_1) | instid1(VALU_DEP_2)
	v_cmp_gt_i32_e64 s1, s6, v2
	v_ashrrev_i32_e32 v3, 31, v2
	s_and_b32 s4, vcc_lo, s1
	s_delay_alu instid0(SALU_CYCLE_1)
	s_and_saveexec_b32 s5, s4
	s_cbranch_execz .LBB1913_7
; %bb.6:                                ;   in Loop: Header=BB1913_5 Depth=1
	s_delay_alu instid0(VALU_DEP_1) | instskip(NEXT) | instid1(VALU_DEP_1)
	v_lshlrev_b64 v[4:5], 2, v[2:3]
	v_add_co_u32 v4, s1, v10, v4
	s_delay_alu instid0(VALU_DEP_1)
	v_add_co_ci_u32_e64 v5, s1, v11, v5, s1
	global_load_b32 v23, v[4:5], off
.LBB1913_7:                             ;   in Loop: Header=BB1913_5 Depth=1
	s_or_b32 exec_lo, exec_lo, s5
	v_add_nc_u32_e32 v4, s3, v7
	v_mov_b32_e32 v24, 0
	s_waitcnt vmcnt(0)
	ds_store_b32 v9, v23
	v_cmp_gt_i32_e64 s1, s6, v4
	v_ashrrev_i32_e32 v5, 31, v4
	s_delay_alu instid0(VALU_DEP_2) | instskip(NEXT) | instid1(SALU_CYCLE_1)
	s_and_b32 s5, s0, s1
	s_and_saveexec_b32 s8, s5
	s_cbranch_execz .LBB1913_9
; %bb.8:                                ;   in Loop: Header=BB1913_5 Depth=1
	s_delay_alu instid0(VALU_DEP_1) | instskip(NEXT) | instid1(VALU_DEP_1)
	v_lshlrev_b64 v[23:24], 2, v[4:5]
	v_add_co_u32 v23, s1, v13, v23
	s_delay_alu instid0(VALU_DEP_1)
	v_add_co_ci_u32_e64 v24, s1, v14, v24, s1
	global_load_b32 v24, v[23:24], off
.LBB1913_9:                             ;   in Loop: Header=BB1913_5 Depth=1
	s_or_b32 exec_lo, exec_lo, s8
	s_waitcnt vmcnt(0)
	ds_store_b32 v15, v24
	s_waitcnt lgkmcnt(0)
	s_barrier
	buffer_gl0_inv
	s_and_saveexec_b32 s1, s2
	s_cbranch_execz .LBB1913_11
; %bb.10:                               ;   in Loop: Header=BB1913_5 Depth=1
	global_load_b32 v37, v[0:1], off
	ds_load_2addr_b32 v[31:32], v12 offset1:32
	ds_load_b128 v[23:26], v8
	ds_load_2addr_b32 v[33:34], v12 offset0:64 offset1:96
	ds_load_b128 v[27:30], v8 offset:16
	ds_load_2addr_b32 v[35:36], v12 offset0:128 offset1:160
	s_waitcnt lgkmcnt(3)
	v_fma_f32 v38, v23, v31, 0
	s_delay_alu instid0(VALU_DEP_1) | instskip(SKIP_3) | instid1(VALU_DEP_1)
	v_fmac_f32_e32 v38, v24, v32
	ds_load_2addr_b32 v[31:32], v12 offset0:192 offset1:224
	s_waitcnt lgkmcnt(3)
	v_fmac_f32_e32 v38, v25, v33
	v_fmac_f32_e32 v38, v26, v34
	ds_load_2addr_b32 v[33:34], v20 offset1:32
	ds_load_b128 v[23:26], v8 offset:32
	s_waitcnt lgkmcnt(3)
	v_fmac_f32_e32 v38, v27, v35
	s_delay_alu instid0(VALU_DEP_1) | instskip(SKIP_3) | instid1(VALU_DEP_1)
	v_fmac_f32_e32 v38, v28, v36
	ds_load_2addr_b32 v[35:36], v20 offset0:64 offset1:96
	s_waitcnt lgkmcnt(3)
	v_fmac_f32_e32 v38, v29, v31
	v_fmac_f32_e32 v38, v30, v32
	ds_load_b128 v[27:30], v8 offset:48
	ds_load_2addr_b32 v[31:32], v20 offset0:128 offset1:160
	s_waitcnt lgkmcnt(3)
	v_fmac_f32_e32 v38, v23, v33
	s_delay_alu instid0(VALU_DEP_1) | instskip(SKIP_3) | instid1(VALU_DEP_1)
	v_fmac_f32_e32 v38, v24, v34
	ds_load_2addr_b32 v[33:34], v20 offset0:192 offset1:224
	s_waitcnt lgkmcnt(3)
	v_fmac_f32_e32 v38, v25, v35
	v_fmac_f32_e32 v38, v26, v36
	ds_load_2addr_b32 v[35:36], v21 offset1:32
	ds_load_b128 v[23:26], v8 offset:64
	s_waitcnt lgkmcnt(3)
	v_fmac_f32_e32 v38, v27, v31
	s_delay_alu instid0(VALU_DEP_1) | instskip(SKIP_3) | instid1(VALU_DEP_1)
	v_fmac_f32_e32 v38, v28, v32
	ds_load_2addr_b32 v[31:32], v21 offset0:64 offset1:96
	s_waitcnt lgkmcnt(3)
	v_fmac_f32_e32 v38, v29, v33
	v_fmac_f32_e32 v38, v30, v34
	ds_load_b128 v[27:30], v8 offset:80
	ds_load_2addr_b32 v[33:34], v21 offset0:128 offset1:160
	s_waitcnt lgkmcnt(3)
	v_fmac_f32_e32 v38, v23, v35
	;; [unrolled: 20-line block ×3, first 2 shown]
	s_delay_alu instid0(VALU_DEP_1) | instskip(SKIP_3) | instid1(VALU_DEP_1)
	v_fmac_f32_e32 v38, v24, v32
	ds_load_2addr_b32 v[23:24], v22 offset0:192 offset1:224
	s_waitcnt lgkmcnt(3)
	v_fmac_f32_e32 v38, v25, v33
	v_fmac_f32_e32 v38, v26, v34
	s_waitcnt lgkmcnt(1)
	s_delay_alu instid0(VALU_DEP_1) | instskip(NEXT) | instid1(VALU_DEP_1)
	v_fmac_f32_e32 v38, v27, v35
	v_fmac_f32_e32 v38, v28, v36
	s_waitcnt lgkmcnt(0)
	s_delay_alu instid0(VALU_DEP_1) | instskip(NEXT) | instid1(VALU_DEP_1)
	v_fmac_f32_e32 v38, v29, v23
	v_fmac_f32_e32 v38, v30, v24
	s_waitcnt vmcnt(0)
	s_delay_alu instid0(VALU_DEP_1)
	v_fmac_f32_e32 v37, s7, v38
	global_store_b32 v[0:1], v37, off
.LBB1913_11:                            ;   in Loop: Header=BB1913_5 Depth=1
	s_or_b32 exec_lo, exec_lo, s1
	v_dual_mov_b32 v23, 0 :: v_dual_mov_b32 v24, 0
	s_waitcnt_vscnt null, 0x0
	s_barrier
	buffer_gl0_inv
	s_and_saveexec_b32 s8, s4
	s_cbranch_execz .LBB1913_13
; %bb.12:                               ;   in Loop: Header=BB1913_5 Depth=1
	v_lshlrev_b64 v[2:3], 2, v[2:3]
	s_delay_alu instid0(VALU_DEP_1) | instskip(NEXT) | instid1(VALU_DEP_1)
	v_add_co_u32 v2, s1, v16, v2
	v_add_co_ci_u32_e64 v3, s1, v17, v3, s1
	global_load_b32 v24, v[2:3], off
.LBB1913_13:                            ;   in Loop: Header=BB1913_5 Depth=1
	s_or_b32 exec_lo, exec_lo, s8
	s_waitcnt vmcnt(0)
	ds_store_b32 v9, v24
	s_and_saveexec_b32 s4, s5
	s_cbranch_execz .LBB1913_15
; %bb.14:                               ;   in Loop: Header=BB1913_5 Depth=1
	v_lshlrev_b64 v[2:3], 2, v[4:5]
	s_delay_alu instid0(VALU_DEP_1) | instskip(NEXT) | instid1(VALU_DEP_1)
	v_add_co_u32 v2, s1, v18, v2
	v_add_co_ci_u32_e64 v3, s1, v19, v3, s1
	global_load_b32 v23, v[2:3], off
.LBB1913_15:                            ;   in Loop: Header=BB1913_5 Depth=1
	s_or_b32 exec_lo, exec_lo, s4
	s_waitcnt vmcnt(0)
	ds_store_b32 v15, v23
	s_waitcnt lgkmcnt(0)
	s_barrier
	buffer_gl0_inv
	s_and_saveexec_b32 s1, s2
	s_cbranch_execz .LBB1913_4
; %bb.16:                               ;   in Loop: Header=BB1913_5 Depth=1
	global_load_b32 v33, v[0:1], off
	ds_load_2addr_b32 v[27:28], v12 offset1:32
	ds_load_b128 v[2:5], v8
	ds_load_2addr_b32 v[29:30], v12 offset0:64 offset1:96
	ds_load_b128 v[23:26], v8 offset:16
	ds_load_2addr_b32 v[31:32], v12 offset0:128 offset1:160
	s_waitcnt lgkmcnt(3)
	v_fma_f32 v34, v2, v27, 0
	s_delay_alu instid0(VALU_DEP_1) | instskip(SKIP_3) | instid1(VALU_DEP_1)
	v_fmac_f32_e32 v34, v3, v28
	ds_load_2addr_b32 v[27:28], v12 offset0:192 offset1:224
	s_waitcnt lgkmcnt(3)
	v_fmac_f32_e32 v34, v4, v29
	v_fmac_f32_e32 v34, v5, v30
	ds_load_2addr_b32 v[29:30], v20 offset1:32
	ds_load_b128 v[2:5], v8 offset:32
	s_waitcnt lgkmcnt(3)
	v_fmac_f32_e32 v34, v23, v31
	s_delay_alu instid0(VALU_DEP_1) | instskip(SKIP_3) | instid1(VALU_DEP_1)
	v_fmac_f32_e32 v34, v24, v32
	ds_load_2addr_b32 v[31:32], v20 offset0:64 offset1:96
	s_waitcnt lgkmcnt(3)
	v_fmac_f32_e32 v34, v25, v27
	v_fmac_f32_e32 v34, v26, v28
	ds_load_b128 v[23:26], v8 offset:48
	ds_load_2addr_b32 v[27:28], v20 offset0:128 offset1:160
	s_waitcnt lgkmcnt(3)
	v_fmac_f32_e32 v34, v2, v29
	s_delay_alu instid0(VALU_DEP_1) | instskip(SKIP_3) | instid1(VALU_DEP_1)
	v_fmac_f32_e32 v34, v3, v30
	ds_load_2addr_b32 v[29:30], v20 offset0:192 offset1:224
	s_waitcnt lgkmcnt(3)
	v_fmac_f32_e32 v34, v4, v31
	v_fmac_f32_e32 v34, v5, v32
	ds_load_2addr_b32 v[31:32], v21 offset1:32
	ds_load_b128 v[2:5], v8 offset:64
	s_waitcnt lgkmcnt(3)
	v_fmac_f32_e32 v34, v23, v27
	s_delay_alu instid0(VALU_DEP_1) | instskip(SKIP_3) | instid1(VALU_DEP_1)
	v_fmac_f32_e32 v34, v24, v28
	ds_load_2addr_b32 v[27:28], v21 offset0:64 offset1:96
	s_waitcnt lgkmcnt(3)
	v_fmac_f32_e32 v34, v25, v29
	v_fmac_f32_e32 v34, v26, v30
	ds_load_b128 v[23:26], v8 offset:80
	ds_load_2addr_b32 v[29:30], v21 offset0:128 offset1:160
	s_waitcnt lgkmcnt(3)
	v_fmac_f32_e32 v34, v2, v31
	;; [unrolled: 20-line block ×3, first 2 shown]
	s_delay_alu instid0(VALU_DEP_1) | instskip(SKIP_3) | instid1(VALU_DEP_1)
	v_fmac_f32_e32 v34, v3, v28
	ds_load_2addr_b32 v[2:3], v22 offset0:192 offset1:224
	s_waitcnt lgkmcnt(3)
	v_fmac_f32_e32 v34, v4, v29
	v_fmac_f32_e32 v34, v5, v30
	s_waitcnt lgkmcnt(1)
	s_delay_alu instid0(VALU_DEP_1) | instskip(NEXT) | instid1(VALU_DEP_1)
	v_fmac_f32_e32 v34, v23, v31
	v_fmac_f32_e32 v34, v24, v32
	s_waitcnt lgkmcnt(0)
	s_delay_alu instid0(VALU_DEP_1) | instskip(NEXT) | instid1(VALU_DEP_1)
	v_fmac_f32_e32 v34, v25, v2
	v_fmac_f32_e32 v34, v26, v3
	s_waitcnt vmcnt(0)
	s_delay_alu instid0(VALU_DEP_1)
	v_fmac_f32_e32 v33, s7, v34
	global_store_b32 v[0:1], v33, off
	s_branch .LBB1913_4
.LBB1913_17:
	s_endpgm
	.section	.rodata,"a",@progbits
	.p2align	6, 0x0
	.amdhsa_kernel _ZL26rocblas_syr2k_her2k_kernelIiLb1ELb0ELb1ELi32EfPKPKfPKPfEvbiT_T4_T5_S7_lS9_S7_lT6_S7_li
		.amdhsa_group_segment_fixed_size 8192
		.amdhsa_private_segment_fixed_size 0
		.amdhsa_kernarg_size 92
		.amdhsa_user_sgpr_count 13
		.amdhsa_user_sgpr_dispatch_ptr 0
		.amdhsa_user_sgpr_queue_ptr 0
		.amdhsa_user_sgpr_kernarg_segment_ptr 1
		.amdhsa_user_sgpr_dispatch_id 0
		.amdhsa_user_sgpr_private_segment_size 0
		.amdhsa_wavefront_size32 1
		.amdhsa_uses_dynamic_stack 0
		.amdhsa_enable_private_segment 0
		.amdhsa_system_sgpr_workgroup_id_x 1
		.amdhsa_system_sgpr_workgroup_id_y 1
		.amdhsa_system_sgpr_workgroup_id_z 1
		.amdhsa_system_sgpr_workgroup_info 0
		.amdhsa_system_vgpr_workitem_id 1
		.amdhsa_next_free_vgpr 39
		.amdhsa_next_free_sgpr 25
		.amdhsa_reserve_vcc 1
		.amdhsa_float_round_mode_32 0
		.amdhsa_float_round_mode_16_64 0
		.amdhsa_float_denorm_mode_32 3
		.amdhsa_float_denorm_mode_16_64 3
		.amdhsa_dx10_clamp 1
		.amdhsa_ieee_mode 1
		.amdhsa_fp16_overflow 0
		.amdhsa_workgroup_processor_mode 1
		.amdhsa_memory_ordered 1
		.amdhsa_forward_progress 0
		.amdhsa_shared_vgpr_count 0
		.amdhsa_exception_fp_ieee_invalid_op 0
		.amdhsa_exception_fp_denorm_src 0
		.amdhsa_exception_fp_ieee_div_zero 0
		.amdhsa_exception_fp_ieee_overflow 0
		.amdhsa_exception_fp_ieee_underflow 0
		.amdhsa_exception_fp_ieee_inexact 0
		.amdhsa_exception_int_div_zero 0
	.end_amdhsa_kernel
	.section	.text._ZL26rocblas_syr2k_her2k_kernelIiLb1ELb0ELb1ELi32EfPKPKfPKPfEvbiT_T4_T5_S7_lS9_S7_lT6_S7_li,"axG",@progbits,_ZL26rocblas_syr2k_her2k_kernelIiLb1ELb0ELb1ELi32EfPKPKfPKPfEvbiT_T4_T5_S7_lS9_S7_lT6_S7_li,comdat
.Lfunc_end1913:
	.size	_ZL26rocblas_syr2k_her2k_kernelIiLb1ELb0ELb1ELi32EfPKPKfPKPfEvbiT_T4_T5_S7_lS9_S7_lT6_S7_li, .Lfunc_end1913-_ZL26rocblas_syr2k_her2k_kernelIiLb1ELb0ELb1ELi32EfPKPKfPKPfEvbiT_T4_T5_S7_lS9_S7_lT6_S7_li
                                        ; -- End function
	.section	.AMDGPU.csdata,"",@progbits
; Kernel info:
; codeLenInByte = 1908
; NumSgprs: 27
; NumVgprs: 39
; ScratchSize: 0
; MemoryBound: 0
; FloatMode: 240
; IeeeMode: 1
; LDSByteSize: 8192 bytes/workgroup (compile time only)
; SGPRBlocks: 3
; VGPRBlocks: 4
; NumSGPRsForWavesPerEU: 27
; NumVGPRsForWavesPerEU: 39
; Occupancy: 16
; WaveLimiterHint : 1
; COMPUTE_PGM_RSRC2:SCRATCH_EN: 0
; COMPUTE_PGM_RSRC2:USER_SGPR: 13
; COMPUTE_PGM_RSRC2:TRAP_HANDLER: 0
; COMPUTE_PGM_RSRC2:TGID_X_EN: 1
; COMPUTE_PGM_RSRC2:TGID_Y_EN: 1
; COMPUTE_PGM_RSRC2:TGID_Z_EN: 1
; COMPUTE_PGM_RSRC2:TIDIG_COMP_CNT: 1
	.section	.text._ZL26rocblas_syr2k_her2k_kernelIiLb1ELb0ELb0ELi32EPKfPKS1_PKPfEvbiT_T4_T5_S7_lS9_S7_lT6_S7_li,"axG",@progbits,_ZL26rocblas_syr2k_her2k_kernelIiLb1ELb0ELb0ELi32EPKfPKS1_PKPfEvbiT_T4_T5_S7_lS9_S7_lT6_S7_li,comdat
	.globl	_ZL26rocblas_syr2k_her2k_kernelIiLb1ELb0ELb0ELi32EPKfPKS1_PKPfEvbiT_T4_T5_S7_lS9_S7_lT6_S7_li ; -- Begin function _ZL26rocblas_syr2k_her2k_kernelIiLb1ELb0ELb0ELi32EPKfPKS1_PKPfEvbiT_T4_T5_S7_lS9_S7_lT6_S7_li
	.p2align	8
	.type	_ZL26rocblas_syr2k_her2k_kernelIiLb1ELb0ELb0ELi32EPKfPKS1_PKPfEvbiT_T4_T5_S7_lS9_S7_lT6_S7_li,@function
_ZL26rocblas_syr2k_her2k_kernelIiLb1ELb0ELb0ELi32EPKfPKS1_PKPfEvbiT_T4_T5_S7_lS9_S7_lT6_S7_li: ; @_ZL26rocblas_syr2k_her2k_kernelIiLb1ELb0ELb0ELi32EPKfPKS1_PKPfEvbiT_T4_T5_S7_lS9_S7_lT6_S7_li
; %bb.0:
	s_load_b128 s[16:19], s[0:1], 0x10
	s_waitcnt lgkmcnt(0)
	s_load_b32 s16, s[16:17], 0x0
	s_waitcnt lgkmcnt(0)
	v_cmp_eq_f32_e64 s3, s16, 0
	s_delay_alu instid0(VALU_DEP_1)
	s_and_b32 vcc_lo, exec_lo, s3
	s_cbranch_vccnz .LBB1914_17
; %bb.1:
	s_load_b128 s[4:7], s[0:1], 0x0
	s_lshl_b32 s17, s14, 5
	s_lshl_b32 s20, s13, 5
	s_waitcnt lgkmcnt(0)
	s_and_b32 s3, 1, s4
	s_delay_alu instid0(SALU_CYCLE_1) | instskip(SKIP_1) | instid1(SALU_CYCLE_1)
	s_cmp_eq_u32 s3, 1
	s_cselect_b32 vcc_lo, -1, 0
	s_and_b32 s3, vcc_lo, exec_lo
	s_cselect_b32 s3, s20, s17
	s_cselect_b32 s4, s17, s20
	s_delay_alu instid0(SALU_CYCLE_1)
	s_cmp_gt_i32 s3, s4
	s_cbranch_scc1 .LBB1914_17
; %bb.2:
	s_cmp_lt_i32 s6, 1
	s_cbranch_scc1 .LBB1914_17
; %bb.3:
	s_mov_b32 s2, s15
	s_clause 0x4
	s_load_b128 s[12:15], s[0:1], 0x28
	s_load_b32 s4, s[0:1], 0x20
	s_load_b32 s7, s[0:1], 0x38
	s_load_b128 s[8:11], s[0:1], 0x40
	s_load_b32 s21, s[0:1], 0x50
	s_mov_b32 s3, 0
	s_load_b64 s[24:25], s[0:1], 0x58
	s_lshl_b64 s[22:23], s[2:3], 3
	v_and_b32_e32 v2, 0x3ff, v0
	s_add_u32 s0, s18, s22
	s_addc_u32 s1, s19, s23
	v_bfe_u32 v3, v0, 10, 10
	s_load_b64 s[18:19], s[0:1], 0x0
	v_add_nc_u32_e32 v7, s20, v2
	s_delay_alu instid0(VALU_DEP_2) | instskip(SKIP_1) | instid1(VALU_DEP_3)
	v_add_nc_u32_e32 v0, s17, v3
	v_lshlrev_b32_e32 v6, 2, v3
	v_ashrrev_i32_e32 v8, 31, v7
	s_waitcnt lgkmcnt(0)
	s_add_u32 s0, s14, s22
	v_cndmask_b32_e32 v17, v0, v7, vcc_lo
	s_addc_u32 s1, s15, s23
	v_ashrrev_i32_e32 v1, 31, v0
	s_load_b64 s[14:15], s[0:1], 0x0
	s_add_u32 s0, s10, s22
	s_addc_u32 s1, s11, s23
	v_mad_i64_i32 v[9:10], null, s21, v0, 0
	s_load_b64 s[10:11], s[0:1], 0x0
	v_lshlrev_b64 v[12:13], 2, v[7:8]
	s_lshl_b64 s[12:13], s[12:13], 2
	v_lshlrev_b64 v[14:15], 2, v[0:1]
	v_lshlrev_b32_e32 v4, 7, v2
	v_cndmask_b32_e32 v16, v7, v0, vcc_lo
	v_cmp_gt_i32_e32 vcc_lo, s5, v7
	v_cmp_gt_i32_e64 s0, s5, v0
	s_add_u32 s5, s18, s12
	v_add_nc_u32_e32 v5, v4, v6
	s_addc_u32 s12, s19, s13
	s_lshl_b64 s[8:9], s[8:9], 2
	v_add_co_u32 v7, s1, s5, v12
	v_lshlrev_b64 v[0:1], 2, v[9:10]
	s_waitcnt lgkmcnt(0)
	s_add_u32 s13, s14, s8
	s_addc_u32 s14, s15, s9
	s_lshl_b64 s[8:9], s[24:25], 2
	v_add_co_ci_u32_e64 v8, s1, s12, v13, s1
	v_add_co_u32 v9, s1, s13, v14
	s_add_u32 s2, s10, s8
	v_add_co_ci_u32_e64 v10, s1, s14, v15, s1
	s_addc_u32 s8, s11, s9
	v_add_co_u32 v0, s1, s2, v0
	s_delay_alu instid0(VALU_DEP_1) | instskip(SKIP_1) | instid1(VALU_DEP_3)
	v_add_co_ci_u32_e64 v1, s1, s8, v1, s1
	v_or_b32_e32 v6, 0x1000, v6
	v_add_co_u32 v0, s2, v0, v12
	s_delay_alu instid0(VALU_DEP_1) | instskip(SKIP_1) | instid1(VALU_DEP_1)
	v_add_co_ci_u32_e64 v1, s2, v1, v13, s2
	v_add_co_u32 v12, s2, s13, v12
	v_add_co_ci_u32_e64 v13, s2, s14, v13, s2
	v_cmp_le_i32_e64 s1, v17, v16
	v_add_co_u32 v14, s2, s5, v14
	v_add_nc_u32_e32 v11, v6, v4
	v_add_co_ci_u32_e64 v15, s2, s12, v15, s2
	v_add_nc_u32_e32 v16, 0x400, v6
	v_add_nc_u32_e32 v17, 0x800, v6
	;; [unrolled: 1-line block ×3, first 2 shown]
	s_and_b32 s2, s0, vcc_lo
	s_delay_alu instid0(SALU_CYCLE_1)
	s_and_b32 s2, s2, s1
	s_branch .LBB1914_5
.LBB1914_4:                             ;   in Loop: Header=BB1914_5 Depth=1
	s_or_b32 exec_lo, exec_lo, s1
	s_add_i32 s3, s3, 32
	s_waitcnt_vscnt null, 0x0
	s_cmp_lt_i32 s3, s6
	s_barrier
	buffer_gl0_inv
	s_cbranch_scc0 .LBB1914_17
.LBB1914_5:                             ; =>This Inner Loop Header: Depth=1
	v_add_nc_u32_e32 v19, s3, v3
	v_mov_b32_e32 v21, 0
	s_delay_alu instid0(VALU_DEP_2) | instskip(NEXT) | instid1(VALU_DEP_1)
	v_cmp_gt_i32_e64 s1, s6, v19
	s_and_b32 s5, vcc_lo, s1
	s_delay_alu instid0(SALU_CYCLE_1)
	s_and_saveexec_b32 s8, s5
	s_cbranch_execz .LBB1914_7
; %bb.6:                                ;   in Loop: Header=BB1914_5 Depth=1
	v_mad_i64_i32 v[20:21], null, v19, s4, 0
	s_delay_alu instid0(VALU_DEP_1) | instskip(NEXT) | instid1(VALU_DEP_1)
	v_lshlrev_b64 v[20:21], 2, v[20:21]
	v_add_co_u32 v20, s1, v7, v20
	s_delay_alu instid0(VALU_DEP_1)
	v_add_co_ci_u32_e64 v21, s1, v8, v21, s1
	global_load_b32 v21, v[20:21], off
.LBB1914_7:                             ;   in Loop: Header=BB1914_5 Depth=1
	s_or_b32 exec_lo, exec_lo, s8
	v_add_nc_u32_e32 v20, s3, v2
	v_mov_b32_e32 v22, 0
	s_waitcnt vmcnt(0)
	ds_store_b32 v5, v21
	v_cmp_gt_i32_e64 s1, s6, v20
	s_delay_alu instid0(VALU_DEP_1) | instskip(NEXT) | instid1(SALU_CYCLE_1)
	s_and_b32 s8, s0, s1
	s_and_saveexec_b32 s9, s8
	s_cbranch_execz .LBB1914_9
; %bb.8:                                ;   in Loop: Header=BB1914_5 Depth=1
	v_mad_i64_i32 v[21:22], null, v20, s7, 0
	s_delay_alu instid0(VALU_DEP_1) | instskip(NEXT) | instid1(VALU_DEP_1)
	v_lshlrev_b64 v[21:22], 2, v[21:22]
	v_add_co_u32 v21, s1, v9, v21
	s_delay_alu instid0(VALU_DEP_1)
	v_add_co_ci_u32_e64 v22, s1, v10, v22, s1
	global_load_b32 v22, v[21:22], off
.LBB1914_9:                             ;   in Loop: Header=BB1914_5 Depth=1
	s_or_b32 exec_lo, exec_lo, s9
	s_waitcnt vmcnt(0)
	ds_store_b32 v11, v22
	s_waitcnt lgkmcnt(0)
	s_barrier
	buffer_gl0_inv
	s_and_saveexec_b32 s1, s2
	s_cbranch_execz .LBB1914_11
; %bb.10:                               ;   in Loop: Header=BB1914_5 Depth=1
	global_load_b32 v35, v[0:1], off
	ds_load_2addr_b32 v[29:30], v6 offset1:32
	ds_load_b128 v[21:24], v4
	ds_load_2addr_b32 v[31:32], v6 offset0:64 offset1:96
	ds_load_b128 v[25:28], v4 offset:16
	ds_load_2addr_b32 v[33:34], v6 offset0:128 offset1:160
	s_waitcnt lgkmcnt(3)
	v_fma_f32 v36, v21, v29, 0
	s_delay_alu instid0(VALU_DEP_1) | instskip(SKIP_3) | instid1(VALU_DEP_1)
	v_fmac_f32_e32 v36, v22, v30
	ds_load_2addr_b32 v[29:30], v6 offset0:192 offset1:224
	s_waitcnt lgkmcnt(3)
	v_fmac_f32_e32 v36, v23, v31
	v_fmac_f32_e32 v36, v24, v32
	ds_load_2addr_b32 v[31:32], v16 offset1:32
	ds_load_b128 v[21:24], v4 offset:32
	s_waitcnt lgkmcnt(3)
	v_fmac_f32_e32 v36, v25, v33
	s_delay_alu instid0(VALU_DEP_1) | instskip(SKIP_3) | instid1(VALU_DEP_1)
	v_fmac_f32_e32 v36, v26, v34
	ds_load_2addr_b32 v[33:34], v16 offset0:64 offset1:96
	s_waitcnt lgkmcnt(3)
	v_fmac_f32_e32 v36, v27, v29
	v_fmac_f32_e32 v36, v28, v30
	ds_load_b128 v[25:28], v4 offset:48
	ds_load_2addr_b32 v[29:30], v16 offset0:128 offset1:160
	s_waitcnt lgkmcnt(3)
	v_fmac_f32_e32 v36, v21, v31
	s_delay_alu instid0(VALU_DEP_1) | instskip(SKIP_3) | instid1(VALU_DEP_1)
	v_fmac_f32_e32 v36, v22, v32
	ds_load_2addr_b32 v[31:32], v16 offset0:192 offset1:224
	s_waitcnt lgkmcnt(3)
	v_fmac_f32_e32 v36, v23, v33
	v_fmac_f32_e32 v36, v24, v34
	ds_load_2addr_b32 v[33:34], v17 offset1:32
	ds_load_b128 v[21:24], v4 offset:64
	s_waitcnt lgkmcnt(3)
	v_fmac_f32_e32 v36, v25, v29
	s_delay_alu instid0(VALU_DEP_1) | instskip(SKIP_3) | instid1(VALU_DEP_1)
	v_fmac_f32_e32 v36, v26, v30
	ds_load_2addr_b32 v[29:30], v17 offset0:64 offset1:96
	s_waitcnt lgkmcnt(3)
	v_fmac_f32_e32 v36, v27, v31
	v_fmac_f32_e32 v36, v28, v32
	ds_load_b128 v[25:28], v4 offset:80
	ds_load_2addr_b32 v[31:32], v17 offset0:128 offset1:160
	s_waitcnt lgkmcnt(3)
	v_fmac_f32_e32 v36, v21, v33
	;; [unrolled: 20-line block ×3, first 2 shown]
	s_delay_alu instid0(VALU_DEP_1) | instskip(SKIP_3) | instid1(VALU_DEP_1)
	v_fmac_f32_e32 v36, v22, v30
	ds_load_2addr_b32 v[21:22], v18 offset0:192 offset1:224
	s_waitcnt lgkmcnt(3)
	v_fmac_f32_e32 v36, v23, v31
	v_fmac_f32_e32 v36, v24, v32
	s_waitcnt lgkmcnt(1)
	s_delay_alu instid0(VALU_DEP_1) | instskip(NEXT) | instid1(VALU_DEP_1)
	v_fmac_f32_e32 v36, v25, v33
	v_fmac_f32_e32 v36, v26, v34
	s_waitcnt lgkmcnt(0)
	s_delay_alu instid0(VALU_DEP_1) | instskip(NEXT) | instid1(VALU_DEP_1)
	v_fmac_f32_e32 v36, v27, v21
	v_fmac_f32_e32 v36, v28, v22
	s_waitcnt vmcnt(0)
	s_delay_alu instid0(VALU_DEP_1)
	v_fmac_f32_e32 v35, s16, v36
	global_store_b32 v[0:1], v35, off
.LBB1914_11:                            ;   in Loop: Header=BB1914_5 Depth=1
	s_or_b32 exec_lo, exec_lo, s1
	v_dual_mov_b32 v21, 0 :: v_dual_mov_b32 v22, 0
	s_waitcnt_vscnt null, 0x0
	s_barrier
	buffer_gl0_inv
	s_and_saveexec_b32 s9, s5
	s_cbranch_execz .LBB1914_13
; %bb.12:                               ;   in Loop: Header=BB1914_5 Depth=1
	v_mad_i64_i32 v[22:23], null, v19, s7, 0
	s_delay_alu instid0(VALU_DEP_1) | instskip(NEXT) | instid1(VALU_DEP_1)
	v_lshlrev_b64 v[22:23], 2, v[22:23]
	v_add_co_u32 v22, s1, v12, v22
	s_delay_alu instid0(VALU_DEP_1)
	v_add_co_ci_u32_e64 v23, s1, v13, v23, s1
	global_load_b32 v22, v[22:23], off
.LBB1914_13:                            ;   in Loop: Header=BB1914_5 Depth=1
	s_or_b32 exec_lo, exec_lo, s9
	s_waitcnt vmcnt(0)
	ds_store_b32 v5, v22
	s_and_saveexec_b32 s5, s8
	s_cbranch_execz .LBB1914_15
; %bb.14:                               ;   in Loop: Header=BB1914_5 Depth=1
	v_mad_i64_i32 v[21:22], null, v20, s4, 0
	s_delay_alu instid0(VALU_DEP_1) | instskip(NEXT) | instid1(VALU_DEP_1)
	v_lshlrev_b64 v[19:20], 2, v[21:22]
	v_add_co_u32 v19, s1, v14, v19
	s_delay_alu instid0(VALU_DEP_1)
	v_add_co_ci_u32_e64 v20, s1, v15, v20, s1
	global_load_b32 v21, v[19:20], off
.LBB1914_15:                            ;   in Loop: Header=BB1914_5 Depth=1
	s_or_b32 exec_lo, exec_lo, s5
	s_waitcnt vmcnt(0)
	ds_store_b32 v11, v21
	s_waitcnt lgkmcnt(0)
	s_barrier
	buffer_gl0_inv
	s_and_saveexec_b32 s1, s2
	s_cbranch_execz .LBB1914_4
; %bb.16:                               ;   in Loop: Header=BB1914_5 Depth=1
	global_load_b32 v33, v[0:1], off
	ds_load_2addr_b32 v[27:28], v6 offset1:32
	ds_load_b128 v[19:22], v4
	ds_load_2addr_b32 v[29:30], v6 offset0:64 offset1:96
	ds_load_b128 v[23:26], v4 offset:16
	ds_load_2addr_b32 v[31:32], v6 offset0:128 offset1:160
	s_waitcnt lgkmcnt(3)
	v_fma_f32 v34, v19, v27, 0
	s_delay_alu instid0(VALU_DEP_1) | instskip(SKIP_3) | instid1(VALU_DEP_1)
	v_fmac_f32_e32 v34, v20, v28
	ds_load_2addr_b32 v[27:28], v6 offset0:192 offset1:224
	s_waitcnt lgkmcnt(3)
	v_fmac_f32_e32 v34, v21, v29
	v_fmac_f32_e32 v34, v22, v30
	ds_load_2addr_b32 v[29:30], v16 offset1:32
	ds_load_b128 v[19:22], v4 offset:32
	s_waitcnt lgkmcnt(3)
	v_fmac_f32_e32 v34, v23, v31
	s_delay_alu instid0(VALU_DEP_1) | instskip(SKIP_3) | instid1(VALU_DEP_1)
	v_fmac_f32_e32 v34, v24, v32
	ds_load_2addr_b32 v[31:32], v16 offset0:64 offset1:96
	s_waitcnt lgkmcnt(3)
	v_fmac_f32_e32 v34, v25, v27
	v_fmac_f32_e32 v34, v26, v28
	ds_load_b128 v[23:26], v4 offset:48
	ds_load_2addr_b32 v[27:28], v16 offset0:128 offset1:160
	s_waitcnt lgkmcnt(3)
	v_fmac_f32_e32 v34, v19, v29
	s_delay_alu instid0(VALU_DEP_1) | instskip(SKIP_3) | instid1(VALU_DEP_1)
	v_fmac_f32_e32 v34, v20, v30
	ds_load_2addr_b32 v[29:30], v16 offset0:192 offset1:224
	s_waitcnt lgkmcnt(3)
	v_fmac_f32_e32 v34, v21, v31
	v_fmac_f32_e32 v34, v22, v32
	ds_load_2addr_b32 v[31:32], v17 offset1:32
	ds_load_b128 v[19:22], v4 offset:64
	s_waitcnt lgkmcnt(3)
	v_fmac_f32_e32 v34, v23, v27
	s_delay_alu instid0(VALU_DEP_1) | instskip(SKIP_3) | instid1(VALU_DEP_1)
	v_fmac_f32_e32 v34, v24, v28
	ds_load_2addr_b32 v[27:28], v17 offset0:64 offset1:96
	s_waitcnt lgkmcnt(3)
	v_fmac_f32_e32 v34, v25, v29
	v_fmac_f32_e32 v34, v26, v30
	ds_load_b128 v[23:26], v4 offset:80
	ds_load_2addr_b32 v[29:30], v17 offset0:128 offset1:160
	s_waitcnt lgkmcnt(3)
	v_fmac_f32_e32 v34, v19, v31
	;; [unrolled: 20-line block ×3, first 2 shown]
	s_delay_alu instid0(VALU_DEP_1) | instskip(SKIP_3) | instid1(VALU_DEP_1)
	v_fmac_f32_e32 v34, v20, v28
	ds_load_2addr_b32 v[19:20], v18 offset0:192 offset1:224
	s_waitcnt lgkmcnt(3)
	v_fmac_f32_e32 v34, v21, v29
	v_fmac_f32_e32 v34, v22, v30
	s_waitcnt lgkmcnt(1)
	s_delay_alu instid0(VALU_DEP_1) | instskip(NEXT) | instid1(VALU_DEP_1)
	v_fmac_f32_e32 v34, v23, v31
	v_fmac_f32_e32 v34, v24, v32
	s_waitcnt lgkmcnt(0)
	s_delay_alu instid0(VALU_DEP_1) | instskip(NEXT) | instid1(VALU_DEP_1)
	v_fmac_f32_e32 v34, v25, v19
	v_fmac_f32_e32 v34, v26, v20
	s_waitcnt vmcnt(0)
	s_delay_alu instid0(VALU_DEP_1)
	v_fmac_f32_e32 v33, s16, v34
	global_store_b32 v[0:1], v33, off
	s_branch .LBB1914_4
.LBB1914_17:
	s_endpgm
	.section	.rodata,"a",@progbits
	.p2align	6, 0x0
	.amdhsa_kernel _ZL26rocblas_syr2k_her2k_kernelIiLb1ELb0ELb0ELi32EPKfPKS1_PKPfEvbiT_T4_T5_S7_lS9_S7_lT6_S7_li
		.amdhsa_group_segment_fixed_size 8192
		.amdhsa_private_segment_fixed_size 0
		.amdhsa_kernarg_size 100
		.amdhsa_user_sgpr_count 13
		.amdhsa_user_sgpr_dispatch_ptr 0
		.amdhsa_user_sgpr_queue_ptr 0
		.amdhsa_user_sgpr_kernarg_segment_ptr 1
		.amdhsa_user_sgpr_dispatch_id 0
		.amdhsa_user_sgpr_private_segment_size 0
		.amdhsa_wavefront_size32 1
		.amdhsa_uses_dynamic_stack 0
		.amdhsa_enable_private_segment 0
		.amdhsa_system_sgpr_workgroup_id_x 1
		.amdhsa_system_sgpr_workgroup_id_y 1
		.amdhsa_system_sgpr_workgroup_id_z 1
		.amdhsa_system_sgpr_workgroup_info 0
		.amdhsa_system_vgpr_workitem_id 1
		.amdhsa_next_free_vgpr 37
		.amdhsa_next_free_sgpr 26
		.amdhsa_reserve_vcc 1
		.amdhsa_float_round_mode_32 0
		.amdhsa_float_round_mode_16_64 0
		.amdhsa_float_denorm_mode_32 3
		.amdhsa_float_denorm_mode_16_64 3
		.amdhsa_dx10_clamp 1
		.amdhsa_ieee_mode 1
		.amdhsa_fp16_overflow 0
		.amdhsa_workgroup_processor_mode 1
		.amdhsa_memory_ordered 1
		.amdhsa_forward_progress 0
		.amdhsa_shared_vgpr_count 0
		.amdhsa_exception_fp_ieee_invalid_op 0
		.amdhsa_exception_fp_denorm_src 0
		.amdhsa_exception_fp_ieee_div_zero 0
		.amdhsa_exception_fp_ieee_overflow 0
		.amdhsa_exception_fp_ieee_underflow 0
		.amdhsa_exception_fp_ieee_inexact 0
		.amdhsa_exception_int_div_zero 0
	.end_amdhsa_kernel
	.section	.text._ZL26rocblas_syr2k_her2k_kernelIiLb1ELb0ELb0ELi32EPKfPKS1_PKPfEvbiT_T4_T5_S7_lS9_S7_lT6_S7_li,"axG",@progbits,_ZL26rocblas_syr2k_her2k_kernelIiLb1ELb0ELb0ELi32EPKfPKS1_PKPfEvbiT_T4_T5_S7_lS9_S7_lT6_S7_li,comdat
.Lfunc_end1914:
	.size	_ZL26rocblas_syr2k_her2k_kernelIiLb1ELb0ELb0ELi32EPKfPKS1_PKPfEvbiT_T4_T5_S7_lS9_S7_lT6_S7_li, .Lfunc_end1914-_ZL26rocblas_syr2k_her2k_kernelIiLb1ELb0ELb0ELi32EPKfPKS1_PKPfEvbiT_T4_T5_S7_lS9_S7_lT6_S7_li
                                        ; -- End function
	.section	.AMDGPU.csdata,"",@progbits
; Kernel info:
; codeLenInByte = 1892
; NumSgprs: 28
; NumVgprs: 37
; ScratchSize: 0
; MemoryBound: 0
; FloatMode: 240
; IeeeMode: 1
; LDSByteSize: 8192 bytes/workgroup (compile time only)
; SGPRBlocks: 3
; VGPRBlocks: 4
; NumSGPRsForWavesPerEU: 28
; NumVGPRsForWavesPerEU: 37
; Occupancy: 16
; WaveLimiterHint : 1
; COMPUTE_PGM_RSRC2:SCRATCH_EN: 0
; COMPUTE_PGM_RSRC2:USER_SGPR: 13
; COMPUTE_PGM_RSRC2:TRAP_HANDLER: 0
; COMPUTE_PGM_RSRC2:TGID_X_EN: 1
; COMPUTE_PGM_RSRC2:TGID_Y_EN: 1
; COMPUTE_PGM_RSRC2:TGID_Z_EN: 1
; COMPUTE_PGM_RSRC2:TIDIG_COMP_CNT: 1
	.section	.text._ZL26rocblas_syr2k_her2k_kernelIiLb1ELb0ELb1ELi32EPKfPKS1_PKPfEvbiT_T4_T5_S7_lS9_S7_lT6_S7_li,"axG",@progbits,_ZL26rocblas_syr2k_her2k_kernelIiLb1ELb0ELb1ELi32EPKfPKS1_PKPfEvbiT_T4_T5_S7_lS9_S7_lT6_S7_li,comdat
	.globl	_ZL26rocblas_syr2k_her2k_kernelIiLb1ELb0ELb1ELi32EPKfPKS1_PKPfEvbiT_T4_T5_S7_lS9_S7_lT6_S7_li ; -- Begin function _ZL26rocblas_syr2k_her2k_kernelIiLb1ELb0ELb1ELi32EPKfPKS1_PKPfEvbiT_T4_T5_S7_lS9_S7_lT6_S7_li
	.p2align	8
	.type	_ZL26rocblas_syr2k_her2k_kernelIiLb1ELb0ELb1ELi32EPKfPKS1_PKPfEvbiT_T4_T5_S7_lS9_S7_lT6_S7_li,@function
_ZL26rocblas_syr2k_her2k_kernelIiLb1ELb0ELb1ELi32EPKfPKS1_PKPfEvbiT_T4_T5_S7_lS9_S7_lT6_S7_li: ; @_ZL26rocblas_syr2k_her2k_kernelIiLb1ELb0ELb1ELi32EPKfPKS1_PKPfEvbiT_T4_T5_S7_lS9_S7_lT6_S7_li
; %bb.0:
	s_load_b128 s[16:19], s[0:1], 0x10
	s_waitcnt lgkmcnt(0)
	s_load_b32 s16, s[16:17], 0x0
	s_waitcnt lgkmcnt(0)
	v_cmp_eq_f32_e64 s3, s16, 0
	s_delay_alu instid0(VALU_DEP_1)
	s_and_b32 vcc_lo, exec_lo, s3
	s_cbranch_vccnz .LBB1915_17
; %bb.1:
	s_load_b128 s[4:7], s[0:1], 0x0
	s_waitcnt lgkmcnt(0)
	s_lshl_b32 s7, s14, 5
	s_and_b32 s3, 1, s4
	s_lshl_b32 s4, s13, 5
	s_cmp_eq_u32 s3, 1
	s_cselect_b32 vcc_lo, -1, 0
	s_delay_alu instid0(SALU_CYCLE_1) | instskip(SKIP_2) | instid1(SALU_CYCLE_1)
	s_and_b32 s3, vcc_lo, exec_lo
	s_cselect_b32 s3, s4, s7
	s_cselect_b32 s8, s7, s4
	s_cmp_gt_i32 s3, s8
	s_cbranch_scc1 .LBB1915_17
; %bb.2:
	s_cmp_lt_i32 s6, 1
	s_cbranch_scc1 .LBB1915_17
; %bb.3:
	s_mov_b32 s2, s15
	s_clause 0x4
	s_load_b128 s[12:15], s[0:1], 0x28
	s_load_b32 s17, s[0:1], 0x20
	s_load_b32 s24, s[0:1], 0x38
	s_load_b128 s[8:11], s[0:1], 0x40
	s_load_b32 s25, s[0:1], 0x50
	s_mov_b32 s3, 0
	s_load_b64 s[22:23], s[0:1], 0x58
	s_lshl_b64 s[20:21], s[2:3], 3
	v_and_b32_e32 v6, 0x3ff, v0
	s_add_u32 s0, s18, s20
	s_addc_u32 s1, s19, s21
	v_bfe_u32 v7, v0, 10, 10
	s_load_b64 s[18:19], s[0:1], 0x0
	v_add_nc_u32_e32 v0, s4, v6
	v_lshlrev_b32_e32 v8, 7, v6
	s_delay_alu instid0(VALU_DEP_3) | instskip(SKIP_1) | instid1(VALU_DEP_4)
	v_add_nc_u32_e32 v18, s7, v7
	v_lshlrev_b32_e32 v12, 2, v7
	v_ashrrev_i32_e32 v1, 31, v0
	s_waitcnt lgkmcnt(0)
	s_add_u32 s0, s14, s20
	v_cndmask_b32_e32 v17, v18, v0, vcc_lo
	s_addc_u32 s1, s15, s21
	v_mad_i64_i32 v[2:3], null, s17, v0, 0
	s_load_b64 s[14:15], s[0:1], 0x0
	s_add_u32 s0, s10, s20
	s_addc_u32 s1, s11, s21
	v_mad_i64_i32 v[4:5], null, s24, v18, 0
	s_load_b64 s[10:11], s[0:1], 0x0
	s_delay_alu instid0(VALU_DEP_2) | instskip(SKIP_4) | instid1(VALU_DEP_3)
	v_lshlrev_b64 v[2:3], 2, v[2:3]
	s_lshl_b64 s[12:13], s[12:13], 2
	v_add_nc_u32_e32 v9, v8, v12
	s_add_u32 s7, s18, s12
	s_addc_u32 s12, s19, s13
	v_lshlrev_b64 v[4:5], 2, v[4:5]
	v_add_co_u32 v10, s1, s7, v2
	s_delay_alu instid0(VALU_DEP_1)
	v_add_co_ci_u32_e64 v11, s1, s12, v3, s1
	v_mad_i64_i32 v[2:3], null, s25, v18, 0
	v_cmp_gt_i32_e64 s0, s5, v18
	v_or_b32_e32 v12, 0x1000, v12
	v_cndmask_b32_e32 v16, v0, v18, vcc_lo
	v_cmp_gt_i32_e32 vcc_lo, s5, v0
	s_lshl_b64 s[4:5], s[8:9], 2
	s_delay_alu instid0(VALU_DEP_3) | instskip(SKIP_4) | instid1(VALU_DEP_1)
	v_add_nc_u32_e32 v21, 0x800, v12
	s_waitcnt lgkmcnt(0)
	s_add_u32 s8, s14, s4
	s_addc_u32 s9, s15, s5
	v_add_co_u32 v13, s1, s8, v4
	v_add_co_ci_u32_e64 v14, s1, s9, v5, s1
	v_lshlrev_b64 v[2:3], 2, v[2:3]
	v_mad_i64_i32 v[4:5], null, s24, v0, 0
	s_lshl_b64 s[4:5], s[22:23], 2
	v_cmp_le_i32_e64 s1, v17, v16
	v_mad_i64_i32 v[16:17], null, s17, v18, 0
	s_add_u32 s2, s10, s4
	v_lshlrev_b64 v[0:1], 2, v[0:1]
	s_addc_u32 s4, s11, s5
	v_add_co_u32 v18, s2, s2, v2
	s_delay_alu instid0(VALU_DEP_1) | instskip(SKIP_1) | instid1(VALU_DEP_3)
	v_add_co_ci_u32_e64 v19, s2, s4, v3, s2
	v_lshlrev_b64 v[2:3], 2, v[4:5]
	v_add_co_u32 v0, s2, v18, v0
	v_lshlrev_b64 v[4:5], 2, v[16:17]
	s_delay_alu instid0(VALU_DEP_4) | instskip(NEXT) | instid1(VALU_DEP_4)
	v_add_co_ci_u32_e64 v1, s2, v19, v1, s2
	v_add_co_u32 v16, s2, s8, v2
	s_delay_alu instid0(VALU_DEP_1) | instskip(NEXT) | instid1(VALU_DEP_4)
	v_add_co_ci_u32_e64 v17, s2, s9, v3, s2
	v_add_co_u32 v18, s2, s7, v4
	v_add_nc_u32_e32 v15, v12, v8
	v_add_co_ci_u32_e64 v19, s2, s12, v5, s2
	v_add_nc_u32_e32 v20, 0x400, v12
	v_add_nc_u32_e32 v22, 0xc00, v12
	s_and_b32 s2, s0, vcc_lo
	s_delay_alu instid0(SALU_CYCLE_1)
	s_and_b32 s2, s2, s1
	s_branch .LBB1915_5
.LBB1915_4:                             ;   in Loop: Header=BB1915_5 Depth=1
	s_or_b32 exec_lo, exec_lo, s1
	s_add_i32 s3, s3, 32
	s_waitcnt_vscnt null, 0x0
	s_cmp_lt_i32 s3, s6
	s_barrier
	buffer_gl0_inv
	s_cbranch_scc0 .LBB1915_17
.LBB1915_5:                             ; =>This Inner Loop Header: Depth=1
	v_dual_mov_b32 v23, 0 :: v_dual_add_nc_u32 v2, s3, v7
	s_delay_alu instid0(VALU_DEP_1) | instskip(SKIP_1) | instid1(VALU_DEP_2)
	v_cmp_gt_i32_e64 s1, s6, v2
	v_ashrrev_i32_e32 v3, 31, v2
	s_and_b32 s4, vcc_lo, s1
	s_delay_alu instid0(SALU_CYCLE_1)
	s_and_saveexec_b32 s5, s4
	s_cbranch_execz .LBB1915_7
; %bb.6:                                ;   in Loop: Header=BB1915_5 Depth=1
	s_delay_alu instid0(VALU_DEP_1) | instskip(NEXT) | instid1(VALU_DEP_1)
	v_lshlrev_b64 v[4:5], 2, v[2:3]
	v_add_co_u32 v4, s1, v10, v4
	s_delay_alu instid0(VALU_DEP_1)
	v_add_co_ci_u32_e64 v5, s1, v11, v5, s1
	global_load_b32 v23, v[4:5], off
.LBB1915_7:                             ;   in Loop: Header=BB1915_5 Depth=1
	s_or_b32 exec_lo, exec_lo, s5
	v_add_nc_u32_e32 v4, s3, v6
	v_mov_b32_e32 v24, 0
	s_waitcnt vmcnt(0)
	ds_store_b32 v9, v23
	v_cmp_gt_i32_e64 s1, s6, v4
	v_ashrrev_i32_e32 v5, 31, v4
	s_delay_alu instid0(VALU_DEP_2) | instskip(NEXT) | instid1(SALU_CYCLE_1)
	s_and_b32 s5, s0, s1
	s_and_saveexec_b32 s7, s5
	s_cbranch_execz .LBB1915_9
; %bb.8:                                ;   in Loop: Header=BB1915_5 Depth=1
	s_delay_alu instid0(VALU_DEP_1) | instskip(NEXT) | instid1(VALU_DEP_1)
	v_lshlrev_b64 v[23:24], 2, v[4:5]
	v_add_co_u32 v23, s1, v13, v23
	s_delay_alu instid0(VALU_DEP_1)
	v_add_co_ci_u32_e64 v24, s1, v14, v24, s1
	global_load_b32 v24, v[23:24], off
.LBB1915_9:                             ;   in Loop: Header=BB1915_5 Depth=1
	s_or_b32 exec_lo, exec_lo, s7
	s_waitcnt vmcnt(0)
	ds_store_b32 v15, v24
	s_waitcnt lgkmcnt(0)
	s_barrier
	buffer_gl0_inv
	s_and_saveexec_b32 s1, s2
	s_cbranch_execz .LBB1915_11
; %bb.10:                               ;   in Loop: Header=BB1915_5 Depth=1
	global_load_b32 v37, v[0:1], off
	ds_load_2addr_b32 v[31:32], v12 offset1:32
	ds_load_b128 v[23:26], v8
	ds_load_2addr_b32 v[33:34], v12 offset0:64 offset1:96
	ds_load_b128 v[27:30], v8 offset:16
	ds_load_2addr_b32 v[35:36], v12 offset0:128 offset1:160
	s_waitcnt lgkmcnt(3)
	v_fma_f32 v38, v23, v31, 0
	s_delay_alu instid0(VALU_DEP_1) | instskip(SKIP_3) | instid1(VALU_DEP_1)
	v_fmac_f32_e32 v38, v24, v32
	ds_load_2addr_b32 v[31:32], v12 offset0:192 offset1:224
	s_waitcnt lgkmcnt(3)
	v_fmac_f32_e32 v38, v25, v33
	v_fmac_f32_e32 v38, v26, v34
	ds_load_2addr_b32 v[33:34], v20 offset1:32
	ds_load_b128 v[23:26], v8 offset:32
	s_waitcnt lgkmcnt(3)
	v_fmac_f32_e32 v38, v27, v35
	s_delay_alu instid0(VALU_DEP_1) | instskip(SKIP_3) | instid1(VALU_DEP_1)
	v_fmac_f32_e32 v38, v28, v36
	ds_load_2addr_b32 v[35:36], v20 offset0:64 offset1:96
	s_waitcnt lgkmcnt(3)
	v_fmac_f32_e32 v38, v29, v31
	v_fmac_f32_e32 v38, v30, v32
	ds_load_b128 v[27:30], v8 offset:48
	ds_load_2addr_b32 v[31:32], v20 offset0:128 offset1:160
	s_waitcnt lgkmcnt(3)
	v_fmac_f32_e32 v38, v23, v33
	s_delay_alu instid0(VALU_DEP_1) | instskip(SKIP_3) | instid1(VALU_DEP_1)
	v_fmac_f32_e32 v38, v24, v34
	ds_load_2addr_b32 v[33:34], v20 offset0:192 offset1:224
	s_waitcnt lgkmcnt(3)
	v_fmac_f32_e32 v38, v25, v35
	v_fmac_f32_e32 v38, v26, v36
	ds_load_2addr_b32 v[35:36], v21 offset1:32
	ds_load_b128 v[23:26], v8 offset:64
	s_waitcnt lgkmcnt(3)
	v_fmac_f32_e32 v38, v27, v31
	s_delay_alu instid0(VALU_DEP_1) | instskip(SKIP_3) | instid1(VALU_DEP_1)
	v_fmac_f32_e32 v38, v28, v32
	ds_load_2addr_b32 v[31:32], v21 offset0:64 offset1:96
	s_waitcnt lgkmcnt(3)
	v_fmac_f32_e32 v38, v29, v33
	v_fmac_f32_e32 v38, v30, v34
	ds_load_b128 v[27:30], v8 offset:80
	ds_load_2addr_b32 v[33:34], v21 offset0:128 offset1:160
	s_waitcnt lgkmcnt(3)
	v_fmac_f32_e32 v38, v23, v35
	;; [unrolled: 20-line block ×3, first 2 shown]
	s_delay_alu instid0(VALU_DEP_1) | instskip(SKIP_3) | instid1(VALU_DEP_1)
	v_fmac_f32_e32 v38, v24, v32
	ds_load_2addr_b32 v[23:24], v22 offset0:192 offset1:224
	s_waitcnt lgkmcnt(3)
	v_fmac_f32_e32 v38, v25, v33
	v_fmac_f32_e32 v38, v26, v34
	s_waitcnt lgkmcnt(1)
	s_delay_alu instid0(VALU_DEP_1) | instskip(NEXT) | instid1(VALU_DEP_1)
	v_fmac_f32_e32 v38, v27, v35
	v_fmac_f32_e32 v38, v28, v36
	s_waitcnt lgkmcnt(0)
	s_delay_alu instid0(VALU_DEP_1) | instskip(NEXT) | instid1(VALU_DEP_1)
	v_fmac_f32_e32 v38, v29, v23
	v_fmac_f32_e32 v38, v30, v24
	s_waitcnt vmcnt(0)
	s_delay_alu instid0(VALU_DEP_1)
	v_fmac_f32_e32 v37, s16, v38
	global_store_b32 v[0:1], v37, off
.LBB1915_11:                            ;   in Loop: Header=BB1915_5 Depth=1
	s_or_b32 exec_lo, exec_lo, s1
	v_dual_mov_b32 v23, 0 :: v_dual_mov_b32 v24, 0
	s_waitcnt_vscnt null, 0x0
	s_barrier
	buffer_gl0_inv
	s_and_saveexec_b32 s7, s4
	s_cbranch_execz .LBB1915_13
; %bb.12:                               ;   in Loop: Header=BB1915_5 Depth=1
	v_lshlrev_b64 v[2:3], 2, v[2:3]
	s_delay_alu instid0(VALU_DEP_1) | instskip(NEXT) | instid1(VALU_DEP_1)
	v_add_co_u32 v2, s1, v16, v2
	v_add_co_ci_u32_e64 v3, s1, v17, v3, s1
	global_load_b32 v24, v[2:3], off
.LBB1915_13:                            ;   in Loop: Header=BB1915_5 Depth=1
	s_or_b32 exec_lo, exec_lo, s7
	s_waitcnt vmcnt(0)
	ds_store_b32 v9, v24
	s_and_saveexec_b32 s4, s5
	s_cbranch_execz .LBB1915_15
; %bb.14:                               ;   in Loop: Header=BB1915_5 Depth=1
	v_lshlrev_b64 v[2:3], 2, v[4:5]
	s_delay_alu instid0(VALU_DEP_1) | instskip(NEXT) | instid1(VALU_DEP_1)
	v_add_co_u32 v2, s1, v18, v2
	v_add_co_ci_u32_e64 v3, s1, v19, v3, s1
	global_load_b32 v23, v[2:3], off
.LBB1915_15:                            ;   in Loop: Header=BB1915_5 Depth=1
	s_or_b32 exec_lo, exec_lo, s4
	s_waitcnt vmcnt(0)
	ds_store_b32 v15, v23
	s_waitcnt lgkmcnt(0)
	s_barrier
	buffer_gl0_inv
	s_and_saveexec_b32 s1, s2
	s_cbranch_execz .LBB1915_4
; %bb.16:                               ;   in Loop: Header=BB1915_5 Depth=1
	global_load_b32 v33, v[0:1], off
	ds_load_2addr_b32 v[27:28], v12 offset1:32
	ds_load_b128 v[2:5], v8
	ds_load_2addr_b32 v[29:30], v12 offset0:64 offset1:96
	ds_load_b128 v[23:26], v8 offset:16
	ds_load_2addr_b32 v[31:32], v12 offset0:128 offset1:160
	s_waitcnt lgkmcnt(3)
	v_fma_f32 v34, v2, v27, 0
	s_delay_alu instid0(VALU_DEP_1) | instskip(SKIP_3) | instid1(VALU_DEP_1)
	v_fmac_f32_e32 v34, v3, v28
	ds_load_2addr_b32 v[27:28], v12 offset0:192 offset1:224
	s_waitcnt lgkmcnt(3)
	v_fmac_f32_e32 v34, v4, v29
	v_fmac_f32_e32 v34, v5, v30
	ds_load_2addr_b32 v[29:30], v20 offset1:32
	ds_load_b128 v[2:5], v8 offset:32
	s_waitcnt lgkmcnt(3)
	v_fmac_f32_e32 v34, v23, v31
	s_delay_alu instid0(VALU_DEP_1) | instskip(SKIP_3) | instid1(VALU_DEP_1)
	v_fmac_f32_e32 v34, v24, v32
	ds_load_2addr_b32 v[31:32], v20 offset0:64 offset1:96
	s_waitcnt lgkmcnt(3)
	v_fmac_f32_e32 v34, v25, v27
	v_fmac_f32_e32 v34, v26, v28
	ds_load_b128 v[23:26], v8 offset:48
	ds_load_2addr_b32 v[27:28], v20 offset0:128 offset1:160
	s_waitcnt lgkmcnt(3)
	v_fmac_f32_e32 v34, v2, v29
	s_delay_alu instid0(VALU_DEP_1) | instskip(SKIP_3) | instid1(VALU_DEP_1)
	v_fmac_f32_e32 v34, v3, v30
	ds_load_2addr_b32 v[29:30], v20 offset0:192 offset1:224
	s_waitcnt lgkmcnt(3)
	v_fmac_f32_e32 v34, v4, v31
	v_fmac_f32_e32 v34, v5, v32
	ds_load_2addr_b32 v[31:32], v21 offset1:32
	ds_load_b128 v[2:5], v8 offset:64
	s_waitcnt lgkmcnt(3)
	v_fmac_f32_e32 v34, v23, v27
	s_delay_alu instid0(VALU_DEP_1) | instskip(SKIP_3) | instid1(VALU_DEP_1)
	v_fmac_f32_e32 v34, v24, v28
	ds_load_2addr_b32 v[27:28], v21 offset0:64 offset1:96
	s_waitcnt lgkmcnt(3)
	v_fmac_f32_e32 v34, v25, v29
	v_fmac_f32_e32 v34, v26, v30
	ds_load_b128 v[23:26], v8 offset:80
	ds_load_2addr_b32 v[29:30], v21 offset0:128 offset1:160
	s_waitcnt lgkmcnt(3)
	v_fmac_f32_e32 v34, v2, v31
	;; [unrolled: 20-line block ×3, first 2 shown]
	s_delay_alu instid0(VALU_DEP_1) | instskip(SKIP_3) | instid1(VALU_DEP_1)
	v_fmac_f32_e32 v34, v3, v28
	ds_load_2addr_b32 v[2:3], v22 offset0:192 offset1:224
	s_waitcnt lgkmcnt(3)
	v_fmac_f32_e32 v34, v4, v29
	v_fmac_f32_e32 v34, v5, v30
	s_waitcnt lgkmcnt(1)
	s_delay_alu instid0(VALU_DEP_1) | instskip(NEXT) | instid1(VALU_DEP_1)
	v_fmac_f32_e32 v34, v23, v31
	v_fmac_f32_e32 v34, v24, v32
	s_waitcnt lgkmcnt(0)
	s_delay_alu instid0(VALU_DEP_1) | instskip(NEXT) | instid1(VALU_DEP_1)
	v_fmac_f32_e32 v34, v25, v2
	v_fmac_f32_e32 v34, v26, v3
	s_waitcnt vmcnt(0)
	s_delay_alu instid0(VALU_DEP_1)
	v_fmac_f32_e32 v33, s16, v34
	global_store_b32 v[0:1], v33, off
	s_branch .LBB1915_4
.LBB1915_17:
	s_endpgm
	.section	.rodata,"a",@progbits
	.p2align	6, 0x0
	.amdhsa_kernel _ZL26rocblas_syr2k_her2k_kernelIiLb1ELb0ELb1ELi32EPKfPKS1_PKPfEvbiT_T4_T5_S7_lS9_S7_lT6_S7_li
		.amdhsa_group_segment_fixed_size 8192
		.amdhsa_private_segment_fixed_size 0
		.amdhsa_kernarg_size 100
		.amdhsa_user_sgpr_count 13
		.amdhsa_user_sgpr_dispatch_ptr 0
		.amdhsa_user_sgpr_queue_ptr 0
		.amdhsa_user_sgpr_kernarg_segment_ptr 1
		.amdhsa_user_sgpr_dispatch_id 0
		.amdhsa_user_sgpr_private_segment_size 0
		.amdhsa_wavefront_size32 1
		.amdhsa_uses_dynamic_stack 0
		.amdhsa_enable_private_segment 0
		.amdhsa_system_sgpr_workgroup_id_x 1
		.amdhsa_system_sgpr_workgroup_id_y 1
		.amdhsa_system_sgpr_workgroup_id_z 1
		.amdhsa_system_sgpr_workgroup_info 0
		.amdhsa_system_vgpr_workitem_id 1
		.amdhsa_next_free_vgpr 39
		.amdhsa_next_free_sgpr 26
		.amdhsa_reserve_vcc 1
		.amdhsa_float_round_mode_32 0
		.amdhsa_float_round_mode_16_64 0
		.amdhsa_float_denorm_mode_32 3
		.amdhsa_float_denorm_mode_16_64 3
		.amdhsa_dx10_clamp 1
		.amdhsa_ieee_mode 1
		.amdhsa_fp16_overflow 0
		.amdhsa_workgroup_processor_mode 1
		.amdhsa_memory_ordered 1
		.amdhsa_forward_progress 0
		.amdhsa_shared_vgpr_count 0
		.amdhsa_exception_fp_ieee_invalid_op 0
		.amdhsa_exception_fp_denorm_src 0
		.amdhsa_exception_fp_ieee_div_zero 0
		.amdhsa_exception_fp_ieee_overflow 0
		.amdhsa_exception_fp_ieee_underflow 0
		.amdhsa_exception_fp_ieee_inexact 0
		.amdhsa_exception_int_div_zero 0
	.end_amdhsa_kernel
	.section	.text._ZL26rocblas_syr2k_her2k_kernelIiLb1ELb0ELb1ELi32EPKfPKS1_PKPfEvbiT_T4_T5_S7_lS9_S7_lT6_S7_li,"axG",@progbits,_ZL26rocblas_syr2k_her2k_kernelIiLb1ELb0ELb1ELi32EPKfPKS1_PKPfEvbiT_T4_T5_S7_lS9_S7_lT6_S7_li,comdat
.Lfunc_end1915:
	.size	_ZL26rocblas_syr2k_her2k_kernelIiLb1ELb0ELb1ELi32EPKfPKS1_PKPfEvbiT_T4_T5_S7_lS9_S7_lT6_S7_li, .Lfunc_end1915-_ZL26rocblas_syr2k_her2k_kernelIiLb1ELb0ELb1ELi32EPKfPKS1_PKPfEvbiT_T4_T5_S7_lS9_S7_lT6_S7_li
                                        ; -- End function
	.section	.AMDGPU.csdata,"",@progbits
; Kernel info:
; codeLenInByte = 1924
; NumSgprs: 28
; NumVgprs: 39
; ScratchSize: 0
; MemoryBound: 0
; FloatMode: 240
; IeeeMode: 1
; LDSByteSize: 8192 bytes/workgroup (compile time only)
; SGPRBlocks: 3
; VGPRBlocks: 4
; NumSGPRsForWavesPerEU: 28
; NumVGPRsForWavesPerEU: 39
; Occupancy: 16
; WaveLimiterHint : 1
; COMPUTE_PGM_RSRC2:SCRATCH_EN: 0
; COMPUTE_PGM_RSRC2:USER_SGPR: 13
; COMPUTE_PGM_RSRC2:TRAP_HANDLER: 0
; COMPUTE_PGM_RSRC2:TGID_X_EN: 1
; COMPUTE_PGM_RSRC2:TGID_Y_EN: 1
; COMPUTE_PGM_RSRC2:TGID_Z_EN: 1
; COMPUTE_PGM_RSRC2:TIDIG_COMP_CNT: 1
	.section	.text._ZL26rocblas_syr2k_her2k_kernelIiLb1ELb0ELb0ELi32EdPKPKdPKPdEvbiT_T4_T5_S7_lS9_S7_lT6_S7_li,"axG",@progbits,_ZL26rocblas_syr2k_her2k_kernelIiLb1ELb0ELb0ELi32EdPKPKdPKPdEvbiT_T4_T5_S7_lS9_S7_lT6_S7_li,comdat
	.globl	_ZL26rocblas_syr2k_her2k_kernelIiLb1ELb0ELb0ELi32EdPKPKdPKPdEvbiT_T4_T5_S7_lS9_S7_lT6_S7_li ; -- Begin function _ZL26rocblas_syr2k_her2k_kernelIiLb1ELb0ELb0ELi32EdPKPKdPKPdEvbiT_T4_T5_S7_lS9_S7_lT6_S7_li
	.p2align	8
	.type	_ZL26rocblas_syr2k_her2k_kernelIiLb1ELb0ELb0ELi32EdPKPKdPKPdEvbiT_T4_T5_S7_lS9_S7_lT6_S7_li,@function
_ZL26rocblas_syr2k_her2k_kernelIiLb1ELb0ELb0ELi32EdPKPKdPKPdEvbiT_T4_T5_S7_lS9_S7_lT6_S7_li: ; @_ZL26rocblas_syr2k_her2k_kernelIiLb1ELb0ELb0ELi32EdPKPKdPKPdEvbiT_T4_T5_S7_lS9_S7_lT6_S7_li
; %bb.0:
	s_load_b128 s[4:7], s[0:1], 0x10
	s_waitcnt lgkmcnt(0)
	v_cmp_eq_f64_e64 s3, s[4:5], 0
	s_delay_alu instid0(VALU_DEP_1)
	s_and_b32 vcc_lo, exec_lo, s3
	s_cbranch_vccnz .LBB1916_17
; %bb.1:
	s_load_b128 s[8:11], s[0:1], 0x0
	s_lshl_b32 s20, s14, 5
	s_lshl_b32 s21, s13, 5
	s_waitcnt lgkmcnt(0)
	s_and_b32 s3, 1, s8
	s_delay_alu instid0(SALU_CYCLE_1) | instskip(SKIP_1) | instid1(SALU_CYCLE_1)
	s_cmp_eq_u32 s3, 1
	s_cselect_b32 vcc_lo, -1, 0
	s_and_b32 s3, vcc_lo, exec_lo
	s_cselect_b32 s3, s21, s20
	s_cselect_b32 s8, s20, s21
	s_delay_alu instid0(SALU_CYCLE_1)
	s_cmp_gt_i32 s3, s8
	s_cbranch_scc1 .LBB1916_17
; %bb.2:
	s_cmp_lt_i32 s10, 1
	s_cbranch_scc1 .LBB1916_17
; %bb.3:
	s_mov_b32 s2, s15
	s_clause 0x4
	s_load_b128 s[16:19], s[0:1], 0x28
	s_load_b32 s8, s[0:1], 0x20
	s_load_b32 s11, s[0:1], 0x38
	s_load_b128 s[12:15], s[0:1], 0x40
	s_load_b32 s26, s[0:1], 0x50
	s_mov_b32 s3, 0
	s_load_b64 s[24:25], s[0:1], 0x58
	s_lshl_b64 s[22:23], s[2:3], 3
	v_and_b32_e32 v6, 0x3ff, v0
	s_add_u32 s0, s6, s22
	s_addc_u32 s1, s7, s23
	v_bfe_u32 v7, v0, 10, 10
	s_load_b64 s[6:7], s[0:1], 0x0
	v_add_nc_u32_e32 v2, s21, v6
	s_delay_alu instid0(VALU_DEP_2) | instskip(SKIP_1) | instid1(VALU_DEP_3)
	v_add_nc_u32_e32 v0, s20, v7
	v_lshlrev_b32_e32 v4, 3, v7
	v_ashrrev_i32_e32 v3, 31, v2
	s_waitcnt lgkmcnt(0)
	s_add_u32 s0, s18, s22
	v_cndmask_b32_e32 v17, v0, v2, vcc_lo
	s_addc_u32 s1, s19, s23
	v_lshlrev_b32_e32 v8, 8, v6
	s_load_b64 s[18:19], s[0:1], 0x0
	s_add_u32 s0, s14, s22
	s_addc_u32 s1, s15, s23
	v_ashrrev_i32_e32 v1, 31, v0
	s_load_b64 s[14:15], s[0:1], 0x0
	v_mad_i64_i32 v[13:14], null, s26, v0, 0
	v_or_b32_e32 v10, 0x2000, v4
	v_cndmask_b32_e32 v16, v2, v0, vcc_lo
	v_cmp_gt_i32_e32 vcc_lo, s9, v2
	v_lshlrev_b64 v[2:3], 3, v[2:3]
	s_lshl_b64 s[16:17], s[16:17], 3
	v_add_nc_u32_e32 v21, 0x1000, v10
	v_add_nc_u32_e32 v9, v8, v4
	v_lshlrev_b64 v[4:5], 3, v[0:1]
	v_cmp_gt_i32_e64 s0, s9, v0
	s_add_u32 s9, s6, s16
	s_addc_u32 s16, s7, s17
	s_lshl_b64 s[6:7], s[12:13], 3
	v_add_co_u32 v11, s1, s9, v2
	v_lshlrev_b64 v[0:1], 3, v[13:14]
	s_waitcnt lgkmcnt(0)
	s_add_u32 s12, s18, s6
	s_addc_u32 s13, s19, s7
	s_lshl_b64 s[6:7], s[24:25], 3
	v_add_co_ci_u32_e64 v12, s1, s16, v3, s1
	v_add_co_u32 v13, s1, s12, v4
	s_add_u32 s2, s14, s6
	v_add_co_ci_u32_e64 v14, s1, s13, v5, s1
	s_addc_u32 s6, s15, s7
	v_add_co_u32 v0, s1, s2, v0
	s_delay_alu instid0(VALU_DEP_1) | instskip(SKIP_1) | instid1(VALU_DEP_3)
	v_add_co_ci_u32_e64 v1, s1, s6, v1, s1
	v_cmp_le_i32_e64 s1, v17, v16
	v_add_co_u32 v0, s2, v0, v2
	s_delay_alu instid0(VALU_DEP_1) | instskip(SKIP_1) | instid1(VALU_DEP_1)
	v_add_co_ci_u32_e64 v1, s2, v1, v3, s2
	v_add_co_u32 v16, s2, s12, v2
	v_add_co_ci_u32_e64 v17, s2, s13, v3, s2
	v_add_co_u32 v18, s2, s9, v4
	v_add_nc_u32_e32 v15, v10, v8
	v_add_co_ci_u32_e64 v19, s2, s16, v5, s2
	v_add_nc_u32_e32 v20, 0x800, v10
	v_add_nc_u32_e32 v22, 0x1800, v10
	s_and_b32 s2, s0, vcc_lo
	s_delay_alu instid0(SALU_CYCLE_1)
	s_and_b32 s2, s2, s1
	s_branch .LBB1916_5
.LBB1916_4:                             ;   in Loop: Header=BB1916_5 Depth=1
	s_or_b32 exec_lo, exec_lo, s1
	s_add_i32 s3, s3, 32
	s_waitcnt_vscnt null, 0x0
	s_cmp_lt_i32 s3, s10
	s_barrier
	buffer_gl0_inv
	s_cbranch_scc0 .LBB1916_17
.LBB1916_5:                             ; =>This Inner Loop Header: Depth=1
	v_dual_mov_b32 v2, 0 :: v_dual_add_nc_u32 v23, s3, v7
	v_mov_b32_e32 v3, 0
	s_delay_alu instid0(VALU_DEP_2) | instskip(NEXT) | instid1(VALU_DEP_2)
	v_cmp_gt_i32_e64 s1, s10, v23
	v_dual_mov_b32 v5, v3 :: v_dual_mov_b32 v4, v2
	s_delay_alu instid0(VALU_DEP_2) | instskip(NEXT) | instid1(SALU_CYCLE_1)
	s_and_b32 s6, vcc_lo, s1
	s_and_saveexec_b32 s7, s6
	s_cbranch_execz .LBB1916_7
; %bb.6:                                ;   in Loop: Header=BB1916_5 Depth=1
	v_mad_i64_i32 v[4:5], null, v23, s8, 0
	s_delay_alu instid0(VALU_DEP_1) | instskip(NEXT) | instid1(VALU_DEP_1)
	v_lshlrev_b64 v[4:5], 3, v[4:5]
	v_add_co_u32 v4, s1, v11, v4
	s_delay_alu instid0(VALU_DEP_1)
	v_add_co_ci_u32_e64 v5, s1, v12, v5, s1
	global_load_b64 v[4:5], v[4:5], off
.LBB1916_7:                             ;   in Loop: Header=BB1916_5 Depth=1
	s_or_b32 exec_lo, exec_lo, s7
	v_add_nc_u32_e32 v24, s3, v6
	s_waitcnt vmcnt(0)
	ds_store_b64 v9, v[4:5]
	v_cmp_gt_i32_e64 s1, s10, v24
	s_delay_alu instid0(VALU_DEP_1) | instskip(NEXT) | instid1(SALU_CYCLE_1)
	s_and_b32 s7, s0, s1
	s_and_saveexec_b32 s9, s7
	s_cbranch_execz .LBB1916_9
; %bb.8:                                ;   in Loop: Header=BB1916_5 Depth=1
	v_mad_i64_i32 v[2:3], null, v24, s11, 0
	s_delay_alu instid0(VALU_DEP_1) | instskip(NEXT) | instid1(VALU_DEP_1)
	v_lshlrev_b64 v[2:3], 3, v[2:3]
	v_add_co_u32 v2, s1, v13, v2
	s_delay_alu instid0(VALU_DEP_1)
	v_add_co_ci_u32_e64 v3, s1, v14, v3, s1
	global_load_b64 v[2:3], v[2:3], off
.LBB1916_9:                             ;   in Loop: Header=BB1916_5 Depth=1
	s_or_b32 exec_lo, exec_lo, s9
	s_waitcnt vmcnt(0)
	ds_store_b64 v15, v[2:3]
	s_waitcnt lgkmcnt(0)
	s_barrier
	buffer_gl0_inv
	s_and_saveexec_b32 s1, s2
	s_cbranch_execz .LBB1916_11
; %bb.10:                               ;   in Loop: Header=BB1916_5 Depth=1
	ds_load_2addr_b64 v[2:5], v10 offset1:32
	ds_load_b128 v[25:28], v8
	ds_load_b128 v[29:32], v8 offset:16
	s_waitcnt lgkmcnt(1)
	v_fma_f64 v[2:3], v[25:26], v[2:3], 0
	s_delay_alu instid0(VALU_DEP_1) | instskip(SKIP_3) | instid1(VALU_DEP_1)
	v_fma_f64 v[25:26], v[27:28], v[4:5], v[2:3]
	ds_load_2addr_b64 v[2:5], v10 offset0:64 offset1:96
	s_waitcnt lgkmcnt(0)
	v_fma_f64 v[2:3], v[29:30], v[2:3], v[25:26]
	v_fma_f64 v[33:34], v[31:32], v[4:5], v[2:3]
	ds_load_2addr_b64 v[2:5], v10 offset0:128 offset1:160
	ds_load_b128 v[25:28], v8 offset:32
	ds_load_b128 v[29:32], v8 offset:48
	s_waitcnt lgkmcnt(1)
	v_fma_f64 v[2:3], v[25:26], v[2:3], v[33:34]
	s_delay_alu instid0(VALU_DEP_1) | instskip(SKIP_3) | instid1(VALU_DEP_1)
	v_fma_f64 v[25:26], v[27:28], v[4:5], v[2:3]
	ds_load_2addr_b64 v[2:5], v10 offset0:192 offset1:224
	s_waitcnt lgkmcnt(0)
	v_fma_f64 v[2:3], v[29:30], v[2:3], v[25:26]
	v_fma_f64 v[33:34], v[31:32], v[4:5], v[2:3]
	ds_load_2addr_b64 v[2:5], v20 offset1:32
	ds_load_b128 v[25:28], v8 offset:64
	ds_load_b128 v[29:32], v8 offset:80
	s_waitcnt lgkmcnt(1)
	v_fma_f64 v[2:3], v[25:26], v[2:3], v[33:34]
	s_delay_alu instid0(VALU_DEP_1) | instskip(SKIP_3) | instid1(VALU_DEP_1)
	v_fma_f64 v[25:26], v[27:28], v[4:5], v[2:3]
	ds_load_2addr_b64 v[2:5], v20 offset0:64 offset1:96
	s_waitcnt lgkmcnt(0)
	v_fma_f64 v[2:3], v[29:30], v[2:3], v[25:26]
	v_fma_f64 v[33:34], v[31:32], v[4:5], v[2:3]
	ds_load_2addr_b64 v[2:5], v20 offset0:128 offset1:160
	ds_load_b128 v[25:28], v8 offset:96
	ds_load_b128 v[29:32], v8 offset:112
	s_waitcnt lgkmcnt(1)
	v_fma_f64 v[2:3], v[25:26], v[2:3], v[33:34]
	s_delay_alu instid0(VALU_DEP_1) | instskip(SKIP_3) | instid1(VALU_DEP_1)
	v_fma_f64 v[25:26], v[27:28], v[4:5], v[2:3]
	ds_load_2addr_b64 v[2:5], v20 offset0:192 offset1:224
	s_waitcnt lgkmcnt(0)
	v_fma_f64 v[2:3], v[29:30], v[2:3], v[25:26]
	v_fma_f64 v[33:34], v[31:32], v[4:5], v[2:3]
	ds_load_2addr_b64 v[2:5], v21 offset1:32
	ds_load_b128 v[25:28], v8 offset:128
	;; [unrolled: 22-line block ×3, first 2 shown]
	global_load_b64 v[35:36], v[0:1], off
	ds_load_b128 v[29:32], v8 offset:208
	s_waitcnt lgkmcnt(1)
	v_fma_f64 v[2:3], v[25:26], v[2:3], v[33:34]
	s_delay_alu instid0(VALU_DEP_1) | instskip(SKIP_3) | instid1(VALU_DEP_1)
	v_fma_f64 v[25:26], v[27:28], v[4:5], v[2:3]
	ds_load_2addr_b64 v[2:5], v22 offset0:64 offset1:96
	s_waitcnt lgkmcnt(0)
	v_fma_f64 v[2:3], v[29:30], v[2:3], v[25:26]
	v_fma_f64 v[33:34], v[31:32], v[4:5], v[2:3]
	ds_load_2addr_b64 v[2:5], v22 offset0:128 offset1:160
	ds_load_b128 v[25:28], v8 offset:224
	ds_load_b128 v[29:32], v8 offset:240
	s_waitcnt lgkmcnt(1)
	v_fma_f64 v[2:3], v[25:26], v[2:3], v[33:34]
	s_delay_alu instid0(VALU_DEP_1) | instskip(SKIP_3) | instid1(VALU_DEP_1)
	v_fma_f64 v[25:26], v[27:28], v[4:5], v[2:3]
	ds_load_2addr_b64 v[2:5], v22 offset0:192 offset1:224
	s_waitcnt lgkmcnt(0)
	v_fma_f64 v[2:3], v[29:30], v[2:3], v[25:26]
	v_fma_f64 v[2:3], v[31:32], v[4:5], v[2:3]
	s_waitcnt vmcnt(0)
	s_delay_alu instid0(VALU_DEP_1)
	v_fma_f64 v[2:3], v[2:3], s[4:5], v[35:36]
	global_store_b64 v[0:1], v[2:3], off
.LBB1916_11:                            ;   in Loop: Header=BB1916_5 Depth=1
	s_or_b32 exec_lo, exec_lo, s1
	v_mov_b32_e32 v2, 0
	v_mov_b32_e32 v3, 0
	s_waitcnt_vscnt null, 0x0
	s_barrier
	buffer_gl0_inv
	v_dual_mov_b32 v5, v3 :: v_dual_mov_b32 v4, v2
	s_and_saveexec_b32 s9, s6
	s_cbranch_execz .LBB1916_13
; %bb.12:                               ;   in Loop: Header=BB1916_5 Depth=1
	v_mad_i64_i32 v[4:5], null, v23, s11, 0
	s_delay_alu instid0(VALU_DEP_1) | instskip(NEXT) | instid1(VALU_DEP_1)
	v_lshlrev_b64 v[4:5], 3, v[4:5]
	v_add_co_u32 v4, s1, v16, v4
	s_delay_alu instid0(VALU_DEP_1)
	v_add_co_ci_u32_e64 v5, s1, v17, v5, s1
	global_load_b64 v[4:5], v[4:5], off
.LBB1916_13:                            ;   in Loop: Header=BB1916_5 Depth=1
	s_or_b32 exec_lo, exec_lo, s9
	s_waitcnt vmcnt(0)
	ds_store_b64 v9, v[4:5]
	s_and_saveexec_b32 s6, s7
	s_cbranch_execz .LBB1916_15
; %bb.14:                               ;   in Loop: Header=BB1916_5 Depth=1
	v_mad_i64_i32 v[2:3], null, v24, s8, 0
	s_delay_alu instid0(VALU_DEP_1) | instskip(NEXT) | instid1(VALU_DEP_1)
	v_lshlrev_b64 v[2:3], 3, v[2:3]
	v_add_co_u32 v2, s1, v18, v2
	s_delay_alu instid0(VALU_DEP_1)
	v_add_co_ci_u32_e64 v3, s1, v19, v3, s1
	global_load_b64 v[2:3], v[2:3], off
.LBB1916_15:                            ;   in Loop: Header=BB1916_5 Depth=1
	s_or_b32 exec_lo, exec_lo, s6
	s_waitcnt vmcnt(0)
	ds_store_b64 v15, v[2:3]
	s_waitcnt lgkmcnt(0)
	s_barrier
	buffer_gl0_inv
	s_and_saveexec_b32 s1, s2
	s_cbranch_execz .LBB1916_4
; %bb.16:                               ;   in Loop: Header=BB1916_5 Depth=1
	ds_load_2addr_b64 v[2:5], v10 offset1:32
	ds_load_b128 v[23:26], v8
	ds_load_b128 v[27:30], v8 offset:16
	s_waitcnt lgkmcnt(1)
	v_fma_f64 v[2:3], v[23:24], v[2:3], 0
	s_delay_alu instid0(VALU_DEP_1) | instskip(SKIP_3) | instid1(VALU_DEP_1)
	v_fma_f64 v[23:24], v[25:26], v[4:5], v[2:3]
	ds_load_2addr_b64 v[2:5], v10 offset0:64 offset1:96
	s_waitcnt lgkmcnt(0)
	v_fma_f64 v[2:3], v[27:28], v[2:3], v[23:24]
	v_fma_f64 v[31:32], v[29:30], v[4:5], v[2:3]
	ds_load_2addr_b64 v[2:5], v10 offset0:128 offset1:160
	ds_load_b128 v[23:26], v8 offset:32
	ds_load_b128 v[27:30], v8 offset:48
	s_waitcnt lgkmcnt(1)
	v_fma_f64 v[2:3], v[23:24], v[2:3], v[31:32]
	s_delay_alu instid0(VALU_DEP_1) | instskip(SKIP_3) | instid1(VALU_DEP_1)
	v_fma_f64 v[23:24], v[25:26], v[4:5], v[2:3]
	ds_load_2addr_b64 v[2:5], v10 offset0:192 offset1:224
	s_waitcnt lgkmcnt(0)
	v_fma_f64 v[2:3], v[27:28], v[2:3], v[23:24]
	v_fma_f64 v[31:32], v[29:30], v[4:5], v[2:3]
	ds_load_2addr_b64 v[2:5], v20 offset1:32
	ds_load_b128 v[23:26], v8 offset:64
	ds_load_b128 v[27:30], v8 offset:80
	s_waitcnt lgkmcnt(1)
	v_fma_f64 v[2:3], v[23:24], v[2:3], v[31:32]
	s_delay_alu instid0(VALU_DEP_1) | instskip(SKIP_3) | instid1(VALU_DEP_1)
	v_fma_f64 v[23:24], v[25:26], v[4:5], v[2:3]
	ds_load_2addr_b64 v[2:5], v20 offset0:64 offset1:96
	s_waitcnt lgkmcnt(0)
	v_fma_f64 v[2:3], v[27:28], v[2:3], v[23:24]
	v_fma_f64 v[31:32], v[29:30], v[4:5], v[2:3]
	ds_load_2addr_b64 v[2:5], v20 offset0:128 offset1:160
	ds_load_b128 v[23:26], v8 offset:96
	ds_load_b128 v[27:30], v8 offset:112
	s_waitcnt lgkmcnt(1)
	v_fma_f64 v[2:3], v[23:24], v[2:3], v[31:32]
	s_delay_alu instid0(VALU_DEP_1) | instskip(SKIP_3) | instid1(VALU_DEP_1)
	v_fma_f64 v[23:24], v[25:26], v[4:5], v[2:3]
	ds_load_2addr_b64 v[2:5], v20 offset0:192 offset1:224
	s_waitcnt lgkmcnt(0)
	v_fma_f64 v[2:3], v[27:28], v[2:3], v[23:24]
	v_fma_f64 v[31:32], v[29:30], v[4:5], v[2:3]
	ds_load_2addr_b64 v[2:5], v21 offset1:32
	ds_load_b128 v[23:26], v8 offset:128
	;; [unrolled: 22-line block ×3, first 2 shown]
	global_load_b64 v[33:34], v[0:1], off
	ds_load_b128 v[27:30], v8 offset:208
	s_waitcnt lgkmcnt(1)
	v_fma_f64 v[2:3], v[23:24], v[2:3], v[31:32]
	s_delay_alu instid0(VALU_DEP_1) | instskip(SKIP_3) | instid1(VALU_DEP_1)
	v_fma_f64 v[23:24], v[25:26], v[4:5], v[2:3]
	ds_load_2addr_b64 v[2:5], v22 offset0:64 offset1:96
	s_waitcnt lgkmcnt(0)
	v_fma_f64 v[2:3], v[27:28], v[2:3], v[23:24]
	v_fma_f64 v[31:32], v[29:30], v[4:5], v[2:3]
	ds_load_2addr_b64 v[2:5], v22 offset0:128 offset1:160
	ds_load_b128 v[23:26], v8 offset:224
	ds_load_b128 v[27:30], v8 offset:240
	s_waitcnt lgkmcnt(1)
	v_fma_f64 v[2:3], v[23:24], v[2:3], v[31:32]
	s_delay_alu instid0(VALU_DEP_1) | instskip(SKIP_3) | instid1(VALU_DEP_1)
	v_fma_f64 v[23:24], v[25:26], v[4:5], v[2:3]
	ds_load_2addr_b64 v[2:5], v22 offset0:192 offset1:224
	s_waitcnt lgkmcnt(0)
	v_fma_f64 v[2:3], v[27:28], v[2:3], v[23:24]
	v_fma_f64 v[2:3], v[29:30], v[4:5], v[2:3]
	s_waitcnt vmcnt(0)
	s_delay_alu instid0(VALU_DEP_1)
	v_fma_f64 v[2:3], v[2:3], s[4:5], v[33:34]
	global_store_b64 v[0:1], v[2:3], off
	s_branch .LBB1916_4
.LBB1916_17:
	s_endpgm
	.section	.rodata,"a",@progbits
	.p2align	6, 0x0
	.amdhsa_kernel _ZL26rocblas_syr2k_her2k_kernelIiLb1ELb0ELb0ELi32EdPKPKdPKPdEvbiT_T4_T5_S7_lS9_S7_lT6_S7_li
		.amdhsa_group_segment_fixed_size 16384
		.amdhsa_private_segment_fixed_size 0
		.amdhsa_kernarg_size 100
		.amdhsa_user_sgpr_count 13
		.amdhsa_user_sgpr_dispatch_ptr 0
		.amdhsa_user_sgpr_queue_ptr 0
		.amdhsa_user_sgpr_kernarg_segment_ptr 1
		.amdhsa_user_sgpr_dispatch_id 0
		.amdhsa_user_sgpr_private_segment_size 0
		.amdhsa_wavefront_size32 1
		.amdhsa_uses_dynamic_stack 0
		.amdhsa_enable_private_segment 0
		.amdhsa_system_sgpr_workgroup_id_x 1
		.amdhsa_system_sgpr_workgroup_id_y 1
		.amdhsa_system_sgpr_workgroup_id_z 1
		.amdhsa_system_sgpr_workgroup_info 0
		.amdhsa_system_vgpr_workitem_id 1
		.amdhsa_next_free_vgpr 37
		.amdhsa_next_free_sgpr 27
		.amdhsa_reserve_vcc 1
		.amdhsa_float_round_mode_32 0
		.amdhsa_float_round_mode_16_64 0
		.amdhsa_float_denorm_mode_32 3
		.amdhsa_float_denorm_mode_16_64 3
		.amdhsa_dx10_clamp 1
		.amdhsa_ieee_mode 1
		.amdhsa_fp16_overflow 0
		.amdhsa_workgroup_processor_mode 1
		.amdhsa_memory_ordered 1
		.amdhsa_forward_progress 0
		.amdhsa_shared_vgpr_count 0
		.amdhsa_exception_fp_ieee_invalid_op 0
		.amdhsa_exception_fp_denorm_src 0
		.amdhsa_exception_fp_ieee_div_zero 0
		.amdhsa_exception_fp_ieee_overflow 0
		.amdhsa_exception_fp_ieee_underflow 0
		.amdhsa_exception_fp_ieee_inexact 0
		.amdhsa_exception_int_div_zero 0
	.end_amdhsa_kernel
	.section	.text._ZL26rocblas_syr2k_her2k_kernelIiLb1ELb0ELb0ELi32EdPKPKdPKPdEvbiT_T4_T5_S7_lS9_S7_lT6_S7_li,"axG",@progbits,_ZL26rocblas_syr2k_her2k_kernelIiLb1ELb0ELb0ELi32EdPKPKdPKPdEvbiT_T4_T5_S7_lS9_S7_lT6_S7_li,comdat
.Lfunc_end1916:
	.size	_ZL26rocblas_syr2k_her2k_kernelIiLb1ELb0ELb0ELi32EdPKPKdPKPdEvbiT_T4_T5_S7_lS9_S7_lT6_S7_li, .Lfunc_end1916-_ZL26rocblas_syr2k_her2k_kernelIiLb1ELb0ELb0ELi32EdPKPKdPKPdEvbiT_T4_T5_S7_lS9_S7_lT6_S7_li
                                        ; -- End function
	.section	.AMDGPU.csdata,"",@progbits
; Kernel info:
; codeLenInByte = 2272
; NumSgprs: 29
; NumVgprs: 37
; ScratchSize: 0
; MemoryBound: 0
; FloatMode: 240
; IeeeMode: 1
; LDSByteSize: 16384 bytes/workgroup (compile time only)
; SGPRBlocks: 3
; VGPRBlocks: 4
; NumSGPRsForWavesPerEU: 29
; NumVGPRsForWavesPerEU: 37
; Occupancy: 16
; WaveLimiterHint : 1
; COMPUTE_PGM_RSRC2:SCRATCH_EN: 0
; COMPUTE_PGM_RSRC2:USER_SGPR: 13
; COMPUTE_PGM_RSRC2:TRAP_HANDLER: 0
; COMPUTE_PGM_RSRC2:TGID_X_EN: 1
; COMPUTE_PGM_RSRC2:TGID_Y_EN: 1
; COMPUTE_PGM_RSRC2:TGID_Z_EN: 1
; COMPUTE_PGM_RSRC2:TIDIG_COMP_CNT: 1
	.section	.text._ZL26rocblas_syr2k_her2k_kernelIiLb1ELb0ELb1ELi32EdPKPKdPKPdEvbiT_T4_T5_S7_lS9_S7_lT6_S7_li,"axG",@progbits,_ZL26rocblas_syr2k_her2k_kernelIiLb1ELb0ELb1ELi32EdPKPKdPKPdEvbiT_T4_T5_S7_lS9_S7_lT6_S7_li,comdat
	.globl	_ZL26rocblas_syr2k_her2k_kernelIiLb1ELb0ELb1ELi32EdPKPKdPKPdEvbiT_T4_T5_S7_lS9_S7_lT6_S7_li ; -- Begin function _ZL26rocblas_syr2k_her2k_kernelIiLb1ELb0ELb1ELi32EdPKPKdPKPdEvbiT_T4_T5_S7_lS9_S7_lT6_S7_li
	.p2align	8
	.type	_ZL26rocblas_syr2k_her2k_kernelIiLb1ELb0ELb1ELi32EdPKPKdPKPdEvbiT_T4_T5_S7_lS9_S7_lT6_S7_li,@function
_ZL26rocblas_syr2k_her2k_kernelIiLb1ELb0ELb1ELi32EdPKPKdPKPdEvbiT_T4_T5_S7_lS9_S7_lT6_S7_li: ; @_ZL26rocblas_syr2k_her2k_kernelIiLb1ELb0ELb1ELi32EdPKPKdPKPdEvbiT_T4_T5_S7_lS9_S7_lT6_S7_li
; %bb.0:
	s_load_b128 s[4:7], s[0:1], 0x10
	s_waitcnt lgkmcnt(0)
	v_cmp_eq_f64_e64 s3, s[4:5], 0
	s_delay_alu instid0(VALU_DEP_1)
	s_and_b32 vcc_lo, exec_lo, s3
	s_cbranch_vccnz .LBB1917_17
; %bb.1:
	s_load_b128 s[8:11], s[0:1], 0x0
	s_waitcnt lgkmcnt(0)
	s_lshl_b32 s11, s14, 5
	s_and_b32 s3, 1, s8
	s_lshl_b32 s8, s13, 5
	s_cmp_eq_u32 s3, 1
	s_cselect_b32 vcc_lo, -1, 0
	s_delay_alu instid0(SALU_CYCLE_1) | instskip(SKIP_2) | instid1(SALU_CYCLE_1)
	s_and_b32 s3, vcc_lo, exec_lo
	s_cselect_b32 s3, s8, s11
	s_cselect_b32 s12, s11, s8
	s_cmp_gt_i32 s3, s12
	s_cbranch_scc1 .LBB1917_17
; %bb.2:
	s_cmp_lt_i32 s10, 1
	s_cbranch_scc1 .LBB1917_17
; %bb.3:
	s_mov_b32 s2, s15
	s_clause 0x4
	s_load_b128 s[16:19], s[0:1], 0x28
	s_load_b32 s24, s[0:1], 0x20
	s_load_b32 s25, s[0:1], 0x38
	s_load_b128 s[12:15], s[0:1], 0x40
	s_load_b32 s26, s[0:1], 0x50
	s_mov_b32 s3, 0
	s_load_b64 s[22:23], s[0:1], 0x58
	s_lshl_b64 s[20:21], s[2:3], 3
	v_and_b32_e32 v10, 0x3ff, v0
	s_add_u32 s0, s6, s20
	s_addc_u32 s1, s7, s21
	v_bfe_u32 v11, v0, 10, 10
	s_load_b64 s[6:7], s[0:1], 0x0
	v_add_nc_u32_e32 v0, s8, v10
	s_delay_alu instid0(VALU_DEP_2) | instskip(SKIP_2) | instid1(VALU_DEP_4)
	v_add_nc_u32_e32 v8, s11, v11
	v_lshlrev_b32_e32 v6, 3, v11
	v_lshlrev_b32_e32 v12, 8, v10
	v_ashrrev_i32_e32 v1, 31, v0
	s_waitcnt lgkmcnt(0)
	s_add_u32 s0, s18, s20
	v_cndmask_b32_e32 v9, v8, v0, vcc_lo
	s_addc_u32 s1, s19, s21
	v_mad_i64_i32 v[2:3], null, s24, v0, 0
	s_load_b64 s[18:19], s[0:1], 0x0
	s_add_u32 s0, s14, s20
	s_addc_u32 s1, s15, s21
	v_mad_i64_i32 v[4:5], null, s25, v8, 0
	s_load_b64 s[14:15], s[0:1], 0x0
	s_delay_alu instid0(VALU_DEP_2)
	v_lshlrev_b64 v[2:3], 3, v[2:3]
	s_lshl_b64 s[16:17], s[16:17], 3
	v_cndmask_b32_e32 v7, v0, v8, vcc_lo
	s_add_u32 s8, s6, s16
	v_cmp_gt_i32_e32 vcc_lo, s9, v0
	v_cmp_gt_i32_e64 s0, s9, v8
	s_addc_u32 s9, s7, s17
	v_add_co_u32 v14, s1, s8, v2
	v_lshlrev_b64 v[4:5], 3, v[4:5]
	v_add_co_ci_u32_e64 v15, s1, s9, v3, s1
	v_mad_i64_i32 v[2:3], null, s26, v8, 0
	s_lshl_b64 s[6:7], s[12:13], 3
	v_add_nc_u32_e32 v13, v12, v6
	s_waitcnt lgkmcnt(0)
	s_add_u32 s11, s18, s6
	s_addc_u32 s12, s19, s7
	v_add_co_u32 v17, s1, s11, v4
	s_delay_alu instid0(VALU_DEP_1)
	v_add_co_ci_u32_e64 v18, s1, s12, v5, s1
	v_lshlrev_b64 v[2:3], 3, v[2:3]
	v_mad_i64_i32 v[4:5], null, s25, v0, 0
	s_lshl_b64 s[6:7], s[22:23], 3
	v_or_b32_e32 v16, 0x2000, v6
	v_cmp_le_i32_e64 s1, v9, v7
	v_mad_i64_i32 v[6:7], null, s24, v8, 0
	s_add_u32 s2, s14, s6
	v_lshlrev_b64 v[0:1], 3, v[0:1]
	s_addc_u32 s6, s15, s7
	v_add_co_u32 v8, s2, s2, v2
	s_delay_alu instid0(VALU_DEP_1) | instskip(SKIP_1) | instid1(VALU_DEP_3)
	v_add_co_ci_u32_e64 v9, s2, s6, v3, s2
	v_lshlrev_b64 v[2:3], 3, v[4:5]
	v_add_co_u32 v0, s2, v8, v0
	v_lshlrev_b64 v[4:5], 3, v[6:7]
	s_delay_alu instid0(VALU_DEP_4) | instskip(NEXT) | instid1(VALU_DEP_4)
	v_add_co_ci_u32_e64 v1, s2, v9, v1, s2
	v_add_co_u32 v20, s2, s11, v2
	s_delay_alu instid0(VALU_DEP_1) | instskip(NEXT) | instid1(VALU_DEP_4)
	v_add_co_ci_u32_e64 v21, s2, s12, v3, s2
	v_add_co_u32 v22, s2, s8, v4
	v_add_nc_u32_e32 v19, v16, v12
	v_add_co_ci_u32_e64 v23, s2, s9, v5, s2
	v_add_nc_u32_e32 v24, 0x800, v16
	v_add_nc_u32_e32 v25, 0x1000, v16
	;; [unrolled: 1-line block ×3, first 2 shown]
	s_and_b32 s2, s0, vcc_lo
	s_delay_alu instid0(SALU_CYCLE_1)
	s_and_b32 s2, s2, s1
	s_branch .LBB1917_5
.LBB1917_4:                             ;   in Loop: Header=BB1917_5 Depth=1
	s_or_b32 exec_lo, exec_lo, s1
	s_add_i32 s3, s3, 32
	s_waitcnt_vscnt null, 0x0
	s_cmp_lt_i32 s3, s10
	s_barrier
	buffer_gl0_inv
	s_cbranch_scc0 .LBB1917_17
.LBB1917_5:                             ; =>This Inner Loop Header: Depth=1
	v_add_nc_u32_e32 v2, s3, v11
	v_mov_b32_e32 v6, 0
	v_mov_b32_e32 v7, 0
	s_delay_alu instid0(VALU_DEP_3) | instskip(SKIP_1) | instid1(VALU_DEP_3)
	v_cmp_gt_i32_e64 s1, s10, v2
	v_ashrrev_i32_e32 v3, 31, v2
	v_dual_mov_b32 v9, v7 :: v_dual_mov_b32 v8, v6
	s_delay_alu instid0(VALU_DEP_3) | instskip(NEXT) | instid1(SALU_CYCLE_1)
	s_and_b32 s6, vcc_lo, s1
	s_and_saveexec_b32 s7, s6
	s_cbranch_execz .LBB1917_7
; %bb.6:                                ;   in Loop: Header=BB1917_5 Depth=1
	v_lshlrev_b64 v[4:5], 3, v[2:3]
	s_delay_alu instid0(VALU_DEP_1) | instskip(NEXT) | instid1(VALU_DEP_1)
	v_add_co_u32 v4, s1, v14, v4
	v_add_co_ci_u32_e64 v5, s1, v15, v5, s1
	global_load_b64 v[8:9], v[4:5], off
.LBB1917_7:                             ;   in Loop: Header=BB1917_5 Depth=1
	s_or_b32 exec_lo, exec_lo, s7
	v_add_nc_u32_e32 v4, s3, v10
	s_waitcnt vmcnt(0)
	ds_store_b64 v13, v[8:9]
	v_cmp_gt_i32_e64 s1, s10, v4
	v_ashrrev_i32_e32 v5, 31, v4
	s_delay_alu instid0(VALU_DEP_2) | instskip(NEXT) | instid1(SALU_CYCLE_1)
	s_and_b32 s7, s0, s1
	s_and_saveexec_b32 s8, s7
	s_cbranch_execz .LBB1917_9
; %bb.8:                                ;   in Loop: Header=BB1917_5 Depth=1
	s_delay_alu instid0(VALU_DEP_1) | instskip(NEXT) | instid1(VALU_DEP_1)
	v_lshlrev_b64 v[6:7], 3, v[4:5]
	v_add_co_u32 v6, s1, v17, v6
	s_delay_alu instid0(VALU_DEP_1)
	v_add_co_ci_u32_e64 v7, s1, v18, v7, s1
	global_load_b64 v[6:7], v[6:7], off
.LBB1917_9:                             ;   in Loop: Header=BB1917_5 Depth=1
	s_or_b32 exec_lo, exec_lo, s8
	s_waitcnt vmcnt(0)
	ds_store_b64 v19, v[6:7]
	s_waitcnt lgkmcnt(0)
	s_barrier
	buffer_gl0_inv
	s_and_saveexec_b32 s1, s2
	s_cbranch_execz .LBB1917_11
; %bb.10:                               ;   in Loop: Header=BB1917_5 Depth=1
	ds_load_2addr_b64 v[6:9], v16 offset1:32
	ds_load_b128 v[27:30], v12
	ds_load_b128 v[31:34], v12 offset:16
	s_waitcnt lgkmcnt(1)
	v_fma_f64 v[6:7], v[27:28], v[6:7], 0
	s_delay_alu instid0(VALU_DEP_1) | instskip(SKIP_3) | instid1(VALU_DEP_1)
	v_fma_f64 v[27:28], v[29:30], v[8:9], v[6:7]
	ds_load_2addr_b64 v[6:9], v16 offset0:64 offset1:96
	s_waitcnt lgkmcnt(0)
	v_fma_f64 v[6:7], v[31:32], v[6:7], v[27:28]
	v_fma_f64 v[35:36], v[33:34], v[8:9], v[6:7]
	ds_load_2addr_b64 v[6:9], v16 offset0:128 offset1:160
	ds_load_b128 v[27:30], v12 offset:32
	ds_load_b128 v[31:34], v12 offset:48
	s_waitcnt lgkmcnt(1)
	v_fma_f64 v[6:7], v[27:28], v[6:7], v[35:36]
	s_delay_alu instid0(VALU_DEP_1) | instskip(SKIP_3) | instid1(VALU_DEP_1)
	v_fma_f64 v[27:28], v[29:30], v[8:9], v[6:7]
	ds_load_2addr_b64 v[6:9], v16 offset0:192 offset1:224
	s_waitcnt lgkmcnt(0)
	v_fma_f64 v[6:7], v[31:32], v[6:7], v[27:28]
	v_fma_f64 v[35:36], v[33:34], v[8:9], v[6:7]
	ds_load_2addr_b64 v[6:9], v24 offset1:32
	ds_load_b128 v[27:30], v12 offset:64
	ds_load_b128 v[31:34], v12 offset:80
	s_waitcnt lgkmcnt(1)
	v_fma_f64 v[6:7], v[27:28], v[6:7], v[35:36]
	s_delay_alu instid0(VALU_DEP_1) | instskip(SKIP_3) | instid1(VALU_DEP_1)
	v_fma_f64 v[27:28], v[29:30], v[8:9], v[6:7]
	ds_load_2addr_b64 v[6:9], v24 offset0:64 offset1:96
	s_waitcnt lgkmcnt(0)
	v_fma_f64 v[6:7], v[31:32], v[6:7], v[27:28]
	v_fma_f64 v[35:36], v[33:34], v[8:9], v[6:7]
	ds_load_2addr_b64 v[6:9], v24 offset0:128 offset1:160
	ds_load_b128 v[27:30], v12 offset:96
	ds_load_b128 v[31:34], v12 offset:112
	s_waitcnt lgkmcnt(1)
	v_fma_f64 v[6:7], v[27:28], v[6:7], v[35:36]
	s_delay_alu instid0(VALU_DEP_1) | instskip(SKIP_3) | instid1(VALU_DEP_1)
	v_fma_f64 v[27:28], v[29:30], v[8:9], v[6:7]
	ds_load_2addr_b64 v[6:9], v24 offset0:192 offset1:224
	s_waitcnt lgkmcnt(0)
	v_fma_f64 v[6:7], v[31:32], v[6:7], v[27:28]
	v_fma_f64 v[35:36], v[33:34], v[8:9], v[6:7]
	ds_load_2addr_b64 v[6:9], v25 offset1:32
	ds_load_b128 v[27:30], v12 offset:128
	;; [unrolled: 22-line block ×3, first 2 shown]
	global_load_b64 v[37:38], v[0:1], off
	ds_load_b128 v[31:34], v12 offset:208
	s_waitcnt lgkmcnt(1)
	v_fma_f64 v[6:7], v[27:28], v[6:7], v[35:36]
	s_delay_alu instid0(VALU_DEP_1) | instskip(SKIP_3) | instid1(VALU_DEP_1)
	v_fma_f64 v[27:28], v[29:30], v[8:9], v[6:7]
	ds_load_2addr_b64 v[6:9], v26 offset0:64 offset1:96
	s_waitcnt lgkmcnt(0)
	v_fma_f64 v[6:7], v[31:32], v[6:7], v[27:28]
	v_fma_f64 v[35:36], v[33:34], v[8:9], v[6:7]
	ds_load_2addr_b64 v[6:9], v26 offset0:128 offset1:160
	ds_load_b128 v[27:30], v12 offset:224
	ds_load_b128 v[31:34], v12 offset:240
	s_waitcnt lgkmcnt(1)
	v_fma_f64 v[6:7], v[27:28], v[6:7], v[35:36]
	s_delay_alu instid0(VALU_DEP_1) | instskip(SKIP_3) | instid1(VALU_DEP_1)
	v_fma_f64 v[27:28], v[29:30], v[8:9], v[6:7]
	ds_load_2addr_b64 v[6:9], v26 offset0:192 offset1:224
	s_waitcnt lgkmcnt(0)
	v_fma_f64 v[6:7], v[31:32], v[6:7], v[27:28]
	v_fma_f64 v[6:7], v[33:34], v[8:9], v[6:7]
	s_waitcnt vmcnt(0)
	s_delay_alu instid0(VALU_DEP_1)
	v_fma_f64 v[6:7], v[6:7], s[4:5], v[37:38]
	global_store_b64 v[0:1], v[6:7], off
.LBB1917_11:                            ;   in Loop: Header=BB1917_5 Depth=1
	s_or_b32 exec_lo, exec_lo, s1
	v_mov_b32_e32 v6, 0
	v_mov_b32_e32 v7, 0
	s_waitcnt_vscnt null, 0x0
	s_barrier
	buffer_gl0_inv
	v_dual_mov_b32 v9, v7 :: v_dual_mov_b32 v8, v6
	s_and_saveexec_b32 s8, s6
	s_cbranch_execz .LBB1917_13
; %bb.12:                               ;   in Loop: Header=BB1917_5 Depth=1
	v_lshlrev_b64 v[2:3], 3, v[2:3]
	s_delay_alu instid0(VALU_DEP_1) | instskip(NEXT) | instid1(VALU_DEP_1)
	v_add_co_u32 v2, s1, v20, v2
	v_add_co_ci_u32_e64 v3, s1, v21, v3, s1
	global_load_b64 v[8:9], v[2:3], off
.LBB1917_13:                            ;   in Loop: Header=BB1917_5 Depth=1
	s_or_b32 exec_lo, exec_lo, s8
	s_waitcnt vmcnt(0)
	ds_store_b64 v13, v[8:9]
	s_and_saveexec_b32 s6, s7
	s_cbranch_execz .LBB1917_15
; %bb.14:                               ;   in Loop: Header=BB1917_5 Depth=1
	v_lshlrev_b64 v[2:3], 3, v[4:5]
	s_delay_alu instid0(VALU_DEP_1) | instskip(NEXT) | instid1(VALU_DEP_1)
	v_add_co_u32 v2, s1, v22, v2
	v_add_co_ci_u32_e64 v3, s1, v23, v3, s1
	global_load_b64 v[6:7], v[2:3], off
.LBB1917_15:                            ;   in Loop: Header=BB1917_5 Depth=1
	s_or_b32 exec_lo, exec_lo, s6
	s_waitcnt vmcnt(0)
	ds_store_b64 v19, v[6:7]
	s_waitcnt lgkmcnt(0)
	s_barrier
	buffer_gl0_inv
	s_and_saveexec_b32 s1, s2
	s_cbranch_execz .LBB1917_4
; %bb.16:                               ;   in Loop: Header=BB1917_5 Depth=1
	ds_load_2addr_b64 v[2:5], v16 offset1:32
	ds_load_b128 v[6:9], v12
	ds_load_b128 v[27:30], v12 offset:16
	s_waitcnt lgkmcnt(1)
	v_fma_f64 v[2:3], v[6:7], v[2:3], 0
	s_delay_alu instid0(VALU_DEP_1) | instskip(SKIP_3) | instid1(VALU_DEP_1)
	v_fma_f64 v[6:7], v[8:9], v[4:5], v[2:3]
	ds_load_2addr_b64 v[2:5], v16 offset0:64 offset1:96
	s_waitcnt lgkmcnt(0)
	v_fma_f64 v[2:3], v[27:28], v[2:3], v[6:7]
	v_fma_f64 v[31:32], v[29:30], v[4:5], v[2:3]
	ds_load_2addr_b64 v[2:5], v16 offset0:128 offset1:160
	ds_load_b128 v[6:9], v12 offset:32
	ds_load_b128 v[27:30], v12 offset:48
	s_waitcnt lgkmcnt(1)
	v_fma_f64 v[2:3], v[6:7], v[2:3], v[31:32]
	s_delay_alu instid0(VALU_DEP_1) | instskip(SKIP_3) | instid1(VALU_DEP_1)
	v_fma_f64 v[6:7], v[8:9], v[4:5], v[2:3]
	ds_load_2addr_b64 v[2:5], v16 offset0:192 offset1:224
	s_waitcnt lgkmcnt(0)
	v_fma_f64 v[2:3], v[27:28], v[2:3], v[6:7]
	v_fma_f64 v[31:32], v[29:30], v[4:5], v[2:3]
	ds_load_2addr_b64 v[2:5], v24 offset1:32
	ds_load_b128 v[6:9], v12 offset:64
	ds_load_b128 v[27:30], v12 offset:80
	s_waitcnt lgkmcnt(1)
	v_fma_f64 v[2:3], v[6:7], v[2:3], v[31:32]
	s_delay_alu instid0(VALU_DEP_1) | instskip(SKIP_3) | instid1(VALU_DEP_1)
	v_fma_f64 v[6:7], v[8:9], v[4:5], v[2:3]
	ds_load_2addr_b64 v[2:5], v24 offset0:64 offset1:96
	s_waitcnt lgkmcnt(0)
	v_fma_f64 v[2:3], v[27:28], v[2:3], v[6:7]
	v_fma_f64 v[31:32], v[29:30], v[4:5], v[2:3]
	ds_load_2addr_b64 v[2:5], v24 offset0:128 offset1:160
	ds_load_b128 v[6:9], v12 offset:96
	ds_load_b128 v[27:30], v12 offset:112
	s_waitcnt lgkmcnt(1)
	v_fma_f64 v[2:3], v[6:7], v[2:3], v[31:32]
	s_delay_alu instid0(VALU_DEP_1) | instskip(SKIP_3) | instid1(VALU_DEP_1)
	v_fma_f64 v[6:7], v[8:9], v[4:5], v[2:3]
	ds_load_2addr_b64 v[2:5], v24 offset0:192 offset1:224
	s_waitcnt lgkmcnt(0)
	v_fma_f64 v[2:3], v[27:28], v[2:3], v[6:7]
	v_fma_f64 v[31:32], v[29:30], v[4:5], v[2:3]
	ds_load_2addr_b64 v[2:5], v25 offset1:32
	ds_load_b128 v[6:9], v12 offset:128
	;; [unrolled: 22-line block ×3, first 2 shown]
	global_load_b64 v[33:34], v[0:1], off
	ds_load_b128 v[27:30], v12 offset:208
	s_waitcnt lgkmcnt(1)
	v_fma_f64 v[2:3], v[6:7], v[2:3], v[31:32]
	s_delay_alu instid0(VALU_DEP_1) | instskip(SKIP_3) | instid1(VALU_DEP_1)
	v_fma_f64 v[6:7], v[8:9], v[4:5], v[2:3]
	ds_load_2addr_b64 v[2:5], v26 offset0:64 offset1:96
	s_waitcnt lgkmcnt(0)
	v_fma_f64 v[2:3], v[27:28], v[2:3], v[6:7]
	v_fma_f64 v[31:32], v[29:30], v[4:5], v[2:3]
	ds_load_2addr_b64 v[2:5], v26 offset0:128 offset1:160
	ds_load_b128 v[6:9], v12 offset:224
	ds_load_b128 v[27:30], v12 offset:240
	s_waitcnt lgkmcnt(1)
	v_fma_f64 v[2:3], v[6:7], v[2:3], v[31:32]
	s_delay_alu instid0(VALU_DEP_1) | instskip(SKIP_3) | instid1(VALU_DEP_1)
	v_fma_f64 v[6:7], v[8:9], v[4:5], v[2:3]
	ds_load_2addr_b64 v[2:5], v26 offset0:192 offset1:224
	s_waitcnt lgkmcnt(0)
	v_fma_f64 v[2:3], v[27:28], v[2:3], v[6:7]
	v_fma_f64 v[2:3], v[29:30], v[4:5], v[2:3]
	s_waitcnt vmcnt(0)
	s_delay_alu instid0(VALU_DEP_1)
	v_fma_f64 v[2:3], v[2:3], s[4:5], v[33:34]
	global_store_b64 v[0:1], v[2:3], off
	s_branch .LBB1917_4
.LBB1917_17:
	s_endpgm
	.section	.rodata,"a",@progbits
	.p2align	6, 0x0
	.amdhsa_kernel _ZL26rocblas_syr2k_her2k_kernelIiLb1ELb0ELb1ELi32EdPKPKdPKPdEvbiT_T4_T5_S7_lS9_S7_lT6_S7_li
		.amdhsa_group_segment_fixed_size 16384
		.amdhsa_private_segment_fixed_size 0
		.amdhsa_kernarg_size 100
		.amdhsa_user_sgpr_count 13
		.amdhsa_user_sgpr_dispatch_ptr 0
		.amdhsa_user_sgpr_queue_ptr 0
		.amdhsa_user_sgpr_kernarg_segment_ptr 1
		.amdhsa_user_sgpr_dispatch_id 0
		.amdhsa_user_sgpr_private_segment_size 0
		.amdhsa_wavefront_size32 1
		.amdhsa_uses_dynamic_stack 0
		.amdhsa_enable_private_segment 0
		.amdhsa_system_sgpr_workgroup_id_x 1
		.amdhsa_system_sgpr_workgroup_id_y 1
		.amdhsa_system_sgpr_workgroup_id_z 1
		.amdhsa_system_sgpr_workgroup_info 0
		.amdhsa_system_vgpr_workitem_id 1
		.amdhsa_next_free_vgpr 39
		.amdhsa_next_free_sgpr 27
		.amdhsa_reserve_vcc 1
		.amdhsa_float_round_mode_32 0
		.amdhsa_float_round_mode_16_64 0
		.amdhsa_float_denorm_mode_32 3
		.amdhsa_float_denorm_mode_16_64 3
		.amdhsa_dx10_clamp 1
		.amdhsa_ieee_mode 1
		.amdhsa_fp16_overflow 0
		.amdhsa_workgroup_processor_mode 1
		.amdhsa_memory_ordered 1
		.amdhsa_forward_progress 0
		.amdhsa_shared_vgpr_count 0
		.amdhsa_exception_fp_ieee_invalid_op 0
		.amdhsa_exception_fp_denorm_src 0
		.amdhsa_exception_fp_ieee_div_zero 0
		.amdhsa_exception_fp_ieee_overflow 0
		.amdhsa_exception_fp_ieee_underflow 0
		.amdhsa_exception_fp_ieee_inexact 0
		.amdhsa_exception_int_div_zero 0
	.end_amdhsa_kernel
	.section	.text._ZL26rocblas_syr2k_her2k_kernelIiLb1ELb0ELb1ELi32EdPKPKdPKPdEvbiT_T4_T5_S7_lS9_S7_lT6_S7_li,"axG",@progbits,_ZL26rocblas_syr2k_her2k_kernelIiLb1ELb0ELb1ELi32EdPKPKdPKPdEvbiT_T4_T5_S7_lS9_S7_lT6_S7_li,comdat
.Lfunc_end1917:
	.size	_ZL26rocblas_syr2k_her2k_kernelIiLb1ELb0ELb1ELi32EdPKPKdPKPdEvbiT_T4_T5_S7_lS9_S7_lT6_S7_li, .Lfunc_end1917-_ZL26rocblas_syr2k_her2k_kernelIiLb1ELb0ELb1ELi32EdPKPKdPKPdEvbiT_T4_T5_S7_lS9_S7_lT6_S7_li
                                        ; -- End function
	.section	.AMDGPU.csdata,"",@progbits
; Kernel info:
; codeLenInByte = 2296
; NumSgprs: 29
; NumVgprs: 39
; ScratchSize: 0
; MemoryBound: 0
; FloatMode: 240
; IeeeMode: 1
; LDSByteSize: 16384 bytes/workgroup (compile time only)
; SGPRBlocks: 3
; VGPRBlocks: 4
; NumSGPRsForWavesPerEU: 29
; NumVGPRsForWavesPerEU: 39
; Occupancy: 16
; WaveLimiterHint : 1
; COMPUTE_PGM_RSRC2:SCRATCH_EN: 0
; COMPUTE_PGM_RSRC2:USER_SGPR: 13
; COMPUTE_PGM_RSRC2:TRAP_HANDLER: 0
; COMPUTE_PGM_RSRC2:TGID_X_EN: 1
; COMPUTE_PGM_RSRC2:TGID_Y_EN: 1
; COMPUTE_PGM_RSRC2:TGID_Z_EN: 1
; COMPUTE_PGM_RSRC2:TIDIG_COMP_CNT: 1
	.section	.text._ZL26rocblas_syr2k_her2k_kernelIiLb1ELb0ELb0ELi32EPKdPKS1_PKPdEvbiT_T4_T5_S7_lS9_S7_lT6_S7_li,"axG",@progbits,_ZL26rocblas_syr2k_her2k_kernelIiLb1ELb0ELb0ELi32EPKdPKS1_PKPdEvbiT_T4_T5_S7_lS9_S7_lT6_S7_li,comdat
	.globl	_ZL26rocblas_syr2k_her2k_kernelIiLb1ELb0ELb0ELi32EPKdPKS1_PKPdEvbiT_T4_T5_S7_lS9_S7_lT6_S7_li ; -- Begin function _ZL26rocblas_syr2k_her2k_kernelIiLb1ELb0ELb0ELi32EPKdPKS1_PKPdEvbiT_T4_T5_S7_lS9_S7_lT6_S7_li
	.p2align	8
	.type	_ZL26rocblas_syr2k_her2k_kernelIiLb1ELb0ELb0ELi32EPKdPKS1_PKPdEvbiT_T4_T5_S7_lS9_S7_lT6_S7_li,@function
_ZL26rocblas_syr2k_her2k_kernelIiLb1ELb0ELb0ELi32EPKdPKS1_PKPdEvbiT_T4_T5_S7_lS9_S7_lT6_S7_li: ; @_ZL26rocblas_syr2k_her2k_kernelIiLb1ELb0ELb0ELi32EPKdPKS1_PKPdEvbiT_T4_T5_S7_lS9_S7_lT6_S7_li
; %bb.0:
	s_load_b128 s[16:19], s[0:1], 0x10
	s_waitcnt lgkmcnt(0)
	s_load_b64 s[16:17], s[16:17], 0x0
	s_waitcnt lgkmcnt(0)
	v_cmp_eq_f64_e64 s3, s[16:17], 0
	s_delay_alu instid0(VALU_DEP_1)
	s_and_b32 vcc_lo, exec_lo, s3
	s_cbranch_vccnz .LBB1918_17
; %bb.1:
	s_load_b128 s[4:7], s[0:1], 0x0
	s_lshl_b32 s20, s14, 5
	s_lshl_b32 s21, s13, 5
	s_waitcnt lgkmcnt(0)
	s_and_b32 s3, 1, s4
	s_delay_alu instid0(SALU_CYCLE_1) | instskip(SKIP_1) | instid1(SALU_CYCLE_1)
	s_cmp_eq_u32 s3, 1
	s_cselect_b32 vcc_lo, -1, 0
	s_and_b32 s3, vcc_lo, exec_lo
	s_cselect_b32 s3, s21, s20
	s_cselect_b32 s4, s20, s21
	s_delay_alu instid0(SALU_CYCLE_1)
	s_cmp_gt_i32 s3, s4
	s_cbranch_scc1 .LBB1918_17
; %bb.2:
	s_cmp_lt_i32 s6, 1
	s_cbranch_scc1 .LBB1918_17
; %bb.3:
	s_mov_b32 s2, s15
	s_clause 0x4
	s_load_b128 s[12:15], s[0:1], 0x28
	s_load_b32 s4, s[0:1], 0x20
	s_load_b32 s7, s[0:1], 0x38
	s_load_b128 s[8:11], s[0:1], 0x40
	s_load_b32 s26, s[0:1], 0x50
	s_mov_b32 s3, 0
	s_load_b64 s[24:25], s[0:1], 0x58
	s_lshl_b64 s[22:23], s[2:3], 3
	v_and_b32_e32 v6, 0x3ff, v0
	s_add_u32 s0, s18, s22
	s_addc_u32 s1, s19, s23
	v_bfe_u32 v7, v0, 10, 10
	s_load_b64 s[18:19], s[0:1], 0x0
	v_add_nc_u32_e32 v2, s21, v6
	s_delay_alu instid0(VALU_DEP_2) | instskip(SKIP_1) | instid1(VALU_DEP_3)
	v_add_nc_u32_e32 v0, s20, v7
	v_lshlrev_b32_e32 v4, 3, v7
	v_ashrrev_i32_e32 v3, 31, v2
	s_waitcnt lgkmcnt(0)
	s_add_u32 s0, s14, s22
	v_cndmask_b32_e32 v17, v0, v2, vcc_lo
	s_addc_u32 s1, s15, s23
	v_lshlrev_b32_e32 v8, 8, v6
	s_load_b64 s[14:15], s[0:1], 0x0
	s_add_u32 s0, s10, s22
	s_addc_u32 s1, s11, s23
	v_ashrrev_i32_e32 v1, 31, v0
	s_load_b64 s[10:11], s[0:1], 0x0
	v_mad_i64_i32 v[13:14], null, s26, v0, 0
	v_or_b32_e32 v10, 0x2000, v4
	v_cndmask_b32_e32 v16, v2, v0, vcc_lo
	v_cmp_gt_i32_e32 vcc_lo, s5, v2
	v_lshlrev_b64 v[2:3], 3, v[2:3]
	s_lshl_b64 s[12:13], s[12:13], 3
	v_add_nc_u32_e32 v21, 0x1000, v10
	v_add_nc_u32_e32 v9, v8, v4
	v_lshlrev_b64 v[4:5], 3, v[0:1]
	v_cmp_gt_i32_e64 s0, s5, v0
	s_add_u32 s5, s18, s12
	s_addc_u32 s12, s19, s13
	s_lshl_b64 s[8:9], s[8:9], 3
	v_add_co_u32 v11, s1, s5, v2
	v_lshlrev_b64 v[0:1], 3, v[13:14]
	s_waitcnt lgkmcnt(0)
	s_add_u32 s13, s14, s8
	s_addc_u32 s14, s15, s9
	s_lshl_b64 s[8:9], s[24:25], 3
	v_add_co_ci_u32_e64 v12, s1, s12, v3, s1
	v_add_co_u32 v13, s1, s13, v4
	s_add_u32 s2, s10, s8
	v_add_co_ci_u32_e64 v14, s1, s14, v5, s1
	s_addc_u32 s8, s11, s9
	v_add_co_u32 v0, s1, s2, v0
	s_delay_alu instid0(VALU_DEP_1) | instskip(SKIP_1) | instid1(VALU_DEP_3)
	v_add_co_ci_u32_e64 v1, s1, s8, v1, s1
	v_cmp_le_i32_e64 s1, v17, v16
	v_add_co_u32 v0, s2, v0, v2
	s_delay_alu instid0(VALU_DEP_1) | instskip(SKIP_1) | instid1(VALU_DEP_1)
	v_add_co_ci_u32_e64 v1, s2, v1, v3, s2
	v_add_co_u32 v16, s2, s13, v2
	v_add_co_ci_u32_e64 v17, s2, s14, v3, s2
	v_add_co_u32 v18, s2, s5, v4
	v_add_nc_u32_e32 v15, v10, v8
	v_add_co_ci_u32_e64 v19, s2, s12, v5, s2
	v_add_nc_u32_e32 v20, 0x800, v10
	v_add_nc_u32_e32 v22, 0x1800, v10
	s_and_b32 s2, s0, vcc_lo
	s_delay_alu instid0(SALU_CYCLE_1)
	s_and_b32 s2, s2, s1
	s_branch .LBB1918_5
.LBB1918_4:                             ;   in Loop: Header=BB1918_5 Depth=1
	s_or_b32 exec_lo, exec_lo, s1
	s_add_i32 s3, s3, 32
	s_waitcnt_vscnt null, 0x0
	s_cmp_lt_i32 s3, s6
	s_barrier
	buffer_gl0_inv
	s_cbranch_scc0 .LBB1918_17
.LBB1918_5:                             ; =>This Inner Loop Header: Depth=1
	v_dual_mov_b32 v2, 0 :: v_dual_add_nc_u32 v23, s3, v7
	v_mov_b32_e32 v3, 0
	s_delay_alu instid0(VALU_DEP_2) | instskip(NEXT) | instid1(VALU_DEP_2)
	v_cmp_gt_i32_e64 s1, s6, v23
	v_dual_mov_b32 v5, v3 :: v_dual_mov_b32 v4, v2
	s_delay_alu instid0(VALU_DEP_2) | instskip(NEXT) | instid1(SALU_CYCLE_1)
	s_and_b32 s5, vcc_lo, s1
	s_and_saveexec_b32 s8, s5
	s_cbranch_execz .LBB1918_7
; %bb.6:                                ;   in Loop: Header=BB1918_5 Depth=1
	v_mad_i64_i32 v[4:5], null, v23, s4, 0
	s_delay_alu instid0(VALU_DEP_1) | instskip(NEXT) | instid1(VALU_DEP_1)
	v_lshlrev_b64 v[4:5], 3, v[4:5]
	v_add_co_u32 v4, s1, v11, v4
	s_delay_alu instid0(VALU_DEP_1)
	v_add_co_ci_u32_e64 v5, s1, v12, v5, s1
	global_load_b64 v[4:5], v[4:5], off
.LBB1918_7:                             ;   in Loop: Header=BB1918_5 Depth=1
	s_or_b32 exec_lo, exec_lo, s8
	v_add_nc_u32_e32 v24, s3, v6
	s_waitcnt vmcnt(0)
	ds_store_b64 v9, v[4:5]
	v_cmp_gt_i32_e64 s1, s6, v24
	s_delay_alu instid0(VALU_DEP_1) | instskip(NEXT) | instid1(SALU_CYCLE_1)
	s_and_b32 s8, s0, s1
	s_and_saveexec_b32 s9, s8
	s_cbranch_execz .LBB1918_9
; %bb.8:                                ;   in Loop: Header=BB1918_5 Depth=1
	v_mad_i64_i32 v[2:3], null, v24, s7, 0
	s_delay_alu instid0(VALU_DEP_1) | instskip(NEXT) | instid1(VALU_DEP_1)
	v_lshlrev_b64 v[2:3], 3, v[2:3]
	v_add_co_u32 v2, s1, v13, v2
	s_delay_alu instid0(VALU_DEP_1)
	v_add_co_ci_u32_e64 v3, s1, v14, v3, s1
	global_load_b64 v[2:3], v[2:3], off
.LBB1918_9:                             ;   in Loop: Header=BB1918_5 Depth=1
	s_or_b32 exec_lo, exec_lo, s9
	s_waitcnt vmcnt(0)
	ds_store_b64 v15, v[2:3]
	s_waitcnt lgkmcnt(0)
	s_barrier
	buffer_gl0_inv
	s_and_saveexec_b32 s1, s2
	s_cbranch_execz .LBB1918_11
; %bb.10:                               ;   in Loop: Header=BB1918_5 Depth=1
	ds_load_2addr_b64 v[2:5], v10 offset1:32
	ds_load_b128 v[25:28], v8
	ds_load_b128 v[29:32], v8 offset:16
	s_waitcnt lgkmcnt(1)
	v_fma_f64 v[2:3], v[25:26], v[2:3], 0
	s_delay_alu instid0(VALU_DEP_1) | instskip(SKIP_3) | instid1(VALU_DEP_1)
	v_fma_f64 v[25:26], v[27:28], v[4:5], v[2:3]
	ds_load_2addr_b64 v[2:5], v10 offset0:64 offset1:96
	s_waitcnt lgkmcnt(0)
	v_fma_f64 v[2:3], v[29:30], v[2:3], v[25:26]
	v_fma_f64 v[33:34], v[31:32], v[4:5], v[2:3]
	ds_load_2addr_b64 v[2:5], v10 offset0:128 offset1:160
	ds_load_b128 v[25:28], v8 offset:32
	ds_load_b128 v[29:32], v8 offset:48
	s_waitcnt lgkmcnt(1)
	v_fma_f64 v[2:3], v[25:26], v[2:3], v[33:34]
	s_delay_alu instid0(VALU_DEP_1) | instskip(SKIP_3) | instid1(VALU_DEP_1)
	v_fma_f64 v[25:26], v[27:28], v[4:5], v[2:3]
	ds_load_2addr_b64 v[2:5], v10 offset0:192 offset1:224
	s_waitcnt lgkmcnt(0)
	v_fma_f64 v[2:3], v[29:30], v[2:3], v[25:26]
	v_fma_f64 v[33:34], v[31:32], v[4:5], v[2:3]
	ds_load_2addr_b64 v[2:5], v20 offset1:32
	ds_load_b128 v[25:28], v8 offset:64
	ds_load_b128 v[29:32], v8 offset:80
	s_waitcnt lgkmcnt(1)
	v_fma_f64 v[2:3], v[25:26], v[2:3], v[33:34]
	s_delay_alu instid0(VALU_DEP_1) | instskip(SKIP_3) | instid1(VALU_DEP_1)
	v_fma_f64 v[25:26], v[27:28], v[4:5], v[2:3]
	ds_load_2addr_b64 v[2:5], v20 offset0:64 offset1:96
	s_waitcnt lgkmcnt(0)
	v_fma_f64 v[2:3], v[29:30], v[2:3], v[25:26]
	v_fma_f64 v[33:34], v[31:32], v[4:5], v[2:3]
	ds_load_2addr_b64 v[2:5], v20 offset0:128 offset1:160
	ds_load_b128 v[25:28], v8 offset:96
	ds_load_b128 v[29:32], v8 offset:112
	s_waitcnt lgkmcnt(1)
	v_fma_f64 v[2:3], v[25:26], v[2:3], v[33:34]
	s_delay_alu instid0(VALU_DEP_1) | instskip(SKIP_3) | instid1(VALU_DEP_1)
	v_fma_f64 v[25:26], v[27:28], v[4:5], v[2:3]
	ds_load_2addr_b64 v[2:5], v20 offset0:192 offset1:224
	s_waitcnt lgkmcnt(0)
	v_fma_f64 v[2:3], v[29:30], v[2:3], v[25:26]
	v_fma_f64 v[33:34], v[31:32], v[4:5], v[2:3]
	ds_load_2addr_b64 v[2:5], v21 offset1:32
	ds_load_b128 v[25:28], v8 offset:128
	;; [unrolled: 22-line block ×3, first 2 shown]
	global_load_b64 v[35:36], v[0:1], off
	ds_load_b128 v[29:32], v8 offset:208
	s_waitcnt lgkmcnt(1)
	v_fma_f64 v[2:3], v[25:26], v[2:3], v[33:34]
	s_delay_alu instid0(VALU_DEP_1) | instskip(SKIP_3) | instid1(VALU_DEP_1)
	v_fma_f64 v[25:26], v[27:28], v[4:5], v[2:3]
	ds_load_2addr_b64 v[2:5], v22 offset0:64 offset1:96
	s_waitcnt lgkmcnt(0)
	v_fma_f64 v[2:3], v[29:30], v[2:3], v[25:26]
	v_fma_f64 v[33:34], v[31:32], v[4:5], v[2:3]
	ds_load_2addr_b64 v[2:5], v22 offset0:128 offset1:160
	ds_load_b128 v[25:28], v8 offset:224
	ds_load_b128 v[29:32], v8 offset:240
	s_waitcnt lgkmcnt(1)
	v_fma_f64 v[2:3], v[25:26], v[2:3], v[33:34]
	s_delay_alu instid0(VALU_DEP_1) | instskip(SKIP_3) | instid1(VALU_DEP_1)
	v_fma_f64 v[25:26], v[27:28], v[4:5], v[2:3]
	ds_load_2addr_b64 v[2:5], v22 offset0:192 offset1:224
	s_waitcnt lgkmcnt(0)
	v_fma_f64 v[2:3], v[29:30], v[2:3], v[25:26]
	v_fma_f64 v[2:3], v[31:32], v[4:5], v[2:3]
	s_waitcnt vmcnt(0)
	s_delay_alu instid0(VALU_DEP_1)
	v_fma_f64 v[2:3], s[16:17], v[2:3], v[35:36]
	global_store_b64 v[0:1], v[2:3], off
.LBB1918_11:                            ;   in Loop: Header=BB1918_5 Depth=1
	s_or_b32 exec_lo, exec_lo, s1
	v_mov_b32_e32 v2, 0
	v_mov_b32_e32 v3, 0
	s_waitcnt_vscnt null, 0x0
	s_barrier
	buffer_gl0_inv
	v_dual_mov_b32 v5, v3 :: v_dual_mov_b32 v4, v2
	s_and_saveexec_b32 s9, s5
	s_cbranch_execz .LBB1918_13
; %bb.12:                               ;   in Loop: Header=BB1918_5 Depth=1
	v_mad_i64_i32 v[4:5], null, v23, s7, 0
	s_delay_alu instid0(VALU_DEP_1) | instskip(NEXT) | instid1(VALU_DEP_1)
	v_lshlrev_b64 v[4:5], 3, v[4:5]
	v_add_co_u32 v4, s1, v16, v4
	s_delay_alu instid0(VALU_DEP_1)
	v_add_co_ci_u32_e64 v5, s1, v17, v5, s1
	global_load_b64 v[4:5], v[4:5], off
.LBB1918_13:                            ;   in Loop: Header=BB1918_5 Depth=1
	s_or_b32 exec_lo, exec_lo, s9
	s_waitcnt vmcnt(0)
	ds_store_b64 v9, v[4:5]
	s_and_saveexec_b32 s5, s8
	s_cbranch_execz .LBB1918_15
; %bb.14:                               ;   in Loop: Header=BB1918_5 Depth=1
	v_mad_i64_i32 v[2:3], null, v24, s4, 0
	s_delay_alu instid0(VALU_DEP_1) | instskip(NEXT) | instid1(VALU_DEP_1)
	v_lshlrev_b64 v[2:3], 3, v[2:3]
	v_add_co_u32 v2, s1, v18, v2
	s_delay_alu instid0(VALU_DEP_1)
	v_add_co_ci_u32_e64 v3, s1, v19, v3, s1
	global_load_b64 v[2:3], v[2:3], off
.LBB1918_15:                            ;   in Loop: Header=BB1918_5 Depth=1
	s_or_b32 exec_lo, exec_lo, s5
	s_waitcnt vmcnt(0)
	ds_store_b64 v15, v[2:3]
	s_waitcnt lgkmcnt(0)
	s_barrier
	buffer_gl0_inv
	s_and_saveexec_b32 s1, s2
	s_cbranch_execz .LBB1918_4
; %bb.16:                               ;   in Loop: Header=BB1918_5 Depth=1
	ds_load_2addr_b64 v[2:5], v10 offset1:32
	ds_load_b128 v[23:26], v8
	ds_load_b128 v[27:30], v8 offset:16
	s_waitcnt lgkmcnt(1)
	v_fma_f64 v[2:3], v[23:24], v[2:3], 0
	s_delay_alu instid0(VALU_DEP_1) | instskip(SKIP_3) | instid1(VALU_DEP_1)
	v_fma_f64 v[23:24], v[25:26], v[4:5], v[2:3]
	ds_load_2addr_b64 v[2:5], v10 offset0:64 offset1:96
	s_waitcnt lgkmcnt(0)
	v_fma_f64 v[2:3], v[27:28], v[2:3], v[23:24]
	v_fma_f64 v[31:32], v[29:30], v[4:5], v[2:3]
	ds_load_2addr_b64 v[2:5], v10 offset0:128 offset1:160
	ds_load_b128 v[23:26], v8 offset:32
	ds_load_b128 v[27:30], v8 offset:48
	s_waitcnt lgkmcnt(1)
	v_fma_f64 v[2:3], v[23:24], v[2:3], v[31:32]
	s_delay_alu instid0(VALU_DEP_1) | instskip(SKIP_3) | instid1(VALU_DEP_1)
	v_fma_f64 v[23:24], v[25:26], v[4:5], v[2:3]
	ds_load_2addr_b64 v[2:5], v10 offset0:192 offset1:224
	s_waitcnt lgkmcnt(0)
	v_fma_f64 v[2:3], v[27:28], v[2:3], v[23:24]
	v_fma_f64 v[31:32], v[29:30], v[4:5], v[2:3]
	ds_load_2addr_b64 v[2:5], v20 offset1:32
	ds_load_b128 v[23:26], v8 offset:64
	ds_load_b128 v[27:30], v8 offset:80
	s_waitcnt lgkmcnt(1)
	v_fma_f64 v[2:3], v[23:24], v[2:3], v[31:32]
	s_delay_alu instid0(VALU_DEP_1) | instskip(SKIP_3) | instid1(VALU_DEP_1)
	v_fma_f64 v[23:24], v[25:26], v[4:5], v[2:3]
	ds_load_2addr_b64 v[2:5], v20 offset0:64 offset1:96
	s_waitcnt lgkmcnt(0)
	v_fma_f64 v[2:3], v[27:28], v[2:3], v[23:24]
	v_fma_f64 v[31:32], v[29:30], v[4:5], v[2:3]
	ds_load_2addr_b64 v[2:5], v20 offset0:128 offset1:160
	ds_load_b128 v[23:26], v8 offset:96
	ds_load_b128 v[27:30], v8 offset:112
	s_waitcnt lgkmcnt(1)
	v_fma_f64 v[2:3], v[23:24], v[2:3], v[31:32]
	s_delay_alu instid0(VALU_DEP_1) | instskip(SKIP_3) | instid1(VALU_DEP_1)
	v_fma_f64 v[23:24], v[25:26], v[4:5], v[2:3]
	ds_load_2addr_b64 v[2:5], v20 offset0:192 offset1:224
	s_waitcnt lgkmcnt(0)
	v_fma_f64 v[2:3], v[27:28], v[2:3], v[23:24]
	v_fma_f64 v[31:32], v[29:30], v[4:5], v[2:3]
	ds_load_2addr_b64 v[2:5], v21 offset1:32
	ds_load_b128 v[23:26], v8 offset:128
	;; [unrolled: 22-line block ×3, first 2 shown]
	global_load_b64 v[33:34], v[0:1], off
	ds_load_b128 v[27:30], v8 offset:208
	s_waitcnt lgkmcnt(1)
	v_fma_f64 v[2:3], v[23:24], v[2:3], v[31:32]
	s_delay_alu instid0(VALU_DEP_1) | instskip(SKIP_3) | instid1(VALU_DEP_1)
	v_fma_f64 v[23:24], v[25:26], v[4:5], v[2:3]
	ds_load_2addr_b64 v[2:5], v22 offset0:64 offset1:96
	s_waitcnt lgkmcnt(0)
	v_fma_f64 v[2:3], v[27:28], v[2:3], v[23:24]
	v_fma_f64 v[31:32], v[29:30], v[4:5], v[2:3]
	ds_load_2addr_b64 v[2:5], v22 offset0:128 offset1:160
	ds_load_b128 v[23:26], v8 offset:224
	ds_load_b128 v[27:30], v8 offset:240
	s_waitcnt lgkmcnt(1)
	v_fma_f64 v[2:3], v[23:24], v[2:3], v[31:32]
	s_delay_alu instid0(VALU_DEP_1) | instskip(SKIP_3) | instid1(VALU_DEP_1)
	v_fma_f64 v[23:24], v[25:26], v[4:5], v[2:3]
	ds_load_2addr_b64 v[2:5], v22 offset0:192 offset1:224
	s_waitcnt lgkmcnt(0)
	v_fma_f64 v[2:3], v[27:28], v[2:3], v[23:24]
	v_fma_f64 v[2:3], v[29:30], v[4:5], v[2:3]
	s_waitcnt vmcnt(0)
	s_delay_alu instid0(VALU_DEP_1)
	v_fma_f64 v[2:3], s[16:17], v[2:3], v[33:34]
	global_store_b64 v[0:1], v[2:3], off
	s_branch .LBB1918_4
.LBB1918_17:
	s_endpgm
	.section	.rodata,"a",@progbits
	.p2align	6, 0x0
	.amdhsa_kernel _ZL26rocblas_syr2k_her2k_kernelIiLb1ELb0ELb0ELi32EPKdPKS1_PKPdEvbiT_T4_T5_S7_lS9_S7_lT6_S7_li
		.amdhsa_group_segment_fixed_size 16384
		.amdhsa_private_segment_fixed_size 0
		.amdhsa_kernarg_size 100
		.amdhsa_user_sgpr_count 13
		.amdhsa_user_sgpr_dispatch_ptr 0
		.amdhsa_user_sgpr_queue_ptr 0
		.amdhsa_user_sgpr_kernarg_segment_ptr 1
		.amdhsa_user_sgpr_dispatch_id 0
		.amdhsa_user_sgpr_private_segment_size 0
		.amdhsa_wavefront_size32 1
		.amdhsa_uses_dynamic_stack 0
		.amdhsa_enable_private_segment 0
		.amdhsa_system_sgpr_workgroup_id_x 1
		.amdhsa_system_sgpr_workgroup_id_y 1
		.amdhsa_system_sgpr_workgroup_id_z 1
		.amdhsa_system_sgpr_workgroup_info 0
		.amdhsa_system_vgpr_workitem_id 1
		.amdhsa_next_free_vgpr 37
		.amdhsa_next_free_sgpr 27
		.amdhsa_reserve_vcc 1
		.amdhsa_float_round_mode_32 0
		.amdhsa_float_round_mode_16_64 0
		.amdhsa_float_denorm_mode_32 3
		.amdhsa_float_denorm_mode_16_64 3
		.amdhsa_dx10_clamp 1
		.amdhsa_ieee_mode 1
		.amdhsa_fp16_overflow 0
		.amdhsa_workgroup_processor_mode 1
		.amdhsa_memory_ordered 1
		.amdhsa_forward_progress 0
		.amdhsa_shared_vgpr_count 0
		.amdhsa_exception_fp_ieee_invalid_op 0
		.amdhsa_exception_fp_denorm_src 0
		.amdhsa_exception_fp_ieee_div_zero 0
		.amdhsa_exception_fp_ieee_overflow 0
		.amdhsa_exception_fp_ieee_underflow 0
		.amdhsa_exception_fp_ieee_inexact 0
		.amdhsa_exception_int_div_zero 0
	.end_amdhsa_kernel
	.section	.text._ZL26rocblas_syr2k_her2k_kernelIiLb1ELb0ELb0ELi32EPKdPKS1_PKPdEvbiT_T4_T5_S7_lS9_S7_lT6_S7_li,"axG",@progbits,_ZL26rocblas_syr2k_her2k_kernelIiLb1ELb0ELb0ELi32EPKdPKS1_PKPdEvbiT_T4_T5_S7_lS9_S7_lT6_S7_li,comdat
.Lfunc_end1918:
	.size	_ZL26rocblas_syr2k_her2k_kernelIiLb1ELb0ELb0ELi32EPKdPKS1_PKPdEvbiT_T4_T5_S7_lS9_S7_lT6_S7_li, .Lfunc_end1918-_ZL26rocblas_syr2k_her2k_kernelIiLb1ELb0ELb0ELi32EPKdPKS1_PKPdEvbiT_T4_T5_S7_lS9_S7_lT6_S7_li
                                        ; -- End function
	.section	.AMDGPU.csdata,"",@progbits
; Kernel info:
; codeLenInByte = 2284
; NumSgprs: 29
; NumVgprs: 37
; ScratchSize: 0
; MemoryBound: 0
; FloatMode: 240
; IeeeMode: 1
; LDSByteSize: 16384 bytes/workgroup (compile time only)
; SGPRBlocks: 3
; VGPRBlocks: 4
; NumSGPRsForWavesPerEU: 29
; NumVGPRsForWavesPerEU: 37
; Occupancy: 16
; WaveLimiterHint : 1
; COMPUTE_PGM_RSRC2:SCRATCH_EN: 0
; COMPUTE_PGM_RSRC2:USER_SGPR: 13
; COMPUTE_PGM_RSRC2:TRAP_HANDLER: 0
; COMPUTE_PGM_RSRC2:TGID_X_EN: 1
; COMPUTE_PGM_RSRC2:TGID_Y_EN: 1
; COMPUTE_PGM_RSRC2:TGID_Z_EN: 1
; COMPUTE_PGM_RSRC2:TIDIG_COMP_CNT: 1
	.section	.text._ZL26rocblas_syr2k_her2k_kernelIiLb1ELb0ELb1ELi32EPKdPKS1_PKPdEvbiT_T4_T5_S7_lS9_S7_lT6_S7_li,"axG",@progbits,_ZL26rocblas_syr2k_her2k_kernelIiLb1ELb0ELb1ELi32EPKdPKS1_PKPdEvbiT_T4_T5_S7_lS9_S7_lT6_S7_li,comdat
	.globl	_ZL26rocblas_syr2k_her2k_kernelIiLb1ELb0ELb1ELi32EPKdPKS1_PKPdEvbiT_T4_T5_S7_lS9_S7_lT6_S7_li ; -- Begin function _ZL26rocblas_syr2k_her2k_kernelIiLb1ELb0ELb1ELi32EPKdPKS1_PKPdEvbiT_T4_T5_S7_lS9_S7_lT6_S7_li
	.p2align	8
	.type	_ZL26rocblas_syr2k_her2k_kernelIiLb1ELb0ELb1ELi32EPKdPKS1_PKPdEvbiT_T4_T5_S7_lS9_S7_lT6_S7_li,@function
_ZL26rocblas_syr2k_her2k_kernelIiLb1ELb0ELb1ELi32EPKdPKS1_PKPdEvbiT_T4_T5_S7_lS9_S7_lT6_S7_li: ; @_ZL26rocblas_syr2k_her2k_kernelIiLb1ELb0ELb1ELi32EPKdPKS1_PKPdEvbiT_T4_T5_S7_lS9_S7_lT6_S7_li
; %bb.0:
	s_load_b128 s[16:19], s[0:1], 0x10
	s_waitcnt lgkmcnt(0)
	s_load_b64 s[16:17], s[16:17], 0x0
	s_waitcnt lgkmcnt(0)
	v_cmp_eq_f64_e64 s3, s[16:17], 0
	s_delay_alu instid0(VALU_DEP_1)
	s_and_b32 vcc_lo, exec_lo, s3
	s_cbranch_vccnz .LBB1919_17
; %bb.1:
	s_load_b128 s[4:7], s[0:1], 0x0
	s_waitcnt lgkmcnt(0)
	s_lshl_b32 s7, s14, 5
	s_and_b32 s3, 1, s4
	s_lshl_b32 s4, s13, 5
	s_cmp_eq_u32 s3, 1
	s_cselect_b32 vcc_lo, -1, 0
	s_delay_alu instid0(SALU_CYCLE_1) | instskip(SKIP_2) | instid1(SALU_CYCLE_1)
	s_and_b32 s3, vcc_lo, exec_lo
	s_cselect_b32 s3, s4, s7
	s_cselect_b32 s8, s7, s4
	s_cmp_gt_i32 s3, s8
	s_cbranch_scc1 .LBB1919_17
; %bb.2:
	s_cmp_lt_i32 s6, 1
	s_cbranch_scc1 .LBB1919_17
; %bb.3:
	s_mov_b32 s2, s15
	s_clause 0x4
	s_load_b128 s[12:15], s[0:1], 0x28
	s_load_b32 s24, s[0:1], 0x20
	s_load_b32 s25, s[0:1], 0x38
	s_load_b128 s[8:11], s[0:1], 0x40
	s_load_b32 s26, s[0:1], 0x50
	s_mov_b32 s3, 0
	s_load_b64 s[22:23], s[0:1], 0x58
	s_lshl_b64 s[20:21], s[2:3], 3
	v_and_b32_e32 v10, 0x3ff, v0
	s_add_u32 s0, s18, s20
	s_addc_u32 s1, s19, s21
	v_bfe_u32 v11, v0, 10, 10
	s_load_b64 s[18:19], s[0:1], 0x0
	v_add_nc_u32_e32 v0, s4, v10
	s_delay_alu instid0(VALU_DEP_2) | instskip(SKIP_2) | instid1(VALU_DEP_4)
	v_add_nc_u32_e32 v8, s7, v11
	v_lshlrev_b32_e32 v6, 3, v11
	v_lshlrev_b32_e32 v12, 8, v10
	v_ashrrev_i32_e32 v1, 31, v0
	s_waitcnt lgkmcnt(0)
	s_add_u32 s0, s14, s20
	v_cndmask_b32_e32 v9, v8, v0, vcc_lo
	s_addc_u32 s1, s15, s21
	v_mad_i64_i32 v[2:3], null, s24, v0, 0
	s_load_b64 s[14:15], s[0:1], 0x0
	s_add_u32 s0, s10, s20
	s_addc_u32 s1, s11, s21
	v_mad_i64_i32 v[4:5], null, s25, v8, 0
	s_load_b64 s[10:11], s[0:1], 0x0
	s_delay_alu instid0(VALU_DEP_2) | instskip(SKIP_4) | instid1(VALU_DEP_3)
	v_lshlrev_b64 v[2:3], 3, v[2:3]
	s_lshl_b64 s[12:13], s[12:13], 3
	v_cndmask_b32_e32 v7, v0, v8, vcc_lo
	s_add_u32 s7, s18, s12
	s_addc_u32 s12, s19, s13
	v_lshlrev_b64 v[4:5], 3, v[4:5]
	v_add_co_u32 v14, s1, s7, v2
	s_delay_alu instid0(VALU_DEP_1)
	v_add_co_ci_u32_e64 v15, s1, s12, v3, s1
	v_mad_i64_i32 v[2:3], null, s26, v8, 0
	v_cmp_gt_i32_e32 vcc_lo, s5, v0
	v_cmp_gt_i32_e64 s0, s5, v8
	s_lshl_b64 s[4:5], s[8:9], 3
	v_add_nc_u32_e32 v13, v12, v6
	s_waitcnt lgkmcnt(0)
	s_add_u32 s8, s14, s4
	s_addc_u32 s9, s15, s5
	v_add_co_u32 v17, s1, s8, v4
	s_delay_alu instid0(VALU_DEP_1)
	v_add_co_ci_u32_e64 v18, s1, s9, v5, s1
	v_lshlrev_b64 v[2:3], 3, v[2:3]
	v_mad_i64_i32 v[4:5], null, s25, v0, 0
	s_lshl_b64 s[4:5], s[22:23], 3
	v_or_b32_e32 v16, 0x2000, v6
	v_cmp_le_i32_e64 s1, v9, v7
	v_mad_i64_i32 v[6:7], null, s24, v8, 0
	s_add_u32 s2, s10, s4
	v_lshlrev_b64 v[0:1], 3, v[0:1]
	s_addc_u32 s4, s11, s5
	v_add_co_u32 v8, s2, s2, v2
	s_delay_alu instid0(VALU_DEP_1) | instskip(SKIP_1) | instid1(VALU_DEP_3)
	v_add_co_ci_u32_e64 v9, s2, s4, v3, s2
	v_lshlrev_b64 v[2:3], 3, v[4:5]
	v_add_co_u32 v0, s2, v8, v0
	v_lshlrev_b64 v[4:5], 3, v[6:7]
	s_delay_alu instid0(VALU_DEP_4) | instskip(NEXT) | instid1(VALU_DEP_4)
	v_add_co_ci_u32_e64 v1, s2, v9, v1, s2
	v_add_co_u32 v20, s2, s8, v2
	s_delay_alu instid0(VALU_DEP_1) | instskip(NEXT) | instid1(VALU_DEP_4)
	v_add_co_ci_u32_e64 v21, s2, s9, v3, s2
	v_add_co_u32 v22, s2, s7, v4
	v_add_nc_u32_e32 v19, v16, v12
	v_add_co_ci_u32_e64 v23, s2, s12, v5, s2
	v_add_nc_u32_e32 v24, 0x800, v16
	v_add_nc_u32_e32 v25, 0x1000, v16
	;; [unrolled: 1-line block ×3, first 2 shown]
	s_and_b32 s2, s0, vcc_lo
	s_delay_alu instid0(SALU_CYCLE_1)
	s_and_b32 s2, s2, s1
	s_branch .LBB1919_5
.LBB1919_4:                             ;   in Loop: Header=BB1919_5 Depth=1
	s_or_b32 exec_lo, exec_lo, s1
	s_add_i32 s3, s3, 32
	s_waitcnt_vscnt null, 0x0
	s_cmp_lt_i32 s3, s6
	s_barrier
	buffer_gl0_inv
	s_cbranch_scc0 .LBB1919_17
.LBB1919_5:                             ; =>This Inner Loop Header: Depth=1
	v_add_nc_u32_e32 v2, s3, v11
	v_mov_b32_e32 v6, 0
	v_mov_b32_e32 v7, 0
	s_delay_alu instid0(VALU_DEP_3) | instskip(SKIP_1) | instid1(VALU_DEP_3)
	v_cmp_gt_i32_e64 s1, s6, v2
	v_ashrrev_i32_e32 v3, 31, v2
	v_dual_mov_b32 v9, v7 :: v_dual_mov_b32 v8, v6
	s_delay_alu instid0(VALU_DEP_3) | instskip(NEXT) | instid1(SALU_CYCLE_1)
	s_and_b32 s4, vcc_lo, s1
	s_and_saveexec_b32 s5, s4
	s_cbranch_execz .LBB1919_7
; %bb.6:                                ;   in Loop: Header=BB1919_5 Depth=1
	v_lshlrev_b64 v[4:5], 3, v[2:3]
	s_delay_alu instid0(VALU_DEP_1) | instskip(NEXT) | instid1(VALU_DEP_1)
	v_add_co_u32 v4, s1, v14, v4
	v_add_co_ci_u32_e64 v5, s1, v15, v5, s1
	global_load_b64 v[8:9], v[4:5], off
.LBB1919_7:                             ;   in Loop: Header=BB1919_5 Depth=1
	s_or_b32 exec_lo, exec_lo, s5
	v_add_nc_u32_e32 v4, s3, v10
	s_waitcnt vmcnt(0)
	ds_store_b64 v13, v[8:9]
	v_cmp_gt_i32_e64 s1, s6, v4
	v_ashrrev_i32_e32 v5, 31, v4
	s_delay_alu instid0(VALU_DEP_2) | instskip(NEXT) | instid1(SALU_CYCLE_1)
	s_and_b32 s5, s0, s1
	s_and_saveexec_b32 s7, s5
	s_cbranch_execz .LBB1919_9
; %bb.8:                                ;   in Loop: Header=BB1919_5 Depth=1
	s_delay_alu instid0(VALU_DEP_1) | instskip(NEXT) | instid1(VALU_DEP_1)
	v_lshlrev_b64 v[6:7], 3, v[4:5]
	v_add_co_u32 v6, s1, v17, v6
	s_delay_alu instid0(VALU_DEP_1)
	v_add_co_ci_u32_e64 v7, s1, v18, v7, s1
	global_load_b64 v[6:7], v[6:7], off
.LBB1919_9:                             ;   in Loop: Header=BB1919_5 Depth=1
	s_or_b32 exec_lo, exec_lo, s7
	s_waitcnt vmcnt(0)
	ds_store_b64 v19, v[6:7]
	s_waitcnt lgkmcnt(0)
	s_barrier
	buffer_gl0_inv
	s_and_saveexec_b32 s1, s2
	s_cbranch_execz .LBB1919_11
; %bb.10:                               ;   in Loop: Header=BB1919_5 Depth=1
	ds_load_2addr_b64 v[6:9], v16 offset1:32
	ds_load_b128 v[27:30], v12
	ds_load_b128 v[31:34], v12 offset:16
	s_waitcnt lgkmcnt(1)
	v_fma_f64 v[6:7], v[27:28], v[6:7], 0
	s_delay_alu instid0(VALU_DEP_1) | instskip(SKIP_3) | instid1(VALU_DEP_1)
	v_fma_f64 v[27:28], v[29:30], v[8:9], v[6:7]
	ds_load_2addr_b64 v[6:9], v16 offset0:64 offset1:96
	s_waitcnt lgkmcnt(0)
	v_fma_f64 v[6:7], v[31:32], v[6:7], v[27:28]
	v_fma_f64 v[35:36], v[33:34], v[8:9], v[6:7]
	ds_load_2addr_b64 v[6:9], v16 offset0:128 offset1:160
	ds_load_b128 v[27:30], v12 offset:32
	ds_load_b128 v[31:34], v12 offset:48
	s_waitcnt lgkmcnt(1)
	v_fma_f64 v[6:7], v[27:28], v[6:7], v[35:36]
	s_delay_alu instid0(VALU_DEP_1) | instskip(SKIP_3) | instid1(VALU_DEP_1)
	v_fma_f64 v[27:28], v[29:30], v[8:9], v[6:7]
	ds_load_2addr_b64 v[6:9], v16 offset0:192 offset1:224
	s_waitcnt lgkmcnt(0)
	v_fma_f64 v[6:7], v[31:32], v[6:7], v[27:28]
	v_fma_f64 v[35:36], v[33:34], v[8:9], v[6:7]
	ds_load_2addr_b64 v[6:9], v24 offset1:32
	ds_load_b128 v[27:30], v12 offset:64
	ds_load_b128 v[31:34], v12 offset:80
	s_waitcnt lgkmcnt(1)
	v_fma_f64 v[6:7], v[27:28], v[6:7], v[35:36]
	s_delay_alu instid0(VALU_DEP_1) | instskip(SKIP_3) | instid1(VALU_DEP_1)
	v_fma_f64 v[27:28], v[29:30], v[8:9], v[6:7]
	ds_load_2addr_b64 v[6:9], v24 offset0:64 offset1:96
	s_waitcnt lgkmcnt(0)
	v_fma_f64 v[6:7], v[31:32], v[6:7], v[27:28]
	v_fma_f64 v[35:36], v[33:34], v[8:9], v[6:7]
	ds_load_2addr_b64 v[6:9], v24 offset0:128 offset1:160
	ds_load_b128 v[27:30], v12 offset:96
	ds_load_b128 v[31:34], v12 offset:112
	s_waitcnt lgkmcnt(1)
	v_fma_f64 v[6:7], v[27:28], v[6:7], v[35:36]
	s_delay_alu instid0(VALU_DEP_1) | instskip(SKIP_3) | instid1(VALU_DEP_1)
	v_fma_f64 v[27:28], v[29:30], v[8:9], v[6:7]
	ds_load_2addr_b64 v[6:9], v24 offset0:192 offset1:224
	s_waitcnt lgkmcnt(0)
	v_fma_f64 v[6:7], v[31:32], v[6:7], v[27:28]
	v_fma_f64 v[35:36], v[33:34], v[8:9], v[6:7]
	ds_load_2addr_b64 v[6:9], v25 offset1:32
	ds_load_b128 v[27:30], v12 offset:128
	;; [unrolled: 22-line block ×3, first 2 shown]
	global_load_b64 v[37:38], v[0:1], off
	ds_load_b128 v[31:34], v12 offset:208
	s_waitcnt lgkmcnt(1)
	v_fma_f64 v[6:7], v[27:28], v[6:7], v[35:36]
	s_delay_alu instid0(VALU_DEP_1) | instskip(SKIP_3) | instid1(VALU_DEP_1)
	v_fma_f64 v[27:28], v[29:30], v[8:9], v[6:7]
	ds_load_2addr_b64 v[6:9], v26 offset0:64 offset1:96
	s_waitcnt lgkmcnt(0)
	v_fma_f64 v[6:7], v[31:32], v[6:7], v[27:28]
	v_fma_f64 v[35:36], v[33:34], v[8:9], v[6:7]
	ds_load_2addr_b64 v[6:9], v26 offset0:128 offset1:160
	ds_load_b128 v[27:30], v12 offset:224
	ds_load_b128 v[31:34], v12 offset:240
	s_waitcnt lgkmcnt(1)
	v_fma_f64 v[6:7], v[27:28], v[6:7], v[35:36]
	s_delay_alu instid0(VALU_DEP_1) | instskip(SKIP_3) | instid1(VALU_DEP_1)
	v_fma_f64 v[27:28], v[29:30], v[8:9], v[6:7]
	ds_load_2addr_b64 v[6:9], v26 offset0:192 offset1:224
	s_waitcnt lgkmcnt(0)
	v_fma_f64 v[6:7], v[31:32], v[6:7], v[27:28]
	v_fma_f64 v[6:7], v[33:34], v[8:9], v[6:7]
	s_waitcnt vmcnt(0)
	s_delay_alu instid0(VALU_DEP_1)
	v_fma_f64 v[6:7], s[16:17], v[6:7], v[37:38]
	global_store_b64 v[0:1], v[6:7], off
.LBB1919_11:                            ;   in Loop: Header=BB1919_5 Depth=1
	s_or_b32 exec_lo, exec_lo, s1
	v_mov_b32_e32 v6, 0
	v_mov_b32_e32 v7, 0
	s_waitcnt_vscnt null, 0x0
	s_barrier
	buffer_gl0_inv
	v_dual_mov_b32 v9, v7 :: v_dual_mov_b32 v8, v6
	s_and_saveexec_b32 s7, s4
	s_cbranch_execz .LBB1919_13
; %bb.12:                               ;   in Loop: Header=BB1919_5 Depth=1
	v_lshlrev_b64 v[2:3], 3, v[2:3]
	s_delay_alu instid0(VALU_DEP_1) | instskip(NEXT) | instid1(VALU_DEP_1)
	v_add_co_u32 v2, s1, v20, v2
	v_add_co_ci_u32_e64 v3, s1, v21, v3, s1
	global_load_b64 v[8:9], v[2:3], off
.LBB1919_13:                            ;   in Loop: Header=BB1919_5 Depth=1
	s_or_b32 exec_lo, exec_lo, s7
	s_waitcnt vmcnt(0)
	ds_store_b64 v13, v[8:9]
	s_and_saveexec_b32 s4, s5
	s_cbranch_execz .LBB1919_15
; %bb.14:                               ;   in Loop: Header=BB1919_5 Depth=1
	v_lshlrev_b64 v[2:3], 3, v[4:5]
	s_delay_alu instid0(VALU_DEP_1) | instskip(NEXT) | instid1(VALU_DEP_1)
	v_add_co_u32 v2, s1, v22, v2
	v_add_co_ci_u32_e64 v3, s1, v23, v3, s1
	global_load_b64 v[6:7], v[2:3], off
.LBB1919_15:                            ;   in Loop: Header=BB1919_5 Depth=1
	s_or_b32 exec_lo, exec_lo, s4
	s_waitcnt vmcnt(0)
	ds_store_b64 v19, v[6:7]
	s_waitcnt lgkmcnt(0)
	s_barrier
	buffer_gl0_inv
	s_and_saveexec_b32 s1, s2
	s_cbranch_execz .LBB1919_4
; %bb.16:                               ;   in Loop: Header=BB1919_5 Depth=1
	ds_load_2addr_b64 v[2:5], v16 offset1:32
	ds_load_b128 v[6:9], v12
	ds_load_b128 v[27:30], v12 offset:16
	s_waitcnt lgkmcnt(1)
	v_fma_f64 v[2:3], v[6:7], v[2:3], 0
	s_delay_alu instid0(VALU_DEP_1) | instskip(SKIP_3) | instid1(VALU_DEP_1)
	v_fma_f64 v[6:7], v[8:9], v[4:5], v[2:3]
	ds_load_2addr_b64 v[2:5], v16 offset0:64 offset1:96
	s_waitcnt lgkmcnt(0)
	v_fma_f64 v[2:3], v[27:28], v[2:3], v[6:7]
	v_fma_f64 v[31:32], v[29:30], v[4:5], v[2:3]
	ds_load_2addr_b64 v[2:5], v16 offset0:128 offset1:160
	ds_load_b128 v[6:9], v12 offset:32
	ds_load_b128 v[27:30], v12 offset:48
	s_waitcnt lgkmcnt(1)
	v_fma_f64 v[2:3], v[6:7], v[2:3], v[31:32]
	s_delay_alu instid0(VALU_DEP_1) | instskip(SKIP_3) | instid1(VALU_DEP_1)
	v_fma_f64 v[6:7], v[8:9], v[4:5], v[2:3]
	ds_load_2addr_b64 v[2:5], v16 offset0:192 offset1:224
	s_waitcnt lgkmcnt(0)
	v_fma_f64 v[2:3], v[27:28], v[2:3], v[6:7]
	v_fma_f64 v[31:32], v[29:30], v[4:5], v[2:3]
	ds_load_2addr_b64 v[2:5], v24 offset1:32
	ds_load_b128 v[6:9], v12 offset:64
	ds_load_b128 v[27:30], v12 offset:80
	s_waitcnt lgkmcnt(1)
	v_fma_f64 v[2:3], v[6:7], v[2:3], v[31:32]
	s_delay_alu instid0(VALU_DEP_1) | instskip(SKIP_3) | instid1(VALU_DEP_1)
	v_fma_f64 v[6:7], v[8:9], v[4:5], v[2:3]
	ds_load_2addr_b64 v[2:5], v24 offset0:64 offset1:96
	s_waitcnt lgkmcnt(0)
	v_fma_f64 v[2:3], v[27:28], v[2:3], v[6:7]
	v_fma_f64 v[31:32], v[29:30], v[4:5], v[2:3]
	ds_load_2addr_b64 v[2:5], v24 offset0:128 offset1:160
	ds_load_b128 v[6:9], v12 offset:96
	ds_load_b128 v[27:30], v12 offset:112
	s_waitcnt lgkmcnt(1)
	v_fma_f64 v[2:3], v[6:7], v[2:3], v[31:32]
	s_delay_alu instid0(VALU_DEP_1) | instskip(SKIP_3) | instid1(VALU_DEP_1)
	v_fma_f64 v[6:7], v[8:9], v[4:5], v[2:3]
	ds_load_2addr_b64 v[2:5], v24 offset0:192 offset1:224
	s_waitcnt lgkmcnt(0)
	v_fma_f64 v[2:3], v[27:28], v[2:3], v[6:7]
	v_fma_f64 v[31:32], v[29:30], v[4:5], v[2:3]
	ds_load_2addr_b64 v[2:5], v25 offset1:32
	ds_load_b128 v[6:9], v12 offset:128
	;; [unrolled: 22-line block ×3, first 2 shown]
	global_load_b64 v[33:34], v[0:1], off
	ds_load_b128 v[27:30], v12 offset:208
	s_waitcnt lgkmcnt(1)
	v_fma_f64 v[2:3], v[6:7], v[2:3], v[31:32]
	s_delay_alu instid0(VALU_DEP_1) | instskip(SKIP_3) | instid1(VALU_DEP_1)
	v_fma_f64 v[6:7], v[8:9], v[4:5], v[2:3]
	ds_load_2addr_b64 v[2:5], v26 offset0:64 offset1:96
	s_waitcnt lgkmcnt(0)
	v_fma_f64 v[2:3], v[27:28], v[2:3], v[6:7]
	v_fma_f64 v[31:32], v[29:30], v[4:5], v[2:3]
	ds_load_2addr_b64 v[2:5], v26 offset0:128 offset1:160
	ds_load_b128 v[6:9], v12 offset:224
	ds_load_b128 v[27:30], v12 offset:240
	s_waitcnt lgkmcnt(1)
	v_fma_f64 v[2:3], v[6:7], v[2:3], v[31:32]
	s_delay_alu instid0(VALU_DEP_1) | instskip(SKIP_3) | instid1(VALU_DEP_1)
	v_fma_f64 v[6:7], v[8:9], v[4:5], v[2:3]
	ds_load_2addr_b64 v[2:5], v26 offset0:192 offset1:224
	s_waitcnt lgkmcnt(0)
	v_fma_f64 v[2:3], v[27:28], v[2:3], v[6:7]
	v_fma_f64 v[2:3], v[29:30], v[4:5], v[2:3]
	s_waitcnt vmcnt(0)
	s_delay_alu instid0(VALU_DEP_1)
	v_fma_f64 v[2:3], s[16:17], v[2:3], v[33:34]
	global_store_b64 v[0:1], v[2:3], off
	s_branch .LBB1919_4
.LBB1919_17:
	s_endpgm
	.section	.rodata,"a",@progbits
	.p2align	6, 0x0
	.amdhsa_kernel _ZL26rocblas_syr2k_her2k_kernelIiLb1ELb0ELb1ELi32EPKdPKS1_PKPdEvbiT_T4_T5_S7_lS9_S7_lT6_S7_li
		.amdhsa_group_segment_fixed_size 16384
		.amdhsa_private_segment_fixed_size 0
		.amdhsa_kernarg_size 100
		.amdhsa_user_sgpr_count 13
		.amdhsa_user_sgpr_dispatch_ptr 0
		.amdhsa_user_sgpr_queue_ptr 0
		.amdhsa_user_sgpr_kernarg_segment_ptr 1
		.amdhsa_user_sgpr_dispatch_id 0
		.amdhsa_user_sgpr_private_segment_size 0
		.amdhsa_wavefront_size32 1
		.amdhsa_uses_dynamic_stack 0
		.amdhsa_enable_private_segment 0
		.amdhsa_system_sgpr_workgroup_id_x 1
		.amdhsa_system_sgpr_workgroup_id_y 1
		.amdhsa_system_sgpr_workgroup_id_z 1
		.amdhsa_system_sgpr_workgroup_info 0
		.amdhsa_system_vgpr_workitem_id 1
		.amdhsa_next_free_vgpr 39
		.amdhsa_next_free_sgpr 27
		.amdhsa_reserve_vcc 1
		.amdhsa_float_round_mode_32 0
		.amdhsa_float_round_mode_16_64 0
		.amdhsa_float_denorm_mode_32 3
		.amdhsa_float_denorm_mode_16_64 3
		.amdhsa_dx10_clamp 1
		.amdhsa_ieee_mode 1
		.amdhsa_fp16_overflow 0
		.amdhsa_workgroup_processor_mode 1
		.amdhsa_memory_ordered 1
		.amdhsa_forward_progress 0
		.amdhsa_shared_vgpr_count 0
		.amdhsa_exception_fp_ieee_invalid_op 0
		.amdhsa_exception_fp_denorm_src 0
		.amdhsa_exception_fp_ieee_div_zero 0
		.amdhsa_exception_fp_ieee_overflow 0
		.amdhsa_exception_fp_ieee_underflow 0
		.amdhsa_exception_fp_ieee_inexact 0
		.amdhsa_exception_int_div_zero 0
	.end_amdhsa_kernel
	.section	.text._ZL26rocblas_syr2k_her2k_kernelIiLb1ELb0ELb1ELi32EPKdPKS1_PKPdEvbiT_T4_T5_S7_lS9_S7_lT6_S7_li,"axG",@progbits,_ZL26rocblas_syr2k_her2k_kernelIiLb1ELb0ELb1ELi32EPKdPKS1_PKPdEvbiT_T4_T5_S7_lS9_S7_lT6_S7_li,comdat
.Lfunc_end1919:
	.size	_ZL26rocblas_syr2k_her2k_kernelIiLb1ELb0ELb1ELi32EPKdPKS1_PKPdEvbiT_T4_T5_S7_lS9_S7_lT6_S7_li, .Lfunc_end1919-_ZL26rocblas_syr2k_her2k_kernelIiLb1ELb0ELb1ELi32EPKdPKS1_PKPdEvbiT_T4_T5_S7_lS9_S7_lT6_S7_li
                                        ; -- End function
	.section	.AMDGPU.csdata,"",@progbits
; Kernel info:
; codeLenInByte = 2312
; NumSgprs: 29
; NumVgprs: 39
; ScratchSize: 0
; MemoryBound: 0
; FloatMode: 240
; IeeeMode: 1
; LDSByteSize: 16384 bytes/workgroup (compile time only)
; SGPRBlocks: 3
; VGPRBlocks: 4
; NumSGPRsForWavesPerEU: 29
; NumVGPRsForWavesPerEU: 39
; Occupancy: 16
; WaveLimiterHint : 1
; COMPUTE_PGM_RSRC2:SCRATCH_EN: 0
; COMPUTE_PGM_RSRC2:USER_SGPR: 13
; COMPUTE_PGM_RSRC2:TRAP_HANDLER: 0
; COMPUTE_PGM_RSRC2:TGID_X_EN: 1
; COMPUTE_PGM_RSRC2:TGID_Y_EN: 1
; COMPUTE_PGM_RSRC2:TGID_Z_EN: 1
; COMPUTE_PGM_RSRC2:TIDIG_COMP_CNT: 1
	.section	.text._ZL26rocblas_syr2k_her2k_kernelIiLb1ELb0ELb0ELi32E19rocblas_complex_numIfEPKPKS1_PKPS1_EvbiT_T4_T5_S9_lSB_S9_lT6_S9_li,"axG",@progbits,_ZL26rocblas_syr2k_her2k_kernelIiLb1ELb0ELb0ELi32E19rocblas_complex_numIfEPKPKS1_PKPS1_EvbiT_T4_T5_S9_lSB_S9_lT6_S9_li,comdat
	.globl	_ZL26rocblas_syr2k_her2k_kernelIiLb1ELb0ELb0ELi32E19rocblas_complex_numIfEPKPKS1_PKPS1_EvbiT_T4_T5_S9_lSB_S9_lT6_S9_li ; -- Begin function _ZL26rocblas_syr2k_her2k_kernelIiLb1ELb0ELb0ELi32E19rocblas_complex_numIfEPKPKS1_PKPS1_EvbiT_T4_T5_S9_lSB_S9_lT6_S9_li
	.p2align	8
	.type	_ZL26rocblas_syr2k_her2k_kernelIiLb1ELb0ELb0ELi32E19rocblas_complex_numIfEPKPKS1_PKPS1_EvbiT_T4_T5_S9_lSB_S9_lT6_S9_li,@function
_ZL26rocblas_syr2k_her2k_kernelIiLb1ELb0ELb0ELi32E19rocblas_complex_numIfEPKPKS1_PKPS1_EvbiT_T4_T5_S9_lSB_S9_lT6_S9_li: ; @_ZL26rocblas_syr2k_her2k_kernelIiLb1ELb0ELb0ELi32E19rocblas_complex_numIfEPKPKS1_PKPS1_EvbiT_T4_T5_S9_lSB_S9_lT6_S9_li
; %bb.0:
	s_clause 0x1
	s_load_b128 s[4:7], s[0:1], 0x0
	s_load_b32 s16, s[0:1], 0x10
	s_waitcnt lgkmcnt(0)
	v_cmp_eq_f32_e64 s3, s7, 0
	v_cmp_eq_f32_e64 s8, s16, 0
	s_delay_alu instid0(VALU_DEP_1) | instskip(NEXT) | instid1(SALU_CYCLE_1)
	s_and_b32 s3, s3, s8
	s_and_b32 vcc_lo, exec_lo, s3
	s_cbranch_vccnz .LBB1920_17
; %bb.1:
	s_and_b32 s3, 1, s4
	s_lshl_b32 s18, s14, 5
	s_lshl_b32 s19, s13, 5
	s_cmp_eq_u32 s3, 1
	s_cselect_b32 vcc_lo, -1, 0
	s_delay_alu instid0(SALU_CYCLE_1) | instskip(SKIP_2) | instid1(SALU_CYCLE_1)
	s_and_b32 s3, vcc_lo, exec_lo
	s_cselect_b32 s3, s19, s18
	s_cselect_b32 s4, s18, s19
	s_cmp_gt_i32 s3, s4
	s_cbranch_scc1 .LBB1920_17
; %bb.2:
	s_cmp_lt_i32 s6, 1
	s_cbranch_scc1 .LBB1920_17
; %bb.3:
	s_mov_b32 s2, s15
	s_clause 0x5
	s_load_b64 s[20:21], s[0:1], 0x18
	s_load_b128 s[12:15], s[0:1], 0x28
	s_load_b32 s4, s[0:1], 0x20
	s_load_b32 s17, s[0:1], 0x38
	s_load_b128 s[8:11], s[0:1], 0x40
	s_load_b32 s24, s[0:1], 0x50
	v_bfe_u32 v6, v0, 10, 10
	v_and_b32_e32 v7, 0x3ff, v0
	s_mov_b32 s3, 0
	s_load_b64 s[22:23], s[0:1], 0x58
	s_lshl_b64 s[0:1], s[2:3], 3
	v_add_nc_u32_e32 v0, s18, v6
	v_add_nc_u32_e32 v2, s19, v7
	v_lshlrev_b32_e32 v10, 3, v6
	v_lshlrev_b32_e32 v8, 8, v7
	s_delay_alu instid0(VALU_DEP_4) | instskip(NEXT) | instid1(VALU_DEP_4)
	v_ashrrev_i32_e32 v1, 31, v0
	v_cndmask_b32_e32 v17, v0, v2, vcc_lo
	v_ashrrev_i32_e32 v3, 31, v2
	s_delay_alu instid0(VALU_DEP_4)
	v_dual_cndmask_b32 v16, v2, v0 :: v_dual_add_nc_u32 v9, v8, v10
	s_waitcnt lgkmcnt(0)
	s_add_u32 s18, s20, s0
	s_addc_u32 s19, s21, s1
	s_add_u32 s14, s14, s0
	s_load_b64 s[18:19], s[18:19], 0x0
	s_addc_u32 s15, s15, s1
	s_add_u32 s0, s10, s0
	s_load_b64 s[14:15], s[14:15], 0x0
	s_addc_u32 s1, s11, s1
	v_mad_i64_i32 v[4:5], null, s24, v0, 0
	s_load_b64 s[10:11], s[0:1], 0x0
	v_cmp_gt_i32_e32 vcc_lo, s5, v2
	v_lshlrev_b64 v[2:3], 3, v[2:3]
	s_lshl_b64 s[12:13], s[12:13], 3
	v_lshlrev_b64 v[18:19], 3, v[0:1]
	v_cmp_gt_i32_e64 s0, s5, v0
	v_lshlrev_b64 v[0:1], 3, v[4:5]
	v_or_b32_e32 v10, 0x2000, v10
	s_delay_alu instid0(VALU_DEP_1)
	v_add_nc_u32_e32 v15, v10, v8
	s_waitcnt lgkmcnt(0)
	s_add_u32 s5, s18, s12
	s_addc_u32 s12, s19, s13
	s_lshl_b64 s[8:9], s[8:9], 3
	v_add_co_u32 v11, s1, s5, v2
	s_add_u32 s13, s14, s8
	s_addc_u32 s14, s15, s9
	s_lshl_b64 s[8:9], s[22:23], 3
	v_add_co_ci_u32_e64 v12, s1, s12, v3, s1
	v_add_co_u32 v13, s1, s13, v18
	s_add_u32 s2, s10, s8
	v_add_co_ci_u32_e64 v14, s1, s14, v19, s1
	s_addc_u32 s8, s11, s9
	v_add_co_u32 v0, s1, s2, v0
	s_delay_alu instid0(VALU_DEP_1) | instskip(SKIP_1) | instid1(VALU_DEP_3)
	v_add_co_ci_u32_e64 v1, s1, s8, v1, s1
	v_cmp_le_i32_e64 s1, v17, v16
	v_add_co_u32 v0, s2, v0, v2
	s_delay_alu instid0(VALU_DEP_1) | instskip(SKIP_1) | instid1(VALU_DEP_1)
	v_add_co_ci_u32_e64 v1, s2, v1, v3, s2
	v_add_co_u32 v16, s2, s13, v2
	v_add_co_ci_u32_e64 v17, s2, s14, v3, s2
	v_add_co_u32 v18, s2, s5, v18
	s_delay_alu instid0(VALU_DEP_1) | instskip(SKIP_4) | instid1(SALU_CYCLE_1)
	v_add_co_ci_u32_e64 v19, s2, s12, v19, s2
	v_add_nc_u32_e32 v20, 0x800, v10
	v_add_nc_u32_e32 v21, 0x1000, v10
	;; [unrolled: 1-line block ×3, first 2 shown]
	s_and_b32 s2, s0, vcc_lo
	s_and_b32 s2, s2, s1
	s_branch .LBB1920_5
.LBB1920_4:                             ;   in Loop: Header=BB1920_5 Depth=1
	s_or_b32 exec_lo, exec_lo, s1
	s_add_i32 s3, s3, 32
	s_waitcnt_vscnt null, 0x0
	s_cmp_lt_i32 s3, s6
	s_barrier
	buffer_gl0_inv
	s_cbranch_scc0 .LBB1920_17
.LBB1920_5:                             ; =>This Inner Loop Header: Depth=1
	v_dual_mov_b32 v2, 0 :: v_dual_add_nc_u32 v23, s3, v6
	v_dual_mov_b32 v4, 0 :: v_dual_mov_b32 v5, 0
	s_delay_alu instid0(VALU_DEP_2) | instskip(NEXT) | instid1(VALU_DEP_1)
	v_cmp_gt_i32_e64 s1, s6, v23
	s_and_b32 s5, vcc_lo, s1
	s_delay_alu instid0(SALU_CYCLE_1)
	s_and_saveexec_b32 s8, s5
	s_cbranch_execz .LBB1920_7
; %bb.6:                                ;   in Loop: Header=BB1920_5 Depth=1
	v_mad_i64_i32 v[3:4], null, v23, s4, 0
	s_delay_alu instid0(VALU_DEP_1) | instskip(NEXT) | instid1(VALU_DEP_1)
	v_lshlrev_b64 v[3:4], 3, v[3:4]
	v_add_co_u32 v3, s1, v11, v3
	s_delay_alu instid0(VALU_DEP_1)
	v_add_co_ci_u32_e64 v4, s1, v12, v4, s1
	global_load_b64 v[4:5], v[3:4], off
.LBB1920_7:                             ;   in Loop: Header=BB1920_5 Depth=1
	s_or_b32 exec_lo, exec_lo, s8
	v_dual_mov_b32 v3, 0 :: v_dual_add_nc_u32 v24, s3, v7
	s_waitcnt vmcnt(0)
	ds_store_b64 v9, v[4:5]
	v_cmp_gt_i32_e64 s1, s6, v24
	s_delay_alu instid0(VALU_DEP_1) | instskip(NEXT) | instid1(SALU_CYCLE_1)
	s_and_b32 s8, s0, s1
	s_and_saveexec_b32 s9, s8
	s_cbranch_execz .LBB1920_9
; %bb.8:                                ;   in Loop: Header=BB1920_5 Depth=1
	v_mad_i64_i32 v[2:3], null, v24, s17, 0
	s_delay_alu instid0(VALU_DEP_1) | instskip(NEXT) | instid1(VALU_DEP_1)
	v_lshlrev_b64 v[2:3], 3, v[2:3]
	v_add_co_u32 v2, s1, v13, v2
	s_delay_alu instid0(VALU_DEP_1)
	v_add_co_ci_u32_e64 v3, s1, v14, v3, s1
	global_load_b64 v[2:3], v[2:3], off
.LBB1920_9:                             ;   in Loop: Header=BB1920_5 Depth=1
	s_or_b32 exec_lo, exec_lo, s9
	s_waitcnt vmcnt(0)
	ds_store_b64 v15, v[2:3]
	s_waitcnt lgkmcnt(0)
	s_barrier
	buffer_gl0_inv
	s_and_saveexec_b32 s1, s2
	s_cbranch_execz .LBB1920_11
; %bb.10:                               ;   in Loop: Header=BB1920_5 Depth=1
	global_load_b64 v[145:146], v[0:1], off
	ds_load_2addr_b64 v[2:5], v10 offset1:32
	ds_load_b128 v[25:28], v8
	ds_load_b128 v[29:32], v8 offset:16
	ds_load_b128 v[33:36], v8 offset:32
	ds_load_b128 v[37:40], v8 offset:48
	ds_load_2addr_b64 v[41:44], v10 offset0:64 offset1:96
	ds_load_2addr_b64 v[45:48], v10 offset0:128 offset1:160
	;; [unrolled: 1-line block ×3, first 2 shown]
	ds_load_2addr_b64 v[53:56], v20 offset1:32
	ds_load_b128 v[57:60], v8 offset:64
	ds_load_b128 v[61:64], v8 offset:80
	ds_load_2addr_b64 v[65:68], v20 offset0:64 offset1:96
	ds_load_2addr_b64 v[69:72], v20 offset0:128 offset1:160
	ds_load_b128 v[73:76], v8 offset:96
	ds_load_b128 v[77:80], v8 offset:112
	ds_load_2addr_b64 v[81:84], v20 offset0:192 offset1:224
	ds_load_2addr_b64 v[85:88], v21 offset1:32
	ds_load_b128 v[89:92], v8 offset:128
	ds_load_b128 v[93:96], v8 offset:144
	ds_load_2addr_b64 v[97:100], v21 offset0:64 offset1:96
	ds_load_2addr_b64 v[101:104], v21 offset0:128 offset1:160
	ds_load_b128 v[105:108], v8 offset:160
	ds_load_b128 v[109:112], v8 offset:176
	ds_load_2addr_b64 v[113:116], v21 offset0:192 offset1:224
	ds_load_2addr_b64 v[117:120], v22 offset1:32
	ds_load_b128 v[121:124], v8 offset:192
	ds_load_b128 v[125:128], v8 offset:208
	ds_load_2addr_b64 v[129:132], v22 offset0:64 offset1:96
	ds_load_2addr_b64 v[133:136], v22 offset0:128 offset1:160
	s_waitcnt lgkmcnt(27)
	v_dual_mul_f32 v147, v3, v26 :: v_dual_mul_f32 v148, v5, v28
	v_mul_f32_e32 v26, v2, v26
	s_waitcnt lgkmcnt(22)
	v_dual_mul_f32 v28, v4, v28 :: v_dual_mul_f32 v149, v46, v34
	s_delay_alu instid0(VALU_DEP_3)
	v_fma_f32 v147, v2, v25, -v147
	v_mul_f32_e32 v34, v45, v34
	v_fmac_f32_e32 v26, v3, v25
	v_fma_f32 v25, v4, v27, -v148
	v_dual_fmac_f32 v28, v5, v27 :: v_dual_mul_f32 v27, v42, v30
	v_mul_f32_e32 v30, v41, v30
	v_mul_f32_e32 v148, v44, v32
	;; [unrolled: 1-line block ×3, first 2 shown]
	v_fma_f32 v45, v45, v33, -v149
	v_fma_f32 v27, v41, v29, -v27
	v_fmac_f32_e32 v30, v42, v29
	v_fma_f32 v29, v43, v31, -v148
	s_waitcnt lgkmcnt(19)
	v_mul_f32_e32 v42, v54, v58
	v_dual_mul_f32 v43, v53, v58 :: v_dual_add_f32 v58, 0, v147
	v_mul_f32_e32 v150, v48, v36
	v_dual_fmac_f32 v32, v44, v31 :: v_dual_mul_f32 v31, v47, v36
	v_fmac_f32_e32 v34, v46, v33
	s_delay_alu instid0(VALU_DEP_4) | instskip(NEXT) | instid1(VALU_DEP_4)
	v_add_f32_e32 v25, v58, v25
	v_fma_f32 v33, v47, v35, -v150
	v_mul_f32_e32 v41, v52, v40
	v_fmac_f32_e32 v31, v48, v35
	v_mul_f32_e32 v35, v55, v60
	v_dual_add_f32 v25, v25, v27 :: v_dual_mul_f32 v36, v50, v38
	v_mul_f32_e32 v38, v49, v38
	s_waitcnt lgkmcnt(13)
	v_mul_f32_e32 v27, v81, v78
	v_fmac_f32_e32 v35, v56, v59
	v_dual_add_f32 v25, v25, v29 :: v_dual_mul_f32 v44, v56, v60
	v_fma_f32 v36, v49, v37, -v36
	s_waitcnt lgkmcnt(11)
	v_dual_mul_f32 v40, v51, v40 :: v_dual_mul_f32 v29, v86, v90
	s_delay_alu instid0(VALU_DEP_3) | instskip(SKIP_1) | instid1(VALU_DEP_2)
	v_dual_add_f32 v25, v25, v45 :: v_dual_add_f32 v26, 0, v26
	s_waitcnt lgkmcnt(9)
	v_dual_mul_f32 v45, v97, v94 :: v_dual_fmac_f32 v40, v52, v39
	v_dual_mul_f32 v60, v67, v64 :: v_dual_fmac_f32 v43, v54, v57
	s_delay_alu instid0(VALU_DEP_3) | instskip(SKIP_3) | instid1(VALU_DEP_4)
	v_dual_add_f32 v25, v25, v33 :: v_dual_add_f32 v26, v26, v28
	v_mul_f32_e32 v28, v70, v74
	v_fma_f32 v29, v85, v89, -v29
	v_dual_mul_f32 v46, v66, v62 :: v_dual_mul_f32 v49, v100, v96
	v_add_f32_e32 v25, v25, v36
	s_delay_alu instid0(VALU_DEP_4)
	v_fma_f32 v28, v69, v73, -v28
	v_fmac_f32_e32 v38, v50, v37
	v_fma_f32 v37, v51, v39, -v41
	v_mul_f32_e32 v58, v72, v76
	v_mul_f32_e32 v41, v87, v92
	v_dual_mul_f32 v47, v65, v62 :: v_dual_mul_f32 v48, v68, v64
	s_delay_alu instid0(VALU_DEP_4) | instskip(NEXT) | instid1(VALU_DEP_2)
	v_dual_add_f32 v25, v25, v37 :: v_dual_add_f32 v26, v26, v30
	v_dual_mul_f32 v30, v71, v76 :: v_dual_fmac_f32 v47, v66, v61
	s_delay_alu instid0(VALU_DEP_4)
	v_dual_fmac_f32 v41, v88, v91 :: v_dual_mul_f32 v62, v69, v74
	s_waitcnt lgkmcnt(7)
	v_mul_f32_e32 v37, v104, v108
	v_add_f32_e32 v26, v26, v32
	v_fmac_f32_e32 v60, v68, v63
	v_mul_f32_e32 v64, v82, v78
	v_fmac_f32_e32 v30, v72, v75
	v_fma_f32 v37, v103, v107, -v37
	v_add_f32_e32 v26, v26, v34
	v_dual_mul_f32 v74, v83, v80 :: v_dual_fmac_f32 v27, v82, v77
	ds_load_b128 v[137:140], v8 offset:224
	ds_load_b128 v[141:144], v8 offset:240
	v_mul_f32_e32 v34, v85, v90
	v_add_f32_e32 v26, v26, v31
	v_dual_mul_f32 v31, v98, v94 :: v_dual_fmac_f32 v74, v84, v79
	v_mul_f32_e32 v39, v88, v92
	s_delay_alu instid0(VALU_DEP_3) | instskip(NEXT) | instid1(VALU_DEP_3)
	v_dual_mul_f32 v33, v99, v96 :: v_dual_add_f32 v26, v26, v38
	v_fma_f32 v31, v97, v93, -v31
	v_fmac_f32_e32 v62, v70, v73
	v_dual_mul_f32 v36, v101, v106 :: v_dual_fmac_f32 v45, v98, v93
	s_delay_alu instid0(VALU_DEP_4) | instskip(SKIP_4) | instid1(VALU_DEP_4)
	v_add_f32_e32 v26, v26, v40
	v_fma_f32 v40, v53, v57, -v42
	v_fma_f32 v42, v55, v59, -v44
	;; [unrolled: 1-line block ×3, first 2 shown]
	v_fmac_f32_e32 v33, v100, v95
	v_dual_add_f32 v26, v26, v43 :: v_dual_add_f32 v25, v25, v40
	v_fma_f32 v40, v65, v61, -v46
	v_fma_f32 v43, v67, v63, -v48
	v_fmac_f32_e32 v36, v102, v105
	s_delay_alu instid0(VALU_DEP_4)
	v_dual_add_f32 v26, v26, v35 :: v_dual_add_f32 v25, v25, v42
	s_waitcnt lgkmcnt(7)
	v_dual_mul_f32 v35, v103, v108 :: v_dual_mul_f32 v42, v114, v110
	ds_load_2addr_b64 v[2:5], v22 offset0:192 offset1:224
	v_dual_add_f32 v26, v26, v47 :: v_dual_add_f32 v25, v25, v40
	v_mul_f32_e32 v32, v84, v80
	v_dual_fmac_f32 v35, v104, v107 :: v_dual_mul_f32 v40, v113, v110
	s_delay_alu instid0(VALU_DEP_3) | instskip(NEXT) | instid1(VALU_DEP_3)
	v_dual_add_f32 v26, v26, v60 :: v_dual_add_f32 v25, v25, v43
	v_fma_f32 v32, v83, v79, -v32
	v_dual_mul_f32 v43, v116, v112 :: v_dual_fmac_f32 v34, v86, v89
	s_delay_alu instid0(VALU_DEP_3) | instskip(SKIP_1) | instid1(VALU_DEP_2)
	v_dual_add_f32 v26, v26, v62 :: v_dual_add_f32 v25, v25, v28
	v_mul_f32_e32 v28, v115, v112
	v_add_f32_e32 v26, v26, v30
	v_fma_f32 v30, v81, v77, -v64
	s_delay_alu instid0(VALU_DEP_2) | instskip(SKIP_2) | instid1(VALU_DEP_2)
	v_dual_add_f32 v25, v25, v44 :: v_dual_add_f32 v26, v26, v27
	s_waitcnt lgkmcnt(6)
	v_mul_f32_e32 v27, v118, v122
	v_add_f32_e32 v25, v25, v30
	v_mul_f32_e32 v38, v102, v106
	s_delay_alu instid0(VALU_DEP_3) | instskip(NEXT) | instid1(VALU_DEP_3)
	v_fma_f32 v27, v117, v121, -v27
	v_add_f32_e32 v25, v25, v32
	s_delay_alu instid0(VALU_DEP_1) | instskip(SKIP_1) | instid1(VALU_DEP_1)
	v_dual_mul_f32 v32, v120, v124 :: v_dual_add_f32 v25, v25, v29
	v_dual_mul_f32 v29, v119, v124 :: v_dual_add_f32 v26, v26, v74
	v_dual_fmac_f32 v29, v120, v123 :: v_dual_add_f32 v26, v26, v34
	v_fma_f32 v34, v87, v91, -v39
	v_fma_f32 v39, v99, v95, -v49
	s_delay_alu instid0(VALU_DEP_2) | instskip(NEXT) | instid1(VALU_DEP_1)
	v_dual_add_f32 v26, v26, v41 :: v_dual_add_f32 v25, v25, v34
	v_dual_add_f32 v26, v26, v45 :: v_dual_add_f32 v25, v25, v31
	s_waitcnt lgkmcnt(4)
	v_mul_f32_e32 v31, v129, v126
	v_mul_f32_e32 v30, v117, v122
	s_delay_alu instid0(VALU_DEP_3)
	v_add_f32_e32 v26, v26, v33
	v_fma_f32 v33, v101, v105, -v38
	v_add_f32_e32 v25, v25, v39
	v_fmac_f32_e32 v31, v130, v125
	v_fmac_f32_e32 v30, v118, v121
	v_add_f32_e32 v26, v26, v36
	v_fma_f32 v38, v115, v111, -v43
	v_add_f32_e32 v25, v25, v33
	v_dual_mul_f32 v33, v131, v128 :: v_dual_fmac_f32 v40, v114, v109
	s_delay_alu instid0(VALU_DEP_4) | instskip(SKIP_1) | instid1(VALU_DEP_4)
	v_add_f32_e32 v26, v26, v35
	v_fma_f32 v35, v113, v109, -v42
	v_add_f32_e32 v25, v25, v37
	s_waitcnt lgkmcnt(2)
	v_dual_mul_f32 v37, v134, v138 :: v_dual_fmac_f32 v28, v116, v111
	v_add_f32_e32 v26, v26, v40
	s_delay_alu instid0(VALU_DEP_3) | instskip(NEXT) | instid1(VALU_DEP_2)
	v_dual_mul_f32 v36, v132, v128 :: v_dual_add_f32 v25, v25, v35
	v_dual_fmac_f32 v33, v132, v127 :: v_dual_add_f32 v26, v26, v28
	s_delay_alu instid0(VALU_DEP_2) | instskip(NEXT) | instid1(VALU_DEP_2)
	v_add_f32_e32 v25, v25, v38
	v_add_f32_e32 v26, v26, v30
	s_delay_alu instid0(VALU_DEP_2) | instskip(NEXT) | instid1(VALU_DEP_2)
	v_dual_mul_f32 v30, v136, v140 :: v_dual_add_f32 v25, v25, v27
	v_dual_mul_f32 v27, v135, v140 :: v_dual_add_f32 v26, v26, v29
	s_delay_alu instid0(VALU_DEP_2) | instskip(NEXT) | instid1(VALU_DEP_2)
	v_fma_f32 v30, v135, v139, -v30
	v_dual_fmac_f32 v27, v136, v139 :: v_dual_mul_f32 v28, v133, v138
	s_waitcnt lgkmcnt(0)
	s_delay_alu instid0(VALU_DEP_3) | instskip(SKIP_1) | instid1(VALU_DEP_3)
	v_dual_add_f32 v26, v26, v31 :: v_dual_mul_f32 v31, v3, v142
	v_fma_f32 v32, v119, v123, -v32
	v_fmac_f32_e32 v28, v134, v137
	s_delay_alu instid0(VALU_DEP_3) | instskip(SKIP_1) | instid1(VALU_DEP_4)
	v_add_f32_e32 v26, v26, v33
	v_fma_f32 v33, v133, v137, -v37
	v_dual_add_f32 v25, v25, v32 :: v_dual_mul_f32 v34, v130, v126
	s_delay_alu instid0(VALU_DEP_3) | instskip(SKIP_1) | instid1(VALU_DEP_3)
	v_add_f32_e32 v26, v26, v28
	v_mul_f32_e32 v28, v4, v144
	v_fma_f32 v29, v129, v125, -v34
	s_delay_alu instid0(VALU_DEP_2) | instskip(NEXT) | instid1(VALU_DEP_2)
	v_fmac_f32_e32 v28, v5, v143
	v_add_f32_e32 v25, v25, v29
	v_mul_f32_e32 v29, v2, v142
	v_fma_f32 v32, v131, v127, -v36
	v_fma_f32 v2, v2, v141, -v31
	s_delay_alu instid0(VALU_DEP_3) | instskip(NEXT) | instid1(VALU_DEP_3)
	v_fmac_f32_e32 v29, v3, v141
	v_add_f32_e32 v25, v25, v32
	s_delay_alu instid0(VALU_DEP_1) | instskip(SKIP_1) | instid1(VALU_DEP_2)
	v_add_f32_e32 v3, v25, v33
	v_dual_add_f32 v25, v26, v27 :: v_dual_mul_f32 v26, v5, v144
	v_add_f32_e32 v3, v3, v30
	s_delay_alu instid0(VALU_DEP_2) | instskip(NEXT) | instid1(VALU_DEP_3)
	v_add_f32_e32 v5, v25, v29
	v_fma_f32 v4, v4, v143, -v26
	s_delay_alu instid0(VALU_DEP_2) | instskip(NEXT) | instid1(VALU_DEP_1)
	v_dual_add_f32 v2, v3, v2 :: v_dual_add_f32 v3, v5, v28
	v_add_f32_e32 v2, v2, v4
	s_delay_alu instid0(VALU_DEP_2) | instskip(SKIP_1) | instid1(VALU_DEP_2)
	v_mul_f32_e32 v4, s16, v3
	v_mul_f32_e32 v3, s7, v3
	v_fma_f32 v4, s7, v2, -v4
	s_waitcnt vmcnt(0)
	s_delay_alu instid0(VALU_DEP_1) | instskip(NEXT) | instid1(VALU_DEP_1)
	v_dual_fmac_f32 v3, s16, v2 :: v_dual_add_f32 v2, v145, v4
	v_add_f32_e32 v3, v146, v3
	global_store_b64 v[0:1], v[2:3], off
.LBB1920_11:                            ;   in Loop: Header=BB1920_5 Depth=1
	s_or_b32 exec_lo, exec_lo, s1
	v_dual_mov_b32 v3, 0 :: v_dual_mov_b32 v4, 0
	v_mov_b32_e32 v5, 0
	s_waitcnt_vscnt null, 0x0
	s_barrier
	buffer_gl0_inv
	s_and_saveexec_b32 s9, s5
	s_cbranch_execz .LBB1920_13
; %bb.12:                               ;   in Loop: Header=BB1920_5 Depth=1
	v_mad_i64_i32 v[4:5], null, v23, s17, 0
	s_delay_alu instid0(VALU_DEP_1) | instskip(NEXT) | instid1(VALU_DEP_1)
	v_lshlrev_b64 v[4:5], 3, v[4:5]
	v_add_co_u32 v4, s1, v16, v4
	s_delay_alu instid0(VALU_DEP_1)
	v_add_co_ci_u32_e64 v5, s1, v17, v5, s1
	global_load_b64 v[4:5], v[4:5], off
.LBB1920_13:                            ;   in Loop: Header=BB1920_5 Depth=1
	s_or_b32 exec_lo, exec_lo, s9
	v_mov_b32_e32 v2, 0
	s_waitcnt vmcnt(0)
	ds_store_b64 v9, v[4:5]
	s_and_saveexec_b32 s5, s8
	s_cbranch_execz .LBB1920_15
; %bb.14:                               ;   in Loop: Header=BB1920_5 Depth=1
	v_mad_i64_i32 v[2:3], null, v24, s4, 0
	s_delay_alu instid0(VALU_DEP_1) | instskip(NEXT) | instid1(VALU_DEP_1)
	v_lshlrev_b64 v[2:3], 3, v[2:3]
	v_add_co_u32 v2, s1, v18, v2
	s_delay_alu instid0(VALU_DEP_1)
	v_add_co_ci_u32_e64 v3, s1, v19, v3, s1
	global_load_b64 v[2:3], v[2:3], off
.LBB1920_15:                            ;   in Loop: Header=BB1920_5 Depth=1
	s_or_b32 exec_lo, exec_lo, s5
	s_waitcnt vmcnt(0)
	ds_store_b64 v15, v[2:3]
	s_waitcnt lgkmcnt(0)
	s_barrier
	buffer_gl0_inv
	s_and_saveexec_b32 s1, s2
	s_cbranch_execz .LBB1920_4
; %bb.16:                               ;   in Loop: Header=BB1920_5 Depth=1
	global_load_b64 v[147:148], v[0:1], off
	ds_load_b128 v[2:5], v8
	ds_load_b128 v[23:26], v8 offset:16
	ds_load_2addr_b64 v[27:30], v10 offset1:32
	ds_load_b128 v[31:34], v8 offset:32
	ds_load_b128 v[35:38], v8 offset:48
	ds_load_2addr_b64 v[39:42], v10 offset0:64 offset1:96
	ds_load_2addr_b64 v[43:46], v10 offset0:128 offset1:160
	;; [unrolled: 1-line block ×3, first 2 shown]
	ds_load_2addr_b64 v[51:54], v20 offset1:32
	ds_load_b128 v[55:58], v8 offset:64
	ds_load_b128 v[59:62], v8 offset:80
	ds_load_2addr_b64 v[63:66], v20 offset0:64 offset1:96
	ds_load_2addr_b64 v[67:70], v20 offset0:128 offset1:160
	ds_load_b128 v[71:74], v8 offset:96
	ds_load_b128 v[75:78], v8 offset:112
	ds_load_2addr_b64 v[79:82], v20 offset0:192 offset1:224
	ds_load_2addr_b64 v[83:86], v21 offset1:32
	ds_load_b128 v[87:90], v8 offset:128
	ds_load_b128 v[91:94], v8 offset:144
	ds_load_2addr_b64 v[95:98], v21 offset0:64 offset1:96
	ds_load_2addr_b64 v[99:102], v21 offset0:128 offset1:160
	ds_load_b128 v[103:106], v8 offset:160
	ds_load_b128 v[107:110], v8 offset:176
	ds_load_2addr_b64 v[111:114], v21 offset0:192 offset1:224
	;; [unrolled: 8-line block ×3, first 2 shown]
	s_waitcnt lgkmcnt(29)
	v_dual_mul_f32 v149, v28, v3 :: v_dual_mul_f32 v150, v30, v5
	s_waitcnt lgkmcnt(26)
	v_dual_mul_f32 v3, v27, v3 :: v_dual_mul_f32 v152, v42, v26
	v_mul_f32_e32 v5, v29, v5
	s_waitcnt lgkmcnt(25)
	v_dual_mul_f32 v153, v44, v32 :: v_dual_mul_f32 v154, v46, v34
	s_delay_alu instid0(VALU_DEP_3)
	v_dual_mul_f32 v32, v43, v32 :: v_dual_fmac_f32 v3, v28, v2
	v_fma_f32 v27, v27, v2, -v149
	v_dual_mul_f32 v151, v40, v24 :: v_dual_mul_f32 v26, v41, v26
	v_mul_f32_e32 v24, v39, v24
	s_waitcnt lgkmcnt(24)
	v_dual_mul_f32 v34, v45, v34 :: v_dual_mul_f32 v155, v48, v36
	v_dual_mul_f32 v36, v47, v36 :: v_dual_add_f32 v3, 0, v3
	s_waitcnt lgkmcnt(22)
	v_dual_mul_f32 v156, v50, v38 :: v_dual_mul_f32 v157, v52, v56
	v_dual_mul_f32 v56, v51, v56 :: v_dual_add_f32 v27, 0, v27
	s_waitcnt lgkmcnt(18)
	v_dual_mul_f32 v158, v54, v58 :: v_dual_mul_f32 v161, v68, v72
	v_dual_mul_f32 v58, v53, v58 :: v_dual_fmac_f32 v5, v30, v4
	v_fma_f32 v2, v29, v4, -v150
	v_dual_mul_f32 v38, v49, v38 :: v_dual_mul_f32 v159, v64, v60
	v_mul_f32_e32 v60, v63, v60
	s_waitcnt lgkmcnt(16)
	v_dual_mul_f32 v160, v66, v62 :: v_dual_mul_f32 v29, v79, v76
	v_dual_mul_f32 v62, v65, v62 :: v_dual_add_f32 v3, v3, v5
	s_waitcnt lgkmcnt(14)
	v_mul_f32_e32 v5, v85, v90
	v_fma_f32 v39, v39, v23, -v151
	v_dual_add_f32 v2, v27, v2 :: v_dual_fmac_f32 v29, v80, v75
	v_fma_f32 v27, v41, v25, -v152
	s_delay_alu instid0(VALU_DEP_4) | instskip(NEXT) | instid1(VALU_DEP_3)
	v_dual_fmac_f32 v56, v52, v55 :: v_dual_fmac_f32 v5, v86, v89
	v_add_f32_e32 v2, v2, v39
	v_fmac_f32_e32 v38, v50, v37
	v_fmac_f32_e32 v26, v42, v25
	v_fma_f32 v25, v43, v31, -v153
	v_fmac_f32_e32 v60, v64, v59
	v_add_f32_e32 v2, v2, v27
	v_fma_f32 v27, v45, v33, -v154
	v_fmac_f32_e32 v24, v40, v23
	v_fmac_f32_e32 v58, v54, v57
	;; [unrolled: 1-line block ×3, first 2 shown]
	v_add_f32_e32 v2, v2, v25
	v_fma_f32 v31, v47, v35, -v155
	s_waitcnt lgkmcnt(12)
	v_dual_mul_f32 v162, v70, v74 :: v_dual_mul_f32 v23, v96, v92
	v_dual_mul_f32 v72, v67, v72 :: v_dual_mul_f32 v25, v97, v94
	s_waitcnt lgkmcnt(10)
	v_dual_add_f32 v2, v2, v27 :: v_dual_mul_f32 v27, v100, v104
	s_delay_alu instid0(VALU_DEP_3) | instskip(NEXT) | instid1(VALU_DEP_3)
	v_fma_f32 v23, v95, v91, -v23
	v_dual_fmac_f32 v72, v68, v71 :: v_dual_fmac_f32 v25, v98, v93
	s_delay_alu instid0(VALU_DEP_3) | instskip(SKIP_2) | instid1(VALU_DEP_3)
	v_dual_add_f32 v2, v2, v31 :: v_dual_mul_f32 v31, v99, v104
	v_dual_mul_f32 v4, v69, v74 :: v_dual_add_f32 v3, v3, v24
	v_mul_f32_e32 v28, v80, v76
	v_dual_fmac_f32 v62, v66, v61 :: v_dual_fmac_f32 v31, v100, v103
	s_delay_alu instid0(VALU_DEP_3) | instskip(SKIP_3) | instid1(VALU_DEP_4)
	v_dual_fmac_f32 v34, v46, v33 :: v_dual_add_f32 v3, v3, v26
	v_mul_f32_e32 v30, v82, v78
	v_fmac_f32_e32 v4, v70, v73
	v_fmac_f32_e32 v36, v48, v35
	v_dual_mul_f32 v74, v81, v78 :: v_dual_add_f32 v3, v3, v32
	v_mul_f32_e32 v76, v84, v88
	v_mul_f32_e32 v78, v83, v88
	v_fma_f32 v32, v49, v37, -v156
	v_fma_f32 v33, v51, v55, -v157
	v_add_f32_e32 v3, v3, v34
	v_mul_f32_e32 v88, v86, v90
	v_fma_f32 v34, v53, v57, -v158
	v_add_f32_e32 v2, v2, v32
	v_fma_f32 v35, v63, v59, -v159
	v_add_f32_e32 v3, v3, v36
	v_fma_f32 v36, v65, v61, -v160
	v_fma_f32 v37, v67, v71, -v161
	v_dual_add_f32 v2, v2, v33 :: v_dual_mul_f32 v33, v101, v106
	s_delay_alu instid0(VALU_DEP_4) | instskip(SKIP_1) | instid1(VALU_DEP_3)
	v_dual_add_f32 v3, v3, v38 :: v_dual_fmac_f32 v74, v82, v77
	v_mul_f32_e32 v24, v95, v92
	v_add_f32_e32 v2, v2, v34
	s_delay_alu instid0(VALU_DEP_3)
	v_dual_mul_f32 v26, v98, v94 :: v_dual_add_f32 v3, v3, v56
	v_fmac_f32_e32 v33, v102, v105
	v_fma_f32 v38, v69, v73, -v162
	s_waitcnt lgkmcnt(8)
	v_dual_add_f32 v2, v2, v35 :: v_dual_mul_f32 v35, v111, v108
	v_add_f32_e32 v3, v3, v58
	v_fma_f32 v28, v79, v75, -v28
	v_fma_f32 v30, v81, v77, -v30
	s_delay_alu instid0(VALU_DEP_4) | instskip(SKIP_3) | instid1(VALU_DEP_4)
	v_add_f32_e32 v2, v2, v36
	v_dual_mul_f32 v36, v114, v110 :: v_dual_fmac_f32 v35, v112, v107
	v_add_f32_e32 v3, v3, v60
	v_fma_f32 v26, v97, v93, -v26
	v_dual_add_f32 v2, v2, v37 :: v_dual_mul_f32 v37, v113, v110
	s_delay_alu instid0(VALU_DEP_3) | instskip(NEXT) | instid1(VALU_DEP_2)
	v_dual_fmac_f32 v78, v84, v87 :: v_dual_add_f32 v3, v3, v62
	v_dual_fmac_f32 v24, v96, v91 :: v_dual_fmac_f32 v37, v114, v109
	s_delay_alu instid0(VALU_DEP_2) | instskip(NEXT) | instid1(VALU_DEP_1)
	v_add_f32_e32 v3, v3, v72
	v_add_f32_e32 v3, v3, v4
	s_waitcnt lgkmcnt(6)
	s_delay_alu instid0(VALU_DEP_1) | instskip(SKIP_1) | instid1(VALU_DEP_2)
	v_dual_mul_f32 v4, v116, v120 :: v_dual_add_f32 v3, v3, v29
	v_fma_f32 v29, v83, v87, -v76
	v_fma_f32 v4, v115, v119, -v4
	s_delay_alu instid0(VALU_DEP_3) | instskip(NEXT) | instid1(VALU_DEP_1)
	v_add_f32_e32 v3, v3, v74
	v_add_f32_e32 v3, v3, v78
	s_delay_alu instid0(VALU_DEP_1) | instskip(SKIP_2) | instid1(VALU_DEP_2)
	v_dual_mul_f32 v32, v102, v106 :: v_dual_add_f32 v3, v3, v5
	s_waitcnt lgkmcnt(4)
	v_mul_f32_e32 v5, v128, v124
	v_add_f32_e32 v3, v3, v24
	v_mul_f32_e32 v34, v112, v108
	v_fma_f32 v24, v99, v103, -v27
	s_delay_alu instid0(VALU_DEP_4) | instskip(NEXT) | instid1(VALU_DEP_4)
	v_fma_f32 v5, v127, v123, -v5
	v_add_f32_e32 v3, v3, v25
	s_delay_alu instid0(VALU_DEP_4) | instskip(SKIP_1) | instid1(VALU_DEP_3)
	v_fma_f32 v27, v111, v107, -v34
	v_mul_f32_e32 v25, v130, v126
	v_add_f32_e32 v3, v3, v31
	v_fma_f32 v31, v113, v109, -v36
	s_delay_alu instid0(VALU_DEP_3) | instskip(NEXT) | instid1(VALU_DEP_3)
	v_fma_f32 v25, v129, v125, -v25
	v_add_f32_e32 v3, v3, v33
	s_delay_alu instid0(VALU_DEP_1) | instskip(SKIP_1) | instid1(VALU_DEP_2)
	v_dual_add_f32 v3, v3, v35 :: v_dual_add_f32 v2, v2, v38
	v_fma_f32 v38, v85, v89, -v88
	v_dual_add_f32 v3, v3, v37 :: v_dual_add_f32 v2, v2, v28
	v_mul_f32_e32 v28, v115, v120
	s_delay_alu instid0(VALU_DEP_2) | instskip(NEXT) | instid1(VALU_DEP_1)
	v_add_f32_e32 v2, v2, v30
	v_dual_add_f32 v2, v2, v29 :: v_dual_mul_f32 v29, v117, v122
	s_delay_alu instid0(VALU_DEP_1) | instskip(NEXT) | instid1(VALU_DEP_2)
	v_add_f32_e32 v2, v2, v38
	v_fmac_f32_e32 v29, v118, v121
	s_delay_alu instid0(VALU_DEP_2) | instskip(NEXT) | instid1(VALU_DEP_1)
	v_dual_add_f32 v2, v2, v23 :: v_dual_mul_f32 v23, v127, v124
	v_add_f32_e32 v2, v2, v26
	v_fma_f32 v26, v101, v105, -v32
	s_delay_alu instid0(VALU_DEP_2) | instskip(NEXT) | instid1(VALU_DEP_1)
	v_dual_fmac_f32 v23, v128, v123 :: v_dual_add_f32 v2, v2, v24
	v_add_f32_e32 v2, v2, v26
	s_waitcnt lgkmcnt(2)
	v_mul_f32_e32 v26, v132, v136
	s_delay_alu instid0(VALU_DEP_2) | instskip(NEXT) | instid1(VALU_DEP_1)
	v_dual_add_f32 v2, v2, v27 :: v_dual_mul_f32 v27, v131, v136
	v_add_f32_e32 v2, v2, v31
	v_dual_mul_f32 v31, v134, v138 :: v_dual_fmac_f32 v28, v116, v119
	s_delay_alu instid0(VALU_DEP_2) | instskip(NEXT) | instid1(VALU_DEP_2)
	v_dual_fmac_f32 v27, v132, v135 :: v_dual_add_f32 v2, v2, v4
	v_dual_mul_f32 v4, v133, v138 :: v_dual_add_f32 v3, v3, v28
	s_waitcnt lgkmcnt(0)
	v_mul_f32_e32 v28, v144, v140
	s_delay_alu instid0(VALU_DEP_2) | instskip(NEXT) | instid1(VALU_DEP_3)
	v_fmac_f32_e32 v4, v134, v137
	v_dual_add_f32 v3, v3, v29 :: v_dual_mul_f32 v30, v118, v122
	s_delay_alu instid0(VALU_DEP_1) | instskip(NEXT) | instid1(VALU_DEP_2)
	v_add_f32_e32 v3, v3, v23
	v_fma_f32 v30, v117, v121, -v30
	v_fma_f32 v23, v131, v135, -v26
	;; [unrolled: 1-line block ×3, first 2 shown]
	s_delay_alu instid0(VALU_DEP_3) | instskip(NEXT) | instid1(VALU_DEP_1)
	v_add_f32_e32 v2, v2, v30
	v_dual_add_f32 v2, v2, v5 :: v_dual_mul_f32 v5, v143, v140
	v_mul_f32_e32 v24, v129, v126
	s_delay_alu instid0(VALU_DEP_2) | instskip(NEXT) | instid1(VALU_DEP_2)
	v_dual_add_f32 v2, v2, v25 :: v_dual_fmac_f32 v5, v144, v139
	v_fmac_f32_e32 v24, v130, v125
	v_fma_f32 v25, v133, v137, -v31
	s_delay_alu instid0(VALU_DEP_3) | instskip(NEXT) | instid1(VALU_DEP_3)
	v_dual_add_f32 v2, v2, v23 :: v_dual_mul_f32 v23, v145, v142
	v_dual_add_f32 v3, v3, v24 :: v_dual_mul_f32 v24, v146, v142
	s_delay_alu instid0(VALU_DEP_2) | instskip(NEXT) | instid1(VALU_DEP_3)
	v_add_f32_e32 v2, v2, v25
	v_fmac_f32_e32 v23, v146, v141
	s_delay_alu instid0(VALU_DEP_2) | instskip(NEXT) | instid1(VALU_DEP_1)
	v_dual_add_f32 v3, v3, v27 :: v_dual_add_f32 v2, v2, v26
	v_add_f32_e32 v3, v3, v4
	v_fma_f32 v4, v145, v141, -v24
	s_delay_alu instid0(VALU_DEP_1) | instskip(NEXT) | instid1(VALU_DEP_1)
	v_dual_add_f32 v3, v3, v5 :: v_dual_add_f32 v2, v2, v4
	v_add_f32_e32 v3, v3, v23
	s_delay_alu instid0(VALU_DEP_1) | instskip(NEXT) | instid1(VALU_DEP_1)
	v_dual_mul_f32 v5, s16, v2 :: v_dual_mul_f32 v4, s16, v3
	v_fmac_f32_e32 v5, s7, v3
	s_delay_alu instid0(VALU_DEP_2) | instskip(SKIP_1) | instid1(VALU_DEP_1)
	v_fma_f32 v2, s7, v2, -v4
	s_waitcnt vmcnt(0)
	v_dual_add_f32 v2, v147, v2 :: v_dual_add_f32 v3, v148, v5
	global_store_b64 v[0:1], v[2:3], off
	s_branch .LBB1920_4
.LBB1920_17:
	s_endpgm
	.section	.rodata,"a",@progbits
	.p2align	6, 0x0
	.amdhsa_kernel _ZL26rocblas_syr2k_her2k_kernelIiLb1ELb0ELb0ELi32E19rocblas_complex_numIfEPKPKS1_PKPS1_EvbiT_T4_T5_S9_lSB_S9_lT6_S9_li
		.amdhsa_group_segment_fixed_size 16384
		.amdhsa_private_segment_fixed_size 0
		.amdhsa_kernarg_size 100
		.amdhsa_user_sgpr_count 13
		.amdhsa_user_sgpr_dispatch_ptr 0
		.amdhsa_user_sgpr_queue_ptr 0
		.amdhsa_user_sgpr_kernarg_segment_ptr 1
		.amdhsa_user_sgpr_dispatch_id 0
		.amdhsa_user_sgpr_private_segment_size 0
		.amdhsa_wavefront_size32 1
		.amdhsa_uses_dynamic_stack 0
		.amdhsa_enable_private_segment 0
		.amdhsa_system_sgpr_workgroup_id_x 1
		.amdhsa_system_sgpr_workgroup_id_y 1
		.amdhsa_system_sgpr_workgroup_id_z 1
		.amdhsa_system_sgpr_workgroup_info 0
		.amdhsa_system_vgpr_workitem_id 1
		.amdhsa_next_free_vgpr 163
		.amdhsa_next_free_sgpr 25
		.amdhsa_reserve_vcc 1
		.amdhsa_float_round_mode_32 0
		.amdhsa_float_round_mode_16_64 0
		.amdhsa_float_denorm_mode_32 3
		.amdhsa_float_denorm_mode_16_64 3
		.amdhsa_dx10_clamp 1
		.amdhsa_ieee_mode 1
		.amdhsa_fp16_overflow 0
		.amdhsa_workgroup_processor_mode 1
		.amdhsa_memory_ordered 1
		.amdhsa_forward_progress 0
		.amdhsa_shared_vgpr_count 0
		.amdhsa_exception_fp_ieee_invalid_op 0
		.amdhsa_exception_fp_denorm_src 0
		.amdhsa_exception_fp_ieee_div_zero 0
		.amdhsa_exception_fp_ieee_overflow 0
		.amdhsa_exception_fp_ieee_underflow 0
		.amdhsa_exception_fp_ieee_inexact 0
		.amdhsa_exception_int_div_zero 0
	.end_amdhsa_kernel
	.section	.text._ZL26rocblas_syr2k_her2k_kernelIiLb1ELb0ELb0ELi32E19rocblas_complex_numIfEPKPKS1_PKPS1_EvbiT_T4_T5_S9_lSB_S9_lT6_S9_li,"axG",@progbits,_ZL26rocblas_syr2k_her2k_kernelIiLb1ELb0ELb0ELi32E19rocblas_complex_numIfEPKPKS1_PKPS1_EvbiT_T4_T5_S9_lSB_S9_lT6_S9_li,comdat
.Lfunc_end1920:
	.size	_ZL26rocblas_syr2k_her2k_kernelIiLb1ELb0ELb0ELi32E19rocblas_complex_numIfEPKPKS1_PKPS1_EvbiT_T4_T5_S9_lSB_S9_lT6_S9_li, .Lfunc_end1920-_ZL26rocblas_syr2k_her2k_kernelIiLb1ELb0ELb0ELi32E19rocblas_complex_numIfEPKPKS1_PKPS1_EvbiT_T4_T5_S9_lSB_S9_lT6_S9_li
                                        ; -- End function
	.section	.AMDGPU.csdata,"",@progbits
; Kernel info:
; codeLenInByte = 3784
; NumSgprs: 27
; NumVgprs: 163
; ScratchSize: 0
; MemoryBound: 0
; FloatMode: 240
; IeeeMode: 1
; LDSByteSize: 16384 bytes/workgroup (compile time only)
; SGPRBlocks: 3
; VGPRBlocks: 20
; NumSGPRsForWavesPerEU: 27
; NumVGPRsForWavesPerEU: 163
; Occupancy: 9
; WaveLimiterHint : 1
; COMPUTE_PGM_RSRC2:SCRATCH_EN: 0
; COMPUTE_PGM_RSRC2:USER_SGPR: 13
; COMPUTE_PGM_RSRC2:TRAP_HANDLER: 0
; COMPUTE_PGM_RSRC2:TGID_X_EN: 1
; COMPUTE_PGM_RSRC2:TGID_Y_EN: 1
; COMPUTE_PGM_RSRC2:TGID_Z_EN: 1
; COMPUTE_PGM_RSRC2:TIDIG_COMP_CNT: 1
	.section	.text._ZL26rocblas_syr2k_her2k_kernelIiLb1ELb0ELb1ELi32E19rocblas_complex_numIfEPKPKS1_PKPS1_EvbiT_T4_T5_S9_lSB_S9_lT6_S9_li,"axG",@progbits,_ZL26rocblas_syr2k_her2k_kernelIiLb1ELb0ELb1ELi32E19rocblas_complex_numIfEPKPKS1_PKPS1_EvbiT_T4_T5_S9_lSB_S9_lT6_S9_li,comdat
	.globl	_ZL26rocblas_syr2k_her2k_kernelIiLb1ELb0ELb1ELi32E19rocblas_complex_numIfEPKPKS1_PKPS1_EvbiT_T4_T5_S9_lSB_S9_lT6_S9_li ; -- Begin function _ZL26rocblas_syr2k_her2k_kernelIiLb1ELb0ELb1ELi32E19rocblas_complex_numIfEPKPKS1_PKPS1_EvbiT_T4_T5_S9_lSB_S9_lT6_S9_li
	.p2align	8
	.type	_ZL26rocblas_syr2k_her2k_kernelIiLb1ELb0ELb1ELi32E19rocblas_complex_numIfEPKPKS1_PKPS1_EvbiT_T4_T5_S9_lSB_S9_lT6_S9_li,@function
_ZL26rocblas_syr2k_her2k_kernelIiLb1ELb0ELb1ELi32E19rocblas_complex_numIfEPKPKS1_PKPS1_EvbiT_T4_T5_S9_lSB_S9_lT6_S9_li: ; @_ZL26rocblas_syr2k_her2k_kernelIiLb1ELb0ELb1ELi32E19rocblas_complex_numIfEPKPKS1_PKPS1_EvbiT_T4_T5_S9_lSB_S9_lT6_S9_li
; %bb.0:
	s_clause 0x1
	s_load_b128 s[4:7], s[0:1], 0x0
	s_load_b32 s16, s[0:1], 0x10
	s_waitcnt lgkmcnt(0)
	v_cmp_eq_f32_e64 s3, s7, 0
	v_cmp_eq_f32_e64 s8, s16, 0
	s_delay_alu instid0(VALU_DEP_1) | instskip(NEXT) | instid1(SALU_CYCLE_1)
	s_and_b32 s3, s3, s8
	s_and_b32 vcc_lo, exec_lo, s3
	s_cbranch_vccnz .LBB1921_17
; %bb.1:
	s_and_b32 s3, 1, s4
	s_lshl_b32 s4, s14, 5
	s_lshl_b32 s17, s13, 5
	s_cmp_eq_u32 s3, 1
	s_cselect_b32 vcc_lo, -1, 0
	s_delay_alu instid0(SALU_CYCLE_1) | instskip(SKIP_2) | instid1(SALU_CYCLE_1)
	s_and_b32 s3, vcc_lo, exec_lo
	s_cselect_b32 s3, s17, s4
	s_cselect_b32 s8, s4, s17
	s_cmp_gt_i32 s3, s8
	s_cbranch_scc1 .LBB1921_17
; %bb.2:
	s_cmp_lt_i32 s6, 1
	s_cbranch_scc1 .LBB1921_17
; %bb.3:
	s_mov_b32 s2, s15
	s_clause 0x5
	s_load_b64 s[18:19], s[0:1], 0x18
	s_load_b128 s[12:15], s[0:1], 0x28
	s_load_b32 s22, s[0:1], 0x20
	s_load_b32 s23, s[0:1], 0x38
	s_load_b128 s[8:11], s[0:1], 0x40
	s_load_b32 s24, s[0:1], 0x50
	s_mov_b32 s3, 0
	s_load_b64 s[20:21], s[0:1], 0x58
	s_lshl_b64 s[0:1], s[2:3], 3
	v_and_b32_e32 v10, 0x3ff, v0
	v_bfe_u32 v9, v0, 10, 10
	s_delay_alu instid0(VALU_DEP_2) | instskip(NEXT) | instid1(VALU_DEP_2)
	v_add_nc_u32_e32 v0, s17, v10
	v_add_nc_u32_e32 v8, s4, v9
	v_lshlrev_b32_e32 v15, 3, v9
	v_lshlrev_b32_e32 v11, 8, v10
	s_delay_alu instid0(VALU_DEP_4) | instskip(NEXT) | instid1(VALU_DEP_4)
	v_ashrrev_i32_e32 v1, 31, v0
	v_cndmask_b32_e32 v20, v8, v0, vcc_lo
	s_waitcnt lgkmcnt(0)
	s_add_u32 s18, s18, s0
	s_addc_u32 s19, s19, s1
	s_add_u32 s14, s14, s0
	s_load_b64 s[18:19], s[18:19], 0x0
	s_addc_u32 s15, s15, s1
	s_add_u32 s0, s10, s0
	s_load_b64 s[14:15], s[14:15], 0x0
	v_mad_i64_i32 v[2:3], null, s22, v0, 0
	s_addc_u32 s1, s11, s1
	v_mad_i64_i32 v[4:5], null, s23, v8, 0
	s_load_b64 s[10:11], s[0:1], 0x0
	v_dual_cndmask_b32 v19, v0, v8 :: v_dual_add_nc_u32 v12, v11, v15
	s_delay_alu instid0(VALU_DEP_3)
	v_lshlrev_b64 v[2:3], 3, v[2:3]
	v_cmp_gt_i32_e32 vcc_lo, s5, v0
	v_cmp_gt_i32_e64 s0, s5, v8
	s_lshl_b64 s[4:5], s[12:13], 3
	v_mad_i64_i32 v[6:7], null, s24, v8, 0
	v_lshlrev_b64 v[4:5], 3, v[4:5]
	v_or_b32_e32 v15, 0x2000, v15
	s_waitcnt lgkmcnt(0)
	s_add_u32 s12, s18, s4
	s_addc_u32 s13, s19, s5
	s_lshl_b64 s[4:5], s[8:9], 3
	v_add_co_u32 v13, s1, s12, v2
	s_add_u32 s8, s14, s4
	v_add_co_ci_u32_e64 v14, s1, s13, v3, s1
	s_addc_u32 s9, s15, s5
	v_add_co_u32 v16, s1, s8, v4
	s_delay_alu instid0(VALU_DEP_1)
	v_add_co_ci_u32_e64 v17, s1, s9, v5, s1
	v_lshlrev_b64 v[2:3], 3, v[6:7]
	v_mad_i64_i32 v[4:5], null, s23, v0, 0
	s_lshl_b64 s[4:5], s[20:21], 3
	v_mad_i64_i32 v[6:7], null, s22, v8, 0
	s_add_u32 s2, s10, s4
	v_lshlrev_b64 v[0:1], 3, v[0:1]
	s_addc_u32 s4, s11, s5
	v_add_co_u32 v8, s2, s2, v2
	v_cmp_le_i32_e64 s1, v20, v19
	v_add_co_ci_u32_e64 v19, s2, s4, v3, s2
	v_lshlrev_b64 v[2:3], 3, v[4:5]
	s_delay_alu instid0(VALU_DEP_4) | instskip(SKIP_1) | instid1(VALU_DEP_4)
	v_add_co_u32 v0, s2, v8, v0
	v_lshlrev_b64 v[4:5], 3, v[6:7]
	v_add_co_ci_u32_e64 v1, s2, v19, v1, s2
	s_delay_alu instid0(VALU_DEP_4) | instskip(NEXT) | instid1(VALU_DEP_1)
	v_add_co_u32 v19, s2, s8, v2
	v_add_co_ci_u32_e64 v20, s2, s9, v3, s2
	s_delay_alu instid0(VALU_DEP_4)
	v_add_co_u32 v21, s2, s12, v4
	v_add_nc_u32_e32 v18, v15, v11
	v_add_co_ci_u32_e64 v22, s2, s13, v5, s2
	v_add_nc_u32_e32 v23, 0x800, v15
	v_add_nc_u32_e32 v24, 0x1000, v15
	;; [unrolled: 1-line block ×3, first 2 shown]
	s_and_b32 s2, s0, vcc_lo
	s_delay_alu instid0(SALU_CYCLE_1)
	s_and_b32 s2, s2, s1
	s_branch .LBB1921_5
.LBB1921_4:                             ;   in Loop: Header=BB1921_5 Depth=1
	s_or_b32 exec_lo, exec_lo, s1
	s_add_i32 s3, s3, 32
	s_waitcnt_vscnt null, 0x0
	s_cmp_lt_i32 s3, s6
	s_barrier
	buffer_gl0_inv
	s_cbranch_scc0 .LBB1921_17
.LBB1921_5:                             ; =>This Inner Loop Header: Depth=1
	v_dual_mov_b32 v5, 0 :: v_dual_add_nc_u32 v2, s3, v9
	v_dual_mov_b32 v7, 0 :: v_dual_mov_b32 v8, 0
	s_delay_alu instid0(VALU_DEP_2) | instskip(NEXT) | instid1(VALU_DEP_1)
	v_cmp_gt_i32_e64 s1, s6, v2
	s_and_b32 s4, vcc_lo, s1
	s_delay_alu instid0(SALU_CYCLE_1)
	s_and_saveexec_b32 s5, s4
	s_cbranch_execz .LBB1921_7
; %bb.6:                                ;   in Loop: Header=BB1921_5 Depth=1
	v_ashrrev_i32_e32 v3, 31, v2
	s_delay_alu instid0(VALU_DEP_1) | instskip(NEXT) | instid1(VALU_DEP_1)
	v_lshlrev_b64 v[3:4], 3, v[2:3]
	v_add_co_u32 v3, s1, v13, v3
	s_delay_alu instid0(VALU_DEP_1)
	v_add_co_ci_u32_e64 v4, s1, v14, v4, s1
	global_load_b64 v[7:8], v[3:4], off
.LBB1921_7:                             ;   in Loop: Header=BB1921_5 Depth=1
	s_or_b32 exec_lo, exec_lo, s5
	v_add_nc_u32_e32 v4, s3, v10
	v_mov_b32_e32 v6, 0
	s_waitcnt vmcnt(0)
	ds_store_b64 v12, v[7:8]
	v_cmp_gt_i32_e64 s1, s6, v4
	s_delay_alu instid0(VALU_DEP_1) | instskip(NEXT) | instid1(SALU_CYCLE_1)
	s_and_b32 s5, s0, s1
	s_and_saveexec_b32 s8, s5
	s_cbranch_execz .LBB1921_9
; %bb.8:                                ;   in Loop: Header=BB1921_5 Depth=1
	v_ashrrev_i32_e32 v5, 31, v4
	s_delay_alu instid0(VALU_DEP_1) | instskip(NEXT) | instid1(VALU_DEP_1)
	v_lshlrev_b64 v[5:6], 3, v[4:5]
	v_add_co_u32 v5, s1, v16, v5
	s_delay_alu instid0(VALU_DEP_1)
	v_add_co_ci_u32_e64 v6, s1, v17, v6, s1
	global_load_b64 v[5:6], v[5:6], off
.LBB1921_9:                             ;   in Loop: Header=BB1921_5 Depth=1
	s_or_b32 exec_lo, exec_lo, s8
	s_waitcnt vmcnt(0)
	ds_store_b64 v18, v[5:6]
	s_waitcnt lgkmcnt(0)
	s_barrier
	buffer_gl0_inv
	s_and_saveexec_b32 s1, s2
	s_cbranch_execz .LBB1921_11
; %bb.10:                               ;   in Loop: Header=BB1921_5 Depth=1
	global_load_b64 v[146:147], v[0:1], off
	ds_load_2addr_b64 v[5:8], v15 offset1:32
	ds_load_b128 v[26:29], v11
	ds_load_b128 v[30:33], v11 offset:16
	ds_load_b128 v[34:37], v11 offset:32
	;; [unrolled: 1-line block ×3, first 2 shown]
	ds_load_2addr_b64 v[42:45], v15 offset0:64 offset1:96
	ds_load_2addr_b64 v[46:49], v15 offset0:128 offset1:160
	;; [unrolled: 1-line block ×3, first 2 shown]
	ds_load_2addr_b64 v[54:57], v23 offset1:32
	ds_load_b128 v[58:61], v11 offset:64
	ds_load_b128 v[62:65], v11 offset:80
	ds_load_2addr_b64 v[66:69], v23 offset0:64 offset1:96
	ds_load_2addr_b64 v[70:73], v23 offset0:128 offset1:160
	ds_load_b128 v[74:77], v11 offset:96
	ds_load_b128 v[78:81], v11 offset:112
	ds_load_2addr_b64 v[82:85], v23 offset0:192 offset1:224
	ds_load_2addr_b64 v[86:89], v24 offset1:32
	ds_load_b128 v[90:93], v11 offset:128
	ds_load_b128 v[94:97], v11 offset:144
	ds_load_2addr_b64 v[98:101], v24 offset0:64 offset1:96
	ds_load_2addr_b64 v[102:105], v24 offset0:128 offset1:160
	ds_load_b128 v[106:109], v11 offset:160
	ds_load_b128 v[110:113], v11 offset:176
	ds_load_2addr_b64 v[114:117], v24 offset0:192 offset1:224
	ds_load_2addr_b64 v[118:121], v25 offset1:32
	ds_load_b128 v[122:125], v11 offset:192
	ds_load_b128 v[126:129], v11 offset:208
	ds_load_2addr_b64 v[130:133], v25 offset0:64 offset1:96
	ds_load_2addr_b64 v[134:137], v25 offset0:128 offset1:160
	s_waitcnt lgkmcnt(27)
	v_dual_mul_f32 v3, v6, v27 :: v_dual_mul_f32 v148, v8, v29
	v_mul_f32_e32 v27, v5, v27
	v_mul_f32_e32 v29, v7, v29
	s_waitcnt lgkmcnt(22)
	v_mul_f32_e32 v149, v47, v35
	v_fma_f32 v3, v5, v26, -v3
	v_mul_f32_e32 v35, v46, v35
	v_fmac_f32_e32 v27, v6, v26
	v_fma_f32 v26, v7, v28, -v148
	v_dual_fmac_f32 v29, v8, v28 :: v_dual_mul_f32 v148, v45, v33
	v_mul_f32_e32 v28, v43, v31
	v_dual_mul_f32 v31, v42, v31 :: v_dual_mul_f32 v150, v49, v37
	v_mul_f32_e32 v33, v44, v33
	v_fmac_f32_e32 v35, v47, v34
	s_delay_alu instid0(VALU_DEP_4) | instskip(NEXT) | instid1(VALU_DEP_4)
	v_fma_f32 v28, v42, v30, -v28
	v_fmac_f32_e32 v31, v43, v30
	v_fma_f32 v30, v44, v32, -v148
	v_dual_fmac_f32 v33, v45, v32 :: v_dual_mul_f32 v32, v48, v37
	s_waitcnt lgkmcnt(21)
	v_mul_f32_e32 v42, v53, v41
	v_fma_f32 v46, v46, v34, -v149
	v_fma_f32 v34, v48, v36, -v150
	v_dual_mul_f32 v37, v51, v39 :: v_dual_fmac_f32 v32, v49, v36
	s_waitcnt lgkmcnt(19)
	v_dual_mul_f32 v36, v56, v61 :: v_dual_add_f32 v3, 0, v3
	v_mul_f32_e32 v39, v50, v39
	v_add_f32_e32 v27, 0, v27
	s_delay_alu instid0(VALU_DEP_3) | instskip(NEXT) | instid1(VALU_DEP_4)
	v_dual_mul_f32 v43, v55, v59 :: v_dual_fmac_f32 v36, v57, v60
	v_dual_add_f32 v3, v3, v26 :: v_dual_mul_f32 v44, v54, v59
	s_waitcnt lgkmcnt(17)
	v_dual_mul_f32 v48, v66, v63 :: v_dual_mul_f32 v49, v69, v65
	v_mul_f32_e32 v59, v68, v65
	s_waitcnt lgkmcnt(15)
	v_dual_add_f32 v3, v3, v28 :: v_dual_mul_f32 v26, v73, v77
	v_fma_f32 v37, v50, v38, -v37
	v_fmac_f32_e32 v39, v51, v38
	v_fma_f32 v38, v52, v40, -v42
	s_waitcnt lgkmcnt(11)
	v_dual_add_f32 v3, v3, v30 :: v_dual_mul_f32 v42, v88, v93
	v_dual_mul_f32 v28, v82, v79 :: v_dual_mul_f32 v41, v52, v41
	v_mul_f32_e32 v30, v87, v91
	s_waitcnt lgkmcnt(9)
	s_delay_alu instid0(VALU_DEP_3) | instskip(SKIP_2) | instid1(VALU_DEP_3)
	v_dual_add_f32 v3, v3, v46 :: v_dual_mul_f32 v46, v98, v95
	v_dual_mul_f32 v65, v84, v81 :: v_dual_fmac_f32 v42, v89, v92
	v_mul_f32_e32 v45, v57, v61
	v_dual_add_f32 v3, v3, v34 :: v_dual_mul_f32 v34, v100, v97
	v_add_f32_e32 v27, v27, v29
	s_delay_alu instid0(VALU_DEP_4) | instskip(SKIP_1) | instid1(VALU_DEP_3)
	v_dual_fmac_f32 v46, v99, v94 :: v_dual_fmac_f32 v65, v85, v80
	v_fmac_f32_e32 v41, v53, v40
	v_dual_fmac_f32 v34, v101, v96 :: v_dual_add_f32 v27, v27, v31
	v_add_f32_e32 v3, v3, v37
	v_fmac_f32_e32 v44, v55, v58
	v_dual_mul_f32 v47, v67, v63 :: v_dual_mul_f32 v50, v101, v97
	s_delay_alu instid0(VALU_DEP_4) | instskip(NEXT) | instid1(VALU_DEP_4)
	v_add_f32_e32 v27, v27, v33
	v_add_f32_e32 v3, v3, v38
	ds_load_b128 v[138:141], v11 offset:224
	ds_load_b128 v[142:145], v11 offset:240
	ds_load_2addr_b64 v[5:8], v25 offset0:192 offset1:224
	v_fmac_f32_e32 v48, v67, v62
	v_add_f32_e32 v27, v27, v35
	s_waitcnt lgkmcnt(10)
	v_dual_mul_f32 v29, v71, v75 :: v_dual_mul_f32 v38, v105, v109
	v_mul_f32_e32 v61, v70, v75
	v_fmac_f32_e32 v59, v69, v64
	v_add_f32_e32 v27, v27, v32
	v_dual_mul_f32 v32, v99, v95 :: v_dual_mul_f32 v31, v72, v77
	v_fmac_f32_e32 v28, v83, v78
	v_fma_f32 v29, v70, v74, -v29
	s_delay_alu instid0(VALU_DEP_4)
	v_add_f32_e32 v27, v27, v39
	v_mul_f32_e32 v63, v83, v79
	v_fmac_f32_e32 v31, v73, v76
	v_fma_f32 v26, v72, v76, -v26
	v_mul_f32_e32 v40, v89, v93
	v_add_f32_e32 v27, v27, v41
	v_fma_f32 v41, v54, v58, -v43
	v_fma_f32 v43, v56, v60, -v45
	;; [unrolled: 1-line block ×4, first 2 shown]
	v_add_f32_e32 v27, v27, v44
	v_add_f32_e32 v3, v3, v41
	v_fma_f32 v41, v66, v62, -v47
	v_fma_f32 v44, v68, v64, -v49
	s_delay_alu instid0(VALU_DEP_4) | instskip(NEXT) | instid1(VALU_DEP_4)
	v_add_f32_e32 v27, v27, v36
	v_dual_add_f32 v3, v3, v43 :: v_dual_mul_f32 v36, v104, v109
	v_fmac_f32_e32 v61, v71, v74
	v_mul_f32_e32 v35, v86, v91
	s_delay_alu instid0(VALU_DEP_4) | instskip(NEXT) | instid1(VALU_DEP_4)
	v_add_f32_e32 v27, v27, v48
	v_dual_add_f32 v3, v3, v41 :: v_dual_fmac_f32 v36, v105, v108
	s_waitcnt lgkmcnt(8)
	v_mul_f32_e32 v41, v114, v111
	v_fmac_f32_e32 v35, v87, v90
	v_add_f32_e32 v27, v27, v59
	v_dual_add_f32 v3, v3, v44 :: v_dual_mul_f32 v44, v117, v113
	s_delay_alu instid0(VALU_DEP_4) | instskip(NEXT) | instid1(VALU_DEP_3)
	v_fmac_f32_e32 v41, v115, v110
	v_add_f32_e32 v27, v27, v61
	s_delay_alu instid0(VALU_DEP_3) | instskip(SKIP_1) | instid1(VALU_DEP_3)
	v_add_f32_e32 v3, v3, v29
	v_mul_f32_e32 v29, v116, v113
	v_add_f32_e32 v27, v27, v31
	v_mul_f32_e32 v33, v85, v81
	v_fma_f32 v31, v82, v78, -v63
	v_add_f32_e32 v3, v3, v26
	v_fmac_f32_e32 v29, v117, v112
	v_add_f32_e32 v26, v27, v28
	v_fma_f32 v28, v84, v80, -v33
	v_fma_f32 v33, v88, v92, -v40
	v_add_f32_e32 v3, v3, v31
	s_waitcnt lgkmcnt(6)
	v_mul_f32_e32 v31, v118, v123
	v_dual_add_f32 v26, v26, v65 :: v_dual_mul_f32 v27, v119, v123
	s_delay_alu instid0(VALU_DEP_3) | instskip(NEXT) | instid1(VALU_DEP_2)
	v_add_f32_e32 v3, v3, v28
	v_dual_fmac_f32 v31, v119, v122 :: v_dual_add_f32 v26, v26, v35
	v_fma_f32 v35, v100, v96, -v50
	s_delay_alu instid0(VALU_DEP_3) | instskip(SKIP_1) | instid1(VALU_DEP_4)
	v_dual_mul_f32 v28, v121, v125 :: v_dual_add_f32 v3, v3, v30
	v_mul_f32_e32 v30, v120, v125
	v_add_f32_e32 v26, v26, v42
	v_fma_f32 v27, v118, v122, -v27
	s_delay_alu instid0(VALU_DEP_4) | instskip(NEXT) | instid1(VALU_DEP_4)
	v_fma_f32 v28, v120, v124, -v28
	v_dual_add_f32 v3, v3, v33 :: v_dual_fmac_f32 v30, v121, v124
	s_waitcnt lgkmcnt(4)
	v_dual_add_f32 v26, v26, v46 :: v_dual_mul_f32 v33, v131, v127
	s_delay_alu instid0(VALU_DEP_2) | instskip(SKIP_1) | instid1(VALU_DEP_2)
	v_dual_add_f32 v3, v3, v32 :: v_dual_mul_f32 v32, v130, v127
	v_mul_f32_e32 v37, v102, v107
	v_dual_add_f32 v26, v26, v34 :: v_dual_add_f32 v3, v3, v35
	s_delay_alu instid0(VALU_DEP_3) | instskip(NEXT) | instid1(VALU_DEP_3)
	v_fmac_f32_e32 v32, v131, v126
	v_fmac_f32_e32 v37, v103, v106
	v_mul_f32_e32 v35, v133, v129
	s_delay_alu instid0(VALU_DEP_2) | instskip(SKIP_2) | instid1(VALU_DEP_3)
	v_add_f32_e32 v26, v26, v37
	v_fma_f32 v37, v104, v108, -v38
	v_fma_f32 v38, v116, v112, -v44
	v_dual_add_f32 v26, v26, v36 :: v_dual_mul_f32 v39, v103, v107
	s_delay_alu instid0(VALU_DEP_1) | instskip(NEXT) | instid1(VALU_DEP_2)
	v_add_f32_e32 v26, v26, v41
	v_fma_f32 v34, v102, v106, -v39
	s_delay_alu instid0(VALU_DEP_1) | instskip(SKIP_2) | instid1(VALU_DEP_2)
	v_dual_add_f32 v26, v26, v29 :: v_dual_add_f32 v3, v3, v34
	s_waitcnt lgkmcnt(2)
	v_dual_mul_f32 v34, v132, v129 :: v_dual_mul_f32 v29, v134, v139
	v_dual_add_f32 v26, v26, v31 :: v_dual_add_f32 v3, v3, v37
	s_delay_alu instid0(VALU_DEP_2) | instskip(NEXT) | instid1(VALU_DEP_2)
	v_dual_fmac_f32 v34, v133, v128 :: v_dual_fmac_f32 v29, v135, v138
	v_dual_mul_f32 v37, v135, v139 :: v_dual_add_f32 v26, v26, v30
	v_fma_f32 v30, v130, v126, -v33
	v_mul_f32_e32 v31, v137, v141
	s_delay_alu instid0(VALU_DEP_3) | instskip(NEXT) | instid1(VALU_DEP_4)
	v_fma_f32 v33, v134, v138, -v37
	v_add_f32_e32 v26, v26, v32
	v_fma_f32 v32, v132, v128, -v35
	s_delay_alu instid0(VALU_DEP_4) | instskip(NEXT) | instid1(VALU_DEP_3)
	v_fma_f32 v31, v136, v140, -v31
	v_dual_add_f32 v26, v26, v34 :: v_dual_mul_f32 v43, v115, v111
	s_delay_alu instid0(VALU_DEP_1) | instskip(NEXT) | instid1(VALU_DEP_2)
	v_add_f32_e32 v26, v26, v29
	v_fma_f32 v36, v114, v110, -v43
	s_waitcnt lgkmcnt(0)
	v_mul_f32_e32 v29, v7, v145
	s_delay_alu instid0(VALU_DEP_2) | instskip(NEXT) | instid1(VALU_DEP_2)
	v_add_f32_e32 v3, v3, v36
	v_fmac_f32_e32 v29, v8, v144
	s_delay_alu instid0(VALU_DEP_2) | instskip(NEXT) | instid1(VALU_DEP_1)
	v_add_f32_e32 v3, v3, v38
	v_add_f32_e32 v3, v3, v27
	v_mul_f32_e32 v27, v136, v141
	s_delay_alu instid0(VALU_DEP_2) | instskip(NEXT) | instid1(VALU_DEP_2)
	v_add_f32_e32 v3, v3, v28
	v_dual_fmac_f32 v27, v137, v140 :: v_dual_mul_f32 v28, v6, v143
	s_delay_alu instid0(VALU_DEP_2) | instskip(NEXT) | instid1(VALU_DEP_2)
	v_dual_add_f32 v3, v3, v30 :: v_dual_mul_f32 v30, v5, v143
	v_fma_f32 v5, v5, v142, -v28
	s_delay_alu instid0(VALU_DEP_2) | instskip(NEXT) | instid1(VALU_DEP_4)
	v_dual_add_f32 v3, v3, v32 :: v_dual_fmac_f32 v30, v6, v142
	v_add_f32_e32 v6, v26, v27
	v_mul_f32_e32 v26, v8, v145
	s_delay_alu instid0(VALU_DEP_2) | instskip(NEXT) | instid1(VALU_DEP_2)
	v_dual_add_f32 v3, v3, v33 :: v_dual_add_f32 v6, v6, v30
	v_fma_f32 v7, v7, v144, -v26
	s_delay_alu instid0(VALU_DEP_2) | instskip(NEXT) | instid1(VALU_DEP_1)
	v_add_f32_e32 v3, v3, v31
	v_add_f32_e32 v3, v3, v5
	s_delay_alu instid0(VALU_DEP_4) | instskip(NEXT) | instid1(VALU_DEP_1)
	v_add_f32_e32 v5, v6, v29
	v_dual_add_f32 v3, v3, v7 :: v_dual_mul_f32 v6, s16, v5
	v_mul_f32_e32 v7, s7, v5
	s_delay_alu instid0(VALU_DEP_2) | instskip(NEXT) | instid1(VALU_DEP_2)
	v_fma_f32 v5, s7, v3, -v6
	v_fmac_f32_e32 v7, s16, v3
	s_waitcnt vmcnt(0)
	s_delay_alu instid0(VALU_DEP_1)
	v_dual_add_f32 v5, v146, v5 :: v_dual_add_f32 v6, v147, v7
	global_store_b64 v[0:1], v[5:6], off
.LBB1921_11:                            ;   in Loop: Header=BB1921_5 Depth=1
	s_or_b32 exec_lo, exec_lo, s1
	v_dual_mov_b32 v6, 0 :: v_dual_mov_b32 v7, 0
	v_mov_b32_e32 v8, 0
	s_waitcnt_vscnt null, 0x0
	s_barrier
	buffer_gl0_inv
	s_and_saveexec_b32 s8, s4
	s_cbranch_execz .LBB1921_13
; %bb.12:                               ;   in Loop: Header=BB1921_5 Depth=1
	v_ashrrev_i32_e32 v3, 31, v2
	s_delay_alu instid0(VALU_DEP_1) | instskip(NEXT) | instid1(VALU_DEP_1)
	v_lshlrev_b64 v[2:3], 3, v[2:3]
	v_add_co_u32 v2, s1, v19, v2
	s_delay_alu instid0(VALU_DEP_1)
	v_add_co_ci_u32_e64 v3, s1, v20, v3, s1
	global_load_b64 v[7:8], v[2:3], off
.LBB1921_13:                            ;   in Loop: Header=BB1921_5 Depth=1
	s_or_b32 exec_lo, exec_lo, s8
	v_mov_b32_e32 v5, 0
	s_waitcnt vmcnt(0)
	ds_store_b64 v12, v[7:8]
	s_and_saveexec_b32 s4, s5
	s_cbranch_execz .LBB1921_15
; %bb.14:                               ;   in Loop: Header=BB1921_5 Depth=1
	v_ashrrev_i32_e32 v5, 31, v4
	s_delay_alu instid0(VALU_DEP_1) | instskip(NEXT) | instid1(VALU_DEP_1)
	v_lshlrev_b64 v[2:3], 3, v[4:5]
	v_add_co_u32 v2, s1, v21, v2
	s_delay_alu instid0(VALU_DEP_1)
	v_add_co_ci_u32_e64 v3, s1, v22, v3, s1
	global_load_b64 v[5:6], v[2:3], off
.LBB1921_15:                            ;   in Loop: Header=BB1921_5 Depth=1
	s_or_b32 exec_lo, exec_lo, s4
	s_waitcnt vmcnt(0)
	ds_store_b64 v18, v[5:6]
	s_waitcnt lgkmcnt(0)
	s_barrier
	buffer_gl0_inv
	s_and_saveexec_b32 s1, s2
	s_cbranch_execz .LBB1921_4
; %bb.16:                               ;   in Loop: Header=BB1921_5 Depth=1
	global_load_b64 v[6:7], v[0:1], off
	ds_load_b128 v[2:5], v11
	ds_load_b128 v[26:29], v11 offset:16
	ds_load_2addr_b64 v[30:33], v15 offset1:32
	ds_load_b128 v[34:37], v11 offset:32
	ds_load_b128 v[38:41], v11 offset:48
	ds_load_2addr_b64 v[42:45], v15 offset0:64 offset1:96
	ds_load_2addr_b64 v[46:49], v15 offset0:128 offset1:160
	;; [unrolled: 1-line block ×3, first 2 shown]
	ds_load_2addr_b64 v[54:57], v23 offset1:32
	ds_load_b128 v[58:61], v11 offset:64
	ds_load_b128 v[62:65], v11 offset:80
	ds_load_2addr_b64 v[66:69], v23 offset0:64 offset1:96
	ds_load_2addr_b64 v[70:73], v23 offset0:128 offset1:160
	ds_load_b128 v[74:77], v11 offset:96
	ds_load_b128 v[78:81], v11 offset:112
	ds_load_2addr_b64 v[82:85], v23 offset0:192 offset1:224
	ds_load_2addr_b64 v[86:89], v24 offset1:32
	ds_load_b128 v[90:93], v11 offset:128
	ds_load_b128 v[94:97], v11 offset:144
	ds_load_2addr_b64 v[98:101], v24 offset0:64 offset1:96
	ds_load_2addr_b64 v[102:105], v24 offset0:128 offset1:160
	ds_load_b128 v[106:109], v11 offset:160
	ds_load_b128 v[110:113], v11 offset:176
	ds_load_2addr_b64 v[114:117], v24 offset0:192 offset1:224
	;; [unrolled: 8-line block ×3, first 2 shown]
	s_waitcnt lgkmcnt(29)
	v_mul_f32_e32 v8, v31, v3
	v_dual_mul_f32 v3, v30, v3 :: v_dual_mul_f32 v150, v33, v5
	v_mul_f32_e32 v5, v32, v5
	s_waitcnt lgkmcnt(26)
	v_dual_mul_f32 v151, v43, v27 :: v_dual_mul_f32 v152, v45, v29
	v_fma_f32 v8, v30, v2, -v8
	s_waitcnt lgkmcnt(25)
	v_dual_mul_f32 v27, v42, v27 :: v_dual_mul_f32 v154, v49, v37
	s_waitcnt lgkmcnt(16)
	v_dual_mul_f32 v29, v44, v29 :: v_dual_mul_f32 v30, v83, v79
	v_dual_mul_f32 v153, v47, v35 :: v_dual_mul_f32 v156, v53, v41
	;; [unrolled: 1-line block ×3, first 2 shown]
	v_dual_mul_f32 v37, v48, v37 :: v_dual_add_f32 v8, 0, v8
	v_dual_mul_f32 v155, v51, v39 :: v_dual_mul_f32 v160, v69, v65
	v_fmac_f32_e32 v3, v31, v2
	v_fma_f32 v2, v32, v4, -v150
	v_dual_mul_f32 v39, v50, v39 :: v_dual_mul_f32 v162, v73, v77
	v_mul_f32_e32 v159, v67, v63
	s_delay_alu instid0(VALU_DEP_4)
	v_add_f32_e32 v3, 0, v3
	v_fma_f32 v42, v42, v26, -v151
	v_fmac_f32_e32 v27, v43, v26
	v_add_f32_e32 v2, v8, v2
	v_fma_f32 v26, v44, v28, -v152
	v_fmac_f32_e32 v29, v45, v28
	v_fma_f32 v28, v46, v34, -v153
	v_fmac_f32_e32 v35, v47, v34
	;; [unrolled: 2-line block ×3, first 2 shown]
	v_dual_mul_f32 v61, v56, v61 :: v_dual_add_f32 v2, v2, v42
	v_fmac_f32_e32 v39, v51, v38
	v_fma_f32 v38, v66, v62, -v159
	s_delay_alu instid0(VALU_DEP_4) | instskip(NEXT) | instid1(VALU_DEP_4)
	v_add_f32_e32 v3, v3, v5
	v_dual_mul_f32 v65, v68, v65 :: v_dual_add_f32 v2, v2, v26
	v_mul_f32_e32 v161, v71, v75
	v_fma_f32 v30, v82, v78, -v30
	s_delay_alu instid0(VALU_DEP_4) | instskip(SKIP_3) | instid1(VALU_DEP_4)
	v_add_f32_e32 v3, v3, v27
	v_dual_mul_f32 v157, v55, v59 :: v_dual_mul_f32 v4, v72, v77
	v_add_f32_e32 v2, v2, v28
	v_dual_mul_f32 v59, v54, v59 :: v_dual_mul_f32 v32, v85, v81
	v_add_f32_e32 v3, v3, v29
	v_fma_f32 v29, v48, v36, -v154
	v_mul_f32_e32 v33, v84, v81
	v_fmac_f32_e32 v37, v49, v36
	v_fma_f32 v32, v84, v80, -v32
	s_delay_alu instid0(VALU_DEP_4)
	v_dual_add_f32 v3, v3, v35 :: v_dual_add_f32 v2, v2, v29
	v_fma_f32 v35, v52, v40, -v156
	v_fma_f32 v36, v54, v58, -v157
	s_waitcnt lgkmcnt(12)
	v_dual_mul_f32 v41, v52, v41 :: v_dual_mul_f32 v8, v99, v95
	v_dual_add_f32 v2, v2, v34 :: v_dual_mul_f32 v81, v89, v93
	v_add_f32_e32 v3, v3, v37
	v_fma_f32 v37, v56, v60, -v158
	v_dual_mul_f32 v63, v66, v63 :: v_dual_mul_f32 v26, v101, v97
	s_delay_alu instid0(VALU_DEP_4) | instskip(SKIP_2) | instid1(VALU_DEP_3)
	v_add_f32_e32 v2, v2, v35
	v_dual_mul_f32 v75, v70, v75 :: v_dual_mul_f32 v28, v100, v97
	v_fmac_f32_e32 v41, v53, v40
	v_dual_add_f32 v3, v3, v39 :: v_dual_add_f32 v2, v2, v36
	v_mul_f32_e32 v77, v87, v91
	v_fma_f32 v39, v68, v64, -v160
	v_fma_f32 v8, v98, v94, -v8
	s_delay_alu instid0(VALU_DEP_4) | instskip(SKIP_2) | instid1(VALU_DEP_3)
	v_dual_fmac_f32 v59, v55, v58 :: v_dual_add_f32 v2, v2, v37
	v_fma_f32 v26, v100, v96, -v26
	v_dual_fmac_f32 v28, v101, v96 :: v_dual_add_f32 v3, v3, v41
	v_dual_fmac_f32 v61, v57, v60 :: v_dual_add_f32 v2, v2, v38
	v_fma_f32 v40, v70, v74, -v161
	s_waitcnt lgkmcnt(10)
	v_dual_mul_f32 v31, v82, v79 :: v_dual_mul_f32 v36, v104, v109
	v_add_f32_e32 v3, v3, v59
	v_dual_add_f32 v2, v2, v39 :: v_dual_fmac_f32 v63, v67, v62
	v_fma_f32 v41, v72, v76, -v162
	s_delay_alu instid0(VALU_DEP_3) | instskip(NEXT) | instid1(VALU_DEP_3)
	v_dual_fmac_f32 v36, v105, v108 :: v_dual_add_f32 v3, v3, v61
	v_dual_add_f32 v2, v2, v40 :: v_dual_mul_f32 v5, v88, v93
	s_waitcnt lgkmcnt(8)
	v_dual_mul_f32 v38, v114, v111 :: v_dual_fmac_f32 v65, v69, v64
	s_delay_alu instid0(VALU_DEP_2) | instskip(SKIP_1) | instid1(VALU_DEP_3)
	v_dual_add_f32 v3, v3, v63 :: v_dual_add_f32 v2, v2, v41
	v_fmac_f32_e32 v75, v71, v74
	v_dual_fmac_f32 v38, v115, v110 :: v_dual_mul_f32 v79, v86, v91
	s_delay_alu instid0(VALU_DEP_3) | instskip(NEXT) | instid1(VALU_DEP_4)
	v_dual_fmac_f32 v4, v73, v76 :: v_dual_add_f32 v3, v3, v65
	v_add_f32_e32 v2, v2, v30
	v_mul_f32_e32 v27, v98, v95
	v_mul_f32_e32 v34, v102, v107
	s_waitcnt lgkmcnt(6)
	v_mul_f32_e32 v30, v118, v123
	v_dual_add_f32 v3, v3, v75 :: v_dual_add_f32 v2, v2, v32
	v_mul_f32_e32 v32, v121, v125
	s_delay_alu instid0(VALU_DEP_3) | instskip(NEXT) | instid1(VALU_DEP_3)
	v_dual_fmac_f32 v33, v85, v80 :: v_dual_fmac_f32 v30, v119, v122
	v_add_f32_e32 v3, v3, v4
	v_fmac_f32_e32 v79, v87, v90
	s_delay_alu instid0(VALU_DEP_4) | instskip(SKIP_3) | instid1(VALU_DEP_3)
	v_fma_f32 v32, v120, v124, -v32
	v_fmac_f32_e32 v31, v83, v78
	v_fmac_f32_e32 v27, v99, v94
	v_dual_mul_f32 v35, v105, v109 :: v_dual_fmac_f32 v34, v103, v106
	v_dual_mul_f32 v40, v116, v113 :: v_dual_add_f32 v3, v3, v31
	v_fma_f32 v31, v86, v90, -v77
	v_mul_f32_e32 v37, v115, v111
	v_mul_f32_e32 v39, v117, v113
	s_delay_alu instid0(VALU_DEP_4)
	v_dual_fmac_f32 v40, v117, v112 :: v_dual_add_f32 v3, v3, v33
	v_fma_f32 v33, v88, v92, -v81
	v_add_f32_e32 v2, v2, v31
	v_mul_f32_e32 v29, v103, v107
	v_mul_f32_e32 v4, v119, v123
	v_add_f32_e32 v3, v3, v79
	v_mul_f32_e32 v31, v120, v125
	v_add_f32_e32 v2, v2, v33
	s_delay_alu instid0(VALU_DEP_4) | instskip(NEXT) | instid1(VALU_DEP_2)
	v_fma_f32 v4, v118, v122, -v4
	v_add_f32_e32 v2, v2, v8
	s_waitcnt lgkmcnt(4)
	v_dual_mul_f32 v8, v130, v127 :: v_dual_fmac_f32 v5, v89, v92
	s_delay_alu instid0(VALU_DEP_2) | instskip(NEXT) | instid1(VALU_DEP_2)
	v_add_f32_e32 v2, v2, v26
	v_fmac_f32_e32 v8, v131, v126
	s_delay_alu instid0(VALU_DEP_3) | instskip(SKIP_1) | instid1(VALU_DEP_2)
	v_add_f32_e32 v3, v3, v5
	v_dual_mul_f32 v5, v131, v127 :: v_dual_mul_f32 v26, v133, v129
	v_add_f32_e32 v3, v3, v27
	v_fma_f32 v27, v102, v106, -v29
	v_fma_f32 v29, v114, v110, -v37
	s_delay_alu instid0(VALU_DEP_4) | instskip(SKIP_4) | instid1(VALU_DEP_1)
	v_fma_f32 v5, v130, v126, -v5
	v_fma_f32 v26, v132, v128, -v26
	v_add_f32_e32 v3, v3, v28
	v_fma_f32 v28, v104, v108, -v35
	v_dual_add_f32 v2, v2, v27 :: v_dual_mul_f32 v27, v132, v129
	v_dual_add_f32 v3, v3, v34 :: v_dual_add_f32 v2, v2, v28
	s_waitcnt lgkmcnt(2)
	v_mul_f32_e32 v28, v135, v139
	v_fma_f32 v33, v116, v112, -v39
	s_delay_alu instid0(VALU_DEP_3) | instskip(SKIP_2) | instid1(VALU_DEP_2)
	v_add_f32_e32 v3, v3, v36
	v_dual_fmac_f32 v27, v133, v128 :: v_dual_add_f32 v2, v2, v29
	v_mul_f32_e32 v29, v134, v139
	v_dual_add_f32 v3, v3, v38 :: v_dual_add_f32 v2, v2, v33
	v_mul_f32_e32 v33, v137, v141
	s_delay_alu instid0(VALU_DEP_3) | instskip(NEXT) | instid1(VALU_DEP_3)
	v_fmac_f32_e32 v29, v135, v138
	v_add_f32_e32 v3, v3, v40
	s_delay_alu instid0(VALU_DEP_4) | instskip(NEXT) | instid1(VALU_DEP_2)
	v_add_f32_e32 v2, v2, v4
	v_dual_mul_f32 v4, v136, v141 :: v_dual_add_f32 v3, v3, v30
	s_waitcnt lgkmcnt(0)
	v_dual_mul_f32 v30, v147, v143 :: v_dual_fmac_f32 v31, v121, v124
	s_delay_alu instid0(VALU_DEP_3) | instskip(NEXT) | instid1(VALU_DEP_2)
	v_add_f32_e32 v2, v2, v32
	v_dual_fmac_f32 v4, v137, v140 :: v_dual_add_f32 v3, v3, v31
	s_delay_alu instid0(VALU_DEP_2) | instskip(SKIP_1) | instid1(VALU_DEP_3)
	v_add_f32_e32 v2, v2, v5
	v_mul_f32_e32 v5, v146, v143
	v_add_f32_e32 v3, v3, v8
	v_fma_f32 v8, v134, v138, -v28
	s_delay_alu instid0(VALU_DEP_4)
	v_add_f32_e32 v2, v2, v26
	v_mul_f32_e32 v26, v149, v145
	v_fma_f32 v28, v146, v142, -v30
	v_add_f32_e32 v3, v3, v27
	v_fma_f32 v27, v136, v140, -v33
	v_add_f32_e32 v2, v2, v8
	v_dual_mul_f32 v8, v148, v145 :: v_dual_fmac_f32 v5, v147, v142
	s_delay_alu instid0(VALU_DEP_2) | instskip(NEXT) | instid1(VALU_DEP_2)
	v_dual_add_f32 v3, v3, v29 :: v_dual_add_f32 v2, v2, v27
	v_fmac_f32_e32 v8, v149, v144
	s_delay_alu instid0(VALU_DEP_2) | instskip(SKIP_1) | instid1(VALU_DEP_2)
	v_add_f32_e32 v3, v3, v4
	v_fma_f32 v4, v148, v144, -v26
	v_dual_add_f32 v2, v2, v28 :: v_dual_add_f32 v3, v3, v5
	s_delay_alu instid0(VALU_DEP_1) | instskip(NEXT) | instid1(VALU_DEP_2)
	v_add_f32_e32 v2, v2, v4
	v_add_f32_e32 v3, v3, v8
	s_delay_alu instid0(VALU_DEP_1) | instskip(NEXT) | instid1(VALU_DEP_1)
	v_dual_mul_f32 v5, s16, v2 :: v_dual_mul_f32 v4, s16, v3
	v_fmac_f32_e32 v5, s7, v3
	s_delay_alu instid0(VALU_DEP_2) | instskip(SKIP_1) | instid1(VALU_DEP_1)
	v_fma_f32 v2, s7, v2, -v4
	s_waitcnt vmcnt(0)
	v_dual_add_f32 v2, v6, v2 :: v_dual_add_f32 v3, v7, v5
	global_store_b64 v[0:1], v[2:3], off
	s_branch .LBB1921_4
.LBB1921_17:
	s_endpgm
	.section	.rodata,"a",@progbits
	.p2align	6, 0x0
	.amdhsa_kernel _ZL26rocblas_syr2k_her2k_kernelIiLb1ELb0ELb1ELi32E19rocblas_complex_numIfEPKPKS1_PKPS1_EvbiT_T4_T5_S9_lSB_S9_lT6_S9_li
		.amdhsa_group_segment_fixed_size 16384
		.amdhsa_private_segment_fixed_size 0
		.amdhsa_kernarg_size 100
		.amdhsa_user_sgpr_count 13
		.amdhsa_user_sgpr_dispatch_ptr 0
		.amdhsa_user_sgpr_queue_ptr 0
		.amdhsa_user_sgpr_kernarg_segment_ptr 1
		.amdhsa_user_sgpr_dispatch_id 0
		.amdhsa_user_sgpr_private_segment_size 0
		.amdhsa_wavefront_size32 1
		.amdhsa_uses_dynamic_stack 0
		.amdhsa_enable_private_segment 0
		.amdhsa_system_sgpr_workgroup_id_x 1
		.amdhsa_system_sgpr_workgroup_id_y 1
		.amdhsa_system_sgpr_workgroup_id_z 1
		.amdhsa_system_sgpr_workgroup_info 0
		.amdhsa_system_vgpr_workitem_id 1
		.amdhsa_next_free_vgpr 163
		.amdhsa_next_free_sgpr 25
		.amdhsa_reserve_vcc 1
		.amdhsa_float_round_mode_32 0
		.amdhsa_float_round_mode_16_64 0
		.amdhsa_float_denorm_mode_32 3
		.amdhsa_float_denorm_mode_16_64 3
		.amdhsa_dx10_clamp 1
		.amdhsa_ieee_mode 1
		.amdhsa_fp16_overflow 0
		.amdhsa_workgroup_processor_mode 1
		.amdhsa_memory_ordered 1
		.amdhsa_forward_progress 0
		.amdhsa_shared_vgpr_count 0
		.amdhsa_exception_fp_ieee_invalid_op 0
		.amdhsa_exception_fp_denorm_src 0
		.amdhsa_exception_fp_ieee_div_zero 0
		.amdhsa_exception_fp_ieee_overflow 0
		.amdhsa_exception_fp_ieee_underflow 0
		.amdhsa_exception_fp_ieee_inexact 0
		.amdhsa_exception_int_div_zero 0
	.end_amdhsa_kernel
	.section	.text._ZL26rocblas_syr2k_her2k_kernelIiLb1ELb0ELb1ELi32E19rocblas_complex_numIfEPKPKS1_PKPS1_EvbiT_T4_T5_S9_lSB_S9_lT6_S9_li,"axG",@progbits,_ZL26rocblas_syr2k_her2k_kernelIiLb1ELb0ELb1ELi32E19rocblas_complex_numIfEPKPKS1_PKPS1_EvbiT_T4_T5_S9_lSB_S9_lT6_S9_li,comdat
.Lfunc_end1921:
	.size	_ZL26rocblas_syr2k_her2k_kernelIiLb1ELb0ELb1ELi32E19rocblas_complex_numIfEPKPKS1_PKPS1_EvbiT_T4_T5_S9_lSB_S9_lT6_S9_li, .Lfunc_end1921-_ZL26rocblas_syr2k_her2k_kernelIiLb1ELb0ELb1ELi32E19rocblas_complex_numIfEPKPKS1_PKPS1_EvbiT_T4_T5_S9_lSB_S9_lT6_S9_li
                                        ; -- End function
	.section	.AMDGPU.csdata,"",@progbits
; Kernel info:
; codeLenInByte = 3796
; NumSgprs: 27
; NumVgprs: 163
; ScratchSize: 0
; MemoryBound: 0
; FloatMode: 240
; IeeeMode: 1
; LDSByteSize: 16384 bytes/workgroup (compile time only)
; SGPRBlocks: 3
; VGPRBlocks: 20
; NumSGPRsForWavesPerEU: 27
; NumVGPRsForWavesPerEU: 163
; Occupancy: 9
; WaveLimiterHint : 1
; COMPUTE_PGM_RSRC2:SCRATCH_EN: 0
; COMPUTE_PGM_RSRC2:USER_SGPR: 13
; COMPUTE_PGM_RSRC2:TRAP_HANDLER: 0
; COMPUTE_PGM_RSRC2:TGID_X_EN: 1
; COMPUTE_PGM_RSRC2:TGID_Y_EN: 1
; COMPUTE_PGM_RSRC2:TGID_Z_EN: 1
; COMPUTE_PGM_RSRC2:TIDIG_COMP_CNT: 1
	.section	.text._ZL26rocblas_syr2k_her2k_kernelIiLb1ELb0ELb0ELi32EPK19rocblas_complex_numIfEPKS3_PKPS1_EvbiT_T4_T5_S9_lSB_S9_lT6_S9_li,"axG",@progbits,_ZL26rocblas_syr2k_her2k_kernelIiLb1ELb0ELb0ELi32EPK19rocblas_complex_numIfEPKS3_PKPS1_EvbiT_T4_T5_S9_lSB_S9_lT6_S9_li,comdat
	.globl	_ZL26rocblas_syr2k_her2k_kernelIiLb1ELb0ELb0ELi32EPK19rocblas_complex_numIfEPKS3_PKPS1_EvbiT_T4_T5_S9_lSB_S9_lT6_S9_li ; -- Begin function _ZL26rocblas_syr2k_her2k_kernelIiLb1ELb0ELb0ELi32EPK19rocblas_complex_numIfEPKS3_PKPS1_EvbiT_T4_T5_S9_lSB_S9_lT6_S9_li
	.p2align	8
	.type	_ZL26rocblas_syr2k_her2k_kernelIiLb1ELb0ELb0ELi32EPK19rocblas_complex_numIfEPKS3_PKPS1_EvbiT_T4_T5_S9_lSB_S9_lT6_S9_li,@function
_ZL26rocblas_syr2k_her2k_kernelIiLb1ELb0ELb0ELi32EPK19rocblas_complex_numIfEPKS3_PKPS1_EvbiT_T4_T5_S9_lSB_S9_lT6_S9_li: ; @_ZL26rocblas_syr2k_her2k_kernelIiLb1ELb0ELb0ELi32EPK19rocblas_complex_numIfEPKS3_PKPS1_EvbiT_T4_T5_S9_lSB_S9_lT6_S9_li
; %bb.0:
	s_load_b128 s[16:19], s[0:1], 0x10
	s_waitcnt lgkmcnt(0)
	s_load_b64 s[16:17], s[16:17], 0x0
	s_waitcnt lgkmcnt(0)
	v_cmp_eq_f32_e64 s3, s16, 0
	v_cmp_eq_f32_e64 s4, s17, 0
	s_delay_alu instid0(VALU_DEP_1) | instskip(NEXT) | instid1(SALU_CYCLE_1)
	s_and_b32 s3, s3, s4
	s_and_b32 vcc_lo, exec_lo, s3
	s_cbranch_vccnz .LBB1922_17
; %bb.1:
	s_load_b128 s[4:7], s[0:1], 0x0
	s_lshl_b32 s20, s14, 5
	s_lshl_b32 s21, s13, 5
	s_waitcnt lgkmcnt(0)
	s_and_b32 s3, 1, s4
	s_delay_alu instid0(SALU_CYCLE_1) | instskip(SKIP_1) | instid1(SALU_CYCLE_1)
	s_cmp_eq_u32 s3, 1
	s_cselect_b32 vcc_lo, -1, 0
	s_and_b32 s3, vcc_lo, exec_lo
	s_cselect_b32 s3, s21, s20
	s_cselect_b32 s4, s20, s21
	s_delay_alu instid0(SALU_CYCLE_1)
	s_cmp_gt_i32 s3, s4
	s_cbranch_scc1 .LBB1922_17
; %bb.2:
	s_cmp_lt_i32 s6, 1
	s_cbranch_scc1 .LBB1922_17
; %bb.3:
	s_mov_b32 s2, s15
	s_clause 0x4
	s_load_b128 s[12:15], s[0:1], 0x28
	s_load_b32 s4, s[0:1], 0x20
	s_load_b32 s7, s[0:1], 0x38
	s_load_b128 s[8:11], s[0:1], 0x40
	s_load_b32 s26, s[0:1], 0x50
	s_mov_b32 s3, 0
	s_load_b64 s[24:25], s[0:1], 0x58
	s_lshl_b64 s[22:23], s[2:3], 3
	v_and_b32_e32 v6, 0x3ff, v0
	s_add_u32 s0, s18, s22
	s_addc_u32 s1, s19, s23
	v_bfe_u32 v7, v0, 10, 10
	s_load_b64 s[18:19], s[0:1], 0x0
	v_add_nc_u32_e32 v2, s21, v6
	s_delay_alu instid0(VALU_DEP_2) | instskip(SKIP_1) | instid1(VALU_DEP_3)
	v_add_nc_u32_e32 v0, s20, v7
	v_lshlrev_b32_e32 v4, 3, v7
	v_ashrrev_i32_e32 v3, 31, v2
	s_waitcnt lgkmcnt(0)
	s_add_u32 s0, s14, s22
	v_cndmask_b32_e32 v17, v0, v2, vcc_lo
	s_addc_u32 s1, s15, s23
	v_lshlrev_b32_e32 v8, 8, v6
	s_load_b64 s[14:15], s[0:1], 0x0
	s_add_u32 s0, s10, s22
	s_addc_u32 s1, s11, s23
	v_ashrrev_i32_e32 v1, 31, v0
	s_load_b64 s[10:11], s[0:1], 0x0
	v_mad_i64_i32 v[13:14], null, s26, v0, 0
	v_or_b32_e32 v10, 0x2000, v4
	v_cndmask_b32_e32 v16, v2, v0, vcc_lo
	v_cmp_gt_i32_e32 vcc_lo, s5, v2
	v_lshlrev_b64 v[2:3], 3, v[2:3]
	s_lshl_b64 s[12:13], s[12:13], 3
	v_add_nc_u32_e32 v21, 0x1000, v10
	v_add_nc_u32_e32 v9, v8, v4
	v_lshlrev_b64 v[4:5], 3, v[0:1]
	v_cmp_gt_i32_e64 s0, s5, v0
	s_add_u32 s5, s18, s12
	s_addc_u32 s12, s19, s13
	s_lshl_b64 s[8:9], s[8:9], 3
	v_add_co_u32 v11, s1, s5, v2
	v_lshlrev_b64 v[0:1], 3, v[13:14]
	s_waitcnt lgkmcnt(0)
	s_add_u32 s13, s14, s8
	s_addc_u32 s14, s15, s9
	s_lshl_b64 s[8:9], s[24:25], 3
	v_add_co_ci_u32_e64 v12, s1, s12, v3, s1
	v_add_co_u32 v13, s1, s13, v4
	s_add_u32 s2, s10, s8
	v_add_co_ci_u32_e64 v14, s1, s14, v5, s1
	s_addc_u32 s8, s11, s9
	v_add_co_u32 v0, s1, s2, v0
	s_delay_alu instid0(VALU_DEP_1) | instskip(SKIP_1) | instid1(VALU_DEP_3)
	v_add_co_ci_u32_e64 v1, s1, s8, v1, s1
	v_cmp_le_i32_e64 s1, v17, v16
	v_add_co_u32 v0, s2, v0, v2
	s_delay_alu instid0(VALU_DEP_1) | instskip(SKIP_1) | instid1(VALU_DEP_1)
	v_add_co_ci_u32_e64 v1, s2, v1, v3, s2
	v_add_co_u32 v16, s2, s13, v2
	v_add_co_ci_u32_e64 v17, s2, s14, v3, s2
	v_add_co_u32 v18, s2, s5, v4
	v_add_nc_u32_e32 v15, v10, v8
	v_add_co_ci_u32_e64 v19, s2, s12, v5, s2
	v_add_nc_u32_e32 v20, 0x800, v10
	v_add_nc_u32_e32 v22, 0x1800, v10
	s_and_b32 s2, s0, vcc_lo
	s_delay_alu instid0(SALU_CYCLE_1)
	s_and_b32 s2, s2, s1
	s_branch .LBB1922_5
.LBB1922_4:                             ;   in Loop: Header=BB1922_5 Depth=1
	s_or_b32 exec_lo, exec_lo, s1
	s_add_i32 s3, s3, 32
	s_waitcnt_vscnt null, 0x0
	s_cmp_lt_i32 s3, s6
	s_barrier
	buffer_gl0_inv
	s_cbranch_scc0 .LBB1922_17
.LBB1922_5:                             ; =>This Inner Loop Header: Depth=1
	v_dual_mov_b32 v2, 0 :: v_dual_add_nc_u32 v23, s3, v7
	v_dual_mov_b32 v4, 0 :: v_dual_mov_b32 v5, 0
	s_delay_alu instid0(VALU_DEP_2) | instskip(NEXT) | instid1(VALU_DEP_1)
	v_cmp_gt_i32_e64 s1, s6, v23
	s_and_b32 s5, vcc_lo, s1
	s_delay_alu instid0(SALU_CYCLE_1)
	s_and_saveexec_b32 s8, s5
	s_cbranch_execz .LBB1922_7
; %bb.6:                                ;   in Loop: Header=BB1922_5 Depth=1
	v_mad_i64_i32 v[3:4], null, v23, s4, 0
	s_delay_alu instid0(VALU_DEP_1) | instskip(NEXT) | instid1(VALU_DEP_1)
	v_lshlrev_b64 v[3:4], 3, v[3:4]
	v_add_co_u32 v3, s1, v11, v3
	s_delay_alu instid0(VALU_DEP_1)
	v_add_co_ci_u32_e64 v4, s1, v12, v4, s1
	global_load_b64 v[4:5], v[3:4], off
.LBB1922_7:                             ;   in Loop: Header=BB1922_5 Depth=1
	s_or_b32 exec_lo, exec_lo, s8
	v_dual_mov_b32 v3, 0 :: v_dual_add_nc_u32 v24, s3, v6
	s_waitcnt vmcnt(0)
	ds_store_b64 v9, v[4:5]
	v_cmp_gt_i32_e64 s1, s6, v24
	s_delay_alu instid0(VALU_DEP_1) | instskip(NEXT) | instid1(SALU_CYCLE_1)
	s_and_b32 s8, s0, s1
	s_and_saveexec_b32 s9, s8
	s_cbranch_execz .LBB1922_9
; %bb.8:                                ;   in Loop: Header=BB1922_5 Depth=1
	v_mad_i64_i32 v[2:3], null, v24, s7, 0
	s_delay_alu instid0(VALU_DEP_1) | instskip(NEXT) | instid1(VALU_DEP_1)
	v_lshlrev_b64 v[2:3], 3, v[2:3]
	v_add_co_u32 v2, s1, v13, v2
	s_delay_alu instid0(VALU_DEP_1)
	v_add_co_ci_u32_e64 v3, s1, v14, v3, s1
	global_load_b64 v[2:3], v[2:3], off
.LBB1922_9:                             ;   in Loop: Header=BB1922_5 Depth=1
	s_or_b32 exec_lo, exec_lo, s9
	s_waitcnt vmcnt(0)
	ds_store_b64 v15, v[2:3]
	s_waitcnt lgkmcnt(0)
	s_barrier
	buffer_gl0_inv
	s_and_saveexec_b32 s1, s2
	s_cbranch_execz .LBB1922_11
; %bb.10:                               ;   in Loop: Header=BB1922_5 Depth=1
	global_load_b64 v[145:146], v[0:1], off
	ds_load_2addr_b64 v[2:5], v10 offset1:32
	ds_load_b128 v[25:28], v8
	ds_load_b128 v[29:32], v8 offset:16
	ds_load_b128 v[33:36], v8 offset:32
	;; [unrolled: 1-line block ×3, first 2 shown]
	ds_load_2addr_b64 v[41:44], v10 offset0:64 offset1:96
	ds_load_2addr_b64 v[45:48], v10 offset0:128 offset1:160
	;; [unrolled: 1-line block ×3, first 2 shown]
	ds_load_2addr_b64 v[53:56], v20 offset1:32
	ds_load_b128 v[57:60], v8 offset:64
	ds_load_b128 v[61:64], v8 offset:80
	ds_load_2addr_b64 v[65:68], v20 offset0:64 offset1:96
	ds_load_2addr_b64 v[69:72], v20 offset0:128 offset1:160
	ds_load_b128 v[73:76], v8 offset:96
	ds_load_b128 v[77:80], v8 offset:112
	ds_load_2addr_b64 v[81:84], v20 offset0:192 offset1:224
	ds_load_2addr_b64 v[85:88], v21 offset1:32
	ds_load_b128 v[89:92], v8 offset:128
	ds_load_b128 v[93:96], v8 offset:144
	ds_load_2addr_b64 v[97:100], v21 offset0:64 offset1:96
	ds_load_2addr_b64 v[101:104], v21 offset0:128 offset1:160
	ds_load_b128 v[105:108], v8 offset:160
	ds_load_b128 v[109:112], v8 offset:176
	ds_load_2addr_b64 v[113:116], v21 offset0:192 offset1:224
	ds_load_2addr_b64 v[117:120], v22 offset1:32
	ds_load_b128 v[121:124], v8 offset:192
	ds_load_b128 v[125:128], v8 offset:208
	ds_load_2addr_b64 v[129:132], v22 offset0:64 offset1:96
	ds_load_2addr_b64 v[133:136], v22 offset0:128 offset1:160
	s_waitcnt lgkmcnt(27)
	v_dual_mul_f32 v147, v3, v26 :: v_dual_mul_f32 v148, v5, v28
	v_mul_f32_e32 v26, v2, v26
	s_waitcnt lgkmcnt(22)
	v_dual_mul_f32 v28, v4, v28 :: v_dual_mul_f32 v149, v46, v34
	s_delay_alu instid0(VALU_DEP_3)
	v_fma_f32 v147, v2, v25, -v147
	v_mul_f32_e32 v34, v45, v34
	v_fmac_f32_e32 v26, v3, v25
	v_fma_f32 v25, v4, v27, -v148
	v_dual_fmac_f32 v28, v5, v27 :: v_dual_mul_f32 v27, v42, v30
	v_mul_f32_e32 v30, v41, v30
	v_mul_f32_e32 v148, v44, v32
	;; [unrolled: 1-line block ×3, first 2 shown]
	v_fma_f32 v45, v45, v33, -v149
	v_fma_f32 v27, v41, v29, -v27
	v_fmac_f32_e32 v30, v42, v29
	v_fma_f32 v29, v43, v31, -v148
	s_waitcnt lgkmcnt(19)
	v_mul_f32_e32 v42, v54, v58
	v_dual_mul_f32 v43, v53, v58 :: v_dual_add_f32 v58, 0, v147
	v_mul_f32_e32 v150, v48, v36
	v_dual_fmac_f32 v32, v44, v31 :: v_dual_mul_f32 v31, v47, v36
	v_fmac_f32_e32 v34, v46, v33
	s_delay_alu instid0(VALU_DEP_4) | instskip(NEXT) | instid1(VALU_DEP_4)
	v_add_f32_e32 v25, v58, v25
	v_fma_f32 v33, v47, v35, -v150
	v_mul_f32_e32 v41, v52, v40
	v_fmac_f32_e32 v31, v48, v35
	v_mul_f32_e32 v35, v55, v60
	v_dual_add_f32 v25, v25, v27 :: v_dual_mul_f32 v36, v50, v38
	v_mul_f32_e32 v38, v49, v38
	s_waitcnt lgkmcnt(13)
	v_mul_f32_e32 v27, v81, v78
	v_fmac_f32_e32 v35, v56, v59
	v_dual_add_f32 v25, v25, v29 :: v_dual_mul_f32 v44, v56, v60
	v_fma_f32 v36, v49, v37, -v36
	s_waitcnt lgkmcnt(11)
	v_dual_mul_f32 v40, v51, v40 :: v_dual_mul_f32 v29, v86, v90
	s_delay_alu instid0(VALU_DEP_3) | instskip(SKIP_1) | instid1(VALU_DEP_2)
	v_dual_add_f32 v25, v25, v45 :: v_dual_add_f32 v26, 0, v26
	s_waitcnt lgkmcnt(9)
	v_dual_mul_f32 v45, v97, v94 :: v_dual_fmac_f32 v40, v52, v39
	v_dual_mul_f32 v60, v67, v64 :: v_dual_fmac_f32 v43, v54, v57
	s_delay_alu instid0(VALU_DEP_3) | instskip(SKIP_3) | instid1(VALU_DEP_4)
	v_dual_add_f32 v25, v25, v33 :: v_dual_add_f32 v26, v26, v28
	v_mul_f32_e32 v28, v70, v74
	v_fma_f32 v29, v85, v89, -v29
	v_dual_mul_f32 v46, v66, v62 :: v_dual_mul_f32 v49, v100, v96
	v_add_f32_e32 v25, v25, v36
	s_delay_alu instid0(VALU_DEP_4)
	v_fma_f32 v28, v69, v73, -v28
	v_fmac_f32_e32 v38, v50, v37
	v_fma_f32 v37, v51, v39, -v41
	v_mul_f32_e32 v58, v72, v76
	v_mul_f32_e32 v41, v87, v92
	v_dual_mul_f32 v47, v65, v62 :: v_dual_mul_f32 v48, v68, v64
	s_delay_alu instid0(VALU_DEP_4) | instskip(NEXT) | instid1(VALU_DEP_2)
	v_dual_add_f32 v25, v25, v37 :: v_dual_add_f32 v26, v26, v30
	v_dual_mul_f32 v30, v71, v76 :: v_dual_fmac_f32 v47, v66, v61
	s_delay_alu instid0(VALU_DEP_4)
	v_dual_fmac_f32 v41, v88, v91 :: v_dual_mul_f32 v62, v69, v74
	s_waitcnt lgkmcnt(7)
	v_mul_f32_e32 v37, v104, v108
	v_add_f32_e32 v26, v26, v32
	v_fmac_f32_e32 v60, v68, v63
	v_mul_f32_e32 v64, v82, v78
	v_fmac_f32_e32 v30, v72, v75
	v_fma_f32 v37, v103, v107, -v37
	v_add_f32_e32 v26, v26, v34
	v_dual_mul_f32 v74, v83, v80 :: v_dual_fmac_f32 v27, v82, v77
	ds_load_b128 v[137:140], v8 offset:224
	ds_load_b128 v[141:144], v8 offset:240
	v_mul_f32_e32 v34, v85, v90
	v_add_f32_e32 v26, v26, v31
	v_dual_mul_f32 v31, v98, v94 :: v_dual_fmac_f32 v74, v84, v79
	v_mul_f32_e32 v39, v88, v92
	s_delay_alu instid0(VALU_DEP_3) | instskip(NEXT) | instid1(VALU_DEP_3)
	v_dual_mul_f32 v33, v99, v96 :: v_dual_add_f32 v26, v26, v38
	v_fma_f32 v31, v97, v93, -v31
	v_fmac_f32_e32 v62, v70, v73
	v_dual_mul_f32 v36, v101, v106 :: v_dual_fmac_f32 v45, v98, v93
	s_delay_alu instid0(VALU_DEP_4) | instskip(SKIP_4) | instid1(VALU_DEP_4)
	v_add_f32_e32 v26, v26, v40
	v_fma_f32 v40, v53, v57, -v42
	v_fma_f32 v42, v55, v59, -v44
	;; [unrolled: 1-line block ×3, first 2 shown]
	v_fmac_f32_e32 v33, v100, v95
	v_dual_add_f32 v26, v26, v43 :: v_dual_add_f32 v25, v25, v40
	v_fma_f32 v40, v65, v61, -v46
	v_fma_f32 v43, v67, v63, -v48
	v_fmac_f32_e32 v36, v102, v105
	s_delay_alu instid0(VALU_DEP_4)
	v_dual_add_f32 v26, v26, v35 :: v_dual_add_f32 v25, v25, v42
	s_waitcnt lgkmcnt(7)
	v_dual_mul_f32 v35, v103, v108 :: v_dual_mul_f32 v42, v114, v110
	ds_load_2addr_b64 v[2:5], v22 offset0:192 offset1:224
	v_dual_add_f32 v26, v26, v47 :: v_dual_add_f32 v25, v25, v40
	v_mul_f32_e32 v32, v84, v80
	v_dual_fmac_f32 v35, v104, v107 :: v_dual_mul_f32 v40, v113, v110
	s_delay_alu instid0(VALU_DEP_3) | instskip(NEXT) | instid1(VALU_DEP_3)
	v_dual_add_f32 v26, v26, v60 :: v_dual_add_f32 v25, v25, v43
	v_fma_f32 v32, v83, v79, -v32
	v_dual_mul_f32 v43, v116, v112 :: v_dual_fmac_f32 v34, v86, v89
	s_delay_alu instid0(VALU_DEP_3) | instskip(SKIP_1) | instid1(VALU_DEP_2)
	v_dual_add_f32 v26, v26, v62 :: v_dual_add_f32 v25, v25, v28
	v_mul_f32_e32 v28, v115, v112
	v_add_f32_e32 v26, v26, v30
	v_fma_f32 v30, v81, v77, -v64
	s_delay_alu instid0(VALU_DEP_2) | instskip(SKIP_2) | instid1(VALU_DEP_2)
	v_dual_add_f32 v25, v25, v44 :: v_dual_add_f32 v26, v26, v27
	s_waitcnt lgkmcnt(6)
	v_mul_f32_e32 v27, v118, v122
	v_add_f32_e32 v25, v25, v30
	v_mul_f32_e32 v38, v102, v106
	s_delay_alu instid0(VALU_DEP_3) | instskip(NEXT) | instid1(VALU_DEP_3)
	v_fma_f32 v27, v117, v121, -v27
	v_add_f32_e32 v25, v25, v32
	s_delay_alu instid0(VALU_DEP_1) | instskip(SKIP_1) | instid1(VALU_DEP_1)
	v_dual_mul_f32 v32, v120, v124 :: v_dual_add_f32 v25, v25, v29
	v_dual_mul_f32 v29, v119, v124 :: v_dual_add_f32 v26, v26, v74
	v_dual_fmac_f32 v29, v120, v123 :: v_dual_add_f32 v26, v26, v34
	v_fma_f32 v34, v87, v91, -v39
	v_fma_f32 v39, v99, v95, -v49
	s_delay_alu instid0(VALU_DEP_2) | instskip(NEXT) | instid1(VALU_DEP_1)
	v_dual_add_f32 v26, v26, v41 :: v_dual_add_f32 v25, v25, v34
	v_dual_add_f32 v26, v26, v45 :: v_dual_add_f32 v25, v25, v31
	s_waitcnt lgkmcnt(4)
	v_mul_f32_e32 v31, v129, v126
	v_mul_f32_e32 v30, v117, v122
	s_delay_alu instid0(VALU_DEP_3)
	v_add_f32_e32 v26, v26, v33
	v_fma_f32 v33, v101, v105, -v38
	v_add_f32_e32 v25, v25, v39
	v_fmac_f32_e32 v31, v130, v125
	v_fmac_f32_e32 v30, v118, v121
	v_add_f32_e32 v26, v26, v36
	v_fma_f32 v38, v115, v111, -v43
	v_add_f32_e32 v25, v25, v33
	v_dual_mul_f32 v33, v131, v128 :: v_dual_fmac_f32 v40, v114, v109
	s_delay_alu instid0(VALU_DEP_4) | instskip(SKIP_1) | instid1(VALU_DEP_4)
	v_add_f32_e32 v26, v26, v35
	v_fma_f32 v35, v113, v109, -v42
	v_add_f32_e32 v25, v25, v37
	s_waitcnt lgkmcnt(2)
	v_dual_mul_f32 v37, v134, v138 :: v_dual_fmac_f32 v28, v116, v111
	v_add_f32_e32 v26, v26, v40
	s_delay_alu instid0(VALU_DEP_3) | instskip(NEXT) | instid1(VALU_DEP_2)
	v_dual_mul_f32 v36, v132, v128 :: v_dual_add_f32 v25, v25, v35
	v_dual_fmac_f32 v33, v132, v127 :: v_dual_add_f32 v26, v26, v28
	s_delay_alu instid0(VALU_DEP_2) | instskip(NEXT) | instid1(VALU_DEP_2)
	v_add_f32_e32 v25, v25, v38
	v_add_f32_e32 v26, v26, v30
	s_delay_alu instid0(VALU_DEP_2) | instskip(NEXT) | instid1(VALU_DEP_2)
	v_dual_mul_f32 v30, v136, v140 :: v_dual_add_f32 v25, v25, v27
	v_dual_mul_f32 v27, v135, v140 :: v_dual_add_f32 v26, v26, v29
	s_delay_alu instid0(VALU_DEP_2) | instskip(NEXT) | instid1(VALU_DEP_2)
	v_fma_f32 v30, v135, v139, -v30
	v_dual_fmac_f32 v27, v136, v139 :: v_dual_mul_f32 v28, v133, v138
	s_waitcnt lgkmcnt(0)
	s_delay_alu instid0(VALU_DEP_3) | instskip(SKIP_1) | instid1(VALU_DEP_3)
	v_dual_add_f32 v26, v26, v31 :: v_dual_mul_f32 v31, v3, v142
	v_fma_f32 v32, v119, v123, -v32
	v_fmac_f32_e32 v28, v134, v137
	s_delay_alu instid0(VALU_DEP_3) | instskip(SKIP_1) | instid1(VALU_DEP_4)
	v_add_f32_e32 v26, v26, v33
	v_fma_f32 v33, v133, v137, -v37
	v_dual_add_f32 v25, v25, v32 :: v_dual_mul_f32 v34, v130, v126
	s_delay_alu instid0(VALU_DEP_3) | instskip(SKIP_1) | instid1(VALU_DEP_3)
	v_add_f32_e32 v26, v26, v28
	v_mul_f32_e32 v28, v4, v144
	v_fma_f32 v29, v129, v125, -v34
	s_delay_alu instid0(VALU_DEP_2) | instskip(NEXT) | instid1(VALU_DEP_2)
	v_fmac_f32_e32 v28, v5, v143
	v_add_f32_e32 v25, v25, v29
	v_mul_f32_e32 v29, v2, v142
	v_fma_f32 v32, v131, v127, -v36
	v_fma_f32 v2, v2, v141, -v31
	s_delay_alu instid0(VALU_DEP_3) | instskip(NEXT) | instid1(VALU_DEP_3)
	v_fmac_f32_e32 v29, v3, v141
	v_add_f32_e32 v25, v25, v32
	s_delay_alu instid0(VALU_DEP_1) | instskip(SKIP_1) | instid1(VALU_DEP_2)
	v_add_f32_e32 v3, v25, v33
	v_dual_add_f32 v25, v26, v27 :: v_dual_mul_f32 v26, v5, v144
	v_add_f32_e32 v3, v3, v30
	s_delay_alu instid0(VALU_DEP_2) | instskip(NEXT) | instid1(VALU_DEP_3)
	v_add_f32_e32 v5, v25, v29
	v_fma_f32 v4, v4, v143, -v26
	s_delay_alu instid0(VALU_DEP_2) | instskip(NEXT) | instid1(VALU_DEP_1)
	v_dual_add_f32 v2, v3, v2 :: v_dual_add_f32 v3, v5, v28
	v_add_f32_e32 v2, v2, v4
	s_delay_alu instid0(VALU_DEP_2) | instskip(SKIP_1) | instid1(VALU_DEP_2)
	v_mul_f32_e32 v4, s17, v3
	v_mul_f32_e32 v3, s16, v3
	v_fma_f32 v4, s16, v2, -v4
	s_waitcnt vmcnt(0)
	s_delay_alu instid0(VALU_DEP_1) | instskip(NEXT) | instid1(VALU_DEP_1)
	v_dual_fmac_f32 v3, s17, v2 :: v_dual_add_f32 v2, v145, v4
	v_add_f32_e32 v3, v146, v3
	global_store_b64 v[0:1], v[2:3], off
.LBB1922_11:                            ;   in Loop: Header=BB1922_5 Depth=1
	s_or_b32 exec_lo, exec_lo, s1
	v_dual_mov_b32 v3, 0 :: v_dual_mov_b32 v4, 0
	v_mov_b32_e32 v5, 0
	s_waitcnt_vscnt null, 0x0
	s_barrier
	buffer_gl0_inv
	s_and_saveexec_b32 s9, s5
	s_cbranch_execz .LBB1922_13
; %bb.12:                               ;   in Loop: Header=BB1922_5 Depth=1
	v_mad_i64_i32 v[4:5], null, v23, s7, 0
	s_delay_alu instid0(VALU_DEP_1) | instskip(NEXT) | instid1(VALU_DEP_1)
	v_lshlrev_b64 v[4:5], 3, v[4:5]
	v_add_co_u32 v4, s1, v16, v4
	s_delay_alu instid0(VALU_DEP_1)
	v_add_co_ci_u32_e64 v5, s1, v17, v5, s1
	global_load_b64 v[4:5], v[4:5], off
.LBB1922_13:                            ;   in Loop: Header=BB1922_5 Depth=1
	s_or_b32 exec_lo, exec_lo, s9
	v_mov_b32_e32 v2, 0
	s_waitcnt vmcnt(0)
	ds_store_b64 v9, v[4:5]
	s_and_saveexec_b32 s5, s8
	s_cbranch_execz .LBB1922_15
; %bb.14:                               ;   in Loop: Header=BB1922_5 Depth=1
	v_mad_i64_i32 v[2:3], null, v24, s4, 0
	s_delay_alu instid0(VALU_DEP_1) | instskip(NEXT) | instid1(VALU_DEP_1)
	v_lshlrev_b64 v[2:3], 3, v[2:3]
	v_add_co_u32 v2, s1, v18, v2
	s_delay_alu instid0(VALU_DEP_1)
	v_add_co_ci_u32_e64 v3, s1, v19, v3, s1
	global_load_b64 v[2:3], v[2:3], off
.LBB1922_15:                            ;   in Loop: Header=BB1922_5 Depth=1
	s_or_b32 exec_lo, exec_lo, s5
	s_waitcnt vmcnt(0)
	ds_store_b64 v15, v[2:3]
	s_waitcnt lgkmcnt(0)
	s_barrier
	buffer_gl0_inv
	s_and_saveexec_b32 s1, s2
	s_cbranch_execz .LBB1922_4
; %bb.16:                               ;   in Loop: Header=BB1922_5 Depth=1
	global_load_b64 v[147:148], v[0:1], off
	ds_load_b128 v[2:5], v8
	ds_load_b128 v[23:26], v8 offset:16
	ds_load_2addr_b64 v[27:30], v10 offset1:32
	ds_load_b128 v[31:34], v8 offset:32
	ds_load_b128 v[35:38], v8 offset:48
	ds_load_2addr_b64 v[39:42], v10 offset0:64 offset1:96
	ds_load_2addr_b64 v[43:46], v10 offset0:128 offset1:160
	;; [unrolled: 1-line block ×3, first 2 shown]
	ds_load_2addr_b64 v[51:54], v20 offset1:32
	ds_load_b128 v[55:58], v8 offset:64
	ds_load_b128 v[59:62], v8 offset:80
	ds_load_2addr_b64 v[63:66], v20 offset0:64 offset1:96
	ds_load_2addr_b64 v[67:70], v20 offset0:128 offset1:160
	ds_load_b128 v[71:74], v8 offset:96
	ds_load_b128 v[75:78], v8 offset:112
	ds_load_2addr_b64 v[79:82], v20 offset0:192 offset1:224
	ds_load_2addr_b64 v[83:86], v21 offset1:32
	ds_load_b128 v[87:90], v8 offset:128
	ds_load_b128 v[91:94], v8 offset:144
	ds_load_2addr_b64 v[95:98], v21 offset0:64 offset1:96
	ds_load_2addr_b64 v[99:102], v21 offset0:128 offset1:160
	ds_load_b128 v[103:106], v8 offset:160
	ds_load_b128 v[107:110], v8 offset:176
	ds_load_2addr_b64 v[111:114], v21 offset0:192 offset1:224
	;; [unrolled: 8-line block ×3, first 2 shown]
	s_waitcnt lgkmcnt(29)
	v_dual_mul_f32 v149, v28, v3 :: v_dual_mul_f32 v150, v30, v5
	s_waitcnt lgkmcnt(26)
	v_dual_mul_f32 v3, v27, v3 :: v_dual_mul_f32 v152, v42, v26
	v_mul_f32_e32 v5, v29, v5
	s_waitcnt lgkmcnt(25)
	v_dual_mul_f32 v153, v44, v32 :: v_dual_mul_f32 v154, v46, v34
	s_delay_alu instid0(VALU_DEP_3)
	v_dual_mul_f32 v32, v43, v32 :: v_dual_fmac_f32 v3, v28, v2
	v_fma_f32 v27, v27, v2, -v149
	v_dual_mul_f32 v151, v40, v24 :: v_dual_mul_f32 v26, v41, v26
	v_mul_f32_e32 v24, v39, v24
	s_waitcnt lgkmcnt(24)
	v_dual_mul_f32 v34, v45, v34 :: v_dual_mul_f32 v155, v48, v36
	v_dual_mul_f32 v36, v47, v36 :: v_dual_add_f32 v3, 0, v3
	s_waitcnt lgkmcnt(22)
	v_dual_mul_f32 v156, v50, v38 :: v_dual_mul_f32 v157, v52, v56
	v_dual_mul_f32 v56, v51, v56 :: v_dual_add_f32 v27, 0, v27
	s_waitcnt lgkmcnt(18)
	v_dual_mul_f32 v158, v54, v58 :: v_dual_mul_f32 v161, v68, v72
	v_dual_mul_f32 v58, v53, v58 :: v_dual_fmac_f32 v5, v30, v4
	v_fma_f32 v2, v29, v4, -v150
	v_dual_mul_f32 v38, v49, v38 :: v_dual_mul_f32 v159, v64, v60
	v_mul_f32_e32 v60, v63, v60
	s_waitcnt lgkmcnt(16)
	v_dual_mul_f32 v160, v66, v62 :: v_dual_mul_f32 v29, v79, v76
	v_dual_mul_f32 v62, v65, v62 :: v_dual_add_f32 v3, v3, v5
	s_waitcnt lgkmcnt(14)
	v_mul_f32_e32 v5, v85, v90
	v_fma_f32 v39, v39, v23, -v151
	v_dual_add_f32 v2, v27, v2 :: v_dual_fmac_f32 v29, v80, v75
	v_fma_f32 v27, v41, v25, -v152
	s_delay_alu instid0(VALU_DEP_4) | instskip(NEXT) | instid1(VALU_DEP_3)
	v_dual_fmac_f32 v56, v52, v55 :: v_dual_fmac_f32 v5, v86, v89
	v_add_f32_e32 v2, v2, v39
	v_fmac_f32_e32 v38, v50, v37
	v_fmac_f32_e32 v26, v42, v25
	v_fma_f32 v25, v43, v31, -v153
	v_fmac_f32_e32 v60, v64, v59
	v_add_f32_e32 v2, v2, v27
	v_fma_f32 v27, v45, v33, -v154
	v_fmac_f32_e32 v24, v40, v23
	v_fmac_f32_e32 v58, v54, v57
	;; [unrolled: 1-line block ×3, first 2 shown]
	v_add_f32_e32 v2, v2, v25
	v_fma_f32 v31, v47, v35, -v155
	s_waitcnt lgkmcnt(12)
	v_dual_mul_f32 v162, v70, v74 :: v_dual_mul_f32 v23, v96, v92
	v_dual_mul_f32 v72, v67, v72 :: v_dual_mul_f32 v25, v97, v94
	s_waitcnt lgkmcnt(10)
	v_dual_add_f32 v2, v2, v27 :: v_dual_mul_f32 v27, v100, v104
	s_delay_alu instid0(VALU_DEP_3) | instskip(NEXT) | instid1(VALU_DEP_3)
	v_fma_f32 v23, v95, v91, -v23
	v_dual_fmac_f32 v72, v68, v71 :: v_dual_fmac_f32 v25, v98, v93
	s_delay_alu instid0(VALU_DEP_3) | instskip(SKIP_2) | instid1(VALU_DEP_3)
	v_dual_add_f32 v2, v2, v31 :: v_dual_mul_f32 v31, v99, v104
	v_dual_mul_f32 v4, v69, v74 :: v_dual_add_f32 v3, v3, v24
	v_mul_f32_e32 v28, v80, v76
	v_dual_fmac_f32 v62, v66, v61 :: v_dual_fmac_f32 v31, v100, v103
	s_delay_alu instid0(VALU_DEP_3) | instskip(SKIP_3) | instid1(VALU_DEP_4)
	v_dual_fmac_f32 v34, v46, v33 :: v_dual_add_f32 v3, v3, v26
	v_mul_f32_e32 v30, v82, v78
	v_fmac_f32_e32 v4, v70, v73
	v_fmac_f32_e32 v36, v48, v35
	v_dual_mul_f32 v74, v81, v78 :: v_dual_add_f32 v3, v3, v32
	v_mul_f32_e32 v76, v84, v88
	v_mul_f32_e32 v78, v83, v88
	v_fma_f32 v32, v49, v37, -v156
	v_fma_f32 v33, v51, v55, -v157
	v_add_f32_e32 v3, v3, v34
	v_mul_f32_e32 v88, v86, v90
	v_fma_f32 v34, v53, v57, -v158
	v_add_f32_e32 v2, v2, v32
	v_fma_f32 v35, v63, v59, -v159
	v_add_f32_e32 v3, v3, v36
	v_fma_f32 v36, v65, v61, -v160
	v_fma_f32 v37, v67, v71, -v161
	v_dual_add_f32 v2, v2, v33 :: v_dual_mul_f32 v33, v101, v106
	s_delay_alu instid0(VALU_DEP_4) | instskip(SKIP_1) | instid1(VALU_DEP_3)
	v_dual_add_f32 v3, v3, v38 :: v_dual_fmac_f32 v74, v82, v77
	v_mul_f32_e32 v24, v95, v92
	v_add_f32_e32 v2, v2, v34
	s_delay_alu instid0(VALU_DEP_3)
	v_dual_mul_f32 v26, v98, v94 :: v_dual_add_f32 v3, v3, v56
	v_fmac_f32_e32 v33, v102, v105
	v_fma_f32 v38, v69, v73, -v162
	s_waitcnt lgkmcnt(8)
	v_dual_add_f32 v2, v2, v35 :: v_dual_mul_f32 v35, v111, v108
	v_add_f32_e32 v3, v3, v58
	v_fma_f32 v28, v79, v75, -v28
	v_fma_f32 v30, v81, v77, -v30
	s_delay_alu instid0(VALU_DEP_4) | instskip(SKIP_3) | instid1(VALU_DEP_4)
	v_add_f32_e32 v2, v2, v36
	v_dual_mul_f32 v36, v114, v110 :: v_dual_fmac_f32 v35, v112, v107
	v_add_f32_e32 v3, v3, v60
	v_fma_f32 v26, v97, v93, -v26
	v_dual_add_f32 v2, v2, v37 :: v_dual_mul_f32 v37, v113, v110
	s_delay_alu instid0(VALU_DEP_3) | instskip(NEXT) | instid1(VALU_DEP_2)
	v_dual_fmac_f32 v78, v84, v87 :: v_dual_add_f32 v3, v3, v62
	v_dual_fmac_f32 v24, v96, v91 :: v_dual_fmac_f32 v37, v114, v109
	s_delay_alu instid0(VALU_DEP_2) | instskip(NEXT) | instid1(VALU_DEP_1)
	v_add_f32_e32 v3, v3, v72
	v_add_f32_e32 v3, v3, v4
	s_waitcnt lgkmcnt(6)
	s_delay_alu instid0(VALU_DEP_1) | instskip(SKIP_1) | instid1(VALU_DEP_2)
	v_dual_mul_f32 v4, v116, v120 :: v_dual_add_f32 v3, v3, v29
	v_fma_f32 v29, v83, v87, -v76
	v_fma_f32 v4, v115, v119, -v4
	s_delay_alu instid0(VALU_DEP_3) | instskip(NEXT) | instid1(VALU_DEP_1)
	v_add_f32_e32 v3, v3, v74
	v_add_f32_e32 v3, v3, v78
	s_delay_alu instid0(VALU_DEP_1) | instskip(SKIP_2) | instid1(VALU_DEP_2)
	v_dual_mul_f32 v32, v102, v106 :: v_dual_add_f32 v3, v3, v5
	s_waitcnt lgkmcnt(4)
	v_mul_f32_e32 v5, v128, v124
	v_add_f32_e32 v3, v3, v24
	v_mul_f32_e32 v34, v112, v108
	v_fma_f32 v24, v99, v103, -v27
	s_delay_alu instid0(VALU_DEP_4) | instskip(NEXT) | instid1(VALU_DEP_4)
	v_fma_f32 v5, v127, v123, -v5
	v_add_f32_e32 v3, v3, v25
	s_delay_alu instid0(VALU_DEP_4) | instskip(SKIP_1) | instid1(VALU_DEP_3)
	v_fma_f32 v27, v111, v107, -v34
	v_mul_f32_e32 v25, v130, v126
	v_add_f32_e32 v3, v3, v31
	v_fma_f32 v31, v113, v109, -v36
	s_delay_alu instid0(VALU_DEP_3) | instskip(NEXT) | instid1(VALU_DEP_3)
	v_fma_f32 v25, v129, v125, -v25
	v_add_f32_e32 v3, v3, v33
	s_delay_alu instid0(VALU_DEP_1) | instskip(SKIP_1) | instid1(VALU_DEP_2)
	v_dual_add_f32 v3, v3, v35 :: v_dual_add_f32 v2, v2, v38
	v_fma_f32 v38, v85, v89, -v88
	v_dual_add_f32 v3, v3, v37 :: v_dual_add_f32 v2, v2, v28
	v_mul_f32_e32 v28, v115, v120
	s_delay_alu instid0(VALU_DEP_2) | instskip(NEXT) | instid1(VALU_DEP_1)
	v_add_f32_e32 v2, v2, v30
	v_dual_add_f32 v2, v2, v29 :: v_dual_mul_f32 v29, v117, v122
	s_delay_alu instid0(VALU_DEP_1) | instskip(NEXT) | instid1(VALU_DEP_2)
	v_add_f32_e32 v2, v2, v38
	v_fmac_f32_e32 v29, v118, v121
	s_delay_alu instid0(VALU_DEP_2) | instskip(NEXT) | instid1(VALU_DEP_1)
	v_dual_add_f32 v2, v2, v23 :: v_dual_mul_f32 v23, v127, v124
	v_add_f32_e32 v2, v2, v26
	v_fma_f32 v26, v101, v105, -v32
	s_delay_alu instid0(VALU_DEP_2) | instskip(NEXT) | instid1(VALU_DEP_1)
	v_dual_fmac_f32 v23, v128, v123 :: v_dual_add_f32 v2, v2, v24
	v_add_f32_e32 v2, v2, v26
	s_waitcnt lgkmcnt(2)
	v_mul_f32_e32 v26, v132, v136
	s_delay_alu instid0(VALU_DEP_2) | instskip(NEXT) | instid1(VALU_DEP_1)
	v_dual_add_f32 v2, v2, v27 :: v_dual_mul_f32 v27, v131, v136
	v_add_f32_e32 v2, v2, v31
	v_dual_mul_f32 v31, v134, v138 :: v_dual_fmac_f32 v28, v116, v119
	s_delay_alu instid0(VALU_DEP_2) | instskip(NEXT) | instid1(VALU_DEP_2)
	v_dual_fmac_f32 v27, v132, v135 :: v_dual_add_f32 v2, v2, v4
	v_dual_mul_f32 v4, v133, v138 :: v_dual_add_f32 v3, v3, v28
	s_waitcnt lgkmcnt(0)
	v_mul_f32_e32 v28, v144, v140
	s_delay_alu instid0(VALU_DEP_2) | instskip(NEXT) | instid1(VALU_DEP_3)
	v_fmac_f32_e32 v4, v134, v137
	v_dual_add_f32 v3, v3, v29 :: v_dual_mul_f32 v30, v118, v122
	s_delay_alu instid0(VALU_DEP_1) | instskip(NEXT) | instid1(VALU_DEP_2)
	v_add_f32_e32 v3, v3, v23
	v_fma_f32 v30, v117, v121, -v30
	v_fma_f32 v23, v131, v135, -v26
	;; [unrolled: 1-line block ×3, first 2 shown]
	s_delay_alu instid0(VALU_DEP_3) | instskip(NEXT) | instid1(VALU_DEP_1)
	v_add_f32_e32 v2, v2, v30
	v_dual_add_f32 v2, v2, v5 :: v_dual_mul_f32 v5, v143, v140
	v_mul_f32_e32 v24, v129, v126
	s_delay_alu instid0(VALU_DEP_2) | instskip(NEXT) | instid1(VALU_DEP_2)
	v_dual_add_f32 v2, v2, v25 :: v_dual_fmac_f32 v5, v144, v139
	v_fmac_f32_e32 v24, v130, v125
	v_fma_f32 v25, v133, v137, -v31
	s_delay_alu instid0(VALU_DEP_3) | instskip(NEXT) | instid1(VALU_DEP_3)
	v_dual_add_f32 v2, v2, v23 :: v_dual_mul_f32 v23, v145, v142
	v_dual_add_f32 v3, v3, v24 :: v_dual_mul_f32 v24, v146, v142
	s_delay_alu instid0(VALU_DEP_2) | instskip(NEXT) | instid1(VALU_DEP_3)
	v_add_f32_e32 v2, v2, v25
	v_fmac_f32_e32 v23, v146, v141
	s_delay_alu instid0(VALU_DEP_2) | instskip(NEXT) | instid1(VALU_DEP_1)
	v_dual_add_f32 v3, v3, v27 :: v_dual_add_f32 v2, v2, v26
	v_add_f32_e32 v3, v3, v4
	v_fma_f32 v4, v145, v141, -v24
	s_delay_alu instid0(VALU_DEP_1) | instskip(NEXT) | instid1(VALU_DEP_1)
	v_dual_add_f32 v3, v3, v5 :: v_dual_add_f32 v2, v2, v4
	v_add_f32_e32 v3, v3, v23
	s_delay_alu instid0(VALU_DEP_1) | instskip(NEXT) | instid1(VALU_DEP_1)
	v_dual_mul_f32 v5, s17, v2 :: v_dual_mul_f32 v4, s17, v3
	v_fmac_f32_e32 v5, s16, v3
	s_delay_alu instid0(VALU_DEP_2) | instskip(SKIP_1) | instid1(VALU_DEP_1)
	v_fma_f32 v2, s16, v2, -v4
	s_waitcnt vmcnt(0)
	v_dual_add_f32 v2, v147, v2 :: v_dual_add_f32 v3, v148, v5
	global_store_b64 v[0:1], v[2:3], off
	s_branch .LBB1922_4
.LBB1922_17:
	s_endpgm
	.section	.rodata,"a",@progbits
	.p2align	6, 0x0
	.amdhsa_kernel _ZL26rocblas_syr2k_her2k_kernelIiLb1ELb0ELb0ELi32EPK19rocblas_complex_numIfEPKS3_PKPS1_EvbiT_T4_T5_S9_lSB_S9_lT6_S9_li
		.amdhsa_group_segment_fixed_size 16384
		.amdhsa_private_segment_fixed_size 0
		.amdhsa_kernarg_size 100
		.amdhsa_user_sgpr_count 13
		.amdhsa_user_sgpr_dispatch_ptr 0
		.amdhsa_user_sgpr_queue_ptr 0
		.amdhsa_user_sgpr_kernarg_segment_ptr 1
		.amdhsa_user_sgpr_dispatch_id 0
		.amdhsa_user_sgpr_private_segment_size 0
		.amdhsa_wavefront_size32 1
		.amdhsa_uses_dynamic_stack 0
		.amdhsa_enable_private_segment 0
		.amdhsa_system_sgpr_workgroup_id_x 1
		.amdhsa_system_sgpr_workgroup_id_y 1
		.amdhsa_system_sgpr_workgroup_id_z 1
		.amdhsa_system_sgpr_workgroup_info 0
		.amdhsa_system_vgpr_workitem_id 1
		.amdhsa_next_free_vgpr 163
		.amdhsa_next_free_sgpr 27
		.amdhsa_reserve_vcc 1
		.amdhsa_float_round_mode_32 0
		.amdhsa_float_round_mode_16_64 0
		.amdhsa_float_denorm_mode_32 3
		.amdhsa_float_denorm_mode_16_64 3
		.amdhsa_dx10_clamp 1
		.amdhsa_ieee_mode 1
		.amdhsa_fp16_overflow 0
		.amdhsa_workgroup_processor_mode 1
		.amdhsa_memory_ordered 1
		.amdhsa_forward_progress 0
		.amdhsa_shared_vgpr_count 0
		.amdhsa_exception_fp_ieee_invalid_op 0
		.amdhsa_exception_fp_denorm_src 0
		.amdhsa_exception_fp_ieee_div_zero 0
		.amdhsa_exception_fp_ieee_overflow 0
		.amdhsa_exception_fp_ieee_underflow 0
		.amdhsa_exception_fp_ieee_inexact 0
		.amdhsa_exception_int_div_zero 0
	.end_amdhsa_kernel
	.section	.text._ZL26rocblas_syr2k_her2k_kernelIiLb1ELb0ELb0ELi32EPK19rocblas_complex_numIfEPKS3_PKPS1_EvbiT_T4_T5_S9_lSB_S9_lT6_S9_li,"axG",@progbits,_ZL26rocblas_syr2k_her2k_kernelIiLb1ELb0ELb0ELi32EPK19rocblas_complex_numIfEPKS3_PKPS1_EvbiT_T4_T5_S9_lSB_S9_lT6_S9_li,comdat
.Lfunc_end1922:
	.size	_ZL26rocblas_syr2k_her2k_kernelIiLb1ELb0ELb0ELi32EPK19rocblas_complex_numIfEPKS3_PKPS1_EvbiT_T4_T5_S9_lSB_S9_lT6_S9_li, .Lfunc_end1922-_ZL26rocblas_syr2k_her2k_kernelIiLb1ELb0ELb0ELi32EPK19rocblas_complex_numIfEPKS3_PKPS1_EvbiT_T4_T5_S9_lSB_S9_lT6_S9_li
                                        ; -- End function
	.section	.AMDGPU.csdata,"",@progbits
; Kernel info:
; codeLenInByte = 3784
; NumSgprs: 29
; NumVgprs: 163
; ScratchSize: 0
; MemoryBound: 0
; FloatMode: 240
; IeeeMode: 1
; LDSByteSize: 16384 bytes/workgroup (compile time only)
; SGPRBlocks: 3
; VGPRBlocks: 20
; NumSGPRsForWavesPerEU: 29
; NumVGPRsForWavesPerEU: 163
; Occupancy: 9
; WaveLimiterHint : 1
; COMPUTE_PGM_RSRC2:SCRATCH_EN: 0
; COMPUTE_PGM_RSRC2:USER_SGPR: 13
; COMPUTE_PGM_RSRC2:TRAP_HANDLER: 0
; COMPUTE_PGM_RSRC2:TGID_X_EN: 1
; COMPUTE_PGM_RSRC2:TGID_Y_EN: 1
; COMPUTE_PGM_RSRC2:TGID_Z_EN: 1
; COMPUTE_PGM_RSRC2:TIDIG_COMP_CNT: 1
	.section	.text._ZL26rocblas_syr2k_her2k_kernelIiLb1ELb0ELb1ELi32EPK19rocblas_complex_numIfEPKS3_PKPS1_EvbiT_T4_T5_S9_lSB_S9_lT6_S9_li,"axG",@progbits,_ZL26rocblas_syr2k_her2k_kernelIiLb1ELb0ELb1ELi32EPK19rocblas_complex_numIfEPKS3_PKPS1_EvbiT_T4_T5_S9_lSB_S9_lT6_S9_li,comdat
	.globl	_ZL26rocblas_syr2k_her2k_kernelIiLb1ELb0ELb1ELi32EPK19rocblas_complex_numIfEPKS3_PKPS1_EvbiT_T4_T5_S9_lSB_S9_lT6_S9_li ; -- Begin function _ZL26rocblas_syr2k_her2k_kernelIiLb1ELb0ELb1ELi32EPK19rocblas_complex_numIfEPKS3_PKPS1_EvbiT_T4_T5_S9_lSB_S9_lT6_S9_li
	.p2align	8
	.type	_ZL26rocblas_syr2k_her2k_kernelIiLb1ELb0ELb1ELi32EPK19rocblas_complex_numIfEPKS3_PKPS1_EvbiT_T4_T5_S9_lSB_S9_lT6_S9_li,@function
_ZL26rocblas_syr2k_her2k_kernelIiLb1ELb0ELb1ELi32EPK19rocblas_complex_numIfEPKS3_PKPS1_EvbiT_T4_T5_S9_lSB_S9_lT6_S9_li: ; @_ZL26rocblas_syr2k_her2k_kernelIiLb1ELb0ELb1ELi32EPK19rocblas_complex_numIfEPKS3_PKPS1_EvbiT_T4_T5_S9_lSB_S9_lT6_S9_li
; %bb.0:
	s_load_b128 s[16:19], s[0:1], 0x10
	s_waitcnt lgkmcnt(0)
	s_load_b64 s[16:17], s[16:17], 0x0
	s_waitcnt lgkmcnt(0)
	v_cmp_eq_f32_e64 s3, s16, 0
	v_cmp_eq_f32_e64 s4, s17, 0
	s_delay_alu instid0(VALU_DEP_1) | instskip(NEXT) | instid1(SALU_CYCLE_1)
	s_and_b32 s3, s3, s4
	s_and_b32 vcc_lo, exec_lo, s3
	s_cbranch_vccnz .LBB1923_17
; %bb.1:
	s_load_b128 s[4:7], s[0:1], 0x0
	s_waitcnt lgkmcnt(0)
	s_lshl_b32 s7, s14, 5
	s_and_b32 s3, 1, s4
	s_lshl_b32 s4, s13, 5
	s_cmp_eq_u32 s3, 1
	s_cselect_b32 vcc_lo, -1, 0
	s_delay_alu instid0(SALU_CYCLE_1) | instskip(SKIP_2) | instid1(SALU_CYCLE_1)
	s_and_b32 s3, vcc_lo, exec_lo
	s_cselect_b32 s3, s4, s7
	s_cselect_b32 s8, s7, s4
	s_cmp_gt_i32 s3, s8
	s_cbranch_scc1 .LBB1923_17
; %bb.2:
	s_cmp_lt_i32 s6, 1
	s_cbranch_scc1 .LBB1923_17
; %bb.3:
	s_mov_b32 s2, s15
	s_clause 0x4
	s_load_b128 s[12:15], s[0:1], 0x28
	s_load_b32 s24, s[0:1], 0x20
	s_load_b32 s25, s[0:1], 0x38
	s_load_b128 s[8:11], s[0:1], 0x40
	s_load_b32 s26, s[0:1], 0x50
	s_mov_b32 s3, 0
	s_load_b64 s[22:23], s[0:1], 0x58
	s_lshl_b64 s[20:21], s[2:3], 3
	v_and_b32_e32 v9, 0x3ff, v0
	s_add_u32 s0, s18, s20
	s_addc_u32 s1, s19, s21
	v_bfe_u32 v10, v0, 10, 10
	s_load_b64 s[18:19], s[0:1], 0x0
	v_add_nc_u32_e32 v0, s4, v9
	v_lshlrev_b32_e32 v11, 8, v9
	s_delay_alu instid0(VALU_DEP_3) | instskip(SKIP_1) | instid1(VALU_DEP_4)
	v_add_nc_u32_e32 v8, s7, v10
	v_lshlrev_b32_e32 v6, 3, v10
	v_ashrrev_i32_e32 v1, 31, v0
	s_waitcnt lgkmcnt(0)
	s_add_u32 s0, s14, s20
	v_cndmask_b32_e32 v7, v0, v8, vcc_lo
	s_addc_u32 s1, s15, s21
	v_mad_i64_i32 v[2:3], null, s24, v0, 0
	s_load_b64 s[14:15], s[0:1], 0x0
	s_add_u32 s0, s10, s20
	s_addc_u32 s1, s11, s21
	v_mad_i64_i32 v[4:5], null, s25, v8, 0
	s_load_b64 s[10:11], s[0:1], 0x0
	s_delay_alu instid0(VALU_DEP_2) | instskip(SKIP_4) | instid1(VALU_DEP_2)
	v_lshlrev_b64 v[2:3], 3, v[2:3]
	s_lshl_b64 s[12:13], s[12:13], 3
	v_dual_cndmask_b32 v19, v8, v0 :: v_dual_add_nc_u32 v12, v11, v6
	s_add_u32 s7, s18, s12
	s_addc_u32 s12, s19, s13
	v_add_co_u32 v13, s1, s7, v2
	v_lshlrev_b64 v[4:5], 3, v[4:5]
	v_add_co_ci_u32_e64 v14, s1, s12, v3, s1
	v_mad_i64_i32 v[2:3], null, s26, v8, 0
	v_cmp_gt_i32_e32 vcc_lo, s5, v0
	v_cmp_gt_i32_e64 s0, s5, v8
	s_lshl_b64 s[4:5], s[8:9], 3
	v_or_b32_e32 v15, 0x2000, v6
	s_waitcnt lgkmcnt(0)
	s_add_u32 s8, s14, s4
	s_addc_u32 s9, s15, s5
	v_add_co_u32 v16, s1, s8, v4
	s_delay_alu instid0(VALU_DEP_1)
	v_add_co_ci_u32_e64 v17, s1, s9, v5, s1
	v_lshlrev_b64 v[2:3], 3, v[2:3]
	v_mad_i64_i32 v[4:5], null, s25, v0, 0
	s_lshl_b64 s[4:5], s[22:23], 3
	v_cmp_le_i32_e64 s1, v19, v7
	v_mad_i64_i32 v[6:7], null, s24, v8, 0
	s_add_u32 s2, s10, s4
	v_lshlrev_b64 v[0:1], 3, v[0:1]
	s_addc_u32 s4, s11, s5
	v_add_co_u32 v8, s2, s2, v2
	s_delay_alu instid0(VALU_DEP_1) | instskip(SKIP_1) | instid1(VALU_DEP_3)
	v_add_co_ci_u32_e64 v19, s2, s4, v3, s2
	v_lshlrev_b64 v[2:3], 3, v[4:5]
	v_add_co_u32 v0, s2, v8, v0
	v_lshlrev_b64 v[4:5], 3, v[6:7]
	s_delay_alu instid0(VALU_DEP_4) | instskip(NEXT) | instid1(VALU_DEP_4)
	v_add_co_ci_u32_e64 v1, s2, v19, v1, s2
	v_add_co_u32 v19, s2, s8, v2
	s_delay_alu instid0(VALU_DEP_1) | instskip(NEXT) | instid1(VALU_DEP_4)
	v_add_co_ci_u32_e64 v20, s2, s9, v3, s2
	v_add_co_u32 v21, s2, s7, v4
	v_add_nc_u32_e32 v18, v15, v11
	v_add_co_ci_u32_e64 v22, s2, s12, v5, s2
	v_add_nc_u32_e32 v23, 0x800, v15
	v_add_nc_u32_e32 v24, 0x1000, v15
	;; [unrolled: 1-line block ×3, first 2 shown]
	s_and_b32 s2, s0, vcc_lo
	s_delay_alu instid0(SALU_CYCLE_1)
	s_and_b32 s2, s2, s1
	s_branch .LBB1923_5
.LBB1923_4:                             ;   in Loop: Header=BB1923_5 Depth=1
	s_or_b32 exec_lo, exec_lo, s1
	s_add_i32 s3, s3, 32
	s_waitcnt_vscnt null, 0x0
	s_cmp_lt_i32 s3, s6
	s_barrier
	buffer_gl0_inv
	s_cbranch_scc0 .LBB1923_17
.LBB1923_5:                             ; =>This Inner Loop Header: Depth=1
	v_dual_mov_b32 v5, 0 :: v_dual_add_nc_u32 v2, s3, v10
	v_dual_mov_b32 v7, 0 :: v_dual_mov_b32 v8, 0
	s_delay_alu instid0(VALU_DEP_2) | instskip(NEXT) | instid1(VALU_DEP_1)
	v_cmp_gt_i32_e64 s1, s6, v2
	s_and_b32 s4, vcc_lo, s1
	s_delay_alu instid0(SALU_CYCLE_1)
	s_and_saveexec_b32 s5, s4
	s_cbranch_execz .LBB1923_7
; %bb.6:                                ;   in Loop: Header=BB1923_5 Depth=1
	v_ashrrev_i32_e32 v3, 31, v2
	s_delay_alu instid0(VALU_DEP_1) | instskip(NEXT) | instid1(VALU_DEP_1)
	v_lshlrev_b64 v[3:4], 3, v[2:3]
	v_add_co_u32 v3, s1, v13, v3
	s_delay_alu instid0(VALU_DEP_1)
	v_add_co_ci_u32_e64 v4, s1, v14, v4, s1
	global_load_b64 v[7:8], v[3:4], off
.LBB1923_7:                             ;   in Loop: Header=BB1923_5 Depth=1
	s_or_b32 exec_lo, exec_lo, s5
	v_add_nc_u32_e32 v4, s3, v9
	v_mov_b32_e32 v6, 0
	s_waitcnt vmcnt(0)
	ds_store_b64 v12, v[7:8]
	v_cmp_gt_i32_e64 s1, s6, v4
	s_delay_alu instid0(VALU_DEP_1) | instskip(NEXT) | instid1(SALU_CYCLE_1)
	s_and_b32 s5, s0, s1
	s_and_saveexec_b32 s7, s5
	s_cbranch_execz .LBB1923_9
; %bb.8:                                ;   in Loop: Header=BB1923_5 Depth=1
	v_ashrrev_i32_e32 v5, 31, v4
	s_delay_alu instid0(VALU_DEP_1) | instskip(NEXT) | instid1(VALU_DEP_1)
	v_lshlrev_b64 v[5:6], 3, v[4:5]
	v_add_co_u32 v5, s1, v16, v5
	s_delay_alu instid0(VALU_DEP_1)
	v_add_co_ci_u32_e64 v6, s1, v17, v6, s1
	global_load_b64 v[5:6], v[5:6], off
.LBB1923_9:                             ;   in Loop: Header=BB1923_5 Depth=1
	s_or_b32 exec_lo, exec_lo, s7
	s_waitcnt vmcnt(0)
	ds_store_b64 v18, v[5:6]
	s_waitcnt lgkmcnt(0)
	s_barrier
	buffer_gl0_inv
	s_and_saveexec_b32 s1, s2
	s_cbranch_execz .LBB1923_11
; %bb.10:                               ;   in Loop: Header=BB1923_5 Depth=1
	global_load_b64 v[146:147], v[0:1], off
	ds_load_2addr_b64 v[5:8], v15 offset1:32
	ds_load_b128 v[26:29], v11
	ds_load_b128 v[30:33], v11 offset:16
	ds_load_b128 v[34:37], v11 offset:32
	;; [unrolled: 1-line block ×3, first 2 shown]
	ds_load_2addr_b64 v[42:45], v15 offset0:64 offset1:96
	ds_load_2addr_b64 v[46:49], v15 offset0:128 offset1:160
	;; [unrolled: 1-line block ×3, first 2 shown]
	ds_load_2addr_b64 v[54:57], v23 offset1:32
	ds_load_b128 v[58:61], v11 offset:64
	ds_load_b128 v[62:65], v11 offset:80
	ds_load_2addr_b64 v[66:69], v23 offset0:64 offset1:96
	ds_load_2addr_b64 v[70:73], v23 offset0:128 offset1:160
	ds_load_b128 v[74:77], v11 offset:96
	ds_load_b128 v[78:81], v11 offset:112
	ds_load_2addr_b64 v[82:85], v23 offset0:192 offset1:224
	ds_load_2addr_b64 v[86:89], v24 offset1:32
	ds_load_b128 v[90:93], v11 offset:128
	ds_load_b128 v[94:97], v11 offset:144
	ds_load_2addr_b64 v[98:101], v24 offset0:64 offset1:96
	ds_load_2addr_b64 v[102:105], v24 offset0:128 offset1:160
	ds_load_b128 v[106:109], v11 offset:160
	ds_load_b128 v[110:113], v11 offset:176
	ds_load_2addr_b64 v[114:117], v24 offset0:192 offset1:224
	ds_load_2addr_b64 v[118:121], v25 offset1:32
	ds_load_b128 v[122:125], v11 offset:192
	ds_load_b128 v[126:129], v11 offset:208
	ds_load_2addr_b64 v[130:133], v25 offset0:64 offset1:96
	ds_load_2addr_b64 v[134:137], v25 offset0:128 offset1:160
	s_waitcnt lgkmcnt(27)
	v_dual_mul_f32 v3, v6, v27 :: v_dual_mul_f32 v148, v8, v29
	v_mul_f32_e32 v27, v5, v27
	v_mul_f32_e32 v29, v7, v29
	s_waitcnt lgkmcnt(22)
	v_mul_f32_e32 v149, v47, v35
	v_fma_f32 v3, v5, v26, -v3
	v_mul_f32_e32 v35, v46, v35
	v_fmac_f32_e32 v27, v6, v26
	v_fma_f32 v26, v7, v28, -v148
	v_dual_fmac_f32 v29, v8, v28 :: v_dual_mul_f32 v148, v45, v33
	v_mul_f32_e32 v28, v43, v31
	v_dual_mul_f32 v31, v42, v31 :: v_dual_mul_f32 v150, v49, v37
	v_mul_f32_e32 v33, v44, v33
	v_fmac_f32_e32 v35, v47, v34
	s_delay_alu instid0(VALU_DEP_4) | instskip(NEXT) | instid1(VALU_DEP_4)
	v_fma_f32 v28, v42, v30, -v28
	v_fmac_f32_e32 v31, v43, v30
	v_fma_f32 v30, v44, v32, -v148
	v_dual_fmac_f32 v33, v45, v32 :: v_dual_mul_f32 v32, v48, v37
	s_waitcnt lgkmcnt(21)
	v_mul_f32_e32 v42, v53, v41
	v_fma_f32 v46, v46, v34, -v149
	v_fma_f32 v34, v48, v36, -v150
	v_dual_mul_f32 v37, v51, v39 :: v_dual_fmac_f32 v32, v49, v36
	s_waitcnt lgkmcnt(19)
	v_dual_mul_f32 v36, v56, v61 :: v_dual_add_f32 v3, 0, v3
	v_mul_f32_e32 v39, v50, v39
	v_add_f32_e32 v27, 0, v27
	s_delay_alu instid0(VALU_DEP_3) | instskip(NEXT) | instid1(VALU_DEP_4)
	v_dual_mul_f32 v43, v55, v59 :: v_dual_fmac_f32 v36, v57, v60
	v_dual_add_f32 v3, v3, v26 :: v_dual_mul_f32 v44, v54, v59
	s_waitcnt lgkmcnt(17)
	v_dual_mul_f32 v48, v66, v63 :: v_dual_mul_f32 v49, v69, v65
	v_mul_f32_e32 v59, v68, v65
	s_waitcnt lgkmcnt(15)
	v_dual_add_f32 v3, v3, v28 :: v_dual_mul_f32 v26, v73, v77
	v_fma_f32 v37, v50, v38, -v37
	v_fmac_f32_e32 v39, v51, v38
	v_fma_f32 v38, v52, v40, -v42
	s_waitcnt lgkmcnt(11)
	v_dual_add_f32 v3, v3, v30 :: v_dual_mul_f32 v42, v88, v93
	v_dual_mul_f32 v28, v82, v79 :: v_dual_mul_f32 v41, v52, v41
	v_mul_f32_e32 v30, v87, v91
	s_waitcnt lgkmcnt(9)
	s_delay_alu instid0(VALU_DEP_3) | instskip(SKIP_2) | instid1(VALU_DEP_3)
	v_dual_add_f32 v3, v3, v46 :: v_dual_mul_f32 v46, v98, v95
	v_dual_mul_f32 v65, v84, v81 :: v_dual_fmac_f32 v42, v89, v92
	v_mul_f32_e32 v45, v57, v61
	v_dual_add_f32 v3, v3, v34 :: v_dual_mul_f32 v34, v100, v97
	v_add_f32_e32 v27, v27, v29
	s_delay_alu instid0(VALU_DEP_4) | instskip(SKIP_1) | instid1(VALU_DEP_3)
	v_dual_fmac_f32 v46, v99, v94 :: v_dual_fmac_f32 v65, v85, v80
	v_fmac_f32_e32 v41, v53, v40
	v_dual_fmac_f32 v34, v101, v96 :: v_dual_add_f32 v27, v27, v31
	v_add_f32_e32 v3, v3, v37
	v_fmac_f32_e32 v44, v55, v58
	v_dual_mul_f32 v47, v67, v63 :: v_dual_mul_f32 v50, v101, v97
	s_delay_alu instid0(VALU_DEP_4) | instskip(NEXT) | instid1(VALU_DEP_4)
	v_add_f32_e32 v27, v27, v33
	v_add_f32_e32 v3, v3, v38
	ds_load_b128 v[138:141], v11 offset:224
	ds_load_b128 v[142:145], v11 offset:240
	ds_load_2addr_b64 v[5:8], v25 offset0:192 offset1:224
	v_fmac_f32_e32 v48, v67, v62
	v_add_f32_e32 v27, v27, v35
	s_waitcnt lgkmcnt(10)
	v_dual_mul_f32 v29, v71, v75 :: v_dual_mul_f32 v38, v105, v109
	v_mul_f32_e32 v61, v70, v75
	v_fmac_f32_e32 v59, v69, v64
	v_add_f32_e32 v27, v27, v32
	v_dual_mul_f32 v32, v99, v95 :: v_dual_mul_f32 v31, v72, v77
	v_fmac_f32_e32 v28, v83, v78
	v_fma_f32 v29, v70, v74, -v29
	s_delay_alu instid0(VALU_DEP_4)
	v_add_f32_e32 v27, v27, v39
	v_mul_f32_e32 v63, v83, v79
	v_fmac_f32_e32 v31, v73, v76
	v_fma_f32 v26, v72, v76, -v26
	v_mul_f32_e32 v40, v89, v93
	v_add_f32_e32 v27, v27, v41
	v_fma_f32 v41, v54, v58, -v43
	v_fma_f32 v43, v56, v60, -v45
	;; [unrolled: 1-line block ×4, first 2 shown]
	v_add_f32_e32 v27, v27, v44
	v_add_f32_e32 v3, v3, v41
	v_fma_f32 v41, v66, v62, -v47
	v_fma_f32 v44, v68, v64, -v49
	s_delay_alu instid0(VALU_DEP_4) | instskip(NEXT) | instid1(VALU_DEP_4)
	v_add_f32_e32 v27, v27, v36
	v_dual_add_f32 v3, v3, v43 :: v_dual_mul_f32 v36, v104, v109
	v_fmac_f32_e32 v61, v71, v74
	v_mul_f32_e32 v35, v86, v91
	s_delay_alu instid0(VALU_DEP_4) | instskip(NEXT) | instid1(VALU_DEP_4)
	v_add_f32_e32 v27, v27, v48
	v_dual_add_f32 v3, v3, v41 :: v_dual_fmac_f32 v36, v105, v108
	s_waitcnt lgkmcnt(8)
	v_mul_f32_e32 v41, v114, v111
	v_fmac_f32_e32 v35, v87, v90
	v_add_f32_e32 v27, v27, v59
	v_dual_add_f32 v3, v3, v44 :: v_dual_mul_f32 v44, v117, v113
	s_delay_alu instid0(VALU_DEP_4) | instskip(NEXT) | instid1(VALU_DEP_3)
	v_fmac_f32_e32 v41, v115, v110
	v_add_f32_e32 v27, v27, v61
	s_delay_alu instid0(VALU_DEP_3) | instskip(SKIP_1) | instid1(VALU_DEP_3)
	v_add_f32_e32 v3, v3, v29
	v_mul_f32_e32 v29, v116, v113
	v_add_f32_e32 v27, v27, v31
	v_mul_f32_e32 v33, v85, v81
	v_fma_f32 v31, v82, v78, -v63
	v_add_f32_e32 v3, v3, v26
	v_fmac_f32_e32 v29, v117, v112
	v_add_f32_e32 v26, v27, v28
	v_fma_f32 v28, v84, v80, -v33
	v_fma_f32 v33, v88, v92, -v40
	v_add_f32_e32 v3, v3, v31
	s_waitcnt lgkmcnt(6)
	v_mul_f32_e32 v31, v118, v123
	v_dual_add_f32 v26, v26, v65 :: v_dual_mul_f32 v27, v119, v123
	s_delay_alu instid0(VALU_DEP_3) | instskip(NEXT) | instid1(VALU_DEP_2)
	v_add_f32_e32 v3, v3, v28
	v_dual_fmac_f32 v31, v119, v122 :: v_dual_add_f32 v26, v26, v35
	v_fma_f32 v35, v100, v96, -v50
	s_delay_alu instid0(VALU_DEP_3) | instskip(SKIP_1) | instid1(VALU_DEP_4)
	v_dual_mul_f32 v28, v121, v125 :: v_dual_add_f32 v3, v3, v30
	v_mul_f32_e32 v30, v120, v125
	v_add_f32_e32 v26, v26, v42
	v_fma_f32 v27, v118, v122, -v27
	s_delay_alu instid0(VALU_DEP_4) | instskip(NEXT) | instid1(VALU_DEP_4)
	v_fma_f32 v28, v120, v124, -v28
	v_dual_add_f32 v3, v3, v33 :: v_dual_fmac_f32 v30, v121, v124
	s_waitcnt lgkmcnt(4)
	v_dual_add_f32 v26, v26, v46 :: v_dual_mul_f32 v33, v131, v127
	s_delay_alu instid0(VALU_DEP_2) | instskip(SKIP_1) | instid1(VALU_DEP_2)
	v_dual_add_f32 v3, v3, v32 :: v_dual_mul_f32 v32, v130, v127
	v_mul_f32_e32 v37, v102, v107
	v_dual_add_f32 v26, v26, v34 :: v_dual_add_f32 v3, v3, v35
	s_delay_alu instid0(VALU_DEP_3) | instskip(NEXT) | instid1(VALU_DEP_3)
	v_fmac_f32_e32 v32, v131, v126
	v_fmac_f32_e32 v37, v103, v106
	v_mul_f32_e32 v35, v133, v129
	s_delay_alu instid0(VALU_DEP_2) | instskip(SKIP_2) | instid1(VALU_DEP_3)
	v_add_f32_e32 v26, v26, v37
	v_fma_f32 v37, v104, v108, -v38
	v_fma_f32 v38, v116, v112, -v44
	v_dual_add_f32 v26, v26, v36 :: v_dual_mul_f32 v39, v103, v107
	s_delay_alu instid0(VALU_DEP_1) | instskip(NEXT) | instid1(VALU_DEP_2)
	v_add_f32_e32 v26, v26, v41
	v_fma_f32 v34, v102, v106, -v39
	s_delay_alu instid0(VALU_DEP_1) | instskip(SKIP_2) | instid1(VALU_DEP_2)
	v_dual_add_f32 v26, v26, v29 :: v_dual_add_f32 v3, v3, v34
	s_waitcnt lgkmcnt(2)
	v_dual_mul_f32 v34, v132, v129 :: v_dual_mul_f32 v29, v134, v139
	v_dual_add_f32 v26, v26, v31 :: v_dual_add_f32 v3, v3, v37
	s_delay_alu instid0(VALU_DEP_2) | instskip(NEXT) | instid1(VALU_DEP_2)
	v_dual_fmac_f32 v34, v133, v128 :: v_dual_fmac_f32 v29, v135, v138
	v_dual_mul_f32 v37, v135, v139 :: v_dual_add_f32 v26, v26, v30
	v_fma_f32 v30, v130, v126, -v33
	v_mul_f32_e32 v31, v137, v141
	s_delay_alu instid0(VALU_DEP_3) | instskip(NEXT) | instid1(VALU_DEP_4)
	v_fma_f32 v33, v134, v138, -v37
	v_add_f32_e32 v26, v26, v32
	v_fma_f32 v32, v132, v128, -v35
	s_delay_alu instid0(VALU_DEP_4) | instskip(NEXT) | instid1(VALU_DEP_3)
	v_fma_f32 v31, v136, v140, -v31
	v_dual_add_f32 v26, v26, v34 :: v_dual_mul_f32 v43, v115, v111
	s_delay_alu instid0(VALU_DEP_1) | instskip(NEXT) | instid1(VALU_DEP_2)
	v_add_f32_e32 v26, v26, v29
	v_fma_f32 v36, v114, v110, -v43
	s_waitcnt lgkmcnt(0)
	v_mul_f32_e32 v29, v7, v145
	s_delay_alu instid0(VALU_DEP_2) | instskip(NEXT) | instid1(VALU_DEP_2)
	v_add_f32_e32 v3, v3, v36
	v_fmac_f32_e32 v29, v8, v144
	s_delay_alu instid0(VALU_DEP_2) | instskip(NEXT) | instid1(VALU_DEP_1)
	v_add_f32_e32 v3, v3, v38
	v_add_f32_e32 v3, v3, v27
	v_mul_f32_e32 v27, v136, v141
	s_delay_alu instid0(VALU_DEP_2) | instskip(NEXT) | instid1(VALU_DEP_2)
	v_add_f32_e32 v3, v3, v28
	v_dual_fmac_f32 v27, v137, v140 :: v_dual_mul_f32 v28, v6, v143
	s_delay_alu instid0(VALU_DEP_2) | instskip(NEXT) | instid1(VALU_DEP_2)
	v_dual_add_f32 v3, v3, v30 :: v_dual_mul_f32 v30, v5, v143
	v_fma_f32 v5, v5, v142, -v28
	s_delay_alu instid0(VALU_DEP_2) | instskip(NEXT) | instid1(VALU_DEP_4)
	v_dual_add_f32 v3, v3, v32 :: v_dual_fmac_f32 v30, v6, v142
	v_add_f32_e32 v6, v26, v27
	v_mul_f32_e32 v26, v8, v145
	s_delay_alu instid0(VALU_DEP_2) | instskip(NEXT) | instid1(VALU_DEP_2)
	v_dual_add_f32 v3, v3, v33 :: v_dual_add_f32 v6, v6, v30
	v_fma_f32 v7, v7, v144, -v26
	s_delay_alu instid0(VALU_DEP_2) | instskip(NEXT) | instid1(VALU_DEP_1)
	v_add_f32_e32 v3, v3, v31
	v_add_f32_e32 v3, v3, v5
	s_delay_alu instid0(VALU_DEP_4) | instskip(NEXT) | instid1(VALU_DEP_1)
	v_add_f32_e32 v5, v6, v29
	v_dual_add_f32 v3, v3, v7 :: v_dual_mul_f32 v6, s17, v5
	v_mul_f32_e32 v7, s16, v5
	s_delay_alu instid0(VALU_DEP_2) | instskip(NEXT) | instid1(VALU_DEP_2)
	v_fma_f32 v5, s16, v3, -v6
	v_fmac_f32_e32 v7, s17, v3
	s_waitcnt vmcnt(0)
	s_delay_alu instid0(VALU_DEP_1)
	v_dual_add_f32 v5, v146, v5 :: v_dual_add_f32 v6, v147, v7
	global_store_b64 v[0:1], v[5:6], off
.LBB1923_11:                            ;   in Loop: Header=BB1923_5 Depth=1
	s_or_b32 exec_lo, exec_lo, s1
	v_dual_mov_b32 v6, 0 :: v_dual_mov_b32 v7, 0
	v_mov_b32_e32 v8, 0
	s_waitcnt_vscnt null, 0x0
	s_barrier
	buffer_gl0_inv
	s_and_saveexec_b32 s7, s4
	s_cbranch_execz .LBB1923_13
; %bb.12:                               ;   in Loop: Header=BB1923_5 Depth=1
	v_ashrrev_i32_e32 v3, 31, v2
	s_delay_alu instid0(VALU_DEP_1) | instskip(NEXT) | instid1(VALU_DEP_1)
	v_lshlrev_b64 v[2:3], 3, v[2:3]
	v_add_co_u32 v2, s1, v19, v2
	s_delay_alu instid0(VALU_DEP_1)
	v_add_co_ci_u32_e64 v3, s1, v20, v3, s1
	global_load_b64 v[7:8], v[2:3], off
.LBB1923_13:                            ;   in Loop: Header=BB1923_5 Depth=1
	s_or_b32 exec_lo, exec_lo, s7
	v_mov_b32_e32 v5, 0
	s_waitcnt vmcnt(0)
	ds_store_b64 v12, v[7:8]
	s_and_saveexec_b32 s4, s5
	s_cbranch_execz .LBB1923_15
; %bb.14:                               ;   in Loop: Header=BB1923_5 Depth=1
	v_ashrrev_i32_e32 v5, 31, v4
	s_delay_alu instid0(VALU_DEP_1) | instskip(NEXT) | instid1(VALU_DEP_1)
	v_lshlrev_b64 v[2:3], 3, v[4:5]
	v_add_co_u32 v2, s1, v21, v2
	s_delay_alu instid0(VALU_DEP_1)
	v_add_co_ci_u32_e64 v3, s1, v22, v3, s1
	global_load_b64 v[5:6], v[2:3], off
.LBB1923_15:                            ;   in Loop: Header=BB1923_5 Depth=1
	s_or_b32 exec_lo, exec_lo, s4
	s_waitcnt vmcnt(0)
	ds_store_b64 v18, v[5:6]
	s_waitcnt lgkmcnt(0)
	s_barrier
	buffer_gl0_inv
	s_and_saveexec_b32 s1, s2
	s_cbranch_execz .LBB1923_4
; %bb.16:                               ;   in Loop: Header=BB1923_5 Depth=1
	global_load_b64 v[6:7], v[0:1], off
	ds_load_b128 v[2:5], v11
	ds_load_b128 v[26:29], v11 offset:16
	ds_load_2addr_b64 v[30:33], v15 offset1:32
	ds_load_b128 v[34:37], v11 offset:32
	ds_load_b128 v[38:41], v11 offset:48
	ds_load_2addr_b64 v[42:45], v15 offset0:64 offset1:96
	ds_load_2addr_b64 v[46:49], v15 offset0:128 offset1:160
	;; [unrolled: 1-line block ×3, first 2 shown]
	ds_load_2addr_b64 v[54:57], v23 offset1:32
	ds_load_b128 v[58:61], v11 offset:64
	ds_load_b128 v[62:65], v11 offset:80
	ds_load_2addr_b64 v[66:69], v23 offset0:64 offset1:96
	ds_load_2addr_b64 v[70:73], v23 offset0:128 offset1:160
	ds_load_b128 v[74:77], v11 offset:96
	ds_load_b128 v[78:81], v11 offset:112
	ds_load_2addr_b64 v[82:85], v23 offset0:192 offset1:224
	ds_load_2addr_b64 v[86:89], v24 offset1:32
	ds_load_b128 v[90:93], v11 offset:128
	ds_load_b128 v[94:97], v11 offset:144
	ds_load_2addr_b64 v[98:101], v24 offset0:64 offset1:96
	ds_load_2addr_b64 v[102:105], v24 offset0:128 offset1:160
	ds_load_b128 v[106:109], v11 offset:160
	ds_load_b128 v[110:113], v11 offset:176
	ds_load_2addr_b64 v[114:117], v24 offset0:192 offset1:224
	;; [unrolled: 8-line block ×3, first 2 shown]
	s_waitcnt lgkmcnt(29)
	v_mul_f32_e32 v8, v31, v3
	v_dual_mul_f32 v3, v30, v3 :: v_dual_mul_f32 v150, v33, v5
	v_mul_f32_e32 v5, v32, v5
	s_waitcnt lgkmcnt(26)
	v_dual_mul_f32 v151, v43, v27 :: v_dual_mul_f32 v152, v45, v29
	v_fma_f32 v8, v30, v2, -v8
	s_waitcnt lgkmcnt(25)
	v_dual_mul_f32 v27, v42, v27 :: v_dual_mul_f32 v154, v49, v37
	s_waitcnt lgkmcnt(16)
	v_dual_mul_f32 v29, v44, v29 :: v_dual_mul_f32 v30, v83, v79
	v_dual_mul_f32 v153, v47, v35 :: v_dual_mul_f32 v156, v53, v41
	;; [unrolled: 1-line block ×3, first 2 shown]
	v_dual_mul_f32 v37, v48, v37 :: v_dual_add_f32 v8, 0, v8
	v_dual_mul_f32 v155, v51, v39 :: v_dual_mul_f32 v160, v69, v65
	v_fmac_f32_e32 v3, v31, v2
	v_fma_f32 v2, v32, v4, -v150
	v_dual_mul_f32 v39, v50, v39 :: v_dual_mul_f32 v162, v73, v77
	v_mul_f32_e32 v159, v67, v63
	s_delay_alu instid0(VALU_DEP_4)
	v_add_f32_e32 v3, 0, v3
	v_fma_f32 v42, v42, v26, -v151
	v_fmac_f32_e32 v27, v43, v26
	v_add_f32_e32 v2, v8, v2
	v_fma_f32 v26, v44, v28, -v152
	v_fmac_f32_e32 v29, v45, v28
	v_fma_f32 v28, v46, v34, -v153
	v_fmac_f32_e32 v35, v47, v34
	;; [unrolled: 2-line block ×3, first 2 shown]
	v_dual_mul_f32 v61, v56, v61 :: v_dual_add_f32 v2, v2, v42
	v_fmac_f32_e32 v39, v51, v38
	v_fma_f32 v38, v66, v62, -v159
	s_delay_alu instid0(VALU_DEP_4) | instskip(NEXT) | instid1(VALU_DEP_4)
	v_add_f32_e32 v3, v3, v5
	v_dual_mul_f32 v65, v68, v65 :: v_dual_add_f32 v2, v2, v26
	v_mul_f32_e32 v161, v71, v75
	v_fma_f32 v30, v82, v78, -v30
	s_delay_alu instid0(VALU_DEP_4) | instskip(SKIP_3) | instid1(VALU_DEP_4)
	v_add_f32_e32 v3, v3, v27
	v_dual_mul_f32 v157, v55, v59 :: v_dual_mul_f32 v4, v72, v77
	v_add_f32_e32 v2, v2, v28
	v_dual_mul_f32 v59, v54, v59 :: v_dual_mul_f32 v32, v85, v81
	v_add_f32_e32 v3, v3, v29
	v_fma_f32 v29, v48, v36, -v154
	v_mul_f32_e32 v33, v84, v81
	v_fmac_f32_e32 v37, v49, v36
	v_fma_f32 v32, v84, v80, -v32
	s_delay_alu instid0(VALU_DEP_4)
	v_dual_add_f32 v3, v3, v35 :: v_dual_add_f32 v2, v2, v29
	v_fma_f32 v35, v52, v40, -v156
	v_fma_f32 v36, v54, v58, -v157
	s_waitcnt lgkmcnt(12)
	v_dual_mul_f32 v41, v52, v41 :: v_dual_mul_f32 v8, v99, v95
	v_dual_add_f32 v2, v2, v34 :: v_dual_mul_f32 v81, v89, v93
	v_add_f32_e32 v3, v3, v37
	v_fma_f32 v37, v56, v60, -v158
	v_dual_mul_f32 v63, v66, v63 :: v_dual_mul_f32 v26, v101, v97
	s_delay_alu instid0(VALU_DEP_4) | instskip(SKIP_2) | instid1(VALU_DEP_3)
	v_add_f32_e32 v2, v2, v35
	v_dual_mul_f32 v75, v70, v75 :: v_dual_mul_f32 v28, v100, v97
	v_fmac_f32_e32 v41, v53, v40
	v_dual_add_f32 v3, v3, v39 :: v_dual_add_f32 v2, v2, v36
	v_mul_f32_e32 v77, v87, v91
	v_fma_f32 v39, v68, v64, -v160
	v_fma_f32 v8, v98, v94, -v8
	s_delay_alu instid0(VALU_DEP_4) | instskip(SKIP_2) | instid1(VALU_DEP_3)
	v_dual_fmac_f32 v59, v55, v58 :: v_dual_add_f32 v2, v2, v37
	v_fma_f32 v26, v100, v96, -v26
	v_dual_fmac_f32 v28, v101, v96 :: v_dual_add_f32 v3, v3, v41
	v_dual_fmac_f32 v61, v57, v60 :: v_dual_add_f32 v2, v2, v38
	v_fma_f32 v40, v70, v74, -v161
	s_waitcnt lgkmcnt(10)
	v_dual_mul_f32 v31, v82, v79 :: v_dual_mul_f32 v36, v104, v109
	v_add_f32_e32 v3, v3, v59
	v_dual_add_f32 v2, v2, v39 :: v_dual_fmac_f32 v63, v67, v62
	v_fma_f32 v41, v72, v76, -v162
	s_delay_alu instid0(VALU_DEP_3) | instskip(NEXT) | instid1(VALU_DEP_3)
	v_dual_fmac_f32 v36, v105, v108 :: v_dual_add_f32 v3, v3, v61
	v_dual_add_f32 v2, v2, v40 :: v_dual_mul_f32 v5, v88, v93
	s_waitcnt lgkmcnt(8)
	v_dual_mul_f32 v38, v114, v111 :: v_dual_fmac_f32 v65, v69, v64
	s_delay_alu instid0(VALU_DEP_2) | instskip(SKIP_1) | instid1(VALU_DEP_3)
	v_dual_add_f32 v3, v3, v63 :: v_dual_add_f32 v2, v2, v41
	v_fmac_f32_e32 v75, v71, v74
	v_dual_fmac_f32 v38, v115, v110 :: v_dual_mul_f32 v79, v86, v91
	s_delay_alu instid0(VALU_DEP_3) | instskip(NEXT) | instid1(VALU_DEP_4)
	v_dual_fmac_f32 v4, v73, v76 :: v_dual_add_f32 v3, v3, v65
	v_add_f32_e32 v2, v2, v30
	v_mul_f32_e32 v27, v98, v95
	v_mul_f32_e32 v34, v102, v107
	s_waitcnt lgkmcnt(6)
	v_mul_f32_e32 v30, v118, v123
	v_dual_add_f32 v3, v3, v75 :: v_dual_add_f32 v2, v2, v32
	v_mul_f32_e32 v32, v121, v125
	s_delay_alu instid0(VALU_DEP_3) | instskip(NEXT) | instid1(VALU_DEP_3)
	v_dual_fmac_f32 v33, v85, v80 :: v_dual_fmac_f32 v30, v119, v122
	v_add_f32_e32 v3, v3, v4
	v_fmac_f32_e32 v79, v87, v90
	s_delay_alu instid0(VALU_DEP_4) | instskip(SKIP_3) | instid1(VALU_DEP_3)
	v_fma_f32 v32, v120, v124, -v32
	v_fmac_f32_e32 v31, v83, v78
	v_fmac_f32_e32 v27, v99, v94
	v_dual_mul_f32 v35, v105, v109 :: v_dual_fmac_f32 v34, v103, v106
	v_dual_mul_f32 v40, v116, v113 :: v_dual_add_f32 v3, v3, v31
	v_fma_f32 v31, v86, v90, -v77
	v_mul_f32_e32 v37, v115, v111
	v_mul_f32_e32 v39, v117, v113
	s_delay_alu instid0(VALU_DEP_4)
	v_dual_fmac_f32 v40, v117, v112 :: v_dual_add_f32 v3, v3, v33
	v_fma_f32 v33, v88, v92, -v81
	v_add_f32_e32 v2, v2, v31
	v_mul_f32_e32 v29, v103, v107
	v_mul_f32_e32 v4, v119, v123
	v_add_f32_e32 v3, v3, v79
	v_mul_f32_e32 v31, v120, v125
	v_add_f32_e32 v2, v2, v33
	s_delay_alu instid0(VALU_DEP_4) | instskip(NEXT) | instid1(VALU_DEP_2)
	v_fma_f32 v4, v118, v122, -v4
	v_add_f32_e32 v2, v2, v8
	s_waitcnt lgkmcnt(4)
	v_dual_mul_f32 v8, v130, v127 :: v_dual_fmac_f32 v5, v89, v92
	s_delay_alu instid0(VALU_DEP_2) | instskip(NEXT) | instid1(VALU_DEP_2)
	v_add_f32_e32 v2, v2, v26
	v_fmac_f32_e32 v8, v131, v126
	s_delay_alu instid0(VALU_DEP_3) | instskip(SKIP_1) | instid1(VALU_DEP_2)
	v_add_f32_e32 v3, v3, v5
	v_dual_mul_f32 v5, v131, v127 :: v_dual_mul_f32 v26, v133, v129
	v_add_f32_e32 v3, v3, v27
	v_fma_f32 v27, v102, v106, -v29
	v_fma_f32 v29, v114, v110, -v37
	s_delay_alu instid0(VALU_DEP_4) | instskip(SKIP_4) | instid1(VALU_DEP_1)
	v_fma_f32 v5, v130, v126, -v5
	v_fma_f32 v26, v132, v128, -v26
	v_add_f32_e32 v3, v3, v28
	v_fma_f32 v28, v104, v108, -v35
	v_dual_add_f32 v2, v2, v27 :: v_dual_mul_f32 v27, v132, v129
	v_dual_add_f32 v3, v3, v34 :: v_dual_add_f32 v2, v2, v28
	s_waitcnt lgkmcnt(2)
	v_mul_f32_e32 v28, v135, v139
	v_fma_f32 v33, v116, v112, -v39
	s_delay_alu instid0(VALU_DEP_3) | instskip(SKIP_2) | instid1(VALU_DEP_2)
	v_add_f32_e32 v3, v3, v36
	v_dual_fmac_f32 v27, v133, v128 :: v_dual_add_f32 v2, v2, v29
	v_mul_f32_e32 v29, v134, v139
	v_dual_add_f32 v3, v3, v38 :: v_dual_add_f32 v2, v2, v33
	v_mul_f32_e32 v33, v137, v141
	s_delay_alu instid0(VALU_DEP_3) | instskip(NEXT) | instid1(VALU_DEP_3)
	v_fmac_f32_e32 v29, v135, v138
	v_add_f32_e32 v3, v3, v40
	s_delay_alu instid0(VALU_DEP_4) | instskip(NEXT) | instid1(VALU_DEP_2)
	v_add_f32_e32 v2, v2, v4
	v_dual_mul_f32 v4, v136, v141 :: v_dual_add_f32 v3, v3, v30
	s_waitcnt lgkmcnt(0)
	v_dual_mul_f32 v30, v147, v143 :: v_dual_fmac_f32 v31, v121, v124
	s_delay_alu instid0(VALU_DEP_3) | instskip(NEXT) | instid1(VALU_DEP_2)
	v_add_f32_e32 v2, v2, v32
	v_dual_fmac_f32 v4, v137, v140 :: v_dual_add_f32 v3, v3, v31
	s_delay_alu instid0(VALU_DEP_2) | instskip(SKIP_1) | instid1(VALU_DEP_3)
	v_add_f32_e32 v2, v2, v5
	v_mul_f32_e32 v5, v146, v143
	v_add_f32_e32 v3, v3, v8
	v_fma_f32 v8, v134, v138, -v28
	s_delay_alu instid0(VALU_DEP_4)
	v_add_f32_e32 v2, v2, v26
	v_mul_f32_e32 v26, v149, v145
	v_fma_f32 v28, v146, v142, -v30
	v_add_f32_e32 v3, v3, v27
	v_fma_f32 v27, v136, v140, -v33
	v_add_f32_e32 v2, v2, v8
	v_dual_mul_f32 v8, v148, v145 :: v_dual_fmac_f32 v5, v147, v142
	s_delay_alu instid0(VALU_DEP_2) | instskip(NEXT) | instid1(VALU_DEP_2)
	v_dual_add_f32 v3, v3, v29 :: v_dual_add_f32 v2, v2, v27
	v_fmac_f32_e32 v8, v149, v144
	s_delay_alu instid0(VALU_DEP_2) | instskip(SKIP_1) | instid1(VALU_DEP_2)
	v_add_f32_e32 v3, v3, v4
	v_fma_f32 v4, v148, v144, -v26
	v_dual_add_f32 v2, v2, v28 :: v_dual_add_f32 v3, v3, v5
	s_delay_alu instid0(VALU_DEP_1) | instskip(NEXT) | instid1(VALU_DEP_2)
	v_add_f32_e32 v2, v2, v4
	v_add_f32_e32 v3, v3, v8
	s_delay_alu instid0(VALU_DEP_1) | instskip(NEXT) | instid1(VALU_DEP_1)
	v_dual_mul_f32 v5, s17, v2 :: v_dual_mul_f32 v4, s17, v3
	v_fmac_f32_e32 v5, s16, v3
	s_delay_alu instid0(VALU_DEP_2) | instskip(SKIP_1) | instid1(VALU_DEP_1)
	v_fma_f32 v2, s16, v2, -v4
	s_waitcnt vmcnt(0)
	v_dual_add_f32 v2, v6, v2 :: v_dual_add_f32 v3, v7, v5
	global_store_b64 v[0:1], v[2:3], off
	s_branch .LBB1923_4
.LBB1923_17:
	s_endpgm
	.section	.rodata,"a",@progbits
	.p2align	6, 0x0
	.amdhsa_kernel _ZL26rocblas_syr2k_her2k_kernelIiLb1ELb0ELb1ELi32EPK19rocblas_complex_numIfEPKS3_PKPS1_EvbiT_T4_T5_S9_lSB_S9_lT6_S9_li
		.amdhsa_group_segment_fixed_size 16384
		.amdhsa_private_segment_fixed_size 0
		.amdhsa_kernarg_size 100
		.amdhsa_user_sgpr_count 13
		.amdhsa_user_sgpr_dispatch_ptr 0
		.amdhsa_user_sgpr_queue_ptr 0
		.amdhsa_user_sgpr_kernarg_segment_ptr 1
		.amdhsa_user_sgpr_dispatch_id 0
		.amdhsa_user_sgpr_private_segment_size 0
		.amdhsa_wavefront_size32 1
		.amdhsa_uses_dynamic_stack 0
		.amdhsa_enable_private_segment 0
		.amdhsa_system_sgpr_workgroup_id_x 1
		.amdhsa_system_sgpr_workgroup_id_y 1
		.amdhsa_system_sgpr_workgroup_id_z 1
		.amdhsa_system_sgpr_workgroup_info 0
		.amdhsa_system_vgpr_workitem_id 1
		.amdhsa_next_free_vgpr 163
		.amdhsa_next_free_sgpr 27
		.amdhsa_reserve_vcc 1
		.amdhsa_float_round_mode_32 0
		.amdhsa_float_round_mode_16_64 0
		.amdhsa_float_denorm_mode_32 3
		.amdhsa_float_denorm_mode_16_64 3
		.amdhsa_dx10_clamp 1
		.amdhsa_ieee_mode 1
		.amdhsa_fp16_overflow 0
		.amdhsa_workgroup_processor_mode 1
		.amdhsa_memory_ordered 1
		.amdhsa_forward_progress 0
		.amdhsa_shared_vgpr_count 0
		.amdhsa_exception_fp_ieee_invalid_op 0
		.amdhsa_exception_fp_denorm_src 0
		.amdhsa_exception_fp_ieee_div_zero 0
		.amdhsa_exception_fp_ieee_overflow 0
		.amdhsa_exception_fp_ieee_underflow 0
		.amdhsa_exception_fp_ieee_inexact 0
		.amdhsa_exception_int_div_zero 0
	.end_amdhsa_kernel
	.section	.text._ZL26rocblas_syr2k_her2k_kernelIiLb1ELb0ELb1ELi32EPK19rocblas_complex_numIfEPKS3_PKPS1_EvbiT_T4_T5_S9_lSB_S9_lT6_S9_li,"axG",@progbits,_ZL26rocblas_syr2k_her2k_kernelIiLb1ELb0ELb1ELi32EPK19rocblas_complex_numIfEPKS3_PKPS1_EvbiT_T4_T5_S9_lSB_S9_lT6_S9_li,comdat
.Lfunc_end1923:
	.size	_ZL26rocblas_syr2k_her2k_kernelIiLb1ELb0ELb1ELi32EPK19rocblas_complex_numIfEPKS3_PKPS1_EvbiT_T4_T5_S9_lSB_S9_lT6_S9_li, .Lfunc_end1923-_ZL26rocblas_syr2k_her2k_kernelIiLb1ELb0ELb1ELi32EPK19rocblas_complex_numIfEPKS3_PKPS1_EvbiT_T4_T5_S9_lSB_S9_lT6_S9_li
                                        ; -- End function
	.section	.AMDGPU.csdata,"",@progbits
; Kernel info:
; codeLenInByte = 3796
; NumSgprs: 29
; NumVgprs: 163
; ScratchSize: 0
; MemoryBound: 0
; FloatMode: 240
; IeeeMode: 1
; LDSByteSize: 16384 bytes/workgroup (compile time only)
; SGPRBlocks: 3
; VGPRBlocks: 20
; NumSGPRsForWavesPerEU: 29
; NumVGPRsForWavesPerEU: 163
; Occupancy: 9
; WaveLimiterHint : 1
; COMPUTE_PGM_RSRC2:SCRATCH_EN: 0
; COMPUTE_PGM_RSRC2:USER_SGPR: 13
; COMPUTE_PGM_RSRC2:TRAP_HANDLER: 0
; COMPUTE_PGM_RSRC2:TGID_X_EN: 1
; COMPUTE_PGM_RSRC2:TGID_Y_EN: 1
; COMPUTE_PGM_RSRC2:TGID_Z_EN: 1
; COMPUTE_PGM_RSRC2:TIDIG_COMP_CNT: 1
	.section	.text._ZL26rocblas_syr2k_her2k_kernelIiLb1ELb0ELb0ELi32E19rocblas_complex_numIdEPKPKS1_PKPS1_EvbiT_T4_T5_S9_lSB_S9_lT6_S9_li,"axG",@progbits,_ZL26rocblas_syr2k_her2k_kernelIiLb1ELb0ELb0ELi32E19rocblas_complex_numIdEPKPKS1_PKPS1_EvbiT_T4_T5_S9_lSB_S9_lT6_S9_li,comdat
	.globl	_ZL26rocblas_syr2k_her2k_kernelIiLb1ELb0ELb0ELi32E19rocblas_complex_numIdEPKPKS1_PKPS1_EvbiT_T4_T5_S9_lSB_S9_lT6_S9_li ; -- Begin function _ZL26rocblas_syr2k_her2k_kernelIiLb1ELb0ELb0ELi32E19rocblas_complex_numIdEPKPKS1_PKPS1_EvbiT_T4_T5_S9_lSB_S9_lT6_S9_li
	.p2align	8
	.type	_ZL26rocblas_syr2k_her2k_kernelIiLb1ELb0ELb0ELi32E19rocblas_complex_numIdEPKPKS1_PKPS1_EvbiT_T4_T5_S9_lSB_S9_lT6_S9_li,@function
_ZL26rocblas_syr2k_her2k_kernelIiLb1ELb0ELb0ELi32E19rocblas_complex_numIdEPKPKS1_PKPS1_EvbiT_T4_T5_S9_lSB_S9_lT6_S9_li: ; @_ZL26rocblas_syr2k_her2k_kernelIiLb1ELb0ELb0ELi32E19rocblas_complex_numIdEPKPKS1_PKPS1_EvbiT_T4_T5_S9_lSB_S9_lT6_S9_li
; %bb.0:
	s_load_b128 s[4:7], s[0:1], 0x10
	s_waitcnt lgkmcnt(0)
	v_cmp_eq_f64_e64 s3, s[4:5], 0
	v_cmp_eq_f64_e64 s8, s[6:7], 0
	s_delay_alu instid0(VALU_DEP_1) | instskip(NEXT) | instid1(SALU_CYCLE_1)
	s_and_b32 s3, s3, s8
	s_and_b32 vcc_lo, exec_lo, s3
	s_cbranch_vccnz .LBB1924_17
; %bb.1:
	s_load_b128 s[8:11], s[0:1], 0x0
	s_lshl_b32 s20, s14, 5
	s_lshl_b32 s21, s13, 5
	s_waitcnt lgkmcnt(0)
	s_and_b32 s3, 1, s8
	s_delay_alu instid0(SALU_CYCLE_1) | instskip(SKIP_1) | instid1(SALU_CYCLE_1)
	s_cmp_eq_u32 s3, 1
	s_cselect_b32 vcc_lo, -1, 0
	s_and_b32 s3, vcc_lo, exec_lo
	s_cselect_b32 s3, s21, s20
	s_cselect_b32 s8, s20, s21
	s_delay_alu instid0(SALU_CYCLE_1)
	s_cmp_gt_i32 s3, s8
	s_cbranch_scc1 .LBB1924_17
; %bb.2:
	s_cmp_lt_i32 s10, 1
	s_cbranch_scc1 .LBB1924_17
; %bb.3:
	s_mov_b32 s2, s15
	s_clause 0x5
	s_load_b64 s[22:23], s[0:1], 0x20
	s_load_b128 s[16:19], s[0:1], 0x30
	s_load_b32 s8, s[0:1], 0x28
	s_load_b32 s11, s[0:1], 0x40
	s_load_b128 s[12:15], s[0:1], 0x48
	s_load_b32 s26, s[0:1], 0x58
	v_bfe_u32 v10, v0, 10, 10
	v_and_b32_e32 v11, 0x3ff, v0
	s_mov_b32 s3, 0
	s_load_b64 s[24:25], s[0:1], 0x60
	s_lshl_b64 s[0:1], s[2:3], 3
	v_add_nc_u32_e32 v0, s20, v10
	v_add_nc_u32_e32 v2, s21, v11
	v_lshlrev_b32_e32 v6, 4, v10
	s_delay_alu instid0(VALU_DEP_3) | instskip(NEXT) | instid1(VALU_DEP_3)
	v_ashrrev_i32_e32 v1, 31, v0
	v_cndmask_b32_e32 v7, v2, v0, vcc_lo
	v_ashrrev_i32_e32 v3, 31, v2
	v_cndmask_b32_e32 v8, v0, v2, vcc_lo
	s_waitcnt lgkmcnt(0)
	s_add_u32 s20, s22, s0
	s_addc_u32 s21, s23, s1
	s_add_u32 s18, s18, s0
	s_load_b64 s[20:21], s[20:21], 0x0
	s_addc_u32 s19, s19, s1
	s_add_u32 s0, s14, s0
	s_load_b64 s[18:19], s[18:19], 0x0
	s_addc_u32 s1, s15, s1
	v_mad_i64_i32 v[4:5], null, s26, v0, 0
	s_load_b64 s[14:15], s[0:1], 0x0
	v_cmp_gt_i32_e32 vcc_lo, s9, v2
	v_lshlrev_b64 v[2:3], 4, v[2:3]
	s_lshl_b64 s[16:17], s[16:17], 4
	v_cmp_gt_i32_e64 s0, s9, v0
	v_lshlrev_b64 v[0:1], 4, v[0:1]
	v_lshlrev_b64 v[4:5], 4, v[4:5]
	v_lshlrev_b32_e32 v12, 9, v11
	v_or_b32_e32 v14, 0x4000, v6
	s_delay_alu instid0(VALU_DEP_2)
	v_add_nc_u32_e32 v13, v12, v6
	s_waitcnt lgkmcnt(0)
	s_add_u32 s9, s20, s16
	s_addc_u32 s16, s21, s17
	s_lshl_b64 s[12:13], s[12:13], 4
	v_add_co_u32 v15, s1, s9, v2
	s_add_u32 s17, s18, s12
	s_addc_u32 s18, s19, s13
	s_lshl_b64 s[12:13], s[24:25], 4
	v_add_co_ci_u32_e64 v16, s1, s16, v3, s1
	v_add_co_u32 v17, s1, s17, v0
	s_add_u32 s2, s14, s12
	v_add_co_ci_u32_e64 v18, s1, s18, v1, s1
	s_addc_u32 s12, s15, s13
	v_add_co_u32 v4, s1, s2, v4
	s_delay_alu instid0(VALU_DEP_1) | instskip(SKIP_1) | instid1(VALU_DEP_3)
	v_add_co_ci_u32_e64 v5, s1, s12, v5, s1
	v_cmp_le_i32_e64 s1, v8, v7
	v_add_co_u32 v8, s2, v4, v2
	s_delay_alu instid0(VALU_DEP_1) | instskip(SKIP_1) | instid1(VALU_DEP_1)
	v_add_co_ci_u32_e64 v9, s2, v5, v3, s2
	v_add_co_u32 v20, s2, s17, v2
	v_add_co_ci_u32_e64 v21, s2, s18, v3, s2
	v_add_co_u32 v22, s2, s9, v0
	v_add_nc_u32_e32 v19, v14, v12
	v_add_co_ci_u32_e64 v23, s2, s16, v1, s2
	s_and_b32 s2, s0, vcc_lo
	s_delay_alu instid0(SALU_CYCLE_1)
	s_and_b32 s2, s2, s1
	s_branch .LBB1924_5
.LBB1924_4:                             ;   in Loop: Header=BB1924_5 Depth=1
	s_or_b32 exec_lo, exec_lo, s1
	s_add_i32 s3, s3, 32
	s_waitcnt_vscnt null, 0x0
	s_cmp_lt_i32 s3, s10
	s_barrier
	buffer_gl0_inv
	s_cbranch_scc0 .LBB1924_17
.LBB1924_5:                             ; =>This Inner Loop Header: Depth=1
	v_add_nc_u32_e32 v24, s3, v10
	v_mov_b32_e32 v0, 0
	v_mov_b32_e32 v1, 0
	s_delay_alu instid0(VALU_DEP_3) | instskip(NEXT) | instid1(VALU_DEP_2)
	v_cmp_gt_i32_e64 s1, s10, v24
	v_dual_mov_b32 v5, v1 :: v_dual_mov_b32 v4, v0
	v_dual_mov_b32 v7, v1 :: v_dual_mov_b32 v6, v0
	s_delay_alu instid0(VALU_DEP_3) | instskip(NEXT) | instid1(SALU_CYCLE_1)
	s_and_b32 s9, vcc_lo, s1
	s_and_saveexec_b32 s12, s9
	s_cbranch_execz .LBB1924_7
; %bb.6:                                ;   in Loop: Header=BB1924_5 Depth=1
	v_mad_i64_i32 v[2:3], null, v24, s8, 0
	s_delay_alu instid0(VALU_DEP_1) | instskip(NEXT) | instid1(VALU_DEP_1)
	v_lshlrev_b64 v[2:3], 4, v[2:3]
	v_add_co_u32 v2, s1, v15, v2
	s_delay_alu instid0(VALU_DEP_1)
	v_add_co_ci_u32_e64 v3, s1, v16, v3, s1
	global_load_b128 v[4:7], v[2:3], off
.LBB1924_7:                             ;   in Loop: Header=BB1924_5 Depth=1
	s_or_b32 exec_lo, exec_lo, s12
	v_add_nc_u32_e32 v25, s3, v11
	v_dual_mov_b32 v3, v1 :: v_dual_mov_b32 v2, v0
	s_waitcnt vmcnt(0)
	ds_store_b128 v13, v[4:7]
	v_cmp_gt_i32_e64 s1, s10, v25
	s_delay_alu instid0(VALU_DEP_1) | instskip(NEXT) | instid1(SALU_CYCLE_1)
	s_and_b32 s12, s0, s1
	s_and_saveexec_b32 s13, s12
	s_cbranch_execz .LBB1924_9
; %bb.8:                                ;   in Loop: Header=BB1924_5 Depth=1
	v_mad_i64_i32 v[0:1], null, v25, s11, 0
	s_delay_alu instid0(VALU_DEP_1) | instskip(NEXT) | instid1(VALU_DEP_1)
	v_lshlrev_b64 v[0:1], 4, v[0:1]
	v_add_co_u32 v0, s1, v17, v0
	s_delay_alu instid0(VALU_DEP_1)
	v_add_co_ci_u32_e64 v1, s1, v18, v1, s1
	global_load_b128 v[0:3], v[0:1], off
.LBB1924_9:                             ;   in Loop: Header=BB1924_5 Depth=1
	s_or_b32 exec_lo, exec_lo, s13
	s_waitcnt vmcnt(0)
	ds_store_b128 v19, v[0:3]
	s_waitcnt lgkmcnt(0)
	s_barrier
	buffer_gl0_inv
	s_and_saveexec_b32 s1, s2
	s_cbranch_execz .LBB1924_11
; %bb.10:                               ;   in Loop: Header=BB1924_5 Depth=1
	ds_load_b128 v[0:3], v14
	ds_load_b128 v[4:7], v12
	ds_load_b128 v[26:29], v12 offset:16
	ds_load_b128 v[30:33], v14 offset:512
	s_waitcnt lgkmcnt(2)
	v_mul_f64 v[34:35], v[0:1], v[6:7]
	v_mul_f64 v[6:7], v[2:3], v[6:7]
	s_waitcnt lgkmcnt(0)
	v_mul_f64 v[50:51], v[30:31], v[28:29]
	v_mul_f64 v[28:29], v[32:33], v[28:29]
	s_delay_alu instid0(VALU_DEP_4)
	v_fma_f64 v[2:3], v[2:3], v[4:5], v[34:35]
	ds_load_b128 v[34:37], v14 offset:1024
	ds_load_b128 v[38:41], v12 offset:32
	;; [unrolled: 1-line block ×4, first 2 shown]
	v_fma_f64 v[0:1], v[0:1], v[4:5], -v[6:7]
	v_fma_f64 v[4:5], v[32:33], v[26:27], v[50:51]
	v_fma_f64 v[54:55], v[30:31], v[26:27], -v[28:29]
	s_waitcnt lgkmcnt(2)
	v_mul_f64 v[52:53], v[34:35], v[40:41]
	v_mul_f64 v[40:41], v[36:37], v[40:41]
	s_waitcnt lgkmcnt(0)
	v_mul_f64 v[50:51], v[46:47], v[44:45]
	v_mul_f64 v[44:45], v[48:49], v[44:45]
	v_add_f64 v[2:3], v[2:3], 0
	v_fma_f64 v[36:37], v[36:37], v[38:39], v[52:53]
	v_add_f64 v[52:53], v[0:1], 0
	v_fma_f64 v[34:35], v[34:35], v[38:39], -v[40:41]
	v_fma_f64 v[38:39], v[48:49], v[42:43], v[50:51]
	v_add_f64 v[56:57], v[2:3], v[4:5]
	ds_load_b128 v[0:3], v12 offset:64
	ds_load_b128 v[4:7], v14 offset:2048
	ds_load_b128 v[26:29], v14 offset:2560
	ds_load_b128 v[30:33], v12 offset:80
	s_waitcnt lgkmcnt(2)
	v_mul_f64 v[58:59], v[4:5], v[2:3]
	v_add_f64 v[40:41], v[52:53], v[54:55]
	v_mul_f64 v[2:3], v[6:7], v[2:3]
	s_waitcnt lgkmcnt(0)
	v_mul_f64 v[50:51], v[26:27], v[32:33]
	v_fma_f64 v[52:53], v[46:47], v[42:43], -v[44:45]
	v_mul_f64 v[32:33], v[28:29], v[32:33]
	v_add_f64 v[36:37], v[56:57], v[36:37]
	v_fma_f64 v[6:7], v[6:7], v[0:1], v[58:59]
	v_add_f64 v[54:55], v[40:41], v[34:35]
	v_fma_f64 v[0:1], v[4:5], v[0:1], -v[2:3]
	v_fma_f64 v[2:3], v[28:29], v[30:31], v[50:51]
	v_add_f64 v[56:57], v[36:37], v[38:39]
	ds_load_b128 v[34:37], v12 offset:96
	ds_load_b128 v[38:41], v14 offset:3072
	ds_load_b128 v[42:45], v14 offset:3584
	ds_load_b128 v[46:49], v12 offset:112
	s_waitcnt lgkmcnt(2)
	v_mul_f64 v[58:59], v[38:39], v[36:37]
	v_add_f64 v[4:5], v[54:55], v[52:53]
	v_mul_f64 v[36:37], v[40:41], v[36:37]
	s_waitcnt lgkmcnt(0)
	v_mul_f64 v[50:51], v[42:43], v[48:49]
	v_fma_f64 v[52:53], v[26:27], v[30:31], -v[32:33]
	;; [unrolled: 18-line block ×11, first 2 shown]
	v_mul_f64 v[32:33], v[28:29], v[32:33]
	v_add_f64 v[40:41], v[56:57], v[40:41]
	v_fma_f64 v[6:7], v[6:7], v[0:1], v[58:59]
	v_add_f64 v[54:55], v[38:39], v[34:35]
	v_fma_f64 v[0:1], v[4:5], v[0:1], -v[2:3]
	v_fma_f64 v[2:3], v[28:29], v[30:31], v[50:51]
	v_add_f64 v[56:57], v[40:41], v[36:37]
	ds_load_b128 v[34:37], v12 offset:416
	ds_load_b128 v[38:41], v14 offset:13312
	;; [unrolled: 1-line block ×4, first 2 shown]
	s_waitcnt lgkmcnt(2)
	v_mul_f64 v[58:59], v[38:39], v[36:37]
	v_add_f64 v[4:5], v[54:55], v[52:53]
	v_mul_f64 v[36:37], v[40:41], v[36:37]
	s_waitcnt lgkmcnt(0)
	v_mul_f64 v[54:55], v[42:43], v[48:49]
	v_mul_f64 v[48:49], v[44:45], v[48:49]
	v_add_f64 v[6:7], v[56:57], v[6:7]
	v_fma_f64 v[56:57], v[26:27], v[30:31], -v[32:33]
	v_fma_f64 v[40:41], v[40:41], v[34:35], v[58:59]
	v_add_f64 v[58:59], v[4:5], v[0:1]
	v_fma_f64 v[34:35], v[38:39], v[34:35], -v[36:37]
	v_fma_f64 v[36:37], v[44:45], v[46:47], v[54:55]
	v_add_f64 v[60:61], v[6:7], v[2:3]
	ds_load_b128 v[0:3], v12 offset:448
	ds_load_b128 v[4:7], v14 offset:14336
	global_load_b128 v[26:29], v[8:9], off
	ds_load_b128 v[30:33], v14 offset:14848
	ds_load_b128 v[50:53], v12 offset:464
	v_add_f64 v[38:39], v[58:59], v[56:57]
	s_waitcnt lgkmcnt(2)
	v_mul_f64 v[62:63], v[4:5], v[2:3]
	v_mul_f64 v[2:3], v[6:7], v[2:3]
	s_waitcnt lgkmcnt(0)
	v_mul_f64 v[54:55], v[30:31], v[52:53]
	v_fma_f64 v[56:57], v[42:43], v[46:47], -v[48:49]
	v_mul_f64 v[52:53], v[32:33], v[52:53]
	v_add_f64 v[40:41], v[60:61], v[40:41]
	v_add_f64 v[58:59], v[38:39], v[34:35]
	v_fma_f64 v[6:7], v[6:7], v[0:1], v[62:63]
	v_fma_f64 v[0:1], v[4:5], v[0:1], -v[2:3]
	v_fma_f64 v[2:3], v[32:33], v[50:51], v[54:55]
	v_fma_f64 v[30:31], v[30:31], v[50:51], -v[52:53]
	v_add_f64 v[60:61], v[40:41], v[36:37]
	ds_load_b128 v[34:37], v12 offset:480
	ds_load_b128 v[38:41], v14 offset:15360
	;; [unrolled: 1-line block ×4, first 2 shown]
	s_waitcnt lgkmcnt(2)
	v_mul_f64 v[62:63], v[38:39], v[36:37]
	v_add_f64 v[4:5], v[58:59], v[56:57]
	v_mul_f64 v[32:33], v[40:41], v[36:37]
	s_waitcnt lgkmcnt(0)
	v_mul_f64 v[36:37], v[42:43], v[48:49]
	v_add_f64 v[6:7], v[60:61], v[6:7]
	v_fma_f64 v[40:41], v[40:41], v[34:35], v[62:63]
	v_add_f64 v[0:1], v[4:5], v[0:1]
	v_mul_f64 v[4:5], v[44:45], v[48:49]
	s_delay_alu instid0(VALU_DEP_4)
	v_add_f64 v[2:3], v[6:7], v[2:3]
	v_fma_f64 v[6:7], v[38:39], v[34:35], -v[32:33]
	v_fma_f64 v[32:33], v[44:45], v[46:47], v[36:37]
	v_add_f64 v[0:1], v[0:1], v[30:31]
	v_fma_f64 v[4:5], v[42:43], v[46:47], -v[4:5]
	v_add_f64 v[2:3], v[2:3], v[40:41]
	s_delay_alu instid0(VALU_DEP_3) | instskip(NEXT) | instid1(VALU_DEP_2)
	v_add_f64 v[0:1], v[0:1], v[6:7]
	v_add_f64 v[2:3], v[2:3], v[32:33]
	s_delay_alu instid0(VALU_DEP_2) | instskip(NEXT) | instid1(VALU_DEP_2)
	v_add_f64 v[0:1], v[0:1], v[4:5]
	v_mul_f64 v[4:5], s[6:7], v[2:3]
	v_mul_f64 v[2:3], s[4:5], v[2:3]
	s_delay_alu instid0(VALU_DEP_2) | instskip(NEXT) | instid1(VALU_DEP_2)
	v_fma_f64 v[4:5], s[4:5], v[0:1], -v[4:5]
	v_fma_f64 v[2:3], s[6:7], v[0:1], v[2:3]
	s_waitcnt vmcnt(0)
	s_delay_alu instid0(VALU_DEP_2) | instskip(NEXT) | instid1(VALU_DEP_2)
	v_add_f64 v[0:1], v[26:27], v[4:5]
	v_add_f64 v[2:3], v[28:29], v[2:3]
	global_store_b128 v[8:9], v[0:3], off
.LBB1924_11:                            ;   in Loop: Header=BB1924_5 Depth=1
	s_or_b32 exec_lo, exec_lo, s1
	v_mov_b32_e32 v2, 0
	v_mov_b32_e32 v3, 0
	s_waitcnt_vscnt null, 0x0
	s_barrier
	buffer_gl0_inv
	v_dual_mov_b32 v7, v3 :: v_dual_mov_b32 v6, v2
	v_dual_mov_b32 v5, v3 :: v_dual_mov_b32 v4, v2
	s_and_saveexec_b32 s13, s9
	s_cbranch_execz .LBB1924_13
; %bb.12:                               ;   in Loop: Header=BB1924_5 Depth=1
	v_mad_i64_i32 v[0:1], null, v24, s11, 0
	s_delay_alu instid0(VALU_DEP_1) | instskip(NEXT) | instid1(VALU_DEP_1)
	v_lshlrev_b64 v[0:1], 4, v[0:1]
	v_add_co_u32 v0, s1, v20, v0
	s_delay_alu instid0(VALU_DEP_1)
	v_add_co_ci_u32_e64 v1, s1, v21, v1, s1
	global_load_b128 v[4:7], v[0:1], off
.LBB1924_13:                            ;   in Loop: Header=BB1924_5 Depth=1
	s_or_b32 exec_lo, exec_lo, s13
	v_dual_mov_b32 v0, v2 :: v_dual_mov_b32 v1, v3
	s_waitcnt vmcnt(0)
	ds_store_b128 v13, v[4:7]
	s_and_saveexec_b32 s9, s12
	s_cbranch_execz .LBB1924_15
; %bb.14:                               ;   in Loop: Header=BB1924_5 Depth=1
	v_mad_i64_i32 v[0:1], null, v25, s8, 0
	s_delay_alu instid0(VALU_DEP_1) | instskip(NEXT) | instid1(VALU_DEP_1)
	v_lshlrev_b64 v[0:1], 4, v[0:1]
	v_add_co_u32 v0, s1, v22, v0
	s_delay_alu instid0(VALU_DEP_1)
	v_add_co_ci_u32_e64 v1, s1, v23, v1, s1
	global_load_b128 v[0:3], v[0:1], off
.LBB1924_15:                            ;   in Loop: Header=BB1924_5 Depth=1
	s_or_b32 exec_lo, exec_lo, s9
	s_waitcnt vmcnt(0)
	ds_store_b128 v19, v[0:3]
	s_waitcnt lgkmcnt(0)
	s_barrier
	buffer_gl0_inv
	s_and_saveexec_b32 s1, s2
	s_cbranch_execz .LBB1924_4
; %bb.16:                               ;   in Loop: Header=BB1924_5 Depth=1
	ds_load_b128 v[0:3], v14
	ds_load_b128 v[4:7], v12
	ds_load_b128 v[24:27], v12 offset:16
	ds_load_b128 v[28:31], v14 offset:512
	s_waitcnt lgkmcnt(2)
	v_mul_f64 v[32:33], v[0:1], v[6:7]
	v_mul_f64 v[6:7], v[2:3], v[6:7]
	s_waitcnt lgkmcnt(0)
	v_mul_f64 v[40:41], v[30:31], v[26:27]
	v_mul_f64 v[26:27], v[28:29], v[26:27]
	s_delay_alu instid0(VALU_DEP_4) | instskip(NEXT) | instid1(VALU_DEP_4)
	v_fma_f64 v[42:43], v[2:3], v[4:5], v[32:33]
	v_fma_f64 v[44:45], v[0:1], v[4:5], -v[6:7]
	ds_load_b128 v[0:3], v14 offset:1024
	ds_load_b128 v[4:7], v12 offset:32
	;; [unrolled: 1-line block ×4, first 2 shown]
	v_fma_f64 v[28:29], v[28:29], v[24:25], -v[40:41]
	v_fma_f64 v[24:25], v[30:31], v[24:25], v[26:27]
	s_waitcnt lgkmcnt(2)
	v_mul_f64 v[46:47], v[2:3], v[6:7]
	v_mul_f64 v[6:7], v[0:1], v[6:7]
	s_waitcnt lgkmcnt(0)
	v_mul_f64 v[40:41], v[38:39], v[34:35]
	v_mul_f64 v[34:35], v[36:37], v[34:35]
	v_add_f64 v[26:27], v[42:43], 0
	v_add_f64 v[30:31], v[44:45], 0
	v_fma_f64 v[42:43], v[0:1], v[4:5], -v[46:47]
	v_fma_f64 v[44:45], v[2:3], v[4:5], v[6:7]
	v_fma_f64 v[36:37], v[36:37], v[32:33], -v[40:41]
	v_fma_f64 v[32:33], v[38:39], v[32:33], v[34:35]
	v_add_f64 v[46:47], v[26:27], v[24:25]
	v_add_f64 v[48:49], v[30:31], v[28:29]
	ds_load_b128 v[0:3], v12 offset:64
	ds_load_b128 v[4:7], v14 offset:2048
	ds_load_b128 v[24:27], v14 offset:2560
	ds_load_b128 v[28:31], v12 offset:80
	s_waitcnt lgkmcnt(2)
	v_mul_f64 v[50:51], v[6:7], v[2:3]
	v_mul_f64 v[2:3], v[4:5], v[2:3]
	s_waitcnt lgkmcnt(0)
	v_mul_f64 v[40:41], v[26:27], v[30:31]
	v_add_f64 v[34:35], v[46:47], v[44:45]
	v_add_f64 v[38:39], v[48:49], v[42:43]
	v_mul_f64 v[42:43], v[24:25], v[30:31]
	v_fma_f64 v[44:45], v[4:5], v[0:1], -v[50:51]
	v_fma_f64 v[46:47], v[6:7], v[0:1], v[2:3]
	v_fma_f64 v[24:25], v[24:25], v[28:29], -v[40:41]
	v_add_f64 v[48:49], v[34:35], v[32:33]
	v_add_f64 v[38:39], v[38:39], v[36:37]
	ds_load_b128 v[0:3], v12 offset:96
	ds_load_b128 v[4:7], v14 offset:3072
	ds_load_b128 v[30:33], v14 offset:3584
	ds_load_b128 v[34:37], v12 offset:112
	v_fma_f64 v[26:27], v[26:27], v[28:29], v[42:43]
	s_waitcnt lgkmcnt(2)
	v_mul_f64 v[50:51], v[6:7], v[2:3]
	v_mul_f64 v[2:3], v[4:5], v[2:3]
	s_waitcnt lgkmcnt(0)
	v_mul_f64 v[40:41], v[32:33], v[36:37]
	v_mul_f64 v[42:43], v[30:31], v[36:37]
	v_add_f64 v[28:29], v[48:49], v[46:47]
	v_add_f64 v[38:39], v[38:39], v[44:45]
	v_fma_f64 v[44:45], v[4:5], v[0:1], -v[50:51]
	v_fma_f64 v[46:47], v[6:7], v[0:1], v[2:3]
	v_fma_f64 v[30:31], v[30:31], v[34:35], -v[40:41]
	v_fma_f64 v[32:33], v[32:33], v[34:35], v[42:43]
	v_add_f64 v[28:29], v[28:29], v[26:27]
	v_add_f64 v[48:49], v[38:39], v[24:25]
	ds_load_b128 v[0:3], v12 offset:128
	ds_load_b128 v[4:7], v14 offset:4096
	ds_load_b128 v[24:27], v14 offset:4608
	ds_load_b128 v[36:39], v12 offset:144
	s_waitcnt lgkmcnt(2)
	v_mul_f64 v[50:51], v[6:7], v[2:3]
	v_mul_f64 v[2:3], v[4:5], v[2:3]
	s_waitcnt lgkmcnt(0)
	v_mul_f64 v[40:41], v[26:27], v[38:39]
	v_mul_f64 v[38:39], v[24:25], v[38:39]
	v_add_f64 v[28:29], v[28:29], v[46:47]
	v_add_f64 v[34:35], v[48:49], v[44:45]
	v_fma_f64 v[42:43], v[4:5], v[0:1], -v[50:51]
	v_fma_f64 v[44:45], v[6:7], v[0:1], v[2:3]
	v_fma_f64 v[24:25], v[24:25], v[36:37], -v[40:41]
	v_fma_f64 v[26:27], v[26:27], v[36:37], v[38:39]
	v_add_f64 v[46:47], v[28:29], v[32:33]
	v_add_f64 v[48:49], v[34:35], v[30:31]
	ds_load_b128 v[0:3], v12 offset:160
	ds_load_b128 v[4:7], v14 offset:5120
	ds_load_b128 v[28:31], v14 offset:5632
	ds_load_b128 v[32:35], v12 offset:176
	s_waitcnt lgkmcnt(2)
	v_mul_f64 v[50:51], v[6:7], v[2:3]
	v_mul_f64 v[2:3], v[4:5], v[2:3]
	s_waitcnt lgkmcnt(0)
	v_mul_f64 v[40:41], v[30:31], v[34:35]
	v_add_f64 v[36:37], v[46:47], v[44:45]
	v_add_f64 v[38:39], v[48:49], v[42:43]
	v_mul_f64 v[42:43], v[28:29], v[34:35]
	v_fma_f64 v[44:45], v[4:5], v[0:1], -v[50:51]
	v_fma_f64 v[46:47], v[6:7], v[0:1], v[2:3]
	v_fma_f64 v[28:29], v[28:29], v[32:33], -v[40:41]
	v_add_f64 v[48:49], v[36:37], v[26:27]
	v_add_f64 v[38:39], v[38:39], v[24:25]
	ds_load_b128 v[0:3], v12 offset:192
	ds_load_b128 v[4:7], v14 offset:6144
	ds_load_b128 v[24:27], v14 offset:6656
	ds_load_b128 v[34:37], v12 offset:208
	v_fma_f64 v[30:31], v[30:31], v[32:33], v[42:43]
	s_waitcnt lgkmcnt(2)
	v_mul_f64 v[50:51], v[6:7], v[2:3]
	v_mul_f64 v[2:3], v[4:5], v[2:3]
	s_waitcnt lgkmcnt(0)
	v_mul_f64 v[40:41], v[26:27], v[36:37]
	v_mul_f64 v[42:43], v[24:25], v[36:37]
	v_add_f64 v[32:33], v[48:49], v[46:47]
	v_add_f64 v[38:39], v[38:39], v[44:45]
	v_fma_f64 v[44:45], v[4:5], v[0:1], -v[50:51]
	v_fma_f64 v[46:47], v[6:7], v[0:1], v[2:3]
	v_fma_f64 v[24:25], v[24:25], v[34:35], -v[40:41]
	v_fma_f64 v[26:27], v[26:27], v[34:35], v[42:43]
	v_add_f64 v[32:33], v[32:33], v[30:31]
	v_add_f64 v[48:49], v[38:39], v[28:29]
	ds_load_b128 v[0:3], v12 offset:224
	ds_load_b128 v[4:7], v14 offset:7168
	ds_load_b128 v[28:31], v14 offset:7680
	ds_load_b128 v[36:39], v12 offset:240
	;; [unrolled: 54-line block ×4, first 2 shown]
	s_waitcnt lgkmcnt(2)
	v_mul_f64 v[50:51], v[6:7], v[2:3]
	v_mul_f64 v[2:3], v[4:5], v[2:3]
	s_waitcnt lgkmcnt(0)
	v_mul_f64 v[42:43], v[30:31], v[38:39]
	v_add_f64 v[32:33], v[32:33], v[46:47]
	v_add_f64 v[34:35], v[48:49], v[44:45]
	v_mul_f64 v[44:45], v[28:29], v[38:39]
	v_fma_f64 v[46:47], v[4:5], v[0:1], -v[50:51]
	v_fma_f64 v[48:49], v[6:7], v[0:1], v[2:3]
	ds_load_b128 v[0:3], v12 offset:448
	ds_load_b128 v[4:7], v14 offset:14336
	v_fma_f64 v[28:29], v[28:29], v[36:37], -v[42:43]
	v_add_f64 v[50:51], v[32:33], v[26:27]
	v_add_f64 v[52:53], v[34:35], v[24:25]
	global_load_b128 v[24:27], v[8:9], off
	v_fma_f64 v[30:31], v[30:31], v[36:37], v[44:45]
	s_waitcnt lgkmcnt(0)
	v_mul_f64 v[54:55], v[6:7], v[2:3]
	v_mul_f64 v[2:3], v[4:5], v[2:3]
	ds_load_b128 v[32:35], v14 offset:14848
	ds_load_b128 v[38:41], v12 offset:464
	s_waitcnt lgkmcnt(0)
	v_mul_f64 v[44:45], v[34:35], v[40:41]
	v_add_f64 v[36:37], v[50:51], v[48:49]
	v_add_f64 v[42:43], v[52:53], v[46:47]
	v_mul_f64 v[46:47], v[32:33], v[40:41]
	v_fma_f64 v[48:49], v[4:5], v[0:1], -v[54:55]
	v_fma_f64 v[50:51], v[6:7], v[0:1], v[2:3]
	v_fma_f64 v[32:33], v[32:33], v[38:39], -v[44:45]
	v_add_f64 v[36:37], v[36:37], v[30:31]
	v_add_f64 v[52:53], v[42:43], v[28:29]
	ds_load_b128 v[0:3], v12 offset:480
	ds_load_b128 v[4:7], v14 offset:15360
	;; [unrolled: 1-line block ×4, first 2 shown]
	v_fma_f64 v[34:35], v[34:35], v[38:39], v[46:47]
	s_waitcnt lgkmcnt(2)
	v_mul_f64 v[54:55], v[6:7], v[2:3]
	v_mul_f64 v[2:3], v[4:5], v[2:3]
	s_waitcnt lgkmcnt(0)
	v_mul_f64 v[44:45], v[30:31], v[42:43]
	v_mul_f64 v[42:43], v[28:29], v[42:43]
	v_add_f64 v[36:37], v[36:37], v[50:51]
	v_add_f64 v[38:39], v[52:53], v[48:49]
	v_fma_f64 v[4:5], v[4:5], v[0:1], -v[54:55]
	v_fma_f64 v[0:1], v[6:7], v[0:1], v[2:3]
	v_fma_f64 v[28:29], v[28:29], v[40:41], -v[44:45]
	v_fma_f64 v[30:31], v[30:31], v[40:41], v[42:43]
	v_add_f64 v[2:3], v[36:37], v[34:35]
	v_add_f64 v[6:7], v[38:39], v[32:33]
	s_delay_alu instid0(VALU_DEP_2) | instskip(NEXT) | instid1(VALU_DEP_2)
	v_add_f64 v[0:1], v[2:3], v[0:1]
	v_add_f64 v[2:3], v[6:7], v[4:5]
	s_delay_alu instid0(VALU_DEP_2) | instskip(NEXT) | instid1(VALU_DEP_2)
	;; [unrolled: 3-line block ×3, first 2 shown]
	v_mul_f64 v[4:5], s[6:7], v[0:1]
	v_mul_f64 v[6:7], s[6:7], v[2:3]
	s_delay_alu instid0(VALU_DEP_2) | instskip(NEXT) | instid1(VALU_DEP_2)
	v_fma_f64 v[2:3], s[4:5], v[2:3], -v[4:5]
	v_fma_f64 v[4:5], s[4:5], v[0:1], v[6:7]
	s_waitcnt vmcnt(0)
	s_delay_alu instid0(VALU_DEP_2) | instskip(NEXT) | instid1(VALU_DEP_2)
	v_add_f64 v[0:1], v[24:25], v[2:3]
	v_add_f64 v[2:3], v[26:27], v[4:5]
	global_store_b128 v[8:9], v[0:3], off
	s_branch .LBB1924_4
.LBB1924_17:
	s_endpgm
	.section	.rodata,"a",@progbits
	.p2align	6, 0x0
	.amdhsa_kernel _ZL26rocblas_syr2k_her2k_kernelIiLb1ELb0ELb0ELi32E19rocblas_complex_numIdEPKPKS1_PKPS1_EvbiT_T4_T5_S9_lSB_S9_lT6_S9_li
		.amdhsa_group_segment_fixed_size 32768
		.amdhsa_private_segment_fixed_size 0
		.amdhsa_kernarg_size 108
		.amdhsa_user_sgpr_count 13
		.amdhsa_user_sgpr_dispatch_ptr 0
		.amdhsa_user_sgpr_queue_ptr 0
		.amdhsa_user_sgpr_kernarg_segment_ptr 1
		.amdhsa_user_sgpr_dispatch_id 0
		.amdhsa_user_sgpr_private_segment_size 0
		.amdhsa_wavefront_size32 1
		.amdhsa_uses_dynamic_stack 0
		.amdhsa_enable_private_segment 0
		.amdhsa_system_sgpr_workgroup_id_x 1
		.amdhsa_system_sgpr_workgroup_id_y 1
		.amdhsa_system_sgpr_workgroup_id_z 1
		.amdhsa_system_sgpr_workgroup_info 0
		.amdhsa_system_vgpr_workitem_id 1
		.amdhsa_next_free_vgpr 64
		.amdhsa_next_free_sgpr 27
		.amdhsa_reserve_vcc 1
		.amdhsa_float_round_mode_32 0
		.amdhsa_float_round_mode_16_64 0
		.amdhsa_float_denorm_mode_32 3
		.amdhsa_float_denorm_mode_16_64 3
		.amdhsa_dx10_clamp 1
		.amdhsa_ieee_mode 1
		.amdhsa_fp16_overflow 0
		.amdhsa_workgroup_processor_mode 1
		.amdhsa_memory_ordered 1
		.amdhsa_forward_progress 0
		.amdhsa_shared_vgpr_count 0
		.amdhsa_exception_fp_ieee_invalid_op 0
		.amdhsa_exception_fp_denorm_src 0
		.amdhsa_exception_fp_ieee_div_zero 0
		.amdhsa_exception_fp_ieee_overflow 0
		.amdhsa_exception_fp_ieee_underflow 0
		.amdhsa_exception_fp_ieee_inexact 0
		.amdhsa_exception_int_div_zero 0
	.end_amdhsa_kernel
	.section	.text._ZL26rocblas_syr2k_her2k_kernelIiLb1ELb0ELb0ELi32E19rocblas_complex_numIdEPKPKS1_PKPS1_EvbiT_T4_T5_S9_lSB_S9_lT6_S9_li,"axG",@progbits,_ZL26rocblas_syr2k_her2k_kernelIiLb1ELb0ELb0ELi32E19rocblas_complex_numIdEPKPKS1_PKPS1_EvbiT_T4_T5_S9_lSB_S9_lT6_S9_li,comdat
.Lfunc_end1924:
	.size	_ZL26rocblas_syr2k_her2k_kernelIiLb1ELb0ELb0ELi32E19rocblas_complex_numIdEPKPKS1_PKPS1_EvbiT_T4_T5_S9_lSB_S9_lT6_S9_li, .Lfunc_end1924-_ZL26rocblas_syr2k_her2k_kernelIiLb1ELb0ELb0ELi32E19rocblas_complex_numIdEPKPKS1_PKPS1_EvbiT_T4_T5_S9_lSB_S9_lT6_S9_li
                                        ; -- End function
	.section	.AMDGPU.csdata,"",@progbits
; Kernel info:
; codeLenInByte = 5560
; NumSgprs: 29
; NumVgprs: 64
; ScratchSize: 0
; MemoryBound: 1
; FloatMode: 240
; IeeeMode: 1
; LDSByteSize: 32768 bytes/workgroup (compile time only)
; SGPRBlocks: 3
; VGPRBlocks: 7
; NumSGPRsForWavesPerEU: 29
; NumVGPRsForWavesPerEU: 64
; Occupancy: 16
; WaveLimiterHint : 1
; COMPUTE_PGM_RSRC2:SCRATCH_EN: 0
; COMPUTE_PGM_RSRC2:USER_SGPR: 13
; COMPUTE_PGM_RSRC2:TRAP_HANDLER: 0
; COMPUTE_PGM_RSRC2:TGID_X_EN: 1
; COMPUTE_PGM_RSRC2:TGID_Y_EN: 1
; COMPUTE_PGM_RSRC2:TGID_Z_EN: 1
; COMPUTE_PGM_RSRC2:TIDIG_COMP_CNT: 1
	.section	.text._ZL26rocblas_syr2k_her2k_kernelIiLb1ELb0ELb1ELi32E19rocblas_complex_numIdEPKPKS1_PKPS1_EvbiT_T4_T5_S9_lSB_S9_lT6_S9_li,"axG",@progbits,_ZL26rocblas_syr2k_her2k_kernelIiLb1ELb0ELb1ELi32E19rocblas_complex_numIdEPKPKS1_PKPS1_EvbiT_T4_T5_S9_lSB_S9_lT6_S9_li,comdat
	.globl	_ZL26rocblas_syr2k_her2k_kernelIiLb1ELb0ELb1ELi32E19rocblas_complex_numIdEPKPKS1_PKPS1_EvbiT_T4_T5_S9_lSB_S9_lT6_S9_li ; -- Begin function _ZL26rocblas_syr2k_her2k_kernelIiLb1ELb0ELb1ELi32E19rocblas_complex_numIdEPKPKS1_PKPS1_EvbiT_T4_T5_S9_lSB_S9_lT6_S9_li
	.p2align	8
	.type	_ZL26rocblas_syr2k_her2k_kernelIiLb1ELb0ELb1ELi32E19rocblas_complex_numIdEPKPKS1_PKPS1_EvbiT_T4_T5_S9_lSB_S9_lT6_S9_li,@function
_ZL26rocblas_syr2k_her2k_kernelIiLb1ELb0ELb1ELi32E19rocblas_complex_numIdEPKPKS1_PKPS1_EvbiT_T4_T5_S9_lSB_S9_lT6_S9_li: ; @_ZL26rocblas_syr2k_her2k_kernelIiLb1ELb0ELb1ELi32E19rocblas_complex_numIdEPKPKS1_PKPS1_EvbiT_T4_T5_S9_lSB_S9_lT6_S9_li
; %bb.0:
	s_load_b128 s[4:7], s[0:1], 0x10
	s_waitcnt lgkmcnt(0)
	v_cmp_eq_f64_e64 s3, s[4:5], 0
	v_cmp_eq_f64_e64 s8, s[6:7], 0
	s_delay_alu instid0(VALU_DEP_1) | instskip(NEXT) | instid1(SALU_CYCLE_1)
	s_and_b32 s3, s3, s8
	s_and_b32 vcc_lo, exec_lo, s3
	s_cbranch_vccnz .LBB1925_17
; %bb.1:
	s_load_b128 s[8:11], s[0:1], 0x0
	s_waitcnt lgkmcnt(0)
	s_lshl_b32 s11, s14, 5
	s_and_b32 s3, 1, s8
	s_lshl_b32 s8, s13, 5
	s_cmp_eq_u32 s3, 1
	s_cselect_b32 vcc_lo, -1, 0
	s_delay_alu instid0(SALU_CYCLE_1) | instskip(SKIP_2) | instid1(SALU_CYCLE_1)
	s_and_b32 s3, vcc_lo, exec_lo
	s_cselect_b32 s3, s8, s11
	s_cselect_b32 s12, s11, s8
	s_cmp_gt_i32 s3, s12
	s_cbranch_scc1 .LBB1925_17
; %bb.2:
	s_cmp_lt_i32 s10, 1
	s_cbranch_scc1 .LBB1925_17
; %bb.3:
	s_mov_b32 s2, s15
	s_clause 0x5
	s_load_b64 s[20:21], s[0:1], 0x20
	s_load_b128 s[16:19], s[0:1], 0x30
	s_load_b32 s24, s[0:1], 0x28
	s_load_b32 s25, s[0:1], 0x40
	s_load_b128 s[12:15], s[0:1], 0x48
	s_load_b32 s26, s[0:1], 0x58
	s_mov_b32 s3, 0
	s_load_b64 s[22:23], s[0:1], 0x60
	s_lshl_b64 s[0:1], s[2:3], 3
	v_and_b32_e32 v15, 0x3ff, v0
	v_bfe_u32 v14, v0, 10, 10
	s_delay_alu instid0(VALU_DEP_2) | instskip(NEXT) | instid1(VALU_DEP_2)
	v_add_nc_u32_e32 v0, s8, v15
	v_add_nc_u32_e32 v8, s11, v14
	v_lshlrev_b32_e32 v9, 4, v14
	v_lshlrev_b32_e32 v16, 9, v15
	s_delay_alu instid0(VALU_DEP_4) | instskip(NEXT) | instid1(VALU_DEP_4)
	v_ashrrev_i32_e32 v1, 31, v0
	v_cndmask_b32_e32 v11, v8, v0, vcc_lo
	s_waitcnt lgkmcnt(0)
	s_add_u32 s20, s20, s0
	s_addc_u32 s21, s21, s1
	s_add_u32 s18, s18, s0
	s_load_b64 s[20:21], s[20:21], 0x0
	s_addc_u32 s19, s19, s1
	s_add_u32 s0, s14, s0
	s_load_b64 s[18:19], s[18:19], 0x0
	s_addc_u32 s1, s15, s1
	v_mad_i64_i32 v[2:3], null, s24, v0, 0
	s_load_b64 s[14:15], s[0:1], 0x0
	v_mad_i64_i32 v[4:5], null, s25, v8, 0
	v_mad_i64_i32 v[6:7], null, s26, v8, 0
	v_cndmask_b32_e32 v10, v0, v8, vcc_lo
	s_delay_alu instid0(VALU_DEP_4)
	v_lshlrev_b64 v[2:3], 4, v[2:3]
	v_cmp_gt_i32_e32 vcc_lo, s9, v0
	v_cmp_gt_i32_e64 s0, s9, v8
	s_lshl_b64 s[8:9], s[16:17], 4
	v_lshlrev_b64 v[4:5], 4, v[4:5]
	v_add_nc_u32_e32 v17, v16, v9
	v_or_b32_e32 v20, 0x4000, v9
	s_waitcnt lgkmcnt(0)
	s_add_u32 s11, s20, s8
	s_addc_u32 s16, s21, s9
	s_lshl_b64 s[8:9], s[12:13], 4
	v_add_co_u32 v18, s1, s11, v2
	s_add_u32 s12, s18, s8
	v_add_co_ci_u32_e64 v19, s1, s16, v3, s1
	s_addc_u32 s13, s19, s9
	v_add_co_u32 v21, s1, s12, v4
	v_lshlrev_b64 v[2:3], 4, v[6:7]
	s_lshl_b64 s[8:9], s[22:23], 4
	v_add_co_ci_u32_e64 v22, s1, s13, v5, s1
	v_mad_i64_i32 v[4:5], null, s25, v0, 0
	s_add_u32 s2, s14, s8
	v_lshlrev_b64 v[0:1], 4, v[0:1]
	v_mad_i64_i32 v[6:7], null, s24, v8, 0
	s_addc_u32 s8, s15, s9
	v_add_co_u32 v8, s2, s2, v2
	s_delay_alu instid0(VALU_DEP_1) | instskip(SKIP_1) | instid1(VALU_DEP_3)
	v_add_co_ci_u32_e64 v9, s2, s8, v3, s2
	v_lshlrev_b64 v[2:3], 4, v[4:5]
	v_add_co_u32 v8, s2, v8, v0
	s_delay_alu instid0(VALU_DEP_1) | instskip(SKIP_1) | instid1(VALU_DEP_4)
	v_add_co_ci_u32_e64 v9, s2, v9, v1, s2
	v_lshlrev_b64 v[0:1], 4, v[6:7]
	v_add_co_u32 v24, s2, s12, v2
	s_delay_alu instid0(VALU_DEP_1) | instskip(SKIP_1) | instid1(VALU_DEP_4)
	v_add_co_ci_u32_e64 v25, s2, s13, v3, s2
	v_cmp_le_i32_e64 s1, v11, v10
	v_add_co_u32 v26, s2, s11, v0
	v_add_nc_u32_e32 v23, v20, v16
	v_add_co_ci_u32_e64 v27, s2, s16, v1, s2
	s_and_b32 s2, s0, vcc_lo
	s_delay_alu instid0(SALU_CYCLE_1)
	s_and_b32 s2, s2, s1
	s_branch .LBB1925_5
.LBB1925_4:                             ;   in Loop: Header=BB1925_5 Depth=1
	s_or_b32 exec_lo, exec_lo, s1
	s_add_i32 s3, s3, 32
	s_waitcnt_vscnt null, 0x0
	s_cmp_lt_i32 s3, s10
	s_barrier
	buffer_gl0_inv
	s_cbranch_scc0 .LBB1925_17
.LBB1925_5:                             ; =>This Inner Loop Header: Depth=1
	v_add_nc_u32_e32 v10, s3, v14
	v_mov_b32_e32 v0, 0
	v_mov_b32_e32 v1, 0
	s_delay_alu instid0(VALU_DEP_3) | instskip(NEXT) | instid1(VALU_DEP_2)
	v_cmp_gt_i32_e64 s1, s10, v10
	v_dual_mov_b32 v5, v1 :: v_dual_mov_b32 v4, v0
	v_dual_mov_b32 v7, v1 :: v_dual_mov_b32 v6, v0
	s_delay_alu instid0(VALU_DEP_3) | instskip(NEXT) | instid1(SALU_CYCLE_1)
	s_and_b32 s8, vcc_lo, s1
	s_and_saveexec_b32 s9, s8
	s_cbranch_execz .LBB1925_7
; %bb.6:                                ;   in Loop: Header=BB1925_5 Depth=1
	v_ashrrev_i32_e32 v11, 31, v10
	s_delay_alu instid0(VALU_DEP_1) | instskip(NEXT) | instid1(VALU_DEP_1)
	v_lshlrev_b64 v[2:3], 4, v[10:11]
	v_add_co_u32 v2, s1, v18, v2
	s_delay_alu instid0(VALU_DEP_1)
	v_add_co_ci_u32_e64 v3, s1, v19, v3, s1
	global_load_b128 v[4:7], v[2:3], off
.LBB1925_7:                             ;   in Loop: Header=BB1925_5 Depth=1
	s_or_b32 exec_lo, exec_lo, s9
	v_dual_mov_b32 v3, v1 :: v_dual_add_nc_u32 v12, s3, v15
	v_mov_b32_e32 v2, v0
	s_waitcnt vmcnt(0)
	ds_store_b128 v17, v[4:7]
	v_cmp_gt_i32_e64 s1, s10, v12
	s_delay_alu instid0(VALU_DEP_1) | instskip(NEXT) | instid1(SALU_CYCLE_1)
	s_and_b32 s9, s0, s1
	s_and_saveexec_b32 s11, s9
	s_cbranch_execz .LBB1925_9
; %bb.8:                                ;   in Loop: Header=BB1925_5 Depth=1
	v_ashrrev_i32_e32 v13, 31, v12
	s_delay_alu instid0(VALU_DEP_1) | instskip(NEXT) | instid1(VALU_DEP_1)
	v_lshlrev_b64 v[0:1], 4, v[12:13]
	v_add_co_u32 v0, s1, v21, v0
	s_delay_alu instid0(VALU_DEP_1)
	v_add_co_ci_u32_e64 v1, s1, v22, v1, s1
	global_load_b128 v[0:3], v[0:1], off
.LBB1925_9:                             ;   in Loop: Header=BB1925_5 Depth=1
	s_or_b32 exec_lo, exec_lo, s11
	s_waitcnt vmcnt(0)
	ds_store_b128 v23, v[0:3]
	s_waitcnt lgkmcnt(0)
	s_barrier
	buffer_gl0_inv
	s_and_saveexec_b32 s1, s2
	s_cbranch_execz .LBB1925_11
; %bb.10:                               ;   in Loop: Header=BB1925_5 Depth=1
	ds_load_b128 v[0:3], v20
	ds_load_b128 v[4:7], v16
	ds_load_b128 v[28:31], v16 offset:16
	ds_load_b128 v[32:35], v20 offset:512
	s_waitcnt lgkmcnt(2)
	v_mul_f64 v[36:37], v[0:1], v[6:7]
	v_mul_f64 v[6:7], v[2:3], v[6:7]
	s_waitcnt lgkmcnt(0)
	v_mul_f64 v[52:53], v[32:33], v[30:31]
	v_mul_f64 v[30:31], v[34:35], v[30:31]
	s_delay_alu instid0(VALU_DEP_4)
	v_fma_f64 v[2:3], v[2:3], v[4:5], v[36:37]
	ds_load_b128 v[36:39], v20 offset:1024
	ds_load_b128 v[40:43], v16 offset:32
	;; [unrolled: 1-line block ×4, first 2 shown]
	v_fma_f64 v[0:1], v[0:1], v[4:5], -v[6:7]
	v_fma_f64 v[4:5], v[34:35], v[28:29], v[52:53]
	v_fma_f64 v[56:57], v[32:33], v[28:29], -v[30:31]
	s_waitcnt lgkmcnt(2)
	v_mul_f64 v[54:55], v[36:37], v[42:43]
	v_mul_f64 v[42:43], v[38:39], v[42:43]
	s_waitcnt lgkmcnt(0)
	v_mul_f64 v[52:53], v[48:49], v[46:47]
	v_mul_f64 v[46:47], v[50:51], v[46:47]
	v_add_f64 v[2:3], v[2:3], 0
	v_fma_f64 v[38:39], v[38:39], v[40:41], v[54:55]
	v_add_f64 v[54:55], v[0:1], 0
	v_fma_f64 v[36:37], v[36:37], v[40:41], -v[42:43]
	v_fma_f64 v[40:41], v[50:51], v[44:45], v[52:53]
	v_add_f64 v[58:59], v[2:3], v[4:5]
	ds_load_b128 v[0:3], v16 offset:64
	ds_load_b128 v[4:7], v20 offset:2048
	ds_load_b128 v[28:31], v20 offset:2560
	ds_load_b128 v[32:35], v16 offset:80
	s_waitcnt lgkmcnt(2)
	v_mul_f64 v[60:61], v[4:5], v[2:3]
	v_add_f64 v[42:43], v[54:55], v[56:57]
	v_mul_f64 v[2:3], v[6:7], v[2:3]
	s_waitcnt lgkmcnt(0)
	v_mul_f64 v[52:53], v[28:29], v[34:35]
	v_fma_f64 v[54:55], v[48:49], v[44:45], -v[46:47]
	v_mul_f64 v[34:35], v[30:31], v[34:35]
	v_add_f64 v[38:39], v[58:59], v[38:39]
	v_fma_f64 v[6:7], v[6:7], v[0:1], v[60:61]
	v_add_f64 v[56:57], v[42:43], v[36:37]
	v_fma_f64 v[0:1], v[4:5], v[0:1], -v[2:3]
	v_fma_f64 v[2:3], v[30:31], v[32:33], v[52:53]
	v_add_f64 v[58:59], v[38:39], v[40:41]
	ds_load_b128 v[36:39], v16 offset:96
	ds_load_b128 v[40:43], v20 offset:3072
	ds_load_b128 v[44:47], v20 offset:3584
	ds_load_b128 v[48:51], v16 offset:112
	s_waitcnt lgkmcnt(2)
	v_mul_f64 v[60:61], v[40:41], v[38:39]
	v_add_f64 v[4:5], v[56:57], v[54:55]
	v_mul_f64 v[38:39], v[42:43], v[38:39]
	s_waitcnt lgkmcnt(0)
	v_mul_f64 v[52:53], v[44:45], v[50:51]
	v_fma_f64 v[54:55], v[28:29], v[32:33], -v[34:35]
	;; [unrolled: 18-line block ×11, first 2 shown]
	v_mul_f64 v[34:35], v[30:31], v[34:35]
	v_add_f64 v[42:43], v[58:59], v[42:43]
	v_fma_f64 v[6:7], v[6:7], v[0:1], v[60:61]
	v_add_f64 v[56:57], v[40:41], v[36:37]
	v_fma_f64 v[0:1], v[4:5], v[0:1], -v[2:3]
	v_fma_f64 v[2:3], v[30:31], v[32:33], v[52:53]
	v_add_f64 v[58:59], v[42:43], v[38:39]
	ds_load_b128 v[36:39], v16 offset:416
	ds_load_b128 v[40:43], v20 offset:13312
	ds_load_b128 v[44:47], v20 offset:13824
	ds_load_b128 v[48:51], v16 offset:432
	s_waitcnt lgkmcnt(2)
	v_mul_f64 v[60:61], v[40:41], v[38:39]
	v_add_f64 v[4:5], v[56:57], v[54:55]
	v_mul_f64 v[38:39], v[42:43], v[38:39]
	s_waitcnt lgkmcnt(0)
	v_mul_f64 v[56:57], v[44:45], v[50:51]
	v_mul_f64 v[50:51], v[46:47], v[50:51]
	v_add_f64 v[6:7], v[58:59], v[6:7]
	v_fma_f64 v[58:59], v[28:29], v[32:33], -v[34:35]
	v_fma_f64 v[42:43], v[42:43], v[36:37], v[60:61]
	v_add_f64 v[60:61], v[4:5], v[0:1]
	v_fma_f64 v[36:37], v[40:41], v[36:37], -v[38:39]
	v_fma_f64 v[38:39], v[46:47], v[48:49], v[56:57]
	v_add_f64 v[62:63], v[6:7], v[2:3]
	ds_load_b128 v[0:3], v16 offset:448
	ds_load_b128 v[4:7], v20 offset:14336
	global_load_b128 v[28:31], v[8:9], off
	ds_load_b128 v[32:35], v20 offset:14848
	ds_load_b128 v[52:55], v16 offset:464
	v_add_f64 v[40:41], v[60:61], v[58:59]
	s_waitcnt lgkmcnt(2)
	v_mul_f64 v[64:65], v[4:5], v[2:3]
	v_mul_f64 v[2:3], v[6:7], v[2:3]
	s_waitcnt lgkmcnt(0)
	v_mul_f64 v[56:57], v[32:33], v[54:55]
	v_fma_f64 v[58:59], v[44:45], v[48:49], -v[50:51]
	v_mul_f64 v[54:55], v[34:35], v[54:55]
	v_add_f64 v[42:43], v[62:63], v[42:43]
	v_add_f64 v[60:61], v[40:41], v[36:37]
	v_fma_f64 v[6:7], v[6:7], v[0:1], v[64:65]
	v_fma_f64 v[0:1], v[4:5], v[0:1], -v[2:3]
	v_fma_f64 v[2:3], v[34:35], v[52:53], v[56:57]
	v_fma_f64 v[32:33], v[32:33], v[52:53], -v[54:55]
	v_add_f64 v[62:63], v[42:43], v[38:39]
	ds_load_b128 v[36:39], v16 offset:480
	ds_load_b128 v[40:43], v20 offset:15360
	;; [unrolled: 1-line block ×4, first 2 shown]
	s_waitcnt lgkmcnt(2)
	v_mul_f64 v[64:65], v[40:41], v[38:39]
	v_add_f64 v[4:5], v[60:61], v[58:59]
	v_mul_f64 v[34:35], v[42:43], v[38:39]
	s_waitcnt lgkmcnt(0)
	v_mul_f64 v[38:39], v[44:45], v[50:51]
	v_add_f64 v[6:7], v[62:63], v[6:7]
	v_fma_f64 v[42:43], v[42:43], v[36:37], v[64:65]
	v_add_f64 v[0:1], v[4:5], v[0:1]
	v_mul_f64 v[4:5], v[46:47], v[50:51]
	s_delay_alu instid0(VALU_DEP_4)
	v_add_f64 v[2:3], v[6:7], v[2:3]
	v_fma_f64 v[6:7], v[40:41], v[36:37], -v[34:35]
	v_fma_f64 v[34:35], v[46:47], v[48:49], v[38:39]
	v_add_f64 v[0:1], v[0:1], v[32:33]
	v_fma_f64 v[4:5], v[44:45], v[48:49], -v[4:5]
	v_add_f64 v[2:3], v[2:3], v[42:43]
	s_delay_alu instid0(VALU_DEP_3) | instskip(NEXT) | instid1(VALU_DEP_2)
	v_add_f64 v[0:1], v[0:1], v[6:7]
	v_add_f64 v[2:3], v[2:3], v[34:35]
	s_delay_alu instid0(VALU_DEP_2) | instskip(NEXT) | instid1(VALU_DEP_2)
	v_add_f64 v[0:1], v[0:1], v[4:5]
	v_mul_f64 v[4:5], s[6:7], v[2:3]
	v_mul_f64 v[2:3], s[4:5], v[2:3]
	s_delay_alu instid0(VALU_DEP_2) | instskip(NEXT) | instid1(VALU_DEP_2)
	v_fma_f64 v[4:5], s[4:5], v[0:1], -v[4:5]
	v_fma_f64 v[2:3], s[6:7], v[0:1], v[2:3]
	s_waitcnt vmcnt(0)
	s_delay_alu instid0(VALU_DEP_2) | instskip(NEXT) | instid1(VALU_DEP_2)
	v_add_f64 v[0:1], v[28:29], v[4:5]
	v_add_f64 v[2:3], v[30:31], v[2:3]
	global_store_b128 v[8:9], v[0:3], off
.LBB1925_11:                            ;   in Loop: Header=BB1925_5 Depth=1
	s_or_b32 exec_lo, exec_lo, s1
	v_mov_b32_e32 v2, 0
	v_mov_b32_e32 v3, 0
	s_waitcnt_vscnt null, 0x0
	s_barrier
	buffer_gl0_inv
	v_dual_mov_b32 v7, v3 :: v_dual_mov_b32 v6, v2
	v_dual_mov_b32 v5, v3 :: v_dual_mov_b32 v4, v2
	s_and_saveexec_b32 s11, s8
	s_cbranch_execz .LBB1925_13
; %bb.12:                               ;   in Loop: Header=BB1925_5 Depth=1
	v_ashrrev_i32_e32 v11, 31, v10
	s_delay_alu instid0(VALU_DEP_1) | instskip(NEXT) | instid1(VALU_DEP_1)
	v_lshlrev_b64 v[0:1], 4, v[10:11]
	v_add_co_u32 v0, s1, v24, v0
	s_delay_alu instid0(VALU_DEP_1)
	v_add_co_ci_u32_e64 v1, s1, v25, v1, s1
	global_load_b128 v[4:7], v[0:1], off
.LBB1925_13:                            ;   in Loop: Header=BB1925_5 Depth=1
	s_or_b32 exec_lo, exec_lo, s11
	v_dual_mov_b32 v0, v2 :: v_dual_mov_b32 v1, v3
	s_waitcnt vmcnt(0)
	ds_store_b128 v17, v[4:7]
	s_and_saveexec_b32 s8, s9
	s_cbranch_execz .LBB1925_15
; %bb.14:                               ;   in Loop: Header=BB1925_5 Depth=1
	v_ashrrev_i32_e32 v13, 31, v12
	s_delay_alu instid0(VALU_DEP_1) | instskip(NEXT) | instid1(VALU_DEP_1)
	v_lshlrev_b64 v[0:1], 4, v[12:13]
	v_add_co_u32 v0, s1, v26, v0
	s_delay_alu instid0(VALU_DEP_1)
	v_add_co_ci_u32_e64 v1, s1, v27, v1, s1
	global_load_b128 v[0:3], v[0:1], off
.LBB1925_15:                            ;   in Loop: Header=BB1925_5 Depth=1
	s_or_b32 exec_lo, exec_lo, s8
	s_waitcnt vmcnt(0)
	ds_store_b128 v23, v[0:3]
	s_waitcnt lgkmcnt(0)
	s_barrier
	buffer_gl0_inv
	s_and_saveexec_b32 s1, s2
	s_cbranch_execz .LBB1925_4
; %bb.16:                               ;   in Loop: Header=BB1925_5 Depth=1
	ds_load_b128 v[0:3], v20
	ds_load_b128 v[4:7], v16
	ds_load_b128 v[10:13], v16 offset:16
	ds_load_b128 v[28:31], v20 offset:512
	s_waitcnt lgkmcnt(2)
	v_mul_f64 v[32:33], v[0:1], v[6:7]
	v_mul_f64 v[6:7], v[2:3], v[6:7]
	s_waitcnt lgkmcnt(0)
	v_mul_f64 v[40:41], v[30:31], v[12:13]
	v_mul_f64 v[12:13], v[28:29], v[12:13]
	s_delay_alu instid0(VALU_DEP_4) | instskip(NEXT) | instid1(VALU_DEP_4)
	v_fma_f64 v[42:43], v[2:3], v[4:5], v[32:33]
	v_fma_f64 v[44:45], v[0:1], v[4:5], -v[6:7]
	ds_load_b128 v[0:3], v20 offset:1024
	ds_load_b128 v[4:7], v16 offset:32
	;; [unrolled: 1-line block ×4, first 2 shown]
	v_fma_f64 v[28:29], v[28:29], v[10:11], -v[40:41]
	v_fma_f64 v[10:11], v[30:31], v[10:11], v[12:13]
	s_waitcnt lgkmcnt(2)
	v_mul_f64 v[46:47], v[2:3], v[6:7]
	v_mul_f64 v[6:7], v[0:1], v[6:7]
	s_waitcnt lgkmcnt(0)
	v_mul_f64 v[40:41], v[38:39], v[34:35]
	v_mul_f64 v[34:35], v[36:37], v[34:35]
	v_add_f64 v[12:13], v[42:43], 0
	v_add_f64 v[30:31], v[44:45], 0
	v_fma_f64 v[42:43], v[0:1], v[4:5], -v[46:47]
	v_fma_f64 v[44:45], v[2:3], v[4:5], v[6:7]
	v_fma_f64 v[36:37], v[36:37], v[32:33], -v[40:41]
	v_fma_f64 v[32:33], v[38:39], v[32:33], v[34:35]
	v_add_f64 v[46:47], v[12:13], v[10:11]
	v_add_f64 v[48:49], v[30:31], v[28:29]
	ds_load_b128 v[0:3], v16 offset:64
	ds_load_b128 v[4:7], v20 offset:2048
	ds_load_b128 v[10:13], v20 offset:2560
	ds_load_b128 v[28:31], v16 offset:80
	s_waitcnt lgkmcnt(2)
	v_mul_f64 v[50:51], v[6:7], v[2:3]
	v_mul_f64 v[2:3], v[4:5], v[2:3]
	s_waitcnt lgkmcnt(0)
	v_mul_f64 v[40:41], v[12:13], v[30:31]
	v_add_f64 v[34:35], v[46:47], v[44:45]
	v_add_f64 v[38:39], v[48:49], v[42:43]
	v_mul_f64 v[42:43], v[10:11], v[30:31]
	v_fma_f64 v[44:45], v[4:5], v[0:1], -v[50:51]
	v_fma_f64 v[46:47], v[6:7], v[0:1], v[2:3]
	v_fma_f64 v[10:11], v[10:11], v[28:29], -v[40:41]
	v_add_f64 v[48:49], v[34:35], v[32:33]
	v_add_f64 v[38:39], v[38:39], v[36:37]
	ds_load_b128 v[0:3], v16 offset:96
	ds_load_b128 v[4:7], v20 offset:3072
	ds_load_b128 v[30:33], v20 offset:3584
	ds_load_b128 v[34:37], v16 offset:112
	v_fma_f64 v[12:13], v[12:13], v[28:29], v[42:43]
	s_waitcnt lgkmcnt(2)
	v_mul_f64 v[50:51], v[6:7], v[2:3]
	v_mul_f64 v[2:3], v[4:5], v[2:3]
	s_waitcnt lgkmcnt(0)
	v_mul_f64 v[40:41], v[32:33], v[36:37]
	v_mul_f64 v[42:43], v[30:31], v[36:37]
	v_add_f64 v[28:29], v[48:49], v[46:47]
	v_add_f64 v[38:39], v[38:39], v[44:45]
	v_fma_f64 v[44:45], v[4:5], v[0:1], -v[50:51]
	v_fma_f64 v[46:47], v[6:7], v[0:1], v[2:3]
	v_fma_f64 v[30:31], v[30:31], v[34:35], -v[40:41]
	v_fma_f64 v[32:33], v[32:33], v[34:35], v[42:43]
	v_add_f64 v[28:29], v[28:29], v[12:13]
	v_add_f64 v[48:49], v[38:39], v[10:11]
	ds_load_b128 v[0:3], v16 offset:128
	ds_load_b128 v[4:7], v20 offset:4096
	ds_load_b128 v[10:13], v20 offset:4608
	ds_load_b128 v[36:39], v16 offset:144
	s_waitcnt lgkmcnt(2)
	v_mul_f64 v[50:51], v[6:7], v[2:3]
	v_mul_f64 v[2:3], v[4:5], v[2:3]
	s_waitcnt lgkmcnt(0)
	v_mul_f64 v[40:41], v[12:13], v[38:39]
	v_mul_f64 v[38:39], v[10:11], v[38:39]
	v_add_f64 v[28:29], v[28:29], v[46:47]
	v_add_f64 v[34:35], v[48:49], v[44:45]
	v_fma_f64 v[42:43], v[4:5], v[0:1], -v[50:51]
	v_fma_f64 v[44:45], v[6:7], v[0:1], v[2:3]
	v_fma_f64 v[10:11], v[10:11], v[36:37], -v[40:41]
	v_fma_f64 v[12:13], v[12:13], v[36:37], v[38:39]
	v_add_f64 v[46:47], v[28:29], v[32:33]
	v_add_f64 v[48:49], v[34:35], v[30:31]
	ds_load_b128 v[0:3], v16 offset:160
	ds_load_b128 v[4:7], v20 offset:5120
	ds_load_b128 v[28:31], v20 offset:5632
	ds_load_b128 v[32:35], v16 offset:176
	s_waitcnt lgkmcnt(2)
	v_mul_f64 v[50:51], v[6:7], v[2:3]
	v_mul_f64 v[2:3], v[4:5], v[2:3]
	s_waitcnt lgkmcnt(0)
	v_mul_f64 v[40:41], v[30:31], v[34:35]
	v_add_f64 v[36:37], v[46:47], v[44:45]
	v_add_f64 v[38:39], v[48:49], v[42:43]
	v_mul_f64 v[42:43], v[28:29], v[34:35]
	v_fma_f64 v[44:45], v[4:5], v[0:1], -v[50:51]
	v_fma_f64 v[46:47], v[6:7], v[0:1], v[2:3]
	v_fma_f64 v[28:29], v[28:29], v[32:33], -v[40:41]
	v_add_f64 v[48:49], v[36:37], v[12:13]
	v_add_f64 v[38:39], v[38:39], v[10:11]
	ds_load_b128 v[0:3], v16 offset:192
	ds_load_b128 v[4:7], v20 offset:6144
	ds_load_b128 v[10:13], v20 offset:6656
	ds_load_b128 v[34:37], v16 offset:208
	v_fma_f64 v[30:31], v[30:31], v[32:33], v[42:43]
	s_waitcnt lgkmcnt(2)
	v_mul_f64 v[50:51], v[6:7], v[2:3]
	v_mul_f64 v[2:3], v[4:5], v[2:3]
	s_waitcnt lgkmcnt(0)
	v_mul_f64 v[40:41], v[12:13], v[36:37]
	v_mul_f64 v[42:43], v[10:11], v[36:37]
	v_add_f64 v[32:33], v[48:49], v[46:47]
	v_add_f64 v[38:39], v[38:39], v[44:45]
	v_fma_f64 v[44:45], v[4:5], v[0:1], -v[50:51]
	v_fma_f64 v[46:47], v[6:7], v[0:1], v[2:3]
	v_fma_f64 v[10:11], v[10:11], v[34:35], -v[40:41]
	v_fma_f64 v[12:13], v[12:13], v[34:35], v[42:43]
	v_add_f64 v[32:33], v[32:33], v[30:31]
	v_add_f64 v[48:49], v[38:39], v[28:29]
	ds_load_b128 v[0:3], v16 offset:224
	ds_load_b128 v[4:7], v20 offset:7168
	ds_load_b128 v[28:31], v20 offset:7680
	ds_load_b128 v[36:39], v16 offset:240
	;; [unrolled: 54-line block ×4, first 2 shown]
	s_waitcnt lgkmcnt(2)
	v_mul_f64 v[50:51], v[6:7], v[2:3]
	v_mul_f64 v[2:3], v[4:5], v[2:3]
	s_waitcnt lgkmcnt(0)
	v_mul_f64 v[42:43], v[30:31], v[38:39]
	v_add_f64 v[32:33], v[32:33], v[46:47]
	v_add_f64 v[34:35], v[48:49], v[44:45]
	v_mul_f64 v[44:45], v[28:29], v[38:39]
	v_fma_f64 v[46:47], v[4:5], v[0:1], -v[50:51]
	v_fma_f64 v[48:49], v[6:7], v[0:1], v[2:3]
	ds_load_b128 v[0:3], v16 offset:448
	ds_load_b128 v[4:7], v20 offset:14336
	v_fma_f64 v[28:29], v[28:29], v[36:37], -v[42:43]
	v_add_f64 v[50:51], v[32:33], v[12:13]
	v_add_f64 v[52:53], v[34:35], v[10:11]
	global_load_b128 v[10:13], v[8:9], off
	v_fma_f64 v[30:31], v[30:31], v[36:37], v[44:45]
	s_waitcnt lgkmcnt(0)
	v_mul_f64 v[54:55], v[6:7], v[2:3]
	v_mul_f64 v[2:3], v[4:5], v[2:3]
	ds_load_b128 v[32:35], v20 offset:14848
	ds_load_b128 v[38:41], v16 offset:464
	s_waitcnt lgkmcnt(0)
	v_mul_f64 v[44:45], v[34:35], v[40:41]
	v_add_f64 v[36:37], v[50:51], v[48:49]
	v_add_f64 v[42:43], v[52:53], v[46:47]
	v_mul_f64 v[46:47], v[32:33], v[40:41]
	v_fma_f64 v[48:49], v[4:5], v[0:1], -v[54:55]
	v_fma_f64 v[50:51], v[6:7], v[0:1], v[2:3]
	v_fma_f64 v[32:33], v[32:33], v[38:39], -v[44:45]
	v_add_f64 v[36:37], v[36:37], v[30:31]
	v_add_f64 v[52:53], v[42:43], v[28:29]
	ds_load_b128 v[0:3], v16 offset:480
	ds_load_b128 v[4:7], v20 offset:15360
	;; [unrolled: 1-line block ×4, first 2 shown]
	v_fma_f64 v[34:35], v[34:35], v[38:39], v[46:47]
	s_waitcnt lgkmcnt(2)
	v_mul_f64 v[54:55], v[6:7], v[2:3]
	v_mul_f64 v[2:3], v[4:5], v[2:3]
	s_waitcnt lgkmcnt(0)
	v_mul_f64 v[44:45], v[30:31], v[42:43]
	v_mul_f64 v[42:43], v[28:29], v[42:43]
	v_add_f64 v[36:37], v[36:37], v[50:51]
	v_add_f64 v[38:39], v[52:53], v[48:49]
	v_fma_f64 v[4:5], v[4:5], v[0:1], -v[54:55]
	v_fma_f64 v[0:1], v[6:7], v[0:1], v[2:3]
	v_fma_f64 v[28:29], v[28:29], v[40:41], -v[44:45]
	v_fma_f64 v[30:31], v[30:31], v[40:41], v[42:43]
	v_add_f64 v[2:3], v[36:37], v[34:35]
	v_add_f64 v[6:7], v[38:39], v[32:33]
	s_delay_alu instid0(VALU_DEP_2) | instskip(NEXT) | instid1(VALU_DEP_2)
	v_add_f64 v[0:1], v[2:3], v[0:1]
	v_add_f64 v[2:3], v[6:7], v[4:5]
	s_delay_alu instid0(VALU_DEP_2) | instskip(NEXT) | instid1(VALU_DEP_2)
	v_add_f64 v[0:1], v[0:1], v[30:31]
	v_add_f64 v[2:3], v[2:3], v[28:29]
	s_delay_alu instid0(VALU_DEP_2) | instskip(NEXT) | instid1(VALU_DEP_2)
	v_mul_f64 v[4:5], s[6:7], v[0:1]
	v_mul_f64 v[6:7], s[6:7], v[2:3]
	s_delay_alu instid0(VALU_DEP_2) | instskip(NEXT) | instid1(VALU_DEP_2)
	v_fma_f64 v[2:3], s[4:5], v[2:3], -v[4:5]
	v_fma_f64 v[4:5], s[4:5], v[0:1], v[6:7]
	s_waitcnt vmcnt(0)
	s_delay_alu instid0(VALU_DEP_2) | instskip(NEXT) | instid1(VALU_DEP_2)
	v_add_f64 v[0:1], v[10:11], v[2:3]
	v_add_f64 v[2:3], v[12:13], v[4:5]
	global_store_b128 v[8:9], v[0:3], off
	s_branch .LBB1925_4
.LBB1925_17:
	s_endpgm
	.section	.rodata,"a",@progbits
	.p2align	6, 0x0
	.amdhsa_kernel _ZL26rocblas_syr2k_her2k_kernelIiLb1ELb0ELb1ELi32E19rocblas_complex_numIdEPKPKS1_PKPS1_EvbiT_T4_T5_S9_lSB_S9_lT6_S9_li
		.amdhsa_group_segment_fixed_size 32768
		.amdhsa_private_segment_fixed_size 0
		.amdhsa_kernarg_size 108
		.amdhsa_user_sgpr_count 13
		.amdhsa_user_sgpr_dispatch_ptr 0
		.amdhsa_user_sgpr_queue_ptr 0
		.amdhsa_user_sgpr_kernarg_segment_ptr 1
		.amdhsa_user_sgpr_dispatch_id 0
		.amdhsa_user_sgpr_private_segment_size 0
		.amdhsa_wavefront_size32 1
		.amdhsa_uses_dynamic_stack 0
		.amdhsa_enable_private_segment 0
		.amdhsa_system_sgpr_workgroup_id_x 1
		.amdhsa_system_sgpr_workgroup_id_y 1
		.amdhsa_system_sgpr_workgroup_id_z 1
		.amdhsa_system_sgpr_workgroup_info 0
		.amdhsa_system_vgpr_workitem_id 1
		.amdhsa_next_free_vgpr 66
		.amdhsa_next_free_sgpr 27
		.amdhsa_reserve_vcc 1
		.amdhsa_float_round_mode_32 0
		.amdhsa_float_round_mode_16_64 0
		.amdhsa_float_denorm_mode_32 3
		.amdhsa_float_denorm_mode_16_64 3
		.amdhsa_dx10_clamp 1
		.amdhsa_ieee_mode 1
		.amdhsa_fp16_overflow 0
		.amdhsa_workgroup_processor_mode 1
		.amdhsa_memory_ordered 1
		.amdhsa_forward_progress 0
		.amdhsa_shared_vgpr_count 0
		.amdhsa_exception_fp_ieee_invalid_op 0
		.amdhsa_exception_fp_denorm_src 0
		.amdhsa_exception_fp_ieee_div_zero 0
		.amdhsa_exception_fp_ieee_overflow 0
		.amdhsa_exception_fp_ieee_underflow 0
		.amdhsa_exception_fp_ieee_inexact 0
		.amdhsa_exception_int_div_zero 0
	.end_amdhsa_kernel
	.section	.text._ZL26rocblas_syr2k_her2k_kernelIiLb1ELb0ELb1ELi32E19rocblas_complex_numIdEPKPKS1_PKPS1_EvbiT_T4_T5_S9_lSB_S9_lT6_S9_li,"axG",@progbits,_ZL26rocblas_syr2k_her2k_kernelIiLb1ELb0ELb1ELi32E19rocblas_complex_numIdEPKPKS1_PKPS1_EvbiT_T4_T5_S9_lSB_S9_lT6_S9_li,comdat
.Lfunc_end1925:
	.size	_ZL26rocblas_syr2k_her2k_kernelIiLb1ELb0ELb1ELi32E19rocblas_complex_numIdEPKPKS1_PKPS1_EvbiT_T4_T5_S9_lSB_S9_lT6_S9_li, .Lfunc_end1925-_ZL26rocblas_syr2k_her2k_kernelIiLb1ELb0ELb1ELi32E19rocblas_complex_numIdEPKPKS1_PKPS1_EvbiT_T4_T5_S9_lSB_S9_lT6_S9_li
                                        ; -- End function
	.section	.AMDGPU.csdata,"",@progbits
; Kernel info:
; codeLenInByte = 5600
; NumSgprs: 29
; NumVgprs: 66
; ScratchSize: 0
; MemoryBound: 1
; FloatMode: 240
; IeeeMode: 1
; LDSByteSize: 32768 bytes/workgroup (compile time only)
; SGPRBlocks: 3
; VGPRBlocks: 8
; NumSGPRsForWavesPerEU: 29
; NumVGPRsForWavesPerEU: 66
; Occupancy: 16
; WaveLimiterHint : 1
; COMPUTE_PGM_RSRC2:SCRATCH_EN: 0
; COMPUTE_PGM_RSRC2:USER_SGPR: 13
; COMPUTE_PGM_RSRC2:TRAP_HANDLER: 0
; COMPUTE_PGM_RSRC2:TGID_X_EN: 1
; COMPUTE_PGM_RSRC2:TGID_Y_EN: 1
; COMPUTE_PGM_RSRC2:TGID_Z_EN: 1
; COMPUTE_PGM_RSRC2:TIDIG_COMP_CNT: 1
	.section	.text._ZL26rocblas_syr2k_her2k_kernelIiLb1ELb0ELb0ELi32EPK19rocblas_complex_numIdEPKS3_PKPS1_EvbiT_T4_T5_S9_lSB_S9_lT6_S9_li,"axG",@progbits,_ZL26rocblas_syr2k_her2k_kernelIiLb1ELb0ELb0ELi32EPK19rocblas_complex_numIdEPKS3_PKPS1_EvbiT_T4_T5_S9_lSB_S9_lT6_S9_li,comdat
	.globl	_ZL26rocblas_syr2k_her2k_kernelIiLb1ELb0ELb0ELi32EPK19rocblas_complex_numIdEPKS3_PKPS1_EvbiT_T4_T5_S9_lSB_S9_lT6_S9_li ; -- Begin function _ZL26rocblas_syr2k_her2k_kernelIiLb1ELb0ELb0ELi32EPK19rocblas_complex_numIdEPKS3_PKPS1_EvbiT_T4_T5_S9_lSB_S9_lT6_S9_li
	.p2align	8
	.type	_ZL26rocblas_syr2k_her2k_kernelIiLb1ELb0ELb0ELi32EPK19rocblas_complex_numIdEPKS3_PKPS1_EvbiT_T4_T5_S9_lSB_S9_lT6_S9_li,@function
_ZL26rocblas_syr2k_her2k_kernelIiLb1ELb0ELb0ELi32EPK19rocblas_complex_numIdEPKS3_PKPS1_EvbiT_T4_T5_S9_lSB_S9_lT6_S9_li: ; @_ZL26rocblas_syr2k_her2k_kernelIiLb1ELb0ELb0ELi32EPK19rocblas_complex_numIdEPKS3_PKPS1_EvbiT_T4_T5_S9_lSB_S9_lT6_S9_li
; %bb.0:
	s_load_b128 s[20:23], s[0:1], 0x10
	s_waitcnt lgkmcnt(0)
	s_load_b128 s[4:7], s[20:21], 0x0
	s_waitcnt lgkmcnt(0)
	v_cmp_eq_f64_e64 s3, s[4:5], 0
	v_cmp_eq_f64_e64 s8, s[6:7], 0
	s_delay_alu instid0(VALU_DEP_1) | instskip(NEXT) | instid1(SALU_CYCLE_1)
	s_and_b32 s3, s3, s8
	s_and_b32 vcc_lo, exec_lo, s3
	s_cbranch_vccnz .LBB1926_17
; %bb.1:
	s_load_b128 s[8:11], s[0:1], 0x0
	s_lshl_b32 s20, s14, 5
	s_lshl_b32 s21, s13, 5
	s_waitcnt lgkmcnt(0)
	s_and_b32 s3, 1, s8
	s_delay_alu instid0(SALU_CYCLE_1) | instskip(SKIP_1) | instid1(SALU_CYCLE_1)
	s_cmp_eq_u32 s3, 1
	s_cselect_b32 vcc_lo, -1, 0
	s_and_b32 s3, vcc_lo, exec_lo
	s_cselect_b32 s3, s21, s20
	s_cselect_b32 s8, s20, s21
	s_delay_alu instid0(SALU_CYCLE_1)
	s_cmp_gt_i32 s3, s8
	s_cbranch_scc1 .LBB1926_17
; %bb.2:
	s_cmp_lt_i32 s10, 1
	s_cbranch_scc1 .LBB1926_17
; %bb.3:
	s_mov_b32 s2, s15
	s_clause 0x4
	s_load_b128 s[16:19], s[0:1], 0x28
	s_load_b32 s8, s[0:1], 0x20
	s_load_b32 s11, s[0:1], 0x38
	s_load_b128 s[12:15], s[0:1], 0x40
	s_load_b32 s28, s[0:1], 0x50
	s_mov_b32 s3, 0
	v_and_b32_e32 v10, 0x3ff, v0
	v_bfe_u32 v11, v0, 10, 10
	s_lshl_b64 s[24:25], s[2:3], 3
	s_load_b64 s[26:27], s[0:1], 0x58
	s_add_u32 s0, s22, s24
	s_addc_u32 s1, s23, s25
	v_add_nc_u32_e32 v0, s20, v11
	v_add_nc_u32_e32 v2, s21, v10
	s_load_b64 s[20:21], s[0:1], 0x0
	v_lshlrev_b32_e32 v4, 4, v11
	s_delay_alu instid0(VALU_DEP_3) | instskip(NEXT) | instid1(VALU_DEP_3)
	v_ashrrev_i32_e32 v1, 31, v0
	v_cndmask_b32_e32 v9, v0, v2, vcc_lo
	v_ashrrev_i32_e32 v3, 31, v2
	s_waitcnt lgkmcnt(0)
	s_add_u32 s0, s18, s24
	s_addc_u32 s1, s19, s25
	v_lshlrev_b32_e32 v12, 9, v10
	s_load_b64 s[18:19], s[0:1], 0x0
	s_add_u32 s0, s14, s24
	s_addc_u32 s1, s15, s25
	v_mad_i64_i32 v[6:7], null, s28, v0, 0
	s_load_b64 s[14:15], s[0:1], 0x0
	v_cndmask_b32_e32 v8, v2, v0, vcc_lo
	v_cmp_gt_i32_e32 vcc_lo, s9, v2
	v_lshlrev_b64 v[2:3], 4, v[2:3]
	s_lshl_b64 s[16:17], s[16:17], 4
	v_add_nc_u32_e32 v13, v12, v4
	v_or_b32_e32 v14, 0x4000, v4
	v_lshlrev_b64 v[4:5], 4, v[0:1]
	v_cmp_gt_i32_e64 s0, s9, v0
	s_add_u32 s9, s20, s16
	s_addc_u32 s16, s21, s17
	s_lshl_b64 s[12:13], s[12:13], 4
	v_add_co_u32 v15, s1, s9, v2
	v_lshlrev_b64 v[0:1], 4, v[6:7]
	s_waitcnt lgkmcnt(0)
	s_add_u32 s17, s18, s12
	s_addc_u32 s18, s19, s13
	s_lshl_b64 s[12:13], s[26:27], 4
	v_add_co_ci_u32_e64 v16, s1, s16, v3, s1
	v_add_co_u32 v17, s1, s17, v4
	s_add_u32 s2, s14, s12
	v_add_co_ci_u32_e64 v18, s1, s18, v5, s1
	s_addc_u32 s12, s15, s13
	v_add_co_u32 v0, s1, s2, v0
	s_delay_alu instid0(VALU_DEP_1) | instskip(SKIP_1) | instid1(VALU_DEP_3)
	v_add_co_ci_u32_e64 v1, s1, s12, v1, s1
	v_cmp_le_i32_e64 s1, v9, v8
	v_add_co_u32 v8, s2, v0, v2
	s_delay_alu instid0(VALU_DEP_1) | instskip(SKIP_1) | instid1(VALU_DEP_1)
	v_add_co_ci_u32_e64 v9, s2, v1, v3, s2
	v_add_co_u32 v20, s2, s17, v2
	v_add_co_ci_u32_e64 v21, s2, s18, v3, s2
	v_add_co_u32 v22, s2, s9, v4
	v_add_nc_u32_e32 v19, v14, v12
	v_add_co_ci_u32_e64 v23, s2, s16, v5, s2
	s_and_b32 s2, s0, vcc_lo
	s_delay_alu instid0(SALU_CYCLE_1)
	s_and_b32 s2, s2, s1
	s_branch .LBB1926_5
.LBB1926_4:                             ;   in Loop: Header=BB1926_5 Depth=1
	s_or_b32 exec_lo, exec_lo, s1
	s_add_i32 s3, s3, 32
	s_waitcnt_vscnt null, 0x0
	s_cmp_lt_i32 s3, s10
	s_barrier
	buffer_gl0_inv
	s_cbranch_scc0 .LBB1926_17
.LBB1926_5:                             ; =>This Inner Loop Header: Depth=1
	v_add_nc_u32_e32 v24, s3, v11
	v_mov_b32_e32 v0, 0
	v_mov_b32_e32 v1, 0
	s_delay_alu instid0(VALU_DEP_3) | instskip(NEXT) | instid1(VALU_DEP_2)
	v_cmp_gt_i32_e64 s1, s10, v24
	v_dual_mov_b32 v5, v1 :: v_dual_mov_b32 v4, v0
	v_dual_mov_b32 v7, v1 :: v_dual_mov_b32 v6, v0
	s_delay_alu instid0(VALU_DEP_3) | instskip(NEXT) | instid1(SALU_CYCLE_1)
	s_and_b32 s9, vcc_lo, s1
	s_and_saveexec_b32 s12, s9
	s_cbranch_execz .LBB1926_7
; %bb.6:                                ;   in Loop: Header=BB1926_5 Depth=1
	v_mad_i64_i32 v[2:3], null, v24, s8, 0
	s_delay_alu instid0(VALU_DEP_1) | instskip(NEXT) | instid1(VALU_DEP_1)
	v_lshlrev_b64 v[2:3], 4, v[2:3]
	v_add_co_u32 v2, s1, v15, v2
	s_delay_alu instid0(VALU_DEP_1)
	v_add_co_ci_u32_e64 v3, s1, v16, v3, s1
	global_load_b128 v[4:7], v[2:3], off
.LBB1926_7:                             ;   in Loop: Header=BB1926_5 Depth=1
	s_or_b32 exec_lo, exec_lo, s12
	v_add_nc_u32_e32 v25, s3, v10
	v_dual_mov_b32 v3, v1 :: v_dual_mov_b32 v2, v0
	s_waitcnt vmcnt(0)
	ds_store_b128 v13, v[4:7]
	v_cmp_gt_i32_e64 s1, s10, v25
	s_delay_alu instid0(VALU_DEP_1) | instskip(NEXT) | instid1(SALU_CYCLE_1)
	s_and_b32 s12, s0, s1
	s_and_saveexec_b32 s13, s12
	s_cbranch_execz .LBB1926_9
; %bb.8:                                ;   in Loop: Header=BB1926_5 Depth=1
	v_mad_i64_i32 v[0:1], null, v25, s11, 0
	s_delay_alu instid0(VALU_DEP_1) | instskip(NEXT) | instid1(VALU_DEP_1)
	v_lshlrev_b64 v[0:1], 4, v[0:1]
	v_add_co_u32 v0, s1, v17, v0
	s_delay_alu instid0(VALU_DEP_1)
	v_add_co_ci_u32_e64 v1, s1, v18, v1, s1
	global_load_b128 v[0:3], v[0:1], off
.LBB1926_9:                             ;   in Loop: Header=BB1926_5 Depth=1
	s_or_b32 exec_lo, exec_lo, s13
	s_waitcnt vmcnt(0)
	ds_store_b128 v19, v[0:3]
	s_waitcnt lgkmcnt(0)
	s_barrier
	buffer_gl0_inv
	s_and_saveexec_b32 s1, s2
	s_cbranch_execz .LBB1926_11
; %bb.10:                               ;   in Loop: Header=BB1926_5 Depth=1
	ds_load_b128 v[0:3], v14
	ds_load_b128 v[4:7], v12
	ds_load_b128 v[26:29], v12 offset:16
	ds_load_b128 v[30:33], v14 offset:512
	s_waitcnt lgkmcnt(2)
	v_mul_f64 v[34:35], v[0:1], v[6:7]
	v_mul_f64 v[6:7], v[2:3], v[6:7]
	s_waitcnt lgkmcnt(0)
	v_mul_f64 v[50:51], v[30:31], v[28:29]
	v_mul_f64 v[28:29], v[32:33], v[28:29]
	s_delay_alu instid0(VALU_DEP_4)
	v_fma_f64 v[2:3], v[2:3], v[4:5], v[34:35]
	ds_load_b128 v[34:37], v14 offset:1024
	ds_load_b128 v[38:41], v12 offset:32
	;; [unrolled: 1-line block ×4, first 2 shown]
	v_fma_f64 v[0:1], v[0:1], v[4:5], -v[6:7]
	v_fma_f64 v[4:5], v[32:33], v[26:27], v[50:51]
	v_fma_f64 v[54:55], v[30:31], v[26:27], -v[28:29]
	s_waitcnt lgkmcnt(2)
	v_mul_f64 v[52:53], v[34:35], v[40:41]
	v_mul_f64 v[40:41], v[36:37], v[40:41]
	s_waitcnt lgkmcnt(0)
	v_mul_f64 v[50:51], v[46:47], v[44:45]
	v_mul_f64 v[44:45], v[48:49], v[44:45]
	v_add_f64 v[2:3], v[2:3], 0
	v_fma_f64 v[36:37], v[36:37], v[38:39], v[52:53]
	v_add_f64 v[52:53], v[0:1], 0
	v_fma_f64 v[34:35], v[34:35], v[38:39], -v[40:41]
	v_fma_f64 v[38:39], v[48:49], v[42:43], v[50:51]
	v_add_f64 v[56:57], v[2:3], v[4:5]
	ds_load_b128 v[0:3], v12 offset:64
	ds_load_b128 v[4:7], v14 offset:2048
	ds_load_b128 v[26:29], v14 offset:2560
	ds_load_b128 v[30:33], v12 offset:80
	s_waitcnt lgkmcnt(2)
	v_mul_f64 v[58:59], v[4:5], v[2:3]
	v_add_f64 v[40:41], v[52:53], v[54:55]
	v_mul_f64 v[2:3], v[6:7], v[2:3]
	s_waitcnt lgkmcnt(0)
	v_mul_f64 v[50:51], v[26:27], v[32:33]
	v_fma_f64 v[52:53], v[46:47], v[42:43], -v[44:45]
	v_mul_f64 v[32:33], v[28:29], v[32:33]
	v_add_f64 v[36:37], v[56:57], v[36:37]
	v_fma_f64 v[6:7], v[6:7], v[0:1], v[58:59]
	v_add_f64 v[54:55], v[40:41], v[34:35]
	v_fma_f64 v[0:1], v[4:5], v[0:1], -v[2:3]
	v_fma_f64 v[2:3], v[28:29], v[30:31], v[50:51]
	v_add_f64 v[56:57], v[36:37], v[38:39]
	ds_load_b128 v[34:37], v12 offset:96
	ds_load_b128 v[38:41], v14 offset:3072
	ds_load_b128 v[42:45], v14 offset:3584
	ds_load_b128 v[46:49], v12 offset:112
	s_waitcnt lgkmcnt(2)
	v_mul_f64 v[58:59], v[38:39], v[36:37]
	v_add_f64 v[4:5], v[54:55], v[52:53]
	v_mul_f64 v[36:37], v[40:41], v[36:37]
	s_waitcnt lgkmcnt(0)
	v_mul_f64 v[50:51], v[42:43], v[48:49]
	v_fma_f64 v[52:53], v[26:27], v[30:31], -v[32:33]
	;; [unrolled: 18-line block ×11, first 2 shown]
	v_mul_f64 v[32:33], v[28:29], v[32:33]
	v_add_f64 v[40:41], v[56:57], v[40:41]
	v_fma_f64 v[6:7], v[6:7], v[0:1], v[58:59]
	v_add_f64 v[54:55], v[38:39], v[34:35]
	v_fma_f64 v[0:1], v[4:5], v[0:1], -v[2:3]
	v_fma_f64 v[2:3], v[28:29], v[30:31], v[50:51]
	v_add_f64 v[56:57], v[40:41], v[36:37]
	ds_load_b128 v[34:37], v12 offset:416
	ds_load_b128 v[38:41], v14 offset:13312
	;; [unrolled: 1-line block ×4, first 2 shown]
	s_waitcnt lgkmcnt(2)
	v_mul_f64 v[58:59], v[38:39], v[36:37]
	v_add_f64 v[4:5], v[54:55], v[52:53]
	v_mul_f64 v[36:37], v[40:41], v[36:37]
	s_waitcnt lgkmcnt(0)
	v_mul_f64 v[54:55], v[42:43], v[48:49]
	v_mul_f64 v[48:49], v[44:45], v[48:49]
	v_add_f64 v[6:7], v[56:57], v[6:7]
	v_fma_f64 v[56:57], v[26:27], v[30:31], -v[32:33]
	v_fma_f64 v[40:41], v[40:41], v[34:35], v[58:59]
	v_add_f64 v[58:59], v[4:5], v[0:1]
	v_fma_f64 v[34:35], v[38:39], v[34:35], -v[36:37]
	v_fma_f64 v[36:37], v[44:45], v[46:47], v[54:55]
	v_add_f64 v[60:61], v[6:7], v[2:3]
	ds_load_b128 v[0:3], v12 offset:448
	ds_load_b128 v[4:7], v14 offset:14336
	global_load_b128 v[26:29], v[8:9], off
	ds_load_b128 v[30:33], v14 offset:14848
	ds_load_b128 v[50:53], v12 offset:464
	v_add_f64 v[38:39], v[58:59], v[56:57]
	s_waitcnt lgkmcnt(2)
	v_mul_f64 v[62:63], v[4:5], v[2:3]
	v_mul_f64 v[2:3], v[6:7], v[2:3]
	s_waitcnt lgkmcnt(0)
	v_mul_f64 v[54:55], v[30:31], v[52:53]
	v_fma_f64 v[56:57], v[42:43], v[46:47], -v[48:49]
	v_mul_f64 v[52:53], v[32:33], v[52:53]
	v_add_f64 v[40:41], v[60:61], v[40:41]
	v_add_f64 v[58:59], v[38:39], v[34:35]
	v_fma_f64 v[6:7], v[6:7], v[0:1], v[62:63]
	v_fma_f64 v[0:1], v[4:5], v[0:1], -v[2:3]
	v_fma_f64 v[2:3], v[32:33], v[50:51], v[54:55]
	v_fma_f64 v[30:31], v[30:31], v[50:51], -v[52:53]
	v_add_f64 v[60:61], v[40:41], v[36:37]
	ds_load_b128 v[34:37], v12 offset:480
	ds_load_b128 v[38:41], v14 offset:15360
	;; [unrolled: 1-line block ×4, first 2 shown]
	s_waitcnt lgkmcnt(2)
	v_mul_f64 v[62:63], v[38:39], v[36:37]
	v_add_f64 v[4:5], v[58:59], v[56:57]
	v_mul_f64 v[32:33], v[40:41], v[36:37]
	s_waitcnt lgkmcnt(0)
	v_mul_f64 v[36:37], v[42:43], v[48:49]
	v_add_f64 v[6:7], v[60:61], v[6:7]
	v_fma_f64 v[40:41], v[40:41], v[34:35], v[62:63]
	v_add_f64 v[0:1], v[4:5], v[0:1]
	v_mul_f64 v[4:5], v[44:45], v[48:49]
	s_delay_alu instid0(VALU_DEP_4)
	v_add_f64 v[2:3], v[6:7], v[2:3]
	v_fma_f64 v[6:7], v[38:39], v[34:35], -v[32:33]
	v_fma_f64 v[32:33], v[44:45], v[46:47], v[36:37]
	v_add_f64 v[0:1], v[0:1], v[30:31]
	v_fma_f64 v[4:5], v[42:43], v[46:47], -v[4:5]
	v_add_f64 v[2:3], v[2:3], v[40:41]
	s_delay_alu instid0(VALU_DEP_3) | instskip(NEXT) | instid1(VALU_DEP_2)
	v_add_f64 v[0:1], v[0:1], v[6:7]
	v_add_f64 v[2:3], v[2:3], v[32:33]
	s_delay_alu instid0(VALU_DEP_2) | instskip(NEXT) | instid1(VALU_DEP_2)
	v_add_f64 v[0:1], v[0:1], v[4:5]
	v_mul_f64 v[4:5], s[6:7], v[2:3]
	v_mul_f64 v[2:3], s[4:5], v[2:3]
	s_delay_alu instid0(VALU_DEP_2) | instskip(NEXT) | instid1(VALU_DEP_2)
	v_fma_f64 v[4:5], s[4:5], v[0:1], -v[4:5]
	v_fma_f64 v[2:3], s[6:7], v[0:1], v[2:3]
	s_waitcnt vmcnt(0)
	s_delay_alu instid0(VALU_DEP_2) | instskip(NEXT) | instid1(VALU_DEP_2)
	v_add_f64 v[0:1], v[26:27], v[4:5]
	v_add_f64 v[2:3], v[28:29], v[2:3]
	global_store_b128 v[8:9], v[0:3], off
.LBB1926_11:                            ;   in Loop: Header=BB1926_5 Depth=1
	s_or_b32 exec_lo, exec_lo, s1
	v_mov_b32_e32 v2, 0
	v_mov_b32_e32 v3, 0
	s_waitcnt_vscnt null, 0x0
	s_barrier
	buffer_gl0_inv
	v_dual_mov_b32 v7, v3 :: v_dual_mov_b32 v6, v2
	v_dual_mov_b32 v5, v3 :: v_dual_mov_b32 v4, v2
	s_and_saveexec_b32 s13, s9
	s_cbranch_execz .LBB1926_13
; %bb.12:                               ;   in Loop: Header=BB1926_5 Depth=1
	v_mad_i64_i32 v[0:1], null, v24, s11, 0
	s_delay_alu instid0(VALU_DEP_1) | instskip(NEXT) | instid1(VALU_DEP_1)
	v_lshlrev_b64 v[0:1], 4, v[0:1]
	v_add_co_u32 v0, s1, v20, v0
	s_delay_alu instid0(VALU_DEP_1)
	v_add_co_ci_u32_e64 v1, s1, v21, v1, s1
	global_load_b128 v[4:7], v[0:1], off
.LBB1926_13:                            ;   in Loop: Header=BB1926_5 Depth=1
	s_or_b32 exec_lo, exec_lo, s13
	v_dual_mov_b32 v0, v2 :: v_dual_mov_b32 v1, v3
	s_waitcnt vmcnt(0)
	ds_store_b128 v13, v[4:7]
	s_and_saveexec_b32 s9, s12
	s_cbranch_execz .LBB1926_15
; %bb.14:                               ;   in Loop: Header=BB1926_5 Depth=1
	v_mad_i64_i32 v[0:1], null, v25, s8, 0
	s_delay_alu instid0(VALU_DEP_1) | instskip(NEXT) | instid1(VALU_DEP_1)
	v_lshlrev_b64 v[0:1], 4, v[0:1]
	v_add_co_u32 v0, s1, v22, v0
	s_delay_alu instid0(VALU_DEP_1)
	v_add_co_ci_u32_e64 v1, s1, v23, v1, s1
	global_load_b128 v[0:3], v[0:1], off
.LBB1926_15:                            ;   in Loop: Header=BB1926_5 Depth=1
	s_or_b32 exec_lo, exec_lo, s9
	s_waitcnt vmcnt(0)
	ds_store_b128 v19, v[0:3]
	s_waitcnt lgkmcnt(0)
	s_barrier
	buffer_gl0_inv
	s_and_saveexec_b32 s1, s2
	s_cbranch_execz .LBB1926_4
; %bb.16:                               ;   in Loop: Header=BB1926_5 Depth=1
	ds_load_b128 v[0:3], v14
	ds_load_b128 v[4:7], v12
	ds_load_b128 v[24:27], v12 offset:16
	ds_load_b128 v[28:31], v14 offset:512
	s_waitcnt lgkmcnt(2)
	v_mul_f64 v[32:33], v[0:1], v[6:7]
	v_mul_f64 v[6:7], v[2:3], v[6:7]
	s_waitcnt lgkmcnt(0)
	v_mul_f64 v[40:41], v[30:31], v[26:27]
	v_mul_f64 v[26:27], v[28:29], v[26:27]
	s_delay_alu instid0(VALU_DEP_4) | instskip(NEXT) | instid1(VALU_DEP_4)
	v_fma_f64 v[42:43], v[2:3], v[4:5], v[32:33]
	v_fma_f64 v[44:45], v[0:1], v[4:5], -v[6:7]
	ds_load_b128 v[0:3], v14 offset:1024
	ds_load_b128 v[4:7], v12 offset:32
	ds_load_b128 v[32:35], v12 offset:48
	ds_load_b128 v[36:39], v14 offset:1536
	v_fma_f64 v[28:29], v[28:29], v[24:25], -v[40:41]
	v_fma_f64 v[24:25], v[30:31], v[24:25], v[26:27]
	s_waitcnt lgkmcnt(2)
	v_mul_f64 v[46:47], v[2:3], v[6:7]
	v_mul_f64 v[6:7], v[0:1], v[6:7]
	s_waitcnt lgkmcnt(0)
	v_mul_f64 v[40:41], v[38:39], v[34:35]
	v_mul_f64 v[34:35], v[36:37], v[34:35]
	v_add_f64 v[26:27], v[42:43], 0
	v_add_f64 v[30:31], v[44:45], 0
	v_fma_f64 v[42:43], v[0:1], v[4:5], -v[46:47]
	v_fma_f64 v[44:45], v[2:3], v[4:5], v[6:7]
	v_fma_f64 v[36:37], v[36:37], v[32:33], -v[40:41]
	v_fma_f64 v[32:33], v[38:39], v[32:33], v[34:35]
	v_add_f64 v[46:47], v[26:27], v[24:25]
	v_add_f64 v[48:49], v[30:31], v[28:29]
	ds_load_b128 v[0:3], v12 offset:64
	ds_load_b128 v[4:7], v14 offset:2048
	ds_load_b128 v[24:27], v14 offset:2560
	ds_load_b128 v[28:31], v12 offset:80
	s_waitcnt lgkmcnt(2)
	v_mul_f64 v[50:51], v[6:7], v[2:3]
	v_mul_f64 v[2:3], v[4:5], v[2:3]
	s_waitcnt lgkmcnt(0)
	v_mul_f64 v[40:41], v[26:27], v[30:31]
	v_add_f64 v[34:35], v[46:47], v[44:45]
	v_add_f64 v[38:39], v[48:49], v[42:43]
	v_mul_f64 v[42:43], v[24:25], v[30:31]
	v_fma_f64 v[44:45], v[4:5], v[0:1], -v[50:51]
	v_fma_f64 v[46:47], v[6:7], v[0:1], v[2:3]
	v_fma_f64 v[24:25], v[24:25], v[28:29], -v[40:41]
	v_add_f64 v[48:49], v[34:35], v[32:33]
	v_add_f64 v[38:39], v[38:39], v[36:37]
	ds_load_b128 v[0:3], v12 offset:96
	ds_load_b128 v[4:7], v14 offset:3072
	ds_load_b128 v[30:33], v14 offset:3584
	ds_load_b128 v[34:37], v12 offset:112
	v_fma_f64 v[26:27], v[26:27], v[28:29], v[42:43]
	s_waitcnt lgkmcnt(2)
	v_mul_f64 v[50:51], v[6:7], v[2:3]
	v_mul_f64 v[2:3], v[4:5], v[2:3]
	s_waitcnt lgkmcnt(0)
	v_mul_f64 v[40:41], v[32:33], v[36:37]
	v_mul_f64 v[42:43], v[30:31], v[36:37]
	v_add_f64 v[28:29], v[48:49], v[46:47]
	v_add_f64 v[38:39], v[38:39], v[44:45]
	v_fma_f64 v[44:45], v[4:5], v[0:1], -v[50:51]
	v_fma_f64 v[46:47], v[6:7], v[0:1], v[2:3]
	v_fma_f64 v[30:31], v[30:31], v[34:35], -v[40:41]
	v_fma_f64 v[32:33], v[32:33], v[34:35], v[42:43]
	v_add_f64 v[28:29], v[28:29], v[26:27]
	v_add_f64 v[48:49], v[38:39], v[24:25]
	ds_load_b128 v[0:3], v12 offset:128
	ds_load_b128 v[4:7], v14 offset:4096
	ds_load_b128 v[24:27], v14 offset:4608
	ds_load_b128 v[36:39], v12 offset:144
	s_waitcnt lgkmcnt(2)
	v_mul_f64 v[50:51], v[6:7], v[2:3]
	v_mul_f64 v[2:3], v[4:5], v[2:3]
	s_waitcnt lgkmcnt(0)
	v_mul_f64 v[40:41], v[26:27], v[38:39]
	v_mul_f64 v[38:39], v[24:25], v[38:39]
	v_add_f64 v[28:29], v[28:29], v[46:47]
	v_add_f64 v[34:35], v[48:49], v[44:45]
	v_fma_f64 v[42:43], v[4:5], v[0:1], -v[50:51]
	v_fma_f64 v[44:45], v[6:7], v[0:1], v[2:3]
	v_fma_f64 v[24:25], v[24:25], v[36:37], -v[40:41]
	v_fma_f64 v[26:27], v[26:27], v[36:37], v[38:39]
	v_add_f64 v[46:47], v[28:29], v[32:33]
	v_add_f64 v[48:49], v[34:35], v[30:31]
	ds_load_b128 v[0:3], v12 offset:160
	ds_load_b128 v[4:7], v14 offset:5120
	ds_load_b128 v[28:31], v14 offset:5632
	ds_load_b128 v[32:35], v12 offset:176
	s_waitcnt lgkmcnt(2)
	v_mul_f64 v[50:51], v[6:7], v[2:3]
	v_mul_f64 v[2:3], v[4:5], v[2:3]
	s_waitcnt lgkmcnt(0)
	v_mul_f64 v[40:41], v[30:31], v[34:35]
	v_add_f64 v[36:37], v[46:47], v[44:45]
	v_add_f64 v[38:39], v[48:49], v[42:43]
	v_mul_f64 v[42:43], v[28:29], v[34:35]
	v_fma_f64 v[44:45], v[4:5], v[0:1], -v[50:51]
	v_fma_f64 v[46:47], v[6:7], v[0:1], v[2:3]
	v_fma_f64 v[28:29], v[28:29], v[32:33], -v[40:41]
	v_add_f64 v[48:49], v[36:37], v[26:27]
	v_add_f64 v[38:39], v[38:39], v[24:25]
	ds_load_b128 v[0:3], v12 offset:192
	ds_load_b128 v[4:7], v14 offset:6144
	ds_load_b128 v[24:27], v14 offset:6656
	ds_load_b128 v[34:37], v12 offset:208
	v_fma_f64 v[30:31], v[30:31], v[32:33], v[42:43]
	s_waitcnt lgkmcnt(2)
	v_mul_f64 v[50:51], v[6:7], v[2:3]
	v_mul_f64 v[2:3], v[4:5], v[2:3]
	s_waitcnt lgkmcnt(0)
	v_mul_f64 v[40:41], v[26:27], v[36:37]
	v_mul_f64 v[42:43], v[24:25], v[36:37]
	v_add_f64 v[32:33], v[48:49], v[46:47]
	v_add_f64 v[38:39], v[38:39], v[44:45]
	v_fma_f64 v[44:45], v[4:5], v[0:1], -v[50:51]
	v_fma_f64 v[46:47], v[6:7], v[0:1], v[2:3]
	v_fma_f64 v[24:25], v[24:25], v[34:35], -v[40:41]
	v_fma_f64 v[26:27], v[26:27], v[34:35], v[42:43]
	v_add_f64 v[32:33], v[32:33], v[30:31]
	v_add_f64 v[48:49], v[38:39], v[28:29]
	ds_load_b128 v[0:3], v12 offset:224
	ds_load_b128 v[4:7], v14 offset:7168
	ds_load_b128 v[28:31], v14 offset:7680
	ds_load_b128 v[36:39], v12 offset:240
	;; [unrolled: 54-line block ×4, first 2 shown]
	s_waitcnt lgkmcnt(2)
	v_mul_f64 v[50:51], v[6:7], v[2:3]
	v_mul_f64 v[2:3], v[4:5], v[2:3]
	s_waitcnt lgkmcnt(0)
	v_mul_f64 v[42:43], v[30:31], v[38:39]
	v_add_f64 v[32:33], v[32:33], v[46:47]
	v_add_f64 v[34:35], v[48:49], v[44:45]
	v_mul_f64 v[44:45], v[28:29], v[38:39]
	v_fma_f64 v[46:47], v[4:5], v[0:1], -v[50:51]
	v_fma_f64 v[48:49], v[6:7], v[0:1], v[2:3]
	ds_load_b128 v[0:3], v12 offset:448
	ds_load_b128 v[4:7], v14 offset:14336
	v_fma_f64 v[28:29], v[28:29], v[36:37], -v[42:43]
	v_add_f64 v[50:51], v[32:33], v[26:27]
	v_add_f64 v[52:53], v[34:35], v[24:25]
	global_load_b128 v[24:27], v[8:9], off
	v_fma_f64 v[30:31], v[30:31], v[36:37], v[44:45]
	s_waitcnt lgkmcnt(0)
	v_mul_f64 v[54:55], v[6:7], v[2:3]
	v_mul_f64 v[2:3], v[4:5], v[2:3]
	ds_load_b128 v[32:35], v14 offset:14848
	ds_load_b128 v[38:41], v12 offset:464
	s_waitcnt lgkmcnt(0)
	v_mul_f64 v[44:45], v[34:35], v[40:41]
	v_add_f64 v[36:37], v[50:51], v[48:49]
	v_add_f64 v[42:43], v[52:53], v[46:47]
	v_mul_f64 v[46:47], v[32:33], v[40:41]
	v_fma_f64 v[48:49], v[4:5], v[0:1], -v[54:55]
	v_fma_f64 v[50:51], v[6:7], v[0:1], v[2:3]
	v_fma_f64 v[32:33], v[32:33], v[38:39], -v[44:45]
	v_add_f64 v[36:37], v[36:37], v[30:31]
	v_add_f64 v[52:53], v[42:43], v[28:29]
	ds_load_b128 v[0:3], v12 offset:480
	ds_load_b128 v[4:7], v14 offset:15360
	;; [unrolled: 1-line block ×4, first 2 shown]
	v_fma_f64 v[34:35], v[34:35], v[38:39], v[46:47]
	s_waitcnt lgkmcnt(2)
	v_mul_f64 v[54:55], v[6:7], v[2:3]
	v_mul_f64 v[2:3], v[4:5], v[2:3]
	s_waitcnt lgkmcnt(0)
	v_mul_f64 v[44:45], v[30:31], v[42:43]
	v_mul_f64 v[42:43], v[28:29], v[42:43]
	v_add_f64 v[36:37], v[36:37], v[50:51]
	v_add_f64 v[38:39], v[52:53], v[48:49]
	v_fma_f64 v[4:5], v[4:5], v[0:1], -v[54:55]
	v_fma_f64 v[0:1], v[6:7], v[0:1], v[2:3]
	v_fma_f64 v[28:29], v[28:29], v[40:41], -v[44:45]
	v_fma_f64 v[30:31], v[30:31], v[40:41], v[42:43]
	v_add_f64 v[2:3], v[36:37], v[34:35]
	v_add_f64 v[6:7], v[38:39], v[32:33]
	s_delay_alu instid0(VALU_DEP_2) | instskip(NEXT) | instid1(VALU_DEP_2)
	v_add_f64 v[0:1], v[2:3], v[0:1]
	v_add_f64 v[2:3], v[6:7], v[4:5]
	s_delay_alu instid0(VALU_DEP_2) | instskip(NEXT) | instid1(VALU_DEP_2)
	v_add_f64 v[0:1], v[0:1], v[30:31]
	v_add_f64 v[2:3], v[2:3], v[28:29]
	s_delay_alu instid0(VALU_DEP_2) | instskip(NEXT) | instid1(VALU_DEP_2)
	v_mul_f64 v[4:5], s[6:7], v[0:1]
	v_mul_f64 v[6:7], s[6:7], v[2:3]
	s_delay_alu instid0(VALU_DEP_2) | instskip(NEXT) | instid1(VALU_DEP_2)
	v_fma_f64 v[2:3], s[4:5], v[2:3], -v[4:5]
	v_fma_f64 v[4:5], s[4:5], v[0:1], v[6:7]
	s_waitcnt vmcnt(0)
	s_delay_alu instid0(VALU_DEP_2) | instskip(NEXT) | instid1(VALU_DEP_2)
	v_add_f64 v[0:1], v[24:25], v[2:3]
	v_add_f64 v[2:3], v[26:27], v[4:5]
	global_store_b128 v[8:9], v[0:3], off
	s_branch .LBB1926_4
.LBB1926_17:
	s_endpgm
	.section	.rodata,"a",@progbits
	.p2align	6, 0x0
	.amdhsa_kernel _ZL26rocblas_syr2k_her2k_kernelIiLb1ELb0ELb0ELi32EPK19rocblas_complex_numIdEPKS3_PKPS1_EvbiT_T4_T5_S9_lSB_S9_lT6_S9_li
		.amdhsa_group_segment_fixed_size 32768
		.amdhsa_private_segment_fixed_size 0
		.amdhsa_kernarg_size 100
		.amdhsa_user_sgpr_count 13
		.amdhsa_user_sgpr_dispatch_ptr 0
		.amdhsa_user_sgpr_queue_ptr 0
		.amdhsa_user_sgpr_kernarg_segment_ptr 1
		.amdhsa_user_sgpr_dispatch_id 0
		.amdhsa_user_sgpr_private_segment_size 0
		.amdhsa_wavefront_size32 1
		.amdhsa_uses_dynamic_stack 0
		.amdhsa_enable_private_segment 0
		.amdhsa_system_sgpr_workgroup_id_x 1
		.amdhsa_system_sgpr_workgroup_id_y 1
		.amdhsa_system_sgpr_workgroup_id_z 1
		.amdhsa_system_sgpr_workgroup_info 0
		.amdhsa_system_vgpr_workitem_id 1
		.amdhsa_next_free_vgpr 64
		.amdhsa_next_free_sgpr 29
		.amdhsa_reserve_vcc 1
		.amdhsa_float_round_mode_32 0
		.amdhsa_float_round_mode_16_64 0
		.amdhsa_float_denorm_mode_32 3
		.amdhsa_float_denorm_mode_16_64 3
		.amdhsa_dx10_clamp 1
		.amdhsa_ieee_mode 1
		.amdhsa_fp16_overflow 0
		.amdhsa_workgroup_processor_mode 1
		.amdhsa_memory_ordered 1
		.amdhsa_forward_progress 0
		.amdhsa_shared_vgpr_count 0
		.amdhsa_exception_fp_ieee_invalid_op 0
		.amdhsa_exception_fp_denorm_src 0
		.amdhsa_exception_fp_ieee_div_zero 0
		.amdhsa_exception_fp_ieee_overflow 0
		.amdhsa_exception_fp_ieee_underflow 0
		.amdhsa_exception_fp_ieee_inexact 0
		.amdhsa_exception_int_div_zero 0
	.end_amdhsa_kernel
	.section	.text._ZL26rocblas_syr2k_her2k_kernelIiLb1ELb0ELb0ELi32EPK19rocblas_complex_numIdEPKS3_PKPS1_EvbiT_T4_T5_S9_lSB_S9_lT6_S9_li,"axG",@progbits,_ZL26rocblas_syr2k_her2k_kernelIiLb1ELb0ELb0ELi32EPK19rocblas_complex_numIdEPKS3_PKPS1_EvbiT_T4_T5_S9_lSB_S9_lT6_S9_li,comdat
.Lfunc_end1926:
	.size	_ZL26rocblas_syr2k_her2k_kernelIiLb1ELb0ELb0ELi32EPK19rocblas_complex_numIdEPKS3_PKPS1_EvbiT_T4_T5_S9_lSB_S9_lT6_S9_li, .Lfunc_end1926-_ZL26rocblas_syr2k_her2k_kernelIiLb1ELb0ELb0ELi32EPK19rocblas_complex_numIdEPKS3_PKPS1_EvbiT_T4_T5_S9_lSB_S9_lT6_S9_li
                                        ; -- End function
	.section	.AMDGPU.csdata,"",@progbits
; Kernel info:
; codeLenInByte = 5560
; NumSgprs: 31
; NumVgprs: 64
; ScratchSize: 0
; MemoryBound: 1
; FloatMode: 240
; IeeeMode: 1
; LDSByteSize: 32768 bytes/workgroup (compile time only)
; SGPRBlocks: 3
; VGPRBlocks: 7
; NumSGPRsForWavesPerEU: 31
; NumVGPRsForWavesPerEU: 64
; Occupancy: 16
; WaveLimiterHint : 1
; COMPUTE_PGM_RSRC2:SCRATCH_EN: 0
; COMPUTE_PGM_RSRC2:USER_SGPR: 13
; COMPUTE_PGM_RSRC2:TRAP_HANDLER: 0
; COMPUTE_PGM_RSRC2:TGID_X_EN: 1
; COMPUTE_PGM_RSRC2:TGID_Y_EN: 1
; COMPUTE_PGM_RSRC2:TGID_Z_EN: 1
; COMPUTE_PGM_RSRC2:TIDIG_COMP_CNT: 1
	.section	.text._ZL26rocblas_syr2k_her2k_kernelIiLb1ELb0ELb1ELi32EPK19rocblas_complex_numIdEPKS3_PKPS1_EvbiT_T4_T5_S9_lSB_S9_lT6_S9_li,"axG",@progbits,_ZL26rocblas_syr2k_her2k_kernelIiLb1ELb0ELb1ELi32EPK19rocblas_complex_numIdEPKS3_PKPS1_EvbiT_T4_T5_S9_lSB_S9_lT6_S9_li,comdat
	.globl	_ZL26rocblas_syr2k_her2k_kernelIiLb1ELb0ELb1ELi32EPK19rocblas_complex_numIdEPKS3_PKPS1_EvbiT_T4_T5_S9_lSB_S9_lT6_S9_li ; -- Begin function _ZL26rocblas_syr2k_her2k_kernelIiLb1ELb0ELb1ELi32EPK19rocblas_complex_numIdEPKS3_PKPS1_EvbiT_T4_T5_S9_lSB_S9_lT6_S9_li
	.p2align	8
	.type	_ZL26rocblas_syr2k_her2k_kernelIiLb1ELb0ELb1ELi32EPK19rocblas_complex_numIdEPKS3_PKPS1_EvbiT_T4_T5_S9_lSB_S9_lT6_S9_li,@function
_ZL26rocblas_syr2k_her2k_kernelIiLb1ELb0ELb1ELi32EPK19rocblas_complex_numIdEPKS3_PKPS1_EvbiT_T4_T5_S9_lSB_S9_lT6_S9_li: ; @_ZL26rocblas_syr2k_her2k_kernelIiLb1ELb0ELb1ELi32EPK19rocblas_complex_numIdEPKS3_PKPS1_EvbiT_T4_T5_S9_lSB_S9_lT6_S9_li
; %bb.0:
	s_load_b128 s[20:23], s[0:1], 0x10
	s_waitcnt lgkmcnt(0)
	s_load_b128 s[4:7], s[20:21], 0x0
	s_waitcnt lgkmcnt(0)
	v_cmp_eq_f64_e64 s3, s[4:5], 0
	v_cmp_eq_f64_e64 s8, s[6:7], 0
	s_delay_alu instid0(VALU_DEP_1) | instskip(NEXT) | instid1(SALU_CYCLE_1)
	s_and_b32 s3, s3, s8
	s_and_b32 vcc_lo, exec_lo, s3
	s_cbranch_vccnz .LBB1927_17
; %bb.1:
	s_load_b128 s[8:11], s[0:1], 0x0
	s_waitcnt lgkmcnt(0)
	s_lshl_b32 s11, s14, 5
	s_and_b32 s3, 1, s8
	s_lshl_b32 s8, s13, 5
	s_cmp_eq_u32 s3, 1
	s_cselect_b32 vcc_lo, -1, 0
	s_delay_alu instid0(SALU_CYCLE_1) | instskip(SKIP_2) | instid1(SALU_CYCLE_1)
	s_and_b32 s3, vcc_lo, exec_lo
	s_cselect_b32 s3, s8, s11
	s_cselect_b32 s12, s11, s8
	s_cmp_gt_i32 s3, s12
	s_cbranch_scc1 .LBB1927_17
; %bb.2:
	s_cmp_lt_i32 s10, 1
	s_cbranch_scc1 .LBB1927_17
; %bb.3:
	s_mov_b32 s2, s15
	s_clause 0x4
	s_load_b128 s[16:19], s[0:1], 0x28
	s_load_b32 s26, s[0:1], 0x20
	s_load_b32 s27, s[0:1], 0x38
	s_load_b128 s[12:15], s[0:1], 0x40
	s_load_b32 s28, s[0:1], 0x50
	s_mov_b32 s3, 0
	s_load_b64 s[24:25], s[0:1], 0x58
	s_lshl_b64 s[20:21], s[2:3], 3
	v_and_b32_e32 v14, 0x3ff, v0
	s_add_u32 s0, s22, s20
	s_addc_u32 s1, s23, s21
	v_bfe_u32 v15, v0, 10, 10
	s_load_b64 s[22:23], s[0:1], 0x0
	v_add_nc_u32_e32 v0, s8, v14
	s_delay_alu instid0(VALU_DEP_2) | instskip(SKIP_2) | instid1(VALU_DEP_4)
	v_add_nc_u32_e32 v8, s11, v15
	v_lshlrev_b32_e32 v6, 4, v15
	v_lshlrev_b32_e32 v16, 9, v14
	v_ashrrev_i32_e32 v1, 31, v0
	s_waitcnt lgkmcnt(0)
	s_add_u32 s0, s18, s20
	v_cndmask_b32_e32 v9, v8, v0, vcc_lo
	s_addc_u32 s1, s19, s21
	v_mad_i64_i32 v[2:3], null, s26, v0, 0
	s_load_b64 s[18:19], s[0:1], 0x0
	s_add_u32 s0, s14, s20
	s_addc_u32 s1, s15, s21
	v_mad_i64_i32 v[4:5], null, s27, v8, 0
	s_load_b64 s[14:15], s[0:1], 0x0
	s_delay_alu instid0(VALU_DEP_2) | instskip(SKIP_4) | instid1(VALU_DEP_3)
	v_lshlrev_b64 v[2:3], 4, v[2:3]
	s_lshl_b64 s[16:17], s[16:17], 4
	v_cndmask_b32_e32 v7, v0, v8, vcc_lo
	s_add_u32 s11, s22, s16
	s_addc_u32 s16, s23, s17
	v_lshlrev_b64 v[4:5], 4, v[4:5]
	v_add_co_u32 v18, s1, s11, v2
	s_delay_alu instid0(VALU_DEP_1)
	v_add_co_ci_u32_e64 v19, s1, s16, v3, s1
	v_mad_i64_i32 v[2:3], null, s28, v8, 0
	v_cmp_gt_i32_e32 vcc_lo, s9, v0
	v_cmp_gt_i32_e64 s0, s9, v8
	s_lshl_b64 s[8:9], s[12:13], 4
	v_add_nc_u32_e32 v17, v16, v6
	s_waitcnt lgkmcnt(0)
	s_add_u32 s12, s18, s8
	s_addc_u32 s13, s19, s9
	v_add_co_u32 v21, s1, s12, v4
	v_lshlrev_b64 v[2:3], 4, v[2:3]
	s_lshl_b64 s[8:9], s[24:25], 4
	v_add_co_ci_u32_e64 v22, s1, s13, v5, s1
	v_mad_i64_i32 v[4:5], null, s27, v0, 0
	s_add_u32 s2, s14, s8
	v_or_b32_e32 v20, 0x4000, v6
	v_cmp_le_i32_e64 s1, v9, v7
	v_lshlrev_b64 v[0:1], 4, v[0:1]
	v_mad_i64_i32 v[6:7], null, s26, v8, 0
	s_addc_u32 s8, s15, s9
	v_add_co_u32 v8, s2, s2, v2
	s_delay_alu instid0(VALU_DEP_1) | instskip(SKIP_1) | instid1(VALU_DEP_3)
	v_add_co_ci_u32_e64 v9, s2, s8, v3, s2
	v_lshlrev_b64 v[2:3], 4, v[4:5]
	v_add_co_u32 v8, s2, v8, v0
	s_delay_alu instid0(VALU_DEP_1) | instskip(SKIP_1) | instid1(VALU_DEP_4)
	v_add_co_ci_u32_e64 v9, s2, v9, v1, s2
	v_lshlrev_b64 v[0:1], 4, v[6:7]
	v_add_co_u32 v24, s2, s12, v2
	s_delay_alu instid0(VALU_DEP_1) | instskip(SKIP_1) | instid1(VALU_DEP_4)
	v_add_co_ci_u32_e64 v25, s2, s13, v3, s2
	v_add_nc_u32_e32 v23, v20, v16
	v_add_co_u32 v26, s2, s11, v0
	s_delay_alu instid0(VALU_DEP_1) | instskip(SKIP_1) | instid1(SALU_CYCLE_1)
	v_add_co_ci_u32_e64 v27, s2, s16, v1, s2
	s_and_b32 s2, s0, vcc_lo
	s_and_b32 s2, s2, s1
	s_branch .LBB1927_5
.LBB1927_4:                             ;   in Loop: Header=BB1927_5 Depth=1
	s_or_b32 exec_lo, exec_lo, s1
	s_add_i32 s3, s3, 32
	s_waitcnt_vscnt null, 0x0
	s_cmp_lt_i32 s3, s10
	s_barrier
	buffer_gl0_inv
	s_cbranch_scc0 .LBB1927_17
.LBB1927_5:                             ; =>This Inner Loop Header: Depth=1
	v_add_nc_u32_e32 v10, s3, v15
	v_mov_b32_e32 v0, 0
	v_mov_b32_e32 v1, 0
	s_delay_alu instid0(VALU_DEP_3) | instskip(NEXT) | instid1(VALU_DEP_2)
	v_cmp_gt_i32_e64 s1, s10, v10
	v_dual_mov_b32 v5, v1 :: v_dual_mov_b32 v4, v0
	v_dual_mov_b32 v7, v1 :: v_dual_mov_b32 v6, v0
	s_delay_alu instid0(VALU_DEP_3) | instskip(NEXT) | instid1(SALU_CYCLE_1)
	s_and_b32 s8, vcc_lo, s1
	s_and_saveexec_b32 s9, s8
	s_cbranch_execz .LBB1927_7
; %bb.6:                                ;   in Loop: Header=BB1927_5 Depth=1
	v_ashrrev_i32_e32 v11, 31, v10
	s_delay_alu instid0(VALU_DEP_1) | instskip(NEXT) | instid1(VALU_DEP_1)
	v_lshlrev_b64 v[2:3], 4, v[10:11]
	v_add_co_u32 v2, s1, v18, v2
	s_delay_alu instid0(VALU_DEP_1)
	v_add_co_ci_u32_e64 v3, s1, v19, v3, s1
	global_load_b128 v[4:7], v[2:3], off
.LBB1927_7:                             ;   in Loop: Header=BB1927_5 Depth=1
	s_or_b32 exec_lo, exec_lo, s9
	v_dual_mov_b32 v3, v1 :: v_dual_add_nc_u32 v12, s3, v14
	v_mov_b32_e32 v2, v0
	s_waitcnt vmcnt(0)
	ds_store_b128 v17, v[4:7]
	v_cmp_gt_i32_e64 s1, s10, v12
	s_delay_alu instid0(VALU_DEP_1) | instskip(NEXT) | instid1(SALU_CYCLE_1)
	s_and_b32 s9, s0, s1
	s_and_saveexec_b32 s11, s9
	s_cbranch_execz .LBB1927_9
; %bb.8:                                ;   in Loop: Header=BB1927_5 Depth=1
	v_ashrrev_i32_e32 v13, 31, v12
	s_delay_alu instid0(VALU_DEP_1) | instskip(NEXT) | instid1(VALU_DEP_1)
	v_lshlrev_b64 v[0:1], 4, v[12:13]
	v_add_co_u32 v0, s1, v21, v0
	s_delay_alu instid0(VALU_DEP_1)
	v_add_co_ci_u32_e64 v1, s1, v22, v1, s1
	global_load_b128 v[0:3], v[0:1], off
.LBB1927_9:                             ;   in Loop: Header=BB1927_5 Depth=1
	s_or_b32 exec_lo, exec_lo, s11
	s_waitcnt vmcnt(0)
	ds_store_b128 v23, v[0:3]
	s_waitcnt lgkmcnt(0)
	s_barrier
	buffer_gl0_inv
	s_and_saveexec_b32 s1, s2
	s_cbranch_execz .LBB1927_11
; %bb.10:                               ;   in Loop: Header=BB1927_5 Depth=1
	ds_load_b128 v[0:3], v20
	ds_load_b128 v[4:7], v16
	ds_load_b128 v[28:31], v16 offset:16
	ds_load_b128 v[32:35], v20 offset:512
	s_waitcnt lgkmcnt(2)
	v_mul_f64 v[36:37], v[0:1], v[6:7]
	v_mul_f64 v[6:7], v[2:3], v[6:7]
	s_waitcnt lgkmcnt(0)
	v_mul_f64 v[52:53], v[32:33], v[30:31]
	v_mul_f64 v[30:31], v[34:35], v[30:31]
	s_delay_alu instid0(VALU_DEP_4)
	v_fma_f64 v[2:3], v[2:3], v[4:5], v[36:37]
	ds_load_b128 v[36:39], v20 offset:1024
	ds_load_b128 v[40:43], v16 offset:32
	;; [unrolled: 1-line block ×4, first 2 shown]
	v_fma_f64 v[0:1], v[0:1], v[4:5], -v[6:7]
	v_fma_f64 v[4:5], v[34:35], v[28:29], v[52:53]
	v_fma_f64 v[56:57], v[32:33], v[28:29], -v[30:31]
	s_waitcnt lgkmcnt(2)
	v_mul_f64 v[54:55], v[36:37], v[42:43]
	v_mul_f64 v[42:43], v[38:39], v[42:43]
	s_waitcnt lgkmcnt(0)
	v_mul_f64 v[52:53], v[48:49], v[46:47]
	v_mul_f64 v[46:47], v[50:51], v[46:47]
	v_add_f64 v[2:3], v[2:3], 0
	v_fma_f64 v[38:39], v[38:39], v[40:41], v[54:55]
	v_add_f64 v[54:55], v[0:1], 0
	v_fma_f64 v[36:37], v[36:37], v[40:41], -v[42:43]
	v_fma_f64 v[40:41], v[50:51], v[44:45], v[52:53]
	v_add_f64 v[58:59], v[2:3], v[4:5]
	ds_load_b128 v[0:3], v16 offset:64
	ds_load_b128 v[4:7], v20 offset:2048
	ds_load_b128 v[28:31], v20 offset:2560
	ds_load_b128 v[32:35], v16 offset:80
	s_waitcnt lgkmcnt(2)
	v_mul_f64 v[60:61], v[4:5], v[2:3]
	v_add_f64 v[42:43], v[54:55], v[56:57]
	v_mul_f64 v[2:3], v[6:7], v[2:3]
	s_waitcnt lgkmcnt(0)
	v_mul_f64 v[52:53], v[28:29], v[34:35]
	v_fma_f64 v[54:55], v[48:49], v[44:45], -v[46:47]
	v_mul_f64 v[34:35], v[30:31], v[34:35]
	v_add_f64 v[38:39], v[58:59], v[38:39]
	v_fma_f64 v[6:7], v[6:7], v[0:1], v[60:61]
	v_add_f64 v[56:57], v[42:43], v[36:37]
	v_fma_f64 v[0:1], v[4:5], v[0:1], -v[2:3]
	v_fma_f64 v[2:3], v[30:31], v[32:33], v[52:53]
	v_add_f64 v[58:59], v[38:39], v[40:41]
	ds_load_b128 v[36:39], v16 offset:96
	ds_load_b128 v[40:43], v20 offset:3072
	ds_load_b128 v[44:47], v20 offset:3584
	ds_load_b128 v[48:51], v16 offset:112
	s_waitcnt lgkmcnt(2)
	v_mul_f64 v[60:61], v[40:41], v[38:39]
	v_add_f64 v[4:5], v[56:57], v[54:55]
	v_mul_f64 v[38:39], v[42:43], v[38:39]
	s_waitcnt lgkmcnt(0)
	v_mul_f64 v[52:53], v[44:45], v[50:51]
	v_fma_f64 v[54:55], v[28:29], v[32:33], -v[34:35]
	;; [unrolled: 18-line block ×11, first 2 shown]
	v_mul_f64 v[34:35], v[30:31], v[34:35]
	v_add_f64 v[42:43], v[58:59], v[42:43]
	v_fma_f64 v[6:7], v[6:7], v[0:1], v[60:61]
	v_add_f64 v[56:57], v[40:41], v[36:37]
	v_fma_f64 v[0:1], v[4:5], v[0:1], -v[2:3]
	v_fma_f64 v[2:3], v[30:31], v[32:33], v[52:53]
	v_add_f64 v[58:59], v[42:43], v[38:39]
	ds_load_b128 v[36:39], v16 offset:416
	ds_load_b128 v[40:43], v20 offset:13312
	;; [unrolled: 1-line block ×4, first 2 shown]
	s_waitcnt lgkmcnt(2)
	v_mul_f64 v[60:61], v[40:41], v[38:39]
	v_add_f64 v[4:5], v[56:57], v[54:55]
	v_mul_f64 v[38:39], v[42:43], v[38:39]
	s_waitcnt lgkmcnt(0)
	v_mul_f64 v[56:57], v[44:45], v[50:51]
	v_mul_f64 v[50:51], v[46:47], v[50:51]
	v_add_f64 v[6:7], v[58:59], v[6:7]
	v_fma_f64 v[58:59], v[28:29], v[32:33], -v[34:35]
	v_fma_f64 v[42:43], v[42:43], v[36:37], v[60:61]
	v_add_f64 v[60:61], v[4:5], v[0:1]
	v_fma_f64 v[36:37], v[40:41], v[36:37], -v[38:39]
	v_fma_f64 v[38:39], v[46:47], v[48:49], v[56:57]
	v_add_f64 v[62:63], v[6:7], v[2:3]
	ds_load_b128 v[0:3], v16 offset:448
	ds_load_b128 v[4:7], v20 offset:14336
	global_load_b128 v[28:31], v[8:9], off
	ds_load_b128 v[32:35], v20 offset:14848
	ds_load_b128 v[52:55], v16 offset:464
	v_add_f64 v[40:41], v[60:61], v[58:59]
	s_waitcnt lgkmcnt(2)
	v_mul_f64 v[64:65], v[4:5], v[2:3]
	v_mul_f64 v[2:3], v[6:7], v[2:3]
	s_waitcnt lgkmcnt(0)
	v_mul_f64 v[56:57], v[32:33], v[54:55]
	v_fma_f64 v[58:59], v[44:45], v[48:49], -v[50:51]
	v_mul_f64 v[54:55], v[34:35], v[54:55]
	v_add_f64 v[42:43], v[62:63], v[42:43]
	v_add_f64 v[60:61], v[40:41], v[36:37]
	v_fma_f64 v[6:7], v[6:7], v[0:1], v[64:65]
	v_fma_f64 v[0:1], v[4:5], v[0:1], -v[2:3]
	v_fma_f64 v[2:3], v[34:35], v[52:53], v[56:57]
	v_fma_f64 v[32:33], v[32:33], v[52:53], -v[54:55]
	v_add_f64 v[62:63], v[42:43], v[38:39]
	ds_load_b128 v[36:39], v16 offset:480
	ds_load_b128 v[40:43], v20 offset:15360
	;; [unrolled: 1-line block ×4, first 2 shown]
	s_waitcnt lgkmcnt(2)
	v_mul_f64 v[64:65], v[40:41], v[38:39]
	v_add_f64 v[4:5], v[60:61], v[58:59]
	v_mul_f64 v[34:35], v[42:43], v[38:39]
	s_waitcnt lgkmcnt(0)
	v_mul_f64 v[38:39], v[44:45], v[50:51]
	v_add_f64 v[6:7], v[62:63], v[6:7]
	v_fma_f64 v[42:43], v[42:43], v[36:37], v[64:65]
	v_add_f64 v[0:1], v[4:5], v[0:1]
	v_mul_f64 v[4:5], v[46:47], v[50:51]
	s_delay_alu instid0(VALU_DEP_4)
	v_add_f64 v[2:3], v[6:7], v[2:3]
	v_fma_f64 v[6:7], v[40:41], v[36:37], -v[34:35]
	v_fma_f64 v[34:35], v[46:47], v[48:49], v[38:39]
	v_add_f64 v[0:1], v[0:1], v[32:33]
	v_fma_f64 v[4:5], v[44:45], v[48:49], -v[4:5]
	v_add_f64 v[2:3], v[2:3], v[42:43]
	s_delay_alu instid0(VALU_DEP_3) | instskip(NEXT) | instid1(VALU_DEP_2)
	v_add_f64 v[0:1], v[0:1], v[6:7]
	v_add_f64 v[2:3], v[2:3], v[34:35]
	s_delay_alu instid0(VALU_DEP_2) | instskip(NEXT) | instid1(VALU_DEP_2)
	v_add_f64 v[0:1], v[0:1], v[4:5]
	v_mul_f64 v[4:5], s[6:7], v[2:3]
	v_mul_f64 v[2:3], s[4:5], v[2:3]
	s_delay_alu instid0(VALU_DEP_2) | instskip(NEXT) | instid1(VALU_DEP_2)
	v_fma_f64 v[4:5], s[4:5], v[0:1], -v[4:5]
	v_fma_f64 v[2:3], s[6:7], v[0:1], v[2:3]
	s_waitcnt vmcnt(0)
	s_delay_alu instid0(VALU_DEP_2) | instskip(NEXT) | instid1(VALU_DEP_2)
	v_add_f64 v[0:1], v[28:29], v[4:5]
	v_add_f64 v[2:3], v[30:31], v[2:3]
	global_store_b128 v[8:9], v[0:3], off
.LBB1927_11:                            ;   in Loop: Header=BB1927_5 Depth=1
	s_or_b32 exec_lo, exec_lo, s1
	v_mov_b32_e32 v2, 0
	v_mov_b32_e32 v3, 0
	s_waitcnt_vscnt null, 0x0
	s_barrier
	buffer_gl0_inv
	v_dual_mov_b32 v7, v3 :: v_dual_mov_b32 v6, v2
	v_dual_mov_b32 v5, v3 :: v_dual_mov_b32 v4, v2
	s_and_saveexec_b32 s11, s8
	s_cbranch_execz .LBB1927_13
; %bb.12:                               ;   in Loop: Header=BB1927_5 Depth=1
	v_ashrrev_i32_e32 v11, 31, v10
	s_delay_alu instid0(VALU_DEP_1) | instskip(NEXT) | instid1(VALU_DEP_1)
	v_lshlrev_b64 v[0:1], 4, v[10:11]
	v_add_co_u32 v0, s1, v24, v0
	s_delay_alu instid0(VALU_DEP_1)
	v_add_co_ci_u32_e64 v1, s1, v25, v1, s1
	global_load_b128 v[4:7], v[0:1], off
.LBB1927_13:                            ;   in Loop: Header=BB1927_5 Depth=1
	s_or_b32 exec_lo, exec_lo, s11
	v_dual_mov_b32 v0, v2 :: v_dual_mov_b32 v1, v3
	s_waitcnt vmcnt(0)
	ds_store_b128 v17, v[4:7]
	s_and_saveexec_b32 s8, s9
	s_cbranch_execz .LBB1927_15
; %bb.14:                               ;   in Loop: Header=BB1927_5 Depth=1
	v_ashrrev_i32_e32 v13, 31, v12
	s_delay_alu instid0(VALU_DEP_1) | instskip(NEXT) | instid1(VALU_DEP_1)
	v_lshlrev_b64 v[0:1], 4, v[12:13]
	v_add_co_u32 v0, s1, v26, v0
	s_delay_alu instid0(VALU_DEP_1)
	v_add_co_ci_u32_e64 v1, s1, v27, v1, s1
	global_load_b128 v[0:3], v[0:1], off
.LBB1927_15:                            ;   in Loop: Header=BB1927_5 Depth=1
	s_or_b32 exec_lo, exec_lo, s8
	s_waitcnt vmcnt(0)
	ds_store_b128 v23, v[0:3]
	s_waitcnt lgkmcnt(0)
	s_barrier
	buffer_gl0_inv
	s_and_saveexec_b32 s1, s2
	s_cbranch_execz .LBB1927_4
; %bb.16:                               ;   in Loop: Header=BB1927_5 Depth=1
	ds_load_b128 v[0:3], v20
	ds_load_b128 v[4:7], v16
	ds_load_b128 v[10:13], v16 offset:16
	ds_load_b128 v[28:31], v20 offset:512
	s_waitcnt lgkmcnt(2)
	v_mul_f64 v[32:33], v[0:1], v[6:7]
	v_mul_f64 v[6:7], v[2:3], v[6:7]
	s_waitcnt lgkmcnt(0)
	v_mul_f64 v[40:41], v[30:31], v[12:13]
	v_mul_f64 v[12:13], v[28:29], v[12:13]
	s_delay_alu instid0(VALU_DEP_4) | instskip(NEXT) | instid1(VALU_DEP_4)
	v_fma_f64 v[42:43], v[2:3], v[4:5], v[32:33]
	v_fma_f64 v[44:45], v[0:1], v[4:5], -v[6:7]
	ds_load_b128 v[0:3], v20 offset:1024
	ds_load_b128 v[4:7], v16 offset:32
	;; [unrolled: 1-line block ×4, first 2 shown]
	v_fma_f64 v[28:29], v[28:29], v[10:11], -v[40:41]
	v_fma_f64 v[10:11], v[30:31], v[10:11], v[12:13]
	s_waitcnt lgkmcnt(2)
	v_mul_f64 v[46:47], v[2:3], v[6:7]
	v_mul_f64 v[6:7], v[0:1], v[6:7]
	s_waitcnt lgkmcnt(0)
	v_mul_f64 v[40:41], v[38:39], v[34:35]
	v_mul_f64 v[34:35], v[36:37], v[34:35]
	v_add_f64 v[12:13], v[42:43], 0
	v_add_f64 v[30:31], v[44:45], 0
	v_fma_f64 v[42:43], v[0:1], v[4:5], -v[46:47]
	v_fma_f64 v[44:45], v[2:3], v[4:5], v[6:7]
	v_fma_f64 v[36:37], v[36:37], v[32:33], -v[40:41]
	v_fma_f64 v[32:33], v[38:39], v[32:33], v[34:35]
	v_add_f64 v[46:47], v[12:13], v[10:11]
	v_add_f64 v[48:49], v[30:31], v[28:29]
	ds_load_b128 v[0:3], v16 offset:64
	ds_load_b128 v[4:7], v20 offset:2048
	ds_load_b128 v[10:13], v20 offset:2560
	ds_load_b128 v[28:31], v16 offset:80
	s_waitcnt lgkmcnt(2)
	v_mul_f64 v[50:51], v[6:7], v[2:3]
	v_mul_f64 v[2:3], v[4:5], v[2:3]
	s_waitcnt lgkmcnt(0)
	v_mul_f64 v[40:41], v[12:13], v[30:31]
	v_add_f64 v[34:35], v[46:47], v[44:45]
	v_add_f64 v[38:39], v[48:49], v[42:43]
	v_mul_f64 v[42:43], v[10:11], v[30:31]
	v_fma_f64 v[44:45], v[4:5], v[0:1], -v[50:51]
	v_fma_f64 v[46:47], v[6:7], v[0:1], v[2:3]
	v_fma_f64 v[10:11], v[10:11], v[28:29], -v[40:41]
	v_add_f64 v[48:49], v[34:35], v[32:33]
	v_add_f64 v[38:39], v[38:39], v[36:37]
	ds_load_b128 v[0:3], v16 offset:96
	ds_load_b128 v[4:7], v20 offset:3072
	ds_load_b128 v[30:33], v20 offset:3584
	ds_load_b128 v[34:37], v16 offset:112
	v_fma_f64 v[12:13], v[12:13], v[28:29], v[42:43]
	s_waitcnt lgkmcnt(2)
	v_mul_f64 v[50:51], v[6:7], v[2:3]
	v_mul_f64 v[2:3], v[4:5], v[2:3]
	s_waitcnt lgkmcnt(0)
	v_mul_f64 v[40:41], v[32:33], v[36:37]
	v_mul_f64 v[42:43], v[30:31], v[36:37]
	v_add_f64 v[28:29], v[48:49], v[46:47]
	v_add_f64 v[38:39], v[38:39], v[44:45]
	v_fma_f64 v[44:45], v[4:5], v[0:1], -v[50:51]
	v_fma_f64 v[46:47], v[6:7], v[0:1], v[2:3]
	v_fma_f64 v[30:31], v[30:31], v[34:35], -v[40:41]
	v_fma_f64 v[32:33], v[32:33], v[34:35], v[42:43]
	v_add_f64 v[28:29], v[28:29], v[12:13]
	v_add_f64 v[48:49], v[38:39], v[10:11]
	ds_load_b128 v[0:3], v16 offset:128
	ds_load_b128 v[4:7], v20 offset:4096
	ds_load_b128 v[10:13], v20 offset:4608
	ds_load_b128 v[36:39], v16 offset:144
	s_waitcnt lgkmcnt(2)
	v_mul_f64 v[50:51], v[6:7], v[2:3]
	v_mul_f64 v[2:3], v[4:5], v[2:3]
	s_waitcnt lgkmcnt(0)
	v_mul_f64 v[40:41], v[12:13], v[38:39]
	v_mul_f64 v[38:39], v[10:11], v[38:39]
	v_add_f64 v[28:29], v[28:29], v[46:47]
	v_add_f64 v[34:35], v[48:49], v[44:45]
	v_fma_f64 v[42:43], v[4:5], v[0:1], -v[50:51]
	v_fma_f64 v[44:45], v[6:7], v[0:1], v[2:3]
	v_fma_f64 v[10:11], v[10:11], v[36:37], -v[40:41]
	v_fma_f64 v[12:13], v[12:13], v[36:37], v[38:39]
	v_add_f64 v[46:47], v[28:29], v[32:33]
	v_add_f64 v[48:49], v[34:35], v[30:31]
	ds_load_b128 v[0:3], v16 offset:160
	ds_load_b128 v[4:7], v20 offset:5120
	ds_load_b128 v[28:31], v20 offset:5632
	ds_load_b128 v[32:35], v16 offset:176
	s_waitcnt lgkmcnt(2)
	v_mul_f64 v[50:51], v[6:7], v[2:3]
	v_mul_f64 v[2:3], v[4:5], v[2:3]
	s_waitcnt lgkmcnt(0)
	v_mul_f64 v[40:41], v[30:31], v[34:35]
	v_add_f64 v[36:37], v[46:47], v[44:45]
	v_add_f64 v[38:39], v[48:49], v[42:43]
	v_mul_f64 v[42:43], v[28:29], v[34:35]
	v_fma_f64 v[44:45], v[4:5], v[0:1], -v[50:51]
	v_fma_f64 v[46:47], v[6:7], v[0:1], v[2:3]
	v_fma_f64 v[28:29], v[28:29], v[32:33], -v[40:41]
	v_add_f64 v[48:49], v[36:37], v[12:13]
	v_add_f64 v[38:39], v[38:39], v[10:11]
	ds_load_b128 v[0:3], v16 offset:192
	ds_load_b128 v[4:7], v20 offset:6144
	ds_load_b128 v[10:13], v20 offset:6656
	ds_load_b128 v[34:37], v16 offset:208
	v_fma_f64 v[30:31], v[30:31], v[32:33], v[42:43]
	s_waitcnt lgkmcnt(2)
	v_mul_f64 v[50:51], v[6:7], v[2:3]
	v_mul_f64 v[2:3], v[4:5], v[2:3]
	s_waitcnt lgkmcnt(0)
	v_mul_f64 v[40:41], v[12:13], v[36:37]
	v_mul_f64 v[42:43], v[10:11], v[36:37]
	v_add_f64 v[32:33], v[48:49], v[46:47]
	v_add_f64 v[38:39], v[38:39], v[44:45]
	v_fma_f64 v[44:45], v[4:5], v[0:1], -v[50:51]
	v_fma_f64 v[46:47], v[6:7], v[0:1], v[2:3]
	v_fma_f64 v[10:11], v[10:11], v[34:35], -v[40:41]
	v_fma_f64 v[12:13], v[12:13], v[34:35], v[42:43]
	v_add_f64 v[32:33], v[32:33], v[30:31]
	v_add_f64 v[48:49], v[38:39], v[28:29]
	ds_load_b128 v[0:3], v16 offset:224
	ds_load_b128 v[4:7], v20 offset:7168
	ds_load_b128 v[28:31], v20 offset:7680
	ds_load_b128 v[36:39], v16 offset:240
	;; [unrolled: 54-line block ×4, first 2 shown]
	s_waitcnt lgkmcnt(2)
	v_mul_f64 v[50:51], v[6:7], v[2:3]
	v_mul_f64 v[2:3], v[4:5], v[2:3]
	s_waitcnt lgkmcnt(0)
	v_mul_f64 v[42:43], v[30:31], v[38:39]
	v_add_f64 v[32:33], v[32:33], v[46:47]
	v_add_f64 v[34:35], v[48:49], v[44:45]
	v_mul_f64 v[44:45], v[28:29], v[38:39]
	v_fma_f64 v[46:47], v[4:5], v[0:1], -v[50:51]
	v_fma_f64 v[48:49], v[6:7], v[0:1], v[2:3]
	ds_load_b128 v[0:3], v16 offset:448
	ds_load_b128 v[4:7], v20 offset:14336
	v_fma_f64 v[28:29], v[28:29], v[36:37], -v[42:43]
	v_add_f64 v[50:51], v[32:33], v[12:13]
	v_add_f64 v[52:53], v[34:35], v[10:11]
	global_load_b128 v[10:13], v[8:9], off
	v_fma_f64 v[30:31], v[30:31], v[36:37], v[44:45]
	s_waitcnt lgkmcnt(0)
	v_mul_f64 v[54:55], v[6:7], v[2:3]
	v_mul_f64 v[2:3], v[4:5], v[2:3]
	ds_load_b128 v[32:35], v20 offset:14848
	ds_load_b128 v[38:41], v16 offset:464
	s_waitcnt lgkmcnt(0)
	v_mul_f64 v[44:45], v[34:35], v[40:41]
	v_add_f64 v[36:37], v[50:51], v[48:49]
	v_add_f64 v[42:43], v[52:53], v[46:47]
	v_mul_f64 v[46:47], v[32:33], v[40:41]
	v_fma_f64 v[48:49], v[4:5], v[0:1], -v[54:55]
	v_fma_f64 v[50:51], v[6:7], v[0:1], v[2:3]
	v_fma_f64 v[32:33], v[32:33], v[38:39], -v[44:45]
	v_add_f64 v[36:37], v[36:37], v[30:31]
	v_add_f64 v[52:53], v[42:43], v[28:29]
	ds_load_b128 v[0:3], v16 offset:480
	ds_load_b128 v[4:7], v20 offset:15360
	;; [unrolled: 1-line block ×4, first 2 shown]
	v_fma_f64 v[34:35], v[34:35], v[38:39], v[46:47]
	s_waitcnt lgkmcnt(2)
	v_mul_f64 v[54:55], v[6:7], v[2:3]
	v_mul_f64 v[2:3], v[4:5], v[2:3]
	s_waitcnt lgkmcnt(0)
	v_mul_f64 v[44:45], v[30:31], v[42:43]
	v_mul_f64 v[42:43], v[28:29], v[42:43]
	v_add_f64 v[36:37], v[36:37], v[50:51]
	v_add_f64 v[38:39], v[52:53], v[48:49]
	v_fma_f64 v[4:5], v[4:5], v[0:1], -v[54:55]
	v_fma_f64 v[0:1], v[6:7], v[0:1], v[2:3]
	v_fma_f64 v[28:29], v[28:29], v[40:41], -v[44:45]
	v_fma_f64 v[30:31], v[30:31], v[40:41], v[42:43]
	v_add_f64 v[2:3], v[36:37], v[34:35]
	v_add_f64 v[6:7], v[38:39], v[32:33]
	s_delay_alu instid0(VALU_DEP_2) | instskip(NEXT) | instid1(VALU_DEP_2)
	v_add_f64 v[0:1], v[2:3], v[0:1]
	v_add_f64 v[2:3], v[6:7], v[4:5]
	s_delay_alu instid0(VALU_DEP_2) | instskip(NEXT) | instid1(VALU_DEP_2)
	;; [unrolled: 3-line block ×3, first 2 shown]
	v_mul_f64 v[4:5], s[6:7], v[0:1]
	v_mul_f64 v[6:7], s[6:7], v[2:3]
	s_delay_alu instid0(VALU_DEP_2) | instskip(NEXT) | instid1(VALU_DEP_2)
	v_fma_f64 v[2:3], s[4:5], v[2:3], -v[4:5]
	v_fma_f64 v[4:5], s[4:5], v[0:1], v[6:7]
	s_waitcnt vmcnt(0)
	s_delay_alu instid0(VALU_DEP_2) | instskip(NEXT) | instid1(VALU_DEP_2)
	v_add_f64 v[0:1], v[10:11], v[2:3]
	v_add_f64 v[2:3], v[12:13], v[4:5]
	global_store_b128 v[8:9], v[0:3], off
	s_branch .LBB1927_4
.LBB1927_17:
	s_endpgm
	.section	.rodata,"a",@progbits
	.p2align	6, 0x0
	.amdhsa_kernel _ZL26rocblas_syr2k_her2k_kernelIiLb1ELb0ELb1ELi32EPK19rocblas_complex_numIdEPKS3_PKPS1_EvbiT_T4_T5_S9_lSB_S9_lT6_S9_li
		.amdhsa_group_segment_fixed_size 32768
		.amdhsa_private_segment_fixed_size 0
		.amdhsa_kernarg_size 100
		.amdhsa_user_sgpr_count 13
		.amdhsa_user_sgpr_dispatch_ptr 0
		.amdhsa_user_sgpr_queue_ptr 0
		.amdhsa_user_sgpr_kernarg_segment_ptr 1
		.amdhsa_user_sgpr_dispatch_id 0
		.amdhsa_user_sgpr_private_segment_size 0
		.amdhsa_wavefront_size32 1
		.amdhsa_uses_dynamic_stack 0
		.amdhsa_enable_private_segment 0
		.amdhsa_system_sgpr_workgroup_id_x 1
		.amdhsa_system_sgpr_workgroup_id_y 1
		.amdhsa_system_sgpr_workgroup_id_z 1
		.amdhsa_system_sgpr_workgroup_info 0
		.amdhsa_system_vgpr_workitem_id 1
		.amdhsa_next_free_vgpr 66
		.amdhsa_next_free_sgpr 29
		.amdhsa_reserve_vcc 1
		.amdhsa_float_round_mode_32 0
		.amdhsa_float_round_mode_16_64 0
		.amdhsa_float_denorm_mode_32 3
		.amdhsa_float_denorm_mode_16_64 3
		.amdhsa_dx10_clamp 1
		.amdhsa_ieee_mode 1
		.amdhsa_fp16_overflow 0
		.amdhsa_workgroup_processor_mode 1
		.amdhsa_memory_ordered 1
		.amdhsa_forward_progress 0
		.amdhsa_shared_vgpr_count 0
		.amdhsa_exception_fp_ieee_invalid_op 0
		.amdhsa_exception_fp_denorm_src 0
		.amdhsa_exception_fp_ieee_div_zero 0
		.amdhsa_exception_fp_ieee_overflow 0
		.amdhsa_exception_fp_ieee_underflow 0
		.amdhsa_exception_fp_ieee_inexact 0
		.amdhsa_exception_int_div_zero 0
	.end_amdhsa_kernel
	.section	.text._ZL26rocblas_syr2k_her2k_kernelIiLb1ELb0ELb1ELi32EPK19rocblas_complex_numIdEPKS3_PKPS1_EvbiT_T4_T5_S9_lSB_S9_lT6_S9_li,"axG",@progbits,_ZL26rocblas_syr2k_her2k_kernelIiLb1ELb0ELb1ELi32EPK19rocblas_complex_numIdEPKS3_PKPS1_EvbiT_T4_T5_S9_lSB_S9_lT6_S9_li,comdat
.Lfunc_end1927:
	.size	_ZL26rocblas_syr2k_her2k_kernelIiLb1ELb0ELb1ELi32EPK19rocblas_complex_numIdEPKS3_PKPS1_EvbiT_T4_T5_S9_lSB_S9_lT6_S9_li, .Lfunc_end1927-_ZL26rocblas_syr2k_her2k_kernelIiLb1ELb0ELb1ELi32EPK19rocblas_complex_numIdEPKS3_PKPS1_EvbiT_T4_T5_S9_lSB_S9_lT6_S9_li
                                        ; -- End function
	.section	.AMDGPU.csdata,"",@progbits
; Kernel info:
; codeLenInByte = 5604
; NumSgprs: 31
; NumVgprs: 66
; ScratchSize: 0
; MemoryBound: 1
; FloatMode: 240
; IeeeMode: 1
; LDSByteSize: 32768 bytes/workgroup (compile time only)
; SGPRBlocks: 3
; VGPRBlocks: 8
; NumSGPRsForWavesPerEU: 31
; NumVGPRsForWavesPerEU: 66
; Occupancy: 16
; WaveLimiterHint : 1
; COMPUTE_PGM_RSRC2:SCRATCH_EN: 0
; COMPUTE_PGM_RSRC2:USER_SGPR: 13
; COMPUTE_PGM_RSRC2:TRAP_HANDLER: 0
; COMPUTE_PGM_RSRC2:TGID_X_EN: 1
; COMPUTE_PGM_RSRC2:TGID_Y_EN: 1
; COMPUTE_PGM_RSRC2:TGID_Z_EN: 1
; COMPUTE_PGM_RSRC2:TIDIG_COMP_CNT: 1
	.section	.text._ZL26rocblas_syr2k_her2k_kernelIiLb1ELb1ELb0ELi32E19rocblas_complex_numIfEPKS1_PS1_EvbiT_T4_T5_S5_lS7_S5_lT6_S5_li,"axG",@progbits,_ZL26rocblas_syr2k_her2k_kernelIiLb1ELb1ELb0ELi32E19rocblas_complex_numIfEPKS1_PS1_EvbiT_T4_T5_S5_lS7_S5_lT6_S5_li,comdat
	.globl	_ZL26rocblas_syr2k_her2k_kernelIiLb1ELb1ELb0ELi32E19rocblas_complex_numIfEPKS1_PS1_EvbiT_T4_T5_S5_lS7_S5_lT6_S5_li ; -- Begin function _ZL26rocblas_syr2k_her2k_kernelIiLb1ELb1ELb0ELi32E19rocblas_complex_numIfEPKS1_PS1_EvbiT_T4_T5_S5_lS7_S5_lT6_S5_li
	.p2align	8
	.type	_ZL26rocblas_syr2k_her2k_kernelIiLb1ELb1ELb0ELi32E19rocblas_complex_numIfEPKS1_PS1_EvbiT_T4_T5_S5_lS7_S5_lT6_S5_li,@function
_ZL26rocblas_syr2k_her2k_kernelIiLb1ELb1ELb0ELi32E19rocblas_complex_numIfEPKS1_PS1_EvbiT_T4_T5_S5_lS7_S5_lT6_S5_li: ; @_ZL26rocblas_syr2k_her2k_kernelIiLb1ELb1ELb0ELi32E19rocblas_complex_numIfEPKS1_PS1_EvbiT_T4_T5_S5_lS7_S5_lT6_S5_li
; %bb.0:
	s_clause 0x1
	s_load_b128 s[4:7], s[0:1], 0x0
	s_load_b32 s3, s[0:1], 0x10
	s_waitcnt lgkmcnt(0)
	v_cmp_eq_f32_e64 s2, s7, 0
	v_cmp_eq_f32_e64 s8, s3, 0
	s_delay_alu instid0(VALU_DEP_1) | instskip(NEXT) | instid1(SALU_CYCLE_1)
	s_and_b32 s2, s2, s8
	s_and_b32 vcc_lo, exec_lo, s2
	s_cbranch_vccnz .LBB1928_17
; %bb.1:
	s_and_b32 s8, 1, s4
	s_lshl_b32 s2, s14, 5
	s_lshl_b32 s4, s13, 5
	s_cmp_eq_u32 s8, 1
	s_cselect_b32 vcc_lo, -1, 0
	s_delay_alu instid0(SALU_CYCLE_1) | instskip(SKIP_2) | instid1(SALU_CYCLE_1)
	s_and_b32 s8, vcc_lo, exec_lo
	s_cselect_b32 s8, s4, s2
	s_cselect_b32 s9, s2, s4
	s_cmp_gt_i32 s8, s9
	s_cbranch_scc1 .LBB1928_17
; %bb.2:
	s_cmp_lt_i32 s6, 1
	s_cbranch_scc1 .LBB1928_17
; %bb.3:
	s_clause 0x1
	s_load_b128 s[16:19], s[0:1], 0x28
	s_load_b128 s[8:11], s[0:1], 0x40
	v_bfe_u32 v6, v0, 10, 10
	v_and_b32_e32 v7, 0x3ff, v0
	s_clause 0x1
	s_load_b64 s[20:21], s[0:1], 0x58
	s_load_b64 s[22:23], s[0:1], 0x18
	v_add_nc_u32_e32 v0, s2, v6
	v_add_nc_u32_e32 v1, s4, v7
	s_clause 0x2
	s_load_b32 s4, s[0:1], 0x20
	s_load_b32 s12, s[0:1], 0x38
	;; [unrolled: 1-line block ×3, first 2 shown]
	v_lshlrev_b32_e32 v12, 3, v6
	v_dual_cndmask_b32 v17, v0, v1 :: v_dual_lshlrev_b32 v8, 8, v7
	v_ashrrev_i32_e32 v2, 31, v1
	v_cndmask_b32_e32 v16, v1, v0, vcc_lo
	v_cmp_gt_i32_e32 vcc_lo, s5, v1
	s_delay_alu instid0(VALU_DEP_4)
	v_add_nc_u32_e32 v11, v8, v12
	v_or_b32_e32 v12, 0x2000, v12
	v_lshlrev_b64 v[2:3], 3, v[1:2]
	s_waitcnt lgkmcnt(0)
	s_mul_i32 s1, s15, s17
	s_mul_hi_u32 s13, s15, s16
	s_mul_i32 s0, s15, s16
	s_add_i32 s1, s13, s1
	s_mul_i32 s9, s15, s9
	s_lshl_b64 s[0:1], s[0:1], 3
	s_mul_hi_u32 s14, s15, s8
	s_add_u32 s16, s22, s0
	s_mul_i32 s8, s15, s8
	s_addc_u32 s17, s23, s1
	s_add_i32 s9, s14, s9
	s_mul_i32 s13, s15, s21
	s_lshl_b64 s[0:1], s[8:9], 3
	s_mul_hi_u32 s14, s15, s20
	s_mul_i32 s8, s15, s20
	s_add_u32 s15, s18, s0
	v_mad_i64_i32 v[4:5], null, s2, v0, 0
	s_addc_u32 s18, s19, s1
	s_add_i32 s9, s14, s13
	v_ashrrev_i32_e32 v1, 31, v0
	s_lshl_b64 s[0:1], s[8:9], 3
	v_add_nc_u32_e32 v15, v12, v8
	s_add_u32 s8, s10, s0
	v_add_co_u32 v9, s0, s16, v2
	s_delay_alu instid0(VALU_DEP_1)
	v_add_co_ci_u32_e64 v10, s0, s17, v3, s0
	v_lshlrev_b64 v[18:19], 3, v[0:1]
	v_cmp_gt_i32_e64 s0, s5, v0
	v_lshlrev_b64 v[0:1], 3, v[4:5]
	s_addc_u32 s9, s11, s1
	v_add_nc_u32_e32 v20, 0x800, v12
	v_add_nc_u32_e32 v21, 0x1000, v12
	v_add_co_u32 v13, s1, s15, v18
	s_delay_alu instid0(VALU_DEP_4) | instskip(NEXT) | instid1(VALU_DEP_1)
	v_add_co_u32 v0, s2, s8, v0
	v_add_co_ci_u32_e64 v1, s2, s9, v1, s2
	v_add_co_ci_u32_e64 v14, s1, s18, v19, s1
	s_delay_alu instid0(VALU_DEP_3) | instskip(NEXT) | instid1(VALU_DEP_1)
	v_add_co_u32 v0, s2, v0, v2
	v_add_co_ci_u32_e64 v1, s2, v1, v3, s2
	v_cmp_le_i32_e64 s1, v17, v16
	v_add_co_u32 v16, s2, s15, v2
	s_delay_alu instid0(VALU_DEP_1) | instskip(SKIP_1) | instid1(VALU_DEP_1)
	v_add_co_ci_u32_e64 v17, s2, s18, v3, s2
	v_add_co_u32 v18, s2, s16, v18
	v_add_co_ci_u32_e64 v19, s2, s17, v19, s2
	v_add_nc_u32_e32 v22, 0x1800, v12
	s_and_b32 s5, s0, vcc_lo
	s_delay_alu instid0(SALU_CYCLE_1)
	s_and_b32 s2, s5, s1
	s_mov_b32 s5, 0
	s_branch .LBB1928_5
.LBB1928_4:                             ;   in Loop: Header=BB1928_5 Depth=1
	s_or_b32 exec_lo, exec_lo, s1
	s_add_i32 s5, s5, 32
	s_waitcnt_vscnt null, 0x0
	s_cmp_lt_i32 s5, s6
	s_barrier
	buffer_gl0_inv
	s_cbranch_scc0 .LBB1928_17
.LBB1928_5:                             ; =>This Inner Loop Header: Depth=1
	v_dual_mov_b32 v2, 0 :: v_dual_add_nc_u32 v23, s5, v6
	v_dual_mov_b32 v4, 0 :: v_dual_mov_b32 v5, 0
	s_delay_alu instid0(VALU_DEP_2) | instskip(NEXT) | instid1(VALU_DEP_1)
	v_cmp_gt_i32_e64 s1, s6, v23
	s_and_b32 s8, vcc_lo, s1
	s_delay_alu instid0(SALU_CYCLE_1)
	s_and_saveexec_b32 s9, s8
	s_cbranch_execz .LBB1928_7
; %bb.6:                                ;   in Loop: Header=BB1928_5 Depth=1
	v_mad_i64_i32 v[3:4], null, v23, s4, 0
	s_delay_alu instid0(VALU_DEP_1) | instskip(NEXT) | instid1(VALU_DEP_1)
	v_lshlrev_b64 v[3:4], 3, v[3:4]
	v_add_co_u32 v3, s1, v9, v3
	s_delay_alu instid0(VALU_DEP_1)
	v_add_co_ci_u32_e64 v4, s1, v10, v4, s1
	global_load_b64 v[4:5], v[3:4], off
.LBB1928_7:                             ;   in Loop: Header=BB1928_5 Depth=1
	s_or_b32 exec_lo, exec_lo, s9
	v_dual_mov_b32 v3, 0 :: v_dual_add_nc_u32 v24, s5, v7
	s_waitcnt vmcnt(0)
	ds_store_b64 v11, v[4:5]
	v_cmp_gt_i32_e64 s1, s6, v24
	s_delay_alu instid0(VALU_DEP_1) | instskip(NEXT) | instid1(SALU_CYCLE_1)
	s_and_b32 s9, s0, s1
	s_and_saveexec_b32 s10, s9
	s_cbranch_execz .LBB1928_9
; %bb.8:                                ;   in Loop: Header=BB1928_5 Depth=1
	v_mad_i64_i32 v[2:3], null, v24, s12, 0
	s_delay_alu instid0(VALU_DEP_1) | instskip(NEXT) | instid1(VALU_DEP_1)
	v_lshlrev_b64 v[2:3], 3, v[2:3]
	v_add_co_u32 v2, s1, v13, v2
	s_delay_alu instid0(VALU_DEP_1)
	v_add_co_ci_u32_e64 v3, s1, v14, v3, s1
	global_load_b64 v[2:3], v[2:3], off
	s_waitcnt vmcnt(0)
	v_xor_b32_e32 v3, 0x80000000, v3
.LBB1928_9:                             ;   in Loop: Header=BB1928_5 Depth=1
	s_or_b32 exec_lo, exec_lo, s10
	ds_store_b64 v15, v[2:3]
	s_waitcnt lgkmcnt(0)
	s_barrier
	buffer_gl0_inv
	s_and_saveexec_b32 s1, s2
	s_cbranch_execz .LBB1928_11
; %bb.10:                               ;   in Loop: Header=BB1928_5 Depth=1
	ds_load_b128 v[2:5], v8
	ds_load_b128 v[25:28], v8 offset:16
	ds_load_b128 v[29:32], v8 offset:32
	;; [unrolled: 1-line block ×3, first 2 shown]
	ds_load_2addr_b64 v[37:40], v12 offset1:32
	s_waitcnt lgkmcnt(0)
	v_mul_f32_e32 v41, v38, v3
	s_delay_alu instid0(VALU_DEP_1) | instskip(SKIP_3) | instid1(VALU_DEP_3)
	v_fma_f32 v41, v37, v2, -v41
	v_mul_f32_e32 v3, v37, v3
	v_mul_f32_e32 v37, v40, v5
	;; [unrolled: 1-line block ×3, first 2 shown]
	v_dual_fmac_f32 v3, v38, v2 :: v_dual_add_f32 v2, 0, v41
	s_delay_alu instid0(VALU_DEP_3) | instskip(NEXT) | instid1(VALU_DEP_3)
	v_fma_f32 v37, v39, v4, -v37
	v_fmac_f32_e32 v5, v40, v4
	s_delay_alu instid0(VALU_DEP_3) | instskip(NEXT) | instid1(VALU_DEP_3)
	v_add_f32_e32 v3, 0, v3
	v_add_f32_e32 v37, v2, v37
	s_delay_alu instid0(VALU_DEP_2) | instskip(SKIP_3) | instid1(VALU_DEP_1)
	v_add_f32_e32 v38, v3, v5
	ds_load_2addr_b64 v[2:5], v12 offset0:64 offset1:96
	s_waitcnt lgkmcnt(0)
	v_mul_f32_e32 v39, v3, v26
	v_fma_f32 v39, v2, v25, -v39
	v_mul_f32_e32 v2, v2, v26
	s_delay_alu instid0(VALU_DEP_1) | instskip(NEXT) | instid1(VALU_DEP_1)
	v_dual_fmac_f32 v2, v3, v25 :: v_dual_mul_f32 v25, v5, v28
	v_add_f32_e32 v2, v38, v2
	s_delay_alu instid0(VALU_DEP_2) | instskip(SKIP_1) | instid1(VALU_DEP_1)
	v_fma_f32 v25, v4, v27, -v25
	v_mul_f32_e32 v4, v4, v28
	v_fmac_f32_e32 v4, v5, v27
	s_delay_alu instid0(VALU_DEP_1) | instskip(NEXT) | instid1(VALU_DEP_1)
	v_dual_add_f32 v3, v37, v39 :: v_dual_add_f32 v26, v2, v4
	v_add_f32_e32 v25, v3, v25
	ds_load_2addr_b64 v[2:5], v12 offset0:128 offset1:160
	s_waitcnt lgkmcnt(0)
	v_mul_f32_e32 v27, v3, v30
	s_delay_alu instid0(VALU_DEP_1) | instskip(SKIP_1) | instid1(VALU_DEP_1)
	v_fma_f32 v27, v2, v29, -v27
	v_mul_f32_e32 v2, v2, v30
	v_fmac_f32_e32 v2, v3, v29
	s_delay_alu instid0(VALU_DEP_1) | instskip(SKIP_1) | instid1(VALU_DEP_1)
	v_dual_add_f32 v2, v26, v2 :: v_dual_add_f32 v3, v25, v27
	v_mul_f32_e32 v25, v5, v32
	v_fma_f32 v25, v4, v31, -v25
	v_mul_f32_e32 v4, v4, v32
	s_delay_alu instid0(VALU_DEP_1) | instskip(NEXT) | instid1(VALU_DEP_1)
	v_fmac_f32_e32 v4, v5, v31
	v_dual_add_f32 v26, v2, v4 :: v_dual_add_f32 v25, v3, v25
	ds_load_2addr_b64 v[2:5], v12 offset0:192 offset1:224
	s_waitcnt lgkmcnt(0)
	v_mul_f32_e32 v27, v3, v34
	s_delay_alu instid0(VALU_DEP_1) | instskip(SKIP_1) | instid1(VALU_DEP_1)
	v_fma_f32 v27, v2, v33, -v27
	v_mul_f32_e32 v2, v2, v34
	v_fmac_f32_e32 v2, v3, v33
	s_delay_alu instid0(VALU_DEP_1) | instskip(SKIP_1) | instid1(VALU_DEP_1)
	v_dual_add_f32 v2, v26, v2 :: v_dual_add_f32 v3, v25, v27
	v_mul_f32_e32 v25, v5, v36
	v_fma_f32 v25, v4, v35, -v25
	s_delay_alu instid0(VALU_DEP_1) | instskip(NEXT) | instid1(VALU_DEP_1)
	v_dual_mul_f32 v4, v4, v36 :: v_dual_add_f32 v29, v3, v25
	v_fmac_f32_e32 v4, v5, v35
	s_delay_alu instid0(VALU_DEP_1)
	v_add_f32_e32 v30, v2, v4
	ds_load_b128 v[2:5], v8 offset:64
	ds_load_2addr_b64 v[25:28], v20 offset1:32
	s_waitcnt lgkmcnt(0)
	v_mul_f32_e32 v31, v26, v3
	v_mul_f32_e32 v3, v25, v3
	s_delay_alu instid0(VALU_DEP_2) | instskip(NEXT) | instid1(VALU_DEP_2)
	v_fma_f32 v31, v25, v2, -v31
	v_fmac_f32_e32 v3, v26, v2
	v_mul_f32_e32 v25, v28, v5
	s_delay_alu instid0(VALU_DEP_3) | instskip(NEXT) | instid1(VALU_DEP_3)
	v_dual_mul_f32 v5, v27, v5 :: v_dual_add_f32 v2, v29, v31
	v_add_f32_e32 v3, v30, v3
	s_delay_alu instid0(VALU_DEP_3) | instskip(NEXT) | instid1(VALU_DEP_3)
	v_fma_f32 v25, v27, v4, -v25
	v_fmac_f32_e32 v5, v28, v4
	s_delay_alu instid0(VALU_DEP_2) | instskip(NEXT) | instid1(VALU_DEP_2)
	v_add_f32_e32 v29, v2, v25
	v_add_f32_e32 v30, v3, v5
	ds_load_b128 v[2:5], v8 offset:80
	ds_load_2addr_b64 v[25:28], v20 offset0:64 offset1:96
	s_waitcnt lgkmcnt(0)
	v_mul_f32_e32 v31, v26, v3
	v_mul_f32_e32 v3, v25, v3
	s_delay_alu instid0(VALU_DEP_2) | instskip(NEXT) | instid1(VALU_DEP_2)
	v_fma_f32 v31, v25, v2, -v31
	v_fmac_f32_e32 v3, v26, v2
	v_mul_f32_e32 v25, v28, v5
	s_delay_alu instid0(VALU_DEP_3) | instskip(NEXT) | instid1(VALU_DEP_3)
	v_dual_mul_f32 v5, v27, v5 :: v_dual_add_f32 v2, v29, v31
	v_add_f32_e32 v3, v30, v3
	s_delay_alu instid0(VALU_DEP_3) | instskip(NEXT) | instid1(VALU_DEP_3)
	v_fma_f32 v25, v27, v4, -v25
	v_fmac_f32_e32 v5, v28, v4
	s_delay_alu instid0(VALU_DEP_2) | instskip(NEXT) | instid1(VALU_DEP_2)
	v_add_f32_e32 v29, v2, v25
	v_add_f32_e32 v30, v3, v5
	ds_load_b128 v[2:5], v8 offset:96
	ds_load_2addr_b64 v[25:28], v20 offset0:128 offset1:160
	s_waitcnt lgkmcnt(0)
	v_mul_f32_e32 v31, v26, v3
	v_mul_f32_e32 v3, v25, v3
	s_delay_alu instid0(VALU_DEP_2) | instskip(NEXT) | instid1(VALU_DEP_2)
	v_fma_f32 v31, v25, v2, -v31
	v_fmac_f32_e32 v3, v26, v2
	v_mul_f32_e32 v25, v28, v5
	s_delay_alu instid0(VALU_DEP_3) | instskip(NEXT) | instid1(VALU_DEP_3)
	v_dual_mul_f32 v5, v27, v5 :: v_dual_add_f32 v2, v29, v31
	v_add_f32_e32 v3, v30, v3
	s_delay_alu instid0(VALU_DEP_3) | instskip(NEXT) | instid1(VALU_DEP_3)
	v_fma_f32 v25, v27, v4, -v25
	v_fmac_f32_e32 v5, v28, v4
	s_delay_alu instid0(VALU_DEP_2) | instskip(NEXT) | instid1(VALU_DEP_2)
	v_add_f32_e32 v29, v2, v25
	v_add_f32_e32 v30, v3, v5
	ds_load_b128 v[2:5], v8 offset:112
	ds_load_2addr_b64 v[25:28], v20 offset0:192 offset1:224
	s_waitcnt lgkmcnt(0)
	v_mul_f32_e32 v31, v26, v3
	v_mul_f32_e32 v3, v25, v3
	s_delay_alu instid0(VALU_DEP_2) | instskip(NEXT) | instid1(VALU_DEP_2)
	v_fma_f32 v31, v25, v2, -v31
	v_fmac_f32_e32 v3, v26, v2
	v_mul_f32_e32 v25, v28, v5
	s_delay_alu instid0(VALU_DEP_3) | instskip(NEXT) | instid1(VALU_DEP_3)
	v_dual_mul_f32 v5, v27, v5 :: v_dual_add_f32 v2, v29, v31
	v_add_f32_e32 v3, v30, v3
	s_delay_alu instid0(VALU_DEP_3) | instskip(NEXT) | instid1(VALU_DEP_3)
	v_fma_f32 v25, v27, v4, -v25
	v_fmac_f32_e32 v5, v28, v4
	s_delay_alu instid0(VALU_DEP_2) | instskip(NEXT) | instid1(VALU_DEP_2)
	v_add_f32_e32 v29, v2, v25
	v_add_f32_e32 v30, v3, v5
	ds_load_b128 v[2:5], v8 offset:128
	ds_load_2addr_b64 v[25:28], v21 offset1:32
	s_waitcnt lgkmcnt(0)
	v_mul_f32_e32 v31, v26, v3
	v_mul_f32_e32 v3, v25, v3
	s_delay_alu instid0(VALU_DEP_2) | instskip(NEXT) | instid1(VALU_DEP_2)
	v_fma_f32 v31, v25, v2, -v31
	v_fmac_f32_e32 v3, v26, v2
	v_mul_f32_e32 v25, v28, v5
	s_delay_alu instid0(VALU_DEP_3) | instskip(NEXT) | instid1(VALU_DEP_3)
	v_dual_mul_f32 v5, v27, v5 :: v_dual_add_f32 v2, v29, v31
	v_add_f32_e32 v3, v30, v3
	s_delay_alu instid0(VALU_DEP_3) | instskip(NEXT) | instid1(VALU_DEP_3)
	v_fma_f32 v25, v27, v4, -v25
	v_fmac_f32_e32 v5, v28, v4
	s_delay_alu instid0(VALU_DEP_2) | instskip(NEXT) | instid1(VALU_DEP_2)
	v_add_f32_e32 v29, v2, v25
	v_add_f32_e32 v30, v3, v5
	ds_load_b128 v[2:5], v8 offset:144
	ds_load_2addr_b64 v[25:28], v21 offset0:64 offset1:96
	s_waitcnt lgkmcnt(0)
	v_mul_f32_e32 v31, v26, v3
	v_mul_f32_e32 v3, v25, v3
	s_delay_alu instid0(VALU_DEP_2) | instskip(NEXT) | instid1(VALU_DEP_2)
	v_fma_f32 v31, v25, v2, -v31
	v_fmac_f32_e32 v3, v26, v2
	v_mul_f32_e32 v25, v28, v5
	s_delay_alu instid0(VALU_DEP_3) | instskip(NEXT) | instid1(VALU_DEP_3)
	v_dual_mul_f32 v5, v27, v5 :: v_dual_add_f32 v2, v29, v31
	v_add_f32_e32 v3, v30, v3
	s_delay_alu instid0(VALU_DEP_3) | instskip(NEXT) | instid1(VALU_DEP_3)
	v_fma_f32 v25, v27, v4, -v25
	v_fmac_f32_e32 v5, v28, v4
	s_delay_alu instid0(VALU_DEP_2) | instskip(NEXT) | instid1(VALU_DEP_2)
	v_add_f32_e32 v29, v2, v25
	v_add_f32_e32 v30, v3, v5
	ds_load_b128 v[2:5], v8 offset:160
	ds_load_2addr_b64 v[25:28], v21 offset0:128 offset1:160
	;; [unrolled: 18-line block ×3, first 2 shown]
	s_waitcnt lgkmcnt(0)
	v_mul_f32_e32 v31, v26, v3
	v_mul_f32_e32 v3, v25, v3
	s_delay_alu instid0(VALU_DEP_2) | instskip(NEXT) | instid1(VALU_DEP_2)
	v_fma_f32 v31, v25, v2, -v31
	v_fmac_f32_e32 v3, v26, v2
	v_mul_f32_e32 v25, v28, v5
	s_delay_alu instid0(VALU_DEP_3) | instskip(NEXT) | instid1(VALU_DEP_3)
	v_dual_mul_f32 v5, v27, v5 :: v_dual_add_f32 v2, v29, v31
	v_add_f32_e32 v3, v30, v3
	s_delay_alu instid0(VALU_DEP_3) | instskip(NEXT) | instid1(VALU_DEP_3)
	v_fma_f32 v25, v27, v4, -v25
	v_fmac_f32_e32 v5, v28, v4
	s_delay_alu instid0(VALU_DEP_2) | instskip(NEXT) | instid1(VALU_DEP_2)
	v_add_f32_e32 v29, v2, v25
	v_add_f32_e32 v30, v3, v5
	ds_load_b128 v[2:5], v8 offset:192
	ds_load_2addr_b64 v[25:28], v22 offset1:32
	s_waitcnt lgkmcnt(0)
	v_mul_f32_e32 v31, v26, v3
	v_mul_f32_e32 v3, v25, v3
	s_delay_alu instid0(VALU_DEP_2) | instskip(NEXT) | instid1(VALU_DEP_2)
	v_fma_f32 v31, v25, v2, -v31
	v_fmac_f32_e32 v3, v26, v2
	v_mul_f32_e32 v25, v28, v5
	s_delay_alu instid0(VALU_DEP_3) | instskip(NEXT) | instid1(VALU_DEP_3)
	v_dual_mul_f32 v5, v27, v5 :: v_dual_add_f32 v2, v29, v31
	v_add_f32_e32 v3, v30, v3
	s_delay_alu instid0(VALU_DEP_3) | instskip(NEXT) | instid1(VALU_DEP_3)
	v_fma_f32 v25, v27, v4, -v25
	v_fmac_f32_e32 v5, v28, v4
	s_delay_alu instid0(VALU_DEP_2) | instskip(NEXT) | instid1(VALU_DEP_2)
	v_add_f32_e32 v29, v2, v25
	v_add_f32_e32 v30, v3, v5
	ds_load_b128 v[2:5], v8 offset:208
	ds_load_2addr_b64 v[25:28], v22 offset0:64 offset1:96
	s_waitcnt lgkmcnt(0)
	v_mul_f32_e32 v31, v26, v3
	v_mul_f32_e32 v3, v25, v3
	s_delay_alu instid0(VALU_DEP_2) | instskip(NEXT) | instid1(VALU_DEP_2)
	v_fma_f32 v31, v25, v2, -v31
	v_fmac_f32_e32 v3, v26, v2
	v_mul_f32_e32 v25, v28, v5
	s_delay_alu instid0(VALU_DEP_3) | instskip(NEXT) | instid1(VALU_DEP_3)
	v_dual_mul_f32 v5, v27, v5 :: v_dual_add_f32 v2, v29, v31
	v_add_f32_e32 v3, v30, v3
	s_delay_alu instid0(VALU_DEP_3) | instskip(NEXT) | instid1(VALU_DEP_3)
	v_fma_f32 v25, v27, v4, -v25
	v_fmac_f32_e32 v5, v28, v4
	s_delay_alu instid0(VALU_DEP_2) | instskip(NEXT) | instid1(VALU_DEP_2)
	v_add_f32_e32 v29, v2, v25
	v_add_f32_e32 v30, v3, v5
	ds_load_b128 v[2:5], v8 offset:224
	ds_load_2addr_b64 v[25:28], v22 offset0:128 offset1:160
	s_waitcnt lgkmcnt(0)
	v_mul_f32_e32 v31, v26, v3
	v_mul_f32_e32 v3, v25, v3
	s_delay_alu instid0(VALU_DEP_2) | instskip(NEXT) | instid1(VALU_DEP_2)
	v_fma_f32 v31, v25, v2, -v31
	v_fmac_f32_e32 v3, v26, v2
	v_mul_f32_e32 v25, v28, v5
	s_delay_alu instid0(VALU_DEP_3) | instskip(NEXT) | instid1(VALU_DEP_3)
	v_dual_mul_f32 v5, v27, v5 :: v_dual_add_f32 v2, v29, v31
	v_add_f32_e32 v3, v30, v3
	s_delay_alu instid0(VALU_DEP_3) | instskip(NEXT) | instid1(VALU_DEP_3)
	v_fma_f32 v25, v27, v4, -v25
	v_fmac_f32_e32 v5, v28, v4
	s_delay_alu instid0(VALU_DEP_2) | instskip(NEXT) | instid1(VALU_DEP_2)
	v_add_f32_e32 v29, v2, v25
	v_add_f32_e32 v30, v3, v5
	ds_load_b128 v[2:5], v8 offset:240
	ds_load_2addr_b64 v[25:28], v22 offset0:192 offset1:224
	s_waitcnt lgkmcnt(0)
	v_mul_f32_e32 v31, v26, v3
	v_mul_f32_e32 v3, v25, v3
	s_delay_alu instid0(VALU_DEP_2) | instskip(NEXT) | instid1(VALU_DEP_2)
	v_fma_f32 v31, v25, v2, -v31
	v_fmac_f32_e32 v3, v26, v2
	v_mul_f32_e32 v25, v28, v5
	s_delay_alu instid0(VALU_DEP_3) | instskip(NEXT) | instid1(VALU_DEP_3)
	v_dual_mul_f32 v5, v27, v5 :: v_dual_add_f32 v2, v29, v31
	v_add_f32_e32 v3, v30, v3
	s_delay_alu instid0(VALU_DEP_3) | instskip(NEXT) | instid1(VALU_DEP_1)
	v_fma_f32 v25, v27, v4, -v25
	v_dual_fmac_f32 v5, v28, v4 :: v_dual_add_f32 v4, v2, v25
	s_delay_alu instid0(VALU_DEP_1) | instskip(NEXT) | instid1(VALU_DEP_1)
	v_add_f32_e32 v3, v3, v5
	v_mul_f32_e32 v2, s3, v3
	v_mul_f32_e32 v3, s7, v3
	s_delay_alu instid0(VALU_DEP_2) | instskip(NEXT) | instid1(VALU_DEP_2)
	v_fma_f32 v2, s7, v4, -v2
	v_fmac_f32_e32 v3, s3, v4
	global_load_b64 v[4:5], v[0:1], off
	s_waitcnt vmcnt(0)
	v_dual_add_f32 v2, v4, v2 :: v_dual_add_f32 v3, v5, v3
	global_store_b64 v[0:1], v[2:3], off
.LBB1928_11:                            ;   in Loop: Header=BB1928_5 Depth=1
	s_or_b32 exec_lo, exec_lo, s1
	v_dual_mov_b32 v3, 0 :: v_dual_mov_b32 v4, 0
	v_mov_b32_e32 v5, 0
	s_waitcnt_vscnt null, 0x0
	s_barrier
	buffer_gl0_inv
	s_and_saveexec_b32 s10, s8
	s_cbranch_execz .LBB1928_13
; %bb.12:                               ;   in Loop: Header=BB1928_5 Depth=1
	v_mad_i64_i32 v[4:5], null, v23, s12, 0
	s_delay_alu instid0(VALU_DEP_1) | instskip(NEXT) | instid1(VALU_DEP_1)
	v_lshlrev_b64 v[4:5], 3, v[4:5]
	v_add_co_u32 v4, s1, v16, v4
	s_delay_alu instid0(VALU_DEP_1)
	v_add_co_ci_u32_e64 v5, s1, v17, v5, s1
	global_load_b64 v[4:5], v[4:5], off
.LBB1928_13:                            ;   in Loop: Header=BB1928_5 Depth=1
	s_or_b32 exec_lo, exec_lo, s10
	v_mov_b32_e32 v2, 0
	s_waitcnt vmcnt(0)
	ds_store_b64 v11, v[4:5]
	s_and_saveexec_b32 s8, s9
	s_cbranch_execz .LBB1928_15
; %bb.14:                               ;   in Loop: Header=BB1928_5 Depth=1
	v_mad_i64_i32 v[2:3], null, v24, s4, 0
	s_delay_alu instid0(VALU_DEP_1) | instskip(NEXT) | instid1(VALU_DEP_1)
	v_lshlrev_b64 v[2:3], 3, v[2:3]
	v_add_co_u32 v2, s1, v18, v2
	s_delay_alu instid0(VALU_DEP_1)
	v_add_co_ci_u32_e64 v3, s1, v19, v3, s1
	global_load_b64 v[2:3], v[2:3], off
	s_waitcnt vmcnt(0)
	v_xor_b32_e32 v3, 0x80000000, v3
.LBB1928_15:                            ;   in Loop: Header=BB1928_5 Depth=1
	s_or_b32 exec_lo, exec_lo, s8
	ds_store_b64 v15, v[2:3]
	s_waitcnt lgkmcnt(0)
	s_barrier
	buffer_gl0_inv
	s_and_saveexec_b32 s1, s2
	s_cbranch_execz .LBB1928_4
; %bb.16:                               ;   in Loop: Header=BB1928_5 Depth=1
	ds_load_b128 v[2:5], v8
	ds_load_b128 v[23:26], v8 offset:16
	ds_load_b128 v[27:30], v8 offset:32
	;; [unrolled: 1-line block ×3, first 2 shown]
	ds_load_2addr_b64 v[35:38], v12 offset1:32
	s_waitcnt lgkmcnt(0)
	v_mul_f32_e32 v39, v36, v3
	v_mul_f32_e32 v3, v35, v3
	s_delay_alu instid0(VALU_DEP_2) | instskip(NEXT) | instid1(VALU_DEP_2)
	v_fma_f32 v39, v35, v2, -v39
	v_fmac_f32_e32 v3, v36, v2
	v_mul_f32_e32 v35, v38, v5
	s_delay_alu instid0(VALU_DEP_3) | instskip(NEXT) | instid1(VALU_DEP_3)
	v_dual_mul_f32 v5, v37, v5 :: v_dual_add_f32 v2, 0, v39
	v_add_f32_e32 v3, 0, v3
	s_delay_alu instid0(VALU_DEP_3) | instskip(NEXT) | instid1(VALU_DEP_3)
	v_fma_f32 v35, v37, v4, -v35
	v_fmac_f32_e32 v5, v38, v4
	s_delay_alu instid0(VALU_DEP_1) | instskip(SKIP_3) | instid1(VALU_DEP_1)
	v_dual_add_f32 v35, v2, v35 :: v_dual_add_f32 v36, v3, v5
	ds_load_2addr_b64 v[2:5], v12 offset0:64 offset1:96
	s_waitcnt lgkmcnt(0)
	v_mul_f32_e32 v37, v3, v24
	v_fma_f32 v37, v2, v23, -v37
	v_mul_f32_e32 v2, v2, v24
	s_delay_alu instid0(VALU_DEP_1) | instskip(NEXT) | instid1(VALU_DEP_1)
	v_dual_fmac_f32 v2, v3, v23 :: v_dual_mul_f32 v23, v5, v26
	v_add_f32_e32 v2, v36, v2
	s_delay_alu instid0(VALU_DEP_2) | instskip(SKIP_1) | instid1(VALU_DEP_1)
	v_fma_f32 v23, v4, v25, -v23
	v_mul_f32_e32 v4, v4, v26
	v_fmac_f32_e32 v4, v5, v25
	s_delay_alu instid0(VALU_DEP_1) | instskip(NEXT) | instid1(VALU_DEP_1)
	v_dual_add_f32 v3, v35, v37 :: v_dual_add_f32 v24, v2, v4
	v_add_f32_e32 v23, v3, v23
	ds_load_2addr_b64 v[2:5], v12 offset0:128 offset1:160
	s_waitcnt lgkmcnt(0)
	v_mul_f32_e32 v25, v3, v28
	s_delay_alu instid0(VALU_DEP_1) | instskip(SKIP_1) | instid1(VALU_DEP_1)
	v_fma_f32 v25, v2, v27, -v25
	v_mul_f32_e32 v2, v2, v28
	v_fmac_f32_e32 v2, v3, v27
	s_delay_alu instid0(VALU_DEP_1) | instskip(SKIP_1) | instid1(VALU_DEP_1)
	v_dual_add_f32 v2, v24, v2 :: v_dual_add_f32 v3, v23, v25
	v_mul_f32_e32 v23, v5, v30
	v_fma_f32 v23, v4, v29, -v23
	v_mul_f32_e32 v4, v4, v30
	s_delay_alu instid0(VALU_DEP_1) | instskip(NEXT) | instid1(VALU_DEP_1)
	v_fmac_f32_e32 v4, v5, v29
	v_dual_add_f32 v24, v2, v4 :: v_dual_add_f32 v23, v3, v23
	ds_load_2addr_b64 v[2:5], v12 offset0:192 offset1:224
	s_waitcnt lgkmcnt(0)
	v_mul_f32_e32 v25, v3, v32
	s_delay_alu instid0(VALU_DEP_1) | instskip(SKIP_1) | instid1(VALU_DEP_1)
	v_fma_f32 v25, v2, v31, -v25
	v_mul_f32_e32 v2, v2, v32
	v_fmac_f32_e32 v2, v3, v31
	s_delay_alu instid0(VALU_DEP_1) | instskip(SKIP_1) | instid1(VALU_DEP_1)
	v_dual_add_f32 v2, v24, v2 :: v_dual_add_f32 v3, v23, v25
	v_mul_f32_e32 v23, v5, v34
	v_fma_f32 v23, v4, v33, -v23
	v_mul_f32_e32 v4, v4, v34
	s_delay_alu instid0(VALU_DEP_1) | instskip(NEXT) | instid1(VALU_DEP_1)
	v_fmac_f32_e32 v4, v5, v33
	v_dual_add_f32 v28, v2, v4 :: v_dual_add_f32 v27, v3, v23
	ds_load_b128 v[2:5], v8 offset:64
	ds_load_2addr_b64 v[23:26], v20 offset1:32
	s_waitcnt lgkmcnt(0)
	v_mul_f32_e32 v29, v24, v3
	v_mul_f32_e32 v3, v23, v3
	s_delay_alu instid0(VALU_DEP_2) | instskip(SKIP_1) | instid1(VALU_DEP_3)
	v_fma_f32 v29, v23, v2, -v29
	v_mul_f32_e32 v23, v26, v5
	v_fmac_f32_e32 v3, v24, v2
	v_mul_f32_e32 v5, v25, v5
	s_delay_alu instid0(VALU_DEP_4) | instskip(NEXT) | instid1(VALU_DEP_4)
	v_add_f32_e32 v2, v27, v29
	v_fma_f32 v23, v25, v4, -v23
	s_delay_alu instid0(VALU_DEP_3) | instskip(NEXT) | instid1(VALU_DEP_2)
	v_fmac_f32_e32 v5, v26, v4
	v_add_f32_e32 v27, v2, v23
	v_add_f32_e32 v3, v28, v3
	s_delay_alu instid0(VALU_DEP_1)
	v_add_f32_e32 v28, v3, v5
	ds_load_b128 v[2:5], v8 offset:80
	ds_load_2addr_b64 v[23:26], v20 offset0:64 offset1:96
	s_waitcnt lgkmcnt(0)
	v_mul_f32_e32 v29, v24, v3
	v_mul_f32_e32 v3, v23, v3
	s_delay_alu instid0(VALU_DEP_2) | instskip(NEXT) | instid1(VALU_DEP_2)
	v_fma_f32 v29, v23, v2, -v29
	v_fmac_f32_e32 v3, v24, v2
	v_mul_f32_e32 v23, v26, v5
	v_mul_f32_e32 v5, v25, v5
	s_delay_alu instid0(VALU_DEP_3) | instskip(NEXT) | instid1(VALU_DEP_3)
	v_add_f32_e32 v3, v28, v3
	v_fma_f32 v23, v25, v4, -v23
	s_delay_alu instid0(VALU_DEP_3) | instskip(NEXT) | instid1(VALU_DEP_1)
	v_fmac_f32_e32 v5, v26, v4
	v_add_f32_e32 v28, v3, v5
	v_add_f32_e32 v2, v27, v29
	s_delay_alu instid0(VALU_DEP_1)
	v_add_f32_e32 v27, v2, v23
	ds_load_b128 v[2:5], v8 offset:96
	ds_load_2addr_b64 v[23:26], v20 offset0:128 offset1:160
	s_waitcnt lgkmcnt(0)
	v_mul_f32_e32 v29, v24, v3
	v_mul_f32_e32 v3, v23, v3
	s_delay_alu instid0(VALU_DEP_2) | instskip(NEXT) | instid1(VALU_DEP_2)
	v_fma_f32 v29, v23, v2, -v29
	v_fmac_f32_e32 v3, v24, v2
	v_mul_f32_e32 v23, v26, v5
	v_mul_f32_e32 v5, v25, v5
	s_delay_alu instid0(VALU_DEP_3) | instskip(NEXT) | instid1(VALU_DEP_3)
	v_dual_add_f32 v2, v27, v29 :: v_dual_add_f32 v3, v28, v3
	v_fma_f32 v23, v25, v4, -v23
	s_delay_alu instid0(VALU_DEP_3) | instskip(NEXT) | instid1(VALU_DEP_1)
	v_fmac_f32_e32 v5, v26, v4
	v_dual_add_f32 v27, v2, v23 :: v_dual_add_f32 v28, v3, v5
	ds_load_b128 v[2:5], v8 offset:112
	ds_load_2addr_b64 v[23:26], v20 offset0:192 offset1:224
	s_waitcnt lgkmcnt(0)
	v_mul_f32_e32 v29, v24, v3
	v_mul_f32_e32 v3, v23, v3
	s_delay_alu instid0(VALU_DEP_2) | instskip(NEXT) | instid1(VALU_DEP_2)
	v_fma_f32 v29, v23, v2, -v29
	v_fmac_f32_e32 v3, v24, v2
	v_mul_f32_e32 v23, v26, v5
	v_mul_f32_e32 v5, v25, v5
	s_delay_alu instid0(VALU_DEP_3) | instskip(NEXT) | instid1(VALU_DEP_3)
	v_dual_add_f32 v2, v27, v29 :: v_dual_add_f32 v3, v28, v3
	v_fma_f32 v23, v25, v4, -v23
	s_delay_alu instid0(VALU_DEP_3) | instskip(NEXT) | instid1(VALU_DEP_1)
	v_fmac_f32_e32 v5, v26, v4
	v_dual_add_f32 v27, v2, v23 :: v_dual_add_f32 v28, v3, v5
	ds_load_b128 v[2:5], v8 offset:128
	ds_load_2addr_b64 v[23:26], v21 offset1:32
	s_waitcnt lgkmcnt(0)
	v_mul_f32_e32 v29, v24, v3
	v_mul_f32_e32 v3, v23, v3
	s_delay_alu instid0(VALU_DEP_2) | instskip(NEXT) | instid1(VALU_DEP_2)
	v_fma_f32 v29, v23, v2, -v29
	v_fmac_f32_e32 v3, v24, v2
	v_mul_f32_e32 v23, v26, v5
	v_mul_f32_e32 v5, v25, v5
	s_delay_alu instid0(VALU_DEP_3) | instskip(NEXT) | instid1(VALU_DEP_3)
	v_dual_add_f32 v2, v27, v29 :: v_dual_add_f32 v3, v28, v3
	v_fma_f32 v23, v25, v4, -v23
	s_delay_alu instid0(VALU_DEP_3) | instskip(NEXT) | instid1(VALU_DEP_1)
	v_fmac_f32_e32 v5, v26, v4
	v_dual_add_f32 v27, v2, v23 :: v_dual_add_f32 v28, v3, v5
	ds_load_b128 v[2:5], v8 offset:144
	ds_load_2addr_b64 v[23:26], v21 offset0:64 offset1:96
	s_waitcnt lgkmcnt(0)
	v_mul_f32_e32 v29, v24, v3
	v_mul_f32_e32 v3, v23, v3
	s_delay_alu instid0(VALU_DEP_2) | instskip(NEXT) | instid1(VALU_DEP_2)
	v_fma_f32 v29, v23, v2, -v29
	v_fmac_f32_e32 v3, v24, v2
	v_mul_f32_e32 v23, v26, v5
	v_mul_f32_e32 v5, v25, v5
	s_delay_alu instid0(VALU_DEP_3) | instskip(NEXT) | instid1(VALU_DEP_3)
	v_dual_add_f32 v2, v27, v29 :: v_dual_add_f32 v3, v28, v3
	v_fma_f32 v23, v25, v4, -v23
	s_delay_alu instid0(VALU_DEP_3) | instskip(NEXT) | instid1(VALU_DEP_1)
	v_fmac_f32_e32 v5, v26, v4
	v_dual_add_f32 v27, v2, v23 :: v_dual_add_f32 v28, v3, v5
	ds_load_b128 v[2:5], v8 offset:160
	ds_load_2addr_b64 v[23:26], v21 offset0:128 offset1:160
	;; [unrolled: 16-line block ×3, first 2 shown]
	s_waitcnt lgkmcnt(0)
	v_mul_f32_e32 v29, v24, v3
	v_mul_f32_e32 v3, v23, v3
	s_delay_alu instid0(VALU_DEP_2) | instskip(NEXT) | instid1(VALU_DEP_2)
	v_fma_f32 v29, v23, v2, -v29
	v_fmac_f32_e32 v3, v24, v2
	v_mul_f32_e32 v23, v26, v5
	v_mul_f32_e32 v5, v25, v5
	s_delay_alu instid0(VALU_DEP_3) | instskip(NEXT) | instid1(VALU_DEP_3)
	v_dual_add_f32 v2, v27, v29 :: v_dual_add_f32 v3, v28, v3
	v_fma_f32 v23, v25, v4, -v23
	s_delay_alu instid0(VALU_DEP_3) | instskip(NEXT) | instid1(VALU_DEP_1)
	v_fmac_f32_e32 v5, v26, v4
	v_dual_add_f32 v27, v2, v23 :: v_dual_add_f32 v28, v3, v5
	ds_load_b128 v[2:5], v8 offset:192
	ds_load_2addr_b64 v[23:26], v22 offset1:32
	s_waitcnt lgkmcnt(0)
	v_mul_f32_e32 v29, v24, v3
	v_mul_f32_e32 v3, v23, v3
	s_delay_alu instid0(VALU_DEP_2) | instskip(NEXT) | instid1(VALU_DEP_2)
	v_fma_f32 v29, v23, v2, -v29
	v_fmac_f32_e32 v3, v24, v2
	v_mul_f32_e32 v23, v26, v5
	v_mul_f32_e32 v5, v25, v5
	s_delay_alu instid0(VALU_DEP_3) | instskip(NEXT) | instid1(VALU_DEP_3)
	v_dual_add_f32 v2, v27, v29 :: v_dual_add_f32 v3, v28, v3
	v_fma_f32 v23, v25, v4, -v23
	s_delay_alu instid0(VALU_DEP_3) | instskip(NEXT) | instid1(VALU_DEP_1)
	v_fmac_f32_e32 v5, v26, v4
	v_dual_add_f32 v27, v2, v23 :: v_dual_add_f32 v28, v3, v5
	ds_load_b128 v[2:5], v8 offset:208
	ds_load_2addr_b64 v[23:26], v22 offset0:64 offset1:96
	s_waitcnt lgkmcnt(0)
	v_mul_f32_e32 v29, v24, v3
	v_mul_f32_e32 v3, v23, v3
	s_delay_alu instid0(VALU_DEP_2) | instskip(NEXT) | instid1(VALU_DEP_2)
	v_fma_f32 v29, v23, v2, -v29
	v_fmac_f32_e32 v3, v24, v2
	v_mul_f32_e32 v23, v26, v5
	v_mul_f32_e32 v5, v25, v5
	s_delay_alu instid0(VALU_DEP_3) | instskip(NEXT) | instid1(VALU_DEP_3)
	v_dual_add_f32 v2, v27, v29 :: v_dual_add_f32 v3, v28, v3
	v_fma_f32 v23, v25, v4, -v23
	s_delay_alu instid0(VALU_DEP_3) | instskip(NEXT) | instid1(VALU_DEP_1)
	v_fmac_f32_e32 v5, v26, v4
	v_dual_add_f32 v27, v2, v23 :: v_dual_add_f32 v28, v3, v5
	ds_load_b128 v[2:5], v8 offset:224
	ds_load_2addr_b64 v[23:26], v22 offset0:128 offset1:160
	;; [unrolled: 16-line block ×3, first 2 shown]
	s_waitcnt lgkmcnt(0)
	v_mul_f32_e32 v29, v24, v3
	v_mul_f32_e32 v3, v23, v3
	s_delay_alu instid0(VALU_DEP_2) | instskip(SKIP_1) | instid1(VALU_DEP_3)
	v_fma_f32 v29, v23, v2, -v29
	v_mul_f32_e32 v23, v26, v5
	v_fmac_f32_e32 v3, v24, v2
	v_mul_f32_e32 v5, v25, v5
	s_delay_alu instid0(VALU_DEP_4) | instskip(NEXT) | instid1(VALU_DEP_4)
	v_add_f32_e32 v2, v27, v29
	v_fma_f32 v23, v25, v4, -v23
	s_delay_alu instid0(VALU_DEP_4) | instskip(NEXT) | instid1(VALU_DEP_4)
	v_add_f32_e32 v3, v28, v3
	v_fmac_f32_e32 v5, v26, v4
	s_delay_alu instid0(VALU_DEP_1) | instskip(NEXT) | instid1(VALU_DEP_1)
	v_dual_add_f32 v4, v2, v23 :: v_dual_add_f32 v3, v3, v5
	v_mul_f32_e32 v2, s7, v4
	v_mul_f32_e32 v4, s3, v4
	s_delay_alu instid0(VALU_DEP_2) | instskip(NEXT) | instid1(VALU_DEP_2)
	v_fmac_f32_e32 v2, s3, v3
	v_fma_f32 v3, s7, v3, -v4
	global_load_b64 v[4:5], v[0:1], off
	s_waitcnt vmcnt(0)
	v_dual_add_f32 v2, v4, v2 :: v_dual_add_f32 v3, v5, v3
	global_store_b64 v[0:1], v[2:3], off
	s_branch .LBB1928_4
.LBB1928_17:
	s_endpgm
	.section	.rodata,"a",@progbits
	.p2align	6, 0x0
	.amdhsa_kernel _ZL26rocblas_syr2k_her2k_kernelIiLb1ELb1ELb0ELi32E19rocblas_complex_numIfEPKS1_PS1_EvbiT_T4_T5_S5_lS7_S5_lT6_S5_li
		.amdhsa_group_segment_fixed_size 16384
		.amdhsa_private_segment_fixed_size 0
		.amdhsa_kernarg_size 100
		.amdhsa_user_sgpr_count 13
		.amdhsa_user_sgpr_dispatch_ptr 0
		.amdhsa_user_sgpr_queue_ptr 0
		.amdhsa_user_sgpr_kernarg_segment_ptr 1
		.amdhsa_user_sgpr_dispatch_id 0
		.amdhsa_user_sgpr_private_segment_size 0
		.amdhsa_wavefront_size32 1
		.amdhsa_uses_dynamic_stack 0
		.amdhsa_enable_private_segment 0
		.amdhsa_system_sgpr_workgroup_id_x 1
		.amdhsa_system_sgpr_workgroup_id_y 1
		.amdhsa_system_sgpr_workgroup_id_z 1
		.amdhsa_system_sgpr_workgroup_info 0
		.amdhsa_system_vgpr_workitem_id 1
		.amdhsa_next_free_vgpr 42
		.amdhsa_next_free_sgpr 24
		.amdhsa_reserve_vcc 1
		.amdhsa_float_round_mode_32 0
		.amdhsa_float_round_mode_16_64 0
		.amdhsa_float_denorm_mode_32 3
		.amdhsa_float_denorm_mode_16_64 3
		.amdhsa_dx10_clamp 1
		.amdhsa_ieee_mode 1
		.amdhsa_fp16_overflow 0
		.amdhsa_workgroup_processor_mode 1
		.amdhsa_memory_ordered 1
		.amdhsa_forward_progress 0
		.amdhsa_shared_vgpr_count 0
		.amdhsa_exception_fp_ieee_invalid_op 0
		.amdhsa_exception_fp_denorm_src 0
		.amdhsa_exception_fp_ieee_div_zero 0
		.amdhsa_exception_fp_ieee_overflow 0
		.amdhsa_exception_fp_ieee_underflow 0
		.amdhsa_exception_fp_ieee_inexact 0
		.amdhsa_exception_int_div_zero 0
	.end_amdhsa_kernel
	.section	.text._ZL26rocblas_syr2k_her2k_kernelIiLb1ELb1ELb0ELi32E19rocblas_complex_numIfEPKS1_PS1_EvbiT_T4_T5_S5_lS7_S5_lT6_S5_li,"axG",@progbits,_ZL26rocblas_syr2k_her2k_kernelIiLb1ELb1ELb0ELi32E19rocblas_complex_numIfEPKS1_PS1_EvbiT_T4_T5_S5_lS7_S5_lT6_S5_li,comdat
.Lfunc_end1928:
	.size	_ZL26rocblas_syr2k_her2k_kernelIiLb1ELb1ELb0ELi32E19rocblas_complex_numIfEPKS1_PS1_EvbiT_T4_T5_S5_lS7_S5_lT6_S5_li, .Lfunc_end1928-_ZL26rocblas_syr2k_her2k_kernelIiLb1ELb1ELb0ELi32E19rocblas_complex_numIfEPKS1_PS1_EvbiT_T4_T5_S5_lS7_S5_lT6_S5_li
                                        ; -- End function
	.section	.AMDGPU.csdata,"",@progbits
; Kernel info:
; codeLenInByte = 4020
; NumSgprs: 26
; NumVgprs: 42
; ScratchSize: 0
; MemoryBound: 0
; FloatMode: 240
; IeeeMode: 1
; LDSByteSize: 16384 bytes/workgroup (compile time only)
; SGPRBlocks: 3
; VGPRBlocks: 5
; NumSGPRsForWavesPerEU: 26
; NumVGPRsForWavesPerEU: 42
; Occupancy: 16
; WaveLimiterHint : 0
; COMPUTE_PGM_RSRC2:SCRATCH_EN: 0
; COMPUTE_PGM_RSRC2:USER_SGPR: 13
; COMPUTE_PGM_RSRC2:TRAP_HANDLER: 0
; COMPUTE_PGM_RSRC2:TGID_X_EN: 1
; COMPUTE_PGM_RSRC2:TGID_Y_EN: 1
; COMPUTE_PGM_RSRC2:TGID_Z_EN: 1
; COMPUTE_PGM_RSRC2:TIDIG_COMP_CNT: 1
	.section	.text._ZL26rocblas_syr2k_her2k_kernelIiLb1ELb1ELb1ELi32E19rocblas_complex_numIfEPKS1_PS1_EvbiT_T4_T5_S5_lS7_S5_lT6_S5_li,"axG",@progbits,_ZL26rocblas_syr2k_her2k_kernelIiLb1ELb1ELb1ELi32E19rocblas_complex_numIfEPKS1_PS1_EvbiT_T4_T5_S5_lS7_S5_lT6_S5_li,comdat
	.globl	_ZL26rocblas_syr2k_her2k_kernelIiLb1ELb1ELb1ELi32E19rocblas_complex_numIfEPKS1_PS1_EvbiT_T4_T5_S5_lS7_S5_lT6_S5_li ; -- Begin function _ZL26rocblas_syr2k_her2k_kernelIiLb1ELb1ELb1ELi32E19rocblas_complex_numIfEPKS1_PS1_EvbiT_T4_T5_S5_lS7_S5_lT6_S5_li
	.p2align	8
	.type	_ZL26rocblas_syr2k_her2k_kernelIiLb1ELb1ELb1ELi32E19rocblas_complex_numIfEPKS1_PS1_EvbiT_T4_T5_S5_lS7_S5_lT6_S5_li,@function
_ZL26rocblas_syr2k_her2k_kernelIiLb1ELb1ELb1ELi32E19rocblas_complex_numIfEPKS1_PS1_EvbiT_T4_T5_S5_lS7_S5_lT6_S5_li: ; @_ZL26rocblas_syr2k_her2k_kernelIiLb1ELb1ELb1ELi32E19rocblas_complex_numIfEPKS1_PS1_EvbiT_T4_T5_S5_lS7_S5_lT6_S5_li
; %bb.0:
	s_clause 0x1
	s_load_b128 s[4:7], s[0:1], 0x0
	s_load_b32 s3, s[0:1], 0x10
	s_waitcnt lgkmcnt(0)
	v_cmp_eq_f32_e64 s2, s7, 0
	v_cmp_eq_f32_e64 s8, s3, 0
	s_delay_alu instid0(VALU_DEP_1) | instskip(NEXT) | instid1(SALU_CYCLE_1)
	s_and_b32 s2, s2, s8
	s_and_b32 vcc_lo, exec_lo, s2
	s_cbranch_vccnz .LBB1929_17
; %bb.1:
	s_and_b32 s8, 1, s4
	s_lshl_b32 s2, s14, 5
	s_lshl_b32 s4, s13, 5
	s_cmp_eq_u32 s8, 1
	s_cselect_b32 vcc_lo, -1, 0
	s_delay_alu instid0(SALU_CYCLE_1) | instskip(SKIP_2) | instid1(SALU_CYCLE_1)
	s_and_b32 s8, vcc_lo, exec_lo
	s_cselect_b32 s8, s4, s2
	s_cselect_b32 s9, s2, s4
	s_cmp_gt_i32 s8, s9
	s_cbranch_scc1 .LBB1929_17
; %bb.2:
	s_cmp_lt_i32 s6, 1
	s_cbranch_scc1 .LBB1929_17
; %bb.3:
	v_bfe_u32 v9, v0, 10, 10
	v_and_b32_e32 v10, 0x3ff, v0
	s_clause 0x3
	s_load_b128 s[16:19], s[0:1], 0x28
	s_load_b128 s[8:11], s[0:1], 0x40
	s_load_b64 s[12:13], s[0:1], 0x58
	s_load_b64 s[20:21], s[0:1], 0x18
	v_add_nc_u32_e32 v8, s2, v9
	v_add_nc_u32_e32 v0, s4, v10
	s_clause 0x2
	s_load_b32 s2, s[0:1], 0x20
	s_load_b32 s4, s[0:1], 0x38
	s_load_b32 s14, s[0:1], 0x50
	v_lshlrev_b32_e32 v11, 8, v10
	v_dual_cndmask_b32 v6, v0, v8 :: v_dual_lshlrev_b32 v15, 3, v9
	v_cndmask_b32_e32 v7, v8, v0, vcc_lo
	v_ashrrev_i32_e32 v1, 31, v0
	s_delay_alu instid0(VALU_DEP_3)
	v_add_nc_u32_e32 v14, v11, v15
	v_cmp_gt_i32_e32 vcc_lo, s5, v0
	v_or_b32_e32 v15, 0x2000, v15
	s_waitcnt lgkmcnt(0)
	s_mul_i32 s1, s15, s17
	s_mul_hi_u32 s17, s15, s16
	s_mul_i32 s0, s15, s16
	s_add_i32 s1, s17, s1
	v_mad_i64_i32 v[2:3], null, s2, v0, 0
	s_lshl_b64 s[0:1], s[0:1], 3
	s_mul_i32 s9, s15, s9
	s_mul_hi_u32 s16, s15, s8
	s_add_u32 s20, s20, s0
	s_mul_i32 s8, s15, s8
	s_addc_u32 s21, s21, s1
	s_add_i32 s9, s16, s9
	s_mul_i32 s13, s15, s13
	s_lshl_b64 s[8:9], s[8:9], 3
	s_mul_hi_u32 s17, s15, s12
	v_lshlrev_b64 v[2:3], 3, v[2:3]
	v_mad_i64_i32 v[4:5], null, s4, v8, 0
	s_add_u32 s8, s18, s8
	s_mul_i32 s0, s15, s12
	s_addc_u32 s9, s19, s9
	s_add_i32 s1, s17, s13
	v_add_nc_u32_e32 v18, v15, v11
	s_lshl_b64 s[0:1], s[0:1], 3
	v_add_nc_u32_e32 v23, 0x800, v15
	s_add_u32 s10, s10, s0
	v_add_co_u32 v12, s0, s20, v2
	s_delay_alu instid0(VALU_DEP_1)
	v_add_co_ci_u32_e64 v13, s0, s21, v3, s0
	v_lshlrev_b64 v[2:3], 3, v[4:5]
	v_mad_i64_i32 v[4:5], null, s14, v8, 0
	s_addc_u32 s11, s11, s1
	v_cmp_gt_i32_e64 s0, s5, v8
	v_add_nc_u32_e32 v24, 0x1000, v15
	s_delay_alu instid0(VALU_DEP_4) | instskip(NEXT) | instid1(VALU_DEP_1)
	v_add_co_u32 v16, s1, s8, v2
	v_add_co_ci_u32_e64 v17, s1, s9, v3, s1
	v_lshlrev_b64 v[2:3], 3, v[4:5]
	v_mad_i64_i32 v[4:5], null, s4, v0, 0
	v_cmp_le_i32_e64 s1, v7, v6
	v_mad_i64_i32 v[6:7], null, s2, v8, 0
	v_lshlrev_b64 v[0:1], 3, v[0:1]
	v_add_co_u32 v8, s2, s10, v2
	s_delay_alu instid0(VALU_DEP_1) | instskip(SKIP_1) | instid1(VALU_DEP_3)
	v_add_co_ci_u32_e64 v19, s2, s11, v3, s2
	v_lshlrev_b64 v[2:3], 3, v[4:5]
	v_add_co_u32 v0, s2, v8, v0
	v_lshlrev_b64 v[4:5], 3, v[6:7]
	s_delay_alu instid0(VALU_DEP_4) | instskip(NEXT) | instid1(VALU_DEP_4)
	v_add_co_ci_u32_e64 v1, s2, v19, v1, s2
	v_add_co_u32 v19, s2, s8, v2
	s_delay_alu instid0(VALU_DEP_1) | instskip(NEXT) | instid1(VALU_DEP_4)
	v_add_co_ci_u32_e64 v20, s2, s9, v3, s2
	v_add_co_u32 v21, s2, s20, v4
	s_delay_alu instid0(VALU_DEP_1)
	v_add_co_ci_u32_e64 v22, s2, s21, v5, s2
	v_add_nc_u32_e32 v25, 0x1800, v15
	s_and_b32 s5, s0, vcc_lo
	s_mov_b32 s4, 0
	s_and_b32 s2, s5, s1
	s_branch .LBB1929_5
.LBB1929_4:                             ;   in Loop: Header=BB1929_5 Depth=1
	s_or_b32 exec_lo, exec_lo, s1
	s_add_i32 s4, s4, 32
	s_waitcnt_vscnt null, 0x0
	s_cmp_lt_i32 s4, s6
	s_barrier
	buffer_gl0_inv
	s_cbranch_scc0 .LBB1929_17
.LBB1929_5:                             ; =>This Inner Loop Header: Depth=1
	v_dual_mov_b32 v5, 0 :: v_dual_add_nc_u32 v2, s4, v9
	v_dual_mov_b32 v7, 0 :: v_dual_mov_b32 v8, 0
	s_delay_alu instid0(VALU_DEP_2) | instskip(NEXT) | instid1(VALU_DEP_1)
	v_cmp_gt_i32_e64 s1, s6, v2
	s_and_b32 s5, vcc_lo, s1
	s_delay_alu instid0(SALU_CYCLE_1)
	s_and_saveexec_b32 s8, s5
	s_cbranch_execz .LBB1929_7
; %bb.6:                                ;   in Loop: Header=BB1929_5 Depth=1
	v_ashrrev_i32_e32 v3, 31, v2
	s_delay_alu instid0(VALU_DEP_1) | instskip(NEXT) | instid1(VALU_DEP_1)
	v_lshlrev_b64 v[3:4], 3, v[2:3]
	v_add_co_u32 v3, s1, v12, v3
	s_delay_alu instid0(VALU_DEP_1)
	v_add_co_ci_u32_e64 v4, s1, v13, v4, s1
	global_load_b64 v[7:8], v[3:4], off
	s_waitcnt vmcnt(0)
	v_xor_b32_e32 v8, 0x80000000, v8
.LBB1929_7:                             ;   in Loop: Header=BB1929_5 Depth=1
	s_or_b32 exec_lo, exec_lo, s8
	v_add_nc_u32_e32 v4, s4, v10
	v_mov_b32_e32 v6, 0
	ds_store_b64 v14, v[7:8]
	v_cmp_gt_i32_e64 s1, s6, v4
	s_delay_alu instid0(VALU_DEP_1) | instskip(NEXT) | instid1(SALU_CYCLE_1)
	s_and_b32 s8, s0, s1
	s_and_saveexec_b32 s9, s8
	s_cbranch_execz .LBB1929_9
; %bb.8:                                ;   in Loop: Header=BB1929_5 Depth=1
	v_ashrrev_i32_e32 v5, 31, v4
	s_delay_alu instid0(VALU_DEP_1) | instskip(NEXT) | instid1(VALU_DEP_1)
	v_lshlrev_b64 v[5:6], 3, v[4:5]
	v_add_co_u32 v5, s1, v16, v5
	s_delay_alu instid0(VALU_DEP_1)
	v_add_co_ci_u32_e64 v6, s1, v17, v6, s1
	global_load_b64 v[5:6], v[5:6], off
.LBB1929_9:                             ;   in Loop: Header=BB1929_5 Depth=1
	s_or_b32 exec_lo, exec_lo, s9
	s_waitcnt vmcnt(0)
	ds_store_b64 v18, v[5:6]
	s_waitcnt lgkmcnt(0)
	s_barrier
	buffer_gl0_inv
	s_and_saveexec_b32 s1, s2
	s_cbranch_execz .LBB1929_11
; %bb.10:                               ;   in Loop: Header=BB1929_5 Depth=1
	ds_load_b128 v[5:8], v11
	ds_load_b128 v[26:29], v11 offset:16
	ds_load_b128 v[30:33], v11 offset:32
	;; [unrolled: 1-line block ×3, first 2 shown]
	ds_load_2addr_b64 v[38:41], v15 offset1:32
	s_waitcnt lgkmcnt(0)
	v_mul_f32_e32 v3, v39, v6
	s_delay_alu instid0(VALU_DEP_1) | instskip(NEXT) | instid1(VALU_DEP_1)
	v_fma_f32 v3, v38, v5, -v3
	v_dual_mul_f32 v6, v38, v6 :: v_dual_add_f32 v3, 0, v3
	s_delay_alu instid0(VALU_DEP_1) | instskip(NEXT) | instid1(VALU_DEP_1)
	v_fmac_f32_e32 v6, v39, v5
	v_dual_add_f32 v5, 0, v6 :: v_dual_mul_f32 v6, v41, v8
	v_mul_f32_e32 v8, v40, v8
	s_delay_alu instid0(VALU_DEP_2) | instskip(NEXT) | instid1(VALU_DEP_1)
	v_fma_f32 v6, v40, v7, -v6
	v_dual_fmac_f32 v8, v41, v7 :: v_dual_add_f32 v3, v3, v6
	s_delay_alu instid0(VALU_DEP_1) | instskip(SKIP_3) | instid1(VALU_DEP_1)
	v_add_f32_e32 v38, v5, v8
	ds_load_2addr_b64 v[5:8], v15 offset0:64 offset1:96
	s_waitcnt lgkmcnt(0)
	v_mul_f32_e32 v39, v6, v27
	v_fma_f32 v39, v5, v26, -v39
	v_mul_f32_e32 v5, v5, v27
	s_delay_alu instid0(VALU_DEP_2) | instskip(NEXT) | instid1(VALU_DEP_2)
	v_add_f32_e32 v3, v3, v39
	v_dual_fmac_f32 v5, v6, v26 :: v_dual_mul_f32 v6, v8, v29
	s_delay_alu instid0(VALU_DEP_1) | instskip(NEXT) | instid1(VALU_DEP_2)
	v_add_f32_e32 v5, v38, v5
	v_fma_f32 v6, v7, v28, -v6
	v_mul_f32_e32 v7, v7, v29
	s_delay_alu instid0(VALU_DEP_1) | instskip(NEXT) | instid1(VALU_DEP_1)
	v_fmac_f32_e32 v7, v8, v28
	v_dual_add_f32 v3, v3, v6 :: v_dual_add_f32 v26, v5, v7
	ds_load_2addr_b64 v[5:8], v15 offset0:128 offset1:160
	s_waitcnt lgkmcnt(0)
	v_mul_f32_e32 v27, v6, v31
	s_delay_alu instid0(VALU_DEP_1) | instskip(SKIP_1) | instid1(VALU_DEP_2)
	v_fma_f32 v27, v5, v30, -v27
	v_mul_f32_e32 v5, v5, v31
	v_add_f32_e32 v3, v3, v27
	s_delay_alu instid0(VALU_DEP_2) | instskip(NEXT) | instid1(VALU_DEP_1)
	v_dual_fmac_f32 v5, v6, v30 :: v_dual_mul_f32 v6, v8, v33
	v_add_f32_e32 v5, v26, v5
	s_delay_alu instid0(VALU_DEP_2) | instskip(SKIP_1) | instid1(VALU_DEP_1)
	v_fma_f32 v6, v7, v32, -v6
	v_mul_f32_e32 v7, v7, v33
	v_fmac_f32_e32 v7, v8, v32
	s_delay_alu instid0(VALU_DEP_1) | instskip(SKIP_3) | instid1(VALU_DEP_1)
	v_dual_add_f32 v3, v3, v6 :: v_dual_add_f32 v26, v5, v7
	ds_load_2addr_b64 v[5:8], v15 offset0:192 offset1:224
	s_waitcnt lgkmcnt(0)
	v_mul_f32_e32 v27, v6, v35
	v_fma_f32 v27, v5, v34, -v27
	v_mul_f32_e32 v5, v5, v35
	s_delay_alu instid0(VALU_DEP_2) | instskip(NEXT) | instid1(VALU_DEP_2)
	v_add_f32_e32 v3, v3, v27
	v_dual_fmac_f32 v5, v6, v34 :: v_dual_mul_f32 v6, v8, v37
	s_delay_alu instid0(VALU_DEP_1) | instskip(NEXT) | instid1(VALU_DEP_2)
	v_add_f32_e32 v5, v26, v5
	v_fma_f32 v6, v7, v36, -v6
	v_mul_f32_e32 v7, v7, v37
	s_delay_alu instid0(VALU_DEP_1) | instskip(NEXT) | instid1(VALU_DEP_1)
	v_fmac_f32_e32 v7, v8, v36
	v_dual_add_f32 v3, v3, v6 :: v_dual_add_f32 v30, v5, v7
	ds_load_b128 v[5:8], v11 offset:64
	ds_load_2addr_b64 v[26:29], v23 offset1:32
	s_waitcnt lgkmcnt(0)
	v_mul_f32_e32 v31, v27, v6
	v_mul_f32_e32 v6, v26, v6
	s_delay_alu instid0(VALU_DEP_2) | instskip(NEXT) | instid1(VALU_DEP_2)
	v_fma_f32 v31, v26, v5, -v31
	v_fmac_f32_e32 v6, v27, v5
	s_delay_alu instid0(VALU_DEP_2) | instskip(NEXT) | instid1(VALU_DEP_2)
	v_add_f32_e32 v3, v3, v31
	v_dual_add_f32 v5, v30, v6 :: v_dual_mul_f32 v6, v29, v8
	v_mul_f32_e32 v8, v28, v8
	s_delay_alu instid0(VALU_DEP_2) | instskip(NEXT) | instid1(VALU_DEP_1)
	v_fma_f32 v6, v28, v7, -v6
	v_dual_fmac_f32 v8, v29, v7 :: v_dual_add_f32 v3, v3, v6
	s_delay_alu instid0(VALU_DEP_1)
	v_add_f32_e32 v30, v5, v8
	ds_load_b128 v[5:8], v11 offset:80
	ds_load_2addr_b64 v[26:29], v23 offset0:64 offset1:96
	s_waitcnt lgkmcnt(0)
	v_mul_f32_e32 v31, v27, v6
	v_mul_f32_e32 v6, v26, v6
	s_delay_alu instid0(VALU_DEP_2) | instskip(NEXT) | instid1(VALU_DEP_2)
	v_fma_f32 v31, v26, v5, -v31
	v_fmac_f32_e32 v6, v27, v5
	s_delay_alu instid0(VALU_DEP_2) | instskip(NEXT) | instid1(VALU_DEP_2)
	v_add_f32_e32 v3, v3, v31
	v_dual_add_f32 v5, v30, v6 :: v_dual_mul_f32 v6, v29, v8
	v_mul_f32_e32 v8, v28, v8
	s_delay_alu instid0(VALU_DEP_2) | instskip(NEXT) | instid1(VALU_DEP_1)
	v_fma_f32 v6, v28, v7, -v6
	v_dual_fmac_f32 v8, v29, v7 :: v_dual_add_f32 v3, v3, v6
	s_delay_alu instid0(VALU_DEP_1)
	v_add_f32_e32 v30, v5, v8
	ds_load_b128 v[5:8], v11 offset:96
	ds_load_2addr_b64 v[26:29], v23 offset0:128 offset1:160
	;; [unrolled: 17-line block ×3, first 2 shown]
	s_waitcnt lgkmcnt(0)
	v_mul_f32_e32 v31, v27, v6
	v_mul_f32_e32 v6, v26, v6
	s_delay_alu instid0(VALU_DEP_2) | instskip(NEXT) | instid1(VALU_DEP_2)
	v_fma_f32 v31, v26, v5, -v31
	v_fmac_f32_e32 v6, v27, v5
	s_delay_alu instid0(VALU_DEP_2) | instskip(NEXT) | instid1(VALU_DEP_2)
	v_add_f32_e32 v3, v3, v31
	v_dual_add_f32 v5, v30, v6 :: v_dual_mul_f32 v6, v29, v8
	v_mul_f32_e32 v8, v28, v8
	s_delay_alu instid0(VALU_DEP_2) | instskip(NEXT) | instid1(VALU_DEP_1)
	v_fma_f32 v6, v28, v7, -v6
	v_dual_fmac_f32 v8, v29, v7 :: v_dual_add_f32 v3, v3, v6
	s_delay_alu instid0(VALU_DEP_1)
	v_add_f32_e32 v30, v5, v8
	ds_load_b128 v[5:8], v11 offset:128
	ds_load_2addr_b64 v[26:29], v24 offset1:32
	s_waitcnt lgkmcnt(0)
	v_mul_f32_e32 v31, v27, v6
	v_mul_f32_e32 v6, v26, v6
	s_delay_alu instid0(VALU_DEP_2) | instskip(NEXT) | instid1(VALU_DEP_2)
	v_fma_f32 v31, v26, v5, -v31
	v_fmac_f32_e32 v6, v27, v5
	s_delay_alu instid0(VALU_DEP_2) | instskip(NEXT) | instid1(VALU_DEP_2)
	v_add_f32_e32 v3, v3, v31
	v_dual_add_f32 v5, v30, v6 :: v_dual_mul_f32 v6, v29, v8
	v_mul_f32_e32 v8, v28, v8
	s_delay_alu instid0(VALU_DEP_2) | instskip(NEXT) | instid1(VALU_DEP_1)
	v_fma_f32 v6, v28, v7, -v6
	v_dual_fmac_f32 v8, v29, v7 :: v_dual_add_f32 v3, v3, v6
	s_delay_alu instid0(VALU_DEP_1)
	v_add_f32_e32 v30, v5, v8
	ds_load_b128 v[5:8], v11 offset:144
	ds_load_2addr_b64 v[26:29], v24 offset0:64 offset1:96
	s_waitcnt lgkmcnt(0)
	v_mul_f32_e32 v31, v27, v6
	v_mul_f32_e32 v6, v26, v6
	s_delay_alu instid0(VALU_DEP_2) | instskip(NEXT) | instid1(VALU_DEP_2)
	v_fma_f32 v31, v26, v5, -v31
	v_fmac_f32_e32 v6, v27, v5
	s_delay_alu instid0(VALU_DEP_2) | instskip(NEXT) | instid1(VALU_DEP_2)
	v_add_f32_e32 v3, v3, v31
	v_dual_add_f32 v5, v30, v6 :: v_dual_mul_f32 v6, v29, v8
	v_mul_f32_e32 v8, v28, v8
	s_delay_alu instid0(VALU_DEP_2) | instskip(NEXT) | instid1(VALU_DEP_1)
	v_fma_f32 v6, v28, v7, -v6
	v_dual_fmac_f32 v8, v29, v7 :: v_dual_add_f32 v3, v3, v6
	s_delay_alu instid0(VALU_DEP_1)
	v_add_f32_e32 v30, v5, v8
	ds_load_b128 v[5:8], v11 offset:160
	ds_load_2addr_b64 v[26:29], v24 offset0:128 offset1:160
	;; [unrolled: 17-line block ×3, first 2 shown]
	s_waitcnt lgkmcnt(0)
	v_mul_f32_e32 v31, v27, v6
	v_mul_f32_e32 v6, v26, v6
	s_delay_alu instid0(VALU_DEP_2) | instskip(NEXT) | instid1(VALU_DEP_2)
	v_fma_f32 v31, v26, v5, -v31
	v_fmac_f32_e32 v6, v27, v5
	s_delay_alu instid0(VALU_DEP_1) | instskip(SKIP_1) | instid1(VALU_DEP_2)
	v_dual_add_f32 v5, v30, v6 :: v_dual_mul_f32 v6, v29, v8
	v_mul_f32_e32 v8, v28, v8
	v_fma_f32 v6, v28, v7, -v6
	s_delay_alu instid0(VALU_DEP_2) | instskip(NEXT) | instid1(VALU_DEP_1)
	v_fmac_f32_e32 v8, v29, v7
	v_dual_add_f32 v30, v5, v8 :: v_dual_add_f32 v3, v3, v31
	s_delay_alu instid0(VALU_DEP_1)
	v_add_f32_e32 v3, v3, v6
	ds_load_b128 v[5:8], v11 offset:192
	ds_load_2addr_b64 v[26:29], v25 offset1:32
	s_waitcnt lgkmcnt(0)
	v_mul_f32_e32 v31, v27, v6
	v_mul_f32_e32 v6, v26, v6
	s_delay_alu instid0(VALU_DEP_2) | instskip(NEXT) | instid1(VALU_DEP_2)
	v_fma_f32 v31, v26, v5, -v31
	v_fmac_f32_e32 v6, v27, v5
	s_delay_alu instid0(VALU_DEP_1) | instskip(SKIP_1) | instid1(VALU_DEP_2)
	v_dual_add_f32 v5, v30, v6 :: v_dual_mul_f32 v6, v29, v8
	v_mul_f32_e32 v8, v28, v8
	v_fma_f32 v6, v28, v7, -v6
	s_delay_alu instid0(VALU_DEP_2) | instskip(NEXT) | instid1(VALU_DEP_1)
	v_fmac_f32_e32 v8, v29, v7
	v_dual_add_f32 v30, v5, v8 :: v_dual_add_f32 v3, v3, v31
	s_delay_alu instid0(VALU_DEP_1)
	v_add_f32_e32 v3, v3, v6
	ds_load_b128 v[5:8], v11 offset:208
	ds_load_2addr_b64 v[26:29], v25 offset0:64 offset1:96
	s_waitcnt lgkmcnt(0)
	v_mul_f32_e32 v31, v27, v6
	v_mul_f32_e32 v6, v26, v6
	s_delay_alu instid0(VALU_DEP_2) | instskip(NEXT) | instid1(VALU_DEP_2)
	v_fma_f32 v31, v26, v5, -v31
	v_fmac_f32_e32 v6, v27, v5
	s_delay_alu instid0(VALU_DEP_1) | instskip(SKIP_1) | instid1(VALU_DEP_2)
	v_dual_add_f32 v5, v30, v6 :: v_dual_mul_f32 v6, v29, v8
	v_mul_f32_e32 v8, v28, v8
	v_fma_f32 v6, v28, v7, -v6
	s_delay_alu instid0(VALU_DEP_2) | instskip(NEXT) | instid1(VALU_DEP_1)
	v_fmac_f32_e32 v8, v29, v7
	v_dual_add_f32 v3, v3, v31 :: v_dual_add_f32 v30, v5, v8
	s_delay_alu instid0(VALU_DEP_1)
	v_add_f32_e32 v3, v3, v6
	ds_load_b128 v[5:8], v11 offset:224
	ds_load_2addr_b64 v[26:29], v25 offset0:128 offset1:160
	s_waitcnt lgkmcnt(0)
	v_mul_f32_e32 v31, v27, v6
	v_mul_f32_e32 v6, v26, v6
	s_delay_alu instid0(VALU_DEP_2) | instskip(NEXT) | instid1(VALU_DEP_2)
	v_fma_f32 v31, v26, v5, -v31
	v_fmac_f32_e32 v6, v27, v5
	s_delay_alu instid0(VALU_DEP_1) | instskip(SKIP_1) | instid1(VALU_DEP_2)
	v_dual_add_f32 v5, v30, v6 :: v_dual_mul_f32 v6, v29, v8
	v_mul_f32_e32 v8, v28, v8
	v_fma_f32 v6, v28, v7, -v6
	s_delay_alu instid0(VALU_DEP_2) | instskip(NEXT) | instid1(VALU_DEP_1)
	v_fmac_f32_e32 v8, v29, v7
	v_dual_add_f32 v3, v3, v31 :: v_dual_add_f32 v30, v5, v8
	s_delay_alu instid0(VALU_DEP_1) | instskip(SKIP_4) | instid1(VALU_DEP_1)
	v_add_f32_e32 v3, v3, v6
	ds_load_b128 v[5:8], v11 offset:240
	ds_load_2addr_b64 v[26:29], v25 offset0:192 offset1:224
	s_waitcnt lgkmcnt(0)
	v_mul_f32_e32 v31, v27, v6
	v_fma_f32 v31, v26, v5, -v31
	v_mul_f32_e32 v6, v26, v6
	s_delay_alu instid0(VALU_DEP_1) | instskip(NEXT) | instid1(VALU_DEP_1)
	v_fmac_f32_e32 v6, v27, v5
	v_dual_add_f32 v5, v30, v6 :: v_dual_mul_f32 v6, v29, v8
	s_delay_alu instid0(VALU_DEP_4) | instskip(NEXT) | instid1(VALU_DEP_2)
	v_dual_mul_f32 v8, v28, v8 :: v_dual_add_f32 v3, v3, v31
	v_fma_f32 v6, v28, v7, -v6
	s_delay_alu instid0(VALU_DEP_2) | instskip(NEXT) | instid1(VALU_DEP_1)
	v_fmac_f32_e32 v8, v29, v7
	v_dual_add_f32 v5, v5, v8 :: v_dual_add_f32 v6, v3, v6
	s_delay_alu instid0(VALU_DEP_1) | instskip(NEXT) | instid1(VALU_DEP_1)
	v_mul_f32_e32 v3, s3, v5
	v_fma_f32 v3, s7, v6, -v3
	v_mul_f32_e32 v5, s7, v5
	s_delay_alu instid0(VALU_DEP_1)
	v_fmac_f32_e32 v5, s3, v6
	global_load_b64 v[6:7], v[0:1], off
	s_waitcnt vmcnt(0)
	v_dual_add_f32 v6, v6, v3 :: v_dual_add_f32 v7, v7, v5
	global_store_b64 v[0:1], v[6:7], off
.LBB1929_11:                            ;   in Loop: Header=BB1929_5 Depth=1
	s_or_b32 exec_lo, exec_lo, s1
	v_dual_mov_b32 v6, 0 :: v_dual_mov_b32 v7, 0
	v_mov_b32_e32 v8, 0
	s_waitcnt_vscnt null, 0x0
	s_barrier
	buffer_gl0_inv
	s_and_saveexec_b32 s9, s5
	s_cbranch_execz .LBB1929_13
; %bb.12:                               ;   in Loop: Header=BB1929_5 Depth=1
	v_ashrrev_i32_e32 v3, 31, v2
	s_delay_alu instid0(VALU_DEP_1) | instskip(NEXT) | instid1(VALU_DEP_1)
	v_lshlrev_b64 v[2:3], 3, v[2:3]
	v_add_co_u32 v2, s1, v19, v2
	s_delay_alu instid0(VALU_DEP_1)
	v_add_co_ci_u32_e64 v3, s1, v20, v3, s1
	global_load_b64 v[7:8], v[2:3], off
	s_waitcnt vmcnt(0)
	v_xor_b32_e32 v8, 0x80000000, v8
.LBB1929_13:                            ;   in Loop: Header=BB1929_5 Depth=1
	s_or_b32 exec_lo, exec_lo, s9
	v_mov_b32_e32 v5, 0
	ds_store_b64 v14, v[7:8]
	s_and_saveexec_b32 s5, s8
	s_cbranch_execz .LBB1929_15
; %bb.14:                               ;   in Loop: Header=BB1929_5 Depth=1
	v_ashrrev_i32_e32 v5, 31, v4
	s_delay_alu instid0(VALU_DEP_1) | instskip(NEXT) | instid1(VALU_DEP_1)
	v_lshlrev_b64 v[2:3], 3, v[4:5]
	v_add_co_u32 v2, s1, v21, v2
	s_delay_alu instid0(VALU_DEP_1)
	v_add_co_ci_u32_e64 v3, s1, v22, v3, s1
	global_load_b64 v[5:6], v[2:3], off
.LBB1929_15:                            ;   in Loop: Header=BB1929_5 Depth=1
	s_or_b32 exec_lo, exec_lo, s5
	s_waitcnt vmcnt(0)
	ds_store_b64 v18, v[5:6]
	s_waitcnt lgkmcnt(0)
	s_barrier
	buffer_gl0_inv
	s_and_saveexec_b32 s1, s2
	s_cbranch_execz .LBB1929_4
; %bb.16:                               ;   in Loop: Header=BB1929_5 Depth=1
	ds_load_b128 v[2:5], v11
	ds_load_b128 v[26:29], v11 offset:16
	ds_load_b128 v[30:33], v11 offset:32
	;; [unrolled: 1-line block ×3, first 2 shown]
	ds_load_2addr_b64 v[38:41], v15 offset1:32
	s_waitcnt lgkmcnt(0)
	v_mul_f32_e32 v6, v39, v3
	s_delay_alu instid0(VALU_DEP_1) | instskip(SKIP_1) | instid1(VALU_DEP_1)
	v_fma_f32 v6, v38, v2, -v6
	v_mul_f32_e32 v3, v38, v3
	v_fmac_f32_e32 v3, v39, v2
	s_delay_alu instid0(VALU_DEP_3) | instskip(SKIP_2) | instid1(VALU_DEP_2)
	v_add_f32_e32 v2, 0, v6
	v_mul_f32_e32 v6, v41, v5
	v_mul_f32_e32 v5, v40, v5
	v_fma_f32 v6, v40, v4, -v6
	v_add_f32_e32 v3, 0, v3
	s_delay_alu instid0(VALU_DEP_2) | instskip(NEXT) | instid1(VALU_DEP_1)
	v_dual_fmac_f32 v5, v41, v4 :: v_dual_add_f32 v6, v2, v6
	v_add_f32_e32 v7, v3, v5
	ds_load_2addr_b64 v[2:5], v15 offset0:64 offset1:96
	s_waitcnt lgkmcnt(0)
	v_mul_f32_e32 v8, v3, v27
	s_delay_alu instid0(VALU_DEP_1) | instskip(SKIP_1) | instid1(VALU_DEP_1)
	v_fma_f32 v8, v2, v26, -v8
	v_mul_f32_e32 v2, v2, v27
	v_dual_fmac_f32 v2, v3, v26 :: v_dual_add_f32 v3, v6, v8
	v_mul_f32_e32 v6, v5, v29
	s_delay_alu instid0(VALU_DEP_1) | instskip(SKIP_1) | instid1(VALU_DEP_2)
	v_fma_f32 v6, v4, v28, -v6
	v_mul_f32_e32 v4, v4, v29
	v_add_f32_e32 v6, v3, v6
	v_add_f32_e32 v2, v7, v2
	s_delay_alu instid0(VALU_DEP_3) | instskip(NEXT) | instid1(VALU_DEP_1)
	v_fmac_f32_e32 v4, v5, v28
	v_add_f32_e32 v7, v2, v4
	ds_load_2addr_b64 v[2:5], v15 offset0:128 offset1:160
	s_waitcnt lgkmcnt(0)
	v_mul_f32_e32 v8, v3, v31
	s_delay_alu instid0(VALU_DEP_1) | instskip(SKIP_1) | instid1(VALU_DEP_1)
	v_fma_f32 v8, v2, v30, -v8
	v_mul_f32_e32 v2, v2, v31
	v_dual_fmac_f32 v2, v3, v30 :: v_dual_add_f32 v3, v6, v8
	v_mul_f32_e32 v6, v5, v33
	s_delay_alu instid0(VALU_DEP_2) | instskip(NEXT) | instid1(VALU_DEP_2)
	v_add_f32_e32 v2, v7, v2
	v_fma_f32 v6, v4, v32, -v6
	v_mul_f32_e32 v4, v4, v33
	s_delay_alu instid0(VALU_DEP_2) | instskip(NEXT) | instid1(VALU_DEP_2)
	v_add_f32_e32 v6, v3, v6
	v_fmac_f32_e32 v4, v5, v32
	s_delay_alu instid0(VALU_DEP_1) | instskip(SKIP_3) | instid1(VALU_DEP_1)
	v_add_f32_e32 v7, v2, v4
	ds_load_2addr_b64 v[2:5], v15 offset0:192 offset1:224
	s_waitcnt lgkmcnt(0)
	v_mul_f32_e32 v8, v3, v35
	v_fma_f32 v8, v2, v34, -v8
	v_mul_f32_e32 v2, v2, v35
	s_delay_alu instid0(VALU_DEP_1) | instskip(SKIP_1) | instid1(VALU_DEP_2)
	v_dual_fmac_f32 v2, v3, v34 :: v_dual_add_f32 v3, v6, v8
	v_mul_f32_e32 v6, v5, v37
	v_add_f32_e32 v2, v7, v2
	s_delay_alu instid0(VALU_DEP_2) | instskip(SKIP_1) | instid1(VALU_DEP_2)
	v_fma_f32 v6, v4, v36, -v6
	v_mul_f32_e32 v4, v4, v37
	v_add_f32_e32 v6, v3, v6
	s_delay_alu instid0(VALU_DEP_2) | instskip(NEXT) | instid1(VALU_DEP_1)
	v_fmac_f32_e32 v4, v5, v36
	v_add_f32_e32 v7, v2, v4
	ds_load_b128 v[2:5], v11 offset:64
	ds_load_2addr_b64 v[26:29], v23 offset1:32
	s_waitcnt lgkmcnt(0)
	v_mul_f32_e32 v8, v27, v3
	v_mul_f32_e32 v3, v26, v3
	s_delay_alu instid0(VALU_DEP_2) | instskip(NEXT) | instid1(VALU_DEP_1)
	v_fma_f32 v8, v26, v2, -v8
	v_dual_fmac_f32 v3, v27, v2 :: v_dual_add_f32 v2, v6, v8
	v_mul_f32_e32 v6, v29, v5
	v_mul_f32_e32 v5, v28, v5
	s_delay_alu instid0(VALU_DEP_3) | instskip(NEXT) | instid1(VALU_DEP_3)
	v_add_f32_e32 v3, v7, v3
	v_fma_f32 v6, v28, v4, -v6
	s_delay_alu instid0(VALU_DEP_1) | instskip(NEXT) | instid1(VALU_DEP_1)
	v_dual_fmac_f32 v5, v29, v4 :: v_dual_add_f32 v6, v2, v6
	v_add_f32_e32 v7, v3, v5
	ds_load_b128 v[2:5], v11 offset:80
	ds_load_2addr_b64 v[26:29], v23 offset0:64 offset1:96
	s_waitcnt lgkmcnt(0)
	v_mul_f32_e32 v8, v27, v3
	v_mul_f32_e32 v3, v26, v3
	s_delay_alu instid0(VALU_DEP_2) | instskip(NEXT) | instid1(VALU_DEP_1)
	v_fma_f32 v8, v26, v2, -v8
	v_dual_fmac_f32 v3, v27, v2 :: v_dual_add_f32 v2, v6, v8
	v_mul_f32_e32 v6, v29, v5
	v_mul_f32_e32 v5, v28, v5
	s_delay_alu instid0(VALU_DEP_3) | instskip(NEXT) | instid1(VALU_DEP_3)
	v_add_f32_e32 v3, v7, v3
	v_fma_f32 v6, v28, v4, -v6
	s_delay_alu instid0(VALU_DEP_1) | instskip(NEXT) | instid1(VALU_DEP_1)
	v_dual_fmac_f32 v5, v29, v4 :: v_dual_add_f32 v6, v2, v6
	v_add_f32_e32 v7, v3, v5
	ds_load_b128 v[2:5], v11 offset:96
	ds_load_2addr_b64 v[26:29], v23 offset0:128 offset1:160
	;; [unrolled: 16-line block ×3, first 2 shown]
	s_waitcnt lgkmcnt(0)
	v_mul_f32_e32 v8, v27, v3
	v_mul_f32_e32 v3, v26, v3
	s_delay_alu instid0(VALU_DEP_2) | instskip(NEXT) | instid1(VALU_DEP_1)
	v_fma_f32 v8, v26, v2, -v8
	v_dual_fmac_f32 v3, v27, v2 :: v_dual_add_f32 v2, v6, v8
	v_mul_f32_e32 v6, v29, v5
	v_mul_f32_e32 v5, v28, v5
	s_delay_alu instid0(VALU_DEP_3) | instskip(NEXT) | instid1(VALU_DEP_3)
	v_add_f32_e32 v3, v7, v3
	v_fma_f32 v6, v28, v4, -v6
	s_delay_alu instid0(VALU_DEP_1) | instskip(NEXT) | instid1(VALU_DEP_1)
	v_dual_fmac_f32 v5, v29, v4 :: v_dual_add_f32 v6, v2, v6
	v_add_f32_e32 v7, v3, v5
	ds_load_b128 v[2:5], v11 offset:128
	ds_load_2addr_b64 v[26:29], v24 offset1:32
	s_waitcnt lgkmcnt(0)
	v_mul_f32_e32 v8, v27, v3
	v_mul_f32_e32 v3, v26, v3
	s_delay_alu instid0(VALU_DEP_2) | instskip(NEXT) | instid1(VALU_DEP_1)
	v_fma_f32 v8, v26, v2, -v8
	v_dual_fmac_f32 v3, v27, v2 :: v_dual_add_f32 v2, v6, v8
	v_mul_f32_e32 v6, v29, v5
	v_mul_f32_e32 v5, v28, v5
	s_delay_alu instid0(VALU_DEP_3) | instskip(NEXT) | instid1(VALU_DEP_3)
	v_add_f32_e32 v3, v7, v3
	v_fma_f32 v6, v28, v4, -v6
	s_delay_alu instid0(VALU_DEP_1) | instskip(NEXT) | instid1(VALU_DEP_1)
	v_dual_fmac_f32 v5, v29, v4 :: v_dual_add_f32 v6, v2, v6
	v_add_f32_e32 v7, v3, v5
	ds_load_b128 v[2:5], v11 offset:144
	ds_load_2addr_b64 v[26:29], v24 offset0:64 offset1:96
	s_waitcnt lgkmcnt(0)
	v_mul_f32_e32 v8, v27, v3
	v_mul_f32_e32 v3, v26, v3
	s_delay_alu instid0(VALU_DEP_2) | instskip(NEXT) | instid1(VALU_DEP_1)
	v_fma_f32 v8, v26, v2, -v8
	v_dual_fmac_f32 v3, v27, v2 :: v_dual_add_f32 v2, v6, v8
	v_mul_f32_e32 v6, v29, v5
	v_mul_f32_e32 v5, v28, v5
	s_delay_alu instid0(VALU_DEP_3) | instskip(NEXT) | instid1(VALU_DEP_3)
	v_add_f32_e32 v3, v7, v3
	v_fma_f32 v6, v28, v4, -v6
	s_delay_alu instid0(VALU_DEP_1) | instskip(NEXT) | instid1(VALU_DEP_1)
	v_dual_fmac_f32 v5, v29, v4 :: v_dual_add_f32 v6, v2, v6
	v_add_f32_e32 v7, v3, v5
	ds_load_b128 v[2:5], v11 offset:160
	ds_load_2addr_b64 v[26:29], v24 offset0:128 offset1:160
	s_waitcnt lgkmcnt(0)
	v_mul_f32_e32 v8, v27, v3
	v_mul_f32_e32 v3, v26, v3
	s_delay_alu instid0(VALU_DEP_2) | instskip(NEXT) | instid1(VALU_DEP_1)
	v_fma_f32 v8, v26, v2, -v8
	v_dual_fmac_f32 v3, v27, v2 :: v_dual_add_f32 v2, v6, v8
	v_mul_f32_e32 v6, v29, v5
	v_mul_f32_e32 v5, v28, v5
	s_delay_alu instid0(VALU_DEP_3) | instskip(NEXT) | instid1(VALU_DEP_3)
	v_add_f32_e32 v3, v7, v3
	v_fma_f32 v6, v28, v4, -v6
	s_delay_alu instid0(VALU_DEP_1) | instskip(NEXT) | instid1(VALU_DEP_1)
	v_dual_fmac_f32 v5, v29, v4 :: v_dual_add_f32 v6, v2, v6
	v_add_f32_e32 v7, v3, v5
	ds_load_b128 v[2:5], v11 offset:176
	ds_load_2addr_b64 v[26:29], v24 offset0:192 offset1:224
	s_waitcnt lgkmcnt(0)
	v_mul_f32_e32 v8, v27, v3
	v_mul_f32_e32 v3, v26, v3
	s_delay_alu instid0(VALU_DEP_2) | instskip(NEXT) | instid1(VALU_DEP_1)
	v_fma_f32 v8, v26, v2, -v8
	v_dual_fmac_f32 v3, v27, v2 :: v_dual_add_f32 v2, v6, v8
	s_delay_alu instid0(VALU_DEP_1) | instskip(SKIP_1) | instid1(VALU_DEP_2)
	v_dual_add_f32 v3, v7, v3 :: v_dual_mul_f32 v6, v29, v5
	v_mul_f32_e32 v5, v28, v5
	v_fma_f32 v6, v28, v4, -v6
	s_delay_alu instid0(VALU_DEP_1) | instskip(NEXT) | instid1(VALU_DEP_1)
	v_dual_fmac_f32 v5, v29, v4 :: v_dual_add_f32 v6, v2, v6
	v_add_f32_e32 v7, v3, v5
	ds_load_b128 v[2:5], v11 offset:192
	ds_load_2addr_b64 v[26:29], v25 offset1:32
	s_waitcnt lgkmcnt(0)
	v_mul_f32_e32 v8, v27, v3
	v_mul_f32_e32 v3, v26, v3
	s_delay_alu instid0(VALU_DEP_2) | instskip(NEXT) | instid1(VALU_DEP_1)
	v_fma_f32 v8, v26, v2, -v8
	v_dual_fmac_f32 v3, v27, v2 :: v_dual_add_f32 v2, v6, v8
	v_mul_f32_e32 v6, v29, v5
	v_mul_f32_e32 v5, v28, v5
	s_delay_alu instid0(VALU_DEP_2) | instskip(NEXT) | instid1(VALU_DEP_4)
	v_fma_f32 v6, v28, v4, -v6
	v_add_f32_e32 v3, v7, v3
	s_delay_alu instid0(VALU_DEP_2) | instskip(NEXT) | instid1(VALU_DEP_1)
	v_dual_fmac_f32 v5, v29, v4 :: v_dual_add_f32 v6, v2, v6
	v_add_f32_e32 v7, v3, v5
	ds_load_b128 v[2:5], v11 offset:208
	ds_load_2addr_b64 v[26:29], v25 offset0:64 offset1:96
	s_waitcnt lgkmcnt(0)
	v_mul_f32_e32 v8, v27, v3
	v_mul_f32_e32 v3, v26, v3
	s_delay_alu instid0(VALU_DEP_2) | instskip(NEXT) | instid1(VALU_DEP_1)
	v_fma_f32 v8, v26, v2, -v8
	v_dual_fmac_f32 v3, v27, v2 :: v_dual_add_f32 v2, v6, v8
	v_mul_f32_e32 v6, v29, v5
	v_mul_f32_e32 v5, v28, v5
	s_delay_alu instid0(VALU_DEP_2) | instskip(NEXT) | instid1(VALU_DEP_4)
	v_fma_f32 v6, v28, v4, -v6
	v_add_f32_e32 v3, v7, v3
	s_delay_alu instid0(VALU_DEP_2) | instskip(NEXT) | instid1(VALU_DEP_1)
	v_dual_fmac_f32 v5, v29, v4 :: v_dual_add_f32 v6, v2, v6
	v_add_f32_e32 v7, v3, v5
	ds_load_b128 v[2:5], v11 offset:224
	ds_load_2addr_b64 v[26:29], v25 offset0:128 offset1:160
	s_waitcnt lgkmcnt(0)
	v_mul_f32_e32 v8, v27, v3
	v_mul_f32_e32 v3, v26, v3
	s_delay_alu instid0(VALU_DEP_2) | instskip(NEXT) | instid1(VALU_DEP_1)
	v_fma_f32 v8, v26, v2, -v8
	v_dual_fmac_f32 v3, v27, v2 :: v_dual_add_f32 v2, v6, v8
	v_mul_f32_e32 v6, v29, v5
	v_mul_f32_e32 v5, v28, v5
	s_delay_alu instid0(VALU_DEP_3) | instskip(NEXT) | instid1(VALU_DEP_3)
	v_add_f32_e32 v3, v7, v3
	v_fma_f32 v6, v28, v4, -v6
	s_delay_alu instid0(VALU_DEP_1) | instskip(NEXT) | instid1(VALU_DEP_1)
	v_dual_fmac_f32 v5, v29, v4 :: v_dual_add_f32 v6, v2, v6
	v_add_f32_e32 v7, v3, v5
	ds_load_b128 v[2:5], v11 offset:240
	ds_load_2addr_b64 v[26:29], v25 offset0:192 offset1:224
	s_waitcnt lgkmcnt(0)
	v_mul_f32_e32 v8, v27, v3
	v_mul_f32_e32 v3, v26, v3
	s_delay_alu instid0(VALU_DEP_2) | instskip(NEXT) | instid1(VALU_DEP_1)
	v_fma_f32 v8, v26, v2, -v8
	v_dual_fmac_f32 v3, v27, v2 :: v_dual_add_f32 v2, v6, v8
	v_mul_f32_e32 v6, v29, v5
	v_mul_f32_e32 v5, v28, v5
	s_delay_alu instid0(VALU_DEP_2) | instskip(NEXT) | instid1(VALU_DEP_1)
	v_fma_f32 v6, v28, v4, -v6
	v_dual_fmac_f32 v5, v29, v4 :: v_dual_add_f32 v4, v2, v6
	s_delay_alu instid0(VALU_DEP_1) | instskip(SKIP_1) | instid1(VALU_DEP_1)
	v_mul_f32_e32 v2, s7, v4
	v_dual_mul_f32 v4, s3, v4 :: v_dual_add_f32 v3, v7, v3
	v_add_f32_e32 v3, v3, v5
	s_delay_alu instid0(VALU_DEP_1) | instskip(NEXT) | instid1(VALU_DEP_3)
	v_fmac_f32_e32 v2, s3, v3
	v_fma_f32 v3, s7, v3, -v4
	global_load_b64 v[4:5], v[0:1], off
	s_waitcnt vmcnt(0)
	v_dual_add_f32 v2, v4, v2 :: v_dual_add_f32 v3, v5, v3
	global_store_b64 v[0:1], v[2:3], off
	s_branch .LBB1929_4
.LBB1929_17:
	s_endpgm
	.section	.rodata,"a",@progbits
	.p2align	6, 0x0
	.amdhsa_kernel _ZL26rocblas_syr2k_her2k_kernelIiLb1ELb1ELb1ELi32E19rocblas_complex_numIfEPKS1_PS1_EvbiT_T4_T5_S5_lS7_S5_lT6_S5_li
		.amdhsa_group_segment_fixed_size 16384
		.amdhsa_private_segment_fixed_size 0
		.amdhsa_kernarg_size 100
		.amdhsa_user_sgpr_count 13
		.amdhsa_user_sgpr_dispatch_ptr 0
		.amdhsa_user_sgpr_queue_ptr 0
		.amdhsa_user_sgpr_kernarg_segment_ptr 1
		.amdhsa_user_sgpr_dispatch_id 0
		.amdhsa_user_sgpr_private_segment_size 0
		.amdhsa_wavefront_size32 1
		.amdhsa_uses_dynamic_stack 0
		.amdhsa_enable_private_segment 0
		.amdhsa_system_sgpr_workgroup_id_x 1
		.amdhsa_system_sgpr_workgroup_id_y 1
		.amdhsa_system_sgpr_workgroup_id_z 1
		.amdhsa_system_sgpr_workgroup_info 0
		.amdhsa_system_vgpr_workitem_id 1
		.amdhsa_next_free_vgpr 42
		.amdhsa_next_free_sgpr 22
		.amdhsa_reserve_vcc 1
		.amdhsa_float_round_mode_32 0
		.amdhsa_float_round_mode_16_64 0
		.amdhsa_float_denorm_mode_32 3
		.amdhsa_float_denorm_mode_16_64 3
		.amdhsa_dx10_clamp 1
		.amdhsa_ieee_mode 1
		.amdhsa_fp16_overflow 0
		.amdhsa_workgroup_processor_mode 1
		.amdhsa_memory_ordered 1
		.amdhsa_forward_progress 0
		.amdhsa_shared_vgpr_count 0
		.amdhsa_exception_fp_ieee_invalid_op 0
		.amdhsa_exception_fp_denorm_src 0
		.amdhsa_exception_fp_ieee_div_zero 0
		.amdhsa_exception_fp_ieee_overflow 0
		.amdhsa_exception_fp_ieee_underflow 0
		.amdhsa_exception_fp_ieee_inexact 0
		.amdhsa_exception_int_div_zero 0
	.end_amdhsa_kernel
	.section	.text._ZL26rocblas_syr2k_her2k_kernelIiLb1ELb1ELb1ELi32E19rocblas_complex_numIfEPKS1_PS1_EvbiT_T4_T5_S5_lS7_S5_lT6_S5_li,"axG",@progbits,_ZL26rocblas_syr2k_her2k_kernelIiLb1ELb1ELb1ELi32E19rocblas_complex_numIfEPKS1_PS1_EvbiT_T4_T5_S5_lS7_S5_lT6_S5_li,comdat
.Lfunc_end1929:
	.size	_ZL26rocblas_syr2k_her2k_kernelIiLb1ELb1ELb1ELi32E19rocblas_complex_numIfEPKS1_PS1_EvbiT_T4_T5_S5_lS7_S5_lT6_S5_li, .Lfunc_end1929-_ZL26rocblas_syr2k_her2k_kernelIiLb1ELb1ELb1ELi32E19rocblas_complex_numIfEPKS1_PS1_EvbiT_T4_T5_S5_lS7_S5_lT6_S5_li
                                        ; -- End function
	.section	.AMDGPU.csdata,"",@progbits
; Kernel info:
; codeLenInByte = 4044
; NumSgprs: 24
; NumVgprs: 42
; ScratchSize: 0
; MemoryBound: 0
; FloatMode: 240
; IeeeMode: 1
; LDSByteSize: 16384 bytes/workgroup (compile time only)
; SGPRBlocks: 2
; VGPRBlocks: 5
; NumSGPRsForWavesPerEU: 24
; NumVGPRsForWavesPerEU: 42
; Occupancy: 16
; WaveLimiterHint : 0
; COMPUTE_PGM_RSRC2:SCRATCH_EN: 0
; COMPUTE_PGM_RSRC2:USER_SGPR: 13
; COMPUTE_PGM_RSRC2:TRAP_HANDLER: 0
; COMPUTE_PGM_RSRC2:TGID_X_EN: 1
; COMPUTE_PGM_RSRC2:TGID_Y_EN: 1
; COMPUTE_PGM_RSRC2:TGID_Z_EN: 1
; COMPUTE_PGM_RSRC2:TIDIG_COMP_CNT: 1
	.section	.text._ZL26rocblas_syr2k_her2k_kernelIiLb1ELb1ELb0ELi32EPK19rocblas_complex_numIfES3_PS1_EvbiT_T4_T5_S5_lS7_S5_lT6_S5_li,"axG",@progbits,_ZL26rocblas_syr2k_her2k_kernelIiLb1ELb1ELb0ELi32EPK19rocblas_complex_numIfES3_PS1_EvbiT_T4_T5_S5_lS7_S5_lT6_S5_li,comdat
	.globl	_ZL26rocblas_syr2k_her2k_kernelIiLb1ELb1ELb0ELi32EPK19rocblas_complex_numIfES3_PS1_EvbiT_T4_T5_S5_lS7_S5_lT6_S5_li ; -- Begin function _ZL26rocblas_syr2k_her2k_kernelIiLb1ELb1ELb0ELi32EPK19rocblas_complex_numIfES3_PS1_EvbiT_T4_T5_S5_lS7_S5_lT6_S5_li
	.p2align	8
	.type	_ZL26rocblas_syr2k_her2k_kernelIiLb1ELb1ELb0ELi32EPK19rocblas_complex_numIfES3_PS1_EvbiT_T4_T5_S5_lS7_S5_lT6_S5_li,@function
_ZL26rocblas_syr2k_her2k_kernelIiLb1ELb1ELb0ELi32EPK19rocblas_complex_numIfES3_PS1_EvbiT_T4_T5_S5_lS7_S5_lT6_S5_li: ; @_ZL26rocblas_syr2k_her2k_kernelIiLb1ELb1ELb0ELi32EPK19rocblas_complex_numIfES3_PS1_EvbiT_T4_T5_S5_lS7_S5_lT6_S5_li
; %bb.0:
	s_load_b128 s[8:11], s[0:1], 0x10
	s_waitcnt lgkmcnt(0)
	s_load_b64 s[8:9], s[8:9], 0x0
	s_waitcnt lgkmcnt(0)
	v_cmp_eq_f32_e64 s2, s8, 0
	v_cmp_eq_f32_e64 s3, s9, 0
	s_delay_alu instid0(VALU_DEP_1) | instskip(NEXT) | instid1(SALU_CYCLE_1)
	s_and_b32 s2, s2, s3
	s_and_b32 vcc_lo, exec_lo, s2
	s_cbranch_vccnz .LBB1930_17
; %bb.1:
	s_load_b128 s[4:7], s[0:1], 0x0
	s_lshl_b32 s2, s14, 5
	s_waitcnt lgkmcnt(0)
	s_and_b32 s3, 1, s4
	s_lshl_b32 s4, s13, 5
	s_cmp_eq_u32 s3, 1
	s_cselect_b32 vcc_lo, -1, 0
	s_delay_alu instid0(SALU_CYCLE_1) | instskip(SKIP_2) | instid1(SALU_CYCLE_1)
	s_and_b32 s3, vcc_lo, exec_lo
	s_cselect_b32 s3, s4, s2
	s_cselect_b32 s7, s2, s4
	s_cmp_gt_i32 s3, s7
	s_cbranch_scc1 .LBB1930_17
; %bb.2:
	s_cmp_lt_i32 s6, 1
	s_cbranch_scc1 .LBB1930_17
; %bb.3:
	s_clause 0x1
	s_load_b128 s[20:23], s[0:1], 0x28
	s_load_b128 s[16:19], s[0:1], 0x40
	v_bfe_u32 v6, v0, 10, 10
	v_and_b32_e32 v7, 0x3ff, v0
	s_clause 0x1
	s_load_b64 s[12:13], s[0:1], 0x58
	s_load_b32 s3, s[0:1], 0x20
	v_add_nc_u32_e32 v0, s2, v6
	v_add_nc_u32_e32 v1, s4, v7
	s_clause 0x1
	s_load_b32 s4, s[0:1], 0x38
	s_load_b32 s2, s[0:1], 0x50
	v_lshlrev_b32_e32 v12, 3, v6
	v_dual_cndmask_b32 v17, v0, v1 :: v_dual_lshlrev_b32 v8, 8, v7
	v_ashrrev_i32_e32 v2, 31, v1
	v_cndmask_b32_e32 v16, v1, v0, vcc_lo
	v_cmp_gt_i32_e32 vcc_lo, s5, v1
	s_delay_alu instid0(VALU_DEP_4)
	v_add_nc_u32_e32 v11, v8, v12
	v_or_b32_e32 v12, 0x2000, v12
	v_lshlrev_b64 v[2:3], 3, v[1:2]
	s_waitcnt lgkmcnt(0)
	s_mul_i32 s1, s15, s21
	s_mul_hi_u32 s7, s15, s20
	s_mul_i32 s0, s15, s20
	s_add_i32 s1, s7, s1
	s_mul_i32 s14, s15, s17
	s_lshl_b64 s[0:1], s[0:1], 3
	s_mul_hi_u32 s17, s15, s16
	s_mul_i32 s7, s15, s13
	s_add_u32 s13, s10, s0
	s_mul_i32 s16, s15, s16
	s_addc_u32 s20, s11, s1
	s_add_i32 s17, s17, s14
	s_mul_hi_u32 s11, s15, s12
	s_lshl_b64 s[0:1], s[16:17], 3
	s_mul_i32 s10, s15, s12
	s_add_u32 s12, s22, s0
	v_mad_i64_i32 v[4:5], null, s2, v0, 0
	s_addc_u32 s14, s23, s1
	s_add_i32 s11, s11, s7
	v_ashrrev_i32_e32 v1, 31, v0
	s_lshl_b64 s[0:1], s[10:11], 3
	v_add_nc_u32_e32 v15, v12, v8
	s_add_u32 s7, s18, s0
	v_add_co_u32 v9, s0, s13, v2
	s_delay_alu instid0(VALU_DEP_1)
	v_add_co_ci_u32_e64 v10, s0, s20, v3, s0
	v_lshlrev_b64 v[18:19], 3, v[0:1]
	v_cmp_gt_i32_e64 s0, s5, v0
	v_lshlrev_b64 v[0:1], 3, v[4:5]
	s_addc_u32 s10, s19, s1
	v_add_nc_u32_e32 v20, 0x800, v12
	v_add_nc_u32_e32 v21, 0x1000, v12
	v_add_co_u32 v13, s1, s12, v18
	s_delay_alu instid0(VALU_DEP_4) | instskip(NEXT) | instid1(VALU_DEP_1)
	v_add_co_u32 v0, s2, s7, v0
	v_add_co_ci_u32_e64 v1, s2, s10, v1, s2
	v_add_co_ci_u32_e64 v14, s1, s14, v19, s1
	s_delay_alu instid0(VALU_DEP_3) | instskip(NEXT) | instid1(VALU_DEP_1)
	v_add_co_u32 v0, s2, v0, v2
	v_add_co_ci_u32_e64 v1, s2, v1, v3, s2
	v_cmp_le_i32_e64 s1, v17, v16
	v_add_co_u32 v16, s2, s12, v2
	s_delay_alu instid0(VALU_DEP_1) | instskip(SKIP_1) | instid1(VALU_DEP_1)
	v_add_co_ci_u32_e64 v17, s2, s14, v3, s2
	v_add_co_u32 v18, s2, s13, v18
	v_add_co_ci_u32_e64 v19, s2, s20, v19, s2
	v_add_nc_u32_e32 v22, 0x1800, v12
	s_and_b32 s5, s0, vcc_lo
	s_delay_alu instid0(SALU_CYCLE_1)
	s_and_b32 s2, s5, s1
	s_mov_b32 s5, 0
	s_branch .LBB1930_5
.LBB1930_4:                             ;   in Loop: Header=BB1930_5 Depth=1
	s_or_b32 exec_lo, exec_lo, s1
	s_add_i32 s5, s5, 32
	s_waitcnt_vscnt null, 0x0
	s_cmp_lt_i32 s5, s6
	s_barrier
	buffer_gl0_inv
	s_cbranch_scc0 .LBB1930_17
.LBB1930_5:                             ; =>This Inner Loop Header: Depth=1
	v_dual_mov_b32 v2, 0 :: v_dual_add_nc_u32 v23, s5, v6
	v_dual_mov_b32 v4, 0 :: v_dual_mov_b32 v5, 0
	s_delay_alu instid0(VALU_DEP_2) | instskip(NEXT) | instid1(VALU_DEP_1)
	v_cmp_gt_i32_e64 s1, s6, v23
	s_and_b32 s7, vcc_lo, s1
	s_delay_alu instid0(SALU_CYCLE_1)
	s_and_saveexec_b32 s10, s7
	s_cbranch_execz .LBB1930_7
; %bb.6:                                ;   in Loop: Header=BB1930_5 Depth=1
	v_mad_i64_i32 v[3:4], null, v23, s3, 0
	s_delay_alu instid0(VALU_DEP_1) | instskip(NEXT) | instid1(VALU_DEP_1)
	v_lshlrev_b64 v[3:4], 3, v[3:4]
	v_add_co_u32 v3, s1, v9, v3
	s_delay_alu instid0(VALU_DEP_1)
	v_add_co_ci_u32_e64 v4, s1, v10, v4, s1
	global_load_b64 v[4:5], v[3:4], off
.LBB1930_7:                             ;   in Loop: Header=BB1930_5 Depth=1
	s_or_b32 exec_lo, exec_lo, s10
	v_dual_mov_b32 v3, 0 :: v_dual_add_nc_u32 v24, s5, v7
	s_waitcnt vmcnt(0)
	ds_store_b64 v11, v[4:5]
	v_cmp_gt_i32_e64 s1, s6, v24
	s_delay_alu instid0(VALU_DEP_1) | instskip(NEXT) | instid1(SALU_CYCLE_1)
	s_and_b32 s10, s0, s1
	s_and_saveexec_b32 s11, s10
	s_cbranch_execz .LBB1930_9
; %bb.8:                                ;   in Loop: Header=BB1930_5 Depth=1
	v_mad_i64_i32 v[2:3], null, v24, s4, 0
	s_delay_alu instid0(VALU_DEP_1) | instskip(NEXT) | instid1(VALU_DEP_1)
	v_lshlrev_b64 v[2:3], 3, v[2:3]
	v_add_co_u32 v2, s1, v13, v2
	s_delay_alu instid0(VALU_DEP_1)
	v_add_co_ci_u32_e64 v3, s1, v14, v3, s1
	global_load_b64 v[2:3], v[2:3], off
	s_waitcnt vmcnt(0)
	v_xor_b32_e32 v3, 0x80000000, v3
.LBB1930_9:                             ;   in Loop: Header=BB1930_5 Depth=1
	s_or_b32 exec_lo, exec_lo, s11
	ds_store_b64 v15, v[2:3]
	s_waitcnt lgkmcnt(0)
	s_barrier
	buffer_gl0_inv
	s_and_saveexec_b32 s1, s2
	s_cbranch_execz .LBB1930_11
; %bb.10:                               ;   in Loop: Header=BB1930_5 Depth=1
	ds_load_b128 v[2:5], v8
	ds_load_b128 v[25:28], v8 offset:16
	ds_load_b128 v[29:32], v8 offset:32
	;; [unrolled: 1-line block ×3, first 2 shown]
	ds_load_2addr_b64 v[37:40], v12 offset1:32
	s_waitcnt lgkmcnt(0)
	v_mul_f32_e32 v41, v38, v3
	s_delay_alu instid0(VALU_DEP_1) | instskip(SKIP_3) | instid1(VALU_DEP_3)
	v_fma_f32 v41, v37, v2, -v41
	v_mul_f32_e32 v3, v37, v3
	v_mul_f32_e32 v37, v40, v5
	;; [unrolled: 1-line block ×3, first 2 shown]
	v_dual_fmac_f32 v3, v38, v2 :: v_dual_add_f32 v2, 0, v41
	s_delay_alu instid0(VALU_DEP_3) | instskip(NEXT) | instid1(VALU_DEP_3)
	v_fma_f32 v37, v39, v4, -v37
	v_fmac_f32_e32 v5, v40, v4
	s_delay_alu instid0(VALU_DEP_3) | instskip(NEXT) | instid1(VALU_DEP_3)
	v_add_f32_e32 v3, 0, v3
	v_add_f32_e32 v37, v2, v37
	s_delay_alu instid0(VALU_DEP_2) | instskip(SKIP_3) | instid1(VALU_DEP_1)
	v_add_f32_e32 v38, v3, v5
	ds_load_2addr_b64 v[2:5], v12 offset0:64 offset1:96
	s_waitcnt lgkmcnt(0)
	v_mul_f32_e32 v39, v3, v26
	v_fma_f32 v39, v2, v25, -v39
	v_mul_f32_e32 v2, v2, v26
	s_delay_alu instid0(VALU_DEP_1) | instskip(NEXT) | instid1(VALU_DEP_1)
	v_dual_fmac_f32 v2, v3, v25 :: v_dual_mul_f32 v25, v5, v28
	v_add_f32_e32 v2, v38, v2
	s_delay_alu instid0(VALU_DEP_2) | instskip(SKIP_1) | instid1(VALU_DEP_1)
	v_fma_f32 v25, v4, v27, -v25
	v_mul_f32_e32 v4, v4, v28
	v_fmac_f32_e32 v4, v5, v27
	s_delay_alu instid0(VALU_DEP_1) | instskip(NEXT) | instid1(VALU_DEP_1)
	v_dual_add_f32 v3, v37, v39 :: v_dual_add_f32 v26, v2, v4
	v_add_f32_e32 v25, v3, v25
	ds_load_2addr_b64 v[2:5], v12 offset0:128 offset1:160
	s_waitcnt lgkmcnt(0)
	v_mul_f32_e32 v27, v3, v30
	s_delay_alu instid0(VALU_DEP_1) | instskip(SKIP_1) | instid1(VALU_DEP_1)
	v_fma_f32 v27, v2, v29, -v27
	v_mul_f32_e32 v2, v2, v30
	v_fmac_f32_e32 v2, v3, v29
	s_delay_alu instid0(VALU_DEP_1) | instskip(SKIP_1) | instid1(VALU_DEP_1)
	v_dual_add_f32 v2, v26, v2 :: v_dual_add_f32 v3, v25, v27
	v_mul_f32_e32 v25, v5, v32
	v_fma_f32 v25, v4, v31, -v25
	v_mul_f32_e32 v4, v4, v32
	s_delay_alu instid0(VALU_DEP_1) | instskip(NEXT) | instid1(VALU_DEP_1)
	v_fmac_f32_e32 v4, v5, v31
	v_dual_add_f32 v26, v2, v4 :: v_dual_add_f32 v25, v3, v25
	ds_load_2addr_b64 v[2:5], v12 offset0:192 offset1:224
	s_waitcnt lgkmcnt(0)
	v_mul_f32_e32 v27, v3, v34
	s_delay_alu instid0(VALU_DEP_1) | instskip(SKIP_1) | instid1(VALU_DEP_1)
	v_fma_f32 v27, v2, v33, -v27
	v_mul_f32_e32 v2, v2, v34
	v_fmac_f32_e32 v2, v3, v33
	s_delay_alu instid0(VALU_DEP_1) | instskip(SKIP_1) | instid1(VALU_DEP_1)
	v_dual_add_f32 v2, v26, v2 :: v_dual_add_f32 v3, v25, v27
	v_mul_f32_e32 v25, v5, v36
	v_fma_f32 v25, v4, v35, -v25
	s_delay_alu instid0(VALU_DEP_1) | instskip(NEXT) | instid1(VALU_DEP_1)
	v_dual_mul_f32 v4, v4, v36 :: v_dual_add_f32 v29, v3, v25
	v_fmac_f32_e32 v4, v5, v35
	s_delay_alu instid0(VALU_DEP_1)
	v_add_f32_e32 v30, v2, v4
	ds_load_b128 v[2:5], v8 offset:64
	ds_load_2addr_b64 v[25:28], v20 offset1:32
	s_waitcnt lgkmcnt(0)
	v_mul_f32_e32 v31, v26, v3
	v_mul_f32_e32 v3, v25, v3
	s_delay_alu instid0(VALU_DEP_2) | instskip(NEXT) | instid1(VALU_DEP_2)
	v_fma_f32 v31, v25, v2, -v31
	v_fmac_f32_e32 v3, v26, v2
	v_mul_f32_e32 v25, v28, v5
	s_delay_alu instid0(VALU_DEP_3) | instskip(NEXT) | instid1(VALU_DEP_3)
	v_dual_mul_f32 v5, v27, v5 :: v_dual_add_f32 v2, v29, v31
	v_add_f32_e32 v3, v30, v3
	s_delay_alu instid0(VALU_DEP_3) | instskip(NEXT) | instid1(VALU_DEP_3)
	v_fma_f32 v25, v27, v4, -v25
	v_fmac_f32_e32 v5, v28, v4
	s_delay_alu instid0(VALU_DEP_2) | instskip(NEXT) | instid1(VALU_DEP_2)
	v_add_f32_e32 v29, v2, v25
	v_add_f32_e32 v30, v3, v5
	ds_load_b128 v[2:5], v8 offset:80
	ds_load_2addr_b64 v[25:28], v20 offset0:64 offset1:96
	s_waitcnt lgkmcnt(0)
	v_mul_f32_e32 v31, v26, v3
	v_mul_f32_e32 v3, v25, v3
	s_delay_alu instid0(VALU_DEP_2) | instskip(NEXT) | instid1(VALU_DEP_2)
	v_fma_f32 v31, v25, v2, -v31
	v_fmac_f32_e32 v3, v26, v2
	v_mul_f32_e32 v25, v28, v5
	s_delay_alu instid0(VALU_DEP_3) | instskip(NEXT) | instid1(VALU_DEP_3)
	v_dual_mul_f32 v5, v27, v5 :: v_dual_add_f32 v2, v29, v31
	v_add_f32_e32 v3, v30, v3
	s_delay_alu instid0(VALU_DEP_3) | instskip(NEXT) | instid1(VALU_DEP_3)
	v_fma_f32 v25, v27, v4, -v25
	v_fmac_f32_e32 v5, v28, v4
	s_delay_alu instid0(VALU_DEP_2) | instskip(NEXT) | instid1(VALU_DEP_2)
	v_add_f32_e32 v29, v2, v25
	v_add_f32_e32 v30, v3, v5
	ds_load_b128 v[2:5], v8 offset:96
	ds_load_2addr_b64 v[25:28], v20 offset0:128 offset1:160
	;; [unrolled: 18-line block ×3, first 2 shown]
	s_waitcnt lgkmcnt(0)
	v_mul_f32_e32 v31, v26, v3
	v_mul_f32_e32 v3, v25, v3
	s_delay_alu instid0(VALU_DEP_2) | instskip(NEXT) | instid1(VALU_DEP_2)
	v_fma_f32 v31, v25, v2, -v31
	v_fmac_f32_e32 v3, v26, v2
	v_mul_f32_e32 v25, v28, v5
	s_delay_alu instid0(VALU_DEP_3) | instskip(NEXT) | instid1(VALU_DEP_3)
	v_dual_mul_f32 v5, v27, v5 :: v_dual_add_f32 v2, v29, v31
	v_add_f32_e32 v3, v30, v3
	s_delay_alu instid0(VALU_DEP_3) | instskip(NEXT) | instid1(VALU_DEP_3)
	v_fma_f32 v25, v27, v4, -v25
	v_fmac_f32_e32 v5, v28, v4
	s_delay_alu instid0(VALU_DEP_2) | instskip(NEXT) | instid1(VALU_DEP_2)
	v_add_f32_e32 v29, v2, v25
	v_add_f32_e32 v30, v3, v5
	ds_load_b128 v[2:5], v8 offset:128
	ds_load_2addr_b64 v[25:28], v21 offset1:32
	s_waitcnt lgkmcnt(0)
	v_mul_f32_e32 v31, v26, v3
	v_mul_f32_e32 v3, v25, v3
	s_delay_alu instid0(VALU_DEP_2) | instskip(NEXT) | instid1(VALU_DEP_2)
	v_fma_f32 v31, v25, v2, -v31
	v_fmac_f32_e32 v3, v26, v2
	v_mul_f32_e32 v25, v28, v5
	s_delay_alu instid0(VALU_DEP_3) | instskip(NEXT) | instid1(VALU_DEP_3)
	v_dual_mul_f32 v5, v27, v5 :: v_dual_add_f32 v2, v29, v31
	v_add_f32_e32 v3, v30, v3
	s_delay_alu instid0(VALU_DEP_3) | instskip(NEXT) | instid1(VALU_DEP_3)
	v_fma_f32 v25, v27, v4, -v25
	v_fmac_f32_e32 v5, v28, v4
	s_delay_alu instid0(VALU_DEP_2) | instskip(NEXT) | instid1(VALU_DEP_2)
	v_add_f32_e32 v29, v2, v25
	v_add_f32_e32 v30, v3, v5
	ds_load_b128 v[2:5], v8 offset:144
	ds_load_2addr_b64 v[25:28], v21 offset0:64 offset1:96
	s_waitcnt lgkmcnt(0)
	v_mul_f32_e32 v31, v26, v3
	v_mul_f32_e32 v3, v25, v3
	s_delay_alu instid0(VALU_DEP_2) | instskip(NEXT) | instid1(VALU_DEP_2)
	v_fma_f32 v31, v25, v2, -v31
	v_fmac_f32_e32 v3, v26, v2
	v_mul_f32_e32 v25, v28, v5
	s_delay_alu instid0(VALU_DEP_3) | instskip(NEXT) | instid1(VALU_DEP_3)
	v_dual_mul_f32 v5, v27, v5 :: v_dual_add_f32 v2, v29, v31
	v_add_f32_e32 v3, v30, v3
	s_delay_alu instid0(VALU_DEP_3) | instskip(NEXT) | instid1(VALU_DEP_3)
	v_fma_f32 v25, v27, v4, -v25
	v_fmac_f32_e32 v5, v28, v4
	s_delay_alu instid0(VALU_DEP_2) | instskip(NEXT) | instid1(VALU_DEP_2)
	v_add_f32_e32 v29, v2, v25
	v_add_f32_e32 v30, v3, v5
	ds_load_b128 v[2:5], v8 offset:160
	ds_load_2addr_b64 v[25:28], v21 offset0:128 offset1:160
	;; [unrolled: 18-line block ×3, first 2 shown]
	s_waitcnt lgkmcnt(0)
	v_mul_f32_e32 v31, v26, v3
	v_mul_f32_e32 v3, v25, v3
	s_delay_alu instid0(VALU_DEP_2) | instskip(NEXT) | instid1(VALU_DEP_2)
	v_fma_f32 v31, v25, v2, -v31
	v_fmac_f32_e32 v3, v26, v2
	v_mul_f32_e32 v25, v28, v5
	s_delay_alu instid0(VALU_DEP_3) | instskip(NEXT) | instid1(VALU_DEP_3)
	v_dual_mul_f32 v5, v27, v5 :: v_dual_add_f32 v2, v29, v31
	v_add_f32_e32 v3, v30, v3
	s_delay_alu instid0(VALU_DEP_3) | instskip(NEXT) | instid1(VALU_DEP_3)
	v_fma_f32 v25, v27, v4, -v25
	v_fmac_f32_e32 v5, v28, v4
	s_delay_alu instid0(VALU_DEP_2) | instskip(NEXT) | instid1(VALU_DEP_2)
	v_add_f32_e32 v29, v2, v25
	v_add_f32_e32 v30, v3, v5
	ds_load_b128 v[2:5], v8 offset:192
	ds_load_2addr_b64 v[25:28], v22 offset1:32
	s_waitcnt lgkmcnt(0)
	v_mul_f32_e32 v31, v26, v3
	v_mul_f32_e32 v3, v25, v3
	s_delay_alu instid0(VALU_DEP_2) | instskip(NEXT) | instid1(VALU_DEP_2)
	v_fma_f32 v31, v25, v2, -v31
	v_fmac_f32_e32 v3, v26, v2
	v_mul_f32_e32 v25, v28, v5
	s_delay_alu instid0(VALU_DEP_3) | instskip(NEXT) | instid1(VALU_DEP_3)
	v_dual_mul_f32 v5, v27, v5 :: v_dual_add_f32 v2, v29, v31
	v_add_f32_e32 v3, v30, v3
	s_delay_alu instid0(VALU_DEP_3) | instskip(NEXT) | instid1(VALU_DEP_3)
	v_fma_f32 v25, v27, v4, -v25
	v_fmac_f32_e32 v5, v28, v4
	s_delay_alu instid0(VALU_DEP_2) | instskip(NEXT) | instid1(VALU_DEP_2)
	v_add_f32_e32 v29, v2, v25
	v_add_f32_e32 v30, v3, v5
	ds_load_b128 v[2:5], v8 offset:208
	ds_load_2addr_b64 v[25:28], v22 offset0:64 offset1:96
	s_waitcnt lgkmcnt(0)
	v_mul_f32_e32 v31, v26, v3
	v_mul_f32_e32 v3, v25, v3
	s_delay_alu instid0(VALU_DEP_2) | instskip(NEXT) | instid1(VALU_DEP_2)
	v_fma_f32 v31, v25, v2, -v31
	v_fmac_f32_e32 v3, v26, v2
	v_mul_f32_e32 v25, v28, v5
	s_delay_alu instid0(VALU_DEP_3) | instskip(NEXT) | instid1(VALU_DEP_3)
	v_dual_mul_f32 v5, v27, v5 :: v_dual_add_f32 v2, v29, v31
	v_add_f32_e32 v3, v30, v3
	s_delay_alu instid0(VALU_DEP_3) | instskip(NEXT) | instid1(VALU_DEP_3)
	v_fma_f32 v25, v27, v4, -v25
	v_fmac_f32_e32 v5, v28, v4
	s_delay_alu instid0(VALU_DEP_2) | instskip(NEXT) | instid1(VALU_DEP_2)
	v_add_f32_e32 v29, v2, v25
	v_add_f32_e32 v30, v3, v5
	ds_load_b128 v[2:5], v8 offset:224
	ds_load_2addr_b64 v[25:28], v22 offset0:128 offset1:160
	;; [unrolled: 18-line block ×3, first 2 shown]
	s_waitcnt lgkmcnt(0)
	v_mul_f32_e32 v31, v26, v3
	v_mul_f32_e32 v3, v25, v3
	s_delay_alu instid0(VALU_DEP_2) | instskip(NEXT) | instid1(VALU_DEP_2)
	v_fma_f32 v31, v25, v2, -v31
	v_fmac_f32_e32 v3, v26, v2
	v_mul_f32_e32 v25, v28, v5
	s_delay_alu instid0(VALU_DEP_3) | instskip(NEXT) | instid1(VALU_DEP_3)
	v_dual_mul_f32 v5, v27, v5 :: v_dual_add_f32 v2, v29, v31
	v_add_f32_e32 v3, v30, v3
	s_delay_alu instid0(VALU_DEP_3) | instskip(NEXT) | instid1(VALU_DEP_1)
	v_fma_f32 v25, v27, v4, -v25
	v_dual_fmac_f32 v5, v28, v4 :: v_dual_add_f32 v4, v2, v25
	s_delay_alu instid0(VALU_DEP_1) | instskip(NEXT) | instid1(VALU_DEP_1)
	v_add_f32_e32 v3, v3, v5
	v_mul_f32_e32 v2, s9, v3
	v_mul_f32_e32 v3, s8, v3
	s_delay_alu instid0(VALU_DEP_2) | instskip(NEXT) | instid1(VALU_DEP_2)
	v_fma_f32 v2, s8, v4, -v2
	v_fmac_f32_e32 v3, s9, v4
	global_load_b64 v[4:5], v[0:1], off
	s_waitcnt vmcnt(0)
	v_dual_add_f32 v2, v4, v2 :: v_dual_add_f32 v3, v5, v3
	global_store_b64 v[0:1], v[2:3], off
.LBB1930_11:                            ;   in Loop: Header=BB1930_5 Depth=1
	s_or_b32 exec_lo, exec_lo, s1
	v_dual_mov_b32 v3, 0 :: v_dual_mov_b32 v4, 0
	v_mov_b32_e32 v5, 0
	s_waitcnt_vscnt null, 0x0
	s_barrier
	buffer_gl0_inv
	s_and_saveexec_b32 s11, s7
	s_cbranch_execz .LBB1930_13
; %bb.12:                               ;   in Loop: Header=BB1930_5 Depth=1
	v_mad_i64_i32 v[4:5], null, v23, s4, 0
	s_delay_alu instid0(VALU_DEP_1) | instskip(NEXT) | instid1(VALU_DEP_1)
	v_lshlrev_b64 v[4:5], 3, v[4:5]
	v_add_co_u32 v4, s1, v16, v4
	s_delay_alu instid0(VALU_DEP_1)
	v_add_co_ci_u32_e64 v5, s1, v17, v5, s1
	global_load_b64 v[4:5], v[4:5], off
.LBB1930_13:                            ;   in Loop: Header=BB1930_5 Depth=1
	s_or_b32 exec_lo, exec_lo, s11
	v_mov_b32_e32 v2, 0
	s_waitcnt vmcnt(0)
	ds_store_b64 v11, v[4:5]
	s_and_saveexec_b32 s7, s10
	s_cbranch_execz .LBB1930_15
; %bb.14:                               ;   in Loop: Header=BB1930_5 Depth=1
	v_mad_i64_i32 v[2:3], null, v24, s3, 0
	s_delay_alu instid0(VALU_DEP_1) | instskip(NEXT) | instid1(VALU_DEP_1)
	v_lshlrev_b64 v[2:3], 3, v[2:3]
	v_add_co_u32 v2, s1, v18, v2
	s_delay_alu instid0(VALU_DEP_1)
	v_add_co_ci_u32_e64 v3, s1, v19, v3, s1
	global_load_b64 v[2:3], v[2:3], off
	s_waitcnt vmcnt(0)
	v_xor_b32_e32 v3, 0x80000000, v3
.LBB1930_15:                            ;   in Loop: Header=BB1930_5 Depth=1
	s_or_b32 exec_lo, exec_lo, s7
	ds_store_b64 v15, v[2:3]
	s_waitcnt lgkmcnt(0)
	s_barrier
	buffer_gl0_inv
	s_and_saveexec_b32 s1, s2
	s_cbranch_execz .LBB1930_4
; %bb.16:                               ;   in Loop: Header=BB1930_5 Depth=1
	ds_load_b128 v[2:5], v8
	ds_load_b128 v[23:26], v8 offset:16
	ds_load_b128 v[27:30], v8 offset:32
	;; [unrolled: 1-line block ×3, first 2 shown]
	ds_load_2addr_b64 v[35:38], v12 offset1:32
	s_waitcnt lgkmcnt(0)
	v_mul_f32_e32 v39, v36, v3
	v_mul_f32_e32 v3, v35, v3
	s_delay_alu instid0(VALU_DEP_2) | instskip(NEXT) | instid1(VALU_DEP_2)
	v_fma_f32 v39, v35, v2, -v39
	v_fmac_f32_e32 v3, v36, v2
	v_mul_f32_e32 v35, v38, v5
	s_delay_alu instid0(VALU_DEP_3) | instskip(NEXT) | instid1(VALU_DEP_3)
	v_dual_mul_f32 v5, v37, v5 :: v_dual_add_f32 v2, 0, v39
	v_add_f32_e32 v3, 0, v3
	s_delay_alu instid0(VALU_DEP_3) | instskip(NEXT) | instid1(VALU_DEP_3)
	v_fma_f32 v35, v37, v4, -v35
	v_fmac_f32_e32 v5, v38, v4
	s_delay_alu instid0(VALU_DEP_1) | instskip(SKIP_3) | instid1(VALU_DEP_1)
	v_dual_add_f32 v35, v2, v35 :: v_dual_add_f32 v36, v3, v5
	ds_load_2addr_b64 v[2:5], v12 offset0:64 offset1:96
	s_waitcnt lgkmcnt(0)
	v_mul_f32_e32 v37, v3, v24
	v_fma_f32 v37, v2, v23, -v37
	v_mul_f32_e32 v2, v2, v24
	s_delay_alu instid0(VALU_DEP_1) | instskip(NEXT) | instid1(VALU_DEP_1)
	v_dual_fmac_f32 v2, v3, v23 :: v_dual_mul_f32 v23, v5, v26
	v_add_f32_e32 v2, v36, v2
	s_delay_alu instid0(VALU_DEP_2) | instskip(SKIP_1) | instid1(VALU_DEP_1)
	v_fma_f32 v23, v4, v25, -v23
	v_mul_f32_e32 v4, v4, v26
	v_fmac_f32_e32 v4, v5, v25
	s_delay_alu instid0(VALU_DEP_1) | instskip(NEXT) | instid1(VALU_DEP_1)
	v_dual_add_f32 v3, v35, v37 :: v_dual_add_f32 v24, v2, v4
	v_add_f32_e32 v23, v3, v23
	ds_load_2addr_b64 v[2:5], v12 offset0:128 offset1:160
	s_waitcnt lgkmcnt(0)
	v_mul_f32_e32 v25, v3, v28
	s_delay_alu instid0(VALU_DEP_1) | instskip(SKIP_1) | instid1(VALU_DEP_1)
	v_fma_f32 v25, v2, v27, -v25
	v_mul_f32_e32 v2, v2, v28
	v_fmac_f32_e32 v2, v3, v27
	s_delay_alu instid0(VALU_DEP_1) | instskip(SKIP_1) | instid1(VALU_DEP_1)
	v_dual_add_f32 v2, v24, v2 :: v_dual_add_f32 v3, v23, v25
	v_mul_f32_e32 v23, v5, v30
	v_fma_f32 v23, v4, v29, -v23
	v_mul_f32_e32 v4, v4, v30
	s_delay_alu instid0(VALU_DEP_1) | instskip(NEXT) | instid1(VALU_DEP_1)
	v_fmac_f32_e32 v4, v5, v29
	v_dual_add_f32 v24, v2, v4 :: v_dual_add_f32 v23, v3, v23
	ds_load_2addr_b64 v[2:5], v12 offset0:192 offset1:224
	s_waitcnt lgkmcnt(0)
	v_mul_f32_e32 v25, v3, v32
	s_delay_alu instid0(VALU_DEP_1) | instskip(SKIP_1) | instid1(VALU_DEP_1)
	v_fma_f32 v25, v2, v31, -v25
	v_mul_f32_e32 v2, v2, v32
	v_fmac_f32_e32 v2, v3, v31
	s_delay_alu instid0(VALU_DEP_1) | instskip(SKIP_1) | instid1(VALU_DEP_1)
	v_dual_add_f32 v2, v24, v2 :: v_dual_add_f32 v3, v23, v25
	v_mul_f32_e32 v23, v5, v34
	v_fma_f32 v23, v4, v33, -v23
	v_mul_f32_e32 v4, v4, v34
	s_delay_alu instid0(VALU_DEP_1) | instskip(NEXT) | instid1(VALU_DEP_1)
	v_fmac_f32_e32 v4, v5, v33
	v_dual_add_f32 v28, v2, v4 :: v_dual_add_f32 v27, v3, v23
	ds_load_b128 v[2:5], v8 offset:64
	ds_load_2addr_b64 v[23:26], v20 offset1:32
	s_waitcnt lgkmcnt(0)
	v_mul_f32_e32 v29, v24, v3
	v_mul_f32_e32 v3, v23, v3
	s_delay_alu instid0(VALU_DEP_2) | instskip(SKIP_1) | instid1(VALU_DEP_3)
	v_fma_f32 v29, v23, v2, -v29
	v_mul_f32_e32 v23, v26, v5
	v_fmac_f32_e32 v3, v24, v2
	v_mul_f32_e32 v5, v25, v5
	s_delay_alu instid0(VALU_DEP_4) | instskip(NEXT) | instid1(VALU_DEP_4)
	v_add_f32_e32 v2, v27, v29
	v_fma_f32 v23, v25, v4, -v23
	s_delay_alu instid0(VALU_DEP_3) | instskip(NEXT) | instid1(VALU_DEP_2)
	v_fmac_f32_e32 v5, v26, v4
	v_add_f32_e32 v27, v2, v23
	v_add_f32_e32 v3, v28, v3
	s_delay_alu instid0(VALU_DEP_1)
	v_add_f32_e32 v28, v3, v5
	ds_load_b128 v[2:5], v8 offset:80
	ds_load_2addr_b64 v[23:26], v20 offset0:64 offset1:96
	s_waitcnt lgkmcnt(0)
	v_mul_f32_e32 v29, v24, v3
	v_mul_f32_e32 v3, v23, v3
	s_delay_alu instid0(VALU_DEP_2) | instskip(NEXT) | instid1(VALU_DEP_2)
	v_fma_f32 v29, v23, v2, -v29
	v_fmac_f32_e32 v3, v24, v2
	v_mul_f32_e32 v23, v26, v5
	v_mul_f32_e32 v5, v25, v5
	s_delay_alu instid0(VALU_DEP_3) | instskip(NEXT) | instid1(VALU_DEP_3)
	v_add_f32_e32 v3, v28, v3
	v_fma_f32 v23, v25, v4, -v23
	s_delay_alu instid0(VALU_DEP_3) | instskip(NEXT) | instid1(VALU_DEP_1)
	v_fmac_f32_e32 v5, v26, v4
	v_add_f32_e32 v28, v3, v5
	v_add_f32_e32 v2, v27, v29
	s_delay_alu instid0(VALU_DEP_1)
	v_add_f32_e32 v27, v2, v23
	ds_load_b128 v[2:5], v8 offset:96
	ds_load_2addr_b64 v[23:26], v20 offset0:128 offset1:160
	s_waitcnt lgkmcnt(0)
	v_mul_f32_e32 v29, v24, v3
	v_mul_f32_e32 v3, v23, v3
	s_delay_alu instid0(VALU_DEP_2) | instskip(NEXT) | instid1(VALU_DEP_2)
	v_fma_f32 v29, v23, v2, -v29
	v_fmac_f32_e32 v3, v24, v2
	v_mul_f32_e32 v23, v26, v5
	v_mul_f32_e32 v5, v25, v5
	s_delay_alu instid0(VALU_DEP_3) | instskip(NEXT) | instid1(VALU_DEP_3)
	v_dual_add_f32 v2, v27, v29 :: v_dual_add_f32 v3, v28, v3
	v_fma_f32 v23, v25, v4, -v23
	s_delay_alu instid0(VALU_DEP_3) | instskip(NEXT) | instid1(VALU_DEP_1)
	v_fmac_f32_e32 v5, v26, v4
	v_dual_add_f32 v27, v2, v23 :: v_dual_add_f32 v28, v3, v5
	ds_load_b128 v[2:5], v8 offset:112
	ds_load_2addr_b64 v[23:26], v20 offset0:192 offset1:224
	s_waitcnt lgkmcnt(0)
	v_mul_f32_e32 v29, v24, v3
	v_mul_f32_e32 v3, v23, v3
	s_delay_alu instid0(VALU_DEP_2) | instskip(NEXT) | instid1(VALU_DEP_2)
	v_fma_f32 v29, v23, v2, -v29
	v_fmac_f32_e32 v3, v24, v2
	v_mul_f32_e32 v23, v26, v5
	v_mul_f32_e32 v5, v25, v5
	s_delay_alu instid0(VALU_DEP_3) | instskip(NEXT) | instid1(VALU_DEP_3)
	v_dual_add_f32 v2, v27, v29 :: v_dual_add_f32 v3, v28, v3
	v_fma_f32 v23, v25, v4, -v23
	s_delay_alu instid0(VALU_DEP_3) | instskip(NEXT) | instid1(VALU_DEP_1)
	v_fmac_f32_e32 v5, v26, v4
	v_dual_add_f32 v27, v2, v23 :: v_dual_add_f32 v28, v3, v5
	ds_load_b128 v[2:5], v8 offset:128
	ds_load_2addr_b64 v[23:26], v21 offset1:32
	s_waitcnt lgkmcnt(0)
	v_mul_f32_e32 v29, v24, v3
	v_mul_f32_e32 v3, v23, v3
	s_delay_alu instid0(VALU_DEP_2) | instskip(NEXT) | instid1(VALU_DEP_2)
	v_fma_f32 v29, v23, v2, -v29
	v_fmac_f32_e32 v3, v24, v2
	v_mul_f32_e32 v23, v26, v5
	v_mul_f32_e32 v5, v25, v5
	s_delay_alu instid0(VALU_DEP_3) | instskip(NEXT) | instid1(VALU_DEP_3)
	v_dual_add_f32 v2, v27, v29 :: v_dual_add_f32 v3, v28, v3
	v_fma_f32 v23, v25, v4, -v23
	s_delay_alu instid0(VALU_DEP_3) | instskip(NEXT) | instid1(VALU_DEP_1)
	v_fmac_f32_e32 v5, v26, v4
	v_dual_add_f32 v27, v2, v23 :: v_dual_add_f32 v28, v3, v5
	ds_load_b128 v[2:5], v8 offset:144
	ds_load_2addr_b64 v[23:26], v21 offset0:64 offset1:96
	s_waitcnt lgkmcnt(0)
	v_mul_f32_e32 v29, v24, v3
	v_mul_f32_e32 v3, v23, v3
	s_delay_alu instid0(VALU_DEP_2) | instskip(NEXT) | instid1(VALU_DEP_2)
	v_fma_f32 v29, v23, v2, -v29
	v_fmac_f32_e32 v3, v24, v2
	v_mul_f32_e32 v23, v26, v5
	v_mul_f32_e32 v5, v25, v5
	s_delay_alu instid0(VALU_DEP_3) | instskip(NEXT) | instid1(VALU_DEP_3)
	v_dual_add_f32 v2, v27, v29 :: v_dual_add_f32 v3, v28, v3
	v_fma_f32 v23, v25, v4, -v23
	s_delay_alu instid0(VALU_DEP_3) | instskip(NEXT) | instid1(VALU_DEP_1)
	v_fmac_f32_e32 v5, v26, v4
	v_dual_add_f32 v27, v2, v23 :: v_dual_add_f32 v28, v3, v5
	ds_load_b128 v[2:5], v8 offset:160
	ds_load_2addr_b64 v[23:26], v21 offset0:128 offset1:160
	;; [unrolled: 16-line block ×3, first 2 shown]
	s_waitcnt lgkmcnt(0)
	v_mul_f32_e32 v29, v24, v3
	v_mul_f32_e32 v3, v23, v3
	s_delay_alu instid0(VALU_DEP_2) | instskip(NEXT) | instid1(VALU_DEP_2)
	v_fma_f32 v29, v23, v2, -v29
	v_fmac_f32_e32 v3, v24, v2
	v_mul_f32_e32 v23, v26, v5
	v_mul_f32_e32 v5, v25, v5
	s_delay_alu instid0(VALU_DEP_3) | instskip(NEXT) | instid1(VALU_DEP_3)
	v_dual_add_f32 v2, v27, v29 :: v_dual_add_f32 v3, v28, v3
	v_fma_f32 v23, v25, v4, -v23
	s_delay_alu instid0(VALU_DEP_3) | instskip(NEXT) | instid1(VALU_DEP_1)
	v_fmac_f32_e32 v5, v26, v4
	v_dual_add_f32 v27, v2, v23 :: v_dual_add_f32 v28, v3, v5
	ds_load_b128 v[2:5], v8 offset:192
	ds_load_2addr_b64 v[23:26], v22 offset1:32
	s_waitcnt lgkmcnt(0)
	v_mul_f32_e32 v29, v24, v3
	v_mul_f32_e32 v3, v23, v3
	s_delay_alu instid0(VALU_DEP_2) | instskip(NEXT) | instid1(VALU_DEP_2)
	v_fma_f32 v29, v23, v2, -v29
	v_fmac_f32_e32 v3, v24, v2
	v_mul_f32_e32 v23, v26, v5
	v_mul_f32_e32 v5, v25, v5
	s_delay_alu instid0(VALU_DEP_3) | instskip(NEXT) | instid1(VALU_DEP_3)
	v_dual_add_f32 v2, v27, v29 :: v_dual_add_f32 v3, v28, v3
	v_fma_f32 v23, v25, v4, -v23
	s_delay_alu instid0(VALU_DEP_3) | instskip(NEXT) | instid1(VALU_DEP_1)
	v_fmac_f32_e32 v5, v26, v4
	v_dual_add_f32 v27, v2, v23 :: v_dual_add_f32 v28, v3, v5
	ds_load_b128 v[2:5], v8 offset:208
	ds_load_2addr_b64 v[23:26], v22 offset0:64 offset1:96
	s_waitcnt lgkmcnt(0)
	v_mul_f32_e32 v29, v24, v3
	v_mul_f32_e32 v3, v23, v3
	s_delay_alu instid0(VALU_DEP_2) | instskip(NEXT) | instid1(VALU_DEP_2)
	v_fma_f32 v29, v23, v2, -v29
	v_fmac_f32_e32 v3, v24, v2
	v_mul_f32_e32 v23, v26, v5
	v_mul_f32_e32 v5, v25, v5
	s_delay_alu instid0(VALU_DEP_3) | instskip(NEXT) | instid1(VALU_DEP_3)
	v_dual_add_f32 v2, v27, v29 :: v_dual_add_f32 v3, v28, v3
	v_fma_f32 v23, v25, v4, -v23
	s_delay_alu instid0(VALU_DEP_3) | instskip(NEXT) | instid1(VALU_DEP_1)
	v_fmac_f32_e32 v5, v26, v4
	v_dual_add_f32 v27, v2, v23 :: v_dual_add_f32 v28, v3, v5
	ds_load_b128 v[2:5], v8 offset:224
	ds_load_2addr_b64 v[23:26], v22 offset0:128 offset1:160
	;; [unrolled: 16-line block ×3, first 2 shown]
	s_waitcnt lgkmcnt(0)
	v_mul_f32_e32 v29, v24, v3
	v_mul_f32_e32 v3, v23, v3
	s_delay_alu instid0(VALU_DEP_2) | instskip(SKIP_1) | instid1(VALU_DEP_3)
	v_fma_f32 v29, v23, v2, -v29
	v_mul_f32_e32 v23, v26, v5
	v_fmac_f32_e32 v3, v24, v2
	v_mul_f32_e32 v5, v25, v5
	s_delay_alu instid0(VALU_DEP_4) | instskip(NEXT) | instid1(VALU_DEP_4)
	v_add_f32_e32 v2, v27, v29
	v_fma_f32 v23, v25, v4, -v23
	s_delay_alu instid0(VALU_DEP_4) | instskip(NEXT) | instid1(VALU_DEP_4)
	v_add_f32_e32 v3, v28, v3
	v_fmac_f32_e32 v5, v26, v4
	s_delay_alu instid0(VALU_DEP_1) | instskip(NEXT) | instid1(VALU_DEP_1)
	v_dual_add_f32 v4, v2, v23 :: v_dual_add_f32 v3, v3, v5
	v_mul_f32_e32 v2, s8, v4
	v_mul_f32_e32 v4, s9, v4
	s_delay_alu instid0(VALU_DEP_2) | instskip(NEXT) | instid1(VALU_DEP_2)
	v_fmac_f32_e32 v2, s9, v3
	v_fma_f32 v3, s8, v3, -v4
	global_load_b64 v[4:5], v[0:1], off
	s_waitcnt vmcnt(0)
	v_dual_add_f32 v2, v4, v2 :: v_dual_add_f32 v3, v5, v3
	global_store_b64 v[0:1], v[2:3], off
	s_branch .LBB1930_4
.LBB1930_17:
	s_endpgm
	.section	.rodata,"a",@progbits
	.p2align	6, 0x0
	.amdhsa_kernel _ZL26rocblas_syr2k_her2k_kernelIiLb1ELb1ELb0ELi32EPK19rocblas_complex_numIfES3_PS1_EvbiT_T4_T5_S5_lS7_S5_lT6_S5_li
		.amdhsa_group_segment_fixed_size 16384
		.amdhsa_private_segment_fixed_size 0
		.amdhsa_kernarg_size 100
		.amdhsa_user_sgpr_count 13
		.amdhsa_user_sgpr_dispatch_ptr 0
		.amdhsa_user_sgpr_queue_ptr 0
		.amdhsa_user_sgpr_kernarg_segment_ptr 1
		.amdhsa_user_sgpr_dispatch_id 0
		.amdhsa_user_sgpr_private_segment_size 0
		.amdhsa_wavefront_size32 1
		.amdhsa_uses_dynamic_stack 0
		.amdhsa_enable_private_segment 0
		.amdhsa_system_sgpr_workgroup_id_x 1
		.amdhsa_system_sgpr_workgroup_id_y 1
		.amdhsa_system_sgpr_workgroup_id_z 1
		.amdhsa_system_sgpr_workgroup_info 0
		.amdhsa_system_vgpr_workitem_id 1
		.amdhsa_next_free_vgpr 42
		.amdhsa_next_free_sgpr 24
		.amdhsa_reserve_vcc 1
		.amdhsa_float_round_mode_32 0
		.amdhsa_float_round_mode_16_64 0
		.amdhsa_float_denorm_mode_32 3
		.amdhsa_float_denorm_mode_16_64 3
		.amdhsa_dx10_clamp 1
		.amdhsa_ieee_mode 1
		.amdhsa_fp16_overflow 0
		.amdhsa_workgroup_processor_mode 1
		.amdhsa_memory_ordered 1
		.amdhsa_forward_progress 0
		.amdhsa_shared_vgpr_count 0
		.amdhsa_exception_fp_ieee_invalid_op 0
		.amdhsa_exception_fp_denorm_src 0
		.amdhsa_exception_fp_ieee_div_zero 0
		.amdhsa_exception_fp_ieee_overflow 0
		.amdhsa_exception_fp_ieee_underflow 0
		.amdhsa_exception_fp_ieee_inexact 0
		.amdhsa_exception_int_div_zero 0
	.end_amdhsa_kernel
	.section	.text._ZL26rocblas_syr2k_her2k_kernelIiLb1ELb1ELb0ELi32EPK19rocblas_complex_numIfES3_PS1_EvbiT_T4_T5_S5_lS7_S5_lT6_S5_li,"axG",@progbits,_ZL26rocblas_syr2k_her2k_kernelIiLb1ELb1ELb0ELi32EPK19rocblas_complex_numIfES3_PS1_EvbiT_T4_T5_S5_lS7_S5_lT6_S5_li,comdat
.Lfunc_end1930:
	.size	_ZL26rocblas_syr2k_her2k_kernelIiLb1ELb1ELb0ELi32EPK19rocblas_complex_numIfES3_PS1_EvbiT_T4_T5_S5_lS7_S5_lT6_S5_li, .Lfunc_end1930-_ZL26rocblas_syr2k_her2k_kernelIiLb1ELb1ELb0ELi32EPK19rocblas_complex_numIfES3_PS1_EvbiT_T4_T5_S5_lS7_S5_lT6_S5_li
                                        ; -- End function
	.section	.AMDGPU.csdata,"",@progbits
; Kernel info:
; codeLenInByte = 4024
; NumSgprs: 26
; NumVgprs: 42
; ScratchSize: 0
; MemoryBound: 0
; FloatMode: 240
; IeeeMode: 1
; LDSByteSize: 16384 bytes/workgroup (compile time only)
; SGPRBlocks: 3
; VGPRBlocks: 5
; NumSGPRsForWavesPerEU: 26
; NumVGPRsForWavesPerEU: 42
; Occupancy: 16
; WaveLimiterHint : 0
; COMPUTE_PGM_RSRC2:SCRATCH_EN: 0
; COMPUTE_PGM_RSRC2:USER_SGPR: 13
; COMPUTE_PGM_RSRC2:TRAP_HANDLER: 0
; COMPUTE_PGM_RSRC2:TGID_X_EN: 1
; COMPUTE_PGM_RSRC2:TGID_Y_EN: 1
; COMPUTE_PGM_RSRC2:TGID_Z_EN: 1
; COMPUTE_PGM_RSRC2:TIDIG_COMP_CNT: 1
	.section	.text._ZL26rocblas_syr2k_her2k_kernelIiLb1ELb1ELb1ELi32EPK19rocblas_complex_numIfES3_PS1_EvbiT_T4_T5_S5_lS7_S5_lT6_S5_li,"axG",@progbits,_ZL26rocblas_syr2k_her2k_kernelIiLb1ELb1ELb1ELi32EPK19rocblas_complex_numIfES3_PS1_EvbiT_T4_T5_S5_lS7_S5_lT6_S5_li,comdat
	.globl	_ZL26rocblas_syr2k_her2k_kernelIiLb1ELb1ELb1ELi32EPK19rocblas_complex_numIfES3_PS1_EvbiT_T4_T5_S5_lS7_S5_lT6_S5_li ; -- Begin function _ZL26rocblas_syr2k_her2k_kernelIiLb1ELb1ELb1ELi32EPK19rocblas_complex_numIfES3_PS1_EvbiT_T4_T5_S5_lS7_S5_lT6_S5_li
	.p2align	8
	.type	_ZL26rocblas_syr2k_her2k_kernelIiLb1ELb1ELb1ELi32EPK19rocblas_complex_numIfES3_PS1_EvbiT_T4_T5_S5_lS7_S5_lT6_S5_li,@function
_ZL26rocblas_syr2k_her2k_kernelIiLb1ELb1ELb1ELi32EPK19rocblas_complex_numIfES3_PS1_EvbiT_T4_T5_S5_lS7_S5_lT6_S5_li: ; @_ZL26rocblas_syr2k_her2k_kernelIiLb1ELb1ELb1ELi32EPK19rocblas_complex_numIfES3_PS1_EvbiT_T4_T5_S5_lS7_S5_lT6_S5_li
; %bb.0:
	s_load_b128 s[8:11], s[0:1], 0x10
	s_waitcnt lgkmcnt(0)
	s_load_b64 s[8:9], s[8:9], 0x0
	s_waitcnt lgkmcnt(0)
	v_cmp_eq_f32_e64 s2, s8, 0
	v_cmp_eq_f32_e64 s3, s9, 0
	s_delay_alu instid0(VALU_DEP_1) | instskip(NEXT) | instid1(SALU_CYCLE_1)
	s_and_b32 s2, s2, s3
	s_and_b32 vcc_lo, exec_lo, s2
	s_cbranch_vccnz .LBB1931_17
; %bb.1:
	s_load_b128 s[4:7], s[0:1], 0x0
	s_lshl_b32 s2, s14, 5
	s_lshl_b32 s3, s13, 5
	s_waitcnt lgkmcnt(0)
	s_and_b32 s4, 1, s4
	s_delay_alu instid0(SALU_CYCLE_1) | instskip(SKIP_1) | instid1(SALU_CYCLE_1)
	s_cmp_eq_u32 s4, 1
	s_cselect_b32 vcc_lo, -1, 0
	s_and_b32 s4, vcc_lo, exec_lo
	s_cselect_b32 s4, s3, s2
	s_cselect_b32 s7, s2, s3
	s_delay_alu instid0(SALU_CYCLE_1)
	s_cmp_gt_i32 s4, s7
	s_cbranch_scc1 .LBB1931_17
; %bb.2:
	s_cmp_lt_i32 s6, 1
	s_cbranch_scc1 .LBB1931_17
; %bb.3:
	s_clause 0x5
	s_load_b128 s[20:23], s[0:1], 0x28
	s_load_b128 s[16:19], s[0:1], 0x40
	s_load_b32 s4, s[0:1], 0x20
	s_load_b32 s7, s[0:1], 0x38
	;; [unrolled: 1-line block ×3, first 2 shown]
	s_load_b64 s[12:13], s[0:1], 0x58
	v_and_b32_e32 v9, 0x3ff, v0
	v_bfe_u32 v10, v0, 10, 10
	s_delay_alu instid0(VALU_DEP_2) | instskip(NEXT) | instid1(VALU_DEP_2)
	v_add_nc_u32_e32 v0, s3, v9
	v_add_nc_u32_e32 v8, s2, v10
	v_lshlrev_b32_e32 v15, 3, v10
	v_lshlrev_b32_e32 v11, 8, v9
	s_delay_alu instid0(VALU_DEP_4) | instskip(NEXT) | instid1(VALU_DEP_4)
	v_ashrrev_i32_e32 v1, 31, v0
	v_cndmask_b32_e32 v6, v0, v8, vcc_lo
	s_delay_alu instid0(VALU_DEP_3)
	v_dual_cndmask_b32 v7, v8, v0 :: v_dual_add_nc_u32 v14, v11, v15
	v_cmp_gt_i32_e32 vcc_lo, s5, v0
	v_or_b32_e32 v15, 0x2000, v15
	s_waitcnt lgkmcnt(0)
	s_mul_i32 s1, s15, s21
	s_mul_hi_u32 s3, s15, s20
	s_mul_i32 s0, s15, s20
	s_add_i32 s1, s3, s1
	v_mad_i64_i32 v[2:3], null, s4, v0, 0
	s_lshl_b64 s[0:1], s[0:1], 3
	s_mul_i32 s17, s15, s17
	s_mul_hi_u32 s20, s15, s16
	s_add_u32 s10, s10, s0
	s_mul_i32 s2, s15, s16
	s_addc_u32 s11, s11, s1
	s_add_i32 s3, s20, s17
	s_mul_i32 s13, s15, s13
	s_lshl_b64 s[0:1], s[2:3], 3
	s_mul_hi_u32 s16, s15, s12
	v_lshlrev_b64 v[2:3], 3, v[2:3]
	v_mad_i64_i32 v[4:5], null, s7, v8, 0
	s_mul_i32 s2, s15, s12
	s_add_u32 s12, s22, s0
	s_addc_u32 s15, s23, s1
	s_add_i32 s3, s16, s13
	v_add_nc_u32_e32 v18, v15, v11
	s_lshl_b64 s[0:1], s[2:3], 3
	v_add_nc_u32_e32 v23, 0x800, v15
	s_add_u32 s2, s18, s0
	v_add_co_u32 v12, s0, s10, v2
	s_delay_alu instid0(VALU_DEP_1)
	v_add_co_ci_u32_e64 v13, s0, s11, v3, s0
	v_lshlrev_b64 v[2:3], 3, v[4:5]
	v_mad_i64_i32 v[4:5], null, s14, v8, 0
	s_addc_u32 s3, s19, s1
	v_cmp_gt_i32_e64 s0, s5, v8
	v_add_nc_u32_e32 v24, 0x1000, v15
	s_delay_alu instid0(VALU_DEP_4) | instskip(NEXT) | instid1(VALU_DEP_1)
	v_add_co_u32 v16, s1, s12, v2
	v_add_co_ci_u32_e64 v17, s1, s15, v3, s1
	v_lshlrev_b64 v[2:3], 3, v[4:5]
	v_mad_i64_i32 v[4:5], null, s7, v0, 0
	v_cmp_le_i32_e64 s1, v7, v6
	v_mad_i64_i32 v[6:7], null, s4, v8, 0
	v_lshlrev_b64 v[0:1], 3, v[0:1]
	v_add_co_u32 v8, s2, s2, v2
	s_delay_alu instid0(VALU_DEP_1) | instskip(SKIP_1) | instid1(VALU_DEP_3)
	v_add_co_ci_u32_e64 v19, s2, s3, v3, s2
	v_lshlrev_b64 v[2:3], 3, v[4:5]
	v_add_co_u32 v0, s2, v8, v0
	v_lshlrev_b64 v[4:5], 3, v[6:7]
	s_delay_alu instid0(VALU_DEP_4) | instskip(NEXT) | instid1(VALU_DEP_4)
	v_add_co_ci_u32_e64 v1, s2, v19, v1, s2
	v_add_co_u32 v19, s2, s12, v2
	s_delay_alu instid0(VALU_DEP_1) | instskip(NEXT) | instid1(VALU_DEP_4)
	v_add_co_ci_u32_e64 v20, s2, s15, v3, s2
	v_add_co_u32 v21, s2, s10, v4
	s_delay_alu instid0(VALU_DEP_1)
	v_add_co_ci_u32_e64 v22, s2, s11, v5, s2
	v_add_nc_u32_e32 v25, 0x1800, v15
	s_and_b32 s5, s0, vcc_lo
	s_mov_b32 s3, 0
	s_and_b32 s2, s5, s1
	s_branch .LBB1931_5
.LBB1931_4:                             ;   in Loop: Header=BB1931_5 Depth=1
	s_or_b32 exec_lo, exec_lo, s1
	s_add_i32 s3, s3, 32
	s_waitcnt_vscnt null, 0x0
	s_cmp_lt_i32 s3, s6
	s_barrier
	buffer_gl0_inv
	s_cbranch_scc0 .LBB1931_17
.LBB1931_5:                             ; =>This Inner Loop Header: Depth=1
	v_dual_mov_b32 v5, 0 :: v_dual_add_nc_u32 v2, s3, v10
	v_dual_mov_b32 v7, 0 :: v_dual_mov_b32 v8, 0
	s_delay_alu instid0(VALU_DEP_2) | instskip(NEXT) | instid1(VALU_DEP_1)
	v_cmp_gt_i32_e64 s1, s6, v2
	s_and_b32 s4, vcc_lo, s1
	s_delay_alu instid0(SALU_CYCLE_1)
	s_and_saveexec_b32 s5, s4
	s_cbranch_execz .LBB1931_7
; %bb.6:                                ;   in Loop: Header=BB1931_5 Depth=1
	v_ashrrev_i32_e32 v3, 31, v2
	s_delay_alu instid0(VALU_DEP_1) | instskip(NEXT) | instid1(VALU_DEP_1)
	v_lshlrev_b64 v[3:4], 3, v[2:3]
	v_add_co_u32 v3, s1, v12, v3
	s_delay_alu instid0(VALU_DEP_1)
	v_add_co_ci_u32_e64 v4, s1, v13, v4, s1
	global_load_b64 v[7:8], v[3:4], off
	s_waitcnt vmcnt(0)
	v_xor_b32_e32 v8, 0x80000000, v8
.LBB1931_7:                             ;   in Loop: Header=BB1931_5 Depth=1
	s_or_b32 exec_lo, exec_lo, s5
	v_add_nc_u32_e32 v4, s3, v9
	v_mov_b32_e32 v6, 0
	ds_store_b64 v14, v[7:8]
	v_cmp_gt_i32_e64 s1, s6, v4
	s_delay_alu instid0(VALU_DEP_1) | instskip(NEXT) | instid1(SALU_CYCLE_1)
	s_and_b32 s5, s0, s1
	s_and_saveexec_b32 s7, s5
	s_cbranch_execz .LBB1931_9
; %bb.8:                                ;   in Loop: Header=BB1931_5 Depth=1
	v_ashrrev_i32_e32 v5, 31, v4
	s_delay_alu instid0(VALU_DEP_1) | instskip(NEXT) | instid1(VALU_DEP_1)
	v_lshlrev_b64 v[5:6], 3, v[4:5]
	v_add_co_u32 v5, s1, v16, v5
	s_delay_alu instid0(VALU_DEP_1)
	v_add_co_ci_u32_e64 v6, s1, v17, v6, s1
	global_load_b64 v[5:6], v[5:6], off
.LBB1931_9:                             ;   in Loop: Header=BB1931_5 Depth=1
	s_or_b32 exec_lo, exec_lo, s7
	s_waitcnt vmcnt(0)
	ds_store_b64 v18, v[5:6]
	s_waitcnt lgkmcnt(0)
	s_barrier
	buffer_gl0_inv
	s_and_saveexec_b32 s1, s2
	s_cbranch_execz .LBB1931_11
; %bb.10:                               ;   in Loop: Header=BB1931_5 Depth=1
	ds_load_b128 v[5:8], v11
	ds_load_b128 v[26:29], v11 offset:16
	ds_load_b128 v[30:33], v11 offset:32
	;; [unrolled: 1-line block ×3, first 2 shown]
	ds_load_2addr_b64 v[38:41], v15 offset1:32
	s_waitcnt lgkmcnt(0)
	v_mul_f32_e32 v3, v39, v6
	s_delay_alu instid0(VALU_DEP_1) | instskip(NEXT) | instid1(VALU_DEP_1)
	v_fma_f32 v3, v38, v5, -v3
	v_dual_mul_f32 v6, v38, v6 :: v_dual_add_f32 v3, 0, v3
	s_delay_alu instid0(VALU_DEP_1) | instskip(NEXT) | instid1(VALU_DEP_1)
	v_fmac_f32_e32 v6, v39, v5
	v_dual_add_f32 v5, 0, v6 :: v_dual_mul_f32 v6, v41, v8
	v_mul_f32_e32 v8, v40, v8
	s_delay_alu instid0(VALU_DEP_2) | instskip(NEXT) | instid1(VALU_DEP_1)
	v_fma_f32 v6, v40, v7, -v6
	v_dual_fmac_f32 v8, v41, v7 :: v_dual_add_f32 v3, v3, v6
	s_delay_alu instid0(VALU_DEP_1) | instskip(SKIP_3) | instid1(VALU_DEP_1)
	v_add_f32_e32 v38, v5, v8
	ds_load_2addr_b64 v[5:8], v15 offset0:64 offset1:96
	s_waitcnt lgkmcnt(0)
	v_mul_f32_e32 v39, v6, v27
	v_fma_f32 v39, v5, v26, -v39
	v_mul_f32_e32 v5, v5, v27
	s_delay_alu instid0(VALU_DEP_2) | instskip(NEXT) | instid1(VALU_DEP_2)
	v_add_f32_e32 v3, v3, v39
	v_dual_fmac_f32 v5, v6, v26 :: v_dual_mul_f32 v6, v8, v29
	s_delay_alu instid0(VALU_DEP_1) | instskip(NEXT) | instid1(VALU_DEP_2)
	v_add_f32_e32 v5, v38, v5
	v_fma_f32 v6, v7, v28, -v6
	v_mul_f32_e32 v7, v7, v29
	s_delay_alu instid0(VALU_DEP_1) | instskip(NEXT) | instid1(VALU_DEP_1)
	v_fmac_f32_e32 v7, v8, v28
	v_dual_add_f32 v3, v3, v6 :: v_dual_add_f32 v26, v5, v7
	ds_load_2addr_b64 v[5:8], v15 offset0:128 offset1:160
	s_waitcnt lgkmcnt(0)
	v_mul_f32_e32 v27, v6, v31
	s_delay_alu instid0(VALU_DEP_1) | instskip(SKIP_1) | instid1(VALU_DEP_2)
	v_fma_f32 v27, v5, v30, -v27
	v_mul_f32_e32 v5, v5, v31
	v_add_f32_e32 v3, v3, v27
	s_delay_alu instid0(VALU_DEP_2) | instskip(NEXT) | instid1(VALU_DEP_1)
	v_dual_fmac_f32 v5, v6, v30 :: v_dual_mul_f32 v6, v8, v33
	v_add_f32_e32 v5, v26, v5
	s_delay_alu instid0(VALU_DEP_2) | instskip(SKIP_1) | instid1(VALU_DEP_1)
	v_fma_f32 v6, v7, v32, -v6
	v_mul_f32_e32 v7, v7, v33
	v_fmac_f32_e32 v7, v8, v32
	s_delay_alu instid0(VALU_DEP_1) | instskip(SKIP_3) | instid1(VALU_DEP_1)
	v_dual_add_f32 v3, v3, v6 :: v_dual_add_f32 v26, v5, v7
	ds_load_2addr_b64 v[5:8], v15 offset0:192 offset1:224
	s_waitcnt lgkmcnt(0)
	v_mul_f32_e32 v27, v6, v35
	v_fma_f32 v27, v5, v34, -v27
	v_mul_f32_e32 v5, v5, v35
	s_delay_alu instid0(VALU_DEP_2) | instskip(NEXT) | instid1(VALU_DEP_2)
	v_add_f32_e32 v3, v3, v27
	v_dual_fmac_f32 v5, v6, v34 :: v_dual_mul_f32 v6, v8, v37
	s_delay_alu instid0(VALU_DEP_1) | instskip(NEXT) | instid1(VALU_DEP_2)
	v_add_f32_e32 v5, v26, v5
	v_fma_f32 v6, v7, v36, -v6
	v_mul_f32_e32 v7, v7, v37
	s_delay_alu instid0(VALU_DEP_1) | instskip(NEXT) | instid1(VALU_DEP_1)
	v_fmac_f32_e32 v7, v8, v36
	v_dual_add_f32 v3, v3, v6 :: v_dual_add_f32 v30, v5, v7
	ds_load_b128 v[5:8], v11 offset:64
	ds_load_2addr_b64 v[26:29], v23 offset1:32
	s_waitcnt lgkmcnt(0)
	v_mul_f32_e32 v31, v27, v6
	v_mul_f32_e32 v6, v26, v6
	s_delay_alu instid0(VALU_DEP_2) | instskip(NEXT) | instid1(VALU_DEP_2)
	v_fma_f32 v31, v26, v5, -v31
	v_fmac_f32_e32 v6, v27, v5
	s_delay_alu instid0(VALU_DEP_2) | instskip(NEXT) | instid1(VALU_DEP_2)
	v_add_f32_e32 v3, v3, v31
	v_dual_add_f32 v5, v30, v6 :: v_dual_mul_f32 v6, v29, v8
	v_mul_f32_e32 v8, v28, v8
	s_delay_alu instid0(VALU_DEP_2) | instskip(NEXT) | instid1(VALU_DEP_1)
	v_fma_f32 v6, v28, v7, -v6
	v_dual_fmac_f32 v8, v29, v7 :: v_dual_add_f32 v3, v3, v6
	s_delay_alu instid0(VALU_DEP_1)
	v_add_f32_e32 v30, v5, v8
	ds_load_b128 v[5:8], v11 offset:80
	ds_load_2addr_b64 v[26:29], v23 offset0:64 offset1:96
	s_waitcnt lgkmcnt(0)
	v_mul_f32_e32 v31, v27, v6
	v_mul_f32_e32 v6, v26, v6
	s_delay_alu instid0(VALU_DEP_2) | instskip(NEXT) | instid1(VALU_DEP_2)
	v_fma_f32 v31, v26, v5, -v31
	v_fmac_f32_e32 v6, v27, v5
	s_delay_alu instid0(VALU_DEP_2) | instskip(NEXT) | instid1(VALU_DEP_2)
	v_add_f32_e32 v3, v3, v31
	v_dual_add_f32 v5, v30, v6 :: v_dual_mul_f32 v6, v29, v8
	v_mul_f32_e32 v8, v28, v8
	s_delay_alu instid0(VALU_DEP_2) | instskip(NEXT) | instid1(VALU_DEP_1)
	v_fma_f32 v6, v28, v7, -v6
	v_dual_fmac_f32 v8, v29, v7 :: v_dual_add_f32 v3, v3, v6
	s_delay_alu instid0(VALU_DEP_1)
	v_add_f32_e32 v30, v5, v8
	ds_load_b128 v[5:8], v11 offset:96
	ds_load_2addr_b64 v[26:29], v23 offset0:128 offset1:160
	;; [unrolled: 17-line block ×3, first 2 shown]
	s_waitcnt lgkmcnt(0)
	v_mul_f32_e32 v31, v27, v6
	v_mul_f32_e32 v6, v26, v6
	s_delay_alu instid0(VALU_DEP_2) | instskip(NEXT) | instid1(VALU_DEP_2)
	v_fma_f32 v31, v26, v5, -v31
	v_fmac_f32_e32 v6, v27, v5
	s_delay_alu instid0(VALU_DEP_2) | instskip(NEXT) | instid1(VALU_DEP_2)
	v_add_f32_e32 v3, v3, v31
	v_dual_add_f32 v5, v30, v6 :: v_dual_mul_f32 v6, v29, v8
	v_mul_f32_e32 v8, v28, v8
	s_delay_alu instid0(VALU_DEP_2) | instskip(NEXT) | instid1(VALU_DEP_1)
	v_fma_f32 v6, v28, v7, -v6
	v_dual_fmac_f32 v8, v29, v7 :: v_dual_add_f32 v3, v3, v6
	s_delay_alu instid0(VALU_DEP_1)
	v_add_f32_e32 v30, v5, v8
	ds_load_b128 v[5:8], v11 offset:128
	ds_load_2addr_b64 v[26:29], v24 offset1:32
	s_waitcnt lgkmcnt(0)
	v_mul_f32_e32 v31, v27, v6
	v_mul_f32_e32 v6, v26, v6
	s_delay_alu instid0(VALU_DEP_2) | instskip(NEXT) | instid1(VALU_DEP_2)
	v_fma_f32 v31, v26, v5, -v31
	v_fmac_f32_e32 v6, v27, v5
	s_delay_alu instid0(VALU_DEP_2) | instskip(NEXT) | instid1(VALU_DEP_2)
	v_add_f32_e32 v3, v3, v31
	v_dual_add_f32 v5, v30, v6 :: v_dual_mul_f32 v6, v29, v8
	v_mul_f32_e32 v8, v28, v8
	s_delay_alu instid0(VALU_DEP_2) | instskip(NEXT) | instid1(VALU_DEP_1)
	v_fma_f32 v6, v28, v7, -v6
	v_dual_fmac_f32 v8, v29, v7 :: v_dual_add_f32 v3, v3, v6
	s_delay_alu instid0(VALU_DEP_1)
	v_add_f32_e32 v30, v5, v8
	ds_load_b128 v[5:8], v11 offset:144
	ds_load_2addr_b64 v[26:29], v24 offset0:64 offset1:96
	s_waitcnt lgkmcnt(0)
	v_mul_f32_e32 v31, v27, v6
	v_mul_f32_e32 v6, v26, v6
	s_delay_alu instid0(VALU_DEP_2) | instskip(NEXT) | instid1(VALU_DEP_2)
	v_fma_f32 v31, v26, v5, -v31
	v_fmac_f32_e32 v6, v27, v5
	s_delay_alu instid0(VALU_DEP_2) | instskip(NEXT) | instid1(VALU_DEP_2)
	v_add_f32_e32 v3, v3, v31
	v_dual_add_f32 v5, v30, v6 :: v_dual_mul_f32 v6, v29, v8
	v_mul_f32_e32 v8, v28, v8
	s_delay_alu instid0(VALU_DEP_2) | instskip(NEXT) | instid1(VALU_DEP_1)
	v_fma_f32 v6, v28, v7, -v6
	v_dual_fmac_f32 v8, v29, v7 :: v_dual_add_f32 v3, v3, v6
	s_delay_alu instid0(VALU_DEP_1)
	v_add_f32_e32 v30, v5, v8
	ds_load_b128 v[5:8], v11 offset:160
	ds_load_2addr_b64 v[26:29], v24 offset0:128 offset1:160
	;; [unrolled: 17-line block ×3, first 2 shown]
	s_waitcnt lgkmcnt(0)
	v_mul_f32_e32 v31, v27, v6
	v_mul_f32_e32 v6, v26, v6
	s_delay_alu instid0(VALU_DEP_2) | instskip(NEXT) | instid1(VALU_DEP_2)
	v_fma_f32 v31, v26, v5, -v31
	v_fmac_f32_e32 v6, v27, v5
	s_delay_alu instid0(VALU_DEP_1) | instskip(SKIP_1) | instid1(VALU_DEP_2)
	v_dual_add_f32 v5, v30, v6 :: v_dual_mul_f32 v6, v29, v8
	v_mul_f32_e32 v8, v28, v8
	v_fma_f32 v6, v28, v7, -v6
	s_delay_alu instid0(VALU_DEP_2) | instskip(NEXT) | instid1(VALU_DEP_1)
	v_fmac_f32_e32 v8, v29, v7
	v_dual_add_f32 v30, v5, v8 :: v_dual_add_f32 v3, v3, v31
	s_delay_alu instid0(VALU_DEP_1)
	v_add_f32_e32 v3, v3, v6
	ds_load_b128 v[5:8], v11 offset:192
	ds_load_2addr_b64 v[26:29], v25 offset1:32
	s_waitcnt lgkmcnt(0)
	v_mul_f32_e32 v31, v27, v6
	v_mul_f32_e32 v6, v26, v6
	s_delay_alu instid0(VALU_DEP_2) | instskip(NEXT) | instid1(VALU_DEP_2)
	v_fma_f32 v31, v26, v5, -v31
	v_fmac_f32_e32 v6, v27, v5
	s_delay_alu instid0(VALU_DEP_1) | instskip(SKIP_1) | instid1(VALU_DEP_2)
	v_dual_add_f32 v5, v30, v6 :: v_dual_mul_f32 v6, v29, v8
	v_mul_f32_e32 v8, v28, v8
	v_fma_f32 v6, v28, v7, -v6
	s_delay_alu instid0(VALU_DEP_2) | instskip(NEXT) | instid1(VALU_DEP_1)
	v_fmac_f32_e32 v8, v29, v7
	v_dual_add_f32 v30, v5, v8 :: v_dual_add_f32 v3, v3, v31
	s_delay_alu instid0(VALU_DEP_1)
	v_add_f32_e32 v3, v3, v6
	ds_load_b128 v[5:8], v11 offset:208
	ds_load_2addr_b64 v[26:29], v25 offset0:64 offset1:96
	s_waitcnt lgkmcnt(0)
	v_mul_f32_e32 v31, v27, v6
	v_mul_f32_e32 v6, v26, v6
	s_delay_alu instid0(VALU_DEP_2) | instskip(NEXT) | instid1(VALU_DEP_2)
	v_fma_f32 v31, v26, v5, -v31
	v_fmac_f32_e32 v6, v27, v5
	s_delay_alu instid0(VALU_DEP_1) | instskip(SKIP_1) | instid1(VALU_DEP_2)
	v_dual_add_f32 v5, v30, v6 :: v_dual_mul_f32 v6, v29, v8
	v_mul_f32_e32 v8, v28, v8
	v_fma_f32 v6, v28, v7, -v6
	s_delay_alu instid0(VALU_DEP_2) | instskip(NEXT) | instid1(VALU_DEP_1)
	v_fmac_f32_e32 v8, v29, v7
	v_dual_add_f32 v3, v3, v31 :: v_dual_add_f32 v30, v5, v8
	s_delay_alu instid0(VALU_DEP_1)
	v_add_f32_e32 v3, v3, v6
	ds_load_b128 v[5:8], v11 offset:224
	ds_load_2addr_b64 v[26:29], v25 offset0:128 offset1:160
	s_waitcnt lgkmcnt(0)
	v_mul_f32_e32 v31, v27, v6
	v_mul_f32_e32 v6, v26, v6
	s_delay_alu instid0(VALU_DEP_2) | instskip(NEXT) | instid1(VALU_DEP_2)
	v_fma_f32 v31, v26, v5, -v31
	v_fmac_f32_e32 v6, v27, v5
	s_delay_alu instid0(VALU_DEP_1) | instskip(SKIP_1) | instid1(VALU_DEP_2)
	v_dual_add_f32 v5, v30, v6 :: v_dual_mul_f32 v6, v29, v8
	v_mul_f32_e32 v8, v28, v8
	v_fma_f32 v6, v28, v7, -v6
	s_delay_alu instid0(VALU_DEP_2) | instskip(NEXT) | instid1(VALU_DEP_1)
	v_fmac_f32_e32 v8, v29, v7
	v_dual_add_f32 v3, v3, v31 :: v_dual_add_f32 v30, v5, v8
	s_delay_alu instid0(VALU_DEP_1) | instskip(SKIP_4) | instid1(VALU_DEP_1)
	v_add_f32_e32 v3, v3, v6
	ds_load_b128 v[5:8], v11 offset:240
	ds_load_2addr_b64 v[26:29], v25 offset0:192 offset1:224
	s_waitcnt lgkmcnt(0)
	v_mul_f32_e32 v31, v27, v6
	v_fma_f32 v31, v26, v5, -v31
	v_mul_f32_e32 v6, v26, v6
	s_delay_alu instid0(VALU_DEP_1) | instskip(NEXT) | instid1(VALU_DEP_1)
	v_fmac_f32_e32 v6, v27, v5
	v_dual_add_f32 v5, v30, v6 :: v_dual_mul_f32 v6, v29, v8
	s_delay_alu instid0(VALU_DEP_4) | instskip(NEXT) | instid1(VALU_DEP_2)
	v_dual_mul_f32 v8, v28, v8 :: v_dual_add_f32 v3, v3, v31
	v_fma_f32 v6, v28, v7, -v6
	s_delay_alu instid0(VALU_DEP_2) | instskip(NEXT) | instid1(VALU_DEP_1)
	v_fmac_f32_e32 v8, v29, v7
	v_dual_add_f32 v5, v5, v8 :: v_dual_add_f32 v6, v3, v6
	s_delay_alu instid0(VALU_DEP_1) | instskip(NEXT) | instid1(VALU_DEP_1)
	v_mul_f32_e32 v3, s9, v5
	v_fma_f32 v3, s8, v6, -v3
	v_mul_f32_e32 v5, s8, v5
	s_delay_alu instid0(VALU_DEP_1)
	v_fmac_f32_e32 v5, s9, v6
	global_load_b64 v[6:7], v[0:1], off
	s_waitcnt vmcnt(0)
	v_dual_add_f32 v6, v6, v3 :: v_dual_add_f32 v7, v7, v5
	global_store_b64 v[0:1], v[6:7], off
.LBB1931_11:                            ;   in Loop: Header=BB1931_5 Depth=1
	s_or_b32 exec_lo, exec_lo, s1
	v_dual_mov_b32 v6, 0 :: v_dual_mov_b32 v7, 0
	v_mov_b32_e32 v8, 0
	s_waitcnt_vscnt null, 0x0
	s_barrier
	buffer_gl0_inv
	s_and_saveexec_b32 s7, s4
	s_cbranch_execz .LBB1931_13
; %bb.12:                               ;   in Loop: Header=BB1931_5 Depth=1
	v_ashrrev_i32_e32 v3, 31, v2
	s_delay_alu instid0(VALU_DEP_1) | instskip(NEXT) | instid1(VALU_DEP_1)
	v_lshlrev_b64 v[2:3], 3, v[2:3]
	v_add_co_u32 v2, s1, v19, v2
	s_delay_alu instid0(VALU_DEP_1)
	v_add_co_ci_u32_e64 v3, s1, v20, v3, s1
	global_load_b64 v[7:8], v[2:3], off
	s_waitcnt vmcnt(0)
	v_xor_b32_e32 v8, 0x80000000, v8
.LBB1931_13:                            ;   in Loop: Header=BB1931_5 Depth=1
	s_or_b32 exec_lo, exec_lo, s7
	v_mov_b32_e32 v5, 0
	ds_store_b64 v14, v[7:8]
	s_and_saveexec_b32 s4, s5
	s_cbranch_execz .LBB1931_15
; %bb.14:                               ;   in Loop: Header=BB1931_5 Depth=1
	v_ashrrev_i32_e32 v5, 31, v4
	s_delay_alu instid0(VALU_DEP_1) | instskip(NEXT) | instid1(VALU_DEP_1)
	v_lshlrev_b64 v[2:3], 3, v[4:5]
	v_add_co_u32 v2, s1, v21, v2
	s_delay_alu instid0(VALU_DEP_1)
	v_add_co_ci_u32_e64 v3, s1, v22, v3, s1
	global_load_b64 v[5:6], v[2:3], off
.LBB1931_15:                            ;   in Loop: Header=BB1931_5 Depth=1
	s_or_b32 exec_lo, exec_lo, s4
	s_waitcnt vmcnt(0)
	ds_store_b64 v18, v[5:6]
	s_waitcnt lgkmcnt(0)
	s_barrier
	buffer_gl0_inv
	s_and_saveexec_b32 s1, s2
	s_cbranch_execz .LBB1931_4
; %bb.16:                               ;   in Loop: Header=BB1931_5 Depth=1
	ds_load_b128 v[2:5], v11
	ds_load_b128 v[26:29], v11 offset:16
	ds_load_b128 v[30:33], v11 offset:32
	;; [unrolled: 1-line block ×3, first 2 shown]
	ds_load_2addr_b64 v[38:41], v15 offset1:32
	s_waitcnt lgkmcnt(0)
	v_mul_f32_e32 v6, v39, v3
	s_delay_alu instid0(VALU_DEP_1) | instskip(SKIP_1) | instid1(VALU_DEP_1)
	v_fma_f32 v6, v38, v2, -v6
	v_mul_f32_e32 v3, v38, v3
	v_fmac_f32_e32 v3, v39, v2
	s_delay_alu instid0(VALU_DEP_3) | instskip(SKIP_2) | instid1(VALU_DEP_2)
	v_add_f32_e32 v2, 0, v6
	v_mul_f32_e32 v6, v41, v5
	v_mul_f32_e32 v5, v40, v5
	v_fma_f32 v6, v40, v4, -v6
	v_add_f32_e32 v3, 0, v3
	s_delay_alu instid0(VALU_DEP_2) | instskip(NEXT) | instid1(VALU_DEP_1)
	v_dual_fmac_f32 v5, v41, v4 :: v_dual_add_f32 v6, v2, v6
	v_add_f32_e32 v7, v3, v5
	ds_load_2addr_b64 v[2:5], v15 offset0:64 offset1:96
	s_waitcnt lgkmcnt(0)
	v_mul_f32_e32 v8, v3, v27
	s_delay_alu instid0(VALU_DEP_1) | instskip(SKIP_1) | instid1(VALU_DEP_1)
	v_fma_f32 v8, v2, v26, -v8
	v_mul_f32_e32 v2, v2, v27
	v_dual_fmac_f32 v2, v3, v26 :: v_dual_add_f32 v3, v6, v8
	v_mul_f32_e32 v6, v5, v29
	s_delay_alu instid0(VALU_DEP_1) | instskip(SKIP_1) | instid1(VALU_DEP_2)
	v_fma_f32 v6, v4, v28, -v6
	v_mul_f32_e32 v4, v4, v29
	v_add_f32_e32 v6, v3, v6
	v_add_f32_e32 v2, v7, v2
	s_delay_alu instid0(VALU_DEP_3) | instskip(NEXT) | instid1(VALU_DEP_1)
	v_fmac_f32_e32 v4, v5, v28
	v_add_f32_e32 v7, v2, v4
	ds_load_2addr_b64 v[2:5], v15 offset0:128 offset1:160
	s_waitcnt lgkmcnt(0)
	v_mul_f32_e32 v8, v3, v31
	s_delay_alu instid0(VALU_DEP_1) | instskip(SKIP_1) | instid1(VALU_DEP_1)
	v_fma_f32 v8, v2, v30, -v8
	v_mul_f32_e32 v2, v2, v31
	v_dual_fmac_f32 v2, v3, v30 :: v_dual_add_f32 v3, v6, v8
	v_mul_f32_e32 v6, v5, v33
	s_delay_alu instid0(VALU_DEP_2) | instskip(NEXT) | instid1(VALU_DEP_2)
	v_add_f32_e32 v2, v7, v2
	v_fma_f32 v6, v4, v32, -v6
	v_mul_f32_e32 v4, v4, v33
	s_delay_alu instid0(VALU_DEP_2) | instskip(NEXT) | instid1(VALU_DEP_2)
	v_add_f32_e32 v6, v3, v6
	v_fmac_f32_e32 v4, v5, v32
	s_delay_alu instid0(VALU_DEP_1) | instskip(SKIP_3) | instid1(VALU_DEP_1)
	v_add_f32_e32 v7, v2, v4
	ds_load_2addr_b64 v[2:5], v15 offset0:192 offset1:224
	s_waitcnt lgkmcnt(0)
	v_mul_f32_e32 v8, v3, v35
	v_fma_f32 v8, v2, v34, -v8
	v_mul_f32_e32 v2, v2, v35
	s_delay_alu instid0(VALU_DEP_1) | instskip(SKIP_1) | instid1(VALU_DEP_2)
	v_dual_fmac_f32 v2, v3, v34 :: v_dual_add_f32 v3, v6, v8
	v_mul_f32_e32 v6, v5, v37
	v_add_f32_e32 v2, v7, v2
	s_delay_alu instid0(VALU_DEP_2) | instskip(SKIP_1) | instid1(VALU_DEP_2)
	v_fma_f32 v6, v4, v36, -v6
	v_mul_f32_e32 v4, v4, v37
	v_add_f32_e32 v6, v3, v6
	s_delay_alu instid0(VALU_DEP_2) | instskip(NEXT) | instid1(VALU_DEP_1)
	v_fmac_f32_e32 v4, v5, v36
	v_add_f32_e32 v7, v2, v4
	ds_load_b128 v[2:5], v11 offset:64
	ds_load_2addr_b64 v[26:29], v23 offset1:32
	s_waitcnt lgkmcnt(0)
	v_mul_f32_e32 v8, v27, v3
	v_mul_f32_e32 v3, v26, v3
	s_delay_alu instid0(VALU_DEP_2) | instskip(NEXT) | instid1(VALU_DEP_1)
	v_fma_f32 v8, v26, v2, -v8
	v_dual_fmac_f32 v3, v27, v2 :: v_dual_add_f32 v2, v6, v8
	v_mul_f32_e32 v6, v29, v5
	v_mul_f32_e32 v5, v28, v5
	s_delay_alu instid0(VALU_DEP_3) | instskip(NEXT) | instid1(VALU_DEP_3)
	v_add_f32_e32 v3, v7, v3
	v_fma_f32 v6, v28, v4, -v6
	s_delay_alu instid0(VALU_DEP_1) | instskip(NEXT) | instid1(VALU_DEP_1)
	v_dual_fmac_f32 v5, v29, v4 :: v_dual_add_f32 v6, v2, v6
	v_add_f32_e32 v7, v3, v5
	ds_load_b128 v[2:5], v11 offset:80
	ds_load_2addr_b64 v[26:29], v23 offset0:64 offset1:96
	s_waitcnt lgkmcnt(0)
	v_mul_f32_e32 v8, v27, v3
	v_mul_f32_e32 v3, v26, v3
	s_delay_alu instid0(VALU_DEP_2) | instskip(NEXT) | instid1(VALU_DEP_1)
	v_fma_f32 v8, v26, v2, -v8
	v_dual_fmac_f32 v3, v27, v2 :: v_dual_add_f32 v2, v6, v8
	v_mul_f32_e32 v6, v29, v5
	v_mul_f32_e32 v5, v28, v5
	s_delay_alu instid0(VALU_DEP_3) | instskip(NEXT) | instid1(VALU_DEP_3)
	v_add_f32_e32 v3, v7, v3
	v_fma_f32 v6, v28, v4, -v6
	s_delay_alu instid0(VALU_DEP_1) | instskip(NEXT) | instid1(VALU_DEP_1)
	v_dual_fmac_f32 v5, v29, v4 :: v_dual_add_f32 v6, v2, v6
	v_add_f32_e32 v7, v3, v5
	ds_load_b128 v[2:5], v11 offset:96
	ds_load_2addr_b64 v[26:29], v23 offset0:128 offset1:160
	;; [unrolled: 16-line block ×3, first 2 shown]
	s_waitcnt lgkmcnt(0)
	v_mul_f32_e32 v8, v27, v3
	v_mul_f32_e32 v3, v26, v3
	s_delay_alu instid0(VALU_DEP_2) | instskip(NEXT) | instid1(VALU_DEP_1)
	v_fma_f32 v8, v26, v2, -v8
	v_dual_fmac_f32 v3, v27, v2 :: v_dual_add_f32 v2, v6, v8
	v_mul_f32_e32 v6, v29, v5
	v_mul_f32_e32 v5, v28, v5
	s_delay_alu instid0(VALU_DEP_3) | instskip(NEXT) | instid1(VALU_DEP_3)
	v_add_f32_e32 v3, v7, v3
	v_fma_f32 v6, v28, v4, -v6
	s_delay_alu instid0(VALU_DEP_1) | instskip(NEXT) | instid1(VALU_DEP_1)
	v_dual_fmac_f32 v5, v29, v4 :: v_dual_add_f32 v6, v2, v6
	v_add_f32_e32 v7, v3, v5
	ds_load_b128 v[2:5], v11 offset:128
	ds_load_2addr_b64 v[26:29], v24 offset1:32
	s_waitcnt lgkmcnt(0)
	v_mul_f32_e32 v8, v27, v3
	v_mul_f32_e32 v3, v26, v3
	s_delay_alu instid0(VALU_DEP_2) | instskip(NEXT) | instid1(VALU_DEP_1)
	v_fma_f32 v8, v26, v2, -v8
	v_dual_fmac_f32 v3, v27, v2 :: v_dual_add_f32 v2, v6, v8
	v_mul_f32_e32 v6, v29, v5
	v_mul_f32_e32 v5, v28, v5
	s_delay_alu instid0(VALU_DEP_3) | instskip(NEXT) | instid1(VALU_DEP_3)
	v_add_f32_e32 v3, v7, v3
	v_fma_f32 v6, v28, v4, -v6
	s_delay_alu instid0(VALU_DEP_1) | instskip(NEXT) | instid1(VALU_DEP_1)
	v_dual_fmac_f32 v5, v29, v4 :: v_dual_add_f32 v6, v2, v6
	v_add_f32_e32 v7, v3, v5
	ds_load_b128 v[2:5], v11 offset:144
	ds_load_2addr_b64 v[26:29], v24 offset0:64 offset1:96
	s_waitcnt lgkmcnt(0)
	v_mul_f32_e32 v8, v27, v3
	v_mul_f32_e32 v3, v26, v3
	s_delay_alu instid0(VALU_DEP_2) | instskip(NEXT) | instid1(VALU_DEP_1)
	v_fma_f32 v8, v26, v2, -v8
	v_dual_fmac_f32 v3, v27, v2 :: v_dual_add_f32 v2, v6, v8
	v_mul_f32_e32 v6, v29, v5
	v_mul_f32_e32 v5, v28, v5
	s_delay_alu instid0(VALU_DEP_3) | instskip(NEXT) | instid1(VALU_DEP_3)
	v_add_f32_e32 v3, v7, v3
	v_fma_f32 v6, v28, v4, -v6
	s_delay_alu instid0(VALU_DEP_1) | instskip(NEXT) | instid1(VALU_DEP_1)
	v_dual_fmac_f32 v5, v29, v4 :: v_dual_add_f32 v6, v2, v6
	v_add_f32_e32 v7, v3, v5
	ds_load_b128 v[2:5], v11 offset:160
	ds_load_2addr_b64 v[26:29], v24 offset0:128 offset1:160
	;; [unrolled: 16-line block ×3, first 2 shown]
	s_waitcnt lgkmcnt(0)
	v_mul_f32_e32 v8, v27, v3
	v_mul_f32_e32 v3, v26, v3
	s_delay_alu instid0(VALU_DEP_2) | instskip(NEXT) | instid1(VALU_DEP_1)
	v_fma_f32 v8, v26, v2, -v8
	v_dual_fmac_f32 v3, v27, v2 :: v_dual_add_f32 v2, v6, v8
	s_delay_alu instid0(VALU_DEP_1) | instskip(SKIP_1) | instid1(VALU_DEP_2)
	v_dual_add_f32 v3, v7, v3 :: v_dual_mul_f32 v6, v29, v5
	v_mul_f32_e32 v5, v28, v5
	v_fma_f32 v6, v28, v4, -v6
	s_delay_alu instid0(VALU_DEP_1) | instskip(NEXT) | instid1(VALU_DEP_1)
	v_dual_fmac_f32 v5, v29, v4 :: v_dual_add_f32 v6, v2, v6
	v_add_f32_e32 v7, v3, v5
	ds_load_b128 v[2:5], v11 offset:192
	ds_load_2addr_b64 v[26:29], v25 offset1:32
	s_waitcnt lgkmcnt(0)
	v_mul_f32_e32 v8, v27, v3
	v_mul_f32_e32 v3, v26, v3
	s_delay_alu instid0(VALU_DEP_2) | instskip(NEXT) | instid1(VALU_DEP_1)
	v_fma_f32 v8, v26, v2, -v8
	v_dual_fmac_f32 v3, v27, v2 :: v_dual_add_f32 v2, v6, v8
	v_mul_f32_e32 v6, v29, v5
	v_mul_f32_e32 v5, v28, v5
	s_delay_alu instid0(VALU_DEP_2) | instskip(NEXT) | instid1(VALU_DEP_4)
	v_fma_f32 v6, v28, v4, -v6
	v_add_f32_e32 v3, v7, v3
	s_delay_alu instid0(VALU_DEP_2) | instskip(NEXT) | instid1(VALU_DEP_1)
	v_dual_fmac_f32 v5, v29, v4 :: v_dual_add_f32 v6, v2, v6
	v_add_f32_e32 v7, v3, v5
	ds_load_b128 v[2:5], v11 offset:208
	ds_load_2addr_b64 v[26:29], v25 offset0:64 offset1:96
	s_waitcnt lgkmcnt(0)
	v_mul_f32_e32 v8, v27, v3
	v_mul_f32_e32 v3, v26, v3
	s_delay_alu instid0(VALU_DEP_2) | instskip(NEXT) | instid1(VALU_DEP_1)
	v_fma_f32 v8, v26, v2, -v8
	v_dual_fmac_f32 v3, v27, v2 :: v_dual_add_f32 v2, v6, v8
	v_mul_f32_e32 v6, v29, v5
	v_mul_f32_e32 v5, v28, v5
	s_delay_alu instid0(VALU_DEP_2) | instskip(NEXT) | instid1(VALU_DEP_4)
	v_fma_f32 v6, v28, v4, -v6
	v_add_f32_e32 v3, v7, v3
	s_delay_alu instid0(VALU_DEP_2) | instskip(NEXT) | instid1(VALU_DEP_1)
	v_dual_fmac_f32 v5, v29, v4 :: v_dual_add_f32 v6, v2, v6
	v_add_f32_e32 v7, v3, v5
	ds_load_b128 v[2:5], v11 offset:224
	ds_load_2addr_b64 v[26:29], v25 offset0:128 offset1:160
	s_waitcnt lgkmcnt(0)
	v_mul_f32_e32 v8, v27, v3
	v_mul_f32_e32 v3, v26, v3
	s_delay_alu instid0(VALU_DEP_2) | instskip(NEXT) | instid1(VALU_DEP_1)
	v_fma_f32 v8, v26, v2, -v8
	v_dual_fmac_f32 v3, v27, v2 :: v_dual_add_f32 v2, v6, v8
	v_mul_f32_e32 v6, v29, v5
	v_mul_f32_e32 v5, v28, v5
	s_delay_alu instid0(VALU_DEP_3) | instskip(NEXT) | instid1(VALU_DEP_3)
	v_add_f32_e32 v3, v7, v3
	v_fma_f32 v6, v28, v4, -v6
	s_delay_alu instid0(VALU_DEP_1) | instskip(NEXT) | instid1(VALU_DEP_1)
	v_dual_fmac_f32 v5, v29, v4 :: v_dual_add_f32 v6, v2, v6
	v_add_f32_e32 v7, v3, v5
	ds_load_b128 v[2:5], v11 offset:240
	ds_load_2addr_b64 v[26:29], v25 offset0:192 offset1:224
	s_waitcnt lgkmcnt(0)
	v_mul_f32_e32 v8, v27, v3
	v_mul_f32_e32 v3, v26, v3
	s_delay_alu instid0(VALU_DEP_2) | instskip(NEXT) | instid1(VALU_DEP_1)
	v_fma_f32 v8, v26, v2, -v8
	v_dual_fmac_f32 v3, v27, v2 :: v_dual_add_f32 v2, v6, v8
	v_mul_f32_e32 v6, v29, v5
	v_mul_f32_e32 v5, v28, v5
	s_delay_alu instid0(VALU_DEP_2) | instskip(NEXT) | instid1(VALU_DEP_1)
	v_fma_f32 v6, v28, v4, -v6
	v_dual_fmac_f32 v5, v29, v4 :: v_dual_add_f32 v4, v2, v6
	s_delay_alu instid0(VALU_DEP_1) | instskip(SKIP_1) | instid1(VALU_DEP_1)
	v_mul_f32_e32 v2, s8, v4
	v_dual_mul_f32 v4, s9, v4 :: v_dual_add_f32 v3, v7, v3
	v_add_f32_e32 v3, v3, v5
	s_delay_alu instid0(VALU_DEP_1) | instskip(NEXT) | instid1(VALU_DEP_3)
	v_fmac_f32_e32 v2, s9, v3
	v_fma_f32 v3, s8, v3, -v4
	global_load_b64 v[4:5], v[0:1], off
	s_waitcnt vmcnt(0)
	v_dual_add_f32 v2, v4, v2 :: v_dual_add_f32 v3, v5, v3
	global_store_b64 v[0:1], v[2:3], off
	s_branch .LBB1931_4
.LBB1931_17:
	s_endpgm
	.section	.rodata,"a",@progbits
	.p2align	6, 0x0
	.amdhsa_kernel _ZL26rocblas_syr2k_her2k_kernelIiLb1ELb1ELb1ELi32EPK19rocblas_complex_numIfES3_PS1_EvbiT_T4_T5_S5_lS7_S5_lT6_S5_li
		.amdhsa_group_segment_fixed_size 16384
		.amdhsa_private_segment_fixed_size 0
		.amdhsa_kernarg_size 100
		.amdhsa_user_sgpr_count 13
		.amdhsa_user_sgpr_dispatch_ptr 0
		.amdhsa_user_sgpr_queue_ptr 0
		.amdhsa_user_sgpr_kernarg_segment_ptr 1
		.amdhsa_user_sgpr_dispatch_id 0
		.amdhsa_user_sgpr_private_segment_size 0
		.amdhsa_wavefront_size32 1
		.amdhsa_uses_dynamic_stack 0
		.amdhsa_enable_private_segment 0
		.amdhsa_system_sgpr_workgroup_id_x 1
		.amdhsa_system_sgpr_workgroup_id_y 1
		.amdhsa_system_sgpr_workgroup_id_z 1
		.amdhsa_system_sgpr_workgroup_info 0
		.amdhsa_system_vgpr_workitem_id 1
		.amdhsa_next_free_vgpr 42
		.amdhsa_next_free_sgpr 24
		.amdhsa_reserve_vcc 1
		.amdhsa_float_round_mode_32 0
		.amdhsa_float_round_mode_16_64 0
		.amdhsa_float_denorm_mode_32 3
		.amdhsa_float_denorm_mode_16_64 3
		.amdhsa_dx10_clamp 1
		.amdhsa_ieee_mode 1
		.amdhsa_fp16_overflow 0
		.amdhsa_workgroup_processor_mode 1
		.amdhsa_memory_ordered 1
		.amdhsa_forward_progress 0
		.amdhsa_shared_vgpr_count 0
		.amdhsa_exception_fp_ieee_invalid_op 0
		.amdhsa_exception_fp_denorm_src 0
		.amdhsa_exception_fp_ieee_div_zero 0
		.amdhsa_exception_fp_ieee_overflow 0
		.amdhsa_exception_fp_ieee_underflow 0
		.amdhsa_exception_fp_ieee_inexact 0
		.amdhsa_exception_int_div_zero 0
	.end_amdhsa_kernel
	.section	.text._ZL26rocblas_syr2k_her2k_kernelIiLb1ELb1ELb1ELi32EPK19rocblas_complex_numIfES3_PS1_EvbiT_T4_T5_S5_lS7_S5_lT6_S5_li,"axG",@progbits,_ZL26rocblas_syr2k_her2k_kernelIiLb1ELb1ELb1ELi32EPK19rocblas_complex_numIfES3_PS1_EvbiT_T4_T5_S5_lS7_S5_lT6_S5_li,comdat
.Lfunc_end1931:
	.size	_ZL26rocblas_syr2k_her2k_kernelIiLb1ELb1ELb1ELi32EPK19rocblas_complex_numIfES3_PS1_EvbiT_T4_T5_S5_lS7_S5_lT6_S5_li, .Lfunc_end1931-_ZL26rocblas_syr2k_her2k_kernelIiLb1ELb1ELb1ELi32EPK19rocblas_complex_numIfES3_PS1_EvbiT_T4_T5_S5_lS7_S5_lT6_S5_li
                                        ; -- End function
	.section	.AMDGPU.csdata,"",@progbits
; Kernel info:
; codeLenInByte = 4056
; NumSgprs: 26
; NumVgprs: 42
; ScratchSize: 0
; MemoryBound: 0
; FloatMode: 240
; IeeeMode: 1
; LDSByteSize: 16384 bytes/workgroup (compile time only)
; SGPRBlocks: 3
; VGPRBlocks: 5
; NumSGPRsForWavesPerEU: 26
; NumVGPRsForWavesPerEU: 42
; Occupancy: 16
; WaveLimiterHint : 0
; COMPUTE_PGM_RSRC2:SCRATCH_EN: 0
; COMPUTE_PGM_RSRC2:USER_SGPR: 13
; COMPUTE_PGM_RSRC2:TRAP_HANDLER: 0
; COMPUTE_PGM_RSRC2:TGID_X_EN: 1
; COMPUTE_PGM_RSRC2:TGID_Y_EN: 1
; COMPUTE_PGM_RSRC2:TGID_Z_EN: 1
; COMPUTE_PGM_RSRC2:TIDIG_COMP_CNT: 1
	.section	.text._ZL26rocblas_syr2k_her2k_kernelIiLb1ELb1ELb0ELi32E19rocblas_complex_numIdEPKS1_PS1_EvbiT_T4_T5_S5_lS7_S5_lT6_S5_li,"axG",@progbits,_ZL26rocblas_syr2k_her2k_kernelIiLb1ELb1ELb0ELi32E19rocblas_complex_numIdEPKS1_PS1_EvbiT_T4_T5_S5_lS7_S5_lT6_S5_li,comdat
	.globl	_ZL26rocblas_syr2k_her2k_kernelIiLb1ELb1ELb0ELi32E19rocblas_complex_numIdEPKS1_PS1_EvbiT_T4_T5_S5_lS7_S5_lT6_S5_li ; -- Begin function _ZL26rocblas_syr2k_her2k_kernelIiLb1ELb1ELb0ELi32E19rocblas_complex_numIdEPKS1_PS1_EvbiT_T4_T5_S5_lS7_S5_lT6_S5_li
	.p2align	8
	.type	_ZL26rocblas_syr2k_her2k_kernelIiLb1ELb1ELb0ELi32E19rocblas_complex_numIdEPKS1_PS1_EvbiT_T4_T5_S5_lS7_S5_lT6_S5_li,@function
_ZL26rocblas_syr2k_her2k_kernelIiLb1ELb1ELb0ELi32E19rocblas_complex_numIdEPKS1_PS1_EvbiT_T4_T5_S5_lS7_S5_lT6_S5_li: ; @_ZL26rocblas_syr2k_her2k_kernelIiLb1ELb1ELb0ELi32E19rocblas_complex_numIdEPKS1_PS1_EvbiT_T4_T5_S5_lS7_S5_lT6_S5_li
; %bb.0:
	s_load_b128 s[4:7], s[0:1], 0x10
	s_waitcnt lgkmcnt(0)
	v_cmp_eq_f64_e64 s2, s[4:5], 0
	v_cmp_eq_f64_e64 s3, s[6:7], 0
	s_delay_alu instid0(VALU_DEP_1) | instskip(NEXT) | instid1(SALU_CYCLE_1)
	s_and_b32 s2, s2, s3
	s_and_b32 vcc_lo, exec_lo, s2
	s_cbranch_vccnz .LBB1932_17
; %bb.1:
	s_load_b128 s[8:11], s[0:1], 0x0
	s_lshl_b32 s2, s14, 5
	s_lshl_b32 s3, s13, 5
	s_waitcnt lgkmcnt(0)
	s_and_b32 s8, 1, s8
	s_delay_alu instid0(SALU_CYCLE_1) | instskip(SKIP_1) | instid1(SALU_CYCLE_1)
	s_cmp_eq_u32 s8, 1
	s_cselect_b32 vcc_lo, -1, 0
	s_and_b32 s8, vcc_lo, exec_lo
	s_cselect_b32 s8, s3, s2
	s_cselect_b32 s11, s2, s3
	s_delay_alu instid0(SALU_CYCLE_1)
	s_cmp_gt_i32 s8, s11
	s_cbranch_scc1 .LBB1932_17
; %bb.2:
	s_cmp_lt_i32 s10, 1
	s_cbranch_scc1 .LBB1932_17
; %bb.3:
	s_clause 0x1
	s_load_b128 s[20:23], s[0:1], 0x30
	s_load_b128 s[16:19], s[0:1], 0x48
	v_bfe_u32 v10, v0, 10, 10
	v_and_b32_e32 v11, 0x3ff, v0
	s_clause 0x1
	s_load_b64 s[12:13], s[0:1], 0x60
	s_load_b64 s[24:25], s[0:1], 0x20
	v_add_nc_u32_e32 v0, s2, v10
	v_add_nc_u32_e32 v1, s3, v11
	s_clause 0x2
	s_load_b32 s3, s[0:1], 0x28
	s_load_b32 s8, s[0:1], 0x40
	;; [unrolled: 1-line block ×3, first 2 shown]
	v_dual_cndmask_b32 v9, v1, v0 :: v_dual_lshlrev_b32 v8, 4, v10
	v_ashrrev_i32_e32 v2, 31, v1
	v_cndmask_b32_e32 v20, v0, v1, vcc_lo
	v_cmp_gt_i32_e32 vcc_lo, s9, v1
	v_lshlrev_b32_e32 v12, 9, v11
	v_or_b32_e32 v16, 0x4000, v8
	v_lshlrev_b64 v[2:3], 4, v[1:2]
	s_waitcnt lgkmcnt(0)
	s_mul_i32 s1, s15, s21
	s_mul_hi_u32 s11, s15, s20
	s_mul_i32 s0, s15, s20
	s_add_i32 s1, s11, s1
	s_mul_i32 s14, s15, s17
	s_lshl_b64 s[0:1], s[0:1], 4
	s_mul_hi_u32 s17, s15, s16
	s_add_u32 s20, s24, s0
	s_mul_i32 s16, s15, s16
	s_addc_u32 s21, s25, s1
	s_add_i32 s17, s17, s14
	s_mul_i32 s11, s15, s13
	s_lshl_b64 s[0:1], s[16:17], 4
	s_mul_hi_u32 s13, s15, s12
	s_add_u32 s14, s22, s0
	v_mad_i64_i32 v[4:5], null, s2, v0, 0
	s_mul_i32 s12, s15, s12
	s_addc_u32 s15, s23, s1
	s_add_i32 s13, s13, s11
	v_ashrrev_i32_e32 v1, 31, v0
	s_lshl_b64 s[0:1], s[12:13], 4
	v_add_nc_u32_e32 v15, v12, v8
	s_add_u32 s11, s18, s0
	v_add_co_u32 v13, s0, s20, v2
	s_delay_alu instid0(VALU_DEP_1)
	v_add_co_ci_u32_e64 v14, s0, s21, v3, s0
	v_lshlrev_b64 v[6:7], 4, v[0:1]
	v_cmp_gt_i32_e64 s0, s9, v0
	v_lshlrev_b64 v[0:1], 4, v[4:5]
	s_addc_u32 s12, s19, s1
	v_add_nc_u32_e32 v19, v16, v12
	s_delay_alu instid0(VALU_DEP_4) | instskip(NEXT) | instid1(VALU_DEP_3)
	v_add_co_u32 v17, s1, s14, v6
	v_add_co_u32 v0, s2, s11, v0
	s_delay_alu instid0(VALU_DEP_1) | instskip(SKIP_1) | instid1(VALU_DEP_3)
	v_add_co_ci_u32_e64 v1, s2, s12, v1, s2
	v_add_co_ci_u32_e64 v18, s1, s15, v7, s1
	v_add_co_u32 v8, s2, v0, v2
	v_cmp_le_i32_e64 s1, v20, v9
	s_delay_alu instid0(VALU_DEP_4) | instskip(SKIP_1) | instid1(VALU_DEP_1)
	v_add_co_ci_u32_e64 v9, s2, v1, v3, s2
	v_add_co_u32 v20, s2, s14, v2
	v_add_co_ci_u32_e64 v21, s2, s15, v3, s2
	v_add_co_u32 v22, s2, s20, v6
	s_delay_alu instid0(VALU_DEP_1) | instskip(SKIP_1) | instid1(SALU_CYCLE_1)
	v_add_co_ci_u32_e64 v23, s2, s21, v7, s2
	s_and_b32 s9, s0, vcc_lo
	s_and_b32 s2, s9, s1
	s_mov_b32 s9, 0
	s_branch .LBB1932_5
.LBB1932_4:                             ;   in Loop: Header=BB1932_5 Depth=1
	s_or_b32 exec_lo, exec_lo, s1
	s_add_i32 s9, s9, 32
	s_waitcnt_vscnt null, 0x0
	s_cmp_lt_i32 s9, s10
	s_barrier
	buffer_gl0_inv
	s_cbranch_scc0 .LBB1932_17
.LBB1932_5:                             ; =>This Inner Loop Header: Depth=1
	v_add_nc_u32_e32 v24, s9, v10
	v_mov_b32_e32 v0, 0
	v_mov_b32_e32 v1, 0
	s_delay_alu instid0(VALU_DEP_3) | instskip(NEXT) | instid1(VALU_DEP_2)
	v_cmp_gt_i32_e64 s1, s10, v24
	v_dual_mov_b32 v5, v1 :: v_dual_mov_b32 v4, v0
	v_dual_mov_b32 v7, v1 :: v_dual_mov_b32 v6, v0
	s_delay_alu instid0(VALU_DEP_3) | instskip(NEXT) | instid1(SALU_CYCLE_1)
	s_and_b32 s11, vcc_lo, s1
	s_and_saveexec_b32 s12, s11
	s_cbranch_execz .LBB1932_7
; %bb.6:                                ;   in Loop: Header=BB1932_5 Depth=1
	v_mad_i64_i32 v[2:3], null, v24, s3, 0
	s_delay_alu instid0(VALU_DEP_1) | instskip(NEXT) | instid1(VALU_DEP_1)
	v_lshlrev_b64 v[2:3], 4, v[2:3]
	v_add_co_u32 v2, s1, v13, v2
	s_delay_alu instid0(VALU_DEP_1)
	v_add_co_ci_u32_e64 v3, s1, v14, v3, s1
	global_load_b128 v[4:7], v[2:3], off
.LBB1932_7:                             ;   in Loop: Header=BB1932_5 Depth=1
	s_or_b32 exec_lo, exec_lo, s12
	v_add_nc_u32_e32 v25, s9, v11
	v_dual_mov_b32 v3, v1 :: v_dual_mov_b32 v2, v0
	s_waitcnt vmcnt(0)
	ds_store_b128 v15, v[4:7]
	v_cmp_gt_i32_e64 s1, s10, v25
	s_delay_alu instid0(VALU_DEP_1) | instskip(NEXT) | instid1(SALU_CYCLE_1)
	s_and_b32 s12, s0, s1
	s_and_saveexec_b32 s13, s12
	s_cbranch_execz .LBB1932_9
; %bb.8:                                ;   in Loop: Header=BB1932_5 Depth=1
	v_mad_i64_i32 v[0:1], null, v25, s8, 0
	s_delay_alu instid0(VALU_DEP_1) | instskip(NEXT) | instid1(VALU_DEP_1)
	v_lshlrev_b64 v[0:1], 4, v[0:1]
	v_add_co_u32 v0, s1, v17, v0
	s_delay_alu instid0(VALU_DEP_1)
	v_add_co_ci_u32_e64 v1, s1, v18, v1, s1
	global_load_b128 v[0:3], v[0:1], off
	s_waitcnt vmcnt(0)
	v_xor_b32_e32 v3, 0x80000000, v3
.LBB1932_9:                             ;   in Loop: Header=BB1932_5 Depth=1
	s_or_b32 exec_lo, exec_lo, s13
	ds_store_b128 v19, v[0:3]
	s_waitcnt lgkmcnt(0)
	s_barrier
	buffer_gl0_inv
	s_and_saveexec_b32 s1, s2
	s_cbranch_execz .LBB1932_11
; %bb.10:                               ;   in Loop: Header=BB1932_5 Depth=1
	ds_load_b128 v[0:3], v16
	ds_load_b128 v[4:7], v12
	ds_load_b128 v[26:29], v12 offset:16
	ds_load_b128 v[30:33], v16 offset:512
	s_waitcnt lgkmcnt(2)
	v_mul_f64 v[34:35], v[0:1], v[6:7]
	v_mul_f64 v[6:7], v[2:3], v[6:7]
	s_waitcnt lgkmcnt(0)
	v_mul_f64 v[50:51], v[30:31], v[28:29]
	v_mul_f64 v[28:29], v[32:33], v[28:29]
	s_delay_alu instid0(VALU_DEP_4)
	v_fma_f64 v[2:3], v[2:3], v[4:5], v[34:35]
	ds_load_b128 v[34:37], v16 offset:1024
	ds_load_b128 v[38:41], v12 offset:32
	;; [unrolled: 1-line block ×4, first 2 shown]
	v_fma_f64 v[0:1], v[0:1], v[4:5], -v[6:7]
	v_fma_f64 v[4:5], v[32:33], v[26:27], v[50:51]
	v_fma_f64 v[54:55], v[30:31], v[26:27], -v[28:29]
	s_waitcnt lgkmcnt(2)
	v_mul_f64 v[52:53], v[34:35], v[40:41]
	v_mul_f64 v[40:41], v[36:37], v[40:41]
	s_waitcnt lgkmcnt(0)
	v_mul_f64 v[50:51], v[46:47], v[44:45]
	v_mul_f64 v[44:45], v[48:49], v[44:45]
	v_add_f64 v[2:3], v[2:3], 0
	v_fma_f64 v[36:37], v[36:37], v[38:39], v[52:53]
	v_add_f64 v[52:53], v[0:1], 0
	v_fma_f64 v[34:35], v[34:35], v[38:39], -v[40:41]
	v_fma_f64 v[38:39], v[48:49], v[42:43], v[50:51]
	v_add_f64 v[56:57], v[2:3], v[4:5]
	ds_load_b128 v[0:3], v12 offset:64
	ds_load_b128 v[4:7], v16 offset:2048
	ds_load_b128 v[26:29], v16 offset:2560
	ds_load_b128 v[30:33], v12 offset:80
	s_waitcnt lgkmcnt(2)
	v_mul_f64 v[58:59], v[4:5], v[2:3]
	v_add_f64 v[40:41], v[52:53], v[54:55]
	v_mul_f64 v[2:3], v[6:7], v[2:3]
	s_waitcnt lgkmcnt(0)
	v_mul_f64 v[50:51], v[26:27], v[32:33]
	v_fma_f64 v[52:53], v[46:47], v[42:43], -v[44:45]
	v_mul_f64 v[32:33], v[28:29], v[32:33]
	v_add_f64 v[36:37], v[56:57], v[36:37]
	v_fma_f64 v[6:7], v[6:7], v[0:1], v[58:59]
	v_add_f64 v[54:55], v[40:41], v[34:35]
	v_fma_f64 v[0:1], v[4:5], v[0:1], -v[2:3]
	v_fma_f64 v[2:3], v[28:29], v[30:31], v[50:51]
	v_add_f64 v[56:57], v[36:37], v[38:39]
	ds_load_b128 v[34:37], v12 offset:96
	ds_load_b128 v[38:41], v16 offset:3072
	ds_load_b128 v[42:45], v16 offset:3584
	ds_load_b128 v[46:49], v12 offset:112
	s_waitcnt lgkmcnt(2)
	v_mul_f64 v[58:59], v[38:39], v[36:37]
	v_add_f64 v[4:5], v[54:55], v[52:53]
	v_mul_f64 v[36:37], v[40:41], v[36:37]
	s_waitcnt lgkmcnt(0)
	v_mul_f64 v[50:51], v[42:43], v[48:49]
	v_fma_f64 v[52:53], v[26:27], v[30:31], -v[32:33]
	;; [unrolled: 18-line block ×11, first 2 shown]
	v_mul_f64 v[32:33], v[28:29], v[32:33]
	v_add_f64 v[40:41], v[56:57], v[40:41]
	v_fma_f64 v[6:7], v[6:7], v[0:1], v[58:59]
	v_add_f64 v[54:55], v[38:39], v[34:35]
	v_fma_f64 v[0:1], v[4:5], v[0:1], -v[2:3]
	v_fma_f64 v[2:3], v[28:29], v[30:31], v[50:51]
	v_add_f64 v[56:57], v[40:41], v[36:37]
	ds_load_b128 v[34:37], v12 offset:416
	ds_load_b128 v[38:41], v16 offset:13312
	ds_load_b128 v[42:45], v16 offset:13824
	ds_load_b128 v[46:49], v12 offset:432
	s_waitcnt lgkmcnt(2)
	v_mul_f64 v[58:59], v[38:39], v[36:37]
	v_add_f64 v[4:5], v[54:55], v[52:53]
	v_mul_f64 v[36:37], v[40:41], v[36:37]
	s_waitcnt lgkmcnt(0)
	v_mul_f64 v[54:55], v[42:43], v[48:49]
	v_mul_f64 v[48:49], v[44:45], v[48:49]
	v_add_f64 v[6:7], v[56:57], v[6:7]
	v_fma_f64 v[56:57], v[26:27], v[30:31], -v[32:33]
	v_fma_f64 v[40:41], v[40:41], v[34:35], v[58:59]
	v_add_f64 v[58:59], v[4:5], v[0:1]
	v_fma_f64 v[34:35], v[38:39], v[34:35], -v[36:37]
	v_fma_f64 v[36:37], v[44:45], v[46:47], v[54:55]
	v_add_f64 v[60:61], v[6:7], v[2:3]
	ds_load_b128 v[0:3], v12 offset:448
	ds_load_b128 v[4:7], v16 offset:14336
	global_load_b128 v[26:29], v[8:9], off
	ds_load_b128 v[30:33], v16 offset:14848
	ds_load_b128 v[50:53], v12 offset:464
	v_add_f64 v[38:39], v[58:59], v[56:57]
	s_waitcnt lgkmcnt(2)
	v_mul_f64 v[62:63], v[4:5], v[2:3]
	v_mul_f64 v[2:3], v[6:7], v[2:3]
	s_waitcnt lgkmcnt(0)
	v_mul_f64 v[54:55], v[30:31], v[52:53]
	v_fma_f64 v[56:57], v[42:43], v[46:47], -v[48:49]
	v_mul_f64 v[52:53], v[32:33], v[52:53]
	v_add_f64 v[40:41], v[60:61], v[40:41]
	v_add_f64 v[58:59], v[38:39], v[34:35]
	v_fma_f64 v[6:7], v[6:7], v[0:1], v[62:63]
	v_fma_f64 v[0:1], v[4:5], v[0:1], -v[2:3]
	v_fma_f64 v[2:3], v[32:33], v[50:51], v[54:55]
	v_fma_f64 v[30:31], v[30:31], v[50:51], -v[52:53]
	v_add_f64 v[60:61], v[40:41], v[36:37]
	ds_load_b128 v[34:37], v12 offset:480
	ds_load_b128 v[38:41], v16 offset:15360
	ds_load_b128 v[42:45], v16 offset:15872
	ds_load_b128 v[46:49], v12 offset:496
	s_waitcnt lgkmcnt(2)
	v_mul_f64 v[62:63], v[38:39], v[36:37]
	v_add_f64 v[4:5], v[58:59], v[56:57]
	v_mul_f64 v[32:33], v[40:41], v[36:37]
	s_waitcnt lgkmcnt(0)
	v_mul_f64 v[36:37], v[42:43], v[48:49]
	v_add_f64 v[6:7], v[60:61], v[6:7]
	v_fma_f64 v[40:41], v[40:41], v[34:35], v[62:63]
	v_add_f64 v[0:1], v[4:5], v[0:1]
	v_mul_f64 v[4:5], v[44:45], v[48:49]
	s_delay_alu instid0(VALU_DEP_4)
	v_add_f64 v[2:3], v[6:7], v[2:3]
	v_fma_f64 v[6:7], v[38:39], v[34:35], -v[32:33]
	v_fma_f64 v[32:33], v[44:45], v[46:47], v[36:37]
	v_add_f64 v[0:1], v[0:1], v[30:31]
	v_fma_f64 v[4:5], v[42:43], v[46:47], -v[4:5]
	v_add_f64 v[2:3], v[2:3], v[40:41]
	s_delay_alu instid0(VALU_DEP_3) | instskip(NEXT) | instid1(VALU_DEP_2)
	v_add_f64 v[0:1], v[0:1], v[6:7]
	v_add_f64 v[2:3], v[2:3], v[32:33]
	s_delay_alu instid0(VALU_DEP_2) | instskip(NEXT) | instid1(VALU_DEP_2)
	v_add_f64 v[0:1], v[0:1], v[4:5]
	v_mul_f64 v[4:5], s[6:7], v[2:3]
	v_mul_f64 v[2:3], s[4:5], v[2:3]
	s_delay_alu instid0(VALU_DEP_2) | instskip(NEXT) | instid1(VALU_DEP_2)
	v_fma_f64 v[4:5], s[4:5], v[0:1], -v[4:5]
	v_fma_f64 v[2:3], s[6:7], v[0:1], v[2:3]
	s_waitcnt vmcnt(0)
	s_delay_alu instid0(VALU_DEP_2) | instskip(NEXT) | instid1(VALU_DEP_2)
	v_add_f64 v[0:1], v[26:27], v[4:5]
	v_add_f64 v[2:3], v[28:29], v[2:3]
	global_store_b128 v[8:9], v[0:3], off
.LBB1932_11:                            ;   in Loop: Header=BB1932_5 Depth=1
	s_or_b32 exec_lo, exec_lo, s1
	v_mov_b32_e32 v2, 0
	v_mov_b32_e32 v3, 0
	s_waitcnt_vscnt null, 0x0
	s_barrier
	buffer_gl0_inv
	v_dual_mov_b32 v7, v3 :: v_dual_mov_b32 v6, v2
	v_dual_mov_b32 v5, v3 :: v_dual_mov_b32 v4, v2
	s_and_saveexec_b32 s13, s11
	s_cbranch_execz .LBB1932_13
; %bb.12:                               ;   in Loop: Header=BB1932_5 Depth=1
	v_mad_i64_i32 v[0:1], null, v24, s8, 0
	s_delay_alu instid0(VALU_DEP_1) | instskip(NEXT) | instid1(VALU_DEP_1)
	v_lshlrev_b64 v[0:1], 4, v[0:1]
	v_add_co_u32 v0, s1, v20, v0
	s_delay_alu instid0(VALU_DEP_1)
	v_add_co_ci_u32_e64 v1, s1, v21, v1, s1
	global_load_b128 v[4:7], v[0:1], off
.LBB1932_13:                            ;   in Loop: Header=BB1932_5 Depth=1
	s_or_b32 exec_lo, exec_lo, s13
	v_dual_mov_b32 v0, v2 :: v_dual_mov_b32 v1, v3
	s_waitcnt vmcnt(0)
	ds_store_b128 v15, v[4:7]
	s_and_saveexec_b32 s11, s12
	s_cbranch_execz .LBB1932_15
; %bb.14:                               ;   in Loop: Header=BB1932_5 Depth=1
	v_mad_i64_i32 v[0:1], null, v25, s3, 0
	s_delay_alu instid0(VALU_DEP_1) | instskip(NEXT) | instid1(VALU_DEP_1)
	v_lshlrev_b64 v[0:1], 4, v[0:1]
	v_add_co_u32 v0, s1, v22, v0
	s_delay_alu instid0(VALU_DEP_1)
	v_add_co_ci_u32_e64 v1, s1, v23, v1, s1
	global_load_b128 v[0:3], v[0:1], off
	s_waitcnt vmcnt(0)
	v_xor_b32_e32 v3, 0x80000000, v3
.LBB1932_15:                            ;   in Loop: Header=BB1932_5 Depth=1
	s_or_b32 exec_lo, exec_lo, s11
	ds_store_b128 v19, v[0:3]
	s_waitcnt lgkmcnt(0)
	s_barrier
	buffer_gl0_inv
	s_and_saveexec_b32 s1, s2
	s_cbranch_execz .LBB1932_4
; %bb.16:                               ;   in Loop: Header=BB1932_5 Depth=1
	ds_load_b128 v[0:3], v16
	ds_load_b128 v[4:7], v12
	ds_load_b128 v[24:27], v12 offset:16
	ds_load_b128 v[28:31], v16 offset:512
	s_waitcnt lgkmcnt(2)
	v_mul_f64 v[32:33], v[2:3], v[6:7]
	v_mul_f64 v[6:7], v[0:1], v[6:7]
	s_waitcnt lgkmcnt(0)
	v_mul_f64 v[48:49], v[30:31], v[26:27]
	v_mul_f64 v[26:27], v[28:29], v[26:27]
	s_delay_alu instid0(VALU_DEP_4)
	v_fma_f64 v[0:1], v[0:1], v[4:5], -v[32:33]
	ds_load_b128 v[32:35], v16 offset:1024
	ds_load_b128 v[36:39], v12 offset:32
	;; [unrolled: 1-line block ×4, first 2 shown]
	v_fma_f64 v[2:3], v[2:3], v[4:5], v[6:7]
	v_fma_f64 v[4:5], v[28:29], v[24:25], -v[48:49]
	v_fma_f64 v[52:53], v[30:31], v[24:25], v[26:27]
	s_waitcnt lgkmcnt(2)
	v_mul_f64 v[50:51], v[34:35], v[38:39]
	v_mul_f64 v[38:39], v[32:33], v[38:39]
	s_waitcnt lgkmcnt(0)
	v_mul_f64 v[48:49], v[46:47], v[42:43]
	v_mul_f64 v[42:43], v[44:45], v[42:43]
	v_add_f64 v[0:1], v[0:1], 0
	v_fma_f64 v[32:33], v[32:33], v[36:37], -v[50:51]
	v_add_f64 v[50:51], v[2:3], 0
	v_fma_f64 v[34:35], v[34:35], v[36:37], v[38:39]
	v_fma_f64 v[36:37], v[44:45], v[40:41], -v[48:49]
	v_fma_f64 v[46:47], v[46:47], v[40:41], v[42:43]
	v_add_f64 v[54:55], v[0:1], v[4:5]
	ds_load_b128 v[0:3], v12 offset:64
	ds_load_b128 v[4:7], v16 offset:2048
	;; [unrolled: 1-line block ×4, first 2 shown]
	s_waitcnt lgkmcnt(2)
	v_mul_f64 v[56:57], v[6:7], v[2:3]
	v_add_f64 v[38:39], v[50:51], v[52:53]
	v_mul_f64 v[44:45], v[4:5], v[2:3]
	s_waitcnt lgkmcnt(0)
	v_mul_f64 v[48:49], v[26:27], v[30:31]
	v_mul_f64 v[30:31], v[24:25], v[30:31]
	v_add_f64 v[32:33], v[54:55], v[32:33]
	v_fma_f64 v[50:51], v[4:5], v[0:1], -v[56:57]
	v_add_f64 v[52:53], v[38:39], v[34:35]
	v_fma_f64 v[0:1], v[6:7], v[0:1], v[44:45]
	v_fma_f64 v[6:7], v[24:25], v[28:29], -v[48:49]
	v_add_f64 v[54:55], v[32:33], v[36:37]
	ds_load_b128 v[2:5], v12 offset:96
	ds_load_b128 v[32:35], v16 offset:3072
	;; [unrolled: 1-line block ×4, first 2 shown]
	s_waitcnt lgkmcnt(2)
	v_mul_f64 v[56:57], v[34:35], v[4:5]
	v_add_f64 v[24:25], v[52:53], v[46:47]
	v_mul_f64 v[48:49], v[32:33], v[4:5]
	v_fma_f64 v[52:53], v[26:27], v[28:29], v[30:31]
	v_add_f64 v[44:45], v[54:55], v[50:51]
	s_waitcnt lgkmcnt(0)
	v_mul_f64 v[50:51], v[38:39], v[42:43]
	v_mul_f64 v[42:43], v[36:37], v[42:43]
	v_fma_f64 v[32:33], v[32:33], v[2:3], -v[56:57]
	v_add_f64 v[0:1], v[24:25], v[0:1]
	v_fma_f64 v[2:3], v[34:35], v[2:3], v[48:49]
	v_add_f64 v[54:55], v[44:45], v[6:7]
	ds_load_b128 v[4:7], v12 offset:128
	ds_load_b128 v[24:27], v16 offset:4096
	ds_load_b128 v[28:31], v16 offset:4608
	ds_load_b128 v[44:47], v12 offset:144
	v_fma_f64 v[34:35], v[36:37], v[40:41], -v[50:51]
	v_fma_f64 v[50:51], v[38:39], v[40:41], v[42:43]
	s_waitcnt lgkmcnt(2)
	v_mul_f64 v[56:57], v[26:27], v[6:7]
	v_add_f64 v[0:1], v[0:1], v[52:53]
	v_mul_f64 v[6:7], v[24:25], v[6:7]
	s_waitcnt lgkmcnt(0)
	v_mul_f64 v[48:49], v[30:31], v[46:47]
	v_mul_f64 v[46:47], v[28:29], v[46:47]
	v_add_f64 v[32:33], v[54:55], v[32:33]
	v_fma_f64 v[24:25], v[24:25], v[4:5], -v[56:57]
	v_add_f64 v[52:53], v[0:1], v[2:3]
	v_fma_f64 v[4:5], v[26:27], v[4:5], v[6:7]
	v_fma_f64 v[6:7], v[28:29], v[44:45], -v[48:49]
	v_add_f64 v[54:55], v[32:33], v[34:35]
	ds_load_b128 v[0:3], v12 offset:160
	ds_load_b128 v[32:35], v16 offset:5120
	;; [unrolled: 1-line block ×4, first 2 shown]
	s_waitcnt lgkmcnt(2)
	v_mul_f64 v[56:57], v[34:35], v[2:3]
	v_add_f64 v[26:27], v[52:53], v[50:51]
	v_mul_f64 v[48:49], v[32:33], v[2:3]
	s_waitcnt lgkmcnt(0)
	v_mul_f64 v[50:51], v[38:39], v[42:43]
	v_fma_f64 v[52:53], v[30:31], v[44:45], v[46:47]
	v_mul_f64 v[42:43], v[36:37], v[42:43]
	v_add_f64 v[24:25], v[54:55], v[24:25]
	v_fma_f64 v[32:33], v[32:33], v[0:1], -v[56:57]
	v_add_f64 v[54:55], v[26:27], v[4:5]
	v_fma_f64 v[0:1], v[34:35], v[0:1], v[48:49]
	v_fma_f64 v[34:35], v[36:37], v[40:41], -v[50:51]
	v_add_f64 v[6:7], v[24:25], v[6:7]
	ds_load_b128 v[2:5], v12 offset:192
	ds_load_b128 v[24:27], v16 offset:6144
	;; [unrolled: 1-line block ×4, first 2 shown]
	s_waitcnt lgkmcnt(2)
	v_mul_f64 v[56:57], v[26:27], v[4:5]
	v_add_f64 v[36:37], v[54:55], v[52:53]
	v_mul_f64 v[48:49], v[24:25], v[4:5]
	s_waitcnt lgkmcnt(0)
	v_mul_f64 v[50:51], v[30:31], v[46:47]
	v_fma_f64 v[52:53], v[38:39], v[40:41], v[42:43]
	v_mul_f64 v[46:47], v[28:29], v[46:47]
	v_add_f64 v[6:7], v[6:7], v[32:33]
	v_fma_f64 v[24:25], v[24:25], v[2:3], -v[56:57]
	v_add_f64 v[0:1], v[36:37], v[0:1]
	v_fma_f64 v[2:3], v[26:27], v[2:3], v[48:49]
	v_fma_f64 v[26:27], v[28:29], v[44:45], -v[50:51]
	v_fma_f64 v[50:51], v[30:31], v[44:45], v[46:47]
	v_add_f64 v[54:55], v[6:7], v[34:35]
	ds_load_b128 v[4:7], v12 offset:224
	ds_load_b128 v[32:35], v16 offset:7168
	;; [unrolled: 1-line block ×4, first 2 shown]
	s_waitcnt lgkmcnt(2)
	v_mul_f64 v[56:57], v[34:35], v[6:7]
	v_add_f64 v[0:1], v[0:1], v[52:53]
	v_mul_f64 v[6:7], v[32:33], v[6:7]
	s_waitcnt lgkmcnt(0)
	v_mul_f64 v[48:49], v[38:39], v[42:43]
	v_mul_f64 v[42:43], v[36:37], v[42:43]
	v_add_f64 v[24:25], v[54:55], v[24:25]
	v_fma_f64 v[32:33], v[32:33], v[4:5], -v[56:57]
	v_add_f64 v[52:53], v[0:1], v[2:3]
	v_fma_f64 v[4:5], v[34:35], v[4:5], v[6:7]
	v_fma_f64 v[6:7], v[36:37], v[40:41], -v[48:49]
	v_add_f64 v[54:55], v[24:25], v[26:27]
	ds_load_b128 v[0:3], v12 offset:256
	ds_load_b128 v[24:27], v16 offset:8192
	ds_load_b128 v[28:31], v16 offset:8704
	ds_load_b128 v[44:47], v12 offset:272
	s_waitcnt lgkmcnt(2)
	v_mul_f64 v[56:57], v[26:27], v[2:3]
	v_add_f64 v[34:35], v[52:53], v[50:51]
	v_mul_f64 v[48:49], v[24:25], v[2:3]
	s_waitcnt lgkmcnt(0)
	v_mul_f64 v[50:51], v[30:31], v[46:47]
	v_fma_f64 v[52:53], v[38:39], v[40:41], v[42:43]
	v_mul_f64 v[46:47], v[28:29], v[46:47]
	v_add_f64 v[32:33], v[54:55], v[32:33]
	v_fma_f64 v[24:25], v[24:25], v[0:1], -v[56:57]
	v_add_f64 v[54:55], v[34:35], v[4:5]
	v_fma_f64 v[0:1], v[26:27], v[0:1], v[48:49]
	v_fma_f64 v[26:27], v[28:29], v[44:45], -v[50:51]
	v_add_f64 v[6:7], v[32:33], v[6:7]
	ds_load_b128 v[2:5], v12 offset:288
	ds_load_b128 v[32:35], v16 offset:9216
	ds_load_b128 v[36:39], v16 offset:9728
	ds_load_b128 v[40:43], v12 offset:304
	s_waitcnt lgkmcnt(2)
	v_mul_f64 v[56:57], v[34:35], v[4:5]
	v_add_f64 v[28:29], v[54:55], v[52:53]
	v_mul_f64 v[48:49], v[32:33], v[4:5]
	s_waitcnt lgkmcnt(0)
	v_mul_f64 v[50:51], v[38:39], v[42:43]
	v_fma_f64 v[52:53], v[30:31], v[44:45], v[46:47]
	v_mul_f64 v[42:43], v[36:37], v[42:43]
	v_add_f64 v[6:7], v[6:7], v[24:25]
	v_fma_f64 v[32:33], v[32:33], v[2:3], -v[56:57]
	v_add_f64 v[0:1], v[28:29], v[0:1]
	v_fma_f64 v[2:3], v[34:35], v[2:3], v[48:49]
	v_fma_f64 v[34:35], v[36:37], v[40:41], -v[50:51]
	v_fma_f64 v[50:51], v[38:39], v[40:41], v[42:43]
	v_add_f64 v[54:55], v[6:7], v[26:27]
	ds_load_b128 v[4:7], v12 offset:320
	ds_load_b128 v[24:27], v16 offset:10240
	;; [unrolled: 1-line block ×4, first 2 shown]
	s_waitcnt lgkmcnt(2)
	v_mul_f64 v[56:57], v[26:27], v[6:7]
	v_add_f64 v[0:1], v[0:1], v[52:53]
	v_mul_f64 v[6:7], v[24:25], v[6:7]
	s_waitcnt lgkmcnt(0)
	v_mul_f64 v[48:49], v[30:31], v[46:47]
	v_mul_f64 v[46:47], v[28:29], v[46:47]
	v_add_f64 v[32:33], v[54:55], v[32:33]
	v_fma_f64 v[24:25], v[24:25], v[4:5], -v[56:57]
	v_add_f64 v[52:53], v[0:1], v[2:3]
	v_fma_f64 v[4:5], v[26:27], v[4:5], v[6:7]
	v_fma_f64 v[6:7], v[28:29], v[44:45], -v[48:49]
	v_add_f64 v[54:55], v[32:33], v[34:35]
	ds_load_b128 v[0:3], v12 offset:352
	ds_load_b128 v[32:35], v16 offset:11264
	;; [unrolled: 1-line block ×4, first 2 shown]
	s_waitcnt lgkmcnt(2)
	v_mul_f64 v[56:57], v[34:35], v[2:3]
	v_add_f64 v[26:27], v[52:53], v[50:51]
	v_mul_f64 v[48:49], v[32:33], v[2:3]
	s_waitcnt lgkmcnt(0)
	v_mul_f64 v[50:51], v[38:39], v[42:43]
	v_fma_f64 v[52:53], v[30:31], v[44:45], v[46:47]
	v_mul_f64 v[42:43], v[36:37], v[42:43]
	v_add_f64 v[24:25], v[54:55], v[24:25]
	v_fma_f64 v[32:33], v[32:33], v[0:1], -v[56:57]
	v_add_f64 v[54:55], v[26:27], v[4:5]
	v_fma_f64 v[0:1], v[34:35], v[0:1], v[48:49]
	v_fma_f64 v[34:35], v[36:37], v[40:41], -v[50:51]
	v_add_f64 v[6:7], v[24:25], v[6:7]
	ds_load_b128 v[2:5], v12 offset:384
	ds_load_b128 v[24:27], v16 offset:12288
	;; [unrolled: 1-line block ×4, first 2 shown]
	s_waitcnt lgkmcnt(2)
	v_mul_f64 v[56:57], v[26:27], v[4:5]
	v_add_f64 v[36:37], v[54:55], v[52:53]
	v_mul_f64 v[48:49], v[24:25], v[4:5]
	s_waitcnt lgkmcnt(0)
	v_mul_f64 v[50:51], v[30:31], v[46:47]
	v_fma_f64 v[52:53], v[38:39], v[40:41], v[42:43]
	v_mul_f64 v[46:47], v[28:29], v[46:47]
	v_add_f64 v[6:7], v[6:7], v[32:33]
	v_fma_f64 v[24:25], v[24:25], v[2:3], -v[56:57]
	v_add_f64 v[0:1], v[36:37], v[0:1]
	v_fma_f64 v[2:3], v[26:27], v[2:3], v[48:49]
	v_fma_f64 v[26:27], v[28:29], v[44:45], -v[50:51]
	v_add_f64 v[54:55], v[6:7], v[34:35]
	ds_load_b128 v[4:7], v12 offset:416
	ds_load_b128 v[32:35], v16 offset:13312
	;; [unrolled: 1-line block ×4, first 2 shown]
	s_waitcnt lgkmcnt(2)
	v_mul_f64 v[56:57], v[34:35], v[6:7]
	v_add_f64 v[0:1], v[0:1], v[52:53]
	v_mul_f64 v[6:7], v[32:33], v[6:7]
	s_waitcnt lgkmcnt(0)
	v_mul_f64 v[52:53], v[38:39], v[42:43]
	v_mul_f64 v[42:43], v[36:37], v[42:43]
	v_add_f64 v[24:25], v[54:55], v[24:25]
	v_fma_f64 v[54:55], v[30:31], v[44:45], v[46:47]
	v_fma_f64 v[32:33], v[32:33], v[4:5], -v[56:57]
	v_add_f64 v[56:57], v[0:1], v[2:3]
	v_fma_f64 v[4:5], v[34:35], v[4:5], v[6:7]
	v_fma_f64 v[6:7], v[36:37], v[40:41], -v[52:53]
	v_add_f64 v[58:59], v[24:25], v[26:27]
	ds_load_b128 v[0:3], v12 offset:448
	ds_load_b128 v[24:27], v16 offset:14336
	global_load_b128 v[28:31], v[8:9], off
	ds_load_b128 v[44:47], v16 offset:14848
	ds_load_b128 v[48:51], v12 offset:464
	v_add_f64 v[34:35], v[56:57], v[54:55]
	s_waitcnt lgkmcnt(2)
	v_mul_f64 v[60:61], v[26:27], v[2:3]
	v_mul_f64 v[52:53], v[24:25], v[2:3]
	s_waitcnt lgkmcnt(0)
	v_mul_f64 v[54:55], v[46:47], v[50:51]
	v_fma_f64 v[56:57], v[38:39], v[40:41], v[42:43]
	v_mul_f64 v[50:51], v[44:45], v[50:51]
	v_add_f64 v[32:33], v[58:59], v[32:33]
	v_add_f64 v[58:59], v[34:35], v[4:5]
	v_fma_f64 v[24:25], v[24:25], v[0:1], -v[60:61]
	v_fma_f64 v[0:1], v[26:27], v[0:1], v[52:53]
	v_fma_f64 v[26:27], v[44:45], v[48:49], -v[54:55]
	v_fma_f64 v[46:47], v[46:47], v[48:49], v[50:51]
	v_add_f64 v[6:7], v[32:33], v[6:7]
	ds_load_b128 v[2:5], v12 offset:480
	ds_load_b128 v[32:35], v16 offset:15360
	ds_load_b128 v[36:39], v16 offset:15872
	ds_load_b128 v[40:43], v12 offset:496
	s_waitcnt lgkmcnt(2)
	v_mul_f64 v[60:61], v[34:35], v[4:5]
	v_add_f64 v[44:45], v[58:59], v[56:57]
	v_mul_f64 v[4:5], v[32:33], v[4:5]
	v_add_f64 v[6:7], v[6:7], v[24:25]
	s_waitcnt lgkmcnt(0)
	v_mul_f64 v[24:25], v[38:39], v[42:43]
	v_fma_f64 v[32:33], v[32:33], v[2:3], -v[60:61]
	v_add_f64 v[0:1], v[44:45], v[0:1]
	v_fma_f64 v[2:3], v[34:35], v[2:3], v[4:5]
	v_add_f64 v[6:7], v[6:7], v[26:27]
	v_mul_f64 v[26:27], v[36:37], v[42:43]
	v_fma_f64 v[4:5], v[36:37], v[40:41], -v[24:25]
	v_add_f64 v[0:1], v[0:1], v[46:47]
	s_delay_alu instid0(VALU_DEP_4) | instskip(NEXT) | instid1(VALU_DEP_4)
	v_add_f64 v[6:7], v[6:7], v[32:33]
	v_fma_f64 v[24:25], v[38:39], v[40:41], v[26:27]
	s_delay_alu instid0(VALU_DEP_3) | instskip(NEXT) | instid1(VALU_DEP_3)
	v_add_f64 v[0:1], v[0:1], v[2:3]
	v_add_f64 v[2:3], v[6:7], v[4:5]
	s_delay_alu instid0(VALU_DEP_2) | instskip(NEXT) | instid1(VALU_DEP_2)
	v_add_f64 v[0:1], v[0:1], v[24:25]
	v_mul_f64 v[4:5], s[4:5], v[2:3]
	v_mul_f64 v[2:3], s[6:7], v[2:3]
	s_delay_alu instid0(VALU_DEP_2) | instskip(NEXT) | instid1(VALU_DEP_2)
	v_fma_f64 v[4:5], s[6:7], v[0:1], v[4:5]
	v_fma_f64 v[2:3], s[4:5], v[0:1], -v[2:3]
	s_waitcnt vmcnt(0)
	s_delay_alu instid0(VALU_DEP_2) | instskip(NEXT) | instid1(VALU_DEP_2)
	v_add_f64 v[0:1], v[28:29], v[4:5]
	v_add_f64 v[2:3], v[30:31], v[2:3]
	global_store_b128 v[8:9], v[0:3], off
	s_branch .LBB1932_4
.LBB1932_17:
	s_endpgm
	.section	.rodata,"a",@progbits
	.p2align	6, 0x0
	.amdhsa_kernel _ZL26rocblas_syr2k_her2k_kernelIiLb1ELb1ELb0ELi32E19rocblas_complex_numIdEPKS1_PS1_EvbiT_T4_T5_S5_lS7_S5_lT6_S5_li
		.amdhsa_group_segment_fixed_size 32768
		.amdhsa_private_segment_fixed_size 0
		.amdhsa_kernarg_size 108
		.amdhsa_user_sgpr_count 13
		.amdhsa_user_sgpr_dispatch_ptr 0
		.amdhsa_user_sgpr_queue_ptr 0
		.amdhsa_user_sgpr_kernarg_segment_ptr 1
		.amdhsa_user_sgpr_dispatch_id 0
		.amdhsa_user_sgpr_private_segment_size 0
		.amdhsa_wavefront_size32 1
		.amdhsa_uses_dynamic_stack 0
		.amdhsa_enable_private_segment 0
		.amdhsa_system_sgpr_workgroup_id_x 1
		.amdhsa_system_sgpr_workgroup_id_y 1
		.amdhsa_system_sgpr_workgroup_id_z 1
		.amdhsa_system_sgpr_workgroup_info 0
		.amdhsa_system_vgpr_workitem_id 1
		.amdhsa_next_free_vgpr 64
		.amdhsa_next_free_sgpr 26
		.amdhsa_reserve_vcc 1
		.amdhsa_float_round_mode_32 0
		.amdhsa_float_round_mode_16_64 0
		.amdhsa_float_denorm_mode_32 3
		.amdhsa_float_denorm_mode_16_64 3
		.amdhsa_dx10_clamp 1
		.amdhsa_ieee_mode 1
		.amdhsa_fp16_overflow 0
		.amdhsa_workgroup_processor_mode 1
		.amdhsa_memory_ordered 1
		.amdhsa_forward_progress 0
		.amdhsa_shared_vgpr_count 0
		.amdhsa_exception_fp_ieee_invalid_op 0
		.amdhsa_exception_fp_denorm_src 0
		.amdhsa_exception_fp_ieee_div_zero 0
		.amdhsa_exception_fp_ieee_overflow 0
		.amdhsa_exception_fp_ieee_underflow 0
		.amdhsa_exception_fp_ieee_inexact 0
		.amdhsa_exception_int_div_zero 0
	.end_amdhsa_kernel
	.section	.text._ZL26rocblas_syr2k_her2k_kernelIiLb1ELb1ELb0ELi32E19rocblas_complex_numIdEPKS1_PS1_EvbiT_T4_T5_S5_lS7_S5_lT6_S5_li,"axG",@progbits,_ZL26rocblas_syr2k_her2k_kernelIiLb1ELb1ELb0ELi32E19rocblas_complex_numIdEPKS1_PS1_EvbiT_T4_T5_S5_lS7_S5_lT6_S5_li,comdat
.Lfunc_end1932:
	.size	_ZL26rocblas_syr2k_her2k_kernelIiLb1ELb1ELb0ELi32E19rocblas_complex_numIdEPKS1_PS1_EvbiT_T4_T5_S5_lS7_S5_lT6_S5_li, .Lfunc_end1932-_ZL26rocblas_syr2k_her2k_kernelIiLb1ELb1ELb0ELi32E19rocblas_complex_numIdEPKS1_PS1_EvbiT_T4_T5_S5_lS7_S5_lT6_S5_li
                                        ; -- End function
	.section	.AMDGPU.csdata,"",@progbits
; Kernel info:
; codeLenInByte = 5572
; NumSgprs: 28
; NumVgprs: 64
; ScratchSize: 0
; MemoryBound: 1
; FloatMode: 240
; IeeeMode: 1
; LDSByteSize: 32768 bytes/workgroup (compile time only)
; SGPRBlocks: 3
; VGPRBlocks: 7
; NumSGPRsForWavesPerEU: 28
; NumVGPRsForWavesPerEU: 64
; Occupancy: 16
; WaveLimiterHint : 0
; COMPUTE_PGM_RSRC2:SCRATCH_EN: 0
; COMPUTE_PGM_RSRC2:USER_SGPR: 13
; COMPUTE_PGM_RSRC2:TRAP_HANDLER: 0
; COMPUTE_PGM_RSRC2:TGID_X_EN: 1
; COMPUTE_PGM_RSRC2:TGID_Y_EN: 1
; COMPUTE_PGM_RSRC2:TGID_Z_EN: 1
; COMPUTE_PGM_RSRC2:TIDIG_COMP_CNT: 1
	.section	.text._ZL26rocblas_syr2k_her2k_kernelIiLb1ELb1ELb1ELi32E19rocblas_complex_numIdEPKS1_PS1_EvbiT_T4_T5_S5_lS7_S5_lT6_S5_li,"axG",@progbits,_ZL26rocblas_syr2k_her2k_kernelIiLb1ELb1ELb1ELi32E19rocblas_complex_numIdEPKS1_PS1_EvbiT_T4_T5_S5_lS7_S5_lT6_S5_li,comdat
	.globl	_ZL26rocblas_syr2k_her2k_kernelIiLb1ELb1ELb1ELi32E19rocblas_complex_numIdEPKS1_PS1_EvbiT_T4_T5_S5_lS7_S5_lT6_S5_li ; -- Begin function _ZL26rocblas_syr2k_her2k_kernelIiLb1ELb1ELb1ELi32E19rocblas_complex_numIdEPKS1_PS1_EvbiT_T4_T5_S5_lS7_S5_lT6_S5_li
	.p2align	8
	.type	_ZL26rocblas_syr2k_her2k_kernelIiLb1ELb1ELb1ELi32E19rocblas_complex_numIdEPKS1_PS1_EvbiT_T4_T5_S5_lS7_S5_lT6_S5_li,@function
_ZL26rocblas_syr2k_her2k_kernelIiLb1ELb1ELb1ELi32E19rocblas_complex_numIdEPKS1_PS1_EvbiT_T4_T5_S5_lS7_S5_lT6_S5_li: ; @_ZL26rocblas_syr2k_her2k_kernelIiLb1ELb1ELb1ELi32E19rocblas_complex_numIdEPKS1_PS1_EvbiT_T4_T5_S5_lS7_S5_lT6_S5_li
; %bb.0:
	s_load_b128 s[4:7], s[0:1], 0x10
	s_waitcnt lgkmcnt(0)
	v_cmp_eq_f64_e64 s2, s[4:5], 0
	v_cmp_eq_f64_e64 s3, s[6:7], 0
	s_delay_alu instid0(VALU_DEP_1) | instskip(NEXT) | instid1(SALU_CYCLE_1)
	s_and_b32 s2, s2, s3
	s_and_b32 vcc_lo, exec_lo, s2
	s_cbranch_vccnz .LBB1933_17
; %bb.1:
	s_load_b128 s[8:11], s[0:1], 0x0
	s_lshl_b32 s2, s14, 5
	s_lshl_b32 s3, s13, 5
	s_waitcnt lgkmcnt(0)
	s_and_b32 s8, 1, s8
	s_delay_alu instid0(SALU_CYCLE_1) | instskip(SKIP_1) | instid1(SALU_CYCLE_1)
	s_cmp_eq_u32 s8, 1
	s_cselect_b32 vcc_lo, -1, 0
	s_and_b32 s8, vcc_lo, exec_lo
	s_cselect_b32 s8, s3, s2
	s_cselect_b32 s11, s2, s3
	s_delay_alu instid0(SALU_CYCLE_1)
	s_cmp_gt_i32 s8, s11
	s_cbranch_scc1 .LBB1933_17
; %bb.2:
	s_cmp_lt_i32 s10, 1
	s_cbranch_scc1 .LBB1933_17
; %bb.3:
	s_clause 0x6
	s_load_b128 s[20:23], s[0:1], 0x30
	s_load_b128 s[16:19], s[0:1], 0x48
	s_load_b32 s8, s[0:1], 0x28
	s_load_b32 s11, s[0:1], 0x40
	;; [unrolled: 1-line block ×3, first 2 shown]
	s_load_b64 s[12:13], s[0:1], 0x60
	s_load_b64 s[24:25], s[0:1], 0x20
	v_and_b32_e32 v15, 0x3ff, v0
	v_bfe_u32 v14, v0, 10, 10
	s_delay_alu instid0(VALU_DEP_2) | instskip(NEXT) | instid1(VALU_DEP_2)
	v_add_nc_u32_e32 v0, s3, v15
	v_add_nc_u32_e32 v8, s2, v14
	v_lshlrev_b32_e32 v9, 4, v14
	v_lshlrev_b32_e32 v16, 9, v15
	s_delay_alu instid0(VALU_DEP_4) | instskip(NEXT) | instid1(VALU_DEP_4)
	v_ashrrev_i32_e32 v1, 31, v0
	v_cndmask_b32_e32 v6, v0, v8, vcc_lo
	v_cndmask_b32_e32 v7, v8, v0, vcc_lo
	v_cmp_gt_i32_e32 vcc_lo, s9, v0
	v_add_nc_u32_e32 v19, v16, v9
	s_waitcnt lgkmcnt(0)
	s_mul_i32 s1, s15, s21
	s_mul_hi_u32 s3, s15, s20
	s_mul_i32 s0, s15, s20
	s_add_i32 s1, s3, s1
	v_mad_i64_i32 v[2:3], null, s8, v0, 0
	s_lshl_b64 s[0:1], s[0:1], 4
	s_mul_i32 s17, s15, s17
	s_mul_hi_u32 s20, s15, s16
	s_add_u32 s21, s24, s0
	s_mul_i32 s2, s15, s16
	s_addc_u32 s24, s25, s1
	s_add_i32 s3, s20, s17
	s_mul_i32 s13, s15, s13
	s_lshl_b64 s[2:3], s[2:3], 4
	s_mul_hi_u32 s16, s15, s12
	v_lshlrev_b64 v[2:3], 4, v[2:3]
	v_mad_i64_i32 v[4:5], null, s11, v8, 0
	s_mul_i32 s0, s15, s12
	s_add_u32 s12, s22, s2
	s_addc_u32 s3, s23, s3
	s_add_i32 s1, s16, s13
	v_or_b32_e32 v20, 0x4000, v9
	s_lshl_b64 s[0:1], s[0:1], 4
	s_delay_alu instid0(SALU_CYCLE_1) | instskip(SKIP_1) | instid1(VALU_DEP_1)
	s_add_u32 s2, s18, s0
	v_add_co_u32 v17, s0, s21, v2
	v_add_co_ci_u32_e64 v18, s0, s24, v3, s0
	v_lshlrev_b64 v[2:3], 4, v[4:5]
	v_mad_i64_i32 v[4:5], null, s14, v8, 0
	s_addc_u32 s13, s19, s1
	v_cmp_gt_i32_e64 s0, s9, v8
	v_add_nc_u32_e32 v23, v20, v16
	s_delay_alu instid0(VALU_DEP_4) | instskip(NEXT) | instid1(VALU_DEP_1)
	v_add_co_u32 v21, s1, s12, v2
	v_add_co_ci_u32_e64 v22, s1, s3, v3, s1
	v_lshlrev_b64 v[2:3], 4, v[4:5]
	v_mad_i64_i32 v[4:5], null, s11, v0, 0
	v_cmp_le_i32_e64 s1, v7, v6
	v_lshlrev_b64 v[0:1], 4, v[0:1]
	v_mad_i64_i32 v[6:7], null, s8, v8, 0
	v_add_co_u32 v8, s2, s2, v2
	s_delay_alu instid0(VALU_DEP_1) | instskip(SKIP_1) | instid1(VALU_DEP_3)
	v_add_co_ci_u32_e64 v9, s2, s13, v3, s2
	v_lshlrev_b64 v[2:3], 4, v[4:5]
	v_add_co_u32 v8, s2, v8, v0
	s_delay_alu instid0(VALU_DEP_1) | instskip(SKIP_1) | instid1(VALU_DEP_4)
	v_add_co_ci_u32_e64 v9, s2, v9, v1, s2
	v_lshlrev_b64 v[0:1], 4, v[6:7]
	v_add_co_u32 v24, s2, s12, v2
	s_delay_alu instid0(VALU_DEP_1) | instskip(SKIP_1) | instid1(VALU_DEP_3)
	v_add_co_ci_u32_e64 v25, s2, s3, v3, s2
	s_and_b32 s9, s0, vcc_lo
	v_add_co_u32 v26, s2, s21, v0
	s_delay_alu instid0(VALU_DEP_1)
	v_add_co_ci_u32_e64 v27, s2, s24, v1, s2
	s_and_b32 s2, s9, s1
	s_mov_b32 s3, 0
	s_branch .LBB1933_5
.LBB1933_4:                             ;   in Loop: Header=BB1933_5 Depth=1
	s_or_b32 exec_lo, exec_lo, s1
	s_add_i32 s3, s3, 32
	s_waitcnt_vscnt null, 0x0
	s_cmp_lt_i32 s3, s10
	s_barrier
	buffer_gl0_inv
	s_cbranch_scc0 .LBB1933_17
.LBB1933_5:                             ; =>This Inner Loop Header: Depth=1
	v_add_nc_u32_e32 v10, s3, v14
	v_mov_b32_e32 v0, 0
	v_mov_b32_e32 v1, 0
	s_delay_alu instid0(VALU_DEP_3) | instskip(NEXT) | instid1(VALU_DEP_2)
	v_cmp_gt_i32_e64 s1, s10, v10
	v_dual_mov_b32 v5, v1 :: v_dual_mov_b32 v4, v0
	v_dual_mov_b32 v7, v1 :: v_dual_mov_b32 v6, v0
	s_delay_alu instid0(VALU_DEP_3) | instskip(NEXT) | instid1(SALU_CYCLE_1)
	s_and_b32 s8, vcc_lo, s1
	s_and_saveexec_b32 s9, s8
	s_cbranch_execz .LBB1933_7
; %bb.6:                                ;   in Loop: Header=BB1933_5 Depth=1
	v_ashrrev_i32_e32 v11, 31, v10
	s_delay_alu instid0(VALU_DEP_1) | instskip(NEXT) | instid1(VALU_DEP_1)
	v_lshlrev_b64 v[2:3], 4, v[10:11]
	v_add_co_u32 v2, s1, v17, v2
	s_delay_alu instid0(VALU_DEP_1)
	v_add_co_ci_u32_e64 v3, s1, v18, v3, s1
	global_load_b128 v[4:7], v[2:3], off
	s_waitcnt vmcnt(0)
	v_xor_b32_e32 v7, 0x80000000, v7
.LBB1933_7:                             ;   in Loop: Header=BB1933_5 Depth=1
	s_or_b32 exec_lo, exec_lo, s9
	v_dual_mov_b32 v3, v1 :: v_dual_add_nc_u32 v12, s3, v15
	v_mov_b32_e32 v2, v0
	ds_store_b128 v19, v[4:7]
	v_cmp_gt_i32_e64 s1, s10, v12
	s_delay_alu instid0(VALU_DEP_1) | instskip(NEXT) | instid1(SALU_CYCLE_1)
	s_and_b32 s9, s0, s1
	s_and_saveexec_b32 s11, s9
	s_cbranch_execz .LBB1933_9
; %bb.8:                                ;   in Loop: Header=BB1933_5 Depth=1
	v_ashrrev_i32_e32 v13, 31, v12
	s_delay_alu instid0(VALU_DEP_1) | instskip(NEXT) | instid1(VALU_DEP_1)
	v_lshlrev_b64 v[0:1], 4, v[12:13]
	v_add_co_u32 v0, s1, v21, v0
	s_delay_alu instid0(VALU_DEP_1)
	v_add_co_ci_u32_e64 v1, s1, v22, v1, s1
	global_load_b128 v[0:3], v[0:1], off
.LBB1933_9:                             ;   in Loop: Header=BB1933_5 Depth=1
	s_or_b32 exec_lo, exec_lo, s11
	s_waitcnt vmcnt(0)
	ds_store_b128 v23, v[0:3]
	s_waitcnt lgkmcnt(0)
	s_barrier
	buffer_gl0_inv
	s_and_saveexec_b32 s1, s2
	s_cbranch_execz .LBB1933_11
; %bb.10:                               ;   in Loop: Header=BB1933_5 Depth=1
	ds_load_b128 v[0:3], v20
	ds_load_b128 v[4:7], v16
	ds_load_b128 v[28:31], v16 offset:16
	ds_load_b128 v[32:35], v20 offset:512
	s_waitcnt lgkmcnt(2)
	v_mul_f64 v[36:37], v[0:1], v[6:7]
	v_mul_f64 v[6:7], v[2:3], v[6:7]
	s_waitcnt lgkmcnt(0)
	v_mul_f64 v[52:53], v[32:33], v[30:31]
	v_mul_f64 v[30:31], v[34:35], v[30:31]
	s_delay_alu instid0(VALU_DEP_4)
	v_fma_f64 v[2:3], v[2:3], v[4:5], v[36:37]
	ds_load_b128 v[36:39], v20 offset:1024
	ds_load_b128 v[40:43], v16 offset:32
	;; [unrolled: 1-line block ×4, first 2 shown]
	v_fma_f64 v[0:1], v[0:1], v[4:5], -v[6:7]
	v_fma_f64 v[4:5], v[34:35], v[28:29], v[52:53]
	v_fma_f64 v[56:57], v[32:33], v[28:29], -v[30:31]
	s_waitcnt lgkmcnt(2)
	v_mul_f64 v[54:55], v[36:37], v[42:43]
	v_mul_f64 v[42:43], v[38:39], v[42:43]
	s_waitcnt lgkmcnt(0)
	v_mul_f64 v[52:53], v[48:49], v[46:47]
	v_mul_f64 v[46:47], v[50:51], v[46:47]
	v_add_f64 v[2:3], v[2:3], 0
	v_fma_f64 v[38:39], v[38:39], v[40:41], v[54:55]
	v_add_f64 v[54:55], v[0:1], 0
	v_fma_f64 v[36:37], v[36:37], v[40:41], -v[42:43]
	v_fma_f64 v[40:41], v[50:51], v[44:45], v[52:53]
	v_add_f64 v[58:59], v[2:3], v[4:5]
	ds_load_b128 v[0:3], v16 offset:64
	ds_load_b128 v[4:7], v20 offset:2048
	ds_load_b128 v[28:31], v20 offset:2560
	ds_load_b128 v[32:35], v16 offset:80
	s_waitcnt lgkmcnt(2)
	v_mul_f64 v[60:61], v[4:5], v[2:3]
	v_add_f64 v[42:43], v[54:55], v[56:57]
	v_mul_f64 v[2:3], v[6:7], v[2:3]
	s_waitcnt lgkmcnt(0)
	v_mul_f64 v[52:53], v[28:29], v[34:35]
	v_fma_f64 v[54:55], v[48:49], v[44:45], -v[46:47]
	v_mul_f64 v[34:35], v[30:31], v[34:35]
	v_add_f64 v[38:39], v[58:59], v[38:39]
	v_fma_f64 v[6:7], v[6:7], v[0:1], v[60:61]
	v_add_f64 v[56:57], v[42:43], v[36:37]
	v_fma_f64 v[0:1], v[4:5], v[0:1], -v[2:3]
	v_fma_f64 v[2:3], v[30:31], v[32:33], v[52:53]
	v_add_f64 v[58:59], v[38:39], v[40:41]
	ds_load_b128 v[36:39], v16 offset:96
	ds_load_b128 v[40:43], v20 offset:3072
	ds_load_b128 v[44:47], v20 offset:3584
	ds_load_b128 v[48:51], v16 offset:112
	s_waitcnt lgkmcnt(2)
	v_mul_f64 v[60:61], v[40:41], v[38:39]
	v_add_f64 v[4:5], v[56:57], v[54:55]
	v_mul_f64 v[38:39], v[42:43], v[38:39]
	s_waitcnt lgkmcnt(0)
	v_mul_f64 v[52:53], v[44:45], v[50:51]
	v_fma_f64 v[54:55], v[28:29], v[32:33], -v[34:35]
	;; [unrolled: 18-line block ×11, first 2 shown]
	v_mul_f64 v[34:35], v[30:31], v[34:35]
	v_add_f64 v[42:43], v[58:59], v[42:43]
	v_fma_f64 v[6:7], v[6:7], v[0:1], v[60:61]
	v_add_f64 v[56:57], v[40:41], v[36:37]
	v_fma_f64 v[0:1], v[4:5], v[0:1], -v[2:3]
	v_fma_f64 v[2:3], v[30:31], v[32:33], v[52:53]
	v_add_f64 v[58:59], v[42:43], v[38:39]
	ds_load_b128 v[36:39], v16 offset:416
	ds_load_b128 v[40:43], v20 offset:13312
	;; [unrolled: 1-line block ×4, first 2 shown]
	s_waitcnt lgkmcnt(2)
	v_mul_f64 v[60:61], v[40:41], v[38:39]
	v_add_f64 v[4:5], v[56:57], v[54:55]
	v_mul_f64 v[38:39], v[42:43], v[38:39]
	s_waitcnt lgkmcnt(0)
	v_mul_f64 v[56:57], v[44:45], v[50:51]
	v_mul_f64 v[50:51], v[46:47], v[50:51]
	v_add_f64 v[6:7], v[58:59], v[6:7]
	v_fma_f64 v[58:59], v[28:29], v[32:33], -v[34:35]
	v_fma_f64 v[42:43], v[42:43], v[36:37], v[60:61]
	v_add_f64 v[60:61], v[4:5], v[0:1]
	v_fma_f64 v[36:37], v[40:41], v[36:37], -v[38:39]
	v_fma_f64 v[38:39], v[46:47], v[48:49], v[56:57]
	v_add_f64 v[62:63], v[6:7], v[2:3]
	ds_load_b128 v[0:3], v16 offset:448
	ds_load_b128 v[4:7], v20 offset:14336
	global_load_b128 v[28:31], v[8:9], off
	ds_load_b128 v[32:35], v20 offset:14848
	ds_load_b128 v[52:55], v16 offset:464
	v_add_f64 v[40:41], v[60:61], v[58:59]
	s_waitcnt lgkmcnt(2)
	v_mul_f64 v[64:65], v[4:5], v[2:3]
	v_mul_f64 v[2:3], v[6:7], v[2:3]
	s_waitcnt lgkmcnt(0)
	v_mul_f64 v[56:57], v[32:33], v[54:55]
	v_fma_f64 v[58:59], v[44:45], v[48:49], -v[50:51]
	v_mul_f64 v[54:55], v[34:35], v[54:55]
	v_add_f64 v[42:43], v[62:63], v[42:43]
	v_add_f64 v[60:61], v[40:41], v[36:37]
	v_fma_f64 v[6:7], v[6:7], v[0:1], v[64:65]
	v_fma_f64 v[0:1], v[4:5], v[0:1], -v[2:3]
	v_fma_f64 v[2:3], v[34:35], v[52:53], v[56:57]
	v_fma_f64 v[32:33], v[32:33], v[52:53], -v[54:55]
	v_add_f64 v[62:63], v[42:43], v[38:39]
	ds_load_b128 v[36:39], v16 offset:480
	ds_load_b128 v[40:43], v20 offset:15360
	;; [unrolled: 1-line block ×4, first 2 shown]
	s_waitcnt lgkmcnt(2)
	v_mul_f64 v[64:65], v[40:41], v[38:39]
	v_add_f64 v[4:5], v[60:61], v[58:59]
	v_mul_f64 v[34:35], v[42:43], v[38:39]
	s_waitcnt lgkmcnt(0)
	v_mul_f64 v[38:39], v[44:45], v[50:51]
	v_add_f64 v[6:7], v[62:63], v[6:7]
	v_fma_f64 v[42:43], v[42:43], v[36:37], v[64:65]
	v_add_f64 v[0:1], v[4:5], v[0:1]
	v_mul_f64 v[4:5], v[46:47], v[50:51]
	s_delay_alu instid0(VALU_DEP_4)
	v_add_f64 v[2:3], v[6:7], v[2:3]
	v_fma_f64 v[6:7], v[40:41], v[36:37], -v[34:35]
	v_fma_f64 v[34:35], v[46:47], v[48:49], v[38:39]
	v_add_f64 v[0:1], v[0:1], v[32:33]
	v_fma_f64 v[4:5], v[44:45], v[48:49], -v[4:5]
	v_add_f64 v[2:3], v[2:3], v[42:43]
	s_delay_alu instid0(VALU_DEP_3) | instskip(NEXT) | instid1(VALU_DEP_2)
	v_add_f64 v[0:1], v[0:1], v[6:7]
	v_add_f64 v[2:3], v[2:3], v[34:35]
	s_delay_alu instid0(VALU_DEP_2) | instskip(NEXT) | instid1(VALU_DEP_2)
	v_add_f64 v[0:1], v[0:1], v[4:5]
	v_mul_f64 v[4:5], s[6:7], v[2:3]
	v_mul_f64 v[2:3], s[4:5], v[2:3]
	s_delay_alu instid0(VALU_DEP_2) | instskip(NEXT) | instid1(VALU_DEP_2)
	v_fma_f64 v[4:5], s[4:5], v[0:1], -v[4:5]
	v_fma_f64 v[2:3], s[6:7], v[0:1], v[2:3]
	s_waitcnt vmcnt(0)
	s_delay_alu instid0(VALU_DEP_2) | instskip(NEXT) | instid1(VALU_DEP_2)
	v_add_f64 v[0:1], v[28:29], v[4:5]
	v_add_f64 v[2:3], v[30:31], v[2:3]
	global_store_b128 v[8:9], v[0:3], off
.LBB1933_11:                            ;   in Loop: Header=BB1933_5 Depth=1
	s_or_b32 exec_lo, exec_lo, s1
	v_mov_b32_e32 v2, 0
	v_mov_b32_e32 v3, 0
	s_waitcnt_vscnt null, 0x0
	s_barrier
	buffer_gl0_inv
	v_dual_mov_b32 v7, v3 :: v_dual_mov_b32 v6, v2
	v_dual_mov_b32 v5, v3 :: v_dual_mov_b32 v4, v2
	s_and_saveexec_b32 s11, s8
	s_cbranch_execz .LBB1933_13
; %bb.12:                               ;   in Loop: Header=BB1933_5 Depth=1
	v_ashrrev_i32_e32 v11, 31, v10
	s_delay_alu instid0(VALU_DEP_1) | instskip(NEXT) | instid1(VALU_DEP_1)
	v_lshlrev_b64 v[0:1], 4, v[10:11]
	v_add_co_u32 v0, s1, v24, v0
	s_delay_alu instid0(VALU_DEP_1)
	v_add_co_ci_u32_e64 v1, s1, v25, v1, s1
	global_load_b128 v[4:7], v[0:1], off
	s_waitcnt vmcnt(0)
	v_xor_b32_e32 v7, 0x80000000, v7
.LBB1933_13:                            ;   in Loop: Header=BB1933_5 Depth=1
	s_or_b32 exec_lo, exec_lo, s11
	v_dual_mov_b32 v0, v2 :: v_dual_mov_b32 v1, v3
	ds_store_b128 v19, v[4:7]
	s_and_saveexec_b32 s8, s9
	s_cbranch_execz .LBB1933_15
; %bb.14:                               ;   in Loop: Header=BB1933_5 Depth=1
	v_ashrrev_i32_e32 v13, 31, v12
	s_delay_alu instid0(VALU_DEP_1) | instskip(NEXT) | instid1(VALU_DEP_1)
	v_lshlrev_b64 v[0:1], 4, v[12:13]
	v_add_co_u32 v0, s1, v26, v0
	s_delay_alu instid0(VALU_DEP_1)
	v_add_co_ci_u32_e64 v1, s1, v27, v1, s1
	global_load_b128 v[0:3], v[0:1], off
.LBB1933_15:                            ;   in Loop: Header=BB1933_5 Depth=1
	s_or_b32 exec_lo, exec_lo, s8
	s_waitcnt vmcnt(0)
	ds_store_b128 v23, v[0:3]
	s_waitcnt lgkmcnt(0)
	s_barrier
	buffer_gl0_inv
	s_and_saveexec_b32 s1, s2
	s_cbranch_execz .LBB1933_4
; %bb.16:                               ;   in Loop: Header=BB1933_5 Depth=1
	ds_load_b128 v[0:3], v20
	ds_load_b128 v[4:7], v16
	ds_load_b128 v[10:13], v16 offset:16
	ds_load_b128 v[28:31], v20 offset:512
	s_waitcnt lgkmcnt(2)
	v_mul_f64 v[32:33], v[2:3], v[6:7]
	v_mul_f64 v[6:7], v[0:1], v[6:7]
	s_waitcnt lgkmcnt(0)
	v_mul_f64 v[48:49], v[30:31], v[12:13]
	v_mul_f64 v[12:13], v[28:29], v[12:13]
	s_delay_alu instid0(VALU_DEP_4)
	v_fma_f64 v[0:1], v[0:1], v[4:5], -v[32:33]
	ds_load_b128 v[32:35], v20 offset:1024
	ds_load_b128 v[36:39], v16 offset:32
	;; [unrolled: 1-line block ×4, first 2 shown]
	v_fma_f64 v[2:3], v[2:3], v[4:5], v[6:7]
	v_fma_f64 v[4:5], v[28:29], v[10:11], -v[48:49]
	v_fma_f64 v[52:53], v[30:31], v[10:11], v[12:13]
	s_waitcnt lgkmcnt(2)
	v_mul_f64 v[50:51], v[34:35], v[38:39]
	v_mul_f64 v[38:39], v[32:33], v[38:39]
	s_waitcnt lgkmcnt(0)
	v_mul_f64 v[48:49], v[46:47], v[42:43]
	v_mul_f64 v[42:43], v[44:45], v[42:43]
	v_add_f64 v[0:1], v[0:1], 0
	v_fma_f64 v[32:33], v[32:33], v[36:37], -v[50:51]
	v_add_f64 v[50:51], v[2:3], 0
	v_fma_f64 v[34:35], v[34:35], v[36:37], v[38:39]
	v_fma_f64 v[36:37], v[44:45], v[40:41], -v[48:49]
	v_fma_f64 v[46:47], v[46:47], v[40:41], v[42:43]
	v_add_f64 v[54:55], v[0:1], v[4:5]
	ds_load_b128 v[0:3], v16 offset:64
	ds_load_b128 v[4:7], v20 offset:2048
	;; [unrolled: 1-line block ×4, first 2 shown]
	s_waitcnt lgkmcnt(2)
	v_mul_f64 v[56:57], v[6:7], v[2:3]
	v_add_f64 v[38:39], v[50:51], v[52:53]
	v_mul_f64 v[44:45], v[4:5], v[2:3]
	s_waitcnt lgkmcnt(0)
	v_mul_f64 v[48:49], v[12:13], v[30:31]
	v_mul_f64 v[30:31], v[10:11], v[30:31]
	v_add_f64 v[32:33], v[54:55], v[32:33]
	v_fma_f64 v[50:51], v[4:5], v[0:1], -v[56:57]
	v_add_f64 v[52:53], v[38:39], v[34:35]
	v_fma_f64 v[0:1], v[6:7], v[0:1], v[44:45]
	v_fma_f64 v[6:7], v[10:11], v[28:29], -v[48:49]
	v_add_f64 v[54:55], v[32:33], v[36:37]
	ds_load_b128 v[2:5], v16 offset:96
	ds_load_b128 v[32:35], v20 offset:3072
	;; [unrolled: 1-line block ×4, first 2 shown]
	s_waitcnt lgkmcnt(2)
	v_mul_f64 v[56:57], v[34:35], v[4:5]
	v_add_f64 v[10:11], v[52:53], v[46:47]
	v_mul_f64 v[48:49], v[32:33], v[4:5]
	v_fma_f64 v[52:53], v[12:13], v[28:29], v[30:31]
	v_add_f64 v[44:45], v[54:55], v[50:51]
	s_waitcnt lgkmcnt(0)
	v_mul_f64 v[50:51], v[38:39], v[42:43]
	v_mul_f64 v[42:43], v[36:37], v[42:43]
	v_fma_f64 v[32:33], v[32:33], v[2:3], -v[56:57]
	v_add_f64 v[0:1], v[10:11], v[0:1]
	v_fma_f64 v[2:3], v[34:35], v[2:3], v[48:49]
	v_add_f64 v[54:55], v[44:45], v[6:7]
	ds_load_b128 v[4:7], v16 offset:128
	ds_load_b128 v[10:13], v20 offset:4096
	;; [unrolled: 1-line block ×4, first 2 shown]
	v_fma_f64 v[34:35], v[36:37], v[40:41], -v[50:51]
	v_fma_f64 v[50:51], v[38:39], v[40:41], v[42:43]
	s_waitcnt lgkmcnt(2)
	v_mul_f64 v[56:57], v[12:13], v[6:7]
	v_add_f64 v[0:1], v[0:1], v[52:53]
	v_mul_f64 v[6:7], v[10:11], v[6:7]
	s_waitcnt lgkmcnt(0)
	v_mul_f64 v[48:49], v[30:31], v[46:47]
	v_mul_f64 v[46:47], v[28:29], v[46:47]
	v_add_f64 v[32:33], v[54:55], v[32:33]
	v_fma_f64 v[10:11], v[10:11], v[4:5], -v[56:57]
	v_add_f64 v[52:53], v[0:1], v[2:3]
	v_fma_f64 v[4:5], v[12:13], v[4:5], v[6:7]
	v_fma_f64 v[6:7], v[28:29], v[44:45], -v[48:49]
	v_add_f64 v[54:55], v[32:33], v[34:35]
	ds_load_b128 v[0:3], v16 offset:160
	ds_load_b128 v[32:35], v20 offset:5120
	;; [unrolled: 1-line block ×4, first 2 shown]
	s_waitcnt lgkmcnt(2)
	v_mul_f64 v[56:57], v[34:35], v[2:3]
	v_add_f64 v[12:13], v[52:53], v[50:51]
	v_mul_f64 v[48:49], v[32:33], v[2:3]
	s_waitcnt lgkmcnt(0)
	v_mul_f64 v[50:51], v[38:39], v[42:43]
	v_fma_f64 v[52:53], v[30:31], v[44:45], v[46:47]
	v_mul_f64 v[42:43], v[36:37], v[42:43]
	v_add_f64 v[10:11], v[54:55], v[10:11]
	v_fma_f64 v[32:33], v[32:33], v[0:1], -v[56:57]
	v_add_f64 v[54:55], v[12:13], v[4:5]
	v_fma_f64 v[0:1], v[34:35], v[0:1], v[48:49]
	v_fma_f64 v[34:35], v[36:37], v[40:41], -v[50:51]
	v_add_f64 v[6:7], v[10:11], v[6:7]
	ds_load_b128 v[2:5], v16 offset:192
	ds_load_b128 v[10:13], v20 offset:6144
	;; [unrolled: 1-line block ×4, first 2 shown]
	s_waitcnt lgkmcnt(2)
	v_mul_f64 v[56:57], v[12:13], v[4:5]
	v_add_f64 v[36:37], v[54:55], v[52:53]
	v_mul_f64 v[48:49], v[10:11], v[4:5]
	s_waitcnt lgkmcnt(0)
	v_mul_f64 v[50:51], v[30:31], v[46:47]
	v_fma_f64 v[52:53], v[38:39], v[40:41], v[42:43]
	v_mul_f64 v[46:47], v[28:29], v[46:47]
	v_add_f64 v[6:7], v[6:7], v[32:33]
	v_fma_f64 v[10:11], v[10:11], v[2:3], -v[56:57]
	v_add_f64 v[0:1], v[36:37], v[0:1]
	v_fma_f64 v[2:3], v[12:13], v[2:3], v[48:49]
	v_fma_f64 v[12:13], v[28:29], v[44:45], -v[50:51]
	v_fma_f64 v[50:51], v[30:31], v[44:45], v[46:47]
	v_add_f64 v[54:55], v[6:7], v[34:35]
	ds_load_b128 v[4:7], v16 offset:224
	ds_load_b128 v[32:35], v20 offset:7168
	;; [unrolled: 1-line block ×4, first 2 shown]
	s_waitcnt lgkmcnt(2)
	v_mul_f64 v[56:57], v[34:35], v[6:7]
	v_add_f64 v[0:1], v[0:1], v[52:53]
	v_mul_f64 v[6:7], v[32:33], v[6:7]
	s_waitcnt lgkmcnt(0)
	v_mul_f64 v[48:49], v[38:39], v[42:43]
	v_mul_f64 v[42:43], v[36:37], v[42:43]
	v_add_f64 v[10:11], v[54:55], v[10:11]
	v_fma_f64 v[32:33], v[32:33], v[4:5], -v[56:57]
	v_add_f64 v[52:53], v[0:1], v[2:3]
	v_fma_f64 v[4:5], v[34:35], v[4:5], v[6:7]
	v_fma_f64 v[6:7], v[36:37], v[40:41], -v[48:49]
	v_add_f64 v[54:55], v[10:11], v[12:13]
	ds_load_b128 v[0:3], v16 offset:256
	ds_load_b128 v[10:13], v20 offset:8192
	;; [unrolled: 1-line block ×4, first 2 shown]
	s_waitcnt lgkmcnt(2)
	v_mul_f64 v[56:57], v[12:13], v[2:3]
	v_add_f64 v[34:35], v[52:53], v[50:51]
	v_mul_f64 v[48:49], v[10:11], v[2:3]
	s_waitcnt lgkmcnt(0)
	v_mul_f64 v[50:51], v[30:31], v[46:47]
	v_fma_f64 v[52:53], v[38:39], v[40:41], v[42:43]
	v_mul_f64 v[46:47], v[28:29], v[46:47]
	v_add_f64 v[32:33], v[54:55], v[32:33]
	v_fma_f64 v[10:11], v[10:11], v[0:1], -v[56:57]
	v_add_f64 v[54:55], v[34:35], v[4:5]
	v_fma_f64 v[0:1], v[12:13], v[0:1], v[48:49]
	v_fma_f64 v[12:13], v[28:29], v[44:45], -v[50:51]
	v_add_f64 v[6:7], v[32:33], v[6:7]
	ds_load_b128 v[2:5], v16 offset:288
	ds_load_b128 v[32:35], v20 offset:9216
	;; [unrolled: 1-line block ×4, first 2 shown]
	s_waitcnt lgkmcnt(2)
	v_mul_f64 v[56:57], v[34:35], v[4:5]
	v_add_f64 v[28:29], v[54:55], v[52:53]
	v_mul_f64 v[48:49], v[32:33], v[4:5]
	s_waitcnt lgkmcnt(0)
	v_mul_f64 v[50:51], v[38:39], v[42:43]
	v_fma_f64 v[52:53], v[30:31], v[44:45], v[46:47]
	v_mul_f64 v[42:43], v[36:37], v[42:43]
	v_add_f64 v[6:7], v[6:7], v[10:11]
	v_fma_f64 v[32:33], v[32:33], v[2:3], -v[56:57]
	v_add_f64 v[0:1], v[28:29], v[0:1]
	v_fma_f64 v[2:3], v[34:35], v[2:3], v[48:49]
	v_fma_f64 v[34:35], v[36:37], v[40:41], -v[50:51]
	v_fma_f64 v[50:51], v[38:39], v[40:41], v[42:43]
	v_add_f64 v[54:55], v[6:7], v[12:13]
	ds_load_b128 v[4:7], v16 offset:320
	ds_load_b128 v[10:13], v20 offset:10240
	;; [unrolled: 1-line block ×4, first 2 shown]
	s_waitcnt lgkmcnt(2)
	v_mul_f64 v[56:57], v[12:13], v[6:7]
	v_add_f64 v[0:1], v[0:1], v[52:53]
	v_mul_f64 v[6:7], v[10:11], v[6:7]
	s_waitcnt lgkmcnt(0)
	v_mul_f64 v[48:49], v[30:31], v[46:47]
	v_mul_f64 v[46:47], v[28:29], v[46:47]
	v_add_f64 v[32:33], v[54:55], v[32:33]
	v_fma_f64 v[10:11], v[10:11], v[4:5], -v[56:57]
	v_add_f64 v[52:53], v[0:1], v[2:3]
	v_fma_f64 v[4:5], v[12:13], v[4:5], v[6:7]
	v_fma_f64 v[6:7], v[28:29], v[44:45], -v[48:49]
	v_add_f64 v[54:55], v[32:33], v[34:35]
	ds_load_b128 v[0:3], v16 offset:352
	ds_load_b128 v[32:35], v20 offset:11264
	;; [unrolled: 1-line block ×4, first 2 shown]
	s_waitcnt lgkmcnt(2)
	v_mul_f64 v[56:57], v[34:35], v[2:3]
	v_add_f64 v[12:13], v[52:53], v[50:51]
	v_mul_f64 v[48:49], v[32:33], v[2:3]
	s_waitcnt lgkmcnt(0)
	v_mul_f64 v[50:51], v[38:39], v[42:43]
	v_fma_f64 v[52:53], v[30:31], v[44:45], v[46:47]
	v_mul_f64 v[42:43], v[36:37], v[42:43]
	v_add_f64 v[10:11], v[54:55], v[10:11]
	v_fma_f64 v[32:33], v[32:33], v[0:1], -v[56:57]
	v_add_f64 v[54:55], v[12:13], v[4:5]
	v_fma_f64 v[0:1], v[34:35], v[0:1], v[48:49]
	v_fma_f64 v[34:35], v[36:37], v[40:41], -v[50:51]
	v_add_f64 v[6:7], v[10:11], v[6:7]
	ds_load_b128 v[2:5], v16 offset:384
	ds_load_b128 v[10:13], v20 offset:12288
	;; [unrolled: 1-line block ×4, first 2 shown]
	s_waitcnt lgkmcnt(2)
	v_mul_f64 v[56:57], v[12:13], v[4:5]
	v_add_f64 v[36:37], v[54:55], v[52:53]
	v_mul_f64 v[48:49], v[10:11], v[4:5]
	s_waitcnt lgkmcnt(0)
	v_mul_f64 v[50:51], v[30:31], v[46:47]
	v_fma_f64 v[52:53], v[38:39], v[40:41], v[42:43]
	v_mul_f64 v[46:47], v[28:29], v[46:47]
	v_add_f64 v[6:7], v[6:7], v[32:33]
	v_fma_f64 v[10:11], v[10:11], v[2:3], -v[56:57]
	v_add_f64 v[0:1], v[36:37], v[0:1]
	v_fma_f64 v[2:3], v[12:13], v[2:3], v[48:49]
	v_fma_f64 v[12:13], v[28:29], v[44:45], -v[50:51]
	v_add_f64 v[54:55], v[6:7], v[34:35]
	ds_load_b128 v[4:7], v16 offset:416
	ds_load_b128 v[32:35], v20 offset:13312
	;; [unrolled: 1-line block ×4, first 2 shown]
	s_waitcnt lgkmcnt(2)
	v_mul_f64 v[56:57], v[34:35], v[6:7]
	v_add_f64 v[0:1], v[0:1], v[52:53]
	v_mul_f64 v[6:7], v[32:33], v[6:7]
	s_waitcnt lgkmcnt(0)
	v_mul_f64 v[52:53], v[38:39], v[42:43]
	v_mul_f64 v[42:43], v[36:37], v[42:43]
	v_add_f64 v[10:11], v[54:55], v[10:11]
	v_fma_f64 v[54:55], v[30:31], v[44:45], v[46:47]
	v_fma_f64 v[32:33], v[32:33], v[4:5], -v[56:57]
	v_add_f64 v[56:57], v[0:1], v[2:3]
	v_fma_f64 v[4:5], v[34:35], v[4:5], v[6:7]
	v_fma_f64 v[6:7], v[36:37], v[40:41], -v[52:53]
	v_add_f64 v[58:59], v[10:11], v[12:13]
	ds_load_b128 v[0:3], v16 offset:448
	ds_load_b128 v[10:13], v20 offset:14336
	global_load_b128 v[28:31], v[8:9], off
	ds_load_b128 v[44:47], v20 offset:14848
	ds_load_b128 v[48:51], v16 offset:464
	v_add_f64 v[34:35], v[56:57], v[54:55]
	s_waitcnt lgkmcnt(2)
	v_mul_f64 v[60:61], v[12:13], v[2:3]
	v_mul_f64 v[52:53], v[10:11], v[2:3]
	s_waitcnt lgkmcnt(0)
	v_mul_f64 v[54:55], v[46:47], v[50:51]
	v_fma_f64 v[56:57], v[38:39], v[40:41], v[42:43]
	v_mul_f64 v[50:51], v[44:45], v[50:51]
	v_add_f64 v[32:33], v[58:59], v[32:33]
	v_add_f64 v[58:59], v[34:35], v[4:5]
	v_fma_f64 v[10:11], v[10:11], v[0:1], -v[60:61]
	v_fma_f64 v[0:1], v[12:13], v[0:1], v[52:53]
	v_fma_f64 v[12:13], v[44:45], v[48:49], -v[54:55]
	v_fma_f64 v[46:47], v[46:47], v[48:49], v[50:51]
	v_add_f64 v[6:7], v[32:33], v[6:7]
	ds_load_b128 v[2:5], v16 offset:480
	ds_load_b128 v[32:35], v20 offset:15360
	;; [unrolled: 1-line block ×4, first 2 shown]
	s_waitcnt lgkmcnt(2)
	v_mul_f64 v[60:61], v[34:35], v[4:5]
	v_add_f64 v[44:45], v[58:59], v[56:57]
	v_mul_f64 v[4:5], v[32:33], v[4:5]
	v_add_f64 v[6:7], v[6:7], v[10:11]
	s_waitcnt lgkmcnt(0)
	v_mul_f64 v[10:11], v[38:39], v[42:43]
	v_fma_f64 v[32:33], v[32:33], v[2:3], -v[60:61]
	v_add_f64 v[0:1], v[44:45], v[0:1]
	v_fma_f64 v[2:3], v[34:35], v[2:3], v[4:5]
	v_add_f64 v[6:7], v[6:7], v[12:13]
	v_mul_f64 v[12:13], v[36:37], v[42:43]
	v_fma_f64 v[4:5], v[36:37], v[40:41], -v[10:11]
	v_add_f64 v[0:1], v[0:1], v[46:47]
	s_delay_alu instid0(VALU_DEP_4) | instskip(NEXT) | instid1(VALU_DEP_4)
	v_add_f64 v[6:7], v[6:7], v[32:33]
	v_fma_f64 v[10:11], v[38:39], v[40:41], v[12:13]
	s_delay_alu instid0(VALU_DEP_3) | instskip(NEXT) | instid1(VALU_DEP_3)
	v_add_f64 v[0:1], v[0:1], v[2:3]
	v_add_f64 v[2:3], v[6:7], v[4:5]
	s_delay_alu instid0(VALU_DEP_2) | instskip(NEXT) | instid1(VALU_DEP_2)
	v_add_f64 v[0:1], v[0:1], v[10:11]
	v_mul_f64 v[4:5], s[4:5], v[2:3]
	v_mul_f64 v[2:3], s[6:7], v[2:3]
	s_delay_alu instid0(VALU_DEP_2) | instskip(NEXT) | instid1(VALU_DEP_2)
	v_fma_f64 v[4:5], s[6:7], v[0:1], v[4:5]
	v_fma_f64 v[2:3], s[4:5], v[0:1], -v[2:3]
	s_waitcnt vmcnt(0)
	s_delay_alu instid0(VALU_DEP_2) | instskip(NEXT) | instid1(VALU_DEP_2)
	v_add_f64 v[0:1], v[28:29], v[4:5]
	v_add_f64 v[2:3], v[30:31], v[2:3]
	global_store_b128 v[8:9], v[0:3], off
	s_branch .LBB1933_4
.LBB1933_17:
	s_endpgm
	.section	.rodata,"a",@progbits
	.p2align	6, 0x0
	.amdhsa_kernel _ZL26rocblas_syr2k_her2k_kernelIiLb1ELb1ELb1ELi32E19rocblas_complex_numIdEPKS1_PS1_EvbiT_T4_T5_S5_lS7_S5_lT6_S5_li
		.amdhsa_group_segment_fixed_size 32768
		.amdhsa_private_segment_fixed_size 0
		.amdhsa_kernarg_size 108
		.amdhsa_user_sgpr_count 13
		.amdhsa_user_sgpr_dispatch_ptr 0
		.amdhsa_user_sgpr_queue_ptr 0
		.amdhsa_user_sgpr_kernarg_segment_ptr 1
		.amdhsa_user_sgpr_dispatch_id 0
		.amdhsa_user_sgpr_private_segment_size 0
		.amdhsa_wavefront_size32 1
		.amdhsa_uses_dynamic_stack 0
		.amdhsa_enable_private_segment 0
		.amdhsa_system_sgpr_workgroup_id_x 1
		.amdhsa_system_sgpr_workgroup_id_y 1
		.amdhsa_system_sgpr_workgroup_id_z 1
		.amdhsa_system_sgpr_workgroup_info 0
		.amdhsa_system_vgpr_workitem_id 1
		.amdhsa_next_free_vgpr 66
		.amdhsa_next_free_sgpr 26
		.amdhsa_reserve_vcc 1
		.amdhsa_float_round_mode_32 0
		.amdhsa_float_round_mode_16_64 0
		.amdhsa_float_denorm_mode_32 3
		.amdhsa_float_denorm_mode_16_64 3
		.amdhsa_dx10_clamp 1
		.amdhsa_ieee_mode 1
		.amdhsa_fp16_overflow 0
		.amdhsa_workgroup_processor_mode 1
		.amdhsa_memory_ordered 1
		.amdhsa_forward_progress 0
		.amdhsa_shared_vgpr_count 0
		.amdhsa_exception_fp_ieee_invalid_op 0
		.amdhsa_exception_fp_denorm_src 0
		.amdhsa_exception_fp_ieee_div_zero 0
		.amdhsa_exception_fp_ieee_overflow 0
		.amdhsa_exception_fp_ieee_underflow 0
		.amdhsa_exception_fp_ieee_inexact 0
		.amdhsa_exception_int_div_zero 0
	.end_amdhsa_kernel
	.section	.text._ZL26rocblas_syr2k_her2k_kernelIiLb1ELb1ELb1ELi32E19rocblas_complex_numIdEPKS1_PS1_EvbiT_T4_T5_S5_lS7_S5_lT6_S5_li,"axG",@progbits,_ZL26rocblas_syr2k_her2k_kernelIiLb1ELb1ELb1ELi32E19rocblas_complex_numIdEPKS1_PS1_EvbiT_T4_T5_S5_lS7_S5_lT6_S5_li,comdat
.Lfunc_end1933:
	.size	_ZL26rocblas_syr2k_her2k_kernelIiLb1ELb1ELb1ELi32E19rocblas_complex_numIdEPKS1_PS1_EvbiT_T4_T5_S5_lS7_S5_lT6_S5_li, .Lfunc_end1933-_ZL26rocblas_syr2k_her2k_kernelIiLb1ELb1ELb1ELi32E19rocblas_complex_numIdEPKS1_PS1_EvbiT_T4_T5_S5_lS7_S5_lT6_S5_li
                                        ; -- End function
	.section	.AMDGPU.csdata,"",@progbits
; Kernel info:
; codeLenInByte = 5612
; NumSgprs: 28
; NumVgprs: 66
; ScratchSize: 0
; MemoryBound: 1
; FloatMode: 240
; IeeeMode: 1
; LDSByteSize: 32768 bytes/workgroup (compile time only)
; SGPRBlocks: 3
; VGPRBlocks: 8
; NumSGPRsForWavesPerEU: 28
; NumVGPRsForWavesPerEU: 66
; Occupancy: 16
; WaveLimiterHint : 0
; COMPUTE_PGM_RSRC2:SCRATCH_EN: 0
; COMPUTE_PGM_RSRC2:USER_SGPR: 13
; COMPUTE_PGM_RSRC2:TRAP_HANDLER: 0
; COMPUTE_PGM_RSRC2:TGID_X_EN: 1
; COMPUTE_PGM_RSRC2:TGID_Y_EN: 1
; COMPUTE_PGM_RSRC2:TGID_Z_EN: 1
; COMPUTE_PGM_RSRC2:TIDIG_COMP_CNT: 1
	.section	.text._ZL26rocblas_syr2k_her2k_kernelIiLb1ELb1ELb0ELi32EPK19rocblas_complex_numIdES3_PS1_EvbiT_T4_T5_S5_lS7_S5_lT6_S5_li,"axG",@progbits,_ZL26rocblas_syr2k_her2k_kernelIiLb1ELb1ELb0ELi32EPK19rocblas_complex_numIdES3_PS1_EvbiT_T4_T5_S5_lS7_S5_lT6_S5_li,comdat
	.globl	_ZL26rocblas_syr2k_her2k_kernelIiLb1ELb1ELb0ELi32EPK19rocblas_complex_numIdES3_PS1_EvbiT_T4_T5_S5_lS7_S5_lT6_S5_li ; -- Begin function _ZL26rocblas_syr2k_her2k_kernelIiLb1ELb1ELb0ELi32EPK19rocblas_complex_numIdES3_PS1_EvbiT_T4_T5_S5_lS7_S5_lT6_S5_li
	.p2align	8
	.type	_ZL26rocblas_syr2k_her2k_kernelIiLb1ELb1ELb0ELi32EPK19rocblas_complex_numIdES3_PS1_EvbiT_T4_T5_S5_lS7_S5_lT6_S5_li,@function
_ZL26rocblas_syr2k_her2k_kernelIiLb1ELb1ELb0ELi32EPK19rocblas_complex_numIdES3_PS1_EvbiT_T4_T5_S5_lS7_S5_lT6_S5_li: ; @_ZL26rocblas_syr2k_her2k_kernelIiLb1ELb1ELb0ELi32EPK19rocblas_complex_numIdES3_PS1_EvbiT_T4_T5_S5_lS7_S5_lT6_S5_li
; %bb.0:
	s_load_b128 s[16:19], s[0:1], 0x10
	s_waitcnt lgkmcnt(0)
	s_load_b128 s[4:7], s[16:17], 0x0
	s_waitcnt lgkmcnt(0)
	v_cmp_eq_f64_e64 s2, s[4:5], 0
	v_cmp_eq_f64_e64 s3, s[6:7], 0
	s_delay_alu instid0(VALU_DEP_1) | instskip(NEXT) | instid1(SALU_CYCLE_1)
	s_and_b32 s2, s2, s3
	s_and_b32 vcc_lo, exec_lo, s2
	s_cbranch_vccnz .LBB1934_17
; %bb.1:
	s_load_b128 s[8:11], s[0:1], 0x0
	s_lshl_b32 s2, s14, 5
	s_waitcnt lgkmcnt(0)
	s_and_b32 s3, 1, s8
	s_lshl_b32 s8, s13, 5
	s_cmp_eq_u32 s3, 1
	s_cselect_b32 vcc_lo, -1, 0
	s_delay_alu instid0(SALU_CYCLE_1) | instskip(SKIP_2) | instid1(SALU_CYCLE_1)
	s_and_b32 s3, vcc_lo, exec_lo
	s_cselect_b32 s3, s8, s2
	s_cselect_b32 s11, s2, s8
	s_cmp_gt_i32 s3, s11
	s_cbranch_scc1 .LBB1934_17
; %bb.2:
	s_cmp_lt_i32 s10, 1
	s_cbranch_scc1 .LBB1934_17
; %bb.3:
	s_clause 0x1
	s_load_b128 s[24:27], s[0:1], 0x28
	s_load_b128 s[20:23], s[0:1], 0x40
	v_bfe_u32 v10, v0, 10, 10
	v_and_b32_e32 v11, 0x3ff, v0
	s_clause 0x1
	s_load_b64 s[12:13], s[0:1], 0x58
	s_load_b32 s3, s[0:1], 0x20
	v_add_nc_u32_e32 v0, s2, v10
	v_add_nc_u32_e32 v1, s8, v11
	s_clause 0x1
	s_load_b32 s8, s[0:1], 0x38
	s_load_b32 s2, s[0:1], 0x50
	s_delay_alu instid0(VALU_DEP_1)
	v_dual_cndmask_b32 v9, v1, v0 :: v_dual_lshlrev_b32 v8, 4, v10
	v_ashrrev_i32_e32 v2, 31, v1
	v_cndmask_b32_e32 v20, v0, v1, vcc_lo
	v_cmp_gt_i32_e32 vcc_lo, s9, v1
	v_lshlrev_b32_e32 v12, 9, v11
	v_or_b32_e32 v16, 0x4000, v8
	v_lshlrev_b64 v[2:3], 4, v[1:2]
	s_waitcnt lgkmcnt(0)
	s_mul_i32 s1, s15, s25
	s_mul_hi_u32 s11, s15, s24
	s_mul_i32 s0, s15, s24
	s_add_i32 s1, s11, s1
	s_mul_i32 s14, s15, s21
	s_lshl_b64 s[0:1], s[0:1], 4
	s_mul_hi_u32 s17, s15, s20
	s_add_u32 s18, s18, s0
	s_mul_i32 s16, s15, s20
	s_addc_u32 s19, s19, s1
	s_add_i32 s17, s17, s14
	s_mul_i32 s11, s15, s13
	s_lshl_b64 s[0:1], s[16:17], 4
	s_mul_hi_u32 s13, s15, s12
	s_add_u32 s14, s26, s0
	v_mad_i64_i32 v[4:5], null, s2, v0, 0
	s_mul_i32 s12, s15, s12
	s_addc_u32 s15, s27, s1
	s_add_i32 s13, s13, s11
	v_ashrrev_i32_e32 v1, 31, v0
	s_lshl_b64 s[0:1], s[12:13], 4
	v_add_nc_u32_e32 v15, v12, v8
	s_add_u32 s11, s22, s0
	v_add_co_u32 v13, s0, s18, v2
	s_delay_alu instid0(VALU_DEP_1)
	v_add_co_ci_u32_e64 v14, s0, s19, v3, s0
	v_lshlrev_b64 v[6:7], 4, v[0:1]
	v_cmp_gt_i32_e64 s0, s9, v0
	v_lshlrev_b64 v[0:1], 4, v[4:5]
	s_addc_u32 s12, s23, s1
	v_add_nc_u32_e32 v19, v16, v12
	s_delay_alu instid0(VALU_DEP_4) | instskip(NEXT) | instid1(VALU_DEP_3)
	v_add_co_u32 v17, s1, s14, v6
	v_add_co_u32 v0, s2, s11, v0
	s_delay_alu instid0(VALU_DEP_1) | instskip(SKIP_1) | instid1(VALU_DEP_3)
	v_add_co_ci_u32_e64 v1, s2, s12, v1, s2
	v_add_co_ci_u32_e64 v18, s1, s15, v7, s1
	v_add_co_u32 v8, s2, v0, v2
	v_cmp_le_i32_e64 s1, v20, v9
	s_delay_alu instid0(VALU_DEP_4) | instskip(SKIP_1) | instid1(VALU_DEP_1)
	v_add_co_ci_u32_e64 v9, s2, v1, v3, s2
	v_add_co_u32 v20, s2, s14, v2
	v_add_co_ci_u32_e64 v21, s2, s15, v3, s2
	v_add_co_u32 v22, s2, s18, v6
	s_delay_alu instid0(VALU_DEP_1) | instskip(SKIP_1) | instid1(SALU_CYCLE_1)
	v_add_co_ci_u32_e64 v23, s2, s19, v7, s2
	s_and_b32 s9, s0, vcc_lo
	s_and_b32 s2, s9, s1
	s_mov_b32 s9, 0
	s_branch .LBB1934_5
.LBB1934_4:                             ;   in Loop: Header=BB1934_5 Depth=1
	s_or_b32 exec_lo, exec_lo, s1
	s_add_i32 s9, s9, 32
	s_waitcnt_vscnt null, 0x0
	s_cmp_lt_i32 s9, s10
	s_barrier
	buffer_gl0_inv
	s_cbranch_scc0 .LBB1934_17
.LBB1934_5:                             ; =>This Inner Loop Header: Depth=1
	v_add_nc_u32_e32 v24, s9, v10
	v_mov_b32_e32 v0, 0
	v_mov_b32_e32 v1, 0
	s_delay_alu instid0(VALU_DEP_3) | instskip(NEXT) | instid1(VALU_DEP_2)
	v_cmp_gt_i32_e64 s1, s10, v24
	v_dual_mov_b32 v5, v1 :: v_dual_mov_b32 v4, v0
	v_dual_mov_b32 v7, v1 :: v_dual_mov_b32 v6, v0
	s_delay_alu instid0(VALU_DEP_3) | instskip(NEXT) | instid1(SALU_CYCLE_1)
	s_and_b32 s11, vcc_lo, s1
	s_and_saveexec_b32 s12, s11
	s_cbranch_execz .LBB1934_7
; %bb.6:                                ;   in Loop: Header=BB1934_5 Depth=1
	v_mad_i64_i32 v[2:3], null, v24, s3, 0
	s_delay_alu instid0(VALU_DEP_1) | instskip(NEXT) | instid1(VALU_DEP_1)
	v_lshlrev_b64 v[2:3], 4, v[2:3]
	v_add_co_u32 v2, s1, v13, v2
	s_delay_alu instid0(VALU_DEP_1)
	v_add_co_ci_u32_e64 v3, s1, v14, v3, s1
	global_load_b128 v[4:7], v[2:3], off
.LBB1934_7:                             ;   in Loop: Header=BB1934_5 Depth=1
	s_or_b32 exec_lo, exec_lo, s12
	v_add_nc_u32_e32 v25, s9, v11
	v_dual_mov_b32 v3, v1 :: v_dual_mov_b32 v2, v0
	s_waitcnt vmcnt(0)
	ds_store_b128 v15, v[4:7]
	v_cmp_gt_i32_e64 s1, s10, v25
	s_delay_alu instid0(VALU_DEP_1) | instskip(NEXT) | instid1(SALU_CYCLE_1)
	s_and_b32 s12, s0, s1
	s_and_saveexec_b32 s13, s12
	s_cbranch_execz .LBB1934_9
; %bb.8:                                ;   in Loop: Header=BB1934_5 Depth=1
	v_mad_i64_i32 v[0:1], null, v25, s8, 0
	s_delay_alu instid0(VALU_DEP_1) | instskip(NEXT) | instid1(VALU_DEP_1)
	v_lshlrev_b64 v[0:1], 4, v[0:1]
	v_add_co_u32 v0, s1, v17, v0
	s_delay_alu instid0(VALU_DEP_1)
	v_add_co_ci_u32_e64 v1, s1, v18, v1, s1
	global_load_b128 v[0:3], v[0:1], off
	s_waitcnt vmcnt(0)
	v_xor_b32_e32 v3, 0x80000000, v3
.LBB1934_9:                             ;   in Loop: Header=BB1934_5 Depth=1
	s_or_b32 exec_lo, exec_lo, s13
	ds_store_b128 v19, v[0:3]
	s_waitcnt lgkmcnt(0)
	s_barrier
	buffer_gl0_inv
	s_and_saveexec_b32 s1, s2
	s_cbranch_execz .LBB1934_11
; %bb.10:                               ;   in Loop: Header=BB1934_5 Depth=1
	ds_load_b128 v[0:3], v16
	ds_load_b128 v[4:7], v12
	ds_load_b128 v[26:29], v12 offset:16
	ds_load_b128 v[30:33], v16 offset:512
	s_waitcnt lgkmcnt(2)
	v_mul_f64 v[34:35], v[0:1], v[6:7]
	v_mul_f64 v[6:7], v[2:3], v[6:7]
	s_waitcnt lgkmcnt(0)
	v_mul_f64 v[50:51], v[30:31], v[28:29]
	v_mul_f64 v[28:29], v[32:33], v[28:29]
	s_delay_alu instid0(VALU_DEP_4)
	v_fma_f64 v[2:3], v[2:3], v[4:5], v[34:35]
	ds_load_b128 v[34:37], v16 offset:1024
	ds_load_b128 v[38:41], v12 offset:32
	;; [unrolled: 1-line block ×4, first 2 shown]
	v_fma_f64 v[0:1], v[0:1], v[4:5], -v[6:7]
	v_fma_f64 v[4:5], v[32:33], v[26:27], v[50:51]
	v_fma_f64 v[54:55], v[30:31], v[26:27], -v[28:29]
	s_waitcnt lgkmcnt(2)
	v_mul_f64 v[52:53], v[34:35], v[40:41]
	v_mul_f64 v[40:41], v[36:37], v[40:41]
	s_waitcnt lgkmcnt(0)
	v_mul_f64 v[50:51], v[46:47], v[44:45]
	v_mul_f64 v[44:45], v[48:49], v[44:45]
	v_add_f64 v[2:3], v[2:3], 0
	v_fma_f64 v[36:37], v[36:37], v[38:39], v[52:53]
	v_add_f64 v[52:53], v[0:1], 0
	v_fma_f64 v[34:35], v[34:35], v[38:39], -v[40:41]
	v_fma_f64 v[38:39], v[48:49], v[42:43], v[50:51]
	v_add_f64 v[56:57], v[2:3], v[4:5]
	ds_load_b128 v[0:3], v12 offset:64
	ds_load_b128 v[4:7], v16 offset:2048
	ds_load_b128 v[26:29], v16 offset:2560
	ds_load_b128 v[30:33], v12 offset:80
	s_waitcnt lgkmcnt(2)
	v_mul_f64 v[58:59], v[4:5], v[2:3]
	v_add_f64 v[40:41], v[52:53], v[54:55]
	v_mul_f64 v[2:3], v[6:7], v[2:3]
	s_waitcnt lgkmcnt(0)
	v_mul_f64 v[50:51], v[26:27], v[32:33]
	v_fma_f64 v[52:53], v[46:47], v[42:43], -v[44:45]
	v_mul_f64 v[32:33], v[28:29], v[32:33]
	v_add_f64 v[36:37], v[56:57], v[36:37]
	v_fma_f64 v[6:7], v[6:7], v[0:1], v[58:59]
	v_add_f64 v[54:55], v[40:41], v[34:35]
	v_fma_f64 v[0:1], v[4:5], v[0:1], -v[2:3]
	v_fma_f64 v[2:3], v[28:29], v[30:31], v[50:51]
	v_add_f64 v[56:57], v[36:37], v[38:39]
	ds_load_b128 v[34:37], v12 offset:96
	ds_load_b128 v[38:41], v16 offset:3072
	ds_load_b128 v[42:45], v16 offset:3584
	ds_load_b128 v[46:49], v12 offset:112
	s_waitcnt lgkmcnt(2)
	v_mul_f64 v[58:59], v[38:39], v[36:37]
	v_add_f64 v[4:5], v[54:55], v[52:53]
	v_mul_f64 v[36:37], v[40:41], v[36:37]
	s_waitcnt lgkmcnt(0)
	v_mul_f64 v[50:51], v[42:43], v[48:49]
	v_fma_f64 v[52:53], v[26:27], v[30:31], -v[32:33]
	;; [unrolled: 18-line block ×11, first 2 shown]
	v_mul_f64 v[32:33], v[28:29], v[32:33]
	v_add_f64 v[40:41], v[56:57], v[40:41]
	v_fma_f64 v[6:7], v[6:7], v[0:1], v[58:59]
	v_add_f64 v[54:55], v[38:39], v[34:35]
	v_fma_f64 v[0:1], v[4:5], v[0:1], -v[2:3]
	v_fma_f64 v[2:3], v[28:29], v[30:31], v[50:51]
	v_add_f64 v[56:57], v[40:41], v[36:37]
	ds_load_b128 v[34:37], v12 offset:416
	ds_load_b128 v[38:41], v16 offset:13312
	;; [unrolled: 1-line block ×4, first 2 shown]
	s_waitcnt lgkmcnt(2)
	v_mul_f64 v[58:59], v[38:39], v[36:37]
	v_add_f64 v[4:5], v[54:55], v[52:53]
	v_mul_f64 v[36:37], v[40:41], v[36:37]
	s_waitcnt lgkmcnt(0)
	v_mul_f64 v[54:55], v[42:43], v[48:49]
	v_mul_f64 v[48:49], v[44:45], v[48:49]
	v_add_f64 v[6:7], v[56:57], v[6:7]
	v_fma_f64 v[56:57], v[26:27], v[30:31], -v[32:33]
	v_fma_f64 v[40:41], v[40:41], v[34:35], v[58:59]
	v_add_f64 v[58:59], v[4:5], v[0:1]
	v_fma_f64 v[34:35], v[38:39], v[34:35], -v[36:37]
	v_fma_f64 v[36:37], v[44:45], v[46:47], v[54:55]
	v_add_f64 v[60:61], v[6:7], v[2:3]
	ds_load_b128 v[0:3], v12 offset:448
	ds_load_b128 v[4:7], v16 offset:14336
	global_load_b128 v[26:29], v[8:9], off
	ds_load_b128 v[30:33], v16 offset:14848
	ds_load_b128 v[50:53], v12 offset:464
	v_add_f64 v[38:39], v[58:59], v[56:57]
	s_waitcnt lgkmcnt(2)
	v_mul_f64 v[62:63], v[4:5], v[2:3]
	v_mul_f64 v[2:3], v[6:7], v[2:3]
	s_waitcnt lgkmcnt(0)
	v_mul_f64 v[54:55], v[30:31], v[52:53]
	v_fma_f64 v[56:57], v[42:43], v[46:47], -v[48:49]
	v_mul_f64 v[52:53], v[32:33], v[52:53]
	v_add_f64 v[40:41], v[60:61], v[40:41]
	v_add_f64 v[58:59], v[38:39], v[34:35]
	v_fma_f64 v[6:7], v[6:7], v[0:1], v[62:63]
	v_fma_f64 v[0:1], v[4:5], v[0:1], -v[2:3]
	v_fma_f64 v[2:3], v[32:33], v[50:51], v[54:55]
	v_fma_f64 v[30:31], v[30:31], v[50:51], -v[52:53]
	v_add_f64 v[60:61], v[40:41], v[36:37]
	ds_load_b128 v[34:37], v12 offset:480
	ds_load_b128 v[38:41], v16 offset:15360
	;; [unrolled: 1-line block ×4, first 2 shown]
	s_waitcnt lgkmcnt(2)
	v_mul_f64 v[62:63], v[38:39], v[36:37]
	v_add_f64 v[4:5], v[58:59], v[56:57]
	v_mul_f64 v[32:33], v[40:41], v[36:37]
	s_waitcnt lgkmcnt(0)
	v_mul_f64 v[36:37], v[42:43], v[48:49]
	v_add_f64 v[6:7], v[60:61], v[6:7]
	v_fma_f64 v[40:41], v[40:41], v[34:35], v[62:63]
	v_add_f64 v[0:1], v[4:5], v[0:1]
	v_mul_f64 v[4:5], v[44:45], v[48:49]
	s_delay_alu instid0(VALU_DEP_4)
	v_add_f64 v[2:3], v[6:7], v[2:3]
	v_fma_f64 v[6:7], v[38:39], v[34:35], -v[32:33]
	v_fma_f64 v[32:33], v[44:45], v[46:47], v[36:37]
	v_add_f64 v[0:1], v[0:1], v[30:31]
	v_fma_f64 v[4:5], v[42:43], v[46:47], -v[4:5]
	v_add_f64 v[2:3], v[2:3], v[40:41]
	s_delay_alu instid0(VALU_DEP_3) | instskip(NEXT) | instid1(VALU_DEP_2)
	v_add_f64 v[0:1], v[0:1], v[6:7]
	v_add_f64 v[2:3], v[2:3], v[32:33]
	s_delay_alu instid0(VALU_DEP_2) | instskip(NEXT) | instid1(VALU_DEP_2)
	v_add_f64 v[0:1], v[0:1], v[4:5]
	v_mul_f64 v[4:5], s[6:7], v[2:3]
	v_mul_f64 v[2:3], s[4:5], v[2:3]
	s_delay_alu instid0(VALU_DEP_2) | instskip(NEXT) | instid1(VALU_DEP_2)
	v_fma_f64 v[4:5], s[4:5], v[0:1], -v[4:5]
	v_fma_f64 v[2:3], s[6:7], v[0:1], v[2:3]
	s_waitcnt vmcnt(0)
	s_delay_alu instid0(VALU_DEP_2) | instskip(NEXT) | instid1(VALU_DEP_2)
	v_add_f64 v[0:1], v[26:27], v[4:5]
	v_add_f64 v[2:3], v[28:29], v[2:3]
	global_store_b128 v[8:9], v[0:3], off
.LBB1934_11:                            ;   in Loop: Header=BB1934_5 Depth=1
	s_or_b32 exec_lo, exec_lo, s1
	v_mov_b32_e32 v2, 0
	v_mov_b32_e32 v3, 0
	s_waitcnt_vscnt null, 0x0
	s_barrier
	buffer_gl0_inv
	v_dual_mov_b32 v7, v3 :: v_dual_mov_b32 v6, v2
	v_dual_mov_b32 v5, v3 :: v_dual_mov_b32 v4, v2
	s_and_saveexec_b32 s13, s11
	s_cbranch_execz .LBB1934_13
; %bb.12:                               ;   in Loop: Header=BB1934_5 Depth=1
	v_mad_i64_i32 v[0:1], null, v24, s8, 0
	s_delay_alu instid0(VALU_DEP_1) | instskip(NEXT) | instid1(VALU_DEP_1)
	v_lshlrev_b64 v[0:1], 4, v[0:1]
	v_add_co_u32 v0, s1, v20, v0
	s_delay_alu instid0(VALU_DEP_1)
	v_add_co_ci_u32_e64 v1, s1, v21, v1, s1
	global_load_b128 v[4:7], v[0:1], off
.LBB1934_13:                            ;   in Loop: Header=BB1934_5 Depth=1
	s_or_b32 exec_lo, exec_lo, s13
	v_dual_mov_b32 v0, v2 :: v_dual_mov_b32 v1, v3
	s_waitcnt vmcnt(0)
	ds_store_b128 v15, v[4:7]
	s_and_saveexec_b32 s11, s12
	s_cbranch_execz .LBB1934_15
; %bb.14:                               ;   in Loop: Header=BB1934_5 Depth=1
	v_mad_i64_i32 v[0:1], null, v25, s3, 0
	s_delay_alu instid0(VALU_DEP_1) | instskip(NEXT) | instid1(VALU_DEP_1)
	v_lshlrev_b64 v[0:1], 4, v[0:1]
	v_add_co_u32 v0, s1, v22, v0
	s_delay_alu instid0(VALU_DEP_1)
	v_add_co_ci_u32_e64 v1, s1, v23, v1, s1
	global_load_b128 v[0:3], v[0:1], off
	s_waitcnt vmcnt(0)
	v_xor_b32_e32 v3, 0x80000000, v3
.LBB1934_15:                            ;   in Loop: Header=BB1934_5 Depth=1
	s_or_b32 exec_lo, exec_lo, s11
	ds_store_b128 v19, v[0:3]
	s_waitcnt lgkmcnt(0)
	s_barrier
	buffer_gl0_inv
	s_and_saveexec_b32 s1, s2
	s_cbranch_execz .LBB1934_4
; %bb.16:                               ;   in Loop: Header=BB1934_5 Depth=1
	ds_load_b128 v[0:3], v16
	ds_load_b128 v[4:7], v12
	ds_load_b128 v[24:27], v12 offset:16
	ds_load_b128 v[28:31], v16 offset:512
	s_waitcnt lgkmcnt(2)
	v_mul_f64 v[32:33], v[2:3], v[6:7]
	v_mul_f64 v[6:7], v[0:1], v[6:7]
	s_waitcnt lgkmcnt(0)
	v_mul_f64 v[48:49], v[30:31], v[26:27]
	v_mul_f64 v[26:27], v[28:29], v[26:27]
	s_delay_alu instid0(VALU_DEP_4)
	v_fma_f64 v[0:1], v[0:1], v[4:5], -v[32:33]
	ds_load_b128 v[32:35], v16 offset:1024
	ds_load_b128 v[36:39], v12 offset:32
	;; [unrolled: 1-line block ×4, first 2 shown]
	v_fma_f64 v[2:3], v[2:3], v[4:5], v[6:7]
	v_fma_f64 v[4:5], v[28:29], v[24:25], -v[48:49]
	v_fma_f64 v[52:53], v[30:31], v[24:25], v[26:27]
	s_waitcnt lgkmcnt(2)
	v_mul_f64 v[50:51], v[34:35], v[38:39]
	v_mul_f64 v[38:39], v[32:33], v[38:39]
	s_waitcnt lgkmcnt(0)
	v_mul_f64 v[48:49], v[46:47], v[42:43]
	v_mul_f64 v[42:43], v[44:45], v[42:43]
	v_add_f64 v[0:1], v[0:1], 0
	v_fma_f64 v[32:33], v[32:33], v[36:37], -v[50:51]
	v_add_f64 v[50:51], v[2:3], 0
	v_fma_f64 v[34:35], v[34:35], v[36:37], v[38:39]
	v_fma_f64 v[36:37], v[44:45], v[40:41], -v[48:49]
	v_fma_f64 v[46:47], v[46:47], v[40:41], v[42:43]
	v_add_f64 v[54:55], v[0:1], v[4:5]
	ds_load_b128 v[0:3], v12 offset:64
	ds_load_b128 v[4:7], v16 offset:2048
	;; [unrolled: 1-line block ×4, first 2 shown]
	s_waitcnt lgkmcnt(2)
	v_mul_f64 v[56:57], v[6:7], v[2:3]
	v_add_f64 v[38:39], v[50:51], v[52:53]
	v_mul_f64 v[44:45], v[4:5], v[2:3]
	s_waitcnt lgkmcnt(0)
	v_mul_f64 v[48:49], v[26:27], v[30:31]
	v_mul_f64 v[30:31], v[24:25], v[30:31]
	v_add_f64 v[32:33], v[54:55], v[32:33]
	v_fma_f64 v[50:51], v[4:5], v[0:1], -v[56:57]
	v_add_f64 v[52:53], v[38:39], v[34:35]
	v_fma_f64 v[0:1], v[6:7], v[0:1], v[44:45]
	v_fma_f64 v[6:7], v[24:25], v[28:29], -v[48:49]
	v_add_f64 v[54:55], v[32:33], v[36:37]
	ds_load_b128 v[2:5], v12 offset:96
	ds_load_b128 v[32:35], v16 offset:3072
	ds_load_b128 v[36:39], v16 offset:3584
	ds_load_b128 v[40:43], v12 offset:112
	s_waitcnt lgkmcnt(2)
	v_mul_f64 v[56:57], v[34:35], v[4:5]
	v_add_f64 v[24:25], v[52:53], v[46:47]
	v_mul_f64 v[48:49], v[32:33], v[4:5]
	v_fma_f64 v[52:53], v[26:27], v[28:29], v[30:31]
	v_add_f64 v[44:45], v[54:55], v[50:51]
	s_waitcnt lgkmcnt(0)
	v_mul_f64 v[50:51], v[38:39], v[42:43]
	v_mul_f64 v[42:43], v[36:37], v[42:43]
	v_fma_f64 v[32:33], v[32:33], v[2:3], -v[56:57]
	v_add_f64 v[0:1], v[24:25], v[0:1]
	v_fma_f64 v[2:3], v[34:35], v[2:3], v[48:49]
	v_add_f64 v[54:55], v[44:45], v[6:7]
	ds_load_b128 v[4:7], v12 offset:128
	ds_load_b128 v[24:27], v16 offset:4096
	;; [unrolled: 1-line block ×4, first 2 shown]
	v_fma_f64 v[34:35], v[36:37], v[40:41], -v[50:51]
	v_fma_f64 v[50:51], v[38:39], v[40:41], v[42:43]
	s_waitcnt lgkmcnt(2)
	v_mul_f64 v[56:57], v[26:27], v[6:7]
	v_add_f64 v[0:1], v[0:1], v[52:53]
	v_mul_f64 v[6:7], v[24:25], v[6:7]
	s_waitcnt lgkmcnt(0)
	v_mul_f64 v[48:49], v[30:31], v[46:47]
	v_mul_f64 v[46:47], v[28:29], v[46:47]
	v_add_f64 v[32:33], v[54:55], v[32:33]
	v_fma_f64 v[24:25], v[24:25], v[4:5], -v[56:57]
	v_add_f64 v[52:53], v[0:1], v[2:3]
	v_fma_f64 v[4:5], v[26:27], v[4:5], v[6:7]
	v_fma_f64 v[6:7], v[28:29], v[44:45], -v[48:49]
	v_add_f64 v[54:55], v[32:33], v[34:35]
	ds_load_b128 v[0:3], v12 offset:160
	ds_load_b128 v[32:35], v16 offset:5120
	;; [unrolled: 1-line block ×4, first 2 shown]
	s_waitcnt lgkmcnt(2)
	v_mul_f64 v[56:57], v[34:35], v[2:3]
	v_add_f64 v[26:27], v[52:53], v[50:51]
	v_mul_f64 v[48:49], v[32:33], v[2:3]
	s_waitcnt lgkmcnt(0)
	v_mul_f64 v[50:51], v[38:39], v[42:43]
	v_fma_f64 v[52:53], v[30:31], v[44:45], v[46:47]
	v_mul_f64 v[42:43], v[36:37], v[42:43]
	v_add_f64 v[24:25], v[54:55], v[24:25]
	v_fma_f64 v[32:33], v[32:33], v[0:1], -v[56:57]
	v_add_f64 v[54:55], v[26:27], v[4:5]
	v_fma_f64 v[0:1], v[34:35], v[0:1], v[48:49]
	v_fma_f64 v[34:35], v[36:37], v[40:41], -v[50:51]
	v_add_f64 v[6:7], v[24:25], v[6:7]
	ds_load_b128 v[2:5], v12 offset:192
	ds_load_b128 v[24:27], v16 offset:6144
	;; [unrolled: 1-line block ×4, first 2 shown]
	s_waitcnt lgkmcnt(2)
	v_mul_f64 v[56:57], v[26:27], v[4:5]
	v_add_f64 v[36:37], v[54:55], v[52:53]
	v_mul_f64 v[48:49], v[24:25], v[4:5]
	s_waitcnt lgkmcnt(0)
	v_mul_f64 v[50:51], v[30:31], v[46:47]
	v_fma_f64 v[52:53], v[38:39], v[40:41], v[42:43]
	v_mul_f64 v[46:47], v[28:29], v[46:47]
	v_add_f64 v[6:7], v[6:7], v[32:33]
	v_fma_f64 v[24:25], v[24:25], v[2:3], -v[56:57]
	v_add_f64 v[0:1], v[36:37], v[0:1]
	v_fma_f64 v[2:3], v[26:27], v[2:3], v[48:49]
	v_fma_f64 v[26:27], v[28:29], v[44:45], -v[50:51]
	v_fma_f64 v[50:51], v[30:31], v[44:45], v[46:47]
	v_add_f64 v[54:55], v[6:7], v[34:35]
	ds_load_b128 v[4:7], v12 offset:224
	ds_load_b128 v[32:35], v16 offset:7168
	;; [unrolled: 1-line block ×4, first 2 shown]
	s_waitcnt lgkmcnt(2)
	v_mul_f64 v[56:57], v[34:35], v[6:7]
	v_add_f64 v[0:1], v[0:1], v[52:53]
	v_mul_f64 v[6:7], v[32:33], v[6:7]
	s_waitcnt lgkmcnt(0)
	v_mul_f64 v[48:49], v[38:39], v[42:43]
	v_mul_f64 v[42:43], v[36:37], v[42:43]
	v_add_f64 v[24:25], v[54:55], v[24:25]
	v_fma_f64 v[32:33], v[32:33], v[4:5], -v[56:57]
	v_add_f64 v[52:53], v[0:1], v[2:3]
	v_fma_f64 v[4:5], v[34:35], v[4:5], v[6:7]
	v_fma_f64 v[6:7], v[36:37], v[40:41], -v[48:49]
	v_add_f64 v[54:55], v[24:25], v[26:27]
	ds_load_b128 v[0:3], v12 offset:256
	ds_load_b128 v[24:27], v16 offset:8192
	;; [unrolled: 1-line block ×4, first 2 shown]
	s_waitcnt lgkmcnt(2)
	v_mul_f64 v[56:57], v[26:27], v[2:3]
	v_add_f64 v[34:35], v[52:53], v[50:51]
	v_mul_f64 v[48:49], v[24:25], v[2:3]
	s_waitcnt lgkmcnt(0)
	v_mul_f64 v[50:51], v[30:31], v[46:47]
	v_fma_f64 v[52:53], v[38:39], v[40:41], v[42:43]
	v_mul_f64 v[46:47], v[28:29], v[46:47]
	v_add_f64 v[32:33], v[54:55], v[32:33]
	v_fma_f64 v[24:25], v[24:25], v[0:1], -v[56:57]
	v_add_f64 v[54:55], v[34:35], v[4:5]
	v_fma_f64 v[0:1], v[26:27], v[0:1], v[48:49]
	v_fma_f64 v[26:27], v[28:29], v[44:45], -v[50:51]
	v_add_f64 v[6:7], v[32:33], v[6:7]
	ds_load_b128 v[2:5], v12 offset:288
	ds_load_b128 v[32:35], v16 offset:9216
	;; [unrolled: 1-line block ×4, first 2 shown]
	s_waitcnt lgkmcnt(2)
	v_mul_f64 v[56:57], v[34:35], v[4:5]
	v_add_f64 v[28:29], v[54:55], v[52:53]
	v_mul_f64 v[48:49], v[32:33], v[4:5]
	s_waitcnt lgkmcnt(0)
	v_mul_f64 v[50:51], v[38:39], v[42:43]
	v_fma_f64 v[52:53], v[30:31], v[44:45], v[46:47]
	v_mul_f64 v[42:43], v[36:37], v[42:43]
	v_add_f64 v[6:7], v[6:7], v[24:25]
	v_fma_f64 v[32:33], v[32:33], v[2:3], -v[56:57]
	v_add_f64 v[0:1], v[28:29], v[0:1]
	v_fma_f64 v[2:3], v[34:35], v[2:3], v[48:49]
	v_fma_f64 v[34:35], v[36:37], v[40:41], -v[50:51]
	v_fma_f64 v[50:51], v[38:39], v[40:41], v[42:43]
	v_add_f64 v[54:55], v[6:7], v[26:27]
	ds_load_b128 v[4:7], v12 offset:320
	ds_load_b128 v[24:27], v16 offset:10240
	;; [unrolled: 1-line block ×4, first 2 shown]
	s_waitcnt lgkmcnt(2)
	v_mul_f64 v[56:57], v[26:27], v[6:7]
	v_add_f64 v[0:1], v[0:1], v[52:53]
	v_mul_f64 v[6:7], v[24:25], v[6:7]
	s_waitcnt lgkmcnt(0)
	v_mul_f64 v[48:49], v[30:31], v[46:47]
	v_mul_f64 v[46:47], v[28:29], v[46:47]
	v_add_f64 v[32:33], v[54:55], v[32:33]
	v_fma_f64 v[24:25], v[24:25], v[4:5], -v[56:57]
	v_add_f64 v[52:53], v[0:1], v[2:3]
	v_fma_f64 v[4:5], v[26:27], v[4:5], v[6:7]
	v_fma_f64 v[6:7], v[28:29], v[44:45], -v[48:49]
	v_add_f64 v[54:55], v[32:33], v[34:35]
	ds_load_b128 v[0:3], v12 offset:352
	ds_load_b128 v[32:35], v16 offset:11264
	;; [unrolled: 1-line block ×4, first 2 shown]
	s_waitcnt lgkmcnt(2)
	v_mul_f64 v[56:57], v[34:35], v[2:3]
	v_add_f64 v[26:27], v[52:53], v[50:51]
	v_mul_f64 v[48:49], v[32:33], v[2:3]
	s_waitcnt lgkmcnt(0)
	v_mul_f64 v[50:51], v[38:39], v[42:43]
	v_fma_f64 v[52:53], v[30:31], v[44:45], v[46:47]
	v_mul_f64 v[42:43], v[36:37], v[42:43]
	v_add_f64 v[24:25], v[54:55], v[24:25]
	v_fma_f64 v[32:33], v[32:33], v[0:1], -v[56:57]
	v_add_f64 v[54:55], v[26:27], v[4:5]
	v_fma_f64 v[0:1], v[34:35], v[0:1], v[48:49]
	v_fma_f64 v[34:35], v[36:37], v[40:41], -v[50:51]
	v_add_f64 v[6:7], v[24:25], v[6:7]
	ds_load_b128 v[2:5], v12 offset:384
	ds_load_b128 v[24:27], v16 offset:12288
	;; [unrolled: 1-line block ×4, first 2 shown]
	s_waitcnt lgkmcnt(2)
	v_mul_f64 v[56:57], v[26:27], v[4:5]
	v_add_f64 v[36:37], v[54:55], v[52:53]
	v_mul_f64 v[48:49], v[24:25], v[4:5]
	s_waitcnt lgkmcnt(0)
	v_mul_f64 v[50:51], v[30:31], v[46:47]
	v_fma_f64 v[52:53], v[38:39], v[40:41], v[42:43]
	v_mul_f64 v[46:47], v[28:29], v[46:47]
	v_add_f64 v[6:7], v[6:7], v[32:33]
	v_fma_f64 v[24:25], v[24:25], v[2:3], -v[56:57]
	v_add_f64 v[0:1], v[36:37], v[0:1]
	v_fma_f64 v[2:3], v[26:27], v[2:3], v[48:49]
	v_fma_f64 v[26:27], v[28:29], v[44:45], -v[50:51]
	v_add_f64 v[54:55], v[6:7], v[34:35]
	ds_load_b128 v[4:7], v12 offset:416
	ds_load_b128 v[32:35], v16 offset:13312
	;; [unrolled: 1-line block ×4, first 2 shown]
	s_waitcnt lgkmcnt(2)
	v_mul_f64 v[56:57], v[34:35], v[6:7]
	v_add_f64 v[0:1], v[0:1], v[52:53]
	v_mul_f64 v[6:7], v[32:33], v[6:7]
	s_waitcnt lgkmcnt(0)
	v_mul_f64 v[52:53], v[38:39], v[42:43]
	v_mul_f64 v[42:43], v[36:37], v[42:43]
	v_add_f64 v[24:25], v[54:55], v[24:25]
	v_fma_f64 v[54:55], v[30:31], v[44:45], v[46:47]
	v_fma_f64 v[32:33], v[32:33], v[4:5], -v[56:57]
	v_add_f64 v[56:57], v[0:1], v[2:3]
	v_fma_f64 v[4:5], v[34:35], v[4:5], v[6:7]
	v_fma_f64 v[6:7], v[36:37], v[40:41], -v[52:53]
	v_add_f64 v[58:59], v[24:25], v[26:27]
	ds_load_b128 v[0:3], v12 offset:448
	ds_load_b128 v[24:27], v16 offset:14336
	global_load_b128 v[28:31], v[8:9], off
	ds_load_b128 v[44:47], v16 offset:14848
	ds_load_b128 v[48:51], v12 offset:464
	v_add_f64 v[34:35], v[56:57], v[54:55]
	s_waitcnt lgkmcnt(2)
	v_mul_f64 v[60:61], v[26:27], v[2:3]
	v_mul_f64 v[52:53], v[24:25], v[2:3]
	s_waitcnt lgkmcnt(0)
	v_mul_f64 v[54:55], v[46:47], v[50:51]
	v_fma_f64 v[56:57], v[38:39], v[40:41], v[42:43]
	v_mul_f64 v[50:51], v[44:45], v[50:51]
	v_add_f64 v[32:33], v[58:59], v[32:33]
	v_add_f64 v[58:59], v[34:35], v[4:5]
	v_fma_f64 v[24:25], v[24:25], v[0:1], -v[60:61]
	v_fma_f64 v[0:1], v[26:27], v[0:1], v[52:53]
	v_fma_f64 v[26:27], v[44:45], v[48:49], -v[54:55]
	v_fma_f64 v[46:47], v[46:47], v[48:49], v[50:51]
	v_add_f64 v[6:7], v[32:33], v[6:7]
	ds_load_b128 v[2:5], v12 offset:480
	ds_load_b128 v[32:35], v16 offset:15360
	;; [unrolled: 1-line block ×4, first 2 shown]
	s_waitcnt lgkmcnt(2)
	v_mul_f64 v[60:61], v[34:35], v[4:5]
	v_add_f64 v[44:45], v[58:59], v[56:57]
	v_mul_f64 v[4:5], v[32:33], v[4:5]
	v_add_f64 v[6:7], v[6:7], v[24:25]
	s_waitcnt lgkmcnt(0)
	v_mul_f64 v[24:25], v[38:39], v[42:43]
	v_fma_f64 v[32:33], v[32:33], v[2:3], -v[60:61]
	v_add_f64 v[0:1], v[44:45], v[0:1]
	v_fma_f64 v[2:3], v[34:35], v[2:3], v[4:5]
	v_add_f64 v[6:7], v[6:7], v[26:27]
	v_mul_f64 v[26:27], v[36:37], v[42:43]
	v_fma_f64 v[4:5], v[36:37], v[40:41], -v[24:25]
	v_add_f64 v[0:1], v[0:1], v[46:47]
	s_delay_alu instid0(VALU_DEP_4) | instskip(NEXT) | instid1(VALU_DEP_4)
	v_add_f64 v[6:7], v[6:7], v[32:33]
	v_fma_f64 v[24:25], v[38:39], v[40:41], v[26:27]
	s_delay_alu instid0(VALU_DEP_3) | instskip(NEXT) | instid1(VALU_DEP_3)
	v_add_f64 v[0:1], v[0:1], v[2:3]
	v_add_f64 v[2:3], v[6:7], v[4:5]
	s_delay_alu instid0(VALU_DEP_2) | instskip(NEXT) | instid1(VALU_DEP_2)
	v_add_f64 v[0:1], v[0:1], v[24:25]
	v_mul_f64 v[4:5], s[4:5], v[2:3]
	v_mul_f64 v[2:3], s[6:7], v[2:3]
	s_delay_alu instid0(VALU_DEP_2) | instskip(NEXT) | instid1(VALU_DEP_2)
	v_fma_f64 v[4:5], s[6:7], v[0:1], v[4:5]
	v_fma_f64 v[2:3], s[4:5], v[0:1], -v[2:3]
	s_waitcnt vmcnt(0)
	s_delay_alu instid0(VALU_DEP_2) | instskip(NEXT) | instid1(VALU_DEP_2)
	v_add_f64 v[0:1], v[28:29], v[4:5]
	v_add_f64 v[2:3], v[30:31], v[2:3]
	global_store_b128 v[8:9], v[0:3], off
	s_branch .LBB1934_4
.LBB1934_17:
	s_endpgm
	.section	.rodata,"a",@progbits
	.p2align	6, 0x0
	.amdhsa_kernel _ZL26rocblas_syr2k_her2k_kernelIiLb1ELb1ELb0ELi32EPK19rocblas_complex_numIdES3_PS1_EvbiT_T4_T5_S5_lS7_S5_lT6_S5_li
		.amdhsa_group_segment_fixed_size 32768
		.amdhsa_private_segment_fixed_size 0
		.amdhsa_kernarg_size 100
		.amdhsa_user_sgpr_count 13
		.amdhsa_user_sgpr_dispatch_ptr 0
		.amdhsa_user_sgpr_queue_ptr 0
		.amdhsa_user_sgpr_kernarg_segment_ptr 1
		.amdhsa_user_sgpr_dispatch_id 0
		.amdhsa_user_sgpr_private_segment_size 0
		.amdhsa_wavefront_size32 1
		.amdhsa_uses_dynamic_stack 0
		.amdhsa_enable_private_segment 0
		.amdhsa_system_sgpr_workgroup_id_x 1
		.amdhsa_system_sgpr_workgroup_id_y 1
		.amdhsa_system_sgpr_workgroup_id_z 1
		.amdhsa_system_sgpr_workgroup_info 0
		.amdhsa_system_vgpr_workitem_id 1
		.amdhsa_next_free_vgpr 64
		.amdhsa_next_free_sgpr 28
		.amdhsa_reserve_vcc 1
		.amdhsa_float_round_mode_32 0
		.amdhsa_float_round_mode_16_64 0
		.amdhsa_float_denorm_mode_32 3
		.amdhsa_float_denorm_mode_16_64 3
		.amdhsa_dx10_clamp 1
		.amdhsa_ieee_mode 1
		.amdhsa_fp16_overflow 0
		.amdhsa_workgroup_processor_mode 1
		.amdhsa_memory_ordered 1
		.amdhsa_forward_progress 0
		.amdhsa_shared_vgpr_count 0
		.amdhsa_exception_fp_ieee_invalid_op 0
		.amdhsa_exception_fp_denorm_src 0
		.amdhsa_exception_fp_ieee_div_zero 0
		.amdhsa_exception_fp_ieee_overflow 0
		.amdhsa_exception_fp_ieee_underflow 0
		.amdhsa_exception_fp_ieee_inexact 0
		.amdhsa_exception_int_div_zero 0
	.end_amdhsa_kernel
	.section	.text._ZL26rocblas_syr2k_her2k_kernelIiLb1ELb1ELb0ELi32EPK19rocblas_complex_numIdES3_PS1_EvbiT_T4_T5_S5_lS7_S5_lT6_S5_li,"axG",@progbits,_ZL26rocblas_syr2k_her2k_kernelIiLb1ELb1ELb0ELi32EPK19rocblas_complex_numIdES3_PS1_EvbiT_T4_T5_S5_lS7_S5_lT6_S5_li,comdat
.Lfunc_end1934:
	.size	_ZL26rocblas_syr2k_her2k_kernelIiLb1ELb1ELb0ELi32EPK19rocblas_complex_numIdES3_PS1_EvbiT_T4_T5_S5_lS7_S5_lT6_S5_li, .Lfunc_end1934-_ZL26rocblas_syr2k_her2k_kernelIiLb1ELb1ELb0ELi32EPK19rocblas_complex_numIdES3_PS1_EvbiT_T4_T5_S5_lS7_S5_lT6_S5_li
                                        ; -- End function
	.section	.AMDGPU.csdata,"",@progbits
; Kernel info:
; codeLenInByte = 5576
; NumSgprs: 30
; NumVgprs: 64
; ScratchSize: 0
; MemoryBound: 1
; FloatMode: 240
; IeeeMode: 1
; LDSByteSize: 32768 bytes/workgroup (compile time only)
; SGPRBlocks: 3
; VGPRBlocks: 7
; NumSGPRsForWavesPerEU: 30
; NumVGPRsForWavesPerEU: 64
; Occupancy: 16
; WaveLimiterHint : 0
; COMPUTE_PGM_RSRC2:SCRATCH_EN: 0
; COMPUTE_PGM_RSRC2:USER_SGPR: 13
; COMPUTE_PGM_RSRC2:TRAP_HANDLER: 0
; COMPUTE_PGM_RSRC2:TGID_X_EN: 1
; COMPUTE_PGM_RSRC2:TGID_Y_EN: 1
; COMPUTE_PGM_RSRC2:TGID_Z_EN: 1
; COMPUTE_PGM_RSRC2:TIDIG_COMP_CNT: 1
	.section	.text._ZL26rocblas_syr2k_her2k_kernelIiLb1ELb1ELb1ELi32EPK19rocblas_complex_numIdES3_PS1_EvbiT_T4_T5_S5_lS7_S5_lT6_S5_li,"axG",@progbits,_ZL26rocblas_syr2k_her2k_kernelIiLb1ELb1ELb1ELi32EPK19rocblas_complex_numIdES3_PS1_EvbiT_T4_T5_S5_lS7_S5_lT6_S5_li,comdat
	.globl	_ZL26rocblas_syr2k_her2k_kernelIiLb1ELb1ELb1ELi32EPK19rocblas_complex_numIdES3_PS1_EvbiT_T4_T5_S5_lS7_S5_lT6_S5_li ; -- Begin function _ZL26rocblas_syr2k_her2k_kernelIiLb1ELb1ELb1ELi32EPK19rocblas_complex_numIdES3_PS1_EvbiT_T4_T5_S5_lS7_S5_lT6_S5_li
	.p2align	8
	.type	_ZL26rocblas_syr2k_her2k_kernelIiLb1ELb1ELb1ELi32EPK19rocblas_complex_numIdES3_PS1_EvbiT_T4_T5_S5_lS7_S5_lT6_S5_li,@function
_ZL26rocblas_syr2k_her2k_kernelIiLb1ELb1ELb1ELi32EPK19rocblas_complex_numIdES3_PS1_EvbiT_T4_T5_S5_lS7_S5_lT6_S5_li: ; @_ZL26rocblas_syr2k_her2k_kernelIiLb1ELb1ELb1ELi32EPK19rocblas_complex_numIdES3_PS1_EvbiT_T4_T5_S5_lS7_S5_lT6_S5_li
; %bb.0:
	s_load_b128 s[16:19], s[0:1], 0x10
	s_waitcnt lgkmcnt(0)
	s_load_b128 s[4:7], s[16:17], 0x0
	s_waitcnt lgkmcnt(0)
	v_cmp_eq_f64_e64 s2, s[4:5], 0
	v_cmp_eq_f64_e64 s3, s[6:7], 0
	s_delay_alu instid0(VALU_DEP_1) | instskip(NEXT) | instid1(SALU_CYCLE_1)
	s_and_b32 s2, s2, s3
	s_and_b32 vcc_lo, exec_lo, s2
	s_cbranch_vccnz .LBB1935_17
; %bb.1:
	s_load_b128 s[8:11], s[0:1], 0x0
	s_lshl_b32 s2, s14, 5
	s_lshl_b32 s3, s13, 5
	s_waitcnt lgkmcnt(0)
	s_and_b32 s8, 1, s8
	s_delay_alu instid0(SALU_CYCLE_1) | instskip(SKIP_1) | instid1(SALU_CYCLE_1)
	s_cmp_eq_u32 s8, 1
	s_cselect_b32 vcc_lo, -1, 0
	s_and_b32 s8, vcc_lo, exec_lo
	s_cselect_b32 s8, s3, s2
	s_cselect_b32 s11, s2, s3
	s_delay_alu instid0(SALU_CYCLE_1)
	s_cmp_gt_i32 s8, s11
	s_cbranch_scc1 .LBB1935_17
; %bb.2:
	s_cmp_lt_i32 s10, 1
	s_cbranch_scc1 .LBB1935_17
; %bb.3:
	s_clause 0x5
	s_load_b128 s[24:27], s[0:1], 0x28
	s_load_b128 s[20:23], s[0:1], 0x40
	s_load_b32 s8, s[0:1], 0x20
	s_load_b32 s11, s[0:1], 0x38
	;; [unrolled: 1-line block ×3, first 2 shown]
	s_load_b64 s[12:13], s[0:1], 0x58
	v_and_b32_e32 v14, 0x3ff, v0
	v_bfe_u32 v15, v0, 10, 10
	s_delay_alu instid0(VALU_DEP_2) | instskip(NEXT) | instid1(VALU_DEP_2)
	v_add_nc_u32_e32 v0, s3, v14
	v_add_nc_u32_e32 v8, s2, v15
	v_lshlrev_b32_e32 v9, 4, v15
	v_lshlrev_b32_e32 v16, 9, v14
	s_delay_alu instid0(VALU_DEP_4) | instskip(NEXT) | instid1(VALU_DEP_4)
	v_ashrrev_i32_e32 v1, 31, v0
	v_cndmask_b32_e32 v6, v0, v8, vcc_lo
	v_cndmask_b32_e32 v7, v8, v0, vcc_lo
	v_cmp_gt_i32_e32 vcc_lo, s9, v0
	v_add_nc_u32_e32 v19, v16, v9
	v_or_b32_e32 v20, 0x4000, v9
	s_waitcnt lgkmcnt(0)
	s_mul_i32 s1, s15, s25
	s_mul_hi_u32 s3, s15, s24
	s_mul_i32 s0, s15, s24
	s_add_i32 s1, s3, s1
	v_mad_i64_i32 v[2:3], null, s8, v0, 0
	s_lshl_b64 s[0:1], s[0:1], 4
	s_mul_i32 s16, s15, s21
	s_mul_hi_u32 s17, s15, s20
	s_add_u32 s18, s18, s0
	s_mul_i32 s2, s15, s20
	s_addc_u32 s19, s19, s1
	s_add_i32 s3, s17, s16
	s_mul_i32 s13, s15, s13
	s_lshl_b64 s[0:1], s[2:3], 4
	s_mul_hi_u32 s20, s15, s12
	v_lshlrev_b64 v[2:3], 4, v[2:3]
	v_mad_i64_i32 v[4:5], null, s11, v8, 0
	s_mul_i32 s2, s15, s12
	s_add_u32 s12, s26, s0
	s_addc_u32 s15, s27, s1
	s_add_i32 s3, s20, s13
	v_add_nc_u32_e32 v23, v20, v16
	s_lshl_b64 s[0:1], s[2:3], 4
	s_delay_alu instid0(SALU_CYCLE_1) | instskip(SKIP_1) | instid1(VALU_DEP_1)
	s_add_u32 s2, s22, s0
	v_add_co_u32 v17, s0, s18, v2
	v_add_co_ci_u32_e64 v18, s0, s19, v3, s0
	v_lshlrev_b64 v[2:3], 4, v[4:5]
	v_mad_i64_i32 v[4:5], null, s14, v8, 0
	s_addc_u32 s3, s23, s1
	v_cmp_gt_i32_e64 s0, s9, v8
	s_delay_alu instid0(VALU_DEP_3) | instskip(NEXT) | instid1(VALU_DEP_1)
	v_add_co_u32 v21, s1, s12, v2
	v_add_co_ci_u32_e64 v22, s1, s15, v3, s1
	s_delay_alu instid0(VALU_DEP_4)
	v_lshlrev_b64 v[2:3], 4, v[4:5]
	v_mad_i64_i32 v[4:5], null, s11, v0, 0
	v_cmp_le_i32_e64 s1, v7, v6
	v_lshlrev_b64 v[0:1], 4, v[0:1]
	v_mad_i64_i32 v[6:7], null, s8, v8, 0
	v_add_co_u32 v8, s2, s2, v2
	s_delay_alu instid0(VALU_DEP_1) | instskip(SKIP_1) | instid1(VALU_DEP_3)
	v_add_co_ci_u32_e64 v9, s2, s3, v3, s2
	v_lshlrev_b64 v[2:3], 4, v[4:5]
	v_add_co_u32 v8, s2, v8, v0
	s_delay_alu instid0(VALU_DEP_1) | instskip(SKIP_1) | instid1(VALU_DEP_4)
	v_add_co_ci_u32_e64 v9, s2, v9, v1, s2
	v_lshlrev_b64 v[0:1], 4, v[6:7]
	v_add_co_u32 v24, s2, s12, v2
	s_delay_alu instid0(VALU_DEP_1) | instskip(SKIP_1) | instid1(VALU_DEP_3)
	v_add_co_ci_u32_e64 v25, s2, s15, v3, s2
	s_and_b32 s9, s0, vcc_lo
	v_add_co_u32 v26, s2, s18, v0
	s_delay_alu instid0(VALU_DEP_1)
	v_add_co_ci_u32_e64 v27, s2, s19, v1, s2
	s_and_b32 s2, s9, s1
	s_mov_b32 s3, 0
	s_branch .LBB1935_5
.LBB1935_4:                             ;   in Loop: Header=BB1935_5 Depth=1
	s_or_b32 exec_lo, exec_lo, s1
	s_add_i32 s3, s3, 32
	s_waitcnt_vscnt null, 0x0
	s_cmp_lt_i32 s3, s10
	s_barrier
	buffer_gl0_inv
	s_cbranch_scc0 .LBB1935_17
.LBB1935_5:                             ; =>This Inner Loop Header: Depth=1
	v_add_nc_u32_e32 v10, s3, v15
	v_mov_b32_e32 v0, 0
	v_mov_b32_e32 v1, 0
	s_delay_alu instid0(VALU_DEP_3) | instskip(NEXT) | instid1(VALU_DEP_2)
	v_cmp_gt_i32_e64 s1, s10, v10
	v_dual_mov_b32 v5, v1 :: v_dual_mov_b32 v4, v0
	v_dual_mov_b32 v7, v1 :: v_dual_mov_b32 v6, v0
	s_delay_alu instid0(VALU_DEP_3) | instskip(NEXT) | instid1(SALU_CYCLE_1)
	s_and_b32 s8, vcc_lo, s1
	s_and_saveexec_b32 s9, s8
	s_cbranch_execz .LBB1935_7
; %bb.6:                                ;   in Loop: Header=BB1935_5 Depth=1
	v_ashrrev_i32_e32 v11, 31, v10
	s_delay_alu instid0(VALU_DEP_1) | instskip(NEXT) | instid1(VALU_DEP_1)
	v_lshlrev_b64 v[2:3], 4, v[10:11]
	v_add_co_u32 v2, s1, v17, v2
	s_delay_alu instid0(VALU_DEP_1)
	v_add_co_ci_u32_e64 v3, s1, v18, v3, s1
	global_load_b128 v[4:7], v[2:3], off
	s_waitcnt vmcnt(0)
	v_xor_b32_e32 v7, 0x80000000, v7
.LBB1935_7:                             ;   in Loop: Header=BB1935_5 Depth=1
	s_or_b32 exec_lo, exec_lo, s9
	v_dual_mov_b32 v3, v1 :: v_dual_add_nc_u32 v12, s3, v14
	v_mov_b32_e32 v2, v0
	ds_store_b128 v19, v[4:7]
	v_cmp_gt_i32_e64 s1, s10, v12
	s_delay_alu instid0(VALU_DEP_1) | instskip(NEXT) | instid1(SALU_CYCLE_1)
	s_and_b32 s9, s0, s1
	s_and_saveexec_b32 s11, s9
	s_cbranch_execz .LBB1935_9
; %bb.8:                                ;   in Loop: Header=BB1935_5 Depth=1
	v_ashrrev_i32_e32 v13, 31, v12
	s_delay_alu instid0(VALU_DEP_1) | instskip(NEXT) | instid1(VALU_DEP_1)
	v_lshlrev_b64 v[0:1], 4, v[12:13]
	v_add_co_u32 v0, s1, v21, v0
	s_delay_alu instid0(VALU_DEP_1)
	v_add_co_ci_u32_e64 v1, s1, v22, v1, s1
	global_load_b128 v[0:3], v[0:1], off
.LBB1935_9:                             ;   in Loop: Header=BB1935_5 Depth=1
	s_or_b32 exec_lo, exec_lo, s11
	s_waitcnt vmcnt(0)
	ds_store_b128 v23, v[0:3]
	s_waitcnt lgkmcnt(0)
	s_barrier
	buffer_gl0_inv
	s_and_saveexec_b32 s1, s2
	s_cbranch_execz .LBB1935_11
; %bb.10:                               ;   in Loop: Header=BB1935_5 Depth=1
	ds_load_b128 v[0:3], v20
	ds_load_b128 v[4:7], v16
	ds_load_b128 v[28:31], v16 offset:16
	ds_load_b128 v[32:35], v20 offset:512
	s_waitcnt lgkmcnt(2)
	v_mul_f64 v[36:37], v[0:1], v[6:7]
	v_mul_f64 v[6:7], v[2:3], v[6:7]
	s_waitcnt lgkmcnt(0)
	v_mul_f64 v[52:53], v[32:33], v[30:31]
	v_mul_f64 v[30:31], v[34:35], v[30:31]
	s_delay_alu instid0(VALU_DEP_4)
	v_fma_f64 v[2:3], v[2:3], v[4:5], v[36:37]
	ds_load_b128 v[36:39], v20 offset:1024
	ds_load_b128 v[40:43], v16 offset:32
	;; [unrolled: 1-line block ×4, first 2 shown]
	v_fma_f64 v[0:1], v[0:1], v[4:5], -v[6:7]
	v_fma_f64 v[4:5], v[34:35], v[28:29], v[52:53]
	v_fma_f64 v[56:57], v[32:33], v[28:29], -v[30:31]
	s_waitcnt lgkmcnt(2)
	v_mul_f64 v[54:55], v[36:37], v[42:43]
	v_mul_f64 v[42:43], v[38:39], v[42:43]
	s_waitcnt lgkmcnt(0)
	v_mul_f64 v[52:53], v[48:49], v[46:47]
	v_mul_f64 v[46:47], v[50:51], v[46:47]
	v_add_f64 v[2:3], v[2:3], 0
	v_fma_f64 v[38:39], v[38:39], v[40:41], v[54:55]
	v_add_f64 v[54:55], v[0:1], 0
	v_fma_f64 v[36:37], v[36:37], v[40:41], -v[42:43]
	v_fma_f64 v[40:41], v[50:51], v[44:45], v[52:53]
	v_add_f64 v[58:59], v[2:3], v[4:5]
	ds_load_b128 v[0:3], v16 offset:64
	ds_load_b128 v[4:7], v20 offset:2048
	ds_load_b128 v[28:31], v20 offset:2560
	ds_load_b128 v[32:35], v16 offset:80
	s_waitcnt lgkmcnt(2)
	v_mul_f64 v[60:61], v[4:5], v[2:3]
	v_add_f64 v[42:43], v[54:55], v[56:57]
	v_mul_f64 v[2:3], v[6:7], v[2:3]
	s_waitcnt lgkmcnt(0)
	v_mul_f64 v[52:53], v[28:29], v[34:35]
	v_fma_f64 v[54:55], v[48:49], v[44:45], -v[46:47]
	v_mul_f64 v[34:35], v[30:31], v[34:35]
	v_add_f64 v[38:39], v[58:59], v[38:39]
	v_fma_f64 v[6:7], v[6:7], v[0:1], v[60:61]
	v_add_f64 v[56:57], v[42:43], v[36:37]
	v_fma_f64 v[0:1], v[4:5], v[0:1], -v[2:3]
	v_fma_f64 v[2:3], v[30:31], v[32:33], v[52:53]
	v_add_f64 v[58:59], v[38:39], v[40:41]
	ds_load_b128 v[36:39], v16 offset:96
	ds_load_b128 v[40:43], v20 offset:3072
	ds_load_b128 v[44:47], v20 offset:3584
	ds_load_b128 v[48:51], v16 offset:112
	s_waitcnt lgkmcnt(2)
	v_mul_f64 v[60:61], v[40:41], v[38:39]
	v_add_f64 v[4:5], v[56:57], v[54:55]
	v_mul_f64 v[38:39], v[42:43], v[38:39]
	s_waitcnt lgkmcnt(0)
	v_mul_f64 v[52:53], v[44:45], v[50:51]
	v_fma_f64 v[54:55], v[28:29], v[32:33], -v[34:35]
	;; [unrolled: 18-line block ×11, first 2 shown]
	v_mul_f64 v[34:35], v[30:31], v[34:35]
	v_add_f64 v[42:43], v[58:59], v[42:43]
	v_fma_f64 v[6:7], v[6:7], v[0:1], v[60:61]
	v_add_f64 v[56:57], v[40:41], v[36:37]
	v_fma_f64 v[0:1], v[4:5], v[0:1], -v[2:3]
	v_fma_f64 v[2:3], v[30:31], v[32:33], v[52:53]
	v_add_f64 v[58:59], v[42:43], v[38:39]
	ds_load_b128 v[36:39], v16 offset:416
	ds_load_b128 v[40:43], v20 offset:13312
	;; [unrolled: 1-line block ×4, first 2 shown]
	s_waitcnt lgkmcnt(2)
	v_mul_f64 v[60:61], v[40:41], v[38:39]
	v_add_f64 v[4:5], v[56:57], v[54:55]
	v_mul_f64 v[38:39], v[42:43], v[38:39]
	s_waitcnt lgkmcnt(0)
	v_mul_f64 v[56:57], v[44:45], v[50:51]
	v_mul_f64 v[50:51], v[46:47], v[50:51]
	v_add_f64 v[6:7], v[58:59], v[6:7]
	v_fma_f64 v[58:59], v[28:29], v[32:33], -v[34:35]
	v_fma_f64 v[42:43], v[42:43], v[36:37], v[60:61]
	v_add_f64 v[60:61], v[4:5], v[0:1]
	v_fma_f64 v[36:37], v[40:41], v[36:37], -v[38:39]
	v_fma_f64 v[38:39], v[46:47], v[48:49], v[56:57]
	v_add_f64 v[62:63], v[6:7], v[2:3]
	ds_load_b128 v[0:3], v16 offset:448
	ds_load_b128 v[4:7], v20 offset:14336
	global_load_b128 v[28:31], v[8:9], off
	ds_load_b128 v[32:35], v20 offset:14848
	ds_load_b128 v[52:55], v16 offset:464
	v_add_f64 v[40:41], v[60:61], v[58:59]
	s_waitcnt lgkmcnt(2)
	v_mul_f64 v[64:65], v[4:5], v[2:3]
	v_mul_f64 v[2:3], v[6:7], v[2:3]
	s_waitcnt lgkmcnt(0)
	v_mul_f64 v[56:57], v[32:33], v[54:55]
	v_fma_f64 v[58:59], v[44:45], v[48:49], -v[50:51]
	v_mul_f64 v[54:55], v[34:35], v[54:55]
	v_add_f64 v[42:43], v[62:63], v[42:43]
	v_add_f64 v[60:61], v[40:41], v[36:37]
	v_fma_f64 v[6:7], v[6:7], v[0:1], v[64:65]
	v_fma_f64 v[0:1], v[4:5], v[0:1], -v[2:3]
	v_fma_f64 v[2:3], v[34:35], v[52:53], v[56:57]
	v_fma_f64 v[32:33], v[32:33], v[52:53], -v[54:55]
	v_add_f64 v[62:63], v[42:43], v[38:39]
	ds_load_b128 v[36:39], v16 offset:480
	ds_load_b128 v[40:43], v20 offset:15360
	;; [unrolled: 1-line block ×4, first 2 shown]
	s_waitcnt lgkmcnt(2)
	v_mul_f64 v[64:65], v[40:41], v[38:39]
	v_add_f64 v[4:5], v[60:61], v[58:59]
	v_mul_f64 v[34:35], v[42:43], v[38:39]
	s_waitcnt lgkmcnt(0)
	v_mul_f64 v[38:39], v[44:45], v[50:51]
	v_add_f64 v[6:7], v[62:63], v[6:7]
	v_fma_f64 v[42:43], v[42:43], v[36:37], v[64:65]
	v_add_f64 v[0:1], v[4:5], v[0:1]
	v_mul_f64 v[4:5], v[46:47], v[50:51]
	s_delay_alu instid0(VALU_DEP_4)
	v_add_f64 v[2:3], v[6:7], v[2:3]
	v_fma_f64 v[6:7], v[40:41], v[36:37], -v[34:35]
	v_fma_f64 v[34:35], v[46:47], v[48:49], v[38:39]
	v_add_f64 v[0:1], v[0:1], v[32:33]
	v_fma_f64 v[4:5], v[44:45], v[48:49], -v[4:5]
	v_add_f64 v[2:3], v[2:3], v[42:43]
	s_delay_alu instid0(VALU_DEP_3) | instskip(NEXT) | instid1(VALU_DEP_2)
	v_add_f64 v[0:1], v[0:1], v[6:7]
	v_add_f64 v[2:3], v[2:3], v[34:35]
	s_delay_alu instid0(VALU_DEP_2) | instskip(NEXT) | instid1(VALU_DEP_2)
	v_add_f64 v[0:1], v[0:1], v[4:5]
	v_mul_f64 v[4:5], s[6:7], v[2:3]
	v_mul_f64 v[2:3], s[4:5], v[2:3]
	s_delay_alu instid0(VALU_DEP_2) | instskip(NEXT) | instid1(VALU_DEP_2)
	v_fma_f64 v[4:5], s[4:5], v[0:1], -v[4:5]
	v_fma_f64 v[2:3], s[6:7], v[0:1], v[2:3]
	s_waitcnt vmcnt(0)
	s_delay_alu instid0(VALU_DEP_2) | instskip(NEXT) | instid1(VALU_DEP_2)
	v_add_f64 v[0:1], v[28:29], v[4:5]
	v_add_f64 v[2:3], v[30:31], v[2:3]
	global_store_b128 v[8:9], v[0:3], off
.LBB1935_11:                            ;   in Loop: Header=BB1935_5 Depth=1
	s_or_b32 exec_lo, exec_lo, s1
	v_mov_b32_e32 v2, 0
	v_mov_b32_e32 v3, 0
	s_waitcnt_vscnt null, 0x0
	s_barrier
	buffer_gl0_inv
	v_dual_mov_b32 v7, v3 :: v_dual_mov_b32 v6, v2
	v_dual_mov_b32 v5, v3 :: v_dual_mov_b32 v4, v2
	s_and_saveexec_b32 s11, s8
	s_cbranch_execz .LBB1935_13
; %bb.12:                               ;   in Loop: Header=BB1935_5 Depth=1
	v_ashrrev_i32_e32 v11, 31, v10
	s_delay_alu instid0(VALU_DEP_1) | instskip(NEXT) | instid1(VALU_DEP_1)
	v_lshlrev_b64 v[0:1], 4, v[10:11]
	v_add_co_u32 v0, s1, v24, v0
	s_delay_alu instid0(VALU_DEP_1)
	v_add_co_ci_u32_e64 v1, s1, v25, v1, s1
	global_load_b128 v[4:7], v[0:1], off
	s_waitcnt vmcnt(0)
	v_xor_b32_e32 v7, 0x80000000, v7
.LBB1935_13:                            ;   in Loop: Header=BB1935_5 Depth=1
	s_or_b32 exec_lo, exec_lo, s11
	v_dual_mov_b32 v0, v2 :: v_dual_mov_b32 v1, v3
	ds_store_b128 v19, v[4:7]
	s_and_saveexec_b32 s8, s9
	s_cbranch_execz .LBB1935_15
; %bb.14:                               ;   in Loop: Header=BB1935_5 Depth=1
	v_ashrrev_i32_e32 v13, 31, v12
	s_delay_alu instid0(VALU_DEP_1) | instskip(NEXT) | instid1(VALU_DEP_1)
	v_lshlrev_b64 v[0:1], 4, v[12:13]
	v_add_co_u32 v0, s1, v26, v0
	s_delay_alu instid0(VALU_DEP_1)
	v_add_co_ci_u32_e64 v1, s1, v27, v1, s1
	global_load_b128 v[0:3], v[0:1], off
.LBB1935_15:                            ;   in Loop: Header=BB1935_5 Depth=1
	s_or_b32 exec_lo, exec_lo, s8
	s_waitcnt vmcnt(0)
	ds_store_b128 v23, v[0:3]
	s_waitcnt lgkmcnt(0)
	s_barrier
	buffer_gl0_inv
	s_and_saveexec_b32 s1, s2
	s_cbranch_execz .LBB1935_4
; %bb.16:                               ;   in Loop: Header=BB1935_5 Depth=1
	ds_load_b128 v[0:3], v20
	ds_load_b128 v[4:7], v16
	ds_load_b128 v[10:13], v16 offset:16
	ds_load_b128 v[28:31], v20 offset:512
	s_waitcnt lgkmcnt(2)
	v_mul_f64 v[32:33], v[2:3], v[6:7]
	v_mul_f64 v[6:7], v[0:1], v[6:7]
	s_waitcnt lgkmcnt(0)
	v_mul_f64 v[48:49], v[30:31], v[12:13]
	v_mul_f64 v[12:13], v[28:29], v[12:13]
	s_delay_alu instid0(VALU_DEP_4)
	v_fma_f64 v[0:1], v[0:1], v[4:5], -v[32:33]
	ds_load_b128 v[32:35], v20 offset:1024
	ds_load_b128 v[36:39], v16 offset:32
	;; [unrolled: 1-line block ×4, first 2 shown]
	v_fma_f64 v[2:3], v[2:3], v[4:5], v[6:7]
	v_fma_f64 v[4:5], v[28:29], v[10:11], -v[48:49]
	v_fma_f64 v[52:53], v[30:31], v[10:11], v[12:13]
	s_waitcnt lgkmcnt(2)
	v_mul_f64 v[50:51], v[34:35], v[38:39]
	v_mul_f64 v[38:39], v[32:33], v[38:39]
	s_waitcnt lgkmcnt(0)
	v_mul_f64 v[48:49], v[46:47], v[42:43]
	v_mul_f64 v[42:43], v[44:45], v[42:43]
	v_add_f64 v[0:1], v[0:1], 0
	v_fma_f64 v[32:33], v[32:33], v[36:37], -v[50:51]
	v_add_f64 v[50:51], v[2:3], 0
	v_fma_f64 v[34:35], v[34:35], v[36:37], v[38:39]
	v_fma_f64 v[36:37], v[44:45], v[40:41], -v[48:49]
	v_fma_f64 v[46:47], v[46:47], v[40:41], v[42:43]
	v_add_f64 v[54:55], v[0:1], v[4:5]
	ds_load_b128 v[0:3], v16 offset:64
	ds_load_b128 v[4:7], v20 offset:2048
	;; [unrolled: 1-line block ×4, first 2 shown]
	s_waitcnt lgkmcnt(2)
	v_mul_f64 v[56:57], v[6:7], v[2:3]
	v_add_f64 v[38:39], v[50:51], v[52:53]
	v_mul_f64 v[44:45], v[4:5], v[2:3]
	s_waitcnt lgkmcnt(0)
	v_mul_f64 v[48:49], v[12:13], v[30:31]
	v_mul_f64 v[30:31], v[10:11], v[30:31]
	v_add_f64 v[32:33], v[54:55], v[32:33]
	v_fma_f64 v[50:51], v[4:5], v[0:1], -v[56:57]
	v_add_f64 v[52:53], v[38:39], v[34:35]
	v_fma_f64 v[0:1], v[6:7], v[0:1], v[44:45]
	v_fma_f64 v[6:7], v[10:11], v[28:29], -v[48:49]
	v_add_f64 v[54:55], v[32:33], v[36:37]
	ds_load_b128 v[2:5], v16 offset:96
	ds_load_b128 v[32:35], v20 offset:3072
	;; [unrolled: 1-line block ×4, first 2 shown]
	s_waitcnt lgkmcnt(2)
	v_mul_f64 v[56:57], v[34:35], v[4:5]
	v_add_f64 v[10:11], v[52:53], v[46:47]
	v_mul_f64 v[48:49], v[32:33], v[4:5]
	v_fma_f64 v[52:53], v[12:13], v[28:29], v[30:31]
	v_add_f64 v[44:45], v[54:55], v[50:51]
	s_waitcnt lgkmcnt(0)
	v_mul_f64 v[50:51], v[38:39], v[42:43]
	v_mul_f64 v[42:43], v[36:37], v[42:43]
	v_fma_f64 v[32:33], v[32:33], v[2:3], -v[56:57]
	v_add_f64 v[0:1], v[10:11], v[0:1]
	v_fma_f64 v[2:3], v[34:35], v[2:3], v[48:49]
	v_add_f64 v[54:55], v[44:45], v[6:7]
	ds_load_b128 v[4:7], v16 offset:128
	ds_load_b128 v[10:13], v20 offset:4096
	;; [unrolled: 1-line block ×4, first 2 shown]
	v_fma_f64 v[34:35], v[36:37], v[40:41], -v[50:51]
	v_fma_f64 v[50:51], v[38:39], v[40:41], v[42:43]
	s_waitcnt lgkmcnt(2)
	v_mul_f64 v[56:57], v[12:13], v[6:7]
	v_add_f64 v[0:1], v[0:1], v[52:53]
	v_mul_f64 v[6:7], v[10:11], v[6:7]
	s_waitcnt lgkmcnt(0)
	v_mul_f64 v[48:49], v[30:31], v[46:47]
	v_mul_f64 v[46:47], v[28:29], v[46:47]
	v_add_f64 v[32:33], v[54:55], v[32:33]
	v_fma_f64 v[10:11], v[10:11], v[4:5], -v[56:57]
	v_add_f64 v[52:53], v[0:1], v[2:3]
	v_fma_f64 v[4:5], v[12:13], v[4:5], v[6:7]
	v_fma_f64 v[6:7], v[28:29], v[44:45], -v[48:49]
	v_add_f64 v[54:55], v[32:33], v[34:35]
	ds_load_b128 v[0:3], v16 offset:160
	ds_load_b128 v[32:35], v20 offset:5120
	;; [unrolled: 1-line block ×4, first 2 shown]
	s_waitcnt lgkmcnt(2)
	v_mul_f64 v[56:57], v[34:35], v[2:3]
	v_add_f64 v[12:13], v[52:53], v[50:51]
	v_mul_f64 v[48:49], v[32:33], v[2:3]
	s_waitcnt lgkmcnt(0)
	v_mul_f64 v[50:51], v[38:39], v[42:43]
	v_fma_f64 v[52:53], v[30:31], v[44:45], v[46:47]
	v_mul_f64 v[42:43], v[36:37], v[42:43]
	v_add_f64 v[10:11], v[54:55], v[10:11]
	v_fma_f64 v[32:33], v[32:33], v[0:1], -v[56:57]
	v_add_f64 v[54:55], v[12:13], v[4:5]
	v_fma_f64 v[0:1], v[34:35], v[0:1], v[48:49]
	v_fma_f64 v[34:35], v[36:37], v[40:41], -v[50:51]
	v_add_f64 v[6:7], v[10:11], v[6:7]
	ds_load_b128 v[2:5], v16 offset:192
	ds_load_b128 v[10:13], v20 offset:6144
	;; [unrolled: 1-line block ×4, first 2 shown]
	s_waitcnt lgkmcnt(2)
	v_mul_f64 v[56:57], v[12:13], v[4:5]
	v_add_f64 v[36:37], v[54:55], v[52:53]
	v_mul_f64 v[48:49], v[10:11], v[4:5]
	s_waitcnt lgkmcnt(0)
	v_mul_f64 v[50:51], v[30:31], v[46:47]
	v_fma_f64 v[52:53], v[38:39], v[40:41], v[42:43]
	v_mul_f64 v[46:47], v[28:29], v[46:47]
	v_add_f64 v[6:7], v[6:7], v[32:33]
	v_fma_f64 v[10:11], v[10:11], v[2:3], -v[56:57]
	v_add_f64 v[0:1], v[36:37], v[0:1]
	v_fma_f64 v[2:3], v[12:13], v[2:3], v[48:49]
	v_fma_f64 v[12:13], v[28:29], v[44:45], -v[50:51]
	v_fma_f64 v[50:51], v[30:31], v[44:45], v[46:47]
	v_add_f64 v[54:55], v[6:7], v[34:35]
	ds_load_b128 v[4:7], v16 offset:224
	ds_load_b128 v[32:35], v20 offset:7168
	ds_load_b128 v[36:39], v20 offset:7680
	ds_load_b128 v[40:43], v16 offset:240
	s_waitcnt lgkmcnt(2)
	v_mul_f64 v[56:57], v[34:35], v[6:7]
	v_add_f64 v[0:1], v[0:1], v[52:53]
	v_mul_f64 v[6:7], v[32:33], v[6:7]
	s_waitcnt lgkmcnt(0)
	v_mul_f64 v[48:49], v[38:39], v[42:43]
	v_mul_f64 v[42:43], v[36:37], v[42:43]
	v_add_f64 v[10:11], v[54:55], v[10:11]
	v_fma_f64 v[32:33], v[32:33], v[4:5], -v[56:57]
	v_add_f64 v[52:53], v[0:1], v[2:3]
	v_fma_f64 v[4:5], v[34:35], v[4:5], v[6:7]
	v_fma_f64 v[6:7], v[36:37], v[40:41], -v[48:49]
	v_add_f64 v[54:55], v[10:11], v[12:13]
	ds_load_b128 v[0:3], v16 offset:256
	ds_load_b128 v[10:13], v20 offset:8192
	;; [unrolled: 1-line block ×4, first 2 shown]
	s_waitcnt lgkmcnt(2)
	v_mul_f64 v[56:57], v[12:13], v[2:3]
	v_add_f64 v[34:35], v[52:53], v[50:51]
	v_mul_f64 v[48:49], v[10:11], v[2:3]
	s_waitcnt lgkmcnt(0)
	v_mul_f64 v[50:51], v[30:31], v[46:47]
	v_fma_f64 v[52:53], v[38:39], v[40:41], v[42:43]
	v_mul_f64 v[46:47], v[28:29], v[46:47]
	v_add_f64 v[32:33], v[54:55], v[32:33]
	v_fma_f64 v[10:11], v[10:11], v[0:1], -v[56:57]
	v_add_f64 v[54:55], v[34:35], v[4:5]
	v_fma_f64 v[0:1], v[12:13], v[0:1], v[48:49]
	v_fma_f64 v[12:13], v[28:29], v[44:45], -v[50:51]
	v_add_f64 v[6:7], v[32:33], v[6:7]
	ds_load_b128 v[2:5], v16 offset:288
	ds_load_b128 v[32:35], v20 offset:9216
	;; [unrolled: 1-line block ×4, first 2 shown]
	s_waitcnt lgkmcnt(2)
	v_mul_f64 v[56:57], v[34:35], v[4:5]
	v_add_f64 v[28:29], v[54:55], v[52:53]
	v_mul_f64 v[48:49], v[32:33], v[4:5]
	s_waitcnt lgkmcnt(0)
	v_mul_f64 v[50:51], v[38:39], v[42:43]
	v_fma_f64 v[52:53], v[30:31], v[44:45], v[46:47]
	v_mul_f64 v[42:43], v[36:37], v[42:43]
	v_add_f64 v[6:7], v[6:7], v[10:11]
	v_fma_f64 v[32:33], v[32:33], v[2:3], -v[56:57]
	v_add_f64 v[0:1], v[28:29], v[0:1]
	v_fma_f64 v[2:3], v[34:35], v[2:3], v[48:49]
	v_fma_f64 v[34:35], v[36:37], v[40:41], -v[50:51]
	v_fma_f64 v[50:51], v[38:39], v[40:41], v[42:43]
	v_add_f64 v[54:55], v[6:7], v[12:13]
	ds_load_b128 v[4:7], v16 offset:320
	ds_load_b128 v[10:13], v20 offset:10240
	;; [unrolled: 1-line block ×4, first 2 shown]
	s_waitcnt lgkmcnt(2)
	v_mul_f64 v[56:57], v[12:13], v[6:7]
	v_add_f64 v[0:1], v[0:1], v[52:53]
	v_mul_f64 v[6:7], v[10:11], v[6:7]
	s_waitcnt lgkmcnt(0)
	v_mul_f64 v[48:49], v[30:31], v[46:47]
	v_mul_f64 v[46:47], v[28:29], v[46:47]
	v_add_f64 v[32:33], v[54:55], v[32:33]
	v_fma_f64 v[10:11], v[10:11], v[4:5], -v[56:57]
	v_add_f64 v[52:53], v[0:1], v[2:3]
	v_fma_f64 v[4:5], v[12:13], v[4:5], v[6:7]
	v_fma_f64 v[6:7], v[28:29], v[44:45], -v[48:49]
	v_add_f64 v[54:55], v[32:33], v[34:35]
	ds_load_b128 v[0:3], v16 offset:352
	ds_load_b128 v[32:35], v20 offset:11264
	;; [unrolled: 1-line block ×4, first 2 shown]
	s_waitcnt lgkmcnt(2)
	v_mul_f64 v[56:57], v[34:35], v[2:3]
	v_add_f64 v[12:13], v[52:53], v[50:51]
	v_mul_f64 v[48:49], v[32:33], v[2:3]
	s_waitcnt lgkmcnt(0)
	v_mul_f64 v[50:51], v[38:39], v[42:43]
	v_fma_f64 v[52:53], v[30:31], v[44:45], v[46:47]
	v_mul_f64 v[42:43], v[36:37], v[42:43]
	v_add_f64 v[10:11], v[54:55], v[10:11]
	v_fma_f64 v[32:33], v[32:33], v[0:1], -v[56:57]
	v_add_f64 v[54:55], v[12:13], v[4:5]
	v_fma_f64 v[0:1], v[34:35], v[0:1], v[48:49]
	v_fma_f64 v[34:35], v[36:37], v[40:41], -v[50:51]
	v_add_f64 v[6:7], v[10:11], v[6:7]
	ds_load_b128 v[2:5], v16 offset:384
	ds_load_b128 v[10:13], v20 offset:12288
	;; [unrolled: 1-line block ×4, first 2 shown]
	s_waitcnt lgkmcnt(2)
	v_mul_f64 v[56:57], v[12:13], v[4:5]
	v_add_f64 v[36:37], v[54:55], v[52:53]
	v_mul_f64 v[48:49], v[10:11], v[4:5]
	s_waitcnt lgkmcnt(0)
	v_mul_f64 v[50:51], v[30:31], v[46:47]
	v_fma_f64 v[52:53], v[38:39], v[40:41], v[42:43]
	v_mul_f64 v[46:47], v[28:29], v[46:47]
	v_add_f64 v[6:7], v[6:7], v[32:33]
	v_fma_f64 v[10:11], v[10:11], v[2:3], -v[56:57]
	v_add_f64 v[0:1], v[36:37], v[0:1]
	v_fma_f64 v[2:3], v[12:13], v[2:3], v[48:49]
	v_fma_f64 v[12:13], v[28:29], v[44:45], -v[50:51]
	v_add_f64 v[54:55], v[6:7], v[34:35]
	ds_load_b128 v[4:7], v16 offset:416
	ds_load_b128 v[32:35], v20 offset:13312
	;; [unrolled: 1-line block ×4, first 2 shown]
	s_waitcnt lgkmcnt(2)
	v_mul_f64 v[56:57], v[34:35], v[6:7]
	v_add_f64 v[0:1], v[0:1], v[52:53]
	v_mul_f64 v[6:7], v[32:33], v[6:7]
	s_waitcnt lgkmcnt(0)
	v_mul_f64 v[52:53], v[38:39], v[42:43]
	v_mul_f64 v[42:43], v[36:37], v[42:43]
	v_add_f64 v[10:11], v[54:55], v[10:11]
	v_fma_f64 v[54:55], v[30:31], v[44:45], v[46:47]
	v_fma_f64 v[32:33], v[32:33], v[4:5], -v[56:57]
	v_add_f64 v[56:57], v[0:1], v[2:3]
	v_fma_f64 v[4:5], v[34:35], v[4:5], v[6:7]
	v_fma_f64 v[6:7], v[36:37], v[40:41], -v[52:53]
	v_add_f64 v[58:59], v[10:11], v[12:13]
	ds_load_b128 v[0:3], v16 offset:448
	ds_load_b128 v[10:13], v20 offset:14336
	global_load_b128 v[28:31], v[8:9], off
	ds_load_b128 v[44:47], v20 offset:14848
	ds_load_b128 v[48:51], v16 offset:464
	v_add_f64 v[34:35], v[56:57], v[54:55]
	s_waitcnt lgkmcnt(2)
	v_mul_f64 v[60:61], v[12:13], v[2:3]
	v_mul_f64 v[52:53], v[10:11], v[2:3]
	s_waitcnt lgkmcnt(0)
	v_mul_f64 v[54:55], v[46:47], v[50:51]
	v_fma_f64 v[56:57], v[38:39], v[40:41], v[42:43]
	v_mul_f64 v[50:51], v[44:45], v[50:51]
	v_add_f64 v[32:33], v[58:59], v[32:33]
	v_add_f64 v[58:59], v[34:35], v[4:5]
	v_fma_f64 v[10:11], v[10:11], v[0:1], -v[60:61]
	v_fma_f64 v[0:1], v[12:13], v[0:1], v[52:53]
	v_fma_f64 v[12:13], v[44:45], v[48:49], -v[54:55]
	v_fma_f64 v[46:47], v[46:47], v[48:49], v[50:51]
	v_add_f64 v[6:7], v[32:33], v[6:7]
	ds_load_b128 v[2:5], v16 offset:480
	ds_load_b128 v[32:35], v20 offset:15360
	;; [unrolled: 1-line block ×4, first 2 shown]
	s_waitcnt lgkmcnt(2)
	v_mul_f64 v[60:61], v[34:35], v[4:5]
	v_add_f64 v[44:45], v[58:59], v[56:57]
	v_mul_f64 v[4:5], v[32:33], v[4:5]
	v_add_f64 v[6:7], v[6:7], v[10:11]
	s_waitcnt lgkmcnt(0)
	v_mul_f64 v[10:11], v[38:39], v[42:43]
	v_fma_f64 v[32:33], v[32:33], v[2:3], -v[60:61]
	v_add_f64 v[0:1], v[44:45], v[0:1]
	v_fma_f64 v[2:3], v[34:35], v[2:3], v[4:5]
	v_add_f64 v[6:7], v[6:7], v[12:13]
	v_mul_f64 v[12:13], v[36:37], v[42:43]
	v_fma_f64 v[4:5], v[36:37], v[40:41], -v[10:11]
	v_add_f64 v[0:1], v[0:1], v[46:47]
	s_delay_alu instid0(VALU_DEP_4) | instskip(NEXT) | instid1(VALU_DEP_4)
	v_add_f64 v[6:7], v[6:7], v[32:33]
	v_fma_f64 v[10:11], v[38:39], v[40:41], v[12:13]
	s_delay_alu instid0(VALU_DEP_3) | instskip(NEXT) | instid1(VALU_DEP_3)
	v_add_f64 v[0:1], v[0:1], v[2:3]
	v_add_f64 v[2:3], v[6:7], v[4:5]
	s_delay_alu instid0(VALU_DEP_2) | instskip(NEXT) | instid1(VALU_DEP_2)
	v_add_f64 v[0:1], v[0:1], v[10:11]
	v_mul_f64 v[4:5], s[4:5], v[2:3]
	v_mul_f64 v[2:3], s[6:7], v[2:3]
	s_delay_alu instid0(VALU_DEP_2) | instskip(NEXT) | instid1(VALU_DEP_2)
	v_fma_f64 v[4:5], s[6:7], v[0:1], v[4:5]
	v_fma_f64 v[2:3], s[4:5], v[0:1], -v[2:3]
	s_waitcnt vmcnt(0)
	s_delay_alu instid0(VALU_DEP_2) | instskip(NEXT) | instid1(VALU_DEP_2)
	v_add_f64 v[0:1], v[28:29], v[4:5]
	v_add_f64 v[2:3], v[30:31], v[2:3]
	global_store_b128 v[8:9], v[0:3], off
	s_branch .LBB1935_4
.LBB1935_17:
	s_endpgm
	.section	.rodata,"a",@progbits
	.p2align	6, 0x0
	.amdhsa_kernel _ZL26rocblas_syr2k_her2k_kernelIiLb1ELb1ELb1ELi32EPK19rocblas_complex_numIdES3_PS1_EvbiT_T4_T5_S5_lS7_S5_lT6_S5_li
		.amdhsa_group_segment_fixed_size 32768
		.amdhsa_private_segment_fixed_size 0
		.amdhsa_kernarg_size 100
		.amdhsa_user_sgpr_count 13
		.amdhsa_user_sgpr_dispatch_ptr 0
		.amdhsa_user_sgpr_queue_ptr 0
		.amdhsa_user_sgpr_kernarg_segment_ptr 1
		.amdhsa_user_sgpr_dispatch_id 0
		.amdhsa_user_sgpr_private_segment_size 0
		.amdhsa_wavefront_size32 1
		.amdhsa_uses_dynamic_stack 0
		.amdhsa_enable_private_segment 0
		.amdhsa_system_sgpr_workgroup_id_x 1
		.amdhsa_system_sgpr_workgroup_id_y 1
		.amdhsa_system_sgpr_workgroup_id_z 1
		.amdhsa_system_sgpr_workgroup_info 0
		.amdhsa_system_vgpr_workitem_id 1
		.amdhsa_next_free_vgpr 66
		.amdhsa_next_free_sgpr 28
		.amdhsa_reserve_vcc 1
		.amdhsa_float_round_mode_32 0
		.amdhsa_float_round_mode_16_64 0
		.amdhsa_float_denorm_mode_32 3
		.amdhsa_float_denorm_mode_16_64 3
		.amdhsa_dx10_clamp 1
		.amdhsa_ieee_mode 1
		.amdhsa_fp16_overflow 0
		.amdhsa_workgroup_processor_mode 1
		.amdhsa_memory_ordered 1
		.amdhsa_forward_progress 0
		.amdhsa_shared_vgpr_count 0
		.amdhsa_exception_fp_ieee_invalid_op 0
		.amdhsa_exception_fp_denorm_src 0
		.amdhsa_exception_fp_ieee_div_zero 0
		.amdhsa_exception_fp_ieee_overflow 0
		.amdhsa_exception_fp_ieee_underflow 0
		.amdhsa_exception_fp_ieee_inexact 0
		.amdhsa_exception_int_div_zero 0
	.end_amdhsa_kernel
	.section	.text._ZL26rocblas_syr2k_her2k_kernelIiLb1ELb1ELb1ELi32EPK19rocblas_complex_numIdES3_PS1_EvbiT_T4_T5_S5_lS7_S5_lT6_S5_li,"axG",@progbits,_ZL26rocblas_syr2k_her2k_kernelIiLb1ELb1ELb1ELi32EPK19rocblas_complex_numIdES3_PS1_EvbiT_T4_T5_S5_lS7_S5_lT6_S5_li,comdat
.Lfunc_end1935:
	.size	_ZL26rocblas_syr2k_her2k_kernelIiLb1ELb1ELb1ELi32EPK19rocblas_complex_numIdES3_PS1_EvbiT_T4_T5_S5_lS7_S5_lT6_S5_li, .Lfunc_end1935-_ZL26rocblas_syr2k_her2k_kernelIiLb1ELb1ELb1ELi32EPK19rocblas_complex_numIdES3_PS1_EvbiT_T4_T5_S5_lS7_S5_lT6_S5_li
                                        ; -- End function
	.section	.AMDGPU.csdata,"",@progbits
; Kernel info:
; codeLenInByte = 5620
; NumSgprs: 30
; NumVgprs: 66
; ScratchSize: 0
; MemoryBound: 1
; FloatMode: 240
; IeeeMode: 1
; LDSByteSize: 32768 bytes/workgroup (compile time only)
; SGPRBlocks: 3
; VGPRBlocks: 8
; NumSGPRsForWavesPerEU: 30
; NumVGPRsForWavesPerEU: 66
; Occupancy: 16
; WaveLimiterHint : 0
; COMPUTE_PGM_RSRC2:SCRATCH_EN: 0
; COMPUTE_PGM_RSRC2:USER_SGPR: 13
; COMPUTE_PGM_RSRC2:TRAP_HANDLER: 0
; COMPUTE_PGM_RSRC2:TGID_X_EN: 1
; COMPUTE_PGM_RSRC2:TGID_Y_EN: 1
; COMPUTE_PGM_RSRC2:TGID_Z_EN: 1
; COMPUTE_PGM_RSRC2:TIDIG_COMP_CNT: 1
	.section	.text._ZL26rocblas_syr2k_her2k_kernelIiLb1ELb1ELb0ELi32E19rocblas_complex_numIfEPKPKS1_PKPS1_EvbiT_T4_T5_S9_lSB_S9_lT6_S9_li,"axG",@progbits,_ZL26rocblas_syr2k_her2k_kernelIiLb1ELb1ELb0ELi32E19rocblas_complex_numIfEPKPKS1_PKPS1_EvbiT_T4_T5_S9_lSB_S9_lT6_S9_li,comdat
	.globl	_ZL26rocblas_syr2k_her2k_kernelIiLb1ELb1ELb0ELi32E19rocblas_complex_numIfEPKPKS1_PKPS1_EvbiT_T4_T5_S9_lSB_S9_lT6_S9_li ; -- Begin function _ZL26rocblas_syr2k_her2k_kernelIiLb1ELb1ELb0ELi32E19rocblas_complex_numIfEPKPKS1_PKPS1_EvbiT_T4_T5_S9_lSB_S9_lT6_S9_li
	.p2align	8
	.type	_ZL26rocblas_syr2k_her2k_kernelIiLb1ELb1ELb0ELi32E19rocblas_complex_numIfEPKPKS1_PKPS1_EvbiT_T4_T5_S9_lSB_S9_lT6_S9_li,@function
_ZL26rocblas_syr2k_her2k_kernelIiLb1ELb1ELb0ELi32E19rocblas_complex_numIfEPKPKS1_PKPS1_EvbiT_T4_T5_S9_lSB_S9_lT6_S9_li: ; @_ZL26rocblas_syr2k_her2k_kernelIiLb1ELb1ELb0ELi32E19rocblas_complex_numIfEPKPKS1_PKPS1_EvbiT_T4_T5_S9_lSB_S9_lT6_S9_li
; %bb.0:
	s_clause 0x1
	s_load_b128 s[4:7], s[0:1], 0x0
	s_load_b32 s16, s[0:1], 0x10
	s_waitcnt lgkmcnt(0)
	v_cmp_eq_f32_e64 s3, s7, 0
	v_cmp_eq_f32_e64 s8, s16, 0
	s_delay_alu instid0(VALU_DEP_1) | instskip(NEXT) | instid1(SALU_CYCLE_1)
	s_and_b32 s3, s3, s8
	s_and_b32 vcc_lo, exec_lo, s3
	s_cbranch_vccnz .LBB1936_17
; %bb.1:
	s_and_b32 s3, 1, s4
	s_lshl_b32 s18, s14, 5
	s_lshl_b32 s19, s13, 5
	s_cmp_eq_u32 s3, 1
	s_cselect_b32 vcc_lo, -1, 0
	s_delay_alu instid0(SALU_CYCLE_1) | instskip(SKIP_2) | instid1(SALU_CYCLE_1)
	s_and_b32 s3, vcc_lo, exec_lo
	s_cselect_b32 s3, s19, s18
	s_cselect_b32 s4, s18, s19
	s_cmp_gt_i32 s3, s4
	s_cbranch_scc1 .LBB1936_17
; %bb.2:
	s_cmp_lt_i32 s6, 1
	s_cbranch_scc1 .LBB1936_17
; %bb.3:
	s_mov_b32 s2, s15
	s_clause 0x5
	s_load_b64 s[20:21], s[0:1], 0x18
	s_load_b128 s[12:15], s[0:1], 0x28
	s_load_b32 s4, s[0:1], 0x20
	s_load_b32 s17, s[0:1], 0x38
	s_load_b128 s[8:11], s[0:1], 0x40
	s_load_b32 s24, s[0:1], 0x50
	v_bfe_u32 v6, v0, 10, 10
	v_and_b32_e32 v7, 0x3ff, v0
	s_mov_b32 s3, 0
	s_load_b64 s[22:23], s[0:1], 0x58
	s_lshl_b64 s[0:1], s[2:3], 3
	v_add_nc_u32_e32 v0, s18, v6
	v_add_nc_u32_e32 v2, s19, v7
	v_lshlrev_b32_e32 v10, 3, v6
	v_lshlrev_b32_e32 v8, 8, v7
	s_delay_alu instid0(VALU_DEP_4) | instskip(NEXT) | instid1(VALU_DEP_4)
	v_ashrrev_i32_e32 v1, 31, v0
	v_cndmask_b32_e32 v17, v0, v2, vcc_lo
	v_ashrrev_i32_e32 v3, 31, v2
	s_delay_alu instid0(VALU_DEP_4)
	v_dual_cndmask_b32 v16, v2, v0 :: v_dual_add_nc_u32 v9, v8, v10
	s_waitcnt lgkmcnt(0)
	s_add_u32 s18, s20, s0
	s_addc_u32 s19, s21, s1
	s_add_u32 s14, s14, s0
	s_load_b64 s[18:19], s[18:19], 0x0
	s_addc_u32 s15, s15, s1
	s_add_u32 s0, s10, s0
	s_load_b64 s[14:15], s[14:15], 0x0
	s_addc_u32 s1, s11, s1
	v_mad_i64_i32 v[4:5], null, s24, v0, 0
	s_load_b64 s[10:11], s[0:1], 0x0
	v_cmp_gt_i32_e32 vcc_lo, s5, v2
	v_lshlrev_b64 v[2:3], 3, v[2:3]
	s_lshl_b64 s[12:13], s[12:13], 3
	v_lshlrev_b64 v[18:19], 3, v[0:1]
	v_cmp_gt_i32_e64 s0, s5, v0
	v_lshlrev_b64 v[0:1], 3, v[4:5]
	v_or_b32_e32 v10, 0x2000, v10
	s_delay_alu instid0(VALU_DEP_1)
	v_add_nc_u32_e32 v15, v10, v8
	s_waitcnt lgkmcnt(0)
	s_add_u32 s5, s18, s12
	s_addc_u32 s12, s19, s13
	s_lshl_b64 s[8:9], s[8:9], 3
	v_add_co_u32 v11, s1, s5, v2
	s_add_u32 s13, s14, s8
	s_addc_u32 s14, s15, s9
	s_lshl_b64 s[8:9], s[22:23], 3
	v_add_co_ci_u32_e64 v12, s1, s12, v3, s1
	v_add_co_u32 v13, s1, s13, v18
	s_add_u32 s2, s10, s8
	v_add_co_ci_u32_e64 v14, s1, s14, v19, s1
	s_addc_u32 s8, s11, s9
	v_add_co_u32 v0, s1, s2, v0
	s_delay_alu instid0(VALU_DEP_1) | instskip(SKIP_1) | instid1(VALU_DEP_3)
	v_add_co_ci_u32_e64 v1, s1, s8, v1, s1
	v_cmp_le_i32_e64 s1, v17, v16
	v_add_co_u32 v0, s2, v0, v2
	s_delay_alu instid0(VALU_DEP_1) | instskip(SKIP_1) | instid1(VALU_DEP_1)
	v_add_co_ci_u32_e64 v1, s2, v1, v3, s2
	v_add_co_u32 v16, s2, s13, v2
	v_add_co_ci_u32_e64 v17, s2, s14, v3, s2
	v_add_co_u32 v18, s2, s5, v18
	s_delay_alu instid0(VALU_DEP_1) | instskip(SKIP_4) | instid1(SALU_CYCLE_1)
	v_add_co_ci_u32_e64 v19, s2, s12, v19, s2
	v_add_nc_u32_e32 v20, 0x800, v10
	v_add_nc_u32_e32 v21, 0x1000, v10
	;; [unrolled: 1-line block ×3, first 2 shown]
	s_and_b32 s2, s0, vcc_lo
	s_and_b32 s2, s2, s1
	s_branch .LBB1936_5
.LBB1936_4:                             ;   in Loop: Header=BB1936_5 Depth=1
	s_or_b32 exec_lo, exec_lo, s1
	s_add_i32 s3, s3, 32
	s_waitcnt_vscnt null, 0x0
	s_cmp_lt_i32 s3, s6
	s_barrier
	buffer_gl0_inv
	s_cbranch_scc0 .LBB1936_17
.LBB1936_5:                             ; =>This Inner Loop Header: Depth=1
	v_dual_mov_b32 v2, 0 :: v_dual_add_nc_u32 v23, s3, v6
	v_dual_mov_b32 v4, 0 :: v_dual_mov_b32 v5, 0
	s_delay_alu instid0(VALU_DEP_2) | instskip(NEXT) | instid1(VALU_DEP_1)
	v_cmp_gt_i32_e64 s1, s6, v23
	s_and_b32 s5, vcc_lo, s1
	s_delay_alu instid0(SALU_CYCLE_1)
	s_and_saveexec_b32 s8, s5
	s_cbranch_execz .LBB1936_7
; %bb.6:                                ;   in Loop: Header=BB1936_5 Depth=1
	v_mad_i64_i32 v[3:4], null, v23, s4, 0
	s_delay_alu instid0(VALU_DEP_1) | instskip(NEXT) | instid1(VALU_DEP_1)
	v_lshlrev_b64 v[3:4], 3, v[3:4]
	v_add_co_u32 v3, s1, v11, v3
	s_delay_alu instid0(VALU_DEP_1)
	v_add_co_ci_u32_e64 v4, s1, v12, v4, s1
	global_load_b64 v[4:5], v[3:4], off
.LBB1936_7:                             ;   in Loop: Header=BB1936_5 Depth=1
	s_or_b32 exec_lo, exec_lo, s8
	v_dual_mov_b32 v3, 0 :: v_dual_add_nc_u32 v24, s3, v7
	s_waitcnt vmcnt(0)
	ds_store_b64 v9, v[4:5]
	v_cmp_gt_i32_e64 s1, s6, v24
	s_delay_alu instid0(VALU_DEP_1) | instskip(NEXT) | instid1(SALU_CYCLE_1)
	s_and_b32 s8, s0, s1
	s_and_saveexec_b32 s9, s8
	s_cbranch_execz .LBB1936_9
; %bb.8:                                ;   in Loop: Header=BB1936_5 Depth=1
	v_mad_i64_i32 v[2:3], null, v24, s17, 0
	s_delay_alu instid0(VALU_DEP_1) | instskip(NEXT) | instid1(VALU_DEP_1)
	v_lshlrev_b64 v[2:3], 3, v[2:3]
	v_add_co_u32 v2, s1, v13, v2
	s_delay_alu instid0(VALU_DEP_1)
	v_add_co_ci_u32_e64 v3, s1, v14, v3, s1
	global_load_b64 v[2:3], v[2:3], off
	s_waitcnt vmcnt(0)
	v_xor_b32_e32 v3, 0x80000000, v3
.LBB1936_9:                             ;   in Loop: Header=BB1936_5 Depth=1
	s_or_b32 exec_lo, exec_lo, s9
	ds_store_b64 v15, v[2:3]
	s_waitcnt lgkmcnt(0)
	s_barrier
	buffer_gl0_inv
	s_and_saveexec_b32 s1, s2
	s_cbranch_execz .LBB1936_11
; %bb.10:                               ;   in Loop: Header=BB1936_5 Depth=1
	global_load_b64 v[145:146], v[0:1], off
	ds_load_2addr_b64 v[2:5], v10 offset1:32
	ds_load_b128 v[25:28], v8
	ds_load_b128 v[29:32], v8 offset:16
	ds_load_b128 v[33:36], v8 offset:32
	;; [unrolled: 1-line block ×3, first 2 shown]
	ds_load_2addr_b64 v[41:44], v10 offset0:64 offset1:96
	ds_load_2addr_b64 v[45:48], v10 offset0:128 offset1:160
	ds_load_2addr_b64 v[49:52], v10 offset0:192 offset1:224
	ds_load_2addr_b64 v[53:56], v20 offset1:32
	ds_load_b128 v[57:60], v8 offset:64
	ds_load_b128 v[61:64], v8 offset:80
	ds_load_2addr_b64 v[65:68], v20 offset0:64 offset1:96
	ds_load_2addr_b64 v[69:72], v20 offset0:128 offset1:160
	ds_load_b128 v[73:76], v8 offset:96
	ds_load_b128 v[77:80], v8 offset:112
	ds_load_2addr_b64 v[81:84], v20 offset0:192 offset1:224
	ds_load_2addr_b64 v[85:88], v21 offset1:32
	ds_load_b128 v[89:92], v8 offset:128
	ds_load_b128 v[93:96], v8 offset:144
	ds_load_2addr_b64 v[97:100], v21 offset0:64 offset1:96
	ds_load_2addr_b64 v[101:104], v21 offset0:128 offset1:160
	ds_load_b128 v[105:108], v8 offset:160
	ds_load_b128 v[109:112], v8 offset:176
	ds_load_2addr_b64 v[113:116], v21 offset0:192 offset1:224
	ds_load_2addr_b64 v[117:120], v22 offset1:32
	ds_load_b128 v[121:124], v8 offset:192
	ds_load_b128 v[125:128], v8 offset:208
	ds_load_2addr_b64 v[129:132], v22 offset0:64 offset1:96
	ds_load_2addr_b64 v[133:136], v22 offset0:128 offset1:160
	s_waitcnt lgkmcnt(27)
	v_dual_mul_f32 v147, v3, v26 :: v_dual_mul_f32 v148, v5, v28
	v_mul_f32_e32 v26, v2, v26
	s_waitcnt lgkmcnt(22)
	v_dual_mul_f32 v28, v4, v28 :: v_dual_mul_f32 v149, v46, v34
	s_delay_alu instid0(VALU_DEP_3)
	v_fma_f32 v147, v2, v25, -v147
	v_mul_f32_e32 v34, v45, v34
	v_fmac_f32_e32 v26, v3, v25
	v_fma_f32 v25, v4, v27, -v148
	v_dual_fmac_f32 v28, v5, v27 :: v_dual_mul_f32 v27, v42, v30
	v_mul_f32_e32 v30, v41, v30
	v_mul_f32_e32 v148, v44, v32
	;; [unrolled: 1-line block ×3, first 2 shown]
	v_fma_f32 v45, v45, v33, -v149
	v_fma_f32 v27, v41, v29, -v27
	v_fmac_f32_e32 v30, v42, v29
	v_fma_f32 v29, v43, v31, -v148
	s_waitcnt lgkmcnt(19)
	v_mul_f32_e32 v42, v54, v58
	v_dual_mul_f32 v43, v53, v58 :: v_dual_add_f32 v58, 0, v147
	v_mul_f32_e32 v150, v48, v36
	v_dual_fmac_f32 v32, v44, v31 :: v_dual_mul_f32 v31, v47, v36
	v_fmac_f32_e32 v34, v46, v33
	s_delay_alu instid0(VALU_DEP_4) | instskip(NEXT) | instid1(VALU_DEP_4)
	v_add_f32_e32 v25, v58, v25
	v_fma_f32 v33, v47, v35, -v150
	v_mul_f32_e32 v41, v52, v40
	v_fmac_f32_e32 v31, v48, v35
	v_mul_f32_e32 v35, v55, v60
	v_dual_add_f32 v25, v25, v27 :: v_dual_mul_f32 v36, v50, v38
	v_mul_f32_e32 v38, v49, v38
	s_waitcnt lgkmcnt(13)
	v_mul_f32_e32 v27, v81, v78
	v_fmac_f32_e32 v35, v56, v59
	v_dual_add_f32 v25, v25, v29 :: v_dual_mul_f32 v44, v56, v60
	v_fma_f32 v36, v49, v37, -v36
	s_waitcnt lgkmcnt(11)
	v_dual_mul_f32 v40, v51, v40 :: v_dual_mul_f32 v29, v86, v90
	s_delay_alu instid0(VALU_DEP_3) | instskip(SKIP_1) | instid1(VALU_DEP_2)
	v_dual_add_f32 v25, v25, v45 :: v_dual_add_f32 v26, 0, v26
	s_waitcnt lgkmcnt(9)
	v_dual_mul_f32 v45, v97, v94 :: v_dual_fmac_f32 v40, v52, v39
	v_dual_mul_f32 v60, v67, v64 :: v_dual_fmac_f32 v43, v54, v57
	s_delay_alu instid0(VALU_DEP_3) | instskip(SKIP_3) | instid1(VALU_DEP_4)
	v_dual_add_f32 v25, v25, v33 :: v_dual_add_f32 v26, v26, v28
	v_mul_f32_e32 v28, v70, v74
	v_fma_f32 v29, v85, v89, -v29
	v_dual_mul_f32 v46, v66, v62 :: v_dual_mul_f32 v49, v100, v96
	v_add_f32_e32 v25, v25, v36
	s_delay_alu instid0(VALU_DEP_4)
	v_fma_f32 v28, v69, v73, -v28
	v_fmac_f32_e32 v38, v50, v37
	v_fma_f32 v37, v51, v39, -v41
	v_mul_f32_e32 v58, v72, v76
	v_mul_f32_e32 v41, v87, v92
	v_dual_mul_f32 v47, v65, v62 :: v_dual_mul_f32 v48, v68, v64
	s_delay_alu instid0(VALU_DEP_4) | instskip(NEXT) | instid1(VALU_DEP_2)
	v_dual_add_f32 v25, v25, v37 :: v_dual_add_f32 v26, v26, v30
	v_dual_mul_f32 v30, v71, v76 :: v_dual_fmac_f32 v47, v66, v61
	s_delay_alu instid0(VALU_DEP_4)
	v_dual_fmac_f32 v41, v88, v91 :: v_dual_mul_f32 v62, v69, v74
	s_waitcnt lgkmcnt(7)
	v_mul_f32_e32 v37, v104, v108
	v_add_f32_e32 v26, v26, v32
	v_fmac_f32_e32 v60, v68, v63
	v_mul_f32_e32 v64, v82, v78
	v_fmac_f32_e32 v30, v72, v75
	v_fma_f32 v37, v103, v107, -v37
	v_add_f32_e32 v26, v26, v34
	v_dual_mul_f32 v74, v83, v80 :: v_dual_fmac_f32 v27, v82, v77
	ds_load_b128 v[137:140], v8 offset:224
	ds_load_b128 v[141:144], v8 offset:240
	v_mul_f32_e32 v34, v85, v90
	v_add_f32_e32 v26, v26, v31
	v_dual_mul_f32 v31, v98, v94 :: v_dual_fmac_f32 v74, v84, v79
	v_mul_f32_e32 v39, v88, v92
	s_delay_alu instid0(VALU_DEP_3) | instskip(NEXT) | instid1(VALU_DEP_3)
	v_dual_mul_f32 v33, v99, v96 :: v_dual_add_f32 v26, v26, v38
	v_fma_f32 v31, v97, v93, -v31
	v_fmac_f32_e32 v62, v70, v73
	v_dual_mul_f32 v36, v101, v106 :: v_dual_fmac_f32 v45, v98, v93
	s_delay_alu instid0(VALU_DEP_4) | instskip(SKIP_4) | instid1(VALU_DEP_4)
	v_add_f32_e32 v26, v26, v40
	v_fma_f32 v40, v53, v57, -v42
	v_fma_f32 v42, v55, v59, -v44
	;; [unrolled: 1-line block ×3, first 2 shown]
	v_fmac_f32_e32 v33, v100, v95
	v_dual_add_f32 v26, v26, v43 :: v_dual_add_f32 v25, v25, v40
	v_fma_f32 v40, v65, v61, -v46
	v_fma_f32 v43, v67, v63, -v48
	v_fmac_f32_e32 v36, v102, v105
	s_delay_alu instid0(VALU_DEP_4)
	v_dual_add_f32 v26, v26, v35 :: v_dual_add_f32 v25, v25, v42
	s_waitcnt lgkmcnt(7)
	v_dual_mul_f32 v35, v103, v108 :: v_dual_mul_f32 v42, v114, v110
	ds_load_2addr_b64 v[2:5], v22 offset0:192 offset1:224
	v_dual_add_f32 v26, v26, v47 :: v_dual_add_f32 v25, v25, v40
	v_mul_f32_e32 v32, v84, v80
	v_dual_fmac_f32 v35, v104, v107 :: v_dual_mul_f32 v40, v113, v110
	s_delay_alu instid0(VALU_DEP_3) | instskip(NEXT) | instid1(VALU_DEP_3)
	v_dual_add_f32 v26, v26, v60 :: v_dual_add_f32 v25, v25, v43
	v_fma_f32 v32, v83, v79, -v32
	v_dual_mul_f32 v43, v116, v112 :: v_dual_fmac_f32 v34, v86, v89
	s_delay_alu instid0(VALU_DEP_3) | instskip(SKIP_1) | instid1(VALU_DEP_2)
	v_dual_add_f32 v26, v26, v62 :: v_dual_add_f32 v25, v25, v28
	v_mul_f32_e32 v28, v115, v112
	v_add_f32_e32 v26, v26, v30
	v_fma_f32 v30, v81, v77, -v64
	s_delay_alu instid0(VALU_DEP_2) | instskip(SKIP_2) | instid1(VALU_DEP_2)
	v_dual_add_f32 v25, v25, v44 :: v_dual_add_f32 v26, v26, v27
	s_waitcnt lgkmcnt(6)
	v_mul_f32_e32 v27, v118, v122
	v_add_f32_e32 v25, v25, v30
	v_mul_f32_e32 v38, v102, v106
	s_delay_alu instid0(VALU_DEP_3) | instskip(NEXT) | instid1(VALU_DEP_3)
	v_fma_f32 v27, v117, v121, -v27
	v_add_f32_e32 v25, v25, v32
	s_delay_alu instid0(VALU_DEP_1) | instskip(SKIP_1) | instid1(VALU_DEP_1)
	v_dual_mul_f32 v32, v120, v124 :: v_dual_add_f32 v25, v25, v29
	v_dual_mul_f32 v29, v119, v124 :: v_dual_add_f32 v26, v26, v74
	v_dual_fmac_f32 v29, v120, v123 :: v_dual_add_f32 v26, v26, v34
	v_fma_f32 v34, v87, v91, -v39
	v_fma_f32 v39, v99, v95, -v49
	s_delay_alu instid0(VALU_DEP_2) | instskip(NEXT) | instid1(VALU_DEP_1)
	v_dual_add_f32 v26, v26, v41 :: v_dual_add_f32 v25, v25, v34
	v_dual_add_f32 v26, v26, v45 :: v_dual_add_f32 v25, v25, v31
	s_waitcnt lgkmcnt(4)
	v_mul_f32_e32 v31, v129, v126
	v_mul_f32_e32 v30, v117, v122
	s_delay_alu instid0(VALU_DEP_3)
	v_add_f32_e32 v26, v26, v33
	v_fma_f32 v33, v101, v105, -v38
	v_add_f32_e32 v25, v25, v39
	v_fmac_f32_e32 v31, v130, v125
	v_fmac_f32_e32 v30, v118, v121
	v_add_f32_e32 v26, v26, v36
	v_fma_f32 v38, v115, v111, -v43
	v_add_f32_e32 v25, v25, v33
	v_dual_mul_f32 v33, v131, v128 :: v_dual_fmac_f32 v40, v114, v109
	s_delay_alu instid0(VALU_DEP_4) | instskip(SKIP_1) | instid1(VALU_DEP_4)
	v_add_f32_e32 v26, v26, v35
	v_fma_f32 v35, v113, v109, -v42
	v_add_f32_e32 v25, v25, v37
	s_waitcnt lgkmcnt(2)
	v_dual_mul_f32 v37, v134, v138 :: v_dual_fmac_f32 v28, v116, v111
	v_add_f32_e32 v26, v26, v40
	s_delay_alu instid0(VALU_DEP_3) | instskip(NEXT) | instid1(VALU_DEP_2)
	v_dual_mul_f32 v36, v132, v128 :: v_dual_add_f32 v25, v25, v35
	v_dual_fmac_f32 v33, v132, v127 :: v_dual_add_f32 v26, v26, v28
	s_delay_alu instid0(VALU_DEP_2) | instskip(NEXT) | instid1(VALU_DEP_2)
	v_add_f32_e32 v25, v25, v38
	v_add_f32_e32 v26, v26, v30
	s_delay_alu instid0(VALU_DEP_2) | instskip(NEXT) | instid1(VALU_DEP_2)
	v_dual_mul_f32 v30, v136, v140 :: v_dual_add_f32 v25, v25, v27
	v_dual_mul_f32 v27, v135, v140 :: v_dual_add_f32 v26, v26, v29
	s_delay_alu instid0(VALU_DEP_2) | instskip(NEXT) | instid1(VALU_DEP_2)
	v_fma_f32 v30, v135, v139, -v30
	v_dual_fmac_f32 v27, v136, v139 :: v_dual_mul_f32 v28, v133, v138
	s_waitcnt lgkmcnt(0)
	s_delay_alu instid0(VALU_DEP_3) | instskip(SKIP_1) | instid1(VALU_DEP_3)
	v_dual_add_f32 v26, v26, v31 :: v_dual_mul_f32 v31, v3, v142
	v_fma_f32 v32, v119, v123, -v32
	v_fmac_f32_e32 v28, v134, v137
	s_delay_alu instid0(VALU_DEP_3) | instskip(SKIP_1) | instid1(VALU_DEP_4)
	v_add_f32_e32 v26, v26, v33
	v_fma_f32 v33, v133, v137, -v37
	v_dual_add_f32 v25, v25, v32 :: v_dual_mul_f32 v34, v130, v126
	s_delay_alu instid0(VALU_DEP_3) | instskip(SKIP_1) | instid1(VALU_DEP_3)
	v_add_f32_e32 v26, v26, v28
	v_mul_f32_e32 v28, v4, v144
	v_fma_f32 v29, v129, v125, -v34
	s_delay_alu instid0(VALU_DEP_2) | instskip(NEXT) | instid1(VALU_DEP_2)
	v_fmac_f32_e32 v28, v5, v143
	v_add_f32_e32 v25, v25, v29
	v_mul_f32_e32 v29, v2, v142
	v_fma_f32 v32, v131, v127, -v36
	v_fma_f32 v2, v2, v141, -v31
	s_delay_alu instid0(VALU_DEP_3) | instskip(NEXT) | instid1(VALU_DEP_3)
	v_fmac_f32_e32 v29, v3, v141
	v_add_f32_e32 v25, v25, v32
	s_delay_alu instid0(VALU_DEP_1) | instskip(SKIP_1) | instid1(VALU_DEP_2)
	v_add_f32_e32 v3, v25, v33
	v_dual_add_f32 v25, v26, v27 :: v_dual_mul_f32 v26, v5, v144
	v_add_f32_e32 v3, v3, v30
	s_delay_alu instid0(VALU_DEP_2) | instskip(NEXT) | instid1(VALU_DEP_3)
	v_add_f32_e32 v5, v25, v29
	v_fma_f32 v4, v4, v143, -v26
	s_delay_alu instid0(VALU_DEP_2) | instskip(NEXT) | instid1(VALU_DEP_1)
	v_dual_add_f32 v2, v3, v2 :: v_dual_add_f32 v3, v5, v28
	v_add_f32_e32 v2, v2, v4
	s_delay_alu instid0(VALU_DEP_2) | instskip(SKIP_1) | instid1(VALU_DEP_2)
	v_mul_f32_e32 v4, s16, v3
	v_mul_f32_e32 v3, s7, v3
	v_fma_f32 v4, s7, v2, -v4
	s_waitcnt vmcnt(0)
	s_delay_alu instid0(VALU_DEP_1) | instskip(NEXT) | instid1(VALU_DEP_1)
	v_dual_fmac_f32 v3, s16, v2 :: v_dual_add_f32 v2, v145, v4
	v_add_f32_e32 v3, v146, v3
	global_store_b64 v[0:1], v[2:3], off
.LBB1936_11:                            ;   in Loop: Header=BB1936_5 Depth=1
	s_or_b32 exec_lo, exec_lo, s1
	v_dual_mov_b32 v3, 0 :: v_dual_mov_b32 v4, 0
	v_mov_b32_e32 v5, 0
	s_waitcnt_vscnt null, 0x0
	s_barrier
	buffer_gl0_inv
	s_and_saveexec_b32 s9, s5
	s_cbranch_execz .LBB1936_13
; %bb.12:                               ;   in Loop: Header=BB1936_5 Depth=1
	v_mad_i64_i32 v[4:5], null, v23, s17, 0
	s_delay_alu instid0(VALU_DEP_1) | instskip(NEXT) | instid1(VALU_DEP_1)
	v_lshlrev_b64 v[4:5], 3, v[4:5]
	v_add_co_u32 v4, s1, v16, v4
	s_delay_alu instid0(VALU_DEP_1)
	v_add_co_ci_u32_e64 v5, s1, v17, v5, s1
	global_load_b64 v[4:5], v[4:5], off
.LBB1936_13:                            ;   in Loop: Header=BB1936_5 Depth=1
	s_or_b32 exec_lo, exec_lo, s9
	v_mov_b32_e32 v2, 0
	s_waitcnt vmcnt(0)
	ds_store_b64 v9, v[4:5]
	s_and_saveexec_b32 s5, s8
	s_cbranch_execz .LBB1936_15
; %bb.14:                               ;   in Loop: Header=BB1936_5 Depth=1
	v_mad_i64_i32 v[2:3], null, v24, s4, 0
	s_delay_alu instid0(VALU_DEP_1) | instskip(NEXT) | instid1(VALU_DEP_1)
	v_lshlrev_b64 v[2:3], 3, v[2:3]
	v_add_co_u32 v2, s1, v18, v2
	s_delay_alu instid0(VALU_DEP_1)
	v_add_co_ci_u32_e64 v3, s1, v19, v3, s1
	global_load_b64 v[2:3], v[2:3], off
	s_waitcnt vmcnt(0)
	v_xor_b32_e32 v3, 0x80000000, v3
.LBB1936_15:                            ;   in Loop: Header=BB1936_5 Depth=1
	s_or_b32 exec_lo, exec_lo, s5
	ds_store_b64 v15, v[2:3]
	s_waitcnt lgkmcnt(0)
	s_barrier
	buffer_gl0_inv
	s_and_saveexec_b32 s1, s2
	s_cbranch_execz .LBB1936_4
; %bb.16:                               ;   in Loop: Header=BB1936_5 Depth=1
	global_load_b64 v[147:148], v[0:1], off
	ds_load_b128 v[2:5], v8
	ds_load_b128 v[23:26], v8 offset:16
	ds_load_2addr_b64 v[27:30], v10 offset1:32
	ds_load_b128 v[31:34], v8 offset:32
	ds_load_b128 v[35:38], v8 offset:48
	ds_load_2addr_b64 v[39:42], v10 offset0:64 offset1:96
	ds_load_2addr_b64 v[43:46], v10 offset0:128 offset1:160
	;; [unrolled: 1-line block ×3, first 2 shown]
	ds_load_2addr_b64 v[51:54], v20 offset1:32
	ds_load_b128 v[55:58], v8 offset:64
	ds_load_b128 v[59:62], v8 offset:80
	ds_load_2addr_b64 v[63:66], v20 offset0:64 offset1:96
	ds_load_2addr_b64 v[67:70], v20 offset0:128 offset1:160
	ds_load_b128 v[71:74], v8 offset:96
	ds_load_b128 v[75:78], v8 offset:112
	ds_load_2addr_b64 v[79:82], v20 offset0:192 offset1:224
	ds_load_2addr_b64 v[83:86], v21 offset1:32
	ds_load_b128 v[87:90], v8 offset:128
	ds_load_b128 v[91:94], v8 offset:144
	ds_load_2addr_b64 v[95:98], v21 offset0:64 offset1:96
	ds_load_2addr_b64 v[99:102], v21 offset0:128 offset1:160
	ds_load_b128 v[103:106], v8 offset:160
	ds_load_b128 v[107:110], v8 offset:176
	ds_load_2addr_b64 v[111:114], v21 offset0:192 offset1:224
	;; [unrolled: 8-line block ×3, first 2 shown]
	s_waitcnt lgkmcnt(29)
	v_dual_mul_f32 v149, v28, v3 :: v_dual_mul_f32 v150, v30, v5
	s_waitcnt lgkmcnt(26)
	v_dual_mul_f32 v3, v27, v3 :: v_dual_mul_f32 v152, v42, v26
	v_mul_f32_e32 v5, v29, v5
	s_waitcnt lgkmcnt(25)
	v_dual_mul_f32 v153, v44, v32 :: v_dual_mul_f32 v154, v46, v34
	s_delay_alu instid0(VALU_DEP_3)
	v_dual_mul_f32 v32, v43, v32 :: v_dual_fmac_f32 v3, v28, v2
	v_fma_f32 v27, v27, v2, -v149
	v_dual_mul_f32 v151, v40, v24 :: v_dual_mul_f32 v26, v41, v26
	v_mul_f32_e32 v24, v39, v24
	s_waitcnt lgkmcnt(24)
	v_dual_mul_f32 v34, v45, v34 :: v_dual_mul_f32 v155, v48, v36
	v_dual_mul_f32 v36, v47, v36 :: v_dual_add_f32 v27, 0, v27
	s_waitcnt lgkmcnt(22)
	v_dual_mul_f32 v156, v50, v38 :: v_dual_mul_f32 v157, v52, v56
	v_dual_mul_f32 v56, v51, v56 :: v_dual_add_f32 v3, 0, v3
	s_waitcnt lgkmcnt(18)
	v_dual_mul_f32 v158, v54, v58 :: v_dual_mul_f32 v161, v68, v72
	v_dual_mul_f32 v58, v53, v58 :: v_dual_fmac_f32 v5, v30, v4
	v_fma_f32 v2, v29, v4, -v150
	v_dual_mul_f32 v38, v49, v38 :: v_dual_mul_f32 v159, v64, v60
	v_mul_f32_e32 v60, v63, v60
	s_waitcnt lgkmcnt(16)
	v_dual_mul_f32 v160, v66, v62 :: v_dual_mul_f32 v29, v79, v76
	v_dual_mul_f32 v62, v65, v62 :: v_dual_add_f32 v3, v3, v5
	v_add_f32_e32 v2, v27, v2
	s_waitcnt lgkmcnt(14)
	v_mul_f32_e32 v27, v85, v90
	v_fmac_f32_e32 v29, v80, v75
	v_fmac_f32_e32 v24, v40, v23
	v_mul_f32_e32 v4, v69, v74
	s_delay_alu instid0(VALU_DEP_4) | instskip(NEXT) | instid1(VALU_DEP_3)
	v_dual_fmac_f32 v56, v52, v55 :: v_dual_fmac_f32 v27, v86, v89
	v_dual_fmac_f32 v26, v42, v25 :: v_dual_add_f32 v3, v3, v24
	v_mul_f32_e32 v28, v80, v76
	v_fmac_f32_e32 v60, v64, v59
	v_fmac_f32_e32 v32, v44, v31
	s_waitcnt lgkmcnt(12)
	v_dual_mul_f32 v162, v70, v74 :: v_dual_mul_f32 v5, v96, v92
	v_add_f32_e32 v3, v3, v26
	v_mul_f32_e32 v74, v81, v78
	v_fmac_f32_e32 v62, v66, v61
	v_fmac_f32_e32 v34, v46, v33
	s_delay_alu instid0(VALU_DEP_4)
	v_dual_fmac_f32 v4, v70, v73 :: v_dual_add_f32 v3, v3, v32
	v_mul_f32_e32 v76, v84, v88
	v_fmac_f32_e32 v36, v48, v35
	v_mul_f32_e32 v30, v82, v78
	v_mul_f32_e32 v78, v83, v88
	v_add_f32_e32 v3, v3, v34
	v_mul_f32_e32 v88, v86, v90
	v_fma_f32 v39, v39, v23, -v151
	v_fmac_f32_e32 v38, v50, v37
	v_fma_f32 v23, v41, v25, -v152
	v_dual_add_f32 v3, v3, v36 :: v_dual_fmac_f32 v58, v54, v57
	s_delay_alu instid0(VALU_DEP_4) | instskip(SKIP_2) | instid1(VALU_DEP_4)
	v_add_f32_e32 v2, v2, v39
	v_mul_f32_e32 v72, v67, v72
	v_fma_f32 v25, v43, v31, -v153
	v_add_f32_e32 v3, v3, v38
	v_fma_f32 v24, v45, v33, -v154
	v_fma_f32 v26, v47, v35, -v155
	v_fma_f32 v31, v49, v37, -v156
	s_delay_alu instid0(VALU_DEP_4) | instskip(SKIP_4) | instid1(VALU_DEP_4)
	v_dual_fmac_f32 v74, v82, v77 :: v_dual_add_f32 v3, v3, v56
	v_add_f32_e32 v2, v2, v23
	v_fma_f32 v32, v51, v55, -v157
	v_mul_f32_e32 v23, v95, v92
	v_fma_f32 v33, v53, v57, -v158
	v_dual_add_f32 v3, v3, v58 :: v_dual_add_f32 v2, v2, v25
	v_dual_mul_f32 v25, v98, v94 :: v_dual_fmac_f32 v72, v68, v71
	v_fma_f32 v34, v63, v59, -v159
	s_delay_alu instid0(VALU_DEP_3) | instskip(NEXT) | instid1(VALU_DEP_4)
	v_add_f32_e32 v3, v3, v60
	v_add_f32_e32 v2, v2, v24
	v_fma_f32 v35, v65, v61, -v160
	v_fma_f32 v36, v67, v71, -v161
	;; [unrolled: 1-line block ×3, first 2 shown]
	v_add_f32_e32 v3, v3, v62
	v_dual_mul_f32 v24, v97, v94 :: v_dual_fmac_f32 v23, v96, v91
	v_fma_f32 v28, v79, v75, -v28
	v_fma_f32 v30, v81, v77, -v30
	s_delay_alu instid0(VALU_DEP_3) | instskip(SKIP_2) | instid1(VALU_DEP_3)
	v_dual_add_f32 v3, v3, v72 :: v_dual_fmac_f32 v24, v98, v93
	v_fma_f32 v5, v95, v91, -v5
	v_fma_f32 v25, v97, v93, -v25
	v_dual_add_f32 v3, v3, v4 :: v_dual_add_f32 v2, v2, v26
	s_waitcnt lgkmcnt(10)
	s_delay_alu instid0(VALU_DEP_1) | instskip(SKIP_2) | instid1(VALU_DEP_2)
	v_dual_add_f32 v3, v3, v29 :: v_dual_mul_f32 v26, v100, v104
	s_waitcnt lgkmcnt(6)
	v_mul_f32_e32 v29, v115, v120
	v_dual_add_f32 v3, v3, v74 :: v_dual_add_f32 v2, v2, v31
	v_mul_f32_e32 v31, v99, v104
	v_fma_f32 v26, v99, v103, -v26
	s_delay_alu instid0(VALU_DEP_3) | instskip(NEXT) | instid1(VALU_DEP_1)
	v_dual_fmac_f32 v29, v116, v119 :: v_dual_add_f32 v2, v2, v32
	v_dual_fmac_f32 v31, v100, v103 :: v_dual_add_f32 v2, v2, v33
	v_dual_mul_f32 v33, v101, v106 :: v_dual_fmac_f32 v78, v84, v87
	s_delay_alu instid0(VALU_DEP_1) | instskip(NEXT) | instid1(VALU_DEP_2)
	v_fmac_f32_e32 v33, v102, v105
	v_add_f32_e32 v3, v3, v78
	s_delay_alu instid0(VALU_DEP_1) | instskip(NEXT) | instid1(VALU_DEP_1)
	v_dual_mul_f32 v32, v102, v106 :: v_dual_add_f32 v3, v3, v27
	v_dual_add_f32 v3, v3, v23 :: v_dual_add_f32 v2, v2, v34
	v_mul_f32_e32 v34, v112, v108
	s_waitcnt lgkmcnt(4)
	v_mul_f32_e32 v23, v127, v124
	s_delay_alu instid0(VALU_DEP_3) | instskip(SKIP_1) | instid1(VALU_DEP_3)
	v_dual_add_f32 v3, v3, v24 :: v_dual_add_f32 v2, v2, v35
	v_mul_f32_e32 v35, v111, v108
	v_fmac_f32_e32 v23, v128, v123
	s_delay_alu instid0(VALU_DEP_3) | instskip(NEXT) | instid1(VALU_DEP_3)
	v_dual_add_f32 v3, v3, v31 :: v_dual_add_f32 v2, v2, v36
	v_dual_mul_f32 v36, v114, v110 :: v_dual_fmac_f32 v35, v112, v107
	s_delay_alu instid0(VALU_DEP_2) | instskip(NEXT) | instid1(VALU_DEP_3)
	v_add_f32_e32 v3, v3, v33
	v_dual_add_f32 v2, v2, v37 :: v_dual_mul_f32 v37, v113, v110
	v_mul_f32_e32 v4, v116, v120
	s_delay_alu instid0(VALU_DEP_4) | instskip(NEXT) | instid1(VALU_DEP_3)
	v_fma_f32 v27, v113, v109, -v36
	v_dual_add_f32 v3, v3, v35 :: v_dual_add_f32 v2, v2, v28
	s_delay_alu instid0(VALU_DEP_4) | instskip(SKIP_2) | instid1(VALU_DEP_3)
	v_fmac_f32_e32 v37, v114, v109
	v_fma_f32 v28, v83, v87, -v76
	v_fma_f32 v4, v115, v119, -v4
	v_dual_add_f32 v2, v2, v30 :: v_dual_add_f32 v3, v3, v37
	v_fma_f32 v30, v85, v89, -v88
	s_delay_alu instid0(VALU_DEP_2) | instskip(SKIP_1) | instid1(VALU_DEP_2)
	v_dual_add_f32 v3, v3, v29 :: v_dual_add_f32 v2, v2, v28
	v_mul_f32_e32 v28, v118, v122
	v_add_f32_e32 v2, v2, v30
	v_mul_f32_e32 v30, v117, v122
	s_delay_alu instid0(VALU_DEP_3) | instskip(NEXT) | instid1(VALU_DEP_2)
	v_fma_f32 v28, v117, v121, -v28
	v_fmac_f32_e32 v30, v118, v121
	s_delay_alu instid0(VALU_DEP_1) | instskip(NEXT) | instid1(VALU_DEP_1)
	v_add_f32_e32 v3, v3, v30
	v_dual_add_f32 v3, v3, v23 :: v_dual_add_f32 v2, v2, v5
	s_waitcnt lgkmcnt(0)
	v_dual_mul_f32 v23, v143, v140 :: v_dual_mul_f32 v24, v130, v126
	s_delay_alu instid0(VALU_DEP_2) | instskip(SKIP_1) | instid1(VALU_DEP_3)
	v_dual_mul_f32 v5, v128, v124 :: v_dual_add_f32 v2, v2, v25
	v_fma_f32 v25, v101, v105, -v32
	v_fmac_f32_e32 v23, v144, v139
	s_delay_alu instid0(VALU_DEP_3) | instskip(SKIP_3) | instid1(VALU_DEP_2)
	v_fma_f32 v5, v127, v123, -v5
	v_fma_f32 v24, v129, v125, -v24
	v_add_f32_e32 v2, v2, v26
	v_fma_f32 v26, v111, v107, -v34
	v_dual_add_f32 v2, v2, v25 :: v_dual_mul_f32 v25, v129, v126
	s_delay_alu instid0(VALU_DEP_1) | instskip(NEXT) | instid1(VALU_DEP_2)
	v_add_f32_e32 v2, v2, v26
	v_dual_mul_f32 v26, v132, v136 :: v_dual_fmac_f32 v25, v130, v125
	s_delay_alu instid0(VALU_DEP_2) | instskip(NEXT) | instid1(VALU_DEP_2)
	v_dual_add_f32 v2, v2, v27 :: v_dual_mul_f32 v27, v131, v136
	v_fma_f32 v26, v131, v135, -v26
	s_delay_alu instid0(VALU_DEP_2) | instskip(NEXT) | instid1(VALU_DEP_3)
	v_dual_add_f32 v3, v3, v25 :: v_dual_add_f32 v2, v2, v4
	v_dual_mul_f32 v4, v134, v138 :: v_dual_fmac_f32 v27, v132, v135
	s_delay_alu instid0(VALU_DEP_2) | instskip(SKIP_1) | instid1(VALU_DEP_3)
	v_add_f32_e32 v2, v2, v28
	v_mul_f32_e32 v28, v133, v138
	v_fma_f32 v4, v133, v137, -v4
	s_delay_alu instid0(VALU_DEP_3) | instskip(NEXT) | instid1(VALU_DEP_3)
	v_dual_add_f32 v3, v3, v27 :: v_dual_add_f32 v2, v2, v5
	v_dual_mul_f32 v5, v144, v140 :: v_dual_fmac_f32 v28, v134, v137
	s_delay_alu instid0(VALU_DEP_2) | instskip(SKIP_1) | instid1(VALU_DEP_3)
	v_add_f32_e32 v2, v2, v24
	v_mul_f32_e32 v24, v146, v142
	v_fma_f32 v5, v143, v139, -v5
	s_delay_alu instid0(VALU_DEP_3) | instskip(NEXT) | instid1(VALU_DEP_3)
	v_dual_add_f32 v3, v3, v28 :: v_dual_add_f32 v2, v2, v26
	v_fma_f32 v24, v145, v141, -v24
	s_delay_alu instid0(VALU_DEP_2) | instskip(SKIP_1) | instid1(VALU_DEP_2)
	v_dual_add_f32 v3, v3, v23 :: v_dual_add_f32 v2, v2, v4
	v_mul_f32_e32 v4, v145, v142
	v_add_f32_e32 v2, v2, v5
	s_delay_alu instid0(VALU_DEP_2) | instskip(NEXT) | instid1(VALU_DEP_2)
	v_fmac_f32_e32 v4, v146, v141
	v_add_f32_e32 v2, v2, v24
	s_delay_alu instid0(VALU_DEP_1) | instskip(SKIP_1) | instid1(VALU_DEP_2)
	v_dual_add_f32 v3, v3, v4 :: v_dual_mul_f32 v4, s7, v2
	v_mul_f32_e32 v2, s16, v2
	v_fmac_f32_e32 v4, s16, v3
	s_delay_alu instid0(VALU_DEP_2) | instskip(SKIP_1) | instid1(VALU_DEP_1)
	v_fma_f32 v3, s7, v3, -v2
	s_waitcnt vmcnt(0)
	v_dual_add_f32 v3, v148, v3 :: v_dual_add_f32 v2, v147, v4
	global_store_b64 v[0:1], v[2:3], off
	s_branch .LBB1936_4
.LBB1936_17:
	s_endpgm
	.section	.rodata,"a",@progbits
	.p2align	6, 0x0
	.amdhsa_kernel _ZL26rocblas_syr2k_her2k_kernelIiLb1ELb1ELb0ELi32E19rocblas_complex_numIfEPKPKS1_PKPS1_EvbiT_T4_T5_S9_lSB_S9_lT6_S9_li
		.amdhsa_group_segment_fixed_size 16384
		.amdhsa_private_segment_fixed_size 0
		.amdhsa_kernarg_size 100
		.amdhsa_user_sgpr_count 13
		.amdhsa_user_sgpr_dispatch_ptr 0
		.amdhsa_user_sgpr_queue_ptr 0
		.amdhsa_user_sgpr_kernarg_segment_ptr 1
		.amdhsa_user_sgpr_dispatch_id 0
		.amdhsa_user_sgpr_private_segment_size 0
		.amdhsa_wavefront_size32 1
		.amdhsa_uses_dynamic_stack 0
		.amdhsa_enable_private_segment 0
		.amdhsa_system_sgpr_workgroup_id_x 1
		.amdhsa_system_sgpr_workgroup_id_y 1
		.amdhsa_system_sgpr_workgroup_id_z 1
		.amdhsa_system_sgpr_workgroup_info 0
		.amdhsa_system_vgpr_workitem_id 1
		.amdhsa_next_free_vgpr 163
		.amdhsa_next_free_sgpr 25
		.amdhsa_reserve_vcc 1
		.amdhsa_float_round_mode_32 0
		.amdhsa_float_round_mode_16_64 0
		.amdhsa_float_denorm_mode_32 3
		.amdhsa_float_denorm_mode_16_64 3
		.amdhsa_dx10_clamp 1
		.amdhsa_ieee_mode 1
		.amdhsa_fp16_overflow 0
		.amdhsa_workgroup_processor_mode 1
		.amdhsa_memory_ordered 1
		.amdhsa_forward_progress 0
		.amdhsa_shared_vgpr_count 0
		.amdhsa_exception_fp_ieee_invalid_op 0
		.amdhsa_exception_fp_denorm_src 0
		.amdhsa_exception_fp_ieee_div_zero 0
		.amdhsa_exception_fp_ieee_overflow 0
		.amdhsa_exception_fp_ieee_underflow 0
		.amdhsa_exception_fp_ieee_inexact 0
		.amdhsa_exception_int_div_zero 0
	.end_amdhsa_kernel
	.section	.text._ZL26rocblas_syr2k_her2k_kernelIiLb1ELb1ELb0ELi32E19rocblas_complex_numIfEPKPKS1_PKPS1_EvbiT_T4_T5_S9_lSB_S9_lT6_S9_li,"axG",@progbits,_ZL26rocblas_syr2k_her2k_kernelIiLb1ELb1ELb0ELi32E19rocblas_complex_numIfEPKPKS1_PKPS1_EvbiT_T4_T5_S9_lSB_S9_lT6_S9_li,comdat
.Lfunc_end1936:
	.size	_ZL26rocblas_syr2k_her2k_kernelIiLb1ELb1ELb0ELi32E19rocblas_complex_numIfEPKPKS1_PKPS1_EvbiT_T4_T5_S9_lSB_S9_lT6_S9_li, .Lfunc_end1936-_ZL26rocblas_syr2k_her2k_kernelIiLb1ELb1ELb0ELi32E19rocblas_complex_numIfEPKPKS1_PKPS1_EvbiT_T4_T5_S9_lSB_S9_lT6_S9_li
                                        ; -- End function
	.section	.AMDGPU.csdata,"",@progbits
; Kernel info:
; codeLenInByte = 3788
; NumSgprs: 27
; NumVgprs: 163
; ScratchSize: 0
; MemoryBound: 0
; FloatMode: 240
; IeeeMode: 1
; LDSByteSize: 16384 bytes/workgroup (compile time only)
; SGPRBlocks: 3
; VGPRBlocks: 20
; NumSGPRsForWavesPerEU: 27
; NumVGPRsForWavesPerEU: 163
; Occupancy: 9
; WaveLimiterHint : 1
; COMPUTE_PGM_RSRC2:SCRATCH_EN: 0
; COMPUTE_PGM_RSRC2:USER_SGPR: 13
; COMPUTE_PGM_RSRC2:TRAP_HANDLER: 0
; COMPUTE_PGM_RSRC2:TGID_X_EN: 1
; COMPUTE_PGM_RSRC2:TGID_Y_EN: 1
; COMPUTE_PGM_RSRC2:TGID_Z_EN: 1
; COMPUTE_PGM_RSRC2:TIDIG_COMP_CNT: 1
	.section	.text._ZL26rocblas_syr2k_her2k_kernelIiLb1ELb1ELb1ELi32E19rocblas_complex_numIfEPKPKS1_PKPS1_EvbiT_T4_T5_S9_lSB_S9_lT6_S9_li,"axG",@progbits,_ZL26rocblas_syr2k_her2k_kernelIiLb1ELb1ELb1ELi32E19rocblas_complex_numIfEPKPKS1_PKPS1_EvbiT_T4_T5_S9_lSB_S9_lT6_S9_li,comdat
	.globl	_ZL26rocblas_syr2k_her2k_kernelIiLb1ELb1ELb1ELi32E19rocblas_complex_numIfEPKPKS1_PKPS1_EvbiT_T4_T5_S9_lSB_S9_lT6_S9_li ; -- Begin function _ZL26rocblas_syr2k_her2k_kernelIiLb1ELb1ELb1ELi32E19rocblas_complex_numIfEPKPKS1_PKPS1_EvbiT_T4_T5_S9_lSB_S9_lT6_S9_li
	.p2align	8
	.type	_ZL26rocblas_syr2k_her2k_kernelIiLb1ELb1ELb1ELi32E19rocblas_complex_numIfEPKPKS1_PKPS1_EvbiT_T4_T5_S9_lSB_S9_lT6_S9_li,@function
_ZL26rocblas_syr2k_her2k_kernelIiLb1ELb1ELb1ELi32E19rocblas_complex_numIfEPKPKS1_PKPS1_EvbiT_T4_T5_S9_lSB_S9_lT6_S9_li: ; @_ZL26rocblas_syr2k_her2k_kernelIiLb1ELb1ELb1ELi32E19rocblas_complex_numIfEPKPKS1_PKPS1_EvbiT_T4_T5_S9_lSB_S9_lT6_S9_li
; %bb.0:
	s_clause 0x1
	s_load_b128 s[4:7], s[0:1], 0x0
	s_load_b32 s16, s[0:1], 0x10
	s_waitcnt lgkmcnt(0)
	v_cmp_eq_f32_e64 s3, s7, 0
	v_cmp_eq_f32_e64 s8, s16, 0
	s_delay_alu instid0(VALU_DEP_1) | instskip(NEXT) | instid1(SALU_CYCLE_1)
	s_and_b32 s3, s3, s8
	s_and_b32 vcc_lo, exec_lo, s3
	s_cbranch_vccnz .LBB1937_17
; %bb.1:
	s_and_b32 s3, 1, s4
	s_lshl_b32 s4, s14, 5
	s_lshl_b32 s17, s13, 5
	s_cmp_eq_u32 s3, 1
	s_cselect_b32 vcc_lo, -1, 0
	s_delay_alu instid0(SALU_CYCLE_1) | instskip(SKIP_2) | instid1(SALU_CYCLE_1)
	s_and_b32 s3, vcc_lo, exec_lo
	s_cselect_b32 s3, s17, s4
	s_cselect_b32 s8, s4, s17
	s_cmp_gt_i32 s3, s8
	s_cbranch_scc1 .LBB1937_17
; %bb.2:
	s_cmp_lt_i32 s6, 1
	s_cbranch_scc1 .LBB1937_17
; %bb.3:
	s_mov_b32 s2, s15
	s_clause 0x5
	s_load_b64 s[18:19], s[0:1], 0x18
	s_load_b128 s[12:15], s[0:1], 0x28
	s_load_b32 s22, s[0:1], 0x20
	s_load_b32 s23, s[0:1], 0x38
	s_load_b128 s[8:11], s[0:1], 0x40
	s_load_b32 s24, s[0:1], 0x50
	s_mov_b32 s3, 0
	s_load_b64 s[20:21], s[0:1], 0x58
	s_lshl_b64 s[0:1], s[2:3], 3
	v_and_b32_e32 v10, 0x3ff, v0
	v_bfe_u32 v9, v0, 10, 10
	s_delay_alu instid0(VALU_DEP_2) | instskip(NEXT) | instid1(VALU_DEP_2)
	v_add_nc_u32_e32 v0, s17, v10
	v_add_nc_u32_e32 v8, s4, v9
	v_lshlrev_b32_e32 v15, 3, v9
	v_lshlrev_b32_e32 v11, 8, v10
	s_delay_alu instid0(VALU_DEP_4) | instskip(NEXT) | instid1(VALU_DEP_4)
	v_ashrrev_i32_e32 v1, 31, v0
	v_cndmask_b32_e32 v20, v8, v0, vcc_lo
	s_waitcnt lgkmcnt(0)
	s_add_u32 s18, s18, s0
	s_addc_u32 s19, s19, s1
	s_add_u32 s14, s14, s0
	s_load_b64 s[18:19], s[18:19], 0x0
	s_addc_u32 s15, s15, s1
	s_add_u32 s0, s10, s0
	s_load_b64 s[14:15], s[14:15], 0x0
	v_mad_i64_i32 v[2:3], null, s22, v0, 0
	s_addc_u32 s1, s11, s1
	v_mad_i64_i32 v[4:5], null, s23, v8, 0
	s_load_b64 s[10:11], s[0:1], 0x0
	v_dual_cndmask_b32 v19, v0, v8 :: v_dual_add_nc_u32 v12, v11, v15
	s_delay_alu instid0(VALU_DEP_3)
	v_lshlrev_b64 v[2:3], 3, v[2:3]
	v_cmp_gt_i32_e32 vcc_lo, s5, v0
	v_cmp_gt_i32_e64 s0, s5, v8
	s_lshl_b64 s[4:5], s[12:13], 3
	v_mad_i64_i32 v[6:7], null, s24, v8, 0
	v_lshlrev_b64 v[4:5], 3, v[4:5]
	v_or_b32_e32 v15, 0x2000, v15
	s_waitcnt lgkmcnt(0)
	s_add_u32 s12, s18, s4
	s_addc_u32 s13, s19, s5
	s_lshl_b64 s[4:5], s[8:9], 3
	v_add_co_u32 v13, s1, s12, v2
	s_add_u32 s8, s14, s4
	v_add_co_ci_u32_e64 v14, s1, s13, v3, s1
	s_addc_u32 s9, s15, s5
	v_add_co_u32 v16, s1, s8, v4
	s_delay_alu instid0(VALU_DEP_1)
	v_add_co_ci_u32_e64 v17, s1, s9, v5, s1
	v_lshlrev_b64 v[2:3], 3, v[6:7]
	v_mad_i64_i32 v[4:5], null, s23, v0, 0
	s_lshl_b64 s[4:5], s[20:21], 3
	v_mad_i64_i32 v[6:7], null, s22, v8, 0
	s_add_u32 s2, s10, s4
	v_lshlrev_b64 v[0:1], 3, v[0:1]
	s_addc_u32 s4, s11, s5
	v_add_co_u32 v8, s2, s2, v2
	v_cmp_le_i32_e64 s1, v20, v19
	v_add_co_ci_u32_e64 v19, s2, s4, v3, s2
	v_lshlrev_b64 v[2:3], 3, v[4:5]
	s_delay_alu instid0(VALU_DEP_4) | instskip(SKIP_1) | instid1(VALU_DEP_4)
	v_add_co_u32 v0, s2, v8, v0
	v_lshlrev_b64 v[4:5], 3, v[6:7]
	v_add_co_ci_u32_e64 v1, s2, v19, v1, s2
	s_delay_alu instid0(VALU_DEP_4) | instskip(NEXT) | instid1(VALU_DEP_1)
	v_add_co_u32 v19, s2, s8, v2
	v_add_co_ci_u32_e64 v20, s2, s9, v3, s2
	s_delay_alu instid0(VALU_DEP_4)
	v_add_co_u32 v21, s2, s12, v4
	v_add_nc_u32_e32 v18, v15, v11
	v_add_co_ci_u32_e64 v22, s2, s13, v5, s2
	v_add_nc_u32_e32 v23, 0x800, v15
	v_add_nc_u32_e32 v24, 0x1000, v15
	;; [unrolled: 1-line block ×3, first 2 shown]
	s_and_b32 s2, s0, vcc_lo
	s_delay_alu instid0(SALU_CYCLE_1)
	s_and_b32 s2, s2, s1
	s_branch .LBB1937_5
.LBB1937_4:                             ;   in Loop: Header=BB1937_5 Depth=1
	s_or_b32 exec_lo, exec_lo, s1
	s_add_i32 s3, s3, 32
	s_waitcnt_vscnt null, 0x0
	s_cmp_lt_i32 s3, s6
	s_barrier
	buffer_gl0_inv
	s_cbranch_scc0 .LBB1937_17
.LBB1937_5:                             ; =>This Inner Loop Header: Depth=1
	v_dual_mov_b32 v5, 0 :: v_dual_add_nc_u32 v2, s3, v9
	v_dual_mov_b32 v7, 0 :: v_dual_mov_b32 v8, 0
	s_delay_alu instid0(VALU_DEP_2) | instskip(NEXT) | instid1(VALU_DEP_1)
	v_cmp_gt_i32_e64 s1, s6, v2
	s_and_b32 s4, vcc_lo, s1
	s_delay_alu instid0(SALU_CYCLE_1)
	s_and_saveexec_b32 s5, s4
	s_cbranch_execz .LBB1937_7
; %bb.6:                                ;   in Loop: Header=BB1937_5 Depth=1
	v_ashrrev_i32_e32 v3, 31, v2
	s_delay_alu instid0(VALU_DEP_1) | instskip(NEXT) | instid1(VALU_DEP_1)
	v_lshlrev_b64 v[3:4], 3, v[2:3]
	v_add_co_u32 v3, s1, v13, v3
	s_delay_alu instid0(VALU_DEP_1)
	v_add_co_ci_u32_e64 v4, s1, v14, v4, s1
	global_load_b64 v[7:8], v[3:4], off
	s_waitcnt vmcnt(0)
	v_xor_b32_e32 v8, 0x80000000, v8
.LBB1937_7:                             ;   in Loop: Header=BB1937_5 Depth=1
	s_or_b32 exec_lo, exec_lo, s5
	v_add_nc_u32_e32 v4, s3, v10
	v_mov_b32_e32 v6, 0
	ds_store_b64 v12, v[7:8]
	v_cmp_gt_i32_e64 s1, s6, v4
	s_delay_alu instid0(VALU_DEP_1) | instskip(NEXT) | instid1(SALU_CYCLE_1)
	s_and_b32 s5, s0, s1
	s_and_saveexec_b32 s8, s5
	s_cbranch_execz .LBB1937_9
; %bb.8:                                ;   in Loop: Header=BB1937_5 Depth=1
	v_ashrrev_i32_e32 v5, 31, v4
	s_delay_alu instid0(VALU_DEP_1) | instskip(NEXT) | instid1(VALU_DEP_1)
	v_lshlrev_b64 v[5:6], 3, v[4:5]
	v_add_co_u32 v5, s1, v16, v5
	s_delay_alu instid0(VALU_DEP_1)
	v_add_co_ci_u32_e64 v6, s1, v17, v6, s1
	global_load_b64 v[5:6], v[5:6], off
.LBB1937_9:                             ;   in Loop: Header=BB1937_5 Depth=1
	s_or_b32 exec_lo, exec_lo, s8
	s_waitcnt vmcnt(0)
	ds_store_b64 v18, v[5:6]
	s_waitcnt lgkmcnt(0)
	s_barrier
	buffer_gl0_inv
	s_and_saveexec_b32 s1, s2
	s_cbranch_execz .LBB1937_11
; %bb.10:                               ;   in Loop: Header=BB1937_5 Depth=1
	global_load_b64 v[146:147], v[0:1], off
	ds_load_2addr_b64 v[5:8], v15 offset1:32
	ds_load_b128 v[26:29], v11
	ds_load_b128 v[30:33], v11 offset:16
	ds_load_b128 v[34:37], v11 offset:32
	;; [unrolled: 1-line block ×3, first 2 shown]
	ds_load_2addr_b64 v[42:45], v15 offset0:64 offset1:96
	ds_load_2addr_b64 v[46:49], v15 offset0:128 offset1:160
	;; [unrolled: 1-line block ×3, first 2 shown]
	ds_load_2addr_b64 v[54:57], v23 offset1:32
	ds_load_b128 v[58:61], v11 offset:64
	ds_load_b128 v[62:65], v11 offset:80
	ds_load_2addr_b64 v[66:69], v23 offset0:64 offset1:96
	ds_load_2addr_b64 v[70:73], v23 offset0:128 offset1:160
	ds_load_b128 v[74:77], v11 offset:96
	ds_load_b128 v[78:81], v11 offset:112
	ds_load_2addr_b64 v[82:85], v23 offset0:192 offset1:224
	ds_load_2addr_b64 v[86:89], v24 offset1:32
	ds_load_b128 v[90:93], v11 offset:128
	ds_load_b128 v[94:97], v11 offset:144
	ds_load_2addr_b64 v[98:101], v24 offset0:64 offset1:96
	ds_load_2addr_b64 v[102:105], v24 offset0:128 offset1:160
	ds_load_b128 v[106:109], v11 offset:160
	ds_load_b128 v[110:113], v11 offset:176
	ds_load_2addr_b64 v[114:117], v24 offset0:192 offset1:224
	ds_load_2addr_b64 v[118:121], v25 offset1:32
	ds_load_b128 v[122:125], v11 offset:192
	ds_load_b128 v[126:129], v11 offset:208
	ds_load_2addr_b64 v[130:133], v25 offset0:64 offset1:96
	ds_load_2addr_b64 v[134:137], v25 offset0:128 offset1:160
	s_waitcnt lgkmcnt(27)
	v_dual_mul_f32 v3, v6, v27 :: v_dual_mul_f32 v148, v8, v29
	v_mul_f32_e32 v27, v5, v27
	v_mul_f32_e32 v29, v7, v29
	s_waitcnt lgkmcnt(22)
	v_mul_f32_e32 v149, v47, v35
	v_fma_f32 v3, v5, v26, -v3
	v_mul_f32_e32 v35, v46, v35
	v_fmac_f32_e32 v27, v6, v26
	v_fma_f32 v26, v7, v28, -v148
	v_dual_fmac_f32 v29, v8, v28 :: v_dual_mul_f32 v148, v45, v33
	v_mul_f32_e32 v28, v43, v31
	v_dual_mul_f32 v31, v42, v31 :: v_dual_mul_f32 v150, v49, v37
	v_mul_f32_e32 v33, v44, v33
	v_fmac_f32_e32 v35, v47, v34
	s_delay_alu instid0(VALU_DEP_4) | instskip(NEXT) | instid1(VALU_DEP_4)
	v_fma_f32 v28, v42, v30, -v28
	v_fmac_f32_e32 v31, v43, v30
	v_fma_f32 v30, v44, v32, -v148
	v_dual_fmac_f32 v33, v45, v32 :: v_dual_mul_f32 v32, v48, v37
	s_waitcnt lgkmcnt(21)
	v_mul_f32_e32 v42, v53, v41
	v_fma_f32 v46, v46, v34, -v149
	v_fma_f32 v34, v48, v36, -v150
	v_dual_mul_f32 v37, v51, v39 :: v_dual_fmac_f32 v32, v49, v36
	s_waitcnt lgkmcnt(19)
	v_dual_mul_f32 v36, v56, v61 :: v_dual_add_f32 v3, 0, v3
	v_mul_f32_e32 v39, v50, v39
	v_add_f32_e32 v27, 0, v27
	s_delay_alu instid0(VALU_DEP_3) | instskip(NEXT) | instid1(VALU_DEP_4)
	v_dual_mul_f32 v43, v55, v59 :: v_dual_fmac_f32 v36, v57, v60
	v_dual_add_f32 v3, v3, v26 :: v_dual_mul_f32 v44, v54, v59
	s_waitcnt lgkmcnt(17)
	v_dual_mul_f32 v48, v66, v63 :: v_dual_mul_f32 v49, v69, v65
	v_mul_f32_e32 v59, v68, v65
	s_waitcnt lgkmcnt(15)
	v_dual_add_f32 v3, v3, v28 :: v_dual_mul_f32 v26, v73, v77
	v_fma_f32 v37, v50, v38, -v37
	v_fmac_f32_e32 v39, v51, v38
	v_fma_f32 v38, v52, v40, -v42
	s_waitcnt lgkmcnt(11)
	v_dual_add_f32 v3, v3, v30 :: v_dual_mul_f32 v42, v88, v93
	v_dual_mul_f32 v28, v82, v79 :: v_dual_mul_f32 v41, v52, v41
	v_mul_f32_e32 v30, v87, v91
	s_waitcnt lgkmcnt(9)
	s_delay_alu instid0(VALU_DEP_3) | instskip(SKIP_2) | instid1(VALU_DEP_3)
	v_dual_add_f32 v3, v3, v46 :: v_dual_mul_f32 v46, v98, v95
	v_dual_mul_f32 v65, v84, v81 :: v_dual_fmac_f32 v42, v89, v92
	v_mul_f32_e32 v45, v57, v61
	v_dual_add_f32 v3, v3, v34 :: v_dual_mul_f32 v34, v100, v97
	v_add_f32_e32 v27, v27, v29
	s_delay_alu instid0(VALU_DEP_4) | instskip(SKIP_1) | instid1(VALU_DEP_3)
	v_dual_fmac_f32 v46, v99, v94 :: v_dual_fmac_f32 v65, v85, v80
	v_fmac_f32_e32 v41, v53, v40
	v_dual_fmac_f32 v34, v101, v96 :: v_dual_add_f32 v27, v27, v31
	v_add_f32_e32 v3, v3, v37
	v_fmac_f32_e32 v44, v55, v58
	v_dual_mul_f32 v47, v67, v63 :: v_dual_mul_f32 v50, v101, v97
	s_delay_alu instid0(VALU_DEP_4) | instskip(NEXT) | instid1(VALU_DEP_4)
	v_add_f32_e32 v27, v27, v33
	v_add_f32_e32 v3, v3, v38
	ds_load_b128 v[138:141], v11 offset:224
	ds_load_b128 v[142:145], v11 offset:240
	ds_load_2addr_b64 v[5:8], v25 offset0:192 offset1:224
	v_fmac_f32_e32 v48, v67, v62
	v_add_f32_e32 v27, v27, v35
	s_waitcnt lgkmcnt(10)
	v_dual_mul_f32 v29, v71, v75 :: v_dual_mul_f32 v38, v105, v109
	v_mul_f32_e32 v61, v70, v75
	v_fmac_f32_e32 v59, v69, v64
	v_add_f32_e32 v27, v27, v32
	v_dual_mul_f32 v32, v99, v95 :: v_dual_mul_f32 v31, v72, v77
	v_fmac_f32_e32 v28, v83, v78
	v_fma_f32 v29, v70, v74, -v29
	s_delay_alu instid0(VALU_DEP_4)
	v_add_f32_e32 v27, v27, v39
	v_mul_f32_e32 v63, v83, v79
	v_fmac_f32_e32 v31, v73, v76
	v_fma_f32 v26, v72, v76, -v26
	v_mul_f32_e32 v40, v89, v93
	v_add_f32_e32 v27, v27, v41
	v_fma_f32 v41, v54, v58, -v43
	v_fma_f32 v43, v56, v60, -v45
	;; [unrolled: 1-line block ×4, first 2 shown]
	v_add_f32_e32 v27, v27, v44
	v_add_f32_e32 v3, v3, v41
	v_fma_f32 v41, v66, v62, -v47
	v_fma_f32 v44, v68, v64, -v49
	s_delay_alu instid0(VALU_DEP_4) | instskip(NEXT) | instid1(VALU_DEP_4)
	v_add_f32_e32 v27, v27, v36
	v_dual_add_f32 v3, v3, v43 :: v_dual_mul_f32 v36, v104, v109
	v_fmac_f32_e32 v61, v71, v74
	v_mul_f32_e32 v35, v86, v91
	s_delay_alu instid0(VALU_DEP_4) | instskip(NEXT) | instid1(VALU_DEP_4)
	v_add_f32_e32 v27, v27, v48
	v_dual_add_f32 v3, v3, v41 :: v_dual_fmac_f32 v36, v105, v108
	s_waitcnt lgkmcnt(8)
	v_mul_f32_e32 v41, v114, v111
	v_fmac_f32_e32 v35, v87, v90
	v_add_f32_e32 v27, v27, v59
	v_dual_add_f32 v3, v3, v44 :: v_dual_mul_f32 v44, v117, v113
	s_delay_alu instid0(VALU_DEP_4) | instskip(NEXT) | instid1(VALU_DEP_3)
	v_fmac_f32_e32 v41, v115, v110
	v_add_f32_e32 v27, v27, v61
	s_delay_alu instid0(VALU_DEP_3) | instskip(SKIP_1) | instid1(VALU_DEP_3)
	v_add_f32_e32 v3, v3, v29
	v_mul_f32_e32 v29, v116, v113
	v_add_f32_e32 v27, v27, v31
	v_mul_f32_e32 v33, v85, v81
	v_fma_f32 v31, v82, v78, -v63
	v_add_f32_e32 v3, v3, v26
	v_fmac_f32_e32 v29, v117, v112
	v_add_f32_e32 v26, v27, v28
	v_fma_f32 v28, v84, v80, -v33
	v_fma_f32 v33, v88, v92, -v40
	v_add_f32_e32 v3, v3, v31
	s_waitcnt lgkmcnt(6)
	v_mul_f32_e32 v31, v118, v123
	v_dual_add_f32 v26, v26, v65 :: v_dual_mul_f32 v27, v119, v123
	s_delay_alu instid0(VALU_DEP_3) | instskip(NEXT) | instid1(VALU_DEP_2)
	v_add_f32_e32 v3, v3, v28
	v_dual_fmac_f32 v31, v119, v122 :: v_dual_add_f32 v26, v26, v35
	v_fma_f32 v35, v100, v96, -v50
	s_delay_alu instid0(VALU_DEP_3) | instskip(SKIP_1) | instid1(VALU_DEP_4)
	v_dual_mul_f32 v28, v121, v125 :: v_dual_add_f32 v3, v3, v30
	v_mul_f32_e32 v30, v120, v125
	v_add_f32_e32 v26, v26, v42
	v_fma_f32 v27, v118, v122, -v27
	s_delay_alu instid0(VALU_DEP_4) | instskip(NEXT) | instid1(VALU_DEP_4)
	v_fma_f32 v28, v120, v124, -v28
	v_dual_add_f32 v3, v3, v33 :: v_dual_fmac_f32 v30, v121, v124
	s_waitcnt lgkmcnt(4)
	v_dual_add_f32 v26, v26, v46 :: v_dual_mul_f32 v33, v131, v127
	s_delay_alu instid0(VALU_DEP_2) | instskip(SKIP_1) | instid1(VALU_DEP_2)
	v_dual_add_f32 v3, v3, v32 :: v_dual_mul_f32 v32, v130, v127
	v_mul_f32_e32 v37, v102, v107
	v_dual_add_f32 v26, v26, v34 :: v_dual_add_f32 v3, v3, v35
	s_delay_alu instid0(VALU_DEP_3) | instskip(NEXT) | instid1(VALU_DEP_3)
	v_fmac_f32_e32 v32, v131, v126
	v_fmac_f32_e32 v37, v103, v106
	v_mul_f32_e32 v35, v133, v129
	s_delay_alu instid0(VALU_DEP_2) | instskip(SKIP_2) | instid1(VALU_DEP_3)
	v_add_f32_e32 v26, v26, v37
	v_fma_f32 v37, v104, v108, -v38
	v_fma_f32 v38, v116, v112, -v44
	v_dual_add_f32 v26, v26, v36 :: v_dual_mul_f32 v39, v103, v107
	s_delay_alu instid0(VALU_DEP_1) | instskip(NEXT) | instid1(VALU_DEP_2)
	v_add_f32_e32 v26, v26, v41
	v_fma_f32 v34, v102, v106, -v39
	s_delay_alu instid0(VALU_DEP_1) | instskip(SKIP_2) | instid1(VALU_DEP_2)
	v_dual_add_f32 v26, v26, v29 :: v_dual_add_f32 v3, v3, v34
	s_waitcnt lgkmcnt(2)
	v_dual_mul_f32 v34, v132, v129 :: v_dual_mul_f32 v29, v134, v139
	v_dual_add_f32 v26, v26, v31 :: v_dual_add_f32 v3, v3, v37
	s_delay_alu instid0(VALU_DEP_2) | instskip(NEXT) | instid1(VALU_DEP_2)
	v_dual_fmac_f32 v34, v133, v128 :: v_dual_fmac_f32 v29, v135, v138
	v_dual_mul_f32 v37, v135, v139 :: v_dual_add_f32 v26, v26, v30
	v_fma_f32 v30, v130, v126, -v33
	v_mul_f32_e32 v31, v137, v141
	s_delay_alu instid0(VALU_DEP_3) | instskip(NEXT) | instid1(VALU_DEP_4)
	v_fma_f32 v33, v134, v138, -v37
	v_add_f32_e32 v26, v26, v32
	v_fma_f32 v32, v132, v128, -v35
	s_delay_alu instid0(VALU_DEP_4) | instskip(NEXT) | instid1(VALU_DEP_3)
	v_fma_f32 v31, v136, v140, -v31
	v_dual_add_f32 v26, v26, v34 :: v_dual_mul_f32 v43, v115, v111
	s_delay_alu instid0(VALU_DEP_1) | instskip(NEXT) | instid1(VALU_DEP_2)
	v_add_f32_e32 v26, v26, v29
	v_fma_f32 v36, v114, v110, -v43
	s_waitcnt lgkmcnt(0)
	v_mul_f32_e32 v29, v7, v145
	s_delay_alu instid0(VALU_DEP_2) | instskip(NEXT) | instid1(VALU_DEP_2)
	v_add_f32_e32 v3, v3, v36
	v_fmac_f32_e32 v29, v8, v144
	s_delay_alu instid0(VALU_DEP_2) | instskip(NEXT) | instid1(VALU_DEP_1)
	v_add_f32_e32 v3, v3, v38
	v_add_f32_e32 v3, v3, v27
	v_mul_f32_e32 v27, v136, v141
	s_delay_alu instid0(VALU_DEP_2) | instskip(NEXT) | instid1(VALU_DEP_2)
	v_add_f32_e32 v3, v3, v28
	v_dual_fmac_f32 v27, v137, v140 :: v_dual_mul_f32 v28, v6, v143
	s_delay_alu instid0(VALU_DEP_2) | instskip(NEXT) | instid1(VALU_DEP_2)
	v_dual_add_f32 v3, v3, v30 :: v_dual_mul_f32 v30, v5, v143
	v_fma_f32 v5, v5, v142, -v28
	s_delay_alu instid0(VALU_DEP_2) | instskip(NEXT) | instid1(VALU_DEP_4)
	v_dual_add_f32 v3, v3, v32 :: v_dual_fmac_f32 v30, v6, v142
	v_add_f32_e32 v6, v26, v27
	v_mul_f32_e32 v26, v8, v145
	s_delay_alu instid0(VALU_DEP_2) | instskip(NEXT) | instid1(VALU_DEP_2)
	v_dual_add_f32 v3, v3, v33 :: v_dual_add_f32 v6, v6, v30
	v_fma_f32 v7, v7, v144, -v26
	s_delay_alu instid0(VALU_DEP_2) | instskip(NEXT) | instid1(VALU_DEP_1)
	v_add_f32_e32 v3, v3, v31
	v_add_f32_e32 v3, v3, v5
	s_delay_alu instid0(VALU_DEP_4) | instskip(NEXT) | instid1(VALU_DEP_1)
	v_add_f32_e32 v5, v6, v29
	v_dual_add_f32 v3, v3, v7 :: v_dual_mul_f32 v6, s16, v5
	v_mul_f32_e32 v7, s7, v5
	s_delay_alu instid0(VALU_DEP_2) | instskip(NEXT) | instid1(VALU_DEP_2)
	v_fma_f32 v5, s7, v3, -v6
	v_fmac_f32_e32 v7, s16, v3
	s_waitcnt vmcnt(0)
	s_delay_alu instid0(VALU_DEP_1)
	v_dual_add_f32 v5, v146, v5 :: v_dual_add_f32 v6, v147, v7
	global_store_b64 v[0:1], v[5:6], off
.LBB1937_11:                            ;   in Loop: Header=BB1937_5 Depth=1
	s_or_b32 exec_lo, exec_lo, s1
	v_dual_mov_b32 v6, 0 :: v_dual_mov_b32 v7, 0
	v_mov_b32_e32 v8, 0
	s_waitcnt_vscnt null, 0x0
	s_barrier
	buffer_gl0_inv
	s_and_saveexec_b32 s8, s4
	s_cbranch_execz .LBB1937_13
; %bb.12:                               ;   in Loop: Header=BB1937_5 Depth=1
	v_ashrrev_i32_e32 v3, 31, v2
	s_delay_alu instid0(VALU_DEP_1) | instskip(NEXT) | instid1(VALU_DEP_1)
	v_lshlrev_b64 v[2:3], 3, v[2:3]
	v_add_co_u32 v2, s1, v19, v2
	s_delay_alu instid0(VALU_DEP_1)
	v_add_co_ci_u32_e64 v3, s1, v20, v3, s1
	global_load_b64 v[7:8], v[2:3], off
	s_waitcnt vmcnt(0)
	v_xor_b32_e32 v8, 0x80000000, v8
.LBB1937_13:                            ;   in Loop: Header=BB1937_5 Depth=1
	s_or_b32 exec_lo, exec_lo, s8
	v_mov_b32_e32 v5, 0
	ds_store_b64 v12, v[7:8]
	s_and_saveexec_b32 s4, s5
	s_cbranch_execz .LBB1937_15
; %bb.14:                               ;   in Loop: Header=BB1937_5 Depth=1
	v_ashrrev_i32_e32 v5, 31, v4
	s_delay_alu instid0(VALU_DEP_1) | instskip(NEXT) | instid1(VALU_DEP_1)
	v_lshlrev_b64 v[2:3], 3, v[4:5]
	v_add_co_u32 v2, s1, v21, v2
	s_delay_alu instid0(VALU_DEP_1)
	v_add_co_ci_u32_e64 v3, s1, v22, v3, s1
	global_load_b64 v[5:6], v[2:3], off
.LBB1937_15:                            ;   in Loop: Header=BB1937_5 Depth=1
	s_or_b32 exec_lo, exec_lo, s4
	s_waitcnt vmcnt(0)
	ds_store_b64 v18, v[5:6]
	s_waitcnt lgkmcnt(0)
	s_barrier
	buffer_gl0_inv
	s_and_saveexec_b32 s1, s2
	s_cbranch_execz .LBB1937_4
; %bb.16:                               ;   in Loop: Header=BB1937_5 Depth=1
	global_load_b64 v[6:7], v[0:1], off
	ds_load_b128 v[2:5], v11
	ds_load_b128 v[26:29], v11 offset:16
	ds_load_2addr_b64 v[30:33], v15 offset1:32
	ds_load_b128 v[34:37], v11 offset:32
	ds_load_b128 v[38:41], v11 offset:48
	ds_load_2addr_b64 v[42:45], v15 offset0:64 offset1:96
	ds_load_2addr_b64 v[46:49], v15 offset0:128 offset1:160
	;; [unrolled: 1-line block ×3, first 2 shown]
	ds_load_2addr_b64 v[54:57], v23 offset1:32
	ds_load_b128 v[58:61], v11 offset:64
	ds_load_b128 v[62:65], v11 offset:80
	ds_load_2addr_b64 v[66:69], v23 offset0:64 offset1:96
	ds_load_2addr_b64 v[70:73], v23 offset0:128 offset1:160
	ds_load_b128 v[74:77], v11 offset:96
	ds_load_b128 v[78:81], v11 offset:112
	ds_load_2addr_b64 v[82:85], v23 offset0:192 offset1:224
	ds_load_2addr_b64 v[86:89], v24 offset1:32
	ds_load_b128 v[90:93], v11 offset:128
	ds_load_b128 v[94:97], v11 offset:144
	ds_load_2addr_b64 v[98:101], v24 offset0:64 offset1:96
	ds_load_2addr_b64 v[102:105], v24 offset0:128 offset1:160
	ds_load_b128 v[106:109], v11 offset:160
	ds_load_b128 v[110:113], v11 offset:176
	ds_load_2addr_b64 v[114:117], v24 offset0:192 offset1:224
	;; [unrolled: 8-line block ×3, first 2 shown]
	s_waitcnt lgkmcnt(29)
	v_mul_f32_e32 v8, v31, v3
	v_dual_mul_f32 v3, v30, v3 :: v_dual_mul_f32 v150, v33, v5
	v_mul_f32_e32 v5, v32, v5
	s_waitcnt lgkmcnt(26)
	v_dual_mul_f32 v151, v43, v27 :: v_dual_mul_f32 v152, v45, v29
	v_fma_f32 v8, v30, v2, -v8
	s_waitcnt lgkmcnt(25)
	v_dual_mul_f32 v27, v42, v27 :: v_dual_mul_f32 v154, v49, v37
	v_mul_f32_e32 v37, v48, v37
	v_fmac_f32_e32 v3, v31, v2
	v_fma_f32 v2, v32, v4, -v150
	s_waitcnt lgkmcnt(20)
	v_dual_add_f32 v8, 0, v8 :: v_dual_mul_f32 v159, v67, v63
	v_fma_f32 v42, v42, v26, -v151
	s_waitcnt lgkmcnt(16)
	v_dual_mul_f32 v29, v44, v29 :: v_dual_mul_f32 v30, v83, v79
	s_delay_alu instid0(VALU_DEP_3)
	v_dual_add_f32 v2, v8, v2 :: v_dual_mul_f32 v153, v47, v35
	v_mul_f32_e32 v156, v53, v41
	v_mul_f32_e32 v41, v52, v41
	v_fmac_f32_e32 v5, v33, v4
	v_add_f32_e32 v3, 0, v3
	v_fmac_f32_e32 v27, v43, v26
	v_fma_f32 v26, v44, v28, -v152
	v_add_f32_e32 v2, v2, v42
	v_dual_mul_f32 v35, v46, v35 :: v_dual_mul_f32 v158, v57, v61
	v_mul_f32_e32 v61, v56, v61
	v_add_f32_e32 v3, v3, v5
	v_fmac_f32_e32 v29, v45, v28
	v_fma_f32 v28, v46, v34, -v153
	v_dual_add_f32 v2, v2, v26 :: v_dual_mul_f32 v155, v51, v39
	v_dual_mul_f32 v160, v69, v65 :: v_dual_mul_f32 v161, v71, v75
	v_add_f32_e32 v3, v3, v27
	v_fma_f32 v27, v48, v36, -v154
	s_delay_alu instid0(VALU_DEP_4)
	v_add_f32_e32 v2, v2, v28
	v_fma_f32 v30, v82, v78, -v30
	v_dual_mul_f32 v157, v55, v59 :: v_dual_mul_f32 v4, v72, v77
	v_add_f32_e32 v3, v3, v29
	v_fma_f32 v29, v50, v38, -v155
	v_add_f32_e32 v2, v2, v27
	v_dual_mul_f32 v59, v54, v59 :: v_dual_mul_f32 v32, v85, v81
	v_fmac_f32_e32 v35, v47, v34
	v_fma_f32 v34, v52, v40, -v156
	s_delay_alu instid0(VALU_DEP_4)
	v_add_f32_e32 v2, v2, v29
	v_mul_f32_e32 v33, v84, v81
	v_fma_f32 v32, v84, v80, -v32
	v_add_f32_e32 v3, v3, v35
	v_fma_f32 v35, v54, v58, -v157
	v_dual_add_f32 v2, v2, v34 :: v_dual_fmac_f32 v37, v49, v36
	v_fma_f32 v36, v56, v60, -v158
	v_dual_mul_f32 v39, v50, v39 :: v_dual_mul_f32 v162, v73, v77
	s_delay_alu instid0(VALU_DEP_3)
	v_add_f32_e32 v2, v2, v35
	s_waitcnt lgkmcnt(14)
	v_dual_mul_f32 v63, v66, v63 :: v_dual_mul_f32 v8, v88, v93
	v_mul_f32_e32 v77, v87, v91
	v_add_f32_e32 v3, v3, v37
	v_fma_f32 v37, v66, v62, -v159
	v_add_f32_e32 v2, v2, v36
	v_dual_fmac_f32 v8, v89, v92 :: v_dual_fmac_f32 v39, v51, v38
	v_fma_f32 v38, v68, v64, -v160
	s_delay_alu instid0(VALU_DEP_3) | instskip(SKIP_1) | instid1(VALU_DEP_4)
	v_dual_fmac_f32 v41, v53, v40 :: v_dual_add_f32 v2, v2, v37
	v_fma_f32 v40, v72, v76, -v162
	v_add_f32_e32 v3, v3, v39
	v_fma_f32 v39, v70, v74, -v161
	s_waitcnt lgkmcnt(10)
	v_dual_mul_f32 v81, v89, v93 :: v_dual_mul_f32 v34, v102, v107
	v_add_f32_e32 v2, v2, v38
	v_dual_mul_f32 v75, v70, v75 :: v_dual_mul_f32 v28, v101, v97
	s_delay_alu instid0(VALU_DEP_3) | instskip(NEXT) | instid1(VALU_DEP_3)
	v_dual_fmac_f32 v61, v57, v60 :: v_dual_fmac_f32 v34, v103, v106
	v_add_f32_e32 v2, v2, v39
	v_mul_f32_e32 v5, v99, v95
	s_delay_alu instid0(VALU_DEP_4) | instskip(SKIP_1) | instid1(VALU_DEP_4)
	v_fma_f32 v28, v100, v96, -v28
	v_dual_mul_f32 v65, v68, v65 :: v_dual_mul_f32 v26, v98, v95
	v_add_f32_e32 v2, v2, v40
	s_delay_alu instid0(VALU_DEP_4) | instskip(SKIP_2) | instid1(VALU_DEP_4)
	v_fma_f32 v5, v98, v94, -v5
	v_dual_mul_f32 v31, v82, v79 :: v_dual_mul_f32 v36, v104, v109
	v_fmac_f32_e32 v63, v67, v62
	v_add_f32_e32 v2, v2, v30
	v_fma_f32 v30, v86, v90, -v77
	s_waitcnt lgkmcnt(8)
	v_dual_fmac_f32 v65, v69, v64 :: v_dual_mul_f32 v40, v116, v113
	s_delay_alu instid0(VALU_DEP_3) | instskip(SKIP_3) | instid1(VALU_DEP_4)
	v_dual_fmac_f32 v75, v71, v74 :: v_dual_add_f32 v2, v2, v32
	v_mul_f32_e32 v27, v100, v97
	v_fma_f32 v32, v88, v92, -v81
	v_dual_mul_f32 v79, v86, v91 :: v_dual_fmac_f32 v4, v73, v76
	v_dual_add_f32 v2, v2, v30 :: v_dual_mul_f32 v29, v103, v107
	s_waitcnt lgkmcnt(6)
	v_dual_mul_f32 v30, v121, v125 :: v_dual_fmac_f32 v31, v83, v78
	v_fmac_f32_e32 v33, v85, v80
	s_delay_alu instid0(VALU_DEP_3)
	v_add_f32_e32 v2, v2, v32
	v_mul_f32_e32 v32, v120, v125
	v_fmac_f32_e32 v36, v105, v108
	v_fma_f32 v30, v120, v124, -v30
	v_dual_mul_f32 v35, v105, v109 :: v_dual_fmac_f32 v26, v99, v94
	v_dual_add_f32 v2, v2, v5 :: v_dual_fmac_f32 v59, v55, v58
	v_dual_add_f32 v3, v3, v41 :: v_dual_fmac_f32 v40, v117, v112
	s_waitcnt lgkmcnt(4)
	s_delay_alu instid0(VALU_DEP_2) | instskip(SKIP_1) | instid1(VALU_DEP_3)
	v_dual_mul_f32 v5, v131, v127 :: v_dual_add_f32 v2, v2, v28
	v_fmac_f32_e32 v27, v101, v96
	v_add_f32_e32 v3, v3, v59
	v_fma_f32 v28, v104, v108, -v35
	s_delay_alu instid0(VALU_DEP_4) | instskip(SKIP_1) | instid1(VALU_DEP_4)
	v_fma_f32 v5, v130, v126, -v5
	v_dual_fmac_f32 v79, v87, v90 :: v_dual_mul_f32 v38, v114, v111
	v_add_f32_e32 v3, v3, v61
	v_mul_f32_e32 v39, v117, v113
	v_fmac_f32_e32 v32, v121, v124
	s_delay_alu instid0(VALU_DEP_4) | instskip(NEXT) | instid1(VALU_DEP_4)
	v_fmac_f32_e32 v38, v115, v110
	v_add_f32_e32 v3, v3, v63
	s_delay_alu instid0(VALU_DEP_1) | instskip(NEXT) | instid1(VALU_DEP_1)
	v_add_f32_e32 v3, v3, v65
	v_add_f32_e32 v3, v3, v75
	s_delay_alu instid0(VALU_DEP_1) | instskip(SKIP_1) | instid1(VALU_DEP_2)
	v_add_f32_e32 v3, v3, v4
	v_mul_f32_e32 v4, v119, v123
	v_add_f32_e32 v3, v3, v31
	s_delay_alu instid0(VALU_DEP_2) | instskip(NEXT) | instid1(VALU_DEP_2)
	v_fma_f32 v4, v118, v122, -v4
	v_add_f32_e32 v3, v3, v33
	s_delay_alu instid0(VALU_DEP_1) | instskip(NEXT) | instid1(VALU_DEP_1)
	v_add_f32_e32 v3, v3, v79
	v_add_f32_e32 v3, v3, v8
	v_fma_f32 v8, v102, v106, -v29
	v_fma_f32 v29, v116, v112, -v39
	s_delay_alu instid0(VALU_DEP_2) | instskip(SKIP_2) | instid1(VALU_DEP_3)
	v_dual_add_f32 v3, v3, v26 :: v_dual_add_f32 v2, v2, v8
	v_dual_mul_f32 v37, v115, v111 :: v_dual_mul_f32 v8, v133, v129
	v_mul_f32_e32 v26, v130, v127
	v_dual_add_f32 v3, v3, v27 :: v_dual_add_f32 v2, v2, v28
	s_delay_alu instid0(VALU_DEP_3) | instskip(NEXT) | instid1(VALU_DEP_4)
	v_fma_f32 v27, v114, v110, -v37
	v_fma_f32 v8, v132, v128, -v8
	s_delay_alu instid0(VALU_DEP_4) | instskip(SKIP_1) | instid1(VALU_DEP_4)
	v_dual_mul_f32 v31, v118, v123 :: v_dual_fmac_f32 v26, v131, v126
	v_mul_f32_e32 v28, v132, v129
	v_add_f32_e32 v2, v2, v27
	s_waitcnt lgkmcnt(2)
	v_mul_f32_e32 v27, v135, v139
	s_delay_alu instid0(VALU_DEP_3) | instskip(NEXT) | instid1(VALU_DEP_3)
	v_dual_fmac_f32 v31, v119, v122 :: v_dual_fmac_f32 v28, v133, v128
	v_add_f32_e32 v2, v2, v29
	s_delay_alu instid0(VALU_DEP_3) | instskip(NEXT) | instid1(VALU_DEP_2)
	v_fma_f32 v27, v134, v138, -v27
	v_add_f32_e32 v2, v2, v4
	v_mul_f32_e32 v4, v137, v141
	s_delay_alu instid0(VALU_DEP_2) | instskip(SKIP_1) | instid1(VALU_DEP_3)
	v_add_f32_e32 v2, v2, v30
	v_mul_f32_e32 v30, v136, v141
	v_fma_f32 v4, v136, v140, -v4
	s_waitcnt lgkmcnt(0)
	s_delay_alu instid0(VALU_DEP_3) | instskip(NEXT) | instid1(VALU_DEP_3)
	v_dual_add_f32 v2, v2, v5 :: v_dual_mul_f32 v5, v147, v143
	v_fmac_f32_e32 v30, v137, v140
	s_delay_alu instid0(VALU_DEP_2) | instskip(NEXT) | instid1(VALU_DEP_3)
	v_add_f32_e32 v2, v2, v8
	v_fma_f32 v5, v146, v142, -v5
	v_mul_f32_e32 v8, v146, v143
	v_mul_f32_e32 v29, v134, v139
	s_delay_alu instid0(VALU_DEP_4) | instskip(NEXT) | instid1(VALU_DEP_3)
	v_dual_add_f32 v2, v2, v27 :: v_dual_add_f32 v3, v3, v34
	v_fmac_f32_e32 v8, v147, v142
	s_delay_alu instid0(VALU_DEP_2) | instskip(NEXT) | instid1(VALU_DEP_3)
	v_dual_fmac_f32 v29, v135, v138 :: v_dual_add_f32 v2, v2, v4
	v_dual_add_f32 v3, v3, v36 :: v_dual_mul_f32 v4, v148, v145
	s_delay_alu instid0(VALU_DEP_1) | instskip(NEXT) | instid1(VALU_DEP_2)
	v_dual_add_f32 v2, v2, v5 :: v_dual_add_f32 v3, v3, v38
	v_fmac_f32_e32 v4, v149, v144
	s_delay_alu instid0(VALU_DEP_2) | instskip(NEXT) | instid1(VALU_DEP_1)
	v_add_f32_e32 v3, v3, v40
	v_add_f32_e32 v3, v3, v31
	s_delay_alu instid0(VALU_DEP_1) | instskip(NEXT) | instid1(VALU_DEP_1)
	v_add_f32_e32 v3, v3, v32
	v_dual_add_f32 v3, v3, v26 :: v_dual_mul_f32 v26, v149, v145
	s_delay_alu instid0(VALU_DEP_1) | instskip(NEXT) | instid1(VALU_DEP_2)
	v_add_f32_e32 v3, v3, v28
	v_fma_f32 v26, v148, v144, -v26
	s_delay_alu instid0(VALU_DEP_1) | instskip(NEXT) | instid1(VALU_DEP_1)
	v_dual_add_f32 v3, v3, v29 :: v_dual_add_f32 v2, v2, v26
	v_add_f32_e32 v3, v3, v30
	s_delay_alu instid0(VALU_DEP_1) | instskip(NEXT) | instid1(VALU_DEP_1)
	v_add_f32_e32 v3, v3, v8
	v_dual_add_f32 v3, v3, v4 :: v_dual_mul_f32 v4, s7, v2
	v_mul_f32_e32 v2, s16, v2
	s_delay_alu instid0(VALU_DEP_2) | instskip(NEXT) | instid1(VALU_DEP_2)
	v_fmac_f32_e32 v4, s16, v3
	v_fma_f32 v3, s7, v3, -v2
	s_waitcnt vmcnt(0)
	s_delay_alu instid0(VALU_DEP_1)
	v_dual_add_f32 v2, v6, v4 :: v_dual_add_f32 v3, v7, v3
	global_store_b64 v[0:1], v[2:3], off
	s_branch .LBB1937_4
.LBB1937_17:
	s_endpgm
	.section	.rodata,"a",@progbits
	.p2align	6, 0x0
	.amdhsa_kernel _ZL26rocblas_syr2k_her2k_kernelIiLb1ELb1ELb1ELi32E19rocblas_complex_numIfEPKPKS1_PKPS1_EvbiT_T4_T5_S9_lSB_S9_lT6_S9_li
		.amdhsa_group_segment_fixed_size 16384
		.amdhsa_private_segment_fixed_size 0
		.amdhsa_kernarg_size 100
		.amdhsa_user_sgpr_count 13
		.amdhsa_user_sgpr_dispatch_ptr 0
		.amdhsa_user_sgpr_queue_ptr 0
		.amdhsa_user_sgpr_kernarg_segment_ptr 1
		.amdhsa_user_sgpr_dispatch_id 0
		.amdhsa_user_sgpr_private_segment_size 0
		.amdhsa_wavefront_size32 1
		.amdhsa_uses_dynamic_stack 0
		.amdhsa_enable_private_segment 0
		.amdhsa_system_sgpr_workgroup_id_x 1
		.amdhsa_system_sgpr_workgroup_id_y 1
		.amdhsa_system_sgpr_workgroup_id_z 1
		.amdhsa_system_sgpr_workgroup_info 0
		.amdhsa_system_vgpr_workitem_id 1
		.amdhsa_next_free_vgpr 163
		.amdhsa_next_free_sgpr 25
		.amdhsa_reserve_vcc 1
		.amdhsa_float_round_mode_32 0
		.amdhsa_float_round_mode_16_64 0
		.amdhsa_float_denorm_mode_32 3
		.amdhsa_float_denorm_mode_16_64 3
		.amdhsa_dx10_clamp 1
		.amdhsa_ieee_mode 1
		.amdhsa_fp16_overflow 0
		.amdhsa_workgroup_processor_mode 1
		.amdhsa_memory_ordered 1
		.amdhsa_forward_progress 0
		.amdhsa_shared_vgpr_count 0
		.amdhsa_exception_fp_ieee_invalid_op 0
		.amdhsa_exception_fp_denorm_src 0
		.amdhsa_exception_fp_ieee_div_zero 0
		.amdhsa_exception_fp_ieee_overflow 0
		.amdhsa_exception_fp_ieee_underflow 0
		.amdhsa_exception_fp_ieee_inexact 0
		.amdhsa_exception_int_div_zero 0
	.end_amdhsa_kernel
	.section	.text._ZL26rocblas_syr2k_her2k_kernelIiLb1ELb1ELb1ELi32E19rocblas_complex_numIfEPKPKS1_PKPS1_EvbiT_T4_T5_S9_lSB_S9_lT6_S9_li,"axG",@progbits,_ZL26rocblas_syr2k_her2k_kernelIiLb1ELb1ELb1ELi32E19rocblas_complex_numIfEPKPKS1_PKPS1_EvbiT_T4_T5_S9_lSB_S9_lT6_S9_li,comdat
.Lfunc_end1937:
	.size	_ZL26rocblas_syr2k_her2k_kernelIiLb1ELb1ELb1ELi32E19rocblas_complex_numIfEPKPKS1_PKPS1_EvbiT_T4_T5_S9_lSB_S9_lT6_S9_li, .Lfunc_end1937-_ZL26rocblas_syr2k_her2k_kernelIiLb1ELb1ELb1ELi32E19rocblas_complex_numIfEPKPKS1_PKPS1_EvbiT_T4_T5_S9_lSB_S9_lT6_S9_li
                                        ; -- End function
	.section	.AMDGPU.csdata,"",@progbits
; Kernel info:
; codeLenInByte = 3848
; NumSgprs: 27
; NumVgprs: 163
; ScratchSize: 0
; MemoryBound: 0
; FloatMode: 240
; IeeeMode: 1
; LDSByteSize: 16384 bytes/workgroup (compile time only)
; SGPRBlocks: 3
; VGPRBlocks: 20
; NumSGPRsForWavesPerEU: 27
; NumVGPRsForWavesPerEU: 163
; Occupancy: 9
; WaveLimiterHint : 1
; COMPUTE_PGM_RSRC2:SCRATCH_EN: 0
; COMPUTE_PGM_RSRC2:USER_SGPR: 13
; COMPUTE_PGM_RSRC2:TRAP_HANDLER: 0
; COMPUTE_PGM_RSRC2:TGID_X_EN: 1
; COMPUTE_PGM_RSRC2:TGID_Y_EN: 1
; COMPUTE_PGM_RSRC2:TGID_Z_EN: 1
; COMPUTE_PGM_RSRC2:TIDIG_COMP_CNT: 1
	.section	.text._ZL26rocblas_syr2k_her2k_kernelIiLb1ELb1ELb0ELi32EPK19rocblas_complex_numIfEPKS3_PKPS1_EvbiT_T4_T5_S9_lSB_S9_lT6_S9_li,"axG",@progbits,_ZL26rocblas_syr2k_her2k_kernelIiLb1ELb1ELb0ELi32EPK19rocblas_complex_numIfEPKS3_PKPS1_EvbiT_T4_T5_S9_lSB_S9_lT6_S9_li,comdat
	.globl	_ZL26rocblas_syr2k_her2k_kernelIiLb1ELb1ELb0ELi32EPK19rocblas_complex_numIfEPKS3_PKPS1_EvbiT_T4_T5_S9_lSB_S9_lT6_S9_li ; -- Begin function _ZL26rocblas_syr2k_her2k_kernelIiLb1ELb1ELb0ELi32EPK19rocblas_complex_numIfEPKS3_PKPS1_EvbiT_T4_T5_S9_lSB_S9_lT6_S9_li
	.p2align	8
	.type	_ZL26rocblas_syr2k_her2k_kernelIiLb1ELb1ELb0ELi32EPK19rocblas_complex_numIfEPKS3_PKPS1_EvbiT_T4_T5_S9_lSB_S9_lT6_S9_li,@function
_ZL26rocblas_syr2k_her2k_kernelIiLb1ELb1ELb0ELi32EPK19rocblas_complex_numIfEPKS3_PKPS1_EvbiT_T4_T5_S9_lSB_S9_lT6_S9_li: ; @_ZL26rocblas_syr2k_her2k_kernelIiLb1ELb1ELb0ELi32EPK19rocblas_complex_numIfEPKS3_PKPS1_EvbiT_T4_T5_S9_lSB_S9_lT6_S9_li
; %bb.0:
	s_load_b128 s[16:19], s[0:1], 0x10
	s_waitcnt lgkmcnt(0)
	s_load_b64 s[16:17], s[16:17], 0x0
	s_waitcnt lgkmcnt(0)
	v_cmp_eq_f32_e64 s3, s16, 0
	v_cmp_eq_f32_e64 s4, s17, 0
	s_delay_alu instid0(VALU_DEP_1) | instskip(NEXT) | instid1(SALU_CYCLE_1)
	s_and_b32 s3, s3, s4
	s_and_b32 vcc_lo, exec_lo, s3
	s_cbranch_vccnz .LBB1938_17
; %bb.1:
	s_load_b128 s[4:7], s[0:1], 0x0
	s_lshl_b32 s20, s14, 5
	s_lshl_b32 s21, s13, 5
	s_waitcnt lgkmcnt(0)
	s_and_b32 s3, 1, s4
	s_delay_alu instid0(SALU_CYCLE_1) | instskip(SKIP_1) | instid1(SALU_CYCLE_1)
	s_cmp_eq_u32 s3, 1
	s_cselect_b32 vcc_lo, -1, 0
	s_and_b32 s3, vcc_lo, exec_lo
	s_cselect_b32 s3, s21, s20
	s_cselect_b32 s4, s20, s21
	s_delay_alu instid0(SALU_CYCLE_1)
	s_cmp_gt_i32 s3, s4
	s_cbranch_scc1 .LBB1938_17
; %bb.2:
	s_cmp_lt_i32 s6, 1
	s_cbranch_scc1 .LBB1938_17
; %bb.3:
	s_mov_b32 s2, s15
	s_clause 0x4
	s_load_b128 s[12:15], s[0:1], 0x28
	s_load_b32 s4, s[0:1], 0x20
	s_load_b32 s7, s[0:1], 0x38
	s_load_b128 s[8:11], s[0:1], 0x40
	s_load_b32 s26, s[0:1], 0x50
	s_mov_b32 s3, 0
	s_load_b64 s[24:25], s[0:1], 0x58
	s_lshl_b64 s[22:23], s[2:3], 3
	v_and_b32_e32 v6, 0x3ff, v0
	s_add_u32 s0, s18, s22
	s_addc_u32 s1, s19, s23
	v_bfe_u32 v7, v0, 10, 10
	s_load_b64 s[18:19], s[0:1], 0x0
	v_add_nc_u32_e32 v2, s21, v6
	s_delay_alu instid0(VALU_DEP_2) | instskip(SKIP_1) | instid1(VALU_DEP_3)
	v_add_nc_u32_e32 v0, s20, v7
	v_lshlrev_b32_e32 v4, 3, v7
	v_ashrrev_i32_e32 v3, 31, v2
	s_waitcnt lgkmcnt(0)
	s_add_u32 s0, s14, s22
	v_cndmask_b32_e32 v17, v0, v2, vcc_lo
	s_addc_u32 s1, s15, s23
	v_lshlrev_b32_e32 v8, 8, v6
	s_load_b64 s[14:15], s[0:1], 0x0
	s_add_u32 s0, s10, s22
	s_addc_u32 s1, s11, s23
	v_ashrrev_i32_e32 v1, 31, v0
	s_load_b64 s[10:11], s[0:1], 0x0
	v_mad_i64_i32 v[13:14], null, s26, v0, 0
	v_or_b32_e32 v10, 0x2000, v4
	v_cndmask_b32_e32 v16, v2, v0, vcc_lo
	v_cmp_gt_i32_e32 vcc_lo, s5, v2
	v_lshlrev_b64 v[2:3], 3, v[2:3]
	s_lshl_b64 s[12:13], s[12:13], 3
	v_add_nc_u32_e32 v21, 0x1000, v10
	v_add_nc_u32_e32 v9, v8, v4
	v_lshlrev_b64 v[4:5], 3, v[0:1]
	v_cmp_gt_i32_e64 s0, s5, v0
	s_add_u32 s5, s18, s12
	s_addc_u32 s12, s19, s13
	s_lshl_b64 s[8:9], s[8:9], 3
	v_add_co_u32 v11, s1, s5, v2
	v_lshlrev_b64 v[0:1], 3, v[13:14]
	s_waitcnt lgkmcnt(0)
	s_add_u32 s13, s14, s8
	s_addc_u32 s14, s15, s9
	s_lshl_b64 s[8:9], s[24:25], 3
	v_add_co_ci_u32_e64 v12, s1, s12, v3, s1
	v_add_co_u32 v13, s1, s13, v4
	s_add_u32 s2, s10, s8
	v_add_co_ci_u32_e64 v14, s1, s14, v5, s1
	s_addc_u32 s8, s11, s9
	v_add_co_u32 v0, s1, s2, v0
	s_delay_alu instid0(VALU_DEP_1) | instskip(SKIP_1) | instid1(VALU_DEP_3)
	v_add_co_ci_u32_e64 v1, s1, s8, v1, s1
	v_cmp_le_i32_e64 s1, v17, v16
	v_add_co_u32 v0, s2, v0, v2
	s_delay_alu instid0(VALU_DEP_1) | instskip(SKIP_1) | instid1(VALU_DEP_1)
	v_add_co_ci_u32_e64 v1, s2, v1, v3, s2
	v_add_co_u32 v16, s2, s13, v2
	v_add_co_ci_u32_e64 v17, s2, s14, v3, s2
	v_add_co_u32 v18, s2, s5, v4
	v_add_nc_u32_e32 v15, v10, v8
	v_add_co_ci_u32_e64 v19, s2, s12, v5, s2
	v_add_nc_u32_e32 v20, 0x800, v10
	v_add_nc_u32_e32 v22, 0x1800, v10
	s_and_b32 s2, s0, vcc_lo
	s_delay_alu instid0(SALU_CYCLE_1)
	s_and_b32 s2, s2, s1
	s_branch .LBB1938_5
.LBB1938_4:                             ;   in Loop: Header=BB1938_5 Depth=1
	s_or_b32 exec_lo, exec_lo, s1
	s_add_i32 s3, s3, 32
	s_waitcnt_vscnt null, 0x0
	s_cmp_lt_i32 s3, s6
	s_barrier
	buffer_gl0_inv
	s_cbranch_scc0 .LBB1938_17
.LBB1938_5:                             ; =>This Inner Loop Header: Depth=1
	v_dual_mov_b32 v2, 0 :: v_dual_add_nc_u32 v23, s3, v7
	v_dual_mov_b32 v4, 0 :: v_dual_mov_b32 v5, 0
	s_delay_alu instid0(VALU_DEP_2) | instskip(NEXT) | instid1(VALU_DEP_1)
	v_cmp_gt_i32_e64 s1, s6, v23
	s_and_b32 s5, vcc_lo, s1
	s_delay_alu instid0(SALU_CYCLE_1)
	s_and_saveexec_b32 s8, s5
	s_cbranch_execz .LBB1938_7
; %bb.6:                                ;   in Loop: Header=BB1938_5 Depth=1
	v_mad_i64_i32 v[3:4], null, v23, s4, 0
	s_delay_alu instid0(VALU_DEP_1) | instskip(NEXT) | instid1(VALU_DEP_1)
	v_lshlrev_b64 v[3:4], 3, v[3:4]
	v_add_co_u32 v3, s1, v11, v3
	s_delay_alu instid0(VALU_DEP_1)
	v_add_co_ci_u32_e64 v4, s1, v12, v4, s1
	global_load_b64 v[4:5], v[3:4], off
.LBB1938_7:                             ;   in Loop: Header=BB1938_5 Depth=1
	s_or_b32 exec_lo, exec_lo, s8
	v_dual_mov_b32 v3, 0 :: v_dual_add_nc_u32 v24, s3, v6
	s_waitcnt vmcnt(0)
	ds_store_b64 v9, v[4:5]
	v_cmp_gt_i32_e64 s1, s6, v24
	s_delay_alu instid0(VALU_DEP_1) | instskip(NEXT) | instid1(SALU_CYCLE_1)
	s_and_b32 s8, s0, s1
	s_and_saveexec_b32 s9, s8
	s_cbranch_execz .LBB1938_9
; %bb.8:                                ;   in Loop: Header=BB1938_5 Depth=1
	v_mad_i64_i32 v[2:3], null, v24, s7, 0
	s_delay_alu instid0(VALU_DEP_1) | instskip(NEXT) | instid1(VALU_DEP_1)
	v_lshlrev_b64 v[2:3], 3, v[2:3]
	v_add_co_u32 v2, s1, v13, v2
	s_delay_alu instid0(VALU_DEP_1)
	v_add_co_ci_u32_e64 v3, s1, v14, v3, s1
	global_load_b64 v[2:3], v[2:3], off
	s_waitcnt vmcnt(0)
	v_xor_b32_e32 v3, 0x80000000, v3
.LBB1938_9:                             ;   in Loop: Header=BB1938_5 Depth=1
	s_or_b32 exec_lo, exec_lo, s9
	ds_store_b64 v15, v[2:3]
	s_waitcnt lgkmcnt(0)
	s_barrier
	buffer_gl0_inv
	s_and_saveexec_b32 s1, s2
	s_cbranch_execz .LBB1938_11
; %bb.10:                               ;   in Loop: Header=BB1938_5 Depth=1
	global_load_b64 v[145:146], v[0:1], off
	ds_load_2addr_b64 v[2:5], v10 offset1:32
	ds_load_b128 v[25:28], v8
	ds_load_b128 v[29:32], v8 offset:16
	ds_load_b128 v[33:36], v8 offset:32
	;; [unrolled: 1-line block ×3, first 2 shown]
	ds_load_2addr_b64 v[41:44], v10 offset0:64 offset1:96
	ds_load_2addr_b64 v[45:48], v10 offset0:128 offset1:160
	;; [unrolled: 1-line block ×3, first 2 shown]
	ds_load_2addr_b64 v[53:56], v20 offset1:32
	ds_load_b128 v[57:60], v8 offset:64
	ds_load_b128 v[61:64], v8 offset:80
	ds_load_2addr_b64 v[65:68], v20 offset0:64 offset1:96
	ds_load_2addr_b64 v[69:72], v20 offset0:128 offset1:160
	ds_load_b128 v[73:76], v8 offset:96
	ds_load_b128 v[77:80], v8 offset:112
	ds_load_2addr_b64 v[81:84], v20 offset0:192 offset1:224
	ds_load_2addr_b64 v[85:88], v21 offset1:32
	ds_load_b128 v[89:92], v8 offset:128
	ds_load_b128 v[93:96], v8 offset:144
	ds_load_2addr_b64 v[97:100], v21 offset0:64 offset1:96
	ds_load_2addr_b64 v[101:104], v21 offset0:128 offset1:160
	ds_load_b128 v[105:108], v8 offset:160
	ds_load_b128 v[109:112], v8 offset:176
	ds_load_2addr_b64 v[113:116], v21 offset0:192 offset1:224
	ds_load_2addr_b64 v[117:120], v22 offset1:32
	ds_load_b128 v[121:124], v8 offset:192
	ds_load_b128 v[125:128], v8 offset:208
	ds_load_2addr_b64 v[129:132], v22 offset0:64 offset1:96
	ds_load_2addr_b64 v[133:136], v22 offset0:128 offset1:160
	s_waitcnt lgkmcnt(27)
	v_dual_mul_f32 v147, v3, v26 :: v_dual_mul_f32 v148, v5, v28
	v_mul_f32_e32 v26, v2, v26
	s_waitcnt lgkmcnt(22)
	v_dual_mul_f32 v28, v4, v28 :: v_dual_mul_f32 v149, v46, v34
	s_delay_alu instid0(VALU_DEP_3)
	v_fma_f32 v147, v2, v25, -v147
	v_mul_f32_e32 v34, v45, v34
	v_fmac_f32_e32 v26, v3, v25
	v_fma_f32 v25, v4, v27, -v148
	v_dual_fmac_f32 v28, v5, v27 :: v_dual_mul_f32 v27, v42, v30
	v_mul_f32_e32 v30, v41, v30
	v_mul_f32_e32 v148, v44, v32
	;; [unrolled: 1-line block ×3, first 2 shown]
	v_fma_f32 v45, v45, v33, -v149
	v_fma_f32 v27, v41, v29, -v27
	v_fmac_f32_e32 v30, v42, v29
	v_fma_f32 v29, v43, v31, -v148
	s_waitcnt lgkmcnt(19)
	v_mul_f32_e32 v42, v54, v58
	v_dual_mul_f32 v43, v53, v58 :: v_dual_add_f32 v58, 0, v147
	v_mul_f32_e32 v150, v48, v36
	v_dual_fmac_f32 v32, v44, v31 :: v_dual_mul_f32 v31, v47, v36
	v_fmac_f32_e32 v34, v46, v33
	s_delay_alu instid0(VALU_DEP_4) | instskip(NEXT) | instid1(VALU_DEP_4)
	v_add_f32_e32 v25, v58, v25
	v_fma_f32 v33, v47, v35, -v150
	v_mul_f32_e32 v41, v52, v40
	v_fmac_f32_e32 v31, v48, v35
	v_mul_f32_e32 v35, v55, v60
	v_dual_add_f32 v25, v25, v27 :: v_dual_mul_f32 v36, v50, v38
	v_mul_f32_e32 v38, v49, v38
	s_waitcnt lgkmcnt(13)
	v_mul_f32_e32 v27, v81, v78
	v_fmac_f32_e32 v35, v56, v59
	v_dual_add_f32 v25, v25, v29 :: v_dual_mul_f32 v44, v56, v60
	v_fma_f32 v36, v49, v37, -v36
	s_waitcnt lgkmcnt(11)
	v_dual_mul_f32 v40, v51, v40 :: v_dual_mul_f32 v29, v86, v90
	s_delay_alu instid0(VALU_DEP_3) | instskip(SKIP_1) | instid1(VALU_DEP_2)
	v_dual_add_f32 v25, v25, v45 :: v_dual_add_f32 v26, 0, v26
	s_waitcnt lgkmcnt(9)
	v_dual_mul_f32 v45, v97, v94 :: v_dual_fmac_f32 v40, v52, v39
	v_dual_mul_f32 v60, v67, v64 :: v_dual_fmac_f32 v43, v54, v57
	s_delay_alu instid0(VALU_DEP_3) | instskip(SKIP_3) | instid1(VALU_DEP_4)
	v_dual_add_f32 v25, v25, v33 :: v_dual_add_f32 v26, v26, v28
	v_mul_f32_e32 v28, v70, v74
	v_fma_f32 v29, v85, v89, -v29
	v_dual_mul_f32 v46, v66, v62 :: v_dual_mul_f32 v49, v100, v96
	v_add_f32_e32 v25, v25, v36
	s_delay_alu instid0(VALU_DEP_4)
	v_fma_f32 v28, v69, v73, -v28
	v_fmac_f32_e32 v38, v50, v37
	v_fma_f32 v37, v51, v39, -v41
	v_mul_f32_e32 v58, v72, v76
	v_mul_f32_e32 v41, v87, v92
	v_dual_mul_f32 v47, v65, v62 :: v_dual_mul_f32 v48, v68, v64
	s_delay_alu instid0(VALU_DEP_4) | instskip(NEXT) | instid1(VALU_DEP_2)
	v_dual_add_f32 v25, v25, v37 :: v_dual_add_f32 v26, v26, v30
	v_dual_mul_f32 v30, v71, v76 :: v_dual_fmac_f32 v47, v66, v61
	s_delay_alu instid0(VALU_DEP_4)
	v_dual_fmac_f32 v41, v88, v91 :: v_dual_mul_f32 v62, v69, v74
	s_waitcnt lgkmcnt(7)
	v_mul_f32_e32 v37, v104, v108
	v_add_f32_e32 v26, v26, v32
	v_fmac_f32_e32 v60, v68, v63
	v_mul_f32_e32 v64, v82, v78
	v_fmac_f32_e32 v30, v72, v75
	v_fma_f32 v37, v103, v107, -v37
	v_add_f32_e32 v26, v26, v34
	v_dual_mul_f32 v74, v83, v80 :: v_dual_fmac_f32 v27, v82, v77
	ds_load_b128 v[137:140], v8 offset:224
	ds_load_b128 v[141:144], v8 offset:240
	v_mul_f32_e32 v34, v85, v90
	v_add_f32_e32 v26, v26, v31
	v_dual_mul_f32 v31, v98, v94 :: v_dual_fmac_f32 v74, v84, v79
	v_mul_f32_e32 v39, v88, v92
	s_delay_alu instid0(VALU_DEP_3) | instskip(NEXT) | instid1(VALU_DEP_3)
	v_dual_mul_f32 v33, v99, v96 :: v_dual_add_f32 v26, v26, v38
	v_fma_f32 v31, v97, v93, -v31
	v_fmac_f32_e32 v62, v70, v73
	v_dual_mul_f32 v36, v101, v106 :: v_dual_fmac_f32 v45, v98, v93
	s_delay_alu instid0(VALU_DEP_4) | instskip(SKIP_4) | instid1(VALU_DEP_4)
	v_add_f32_e32 v26, v26, v40
	v_fma_f32 v40, v53, v57, -v42
	v_fma_f32 v42, v55, v59, -v44
	;; [unrolled: 1-line block ×3, first 2 shown]
	v_fmac_f32_e32 v33, v100, v95
	v_dual_add_f32 v26, v26, v43 :: v_dual_add_f32 v25, v25, v40
	v_fma_f32 v40, v65, v61, -v46
	v_fma_f32 v43, v67, v63, -v48
	v_fmac_f32_e32 v36, v102, v105
	s_delay_alu instid0(VALU_DEP_4)
	v_dual_add_f32 v26, v26, v35 :: v_dual_add_f32 v25, v25, v42
	s_waitcnt lgkmcnt(7)
	v_dual_mul_f32 v35, v103, v108 :: v_dual_mul_f32 v42, v114, v110
	ds_load_2addr_b64 v[2:5], v22 offset0:192 offset1:224
	v_dual_add_f32 v26, v26, v47 :: v_dual_add_f32 v25, v25, v40
	v_mul_f32_e32 v32, v84, v80
	v_dual_fmac_f32 v35, v104, v107 :: v_dual_mul_f32 v40, v113, v110
	s_delay_alu instid0(VALU_DEP_3) | instskip(NEXT) | instid1(VALU_DEP_3)
	v_dual_add_f32 v26, v26, v60 :: v_dual_add_f32 v25, v25, v43
	v_fma_f32 v32, v83, v79, -v32
	v_dual_mul_f32 v43, v116, v112 :: v_dual_fmac_f32 v34, v86, v89
	s_delay_alu instid0(VALU_DEP_3) | instskip(SKIP_1) | instid1(VALU_DEP_2)
	v_dual_add_f32 v26, v26, v62 :: v_dual_add_f32 v25, v25, v28
	v_mul_f32_e32 v28, v115, v112
	v_add_f32_e32 v26, v26, v30
	v_fma_f32 v30, v81, v77, -v64
	s_delay_alu instid0(VALU_DEP_2) | instskip(SKIP_2) | instid1(VALU_DEP_2)
	v_dual_add_f32 v25, v25, v44 :: v_dual_add_f32 v26, v26, v27
	s_waitcnt lgkmcnt(6)
	v_mul_f32_e32 v27, v118, v122
	v_add_f32_e32 v25, v25, v30
	v_mul_f32_e32 v38, v102, v106
	s_delay_alu instid0(VALU_DEP_3) | instskip(NEXT) | instid1(VALU_DEP_3)
	v_fma_f32 v27, v117, v121, -v27
	v_add_f32_e32 v25, v25, v32
	s_delay_alu instid0(VALU_DEP_1) | instskip(SKIP_1) | instid1(VALU_DEP_1)
	v_dual_mul_f32 v32, v120, v124 :: v_dual_add_f32 v25, v25, v29
	v_dual_mul_f32 v29, v119, v124 :: v_dual_add_f32 v26, v26, v74
	v_dual_fmac_f32 v29, v120, v123 :: v_dual_add_f32 v26, v26, v34
	v_fma_f32 v34, v87, v91, -v39
	v_fma_f32 v39, v99, v95, -v49
	s_delay_alu instid0(VALU_DEP_2) | instskip(NEXT) | instid1(VALU_DEP_1)
	v_dual_add_f32 v26, v26, v41 :: v_dual_add_f32 v25, v25, v34
	v_dual_add_f32 v26, v26, v45 :: v_dual_add_f32 v25, v25, v31
	s_waitcnt lgkmcnt(4)
	v_mul_f32_e32 v31, v129, v126
	v_mul_f32_e32 v30, v117, v122
	s_delay_alu instid0(VALU_DEP_3)
	v_add_f32_e32 v26, v26, v33
	v_fma_f32 v33, v101, v105, -v38
	v_add_f32_e32 v25, v25, v39
	v_fmac_f32_e32 v31, v130, v125
	v_fmac_f32_e32 v30, v118, v121
	v_add_f32_e32 v26, v26, v36
	v_fma_f32 v38, v115, v111, -v43
	v_add_f32_e32 v25, v25, v33
	v_dual_mul_f32 v33, v131, v128 :: v_dual_fmac_f32 v40, v114, v109
	s_delay_alu instid0(VALU_DEP_4) | instskip(SKIP_1) | instid1(VALU_DEP_4)
	v_add_f32_e32 v26, v26, v35
	v_fma_f32 v35, v113, v109, -v42
	v_add_f32_e32 v25, v25, v37
	s_waitcnt lgkmcnt(2)
	v_dual_mul_f32 v37, v134, v138 :: v_dual_fmac_f32 v28, v116, v111
	v_add_f32_e32 v26, v26, v40
	s_delay_alu instid0(VALU_DEP_3) | instskip(NEXT) | instid1(VALU_DEP_2)
	v_dual_mul_f32 v36, v132, v128 :: v_dual_add_f32 v25, v25, v35
	v_dual_fmac_f32 v33, v132, v127 :: v_dual_add_f32 v26, v26, v28
	s_delay_alu instid0(VALU_DEP_2) | instskip(NEXT) | instid1(VALU_DEP_2)
	v_add_f32_e32 v25, v25, v38
	v_add_f32_e32 v26, v26, v30
	s_delay_alu instid0(VALU_DEP_2) | instskip(NEXT) | instid1(VALU_DEP_2)
	v_dual_mul_f32 v30, v136, v140 :: v_dual_add_f32 v25, v25, v27
	v_dual_mul_f32 v27, v135, v140 :: v_dual_add_f32 v26, v26, v29
	s_delay_alu instid0(VALU_DEP_2) | instskip(NEXT) | instid1(VALU_DEP_2)
	v_fma_f32 v30, v135, v139, -v30
	v_dual_fmac_f32 v27, v136, v139 :: v_dual_mul_f32 v28, v133, v138
	s_waitcnt lgkmcnt(0)
	s_delay_alu instid0(VALU_DEP_3) | instskip(SKIP_1) | instid1(VALU_DEP_3)
	v_dual_add_f32 v26, v26, v31 :: v_dual_mul_f32 v31, v3, v142
	v_fma_f32 v32, v119, v123, -v32
	v_fmac_f32_e32 v28, v134, v137
	s_delay_alu instid0(VALU_DEP_3) | instskip(SKIP_1) | instid1(VALU_DEP_4)
	v_add_f32_e32 v26, v26, v33
	v_fma_f32 v33, v133, v137, -v37
	v_dual_add_f32 v25, v25, v32 :: v_dual_mul_f32 v34, v130, v126
	s_delay_alu instid0(VALU_DEP_3) | instskip(SKIP_1) | instid1(VALU_DEP_3)
	v_add_f32_e32 v26, v26, v28
	v_mul_f32_e32 v28, v4, v144
	v_fma_f32 v29, v129, v125, -v34
	s_delay_alu instid0(VALU_DEP_2) | instskip(NEXT) | instid1(VALU_DEP_2)
	v_fmac_f32_e32 v28, v5, v143
	v_add_f32_e32 v25, v25, v29
	v_mul_f32_e32 v29, v2, v142
	v_fma_f32 v32, v131, v127, -v36
	v_fma_f32 v2, v2, v141, -v31
	s_delay_alu instid0(VALU_DEP_3) | instskip(NEXT) | instid1(VALU_DEP_3)
	v_fmac_f32_e32 v29, v3, v141
	v_add_f32_e32 v25, v25, v32
	s_delay_alu instid0(VALU_DEP_1) | instskip(SKIP_1) | instid1(VALU_DEP_2)
	v_add_f32_e32 v3, v25, v33
	v_dual_add_f32 v25, v26, v27 :: v_dual_mul_f32 v26, v5, v144
	v_add_f32_e32 v3, v3, v30
	s_delay_alu instid0(VALU_DEP_2) | instskip(NEXT) | instid1(VALU_DEP_3)
	v_add_f32_e32 v5, v25, v29
	v_fma_f32 v4, v4, v143, -v26
	s_delay_alu instid0(VALU_DEP_2) | instskip(NEXT) | instid1(VALU_DEP_1)
	v_dual_add_f32 v2, v3, v2 :: v_dual_add_f32 v3, v5, v28
	v_add_f32_e32 v2, v2, v4
	s_delay_alu instid0(VALU_DEP_2) | instskip(SKIP_1) | instid1(VALU_DEP_2)
	v_mul_f32_e32 v4, s17, v3
	v_mul_f32_e32 v3, s16, v3
	v_fma_f32 v4, s16, v2, -v4
	s_waitcnt vmcnt(0)
	s_delay_alu instid0(VALU_DEP_1) | instskip(NEXT) | instid1(VALU_DEP_1)
	v_dual_fmac_f32 v3, s17, v2 :: v_dual_add_f32 v2, v145, v4
	v_add_f32_e32 v3, v146, v3
	global_store_b64 v[0:1], v[2:3], off
.LBB1938_11:                            ;   in Loop: Header=BB1938_5 Depth=1
	s_or_b32 exec_lo, exec_lo, s1
	v_dual_mov_b32 v3, 0 :: v_dual_mov_b32 v4, 0
	v_mov_b32_e32 v5, 0
	s_waitcnt_vscnt null, 0x0
	s_barrier
	buffer_gl0_inv
	s_and_saveexec_b32 s9, s5
	s_cbranch_execz .LBB1938_13
; %bb.12:                               ;   in Loop: Header=BB1938_5 Depth=1
	v_mad_i64_i32 v[4:5], null, v23, s7, 0
	s_delay_alu instid0(VALU_DEP_1) | instskip(NEXT) | instid1(VALU_DEP_1)
	v_lshlrev_b64 v[4:5], 3, v[4:5]
	v_add_co_u32 v4, s1, v16, v4
	s_delay_alu instid0(VALU_DEP_1)
	v_add_co_ci_u32_e64 v5, s1, v17, v5, s1
	global_load_b64 v[4:5], v[4:5], off
.LBB1938_13:                            ;   in Loop: Header=BB1938_5 Depth=1
	s_or_b32 exec_lo, exec_lo, s9
	v_mov_b32_e32 v2, 0
	s_waitcnt vmcnt(0)
	ds_store_b64 v9, v[4:5]
	s_and_saveexec_b32 s5, s8
	s_cbranch_execz .LBB1938_15
; %bb.14:                               ;   in Loop: Header=BB1938_5 Depth=1
	v_mad_i64_i32 v[2:3], null, v24, s4, 0
	s_delay_alu instid0(VALU_DEP_1) | instskip(NEXT) | instid1(VALU_DEP_1)
	v_lshlrev_b64 v[2:3], 3, v[2:3]
	v_add_co_u32 v2, s1, v18, v2
	s_delay_alu instid0(VALU_DEP_1)
	v_add_co_ci_u32_e64 v3, s1, v19, v3, s1
	global_load_b64 v[2:3], v[2:3], off
	s_waitcnt vmcnt(0)
	v_xor_b32_e32 v3, 0x80000000, v3
.LBB1938_15:                            ;   in Loop: Header=BB1938_5 Depth=1
	s_or_b32 exec_lo, exec_lo, s5
	ds_store_b64 v15, v[2:3]
	s_waitcnt lgkmcnt(0)
	s_barrier
	buffer_gl0_inv
	s_and_saveexec_b32 s1, s2
	s_cbranch_execz .LBB1938_4
; %bb.16:                               ;   in Loop: Header=BB1938_5 Depth=1
	global_load_b64 v[147:148], v[0:1], off
	ds_load_b128 v[2:5], v8
	ds_load_b128 v[23:26], v8 offset:16
	ds_load_2addr_b64 v[27:30], v10 offset1:32
	ds_load_b128 v[31:34], v8 offset:32
	ds_load_b128 v[35:38], v8 offset:48
	ds_load_2addr_b64 v[39:42], v10 offset0:64 offset1:96
	ds_load_2addr_b64 v[43:46], v10 offset0:128 offset1:160
	ds_load_2addr_b64 v[47:50], v10 offset0:192 offset1:224
	ds_load_2addr_b64 v[51:54], v20 offset1:32
	ds_load_b128 v[55:58], v8 offset:64
	ds_load_b128 v[59:62], v8 offset:80
	ds_load_2addr_b64 v[63:66], v20 offset0:64 offset1:96
	ds_load_2addr_b64 v[67:70], v20 offset0:128 offset1:160
	ds_load_b128 v[71:74], v8 offset:96
	ds_load_b128 v[75:78], v8 offset:112
	ds_load_2addr_b64 v[79:82], v20 offset0:192 offset1:224
	ds_load_2addr_b64 v[83:86], v21 offset1:32
	ds_load_b128 v[87:90], v8 offset:128
	ds_load_b128 v[91:94], v8 offset:144
	ds_load_2addr_b64 v[95:98], v21 offset0:64 offset1:96
	ds_load_2addr_b64 v[99:102], v21 offset0:128 offset1:160
	ds_load_b128 v[103:106], v8 offset:160
	ds_load_b128 v[107:110], v8 offset:176
	ds_load_2addr_b64 v[111:114], v21 offset0:192 offset1:224
	;; [unrolled: 8-line block ×3, first 2 shown]
	s_waitcnt lgkmcnt(29)
	v_dual_mul_f32 v149, v28, v3 :: v_dual_mul_f32 v150, v30, v5
	s_waitcnt lgkmcnt(26)
	v_dual_mul_f32 v3, v27, v3 :: v_dual_mul_f32 v152, v42, v26
	v_mul_f32_e32 v5, v29, v5
	s_waitcnt lgkmcnt(25)
	v_dual_mul_f32 v153, v44, v32 :: v_dual_mul_f32 v154, v46, v34
	s_delay_alu instid0(VALU_DEP_3)
	v_dual_mul_f32 v32, v43, v32 :: v_dual_fmac_f32 v3, v28, v2
	v_fma_f32 v27, v27, v2, -v149
	v_dual_mul_f32 v151, v40, v24 :: v_dual_mul_f32 v26, v41, v26
	v_mul_f32_e32 v24, v39, v24
	s_waitcnt lgkmcnt(24)
	v_dual_mul_f32 v34, v45, v34 :: v_dual_mul_f32 v155, v48, v36
	v_dual_mul_f32 v36, v47, v36 :: v_dual_add_f32 v27, 0, v27
	s_waitcnt lgkmcnt(22)
	v_dual_mul_f32 v156, v50, v38 :: v_dual_mul_f32 v157, v52, v56
	v_dual_mul_f32 v56, v51, v56 :: v_dual_add_f32 v3, 0, v3
	s_waitcnt lgkmcnt(18)
	v_dual_mul_f32 v158, v54, v58 :: v_dual_mul_f32 v161, v68, v72
	v_dual_mul_f32 v58, v53, v58 :: v_dual_fmac_f32 v5, v30, v4
	v_fma_f32 v2, v29, v4, -v150
	v_dual_mul_f32 v38, v49, v38 :: v_dual_mul_f32 v159, v64, v60
	v_mul_f32_e32 v60, v63, v60
	s_waitcnt lgkmcnt(16)
	v_dual_mul_f32 v160, v66, v62 :: v_dual_mul_f32 v29, v79, v76
	v_dual_mul_f32 v62, v65, v62 :: v_dual_add_f32 v3, v3, v5
	v_add_f32_e32 v2, v27, v2
	s_waitcnt lgkmcnt(14)
	v_mul_f32_e32 v27, v85, v90
	v_fmac_f32_e32 v29, v80, v75
	v_fmac_f32_e32 v24, v40, v23
	v_mul_f32_e32 v4, v69, v74
	s_delay_alu instid0(VALU_DEP_4) | instskip(NEXT) | instid1(VALU_DEP_3)
	v_dual_fmac_f32 v56, v52, v55 :: v_dual_fmac_f32 v27, v86, v89
	v_dual_fmac_f32 v26, v42, v25 :: v_dual_add_f32 v3, v3, v24
	v_mul_f32_e32 v28, v80, v76
	v_fmac_f32_e32 v60, v64, v59
	v_fmac_f32_e32 v32, v44, v31
	s_waitcnt lgkmcnt(12)
	v_dual_mul_f32 v162, v70, v74 :: v_dual_mul_f32 v5, v96, v92
	v_add_f32_e32 v3, v3, v26
	v_mul_f32_e32 v74, v81, v78
	v_fmac_f32_e32 v62, v66, v61
	v_fmac_f32_e32 v34, v46, v33
	s_delay_alu instid0(VALU_DEP_4)
	v_dual_fmac_f32 v4, v70, v73 :: v_dual_add_f32 v3, v3, v32
	v_mul_f32_e32 v76, v84, v88
	v_fmac_f32_e32 v36, v48, v35
	v_mul_f32_e32 v30, v82, v78
	v_mul_f32_e32 v78, v83, v88
	v_add_f32_e32 v3, v3, v34
	v_mul_f32_e32 v88, v86, v90
	v_fma_f32 v39, v39, v23, -v151
	v_fmac_f32_e32 v38, v50, v37
	v_fma_f32 v23, v41, v25, -v152
	v_dual_add_f32 v3, v3, v36 :: v_dual_fmac_f32 v58, v54, v57
	s_delay_alu instid0(VALU_DEP_4) | instskip(SKIP_2) | instid1(VALU_DEP_4)
	v_add_f32_e32 v2, v2, v39
	v_mul_f32_e32 v72, v67, v72
	v_fma_f32 v25, v43, v31, -v153
	v_add_f32_e32 v3, v3, v38
	v_fma_f32 v24, v45, v33, -v154
	v_fma_f32 v26, v47, v35, -v155
	v_fma_f32 v31, v49, v37, -v156
	s_delay_alu instid0(VALU_DEP_4) | instskip(SKIP_4) | instid1(VALU_DEP_4)
	v_dual_fmac_f32 v74, v82, v77 :: v_dual_add_f32 v3, v3, v56
	v_add_f32_e32 v2, v2, v23
	v_fma_f32 v32, v51, v55, -v157
	v_mul_f32_e32 v23, v95, v92
	v_fma_f32 v33, v53, v57, -v158
	v_dual_add_f32 v3, v3, v58 :: v_dual_add_f32 v2, v2, v25
	v_dual_mul_f32 v25, v98, v94 :: v_dual_fmac_f32 v72, v68, v71
	v_fma_f32 v34, v63, v59, -v159
	s_delay_alu instid0(VALU_DEP_3) | instskip(NEXT) | instid1(VALU_DEP_4)
	v_add_f32_e32 v3, v3, v60
	v_add_f32_e32 v2, v2, v24
	v_fma_f32 v35, v65, v61, -v160
	v_fma_f32 v36, v67, v71, -v161
	;; [unrolled: 1-line block ×3, first 2 shown]
	v_add_f32_e32 v3, v3, v62
	v_dual_mul_f32 v24, v97, v94 :: v_dual_fmac_f32 v23, v96, v91
	v_fma_f32 v28, v79, v75, -v28
	v_fma_f32 v30, v81, v77, -v30
	s_delay_alu instid0(VALU_DEP_3) | instskip(SKIP_2) | instid1(VALU_DEP_3)
	v_dual_add_f32 v3, v3, v72 :: v_dual_fmac_f32 v24, v98, v93
	v_fma_f32 v5, v95, v91, -v5
	v_fma_f32 v25, v97, v93, -v25
	v_dual_add_f32 v3, v3, v4 :: v_dual_add_f32 v2, v2, v26
	s_waitcnt lgkmcnt(10)
	s_delay_alu instid0(VALU_DEP_1) | instskip(SKIP_2) | instid1(VALU_DEP_2)
	v_dual_add_f32 v3, v3, v29 :: v_dual_mul_f32 v26, v100, v104
	s_waitcnt lgkmcnt(6)
	v_mul_f32_e32 v29, v115, v120
	v_dual_add_f32 v3, v3, v74 :: v_dual_add_f32 v2, v2, v31
	v_mul_f32_e32 v31, v99, v104
	v_fma_f32 v26, v99, v103, -v26
	s_delay_alu instid0(VALU_DEP_3) | instskip(NEXT) | instid1(VALU_DEP_1)
	v_dual_fmac_f32 v29, v116, v119 :: v_dual_add_f32 v2, v2, v32
	v_dual_fmac_f32 v31, v100, v103 :: v_dual_add_f32 v2, v2, v33
	v_dual_mul_f32 v33, v101, v106 :: v_dual_fmac_f32 v78, v84, v87
	s_delay_alu instid0(VALU_DEP_1) | instskip(NEXT) | instid1(VALU_DEP_2)
	v_fmac_f32_e32 v33, v102, v105
	v_add_f32_e32 v3, v3, v78
	s_delay_alu instid0(VALU_DEP_1) | instskip(NEXT) | instid1(VALU_DEP_1)
	v_dual_mul_f32 v32, v102, v106 :: v_dual_add_f32 v3, v3, v27
	v_dual_add_f32 v3, v3, v23 :: v_dual_add_f32 v2, v2, v34
	v_mul_f32_e32 v34, v112, v108
	s_waitcnt lgkmcnt(4)
	v_mul_f32_e32 v23, v127, v124
	s_delay_alu instid0(VALU_DEP_3) | instskip(SKIP_1) | instid1(VALU_DEP_3)
	v_dual_add_f32 v3, v3, v24 :: v_dual_add_f32 v2, v2, v35
	v_mul_f32_e32 v35, v111, v108
	v_fmac_f32_e32 v23, v128, v123
	s_delay_alu instid0(VALU_DEP_3) | instskip(NEXT) | instid1(VALU_DEP_3)
	v_dual_add_f32 v3, v3, v31 :: v_dual_add_f32 v2, v2, v36
	v_dual_mul_f32 v36, v114, v110 :: v_dual_fmac_f32 v35, v112, v107
	s_delay_alu instid0(VALU_DEP_2) | instskip(NEXT) | instid1(VALU_DEP_3)
	v_add_f32_e32 v3, v3, v33
	v_dual_add_f32 v2, v2, v37 :: v_dual_mul_f32 v37, v113, v110
	v_mul_f32_e32 v4, v116, v120
	s_delay_alu instid0(VALU_DEP_4) | instskip(NEXT) | instid1(VALU_DEP_3)
	v_fma_f32 v27, v113, v109, -v36
	v_dual_add_f32 v3, v3, v35 :: v_dual_add_f32 v2, v2, v28
	s_delay_alu instid0(VALU_DEP_4) | instskip(SKIP_2) | instid1(VALU_DEP_3)
	v_fmac_f32_e32 v37, v114, v109
	v_fma_f32 v28, v83, v87, -v76
	v_fma_f32 v4, v115, v119, -v4
	v_dual_add_f32 v2, v2, v30 :: v_dual_add_f32 v3, v3, v37
	v_fma_f32 v30, v85, v89, -v88
	s_delay_alu instid0(VALU_DEP_2) | instskip(SKIP_1) | instid1(VALU_DEP_2)
	v_dual_add_f32 v3, v3, v29 :: v_dual_add_f32 v2, v2, v28
	v_mul_f32_e32 v28, v118, v122
	v_add_f32_e32 v2, v2, v30
	v_mul_f32_e32 v30, v117, v122
	s_delay_alu instid0(VALU_DEP_3) | instskip(NEXT) | instid1(VALU_DEP_2)
	v_fma_f32 v28, v117, v121, -v28
	v_fmac_f32_e32 v30, v118, v121
	s_delay_alu instid0(VALU_DEP_1) | instskip(NEXT) | instid1(VALU_DEP_1)
	v_add_f32_e32 v3, v3, v30
	v_dual_add_f32 v3, v3, v23 :: v_dual_add_f32 v2, v2, v5
	s_waitcnt lgkmcnt(0)
	v_dual_mul_f32 v23, v143, v140 :: v_dual_mul_f32 v24, v130, v126
	s_delay_alu instid0(VALU_DEP_2) | instskip(SKIP_1) | instid1(VALU_DEP_3)
	v_dual_mul_f32 v5, v128, v124 :: v_dual_add_f32 v2, v2, v25
	v_fma_f32 v25, v101, v105, -v32
	v_fmac_f32_e32 v23, v144, v139
	s_delay_alu instid0(VALU_DEP_3) | instskip(SKIP_3) | instid1(VALU_DEP_2)
	v_fma_f32 v5, v127, v123, -v5
	v_fma_f32 v24, v129, v125, -v24
	v_add_f32_e32 v2, v2, v26
	v_fma_f32 v26, v111, v107, -v34
	v_dual_add_f32 v2, v2, v25 :: v_dual_mul_f32 v25, v129, v126
	s_delay_alu instid0(VALU_DEP_1) | instskip(NEXT) | instid1(VALU_DEP_2)
	v_add_f32_e32 v2, v2, v26
	v_dual_mul_f32 v26, v132, v136 :: v_dual_fmac_f32 v25, v130, v125
	s_delay_alu instid0(VALU_DEP_2) | instskip(NEXT) | instid1(VALU_DEP_2)
	v_dual_add_f32 v2, v2, v27 :: v_dual_mul_f32 v27, v131, v136
	v_fma_f32 v26, v131, v135, -v26
	s_delay_alu instid0(VALU_DEP_2) | instskip(NEXT) | instid1(VALU_DEP_3)
	v_dual_add_f32 v3, v3, v25 :: v_dual_add_f32 v2, v2, v4
	v_dual_mul_f32 v4, v134, v138 :: v_dual_fmac_f32 v27, v132, v135
	s_delay_alu instid0(VALU_DEP_2) | instskip(SKIP_1) | instid1(VALU_DEP_3)
	v_add_f32_e32 v2, v2, v28
	v_mul_f32_e32 v28, v133, v138
	v_fma_f32 v4, v133, v137, -v4
	s_delay_alu instid0(VALU_DEP_3) | instskip(NEXT) | instid1(VALU_DEP_3)
	v_dual_add_f32 v3, v3, v27 :: v_dual_add_f32 v2, v2, v5
	v_dual_mul_f32 v5, v144, v140 :: v_dual_fmac_f32 v28, v134, v137
	s_delay_alu instid0(VALU_DEP_2) | instskip(SKIP_1) | instid1(VALU_DEP_3)
	v_add_f32_e32 v2, v2, v24
	v_mul_f32_e32 v24, v146, v142
	v_fma_f32 v5, v143, v139, -v5
	s_delay_alu instid0(VALU_DEP_3) | instskip(NEXT) | instid1(VALU_DEP_3)
	v_dual_add_f32 v3, v3, v28 :: v_dual_add_f32 v2, v2, v26
	v_fma_f32 v24, v145, v141, -v24
	s_delay_alu instid0(VALU_DEP_2) | instskip(SKIP_1) | instid1(VALU_DEP_2)
	v_dual_add_f32 v3, v3, v23 :: v_dual_add_f32 v2, v2, v4
	v_mul_f32_e32 v4, v145, v142
	v_add_f32_e32 v2, v2, v5
	s_delay_alu instid0(VALU_DEP_2) | instskip(NEXT) | instid1(VALU_DEP_2)
	v_fmac_f32_e32 v4, v146, v141
	v_add_f32_e32 v2, v2, v24
	s_delay_alu instid0(VALU_DEP_1) | instskip(SKIP_1) | instid1(VALU_DEP_2)
	v_dual_add_f32 v3, v3, v4 :: v_dual_mul_f32 v4, s16, v2
	v_mul_f32_e32 v2, s17, v2
	v_fmac_f32_e32 v4, s17, v3
	s_delay_alu instid0(VALU_DEP_2) | instskip(SKIP_1) | instid1(VALU_DEP_1)
	v_fma_f32 v3, s16, v3, -v2
	s_waitcnt vmcnt(0)
	v_dual_add_f32 v3, v148, v3 :: v_dual_add_f32 v2, v147, v4
	global_store_b64 v[0:1], v[2:3], off
	s_branch .LBB1938_4
.LBB1938_17:
	s_endpgm
	.section	.rodata,"a",@progbits
	.p2align	6, 0x0
	.amdhsa_kernel _ZL26rocblas_syr2k_her2k_kernelIiLb1ELb1ELb0ELi32EPK19rocblas_complex_numIfEPKS3_PKPS1_EvbiT_T4_T5_S9_lSB_S9_lT6_S9_li
		.amdhsa_group_segment_fixed_size 16384
		.amdhsa_private_segment_fixed_size 0
		.amdhsa_kernarg_size 100
		.amdhsa_user_sgpr_count 13
		.amdhsa_user_sgpr_dispatch_ptr 0
		.amdhsa_user_sgpr_queue_ptr 0
		.amdhsa_user_sgpr_kernarg_segment_ptr 1
		.amdhsa_user_sgpr_dispatch_id 0
		.amdhsa_user_sgpr_private_segment_size 0
		.amdhsa_wavefront_size32 1
		.amdhsa_uses_dynamic_stack 0
		.amdhsa_enable_private_segment 0
		.amdhsa_system_sgpr_workgroup_id_x 1
		.amdhsa_system_sgpr_workgroup_id_y 1
		.amdhsa_system_sgpr_workgroup_id_z 1
		.amdhsa_system_sgpr_workgroup_info 0
		.amdhsa_system_vgpr_workitem_id 1
		.amdhsa_next_free_vgpr 163
		.amdhsa_next_free_sgpr 27
		.amdhsa_reserve_vcc 1
		.amdhsa_float_round_mode_32 0
		.amdhsa_float_round_mode_16_64 0
		.amdhsa_float_denorm_mode_32 3
		.amdhsa_float_denorm_mode_16_64 3
		.amdhsa_dx10_clamp 1
		.amdhsa_ieee_mode 1
		.amdhsa_fp16_overflow 0
		.amdhsa_workgroup_processor_mode 1
		.amdhsa_memory_ordered 1
		.amdhsa_forward_progress 0
		.amdhsa_shared_vgpr_count 0
		.amdhsa_exception_fp_ieee_invalid_op 0
		.amdhsa_exception_fp_denorm_src 0
		.amdhsa_exception_fp_ieee_div_zero 0
		.amdhsa_exception_fp_ieee_overflow 0
		.amdhsa_exception_fp_ieee_underflow 0
		.amdhsa_exception_fp_ieee_inexact 0
		.amdhsa_exception_int_div_zero 0
	.end_amdhsa_kernel
	.section	.text._ZL26rocblas_syr2k_her2k_kernelIiLb1ELb1ELb0ELi32EPK19rocblas_complex_numIfEPKS3_PKPS1_EvbiT_T4_T5_S9_lSB_S9_lT6_S9_li,"axG",@progbits,_ZL26rocblas_syr2k_her2k_kernelIiLb1ELb1ELb0ELi32EPK19rocblas_complex_numIfEPKS3_PKPS1_EvbiT_T4_T5_S9_lSB_S9_lT6_S9_li,comdat
.Lfunc_end1938:
	.size	_ZL26rocblas_syr2k_her2k_kernelIiLb1ELb1ELb0ELi32EPK19rocblas_complex_numIfEPKS3_PKPS1_EvbiT_T4_T5_S9_lSB_S9_lT6_S9_li, .Lfunc_end1938-_ZL26rocblas_syr2k_her2k_kernelIiLb1ELb1ELb0ELi32EPK19rocblas_complex_numIfEPKS3_PKPS1_EvbiT_T4_T5_S9_lSB_S9_lT6_S9_li
                                        ; -- End function
	.section	.AMDGPU.csdata,"",@progbits
; Kernel info:
; codeLenInByte = 3788
; NumSgprs: 29
; NumVgprs: 163
; ScratchSize: 0
; MemoryBound: 0
; FloatMode: 240
; IeeeMode: 1
; LDSByteSize: 16384 bytes/workgroup (compile time only)
; SGPRBlocks: 3
; VGPRBlocks: 20
; NumSGPRsForWavesPerEU: 29
; NumVGPRsForWavesPerEU: 163
; Occupancy: 9
; WaveLimiterHint : 1
; COMPUTE_PGM_RSRC2:SCRATCH_EN: 0
; COMPUTE_PGM_RSRC2:USER_SGPR: 13
; COMPUTE_PGM_RSRC2:TRAP_HANDLER: 0
; COMPUTE_PGM_RSRC2:TGID_X_EN: 1
; COMPUTE_PGM_RSRC2:TGID_Y_EN: 1
; COMPUTE_PGM_RSRC2:TGID_Z_EN: 1
; COMPUTE_PGM_RSRC2:TIDIG_COMP_CNT: 1
	.section	.text._ZL26rocblas_syr2k_her2k_kernelIiLb1ELb1ELb1ELi32EPK19rocblas_complex_numIfEPKS3_PKPS1_EvbiT_T4_T5_S9_lSB_S9_lT6_S9_li,"axG",@progbits,_ZL26rocblas_syr2k_her2k_kernelIiLb1ELb1ELb1ELi32EPK19rocblas_complex_numIfEPKS3_PKPS1_EvbiT_T4_T5_S9_lSB_S9_lT6_S9_li,comdat
	.globl	_ZL26rocblas_syr2k_her2k_kernelIiLb1ELb1ELb1ELi32EPK19rocblas_complex_numIfEPKS3_PKPS1_EvbiT_T4_T5_S9_lSB_S9_lT6_S9_li ; -- Begin function _ZL26rocblas_syr2k_her2k_kernelIiLb1ELb1ELb1ELi32EPK19rocblas_complex_numIfEPKS3_PKPS1_EvbiT_T4_T5_S9_lSB_S9_lT6_S9_li
	.p2align	8
	.type	_ZL26rocblas_syr2k_her2k_kernelIiLb1ELb1ELb1ELi32EPK19rocblas_complex_numIfEPKS3_PKPS1_EvbiT_T4_T5_S9_lSB_S9_lT6_S9_li,@function
_ZL26rocblas_syr2k_her2k_kernelIiLb1ELb1ELb1ELi32EPK19rocblas_complex_numIfEPKS3_PKPS1_EvbiT_T4_T5_S9_lSB_S9_lT6_S9_li: ; @_ZL26rocblas_syr2k_her2k_kernelIiLb1ELb1ELb1ELi32EPK19rocblas_complex_numIfEPKS3_PKPS1_EvbiT_T4_T5_S9_lSB_S9_lT6_S9_li
; %bb.0:
	s_load_b128 s[16:19], s[0:1], 0x10
	s_waitcnt lgkmcnt(0)
	s_load_b64 s[16:17], s[16:17], 0x0
	s_waitcnt lgkmcnt(0)
	v_cmp_eq_f32_e64 s3, s16, 0
	v_cmp_eq_f32_e64 s4, s17, 0
	s_delay_alu instid0(VALU_DEP_1) | instskip(NEXT) | instid1(SALU_CYCLE_1)
	s_and_b32 s3, s3, s4
	s_and_b32 vcc_lo, exec_lo, s3
	s_cbranch_vccnz .LBB1939_17
; %bb.1:
	s_load_b128 s[4:7], s[0:1], 0x0
	s_waitcnt lgkmcnt(0)
	s_lshl_b32 s7, s14, 5
	s_and_b32 s3, 1, s4
	s_lshl_b32 s4, s13, 5
	s_cmp_eq_u32 s3, 1
	s_cselect_b32 vcc_lo, -1, 0
	s_delay_alu instid0(SALU_CYCLE_1) | instskip(SKIP_2) | instid1(SALU_CYCLE_1)
	s_and_b32 s3, vcc_lo, exec_lo
	s_cselect_b32 s3, s4, s7
	s_cselect_b32 s8, s7, s4
	s_cmp_gt_i32 s3, s8
	s_cbranch_scc1 .LBB1939_17
; %bb.2:
	s_cmp_lt_i32 s6, 1
	s_cbranch_scc1 .LBB1939_17
; %bb.3:
	s_mov_b32 s2, s15
	s_clause 0x4
	s_load_b128 s[12:15], s[0:1], 0x28
	s_load_b32 s24, s[0:1], 0x20
	s_load_b32 s25, s[0:1], 0x38
	s_load_b128 s[8:11], s[0:1], 0x40
	s_load_b32 s26, s[0:1], 0x50
	s_mov_b32 s3, 0
	s_load_b64 s[22:23], s[0:1], 0x58
	s_lshl_b64 s[20:21], s[2:3], 3
	v_and_b32_e32 v9, 0x3ff, v0
	s_add_u32 s0, s18, s20
	s_addc_u32 s1, s19, s21
	v_bfe_u32 v10, v0, 10, 10
	s_load_b64 s[18:19], s[0:1], 0x0
	v_add_nc_u32_e32 v0, s4, v9
	v_lshlrev_b32_e32 v11, 8, v9
	s_delay_alu instid0(VALU_DEP_3) | instskip(SKIP_1) | instid1(VALU_DEP_4)
	v_add_nc_u32_e32 v8, s7, v10
	v_lshlrev_b32_e32 v6, 3, v10
	v_ashrrev_i32_e32 v1, 31, v0
	s_waitcnt lgkmcnt(0)
	s_add_u32 s0, s14, s20
	v_cndmask_b32_e32 v7, v0, v8, vcc_lo
	s_addc_u32 s1, s15, s21
	v_mad_i64_i32 v[2:3], null, s24, v0, 0
	s_load_b64 s[14:15], s[0:1], 0x0
	s_add_u32 s0, s10, s20
	s_addc_u32 s1, s11, s21
	v_mad_i64_i32 v[4:5], null, s25, v8, 0
	s_load_b64 s[10:11], s[0:1], 0x0
	s_delay_alu instid0(VALU_DEP_2) | instskip(SKIP_4) | instid1(VALU_DEP_2)
	v_lshlrev_b64 v[2:3], 3, v[2:3]
	s_lshl_b64 s[12:13], s[12:13], 3
	v_dual_cndmask_b32 v19, v8, v0 :: v_dual_add_nc_u32 v12, v11, v6
	s_add_u32 s7, s18, s12
	s_addc_u32 s12, s19, s13
	v_add_co_u32 v13, s1, s7, v2
	v_lshlrev_b64 v[4:5], 3, v[4:5]
	v_add_co_ci_u32_e64 v14, s1, s12, v3, s1
	v_mad_i64_i32 v[2:3], null, s26, v8, 0
	v_cmp_gt_i32_e32 vcc_lo, s5, v0
	v_cmp_gt_i32_e64 s0, s5, v8
	s_lshl_b64 s[4:5], s[8:9], 3
	v_or_b32_e32 v15, 0x2000, v6
	s_waitcnt lgkmcnt(0)
	s_add_u32 s8, s14, s4
	s_addc_u32 s9, s15, s5
	v_add_co_u32 v16, s1, s8, v4
	s_delay_alu instid0(VALU_DEP_1)
	v_add_co_ci_u32_e64 v17, s1, s9, v5, s1
	v_lshlrev_b64 v[2:3], 3, v[2:3]
	v_mad_i64_i32 v[4:5], null, s25, v0, 0
	s_lshl_b64 s[4:5], s[22:23], 3
	v_cmp_le_i32_e64 s1, v19, v7
	v_mad_i64_i32 v[6:7], null, s24, v8, 0
	s_add_u32 s2, s10, s4
	v_lshlrev_b64 v[0:1], 3, v[0:1]
	s_addc_u32 s4, s11, s5
	v_add_co_u32 v8, s2, s2, v2
	s_delay_alu instid0(VALU_DEP_1) | instskip(SKIP_1) | instid1(VALU_DEP_3)
	v_add_co_ci_u32_e64 v19, s2, s4, v3, s2
	v_lshlrev_b64 v[2:3], 3, v[4:5]
	v_add_co_u32 v0, s2, v8, v0
	v_lshlrev_b64 v[4:5], 3, v[6:7]
	s_delay_alu instid0(VALU_DEP_4) | instskip(NEXT) | instid1(VALU_DEP_4)
	v_add_co_ci_u32_e64 v1, s2, v19, v1, s2
	v_add_co_u32 v19, s2, s8, v2
	s_delay_alu instid0(VALU_DEP_1) | instskip(NEXT) | instid1(VALU_DEP_4)
	v_add_co_ci_u32_e64 v20, s2, s9, v3, s2
	v_add_co_u32 v21, s2, s7, v4
	v_add_nc_u32_e32 v18, v15, v11
	v_add_co_ci_u32_e64 v22, s2, s12, v5, s2
	v_add_nc_u32_e32 v23, 0x800, v15
	v_add_nc_u32_e32 v24, 0x1000, v15
	;; [unrolled: 1-line block ×3, first 2 shown]
	s_and_b32 s2, s0, vcc_lo
	s_delay_alu instid0(SALU_CYCLE_1)
	s_and_b32 s2, s2, s1
	s_branch .LBB1939_5
.LBB1939_4:                             ;   in Loop: Header=BB1939_5 Depth=1
	s_or_b32 exec_lo, exec_lo, s1
	s_add_i32 s3, s3, 32
	s_waitcnt_vscnt null, 0x0
	s_cmp_lt_i32 s3, s6
	s_barrier
	buffer_gl0_inv
	s_cbranch_scc0 .LBB1939_17
.LBB1939_5:                             ; =>This Inner Loop Header: Depth=1
	v_dual_mov_b32 v5, 0 :: v_dual_add_nc_u32 v2, s3, v10
	v_dual_mov_b32 v7, 0 :: v_dual_mov_b32 v8, 0
	s_delay_alu instid0(VALU_DEP_2) | instskip(NEXT) | instid1(VALU_DEP_1)
	v_cmp_gt_i32_e64 s1, s6, v2
	s_and_b32 s4, vcc_lo, s1
	s_delay_alu instid0(SALU_CYCLE_1)
	s_and_saveexec_b32 s5, s4
	s_cbranch_execz .LBB1939_7
; %bb.6:                                ;   in Loop: Header=BB1939_5 Depth=1
	v_ashrrev_i32_e32 v3, 31, v2
	s_delay_alu instid0(VALU_DEP_1) | instskip(NEXT) | instid1(VALU_DEP_1)
	v_lshlrev_b64 v[3:4], 3, v[2:3]
	v_add_co_u32 v3, s1, v13, v3
	s_delay_alu instid0(VALU_DEP_1)
	v_add_co_ci_u32_e64 v4, s1, v14, v4, s1
	global_load_b64 v[7:8], v[3:4], off
	s_waitcnt vmcnt(0)
	v_xor_b32_e32 v8, 0x80000000, v8
.LBB1939_7:                             ;   in Loop: Header=BB1939_5 Depth=1
	s_or_b32 exec_lo, exec_lo, s5
	v_add_nc_u32_e32 v4, s3, v9
	v_mov_b32_e32 v6, 0
	ds_store_b64 v12, v[7:8]
	v_cmp_gt_i32_e64 s1, s6, v4
	s_delay_alu instid0(VALU_DEP_1) | instskip(NEXT) | instid1(SALU_CYCLE_1)
	s_and_b32 s5, s0, s1
	s_and_saveexec_b32 s7, s5
	s_cbranch_execz .LBB1939_9
; %bb.8:                                ;   in Loop: Header=BB1939_5 Depth=1
	v_ashrrev_i32_e32 v5, 31, v4
	s_delay_alu instid0(VALU_DEP_1) | instskip(NEXT) | instid1(VALU_DEP_1)
	v_lshlrev_b64 v[5:6], 3, v[4:5]
	v_add_co_u32 v5, s1, v16, v5
	s_delay_alu instid0(VALU_DEP_1)
	v_add_co_ci_u32_e64 v6, s1, v17, v6, s1
	global_load_b64 v[5:6], v[5:6], off
.LBB1939_9:                             ;   in Loop: Header=BB1939_5 Depth=1
	s_or_b32 exec_lo, exec_lo, s7
	s_waitcnt vmcnt(0)
	ds_store_b64 v18, v[5:6]
	s_waitcnt lgkmcnt(0)
	s_barrier
	buffer_gl0_inv
	s_and_saveexec_b32 s1, s2
	s_cbranch_execz .LBB1939_11
; %bb.10:                               ;   in Loop: Header=BB1939_5 Depth=1
	global_load_b64 v[146:147], v[0:1], off
	ds_load_2addr_b64 v[5:8], v15 offset1:32
	ds_load_b128 v[26:29], v11
	ds_load_b128 v[30:33], v11 offset:16
	ds_load_b128 v[34:37], v11 offset:32
	;; [unrolled: 1-line block ×3, first 2 shown]
	ds_load_2addr_b64 v[42:45], v15 offset0:64 offset1:96
	ds_load_2addr_b64 v[46:49], v15 offset0:128 offset1:160
	;; [unrolled: 1-line block ×3, first 2 shown]
	ds_load_2addr_b64 v[54:57], v23 offset1:32
	ds_load_b128 v[58:61], v11 offset:64
	ds_load_b128 v[62:65], v11 offset:80
	ds_load_2addr_b64 v[66:69], v23 offset0:64 offset1:96
	ds_load_2addr_b64 v[70:73], v23 offset0:128 offset1:160
	ds_load_b128 v[74:77], v11 offset:96
	ds_load_b128 v[78:81], v11 offset:112
	ds_load_2addr_b64 v[82:85], v23 offset0:192 offset1:224
	ds_load_2addr_b64 v[86:89], v24 offset1:32
	ds_load_b128 v[90:93], v11 offset:128
	ds_load_b128 v[94:97], v11 offset:144
	ds_load_2addr_b64 v[98:101], v24 offset0:64 offset1:96
	ds_load_2addr_b64 v[102:105], v24 offset0:128 offset1:160
	ds_load_b128 v[106:109], v11 offset:160
	ds_load_b128 v[110:113], v11 offset:176
	ds_load_2addr_b64 v[114:117], v24 offset0:192 offset1:224
	ds_load_2addr_b64 v[118:121], v25 offset1:32
	ds_load_b128 v[122:125], v11 offset:192
	ds_load_b128 v[126:129], v11 offset:208
	ds_load_2addr_b64 v[130:133], v25 offset0:64 offset1:96
	ds_load_2addr_b64 v[134:137], v25 offset0:128 offset1:160
	s_waitcnt lgkmcnt(27)
	v_dual_mul_f32 v3, v6, v27 :: v_dual_mul_f32 v148, v8, v29
	v_mul_f32_e32 v27, v5, v27
	v_mul_f32_e32 v29, v7, v29
	s_waitcnt lgkmcnt(22)
	v_mul_f32_e32 v149, v47, v35
	v_fma_f32 v3, v5, v26, -v3
	v_mul_f32_e32 v35, v46, v35
	v_fmac_f32_e32 v27, v6, v26
	v_fma_f32 v26, v7, v28, -v148
	v_dual_fmac_f32 v29, v8, v28 :: v_dual_mul_f32 v148, v45, v33
	v_mul_f32_e32 v28, v43, v31
	v_dual_mul_f32 v31, v42, v31 :: v_dual_mul_f32 v150, v49, v37
	v_mul_f32_e32 v33, v44, v33
	v_fmac_f32_e32 v35, v47, v34
	s_delay_alu instid0(VALU_DEP_4) | instskip(NEXT) | instid1(VALU_DEP_4)
	v_fma_f32 v28, v42, v30, -v28
	v_fmac_f32_e32 v31, v43, v30
	v_fma_f32 v30, v44, v32, -v148
	v_dual_fmac_f32 v33, v45, v32 :: v_dual_mul_f32 v32, v48, v37
	s_waitcnt lgkmcnt(21)
	v_mul_f32_e32 v42, v53, v41
	v_fma_f32 v46, v46, v34, -v149
	v_fma_f32 v34, v48, v36, -v150
	v_dual_mul_f32 v37, v51, v39 :: v_dual_fmac_f32 v32, v49, v36
	s_waitcnt lgkmcnt(19)
	v_dual_mul_f32 v36, v56, v61 :: v_dual_add_f32 v3, 0, v3
	v_mul_f32_e32 v39, v50, v39
	v_add_f32_e32 v27, 0, v27
	s_delay_alu instid0(VALU_DEP_3) | instskip(NEXT) | instid1(VALU_DEP_4)
	v_dual_mul_f32 v43, v55, v59 :: v_dual_fmac_f32 v36, v57, v60
	v_dual_add_f32 v3, v3, v26 :: v_dual_mul_f32 v44, v54, v59
	s_waitcnt lgkmcnt(17)
	v_dual_mul_f32 v48, v66, v63 :: v_dual_mul_f32 v49, v69, v65
	v_mul_f32_e32 v59, v68, v65
	s_waitcnt lgkmcnt(15)
	v_dual_add_f32 v3, v3, v28 :: v_dual_mul_f32 v26, v73, v77
	v_fma_f32 v37, v50, v38, -v37
	v_fmac_f32_e32 v39, v51, v38
	v_fma_f32 v38, v52, v40, -v42
	s_waitcnt lgkmcnt(11)
	v_dual_add_f32 v3, v3, v30 :: v_dual_mul_f32 v42, v88, v93
	v_dual_mul_f32 v28, v82, v79 :: v_dual_mul_f32 v41, v52, v41
	v_mul_f32_e32 v30, v87, v91
	s_waitcnt lgkmcnt(9)
	s_delay_alu instid0(VALU_DEP_3) | instskip(SKIP_2) | instid1(VALU_DEP_3)
	v_dual_add_f32 v3, v3, v46 :: v_dual_mul_f32 v46, v98, v95
	v_dual_mul_f32 v65, v84, v81 :: v_dual_fmac_f32 v42, v89, v92
	v_mul_f32_e32 v45, v57, v61
	v_dual_add_f32 v3, v3, v34 :: v_dual_mul_f32 v34, v100, v97
	v_add_f32_e32 v27, v27, v29
	s_delay_alu instid0(VALU_DEP_4) | instskip(SKIP_1) | instid1(VALU_DEP_3)
	v_dual_fmac_f32 v46, v99, v94 :: v_dual_fmac_f32 v65, v85, v80
	v_fmac_f32_e32 v41, v53, v40
	v_dual_fmac_f32 v34, v101, v96 :: v_dual_add_f32 v27, v27, v31
	v_add_f32_e32 v3, v3, v37
	v_fmac_f32_e32 v44, v55, v58
	v_dual_mul_f32 v47, v67, v63 :: v_dual_mul_f32 v50, v101, v97
	s_delay_alu instid0(VALU_DEP_4) | instskip(NEXT) | instid1(VALU_DEP_4)
	v_add_f32_e32 v27, v27, v33
	v_add_f32_e32 v3, v3, v38
	ds_load_b128 v[138:141], v11 offset:224
	ds_load_b128 v[142:145], v11 offset:240
	ds_load_2addr_b64 v[5:8], v25 offset0:192 offset1:224
	v_fmac_f32_e32 v48, v67, v62
	v_add_f32_e32 v27, v27, v35
	s_waitcnt lgkmcnt(10)
	v_dual_mul_f32 v29, v71, v75 :: v_dual_mul_f32 v38, v105, v109
	v_mul_f32_e32 v61, v70, v75
	v_fmac_f32_e32 v59, v69, v64
	v_add_f32_e32 v27, v27, v32
	v_dual_mul_f32 v32, v99, v95 :: v_dual_mul_f32 v31, v72, v77
	v_fmac_f32_e32 v28, v83, v78
	v_fma_f32 v29, v70, v74, -v29
	s_delay_alu instid0(VALU_DEP_4)
	v_add_f32_e32 v27, v27, v39
	v_mul_f32_e32 v63, v83, v79
	v_fmac_f32_e32 v31, v73, v76
	v_fma_f32 v26, v72, v76, -v26
	v_mul_f32_e32 v40, v89, v93
	v_add_f32_e32 v27, v27, v41
	v_fma_f32 v41, v54, v58, -v43
	v_fma_f32 v43, v56, v60, -v45
	;; [unrolled: 1-line block ×4, first 2 shown]
	v_add_f32_e32 v27, v27, v44
	v_add_f32_e32 v3, v3, v41
	v_fma_f32 v41, v66, v62, -v47
	v_fma_f32 v44, v68, v64, -v49
	s_delay_alu instid0(VALU_DEP_4) | instskip(NEXT) | instid1(VALU_DEP_4)
	v_add_f32_e32 v27, v27, v36
	v_dual_add_f32 v3, v3, v43 :: v_dual_mul_f32 v36, v104, v109
	v_fmac_f32_e32 v61, v71, v74
	v_mul_f32_e32 v35, v86, v91
	s_delay_alu instid0(VALU_DEP_4) | instskip(NEXT) | instid1(VALU_DEP_4)
	v_add_f32_e32 v27, v27, v48
	v_dual_add_f32 v3, v3, v41 :: v_dual_fmac_f32 v36, v105, v108
	s_waitcnt lgkmcnt(8)
	v_mul_f32_e32 v41, v114, v111
	v_fmac_f32_e32 v35, v87, v90
	v_add_f32_e32 v27, v27, v59
	v_dual_add_f32 v3, v3, v44 :: v_dual_mul_f32 v44, v117, v113
	s_delay_alu instid0(VALU_DEP_4) | instskip(NEXT) | instid1(VALU_DEP_3)
	v_fmac_f32_e32 v41, v115, v110
	v_add_f32_e32 v27, v27, v61
	s_delay_alu instid0(VALU_DEP_3) | instskip(SKIP_1) | instid1(VALU_DEP_3)
	v_add_f32_e32 v3, v3, v29
	v_mul_f32_e32 v29, v116, v113
	v_add_f32_e32 v27, v27, v31
	v_mul_f32_e32 v33, v85, v81
	v_fma_f32 v31, v82, v78, -v63
	v_add_f32_e32 v3, v3, v26
	v_fmac_f32_e32 v29, v117, v112
	v_add_f32_e32 v26, v27, v28
	v_fma_f32 v28, v84, v80, -v33
	v_fma_f32 v33, v88, v92, -v40
	v_add_f32_e32 v3, v3, v31
	s_waitcnt lgkmcnt(6)
	v_mul_f32_e32 v31, v118, v123
	v_dual_add_f32 v26, v26, v65 :: v_dual_mul_f32 v27, v119, v123
	s_delay_alu instid0(VALU_DEP_3) | instskip(NEXT) | instid1(VALU_DEP_2)
	v_add_f32_e32 v3, v3, v28
	v_dual_fmac_f32 v31, v119, v122 :: v_dual_add_f32 v26, v26, v35
	v_fma_f32 v35, v100, v96, -v50
	s_delay_alu instid0(VALU_DEP_3) | instskip(SKIP_1) | instid1(VALU_DEP_4)
	v_dual_mul_f32 v28, v121, v125 :: v_dual_add_f32 v3, v3, v30
	v_mul_f32_e32 v30, v120, v125
	v_add_f32_e32 v26, v26, v42
	v_fma_f32 v27, v118, v122, -v27
	s_delay_alu instid0(VALU_DEP_4) | instskip(NEXT) | instid1(VALU_DEP_4)
	v_fma_f32 v28, v120, v124, -v28
	v_dual_add_f32 v3, v3, v33 :: v_dual_fmac_f32 v30, v121, v124
	s_waitcnt lgkmcnt(4)
	v_dual_add_f32 v26, v26, v46 :: v_dual_mul_f32 v33, v131, v127
	s_delay_alu instid0(VALU_DEP_2) | instskip(SKIP_1) | instid1(VALU_DEP_2)
	v_dual_add_f32 v3, v3, v32 :: v_dual_mul_f32 v32, v130, v127
	v_mul_f32_e32 v37, v102, v107
	v_dual_add_f32 v26, v26, v34 :: v_dual_add_f32 v3, v3, v35
	s_delay_alu instid0(VALU_DEP_3) | instskip(NEXT) | instid1(VALU_DEP_3)
	v_fmac_f32_e32 v32, v131, v126
	v_fmac_f32_e32 v37, v103, v106
	v_mul_f32_e32 v35, v133, v129
	s_delay_alu instid0(VALU_DEP_2) | instskip(SKIP_2) | instid1(VALU_DEP_3)
	v_add_f32_e32 v26, v26, v37
	v_fma_f32 v37, v104, v108, -v38
	v_fma_f32 v38, v116, v112, -v44
	v_dual_add_f32 v26, v26, v36 :: v_dual_mul_f32 v39, v103, v107
	s_delay_alu instid0(VALU_DEP_1) | instskip(NEXT) | instid1(VALU_DEP_2)
	v_add_f32_e32 v26, v26, v41
	v_fma_f32 v34, v102, v106, -v39
	s_delay_alu instid0(VALU_DEP_1) | instskip(SKIP_2) | instid1(VALU_DEP_2)
	v_dual_add_f32 v26, v26, v29 :: v_dual_add_f32 v3, v3, v34
	s_waitcnt lgkmcnt(2)
	v_dual_mul_f32 v34, v132, v129 :: v_dual_mul_f32 v29, v134, v139
	v_dual_add_f32 v26, v26, v31 :: v_dual_add_f32 v3, v3, v37
	s_delay_alu instid0(VALU_DEP_2) | instskip(NEXT) | instid1(VALU_DEP_2)
	v_dual_fmac_f32 v34, v133, v128 :: v_dual_fmac_f32 v29, v135, v138
	v_dual_mul_f32 v37, v135, v139 :: v_dual_add_f32 v26, v26, v30
	v_fma_f32 v30, v130, v126, -v33
	v_mul_f32_e32 v31, v137, v141
	s_delay_alu instid0(VALU_DEP_3) | instskip(NEXT) | instid1(VALU_DEP_4)
	v_fma_f32 v33, v134, v138, -v37
	v_add_f32_e32 v26, v26, v32
	v_fma_f32 v32, v132, v128, -v35
	s_delay_alu instid0(VALU_DEP_4) | instskip(NEXT) | instid1(VALU_DEP_3)
	v_fma_f32 v31, v136, v140, -v31
	v_dual_add_f32 v26, v26, v34 :: v_dual_mul_f32 v43, v115, v111
	s_delay_alu instid0(VALU_DEP_1) | instskip(NEXT) | instid1(VALU_DEP_2)
	v_add_f32_e32 v26, v26, v29
	v_fma_f32 v36, v114, v110, -v43
	s_waitcnt lgkmcnt(0)
	v_mul_f32_e32 v29, v7, v145
	s_delay_alu instid0(VALU_DEP_2) | instskip(NEXT) | instid1(VALU_DEP_2)
	v_add_f32_e32 v3, v3, v36
	v_fmac_f32_e32 v29, v8, v144
	s_delay_alu instid0(VALU_DEP_2) | instskip(NEXT) | instid1(VALU_DEP_1)
	v_add_f32_e32 v3, v3, v38
	v_add_f32_e32 v3, v3, v27
	v_mul_f32_e32 v27, v136, v141
	s_delay_alu instid0(VALU_DEP_2) | instskip(NEXT) | instid1(VALU_DEP_2)
	v_add_f32_e32 v3, v3, v28
	v_dual_fmac_f32 v27, v137, v140 :: v_dual_mul_f32 v28, v6, v143
	s_delay_alu instid0(VALU_DEP_2) | instskip(NEXT) | instid1(VALU_DEP_2)
	v_dual_add_f32 v3, v3, v30 :: v_dual_mul_f32 v30, v5, v143
	v_fma_f32 v5, v5, v142, -v28
	s_delay_alu instid0(VALU_DEP_2) | instskip(NEXT) | instid1(VALU_DEP_4)
	v_dual_add_f32 v3, v3, v32 :: v_dual_fmac_f32 v30, v6, v142
	v_add_f32_e32 v6, v26, v27
	v_mul_f32_e32 v26, v8, v145
	s_delay_alu instid0(VALU_DEP_2) | instskip(NEXT) | instid1(VALU_DEP_2)
	v_dual_add_f32 v3, v3, v33 :: v_dual_add_f32 v6, v6, v30
	v_fma_f32 v7, v7, v144, -v26
	s_delay_alu instid0(VALU_DEP_2) | instskip(NEXT) | instid1(VALU_DEP_1)
	v_add_f32_e32 v3, v3, v31
	v_add_f32_e32 v3, v3, v5
	s_delay_alu instid0(VALU_DEP_4) | instskip(NEXT) | instid1(VALU_DEP_1)
	v_add_f32_e32 v5, v6, v29
	v_dual_add_f32 v3, v3, v7 :: v_dual_mul_f32 v6, s17, v5
	v_mul_f32_e32 v7, s16, v5
	s_delay_alu instid0(VALU_DEP_2) | instskip(NEXT) | instid1(VALU_DEP_2)
	v_fma_f32 v5, s16, v3, -v6
	v_fmac_f32_e32 v7, s17, v3
	s_waitcnt vmcnt(0)
	s_delay_alu instid0(VALU_DEP_1)
	v_dual_add_f32 v5, v146, v5 :: v_dual_add_f32 v6, v147, v7
	global_store_b64 v[0:1], v[5:6], off
.LBB1939_11:                            ;   in Loop: Header=BB1939_5 Depth=1
	s_or_b32 exec_lo, exec_lo, s1
	v_dual_mov_b32 v6, 0 :: v_dual_mov_b32 v7, 0
	v_mov_b32_e32 v8, 0
	s_waitcnt_vscnt null, 0x0
	s_barrier
	buffer_gl0_inv
	s_and_saveexec_b32 s7, s4
	s_cbranch_execz .LBB1939_13
; %bb.12:                               ;   in Loop: Header=BB1939_5 Depth=1
	v_ashrrev_i32_e32 v3, 31, v2
	s_delay_alu instid0(VALU_DEP_1) | instskip(NEXT) | instid1(VALU_DEP_1)
	v_lshlrev_b64 v[2:3], 3, v[2:3]
	v_add_co_u32 v2, s1, v19, v2
	s_delay_alu instid0(VALU_DEP_1)
	v_add_co_ci_u32_e64 v3, s1, v20, v3, s1
	global_load_b64 v[7:8], v[2:3], off
	s_waitcnt vmcnt(0)
	v_xor_b32_e32 v8, 0x80000000, v8
.LBB1939_13:                            ;   in Loop: Header=BB1939_5 Depth=1
	s_or_b32 exec_lo, exec_lo, s7
	v_mov_b32_e32 v5, 0
	ds_store_b64 v12, v[7:8]
	s_and_saveexec_b32 s4, s5
	s_cbranch_execz .LBB1939_15
; %bb.14:                               ;   in Loop: Header=BB1939_5 Depth=1
	v_ashrrev_i32_e32 v5, 31, v4
	s_delay_alu instid0(VALU_DEP_1) | instskip(NEXT) | instid1(VALU_DEP_1)
	v_lshlrev_b64 v[2:3], 3, v[4:5]
	v_add_co_u32 v2, s1, v21, v2
	s_delay_alu instid0(VALU_DEP_1)
	v_add_co_ci_u32_e64 v3, s1, v22, v3, s1
	global_load_b64 v[5:6], v[2:3], off
.LBB1939_15:                            ;   in Loop: Header=BB1939_5 Depth=1
	s_or_b32 exec_lo, exec_lo, s4
	s_waitcnt vmcnt(0)
	ds_store_b64 v18, v[5:6]
	s_waitcnt lgkmcnt(0)
	s_barrier
	buffer_gl0_inv
	s_and_saveexec_b32 s1, s2
	s_cbranch_execz .LBB1939_4
; %bb.16:                               ;   in Loop: Header=BB1939_5 Depth=1
	global_load_b64 v[6:7], v[0:1], off
	ds_load_b128 v[2:5], v11
	ds_load_b128 v[26:29], v11 offset:16
	ds_load_2addr_b64 v[30:33], v15 offset1:32
	ds_load_b128 v[34:37], v11 offset:32
	ds_load_b128 v[38:41], v11 offset:48
	ds_load_2addr_b64 v[42:45], v15 offset0:64 offset1:96
	ds_load_2addr_b64 v[46:49], v15 offset0:128 offset1:160
	;; [unrolled: 1-line block ×3, first 2 shown]
	ds_load_2addr_b64 v[54:57], v23 offset1:32
	ds_load_b128 v[58:61], v11 offset:64
	ds_load_b128 v[62:65], v11 offset:80
	ds_load_2addr_b64 v[66:69], v23 offset0:64 offset1:96
	ds_load_2addr_b64 v[70:73], v23 offset0:128 offset1:160
	ds_load_b128 v[74:77], v11 offset:96
	ds_load_b128 v[78:81], v11 offset:112
	ds_load_2addr_b64 v[82:85], v23 offset0:192 offset1:224
	ds_load_2addr_b64 v[86:89], v24 offset1:32
	ds_load_b128 v[90:93], v11 offset:128
	ds_load_b128 v[94:97], v11 offset:144
	ds_load_2addr_b64 v[98:101], v24 offset0:64 offset1:96
	ds_load_2addr_b64 v[102:105], v24 offset0:128 offset1:160
	ds_load_b128 v[106:109], v11 offset:160
	ds_load_b128 v[110:113], v11 offset:176
	ds_load_2addr_b64 v[114:117], v24 offset0:192 offset1:224
	;; [unrolled: 8-line block ×3, first 2 shown]
	s_waitcnt lgkmcnt(29)
	v_mul_f32_e32 v8, v31, v3
	v_dual_mul_f32 v3, v30, v3 :: v_dual_mul_f32 v150, v33, v5
	v_mul_f32_e32 v5, v32, v5
	s_waitcnt lgkmcnt(26)
	v_dual_mul_f32 v151, v43, v27 :: v_dual_mul_f32 v152, v45, v29
	v_fma_f32 v8, v30, v2, -v8
	s_waitcnt lgkmcnt(25)
	v_dual_mul_f32 v27, v42, v27 :: v_dual_mul_f32 v154, v49, v37
	v_mul_f32_e32 v37, v48, v37
	v_fmac_f32_e32 v3, v31, v2
	v_fma_f32 v2, v32, v4, -v150
	s_waitcnt lgkmcnt(20)
	v_dual_add_f32 v8, 0, v8 :: v_dual_mul_f32 v159, v67, v63
	v_fma_f32 v42, v42, v26, -v151
	s_waitcnt lgkmcnt(16)
	v_dual_mul_f32 v29, v44, v29 :: v_dual_mul_f32 v30, v83, v79
	s_delay_alu instid0(VALU_DEP_3)
	v_dual_add_f32 v2, v8, v2 :: v_dual_mul_f32 v153, v47, v35
	v_mul_f32_e32 v156, v53, v41
	v_mul_f32_e32 v41, v52, v41
	v_fmac_f32_e32 v5, v33, v4
	v_add_f32_e32 v3, 0, v3
	v_fmac_f32_e32 v27, v43, v26
	v_fma_f32 v26, v44, v28, -v152
	v_add_f32_e32 v2, v2, v42
	v_dual_mul_f32 v35, v46, v35 :: v_dual_mul_f32 v158, v57, v61
	v_mul_f32_e32 v61, v56, v61
	v_add_f32_e32 v3, v3, v5
	v_fmac_f32_e32 v29, v45, v28
	v_fma_f32 v28, v46, v34, -v153
	v_dual_add_f32 v2, v2, v26 :: v_dual_mul_f32 v155, v51, v39
	v_dual_mul_f32 v160, v69, v65 :: v_dual_mul_f32 v161, v71, v75
	v_add_f32_e32 v3, v3, v27
	v_fma_f32 v27, v48, v36, -v154
	s_delay_alu instid0(VALU_DEP_4)
	v_add_f32_e32 v2, v2, v28
	v_fma_f32 v30, v82, v78, -v30
	v_dual_mul_f32 v157, v55, v59 :: v_dual_mul_f32 v4, v72, v77
	v_add_f32_e32 v3, v3, v29
	v_fma_f32 v29, v50, v38, -v155
	v_add_f32_e32 v2, v2, v27
	v_dual_mul_f32 v59, v54, v59 :: v_dual_mul_f32 v32, v85, v81
	v_fmac_f32_e32 v35, v47, v34
	v_fma_f32 v34, v52, v40, -v156
	s_delay_alu instid0(VALU_DEP_4)
	v_add_f32_e32 v2, v2, v29
	v_mul_f32_e32 v33, v84, v81
	v_fma_f32 v32, v84, v80, -v32
	v_add_f32_e32 v3, v3, v35
	v_fma_f32 v35, v54, v58, -v157
	v_dual_add_f32 v2, v2, v34 :: v_dual_fmac_f32 v37, v49, v36
	v_fma_f32 v36, v56, v60, -v158
	v_dual_mul_f32 v39, v50, v39 :: v_dual_mul_f32 v162, v73, v77
	s_delay_alu instid0(VALU_DEP_3)
	v_add_f32_e32 v2, v2, v35
	s_waitcnt lgkmcnt(14)
	v_dual_mul_f32 v63, v66, v63 :: v_dual_mul_f32 v8, v88, v93
	v_mul_f32_e32 v77, v87, v91
	v_add_f32_e32 v3, v3, v37
	v_fma_f32 v37, v66, v62, -v159
	v_add_f32_e32 v2, v2, v36
	v_dual_fmac_f32 v8, v89, v92 :: v_dual_fmac_f32 v39, v51, v38
	v_fma_f32 v38, v68, v64, -v160
	s_delay_alu instid0(VALU_DEP_3) | instskip(SKIP_1) | instid1(VALU_DEP_4)
	v_dual_fmac_f32 v41, v53, v40 :: v_dual_add_f32 v2, v2, v37
	v_fma_f32 v40, v72, v76, -v162
	v_add_f32_e32 v3, v3, v39
	v_fma_f32 v39, v70, v74, -v161
	s_waitcnt lgkmcnt(10)
	v_dual_mul_f32 v81, v89, v93 :: v_dual_mul_f32 v34, v102, v107
	v_add_f32_e32 v2, v2, v38
	v_dual_mul_f32 v75, v70, v75 :: v_dual_mul_f32 v28, v101, v97
	s_delay_alu instid0(VALU_DEP_3) | instskip(NEXT) | instid1(VALU_DEP_3)
	v_dual_fmac_f32 v61, v57, v60 :: v_dual_fmac_f32 v34, v103, v106
	v_add_f32_e32 v2, v2, v39
	v_mul_f32_e32 v5, v99, v95
	s_delay_alu instid0(VALU_DEP_4) | instskip(SKIP_1) | instid1(VALU_DEP_4)
	v_fma_f32 v28, v100, v96, -v28
	v_dual_mul_f32 v65, v68, v65 :: v_dual_mul_f32 v26, v98, v95
	v_add_f32_e32 v2, v2, v40
	s_delay_alu instid0(VALU_DEP_4) | instskip(SKIP_2) | instid1(VALU_DEP_4)
	v_fma_f32 v5, v98, v94, -v5
	v_dual_mul_f32 v31, v82, v79 :: v_dual_mul_f32 v36, v104, v109
	v_fmac_f32_e32 v63, v67, v62
	v_add_f32_e32 v2, v2, v30
	v_fma_f32 v30, v86, v90, -v77
	s_waitcnt lgkmcnt(8)
	v_dual_fmac_f32 v65, v69, v64 :: v_dual_mul_f32 v40, v116, v113
	s_delay_alu instid0(VALU_DEP_3) | instskip(SKIP_3) | instid1(VALU_DEP_4)
	v_dual_fmac_f32 v75, v71, v74 :: v_dual_add_f32 v2, v2, v32
	v_mul_f32_e32 v27, v100, v97
	v_fma_f32 v32, v88, v92, -v81
	v_dual_mul_f32 v79, v86, v91 :: v_dual_fmac_f32 v4, v73, v76
	v_dual_add_f32 v2, v2, v30 :: v_dual_mul_f32 v29, v103, v107
	s_waitcnt lgkmcnt(6)
	v_dual_mul_f32 v30, v121, v125 :: v_dual_fmac_f32 v31, v83, v78
	v_fmac_f32_e32 v33, v85, v80
	s_delay_alu instid0(VALU_DEP_3)
	v_add_f32_e32 v2, v2, v32
	v_mul_f32_e32 v32, v120, v125
	v_fmac_f32_e32 v36, v105, v108
	v_fma_f32 v30, v120, v124, -v30
	v_dual_mul_f32 v35, v105, v109 :: v_dual_fmac_f32 v26, v99, v94
	v_dual_add_f32 v2, v2, v5 :: v_dual_fmac_f32 v59, v55, v58
	v_dual_add_f32 v3, v3, v41 :: v_dual_fmac_f32 v40, v117, v112
	s_waitcnt lgkmcnt(4)
	s_delay_alu instid0(VALU_DEP_2) | instskip(SKIP_1) | instid1(VALU_DEP_3)
	v_dual_mul_f32 v5, v131, v127 :: v_dual_add_f32 v2, v2, v28
	v_fmac_f32_e32 v27, v101, v96
	v_add_f32_e32 v3, v3, v59
	v_fma_f32 v28, v104, v108, -v35
	s_delay_alu instid0(VALU_DEP_4) | instskip(SKIP_1) | instid1(VALU_DEP_4)
	v_fma_f32 v5, v130, v126, -v5
	v_dual_fmac_f32 v79, v87, v90 :: v_dual_mul_f32 v38, v114, v111
	v_add_f32_e32 v3, v3, v61
	v_mul_f32_e32 v39, v117, v113
	v_fmac_f32_e32 v32, v121, v124
	s_delay_alu instid0(VALU_DEP_4) | instskip(NEXT) | instid1(VALU_DEP_4)
	v_fmac_f32_e32 v38, v115, v110
	v_add_f32_e32 v3, v3, v63
	s_delay_alu instid0(VALU_DEP_1) | instskip(NEXT) | instid1(VALU_DEP_1)
	v_add_f32_e32 v3, v3, v65
	v_add_f32_e32 v3, v3, v75
	s_delay_alu instid0(VALU_DEP_1) | instskip(SKIP_1) | instid1(VALU_DEP_2)
	v_add_f32_e32 v3, v3, v4
	v_mul_f32_e32 v4, v119, v123
	v_add_f32_e32 v3, v3, v31
	s_delay_alu instid0(VALU_DEP_2) | instskip(NEXT) | instid1(VALU_DEP_2)
	v_fma_f32 v4, v118, v122, -v4
	v_add_f32_e32 v3, v3, v33
	s_delay_alu instid0(VALU_DEP_1) | instskip(NEXT) | instid1(VALU_DEP_1)
	v_add_f32_e32 v3, v3, v79
	v_add_f32_e32 v3, v3, v8
	v_fma_f32 v8, v102, v106, -v29
	v_fma_f32 v29, v116, v112, -v39
	s_delay_alu instid0(VALU_DEP_2) | instskip(SKIP_2) | instid1(VALU_DEP_3)
	v_dual_add_f32 v3, v3, v26 :: v_dual_add_f32 v2, v2, v8
	v_dual_mul_f32 v37, v115, v111 :: v_dual_mul_f32 v8, v133, v129
	v_mul_f32_e32 v26, v130, v127
	v_dual_add_f32 v3, v3, v27 :: v_dual_add_f32 v2, v2, v28
	s_delay_alu instid0(VALU_DEP_3) | instskip(NEXT) | instid1(VALU_DEP_4)
	v_fma_f32 v27, v114, v110, -v37
	v_fma_f32 v8, v132, v128, -v8
	s_delay_alu instid0(VALU_DEP_4) | instskip(SKIP_1) | instid1(VALU_DEP_4)
	v_dual_mul_f32 v31, v118, v123 :: v_dual_fmac_f32 v26, v131, v126
	v_mul_f32_e32 v28, v132, v129
	v_add_f32_e32 v2, v2, v27
	s_waitcnt lgkmcnt(2)
	v_mul_f32_e32 v27, v135, v139
	s_delay_alu instid0(VALU_DEP_3) | instskip(NEXT) | instid1(VALU_DEP_3)
	v_dual_fmac_f32 v31, v119, v122 :: v_dual_fmac_f32 v28, v133, v128
	v_add_f32_e32 v2, v2, v29
	s_delay_alu instid0(VALU_DEP_3) | instskip(NEXT) | instid1(VALU_DEP_2)
	v_fma_f32 v27, v134, v138, -v27
	v_add_f32_e32 v2, v2, v4
	v_mul_f32_e32 v4, v137, v141
	s_delay_alu instid0(VALU_DEP_2) | instskip(SKIP_1) | instid1(VALU_DEP_3)
	v_add_f32_e32 v2, v2, v30
	v_mul_f32_e32 v30, v136, v141
	v_fma_f32 v4, v136, v140, -v4
	s_waitcnt lgkmcnt(0)
	s_delay_alu instid0(VALU_DEP_3) | instskip(NEXT) | instid1(VALU_DEP_3)
	v_dual_add_f32 v2, v2, v5 :: v_dual_mul_f32 v5, v147, v143
	v_fmac_f32_e32 v30, v137, v140
	s_delay_alu instid0(VALU_DEP_2) | instskip(NEXT) | instid1(VALU_DEP_3)
	v_add_f32_e32 v2, v2, v8
	v_fma_f32 v5, v146, v142, -v5
	v_mul_f32_e32 v8, v146, v143
	v_mul_f32_e32 v29, v134, v139
	s_delay_alu instid0(VALU_DEP_4) | instskip(NEXT) | instid1(VALU_DEP_3)
	v_dual_add_f32 v2, v2, v27 :: v_dual_add_f32 v3, v3, v34
	v_fmac_f32_e32 v8, v147, v142
	s_delay_alu instid0(VALU_DEP_2) | instskip(NEXT) | instid1(VALU_DEP_3)
	v_dual_fmac_f32 v29, v135, v138 :: v_dual_add_f32 v2, v2, v4
	v_dual_add_f32 v3, v3, v36 :: v_dual_mul_f32 v4, v148, v145
	s_delay_alu instid0(VALU_DEP_1) | instskip(NEXT) | instid1(VALU_DEP_2)
	v_dual_add_f32 v2, v2, v5 :: v_dual_add_f32 v3, v3, v38
	v_fmac_f32_e32 v4, v149, v144
	s_delay_alu instid0(VALU_DEP_2) | instskip(NEXT) | instid1(VALU_DEP_1)
	v_add_f32_e32 v3, v3, v40
	v_add_f32_e32 v3, v3, v31
	s_delay_alu instid0(VALU_DEP_1) | instskip(NEXT) | instid1(VALU_DEP_1)
	v_add_f32_e32 v3, v3, v32
	v_dual_add_f32 v3, v3, v26 :: v_dual_mul_f32 v26, v149, v145
	s_delay_alu instid0(VALU_DEP_1) | instskip(NEXT) | instid1(VALU_DEP_2)
	v_add_f32_e32 v3, v3, v28
	v_fma_f32 v26, v148, v144, -v26
	s_delay_alu instid0(VALU_DEP_1) | instskip(NEXT) | instid1(VALU_DEP_1)
	v_dual_add_f32 v3, v3, v29 :: v_dual_add_f32 v2, v2, v26
	v_add_f32_e32 v3, v3, v30
	s_delay_alu instid0(VALU_DEP_1) | instskip(NEXT) | instid1(VALU_DEP_1)
	v_add_f32_e32 v3, v3, v8
	v_dual_add_f32 v3, v3, v4 :: v_dual_mul_f32 v4, s16, v2
	v_mul_f32_e32 v2, s17, v2
	s_delay_alu instid0(VALU_DEP_2) | instskip(NEXT) | instid1(VALU_DEP_2)
	v_fmac_f32_e32 v4, s17, v3
	v_fma_f32 v3, s16, v3, -v2
	s_waitcnt vmcnt(0)
	s_delay_alu instid0(VALU_DEP_1)
	v_dual_add_f32 v2, v6, v4 :: v_dual_add_f32 v3, v7, v3
	global_store_b64 v[0:1], v[2:3], off
	s_branch .LBB1939_4
.LBB1939_17:
	s_endpgm
	.section	.rodata,"a",@progbits
	.p2align	6, 0x0
	.amdhsa_kernel _ZL26rocblas_syr2k_her2k_kernelIiLb1ELb1ELb1ELi32EPK19rocblas_complex_numIfEPKS3_PKPS1_EvbiT_T4_T5_S9_lSB_S9_lT6_S9_li
		.amdhsa_group_segment_fixed_size 16384
		.amdhsa_private_segment_fixed_size 0
		.amdhsa_kernarg_size 100
		.amdhsa_user_sgpr_count 13
		.amdhsa_user_sgpr_dispatch_ptr 0
		.amdhsa_user_sgpr_queue_ptr 0
		.amdhsa_user_sgpr_kernarg_segment_ptr 1
		.amdhsa_user_sgpr_dispatch_id 0
		.amdhsa_user_sgpr_private_segment_size 0
		.amdhsa_wavefront_size32 1
		.amdhsa_uses_dynamic_stack 0
		.amdhsa_enable_private_segment 0
		.amdhsa_system_sgpr_workgroup_id_x 1
		.amdhsa_system_sgpr_workgroup_id_y 1
		.amdhsa_system_sgpr_workgroup_id_z 1
		.amdhsa_system_sgpr_workgroup_info 0
		.amdhsa_system_vgpr_workitem_id 1
		.amdhsa_next_free_vgpr 163
		.amdhsa_next_free_sgpr 27
		.amdhsa_reserve_vcc 1
		.amdhsa_float_round_mode_32 0
		.amdhsa_float_round_mode_16_64 0
		.amdhsa_float_denorm_mode_32 3
		.amdhsa_float_denorm_mode_16_64 3
		.amdhsa_dx10_clamp 1
		.amdhsa_ieee_mode 1
		.amdhsa_fp16_overflow 0
		.amdhsa_workgroup_processor_mode 1
		.amdhsa_memory_ordered 1
		.amdhsa_forward_progress 0
		.amdhsa_shared_vgpr_count 0
		.amdhsa_exception_fp_ieee_invalid_op 0
		.amdhsa_exception_fp_denorm_src 0
		.amdhsa_exception_fp_ieee_div_zero 0
		.amdhsa_exception_fp_ieee_overflow 0
		.amdhsa_exception_fp_ieee_underflow 0
		.amdhsa_exception_fp_ieee_inexact 0
		.amdhsa_exception_int_div_zero 0
	.end_amdhsa_kernel
	.section	.text._ZL26rocblas_syr2k_her2k_kernelIiLb1ELb1ELb1ELi32EPK19rocblas_complex_numIfEPKS3_PKPS1_EvbiT_T4_T5_S9_lSB_S9_lT6_S9_li,"axG",@progbits,_ZL26rocblas_syr2k_her2k_kernelIiLb1ELb1ELb1ELi32EPK19rocblas_complex_numIfEPKS3_PKPS1_EvbiT_T4_T5_S9_lSB_S9_lT6_S9_li,comdat
.Lfunc_end1939:
	.size	_ZL26rocblas_syr2k_her2k_kernelIiLb1ELb1ELb1ELi32EPK19rocblas_complex_numIfEPKS3_PKPS1_EvbiT_T4_T5_S9_lSB_S9_lT6_S9_li, .Lfunc_end1939-_ZL26rocblas_syr2k_her2k_kernelIiLb1ELb1ELb1ELi32EPK19rocblas_complex_numIfEPKS3_PKPS1_EvbiT_T4_T5_S9_lSB_S9_lT6_S9_li
                                        ; -- End function
	.section	.AMDGPU.csdata,"",@progbits
; Kernel info:
; codeLenInByte = 3848
; NumSgprs: 29
; NumVgprs: 163
; ScratchSize: 0
; MemoryBound: 0
; FloatMode: 240
; IeeeMode: 1
; LDSByteSize: 16384 bytes/workgroup (compile time only)
; SGPRBlocks: 3
; VGPRBlocks: 20
; NumSGPRsForWavesPerEU: 29
; NumVGPRsForWavesPerEU: 163
; Occupancy: 9
; WaveLimiterHint : 1
; COMPUTE_PGM_RSRC2:SCRATCH_EN: 0
; COMPUTE_PGM_RSRC2:USER_SGPR: 13
; COMPUTE_PGM_RSRC2:TRAP_HANDLER: 0
; COMPUTE_PGM_RSRC2:TGID_X_EN: 1
; COMPUTE_PGM_RSRC2:TGID_Y_EN: 1
; COMPUTE_PGM_RSRC2:TGID_Z_EN: 1
; COMPUTE_PGM_RSRC2:TIDIG_COMP_CNT: 1
	.section	.text._ZL26rocblas_syr2k_her2k_kernelIiLb1ELb1ELb0ELi32E19rocblas_complex_numIdEPKPKS1_PKPS1_EvbiT_T4_T5_S9_lSB_S9_lT6_S9_li,"axG",@progbits,_ZL26rocblas_syr2k_her2k_kernelIiLb1ELb1ELb0ELi32E19rocblas_complex_numIdEPKPKS1_PKPS1_EvbiT_T4_T5_S9_lSB_S9_lT6_S9_li,comdat
	.globl	_ZL26rocblas_syr2k_her2k_kernelIiLb1ELb1ELb0ELi32E19rocblas_complex_numIdEPKPKS1_PKPS1_EvbiT_T4_T5_S9_lSB_S9_lT6_S9_li ; -- Begin function _ZL26rocblas_syr2k_her2k_kernelIiLb1ELb1ELb0ELi32E19rocblas_complex_numIdEPKPKS1_PKPS1_EvbiT_T4_T5_S9_lSB_S9_lT6_S9_li
	.p2align	8
	.type	_ZL26rocblas_syr2k_her2k_kernelIiLb1ELb1ELb0ELi32E19rocblas_complex_numIdEPKPKS1_PKPS1_EvbiT_T4_T5_S9_lSB_S9_lT6_S9_li,@function
_ZL26rocblas_syr2k_her2k_kernelIiLb1ELb1ELb0ELi32E19rocblas_complex_numIdEPKPKS1_PKPS1_EvbiT_T4_T5_S9_lSB_S9_lT6_S9_li: ; @_ZL26rocblas_syr2k_her2k_kernelIiLb1ELb1ELb0ELi32E19rocblas_complex_numIdEPKPKS1_PKPS1_EvbiT_T4_T5_S9_lSB_S9_lT6_S9_li
; %bb.0:
	s_load_b128 s[4:7], s[0:1], 0x10
	s_waitcnt lgkmcnt(0)
	v_cmp_eq_f64_e64 s3, s[4:5], 0
	v_cmp_eq_f64_e64 s8, s[6:7], 0
	s_delay_alu instid0(VALU_DEP_1) | instskip(NEXT) | instid1(SALU_CYCLE_1)
	s_and_b32 s3, s3, s8
	s_and_b32 vcc_lo, exec_lo, s3
	s_cbranch_vccnz .LBB1940_17
; %bb.1:
	s_load_b128 s[8:11], s[0:1], 0x0
	s_lshl_b32 s20, s14, 5
	s_lshl_b32 s21, s13, 5
	s_waitcnt lgkmcnt(0)
	s_and_b32 s3, 1, s8
	s_delay_alu instid0(SALU_CYCLE_1) | instskip(SKIP_1) | instid1(SALU_CYCLE_1)
	s_cmp_eq_u32 s3, 1
	s_cselect_b32 vcc_lo, -1, 0
	s_and_b32 s3, vcc_lo, exec_lo
	s_cselect_b32 s3, s21, s20
	s_cselect_b32 s8, s20, s21
	s_delay_alu instid0(SALU_CYCLE_1)
	s_cmp_gt_i32 s3, s8
	s_cbranch_scc1 .LBB1940_17
; %bb.2:
	s_cmp_lt_i32 s10, 1
	s_cbranch_scc1 .LBB1940_17
; %bb.3:
	s_mov_b32 s2, s15
	s_clause 0x5
	s_load_b64 s[22:23], s[0:1], 0x20
	s_load_b128 s[16:19], s[0:1], 0x30
	s_load_b32 s8, s[0:1], 0x28
	s_load_b32 s11, s[0:1], 0x40
	s_load_b128 s[12:15], s[0:1], 0x48
	s_load_b32 s26, s[0:1], 0x58
	v_bfe_u32 v10, v0, 10, 10
	v_and_b32_e32 v11, 0x3ff, v0
	s_mov_b32 s3, 0
	s_load_b64 s[24:25], s[0:1], 0x60
	s_lshl_b64 s[0:1], s[2:3], 3
	v_add_nc_u32_e32 v0, s20, v10
	v_add_nc_u32_e32 v2, s21, v11
	v_lshlrev_b32_e32 v6, 4, v10
	s_delay_alu instid0(VALU_DEP_3) | instskip(NEXT) | instid1(VALU_DEP_3)
	v_ashrrev_i32_e32 v1, 31, v0
	v_cndmask_b32_e32 v7, v2, v0, vcc_lo
	v_ashrrev_i32_e32 v3, 31, v2
	v_cndmask_b32_e32 v8, v0, v2, vcc_lo
	s_waitcnt lgkmcnt(0)
	s_add_u32 s20, s22, s0
	s_addc_u32 s21, s23, s1
	s_add_u32 s18, s18, s0
	s_load_b64 s[20:21], s[20:21], 0x0
	s_addc_u32 s19, s19, s1
	s_add_u32 s0, s14, s0
	s_load_b64 s[18:19], s[18:19], 0x0
	s_addc_u32 s1, s15, s1
	v_mad_i64_i32 v[4:5], null, s26, v0, 0
	s_load_b64 s[14:15], s[0:1], 0x0
	v_cmp_gt_i32_e32 vcc_lo, s9, v2
	v_lshlrev_b64 v[2:3], 4, v[2:3]
	s_lshl_b64 s[16:17], s[16:17], 4
	v_cmp_gt_i32_e64 s0, s9, v0
	v_lshlrev_b64 v[0:1], 4, v[0:1]
	v_lshlrev_b64 v[4:5], 4, v[4:5]
	v_lshlrev_b32_e32 v12, 9, v11
	v_or_b32_e32 v14, 0x4000, v6
	s_delay_alu instid0(VALU_DEP_2)
	v_add_nc_u32_e32 v13, v12, v6
	s_waitcnt lgkmcnt(0)
	s_add_u32 s9, s20, s16
	s_addc_u32 s16, s21, s17
	s_lshl_b64 s[12:13], s[12:13], 4
	v_add_co_u32 v15, s1, s9, v2
	s_add_u32 s17, s18, s12
	s_addc_u32 s18, s19, s13
	s_lshl_b64 s[12:13], s[24:25], 4
	v_add_co_ci_u32_e64 v16, s1, s16, v3, s1
	v_add_co_u32 v17, s1, s17, v0
	s_add_u32 s2, s14, s12
	v_add_co_ci_u32_e64 v18, s1, s18, v1, s1
	s_addc_u32 s12, s15, s13
	v_add_co_u32 v4, s1, s2, v4
	s_delay_alu instid0(VALU_DEP_1) | instskip(SKIP_1) | instid1(VALU_DEP_3)
	v_add_co_ci_u32_e64 v5, s1, s12, v5, s1
	v_cmp_le_i32_e64 s1, v8, v7
	v_add_co_u32 v8, s2, v4, v2
	s_delay_alu instid0(VALU_DEP_1) | instskip(SKIP_1) | instid1(VALU_DEP_1)
	v_add_co_ci_u32_e64 v9, s2, v5, v3, s2
	v_add_co_u32 v20, s2, s17, v2
	v_add_co_ci_u32_e64 v21, s2, s18, v3, s2
	v_add_co_u32 v22, s2, s9, v0
	v_add_nc_u32_e32 v19, v14, v12
	v_add_co_ci_u32_e64 v23, s2, s16, v1, s2
	s_and_b32 s2, s0, vcc_lo
	s_delay_alu instid0(SALU_CYCLE_1)
	s_and_b32 s2, s2, s1
	s_branch .LBB1940_5
.LBB1940_4:                             ;   in Loop: Header=BB1940_5 Depth=1
	s_or_b32 exec_lo, exec_lo, s1
	s_add_i32 s3, s3, 32
	s_waitcnt_vscnt null, 0x0
	s_cmp_lt_i32 s3, s10
	s_barrier
	buffer_gl0_inv
	s_cbranch_scc0 .LBB1940_17
.LBB1940_5:                             ; =>This Inner Loop Header: Depth=1
	v_add_nc_u32_e32 v24, s3, v10
	v_mov_b32_e32 v0, 0
	v_mov_b32_e32 v1, 0
	s_delay_alu instid0(VALU_DEP_3) | instskip(NEXT) | instid1(VALU_DEP_2)
	v_cmp_gt_i32_e64 s1, s10, v24
	v_dual_mov_b32 v5, v1 :: v_dual_mov_b32 v4, v0
	v_dual_mov_b32 v7, v1 :: v_dual_mov_b32 v6, v0
	s_delay_alu instid0(VALU_DEP_3) | instskip(NEXT) | instid1(SALU_CYCLE_1)
	s_and_b32 s9, vcc_lo, s1
	s_and_saveexec_b32 s12, s9
	s_cbranch_execz .LBB1940_7
; %bb.6:                                ;   in Loop: Header=BB1940_5 Depth=1
	v_mad_i64_i32 v[2:3], null, v24, s8, 0
	s_delay_alu instid0(VALU_DEP_1) | instskip(NEXT) | instid1(VALU_DEP_1)
	v_lshlrev_b64 v[2:3], 4, v[2:3]
	v_add_co_u32 v2, s1, v15, v2
	s_delay_alu instid0(VALU_DEP_1)
	v_add_co_ci_u32_e64 v3, s1, v16, v3, s1
	global_load_b128 v[4:7], v[2:3], off
.LBB1940_7:                             ;   in Loop: Header=BB1940_5 Depth=1
	s_or_b32 exec_lo, exec_lo, s12
	v_add_nc_u32_e32 v25, s3, v11
	v_dual_mov_b32 v3, v1 :: v_dual_mov_b32 v2, v0
	s_waitcnt vmcnt(0)
	ds_store_b128 v13, v[4:7]
	v_cmp_gt_i32_e64 s1, s10, v25
	s_delay_alu instid0(VALU_DEP_1) | instskip(NEXT) | instid1(SALU_CYCLE_1)
	s_and_b32 s12, s0, s1
	s_and_saveexec_b32 s13, s12
	s_cbranch_execz .LBB1940_9
; %bb.8:                                ;   in Loop: Header=BB1940_5 Depth=1
	v_mad_i64_i32 v[0:1], null, v25, s11, 0
	s_delay_alu instid0(VALU_DEP_1) | instskip(NEXT) | instid1(VALU_DEP_1)
	v_lshlrev_b64 v[0:1], 4, v[0:1]
	v_add_co_u32 v0, s1, v17, v0
	s_delay_alu instid0(VALU_DEP_1)
	v_add_co_ci_u32_e64 v1, s1, v18, v1, s1
	global_load_b128 v[0:3], v[0:1], off
	s_waitcnt vmcnt(0)
	v_xor_b32_e32 v3, 0x80000000, v3
.LBB1940_9:                             ;   in Loop: Header=BB1940_5 Depth=1
	s_or_b32 exec_lo, exec_lo, s13
	ds_store_b128 v19, v[0:3]
	s_waitcnt lgkmcnt(0)
	s_barrier
	buffer_gl0_inv
	s_and_saveexec_b32 s1, s2
	s_cbranch_execz .LBB1940_11
; %bb.10:                               ;   in Loop: Header=BB1940_5 Depth=1
	ds_load_b128 v[0:3], v14
	ds_load_b128 v[4:7], v12
	ds_load_b128 v[26:29], v12 offset:16
	ds_load_b128 v[30:33], v14 offset:512
	s_waitcnt lgkmcnt(2)
	v_mul_f64 v[34:35], v[0:1], v[6:7]
	v_mul_f64 v[6:7], v[2:3], v[6:7]
	s_waitcnt lgkmcnt(0)
	v_mul_f64 v[50:51], v[30:31], v[28:29]
	v_mul_f64 v[28:29], v[32:33], v[28:29]
	s_delay_alu instid0(VALU_DEP_4)
	v_fma_f64 v[2:3], v[2:3], v[4:5], v[34:35]
	ds_load_b128 v[34:37], v14 offset:1024
	ds_load_b128 v[38:41], v12 offset:32
	;; [unrolled: 1-line block ×4, first 2 shown]
	v_fma_f64 v[0:1], v[0:1], v[4:5], -v[6:7]
	v_fma_f64 v[4:5], v[32:33], v[26:27], v[50:51]
	v_fma_f64 v[54:55], v[30:31], v[26:27], -v[28:29]
	s_waitcnt lgkmcnt(2)
	v_mul_f64 v[52:53], v[34:35], v[40:41]
	v_mul_f64 v[40:41], v[36:37], v[40:41]
	s_waitcnt lgkmcnt(0)
	v_mul_f64 v[50:51], v[46:47], v[44:45]
	v_mul_f64 v[44:45], v[48:49], v[44:45]
	v_add_f64 v[2:3], v[2:3], 0
	v_fma_f64 v[36:37], v[36:37], v[38:39], v[52:53]
	v_add_f64 v[52:53], v[0:1], 0
	v_fma_f64 v[34:35], v[34:35], v[38:39], -v[40:41]
	v_fma_f64 v[38:39], v[48:49], v[42:43], v[50:51]
	v_add_f64 v[56:57], v[2:3], v[4:5]
	ds_load_b128 v[0:3], v12 offset:64
	ds_load_b128 v[4:7], v14 offset:2048
	ds_load_b128 v[26:29], v14 offset:2560
	ds_load_b128 v[30:33], v12 offset:80
	s_waitcnt lgkmcnt(2)
	v_mul_f64 v[58:59], v[4:5], v[2:3]
	v_add_f64 v[40:41], v[52:53], v[54:55]
	v_mul_f64 v[2:3], v[6:7], v[2:3]
	s_waitcnt lgkmcnt(0)
	v_mul_f64 v[50:51], v[26:27], v[32:33]
	v_fma_f64 v[52:53], v[46:47], v[42:43], -v[44:45]
	v_mul_f64 v[32:33], v[28:29], v[32:33]
	v_add_f64 v[36:37], v[56:57], v[36:37]
	v_fma_f64 v[6:7], v[6:7], v[0:1], v[58:59]
	v_add_f64 v[54:55], v[40:41], v[34:35]
	v_fma_f64 v[0:1], v[4:5], v[0:1], -v[2:3]
	v_fma_f64 v[2:3], v[28:29], v[30:31], v[50:51]
	v_add_f64 v[56:57], v[36:37], v[38:39]
	ds_load_b128 v[34:37], v12 offset:96
	ds_load_b128 v[38:41], v14 offset:3072
	ds_load_b128 v[42:45], v14 offset:3584
	ds_load_b128 v[46:49], v12 offset:112
	s_waitcnt lgkmcnt(2)
	v_mul_f64 v[58:59], v[38:39], v[36:37]
	v_add_f64 v[4:5], v[54:55], v[52:53]
	v_mul_f64 v[36:37], v[40:41], v[36:37]
	s_waitcnt lgkmcnt(0)
	v_mul_f64 v[50:51], v[42:43], v[48:49]
	v_fma_f64 v[52:53], v[26:27], v[30:31], -v[32:33]
	;; [unrolled: 18-line block ×11, first 2 shown]
	v_mul_f64 v[32:33], v[28:29], v[32:33]
	v_add_f64 v[40:41], v[56:57], v[40:41]
	v_fma_f64 v[6:7], v[6:7], v[0:1], v[58:59]
	v_add_f64 v[54:55], v[38:39], v[34:35]
	v_fma_f64 v[0:1], v[4:5], v[0:1], -v[2:3]
	v_fma_f64 v[2:3], v[28:29], v[30:31], v[50:51]
	v_add_f64 v[56:57], v[40:41], v[36:37]
	ds_load_b128 v[34:37], v12 offset:416
	ds_load_b128 v[38:41], v14 offset:13312
	;; [unrolled: 1-line block ×4, first 2 shown]
	s_waitcnt lgkmcnt(2)
	v_mul_f64 v[58:59], v[38:39], v[36:37]
	v_add_f64 v[4:5], v[54:55], v[52:53]
	v_mul_f64 v[36:37], v[40:41], v[36:37]
	s_waitcnt lgkmcnt(0)
	v_mul_f64 v[54:55], v[42:43], v[48:49]
	v_mul_f64 v[48:49], v[44:45], v[48:49]
	v_add_f64 v[6:7], v[56:57], v[6:7]
	v_fma_f64 v[56:57], v[26:27], v[30:31], -v[32:33]
	v_fma_f64 v[40:41], v[40:41], v[34:35], v[58:59]
	v_add_f64 v[58:59], v[4:5], v[0:1]
	v_fma_f64 v[34:35], v[38:39], v[34:35], -v[36:37]
	v_fma_f64 v[36:37], v[44:45], v[46:47], v[54:55]
	v_add_f64 v[60:61], v[6:7], v[2:3]
	ds_load_b128 v[0:3], v12 offset:448
	ds_load_b128 v[4:7], v14 offset:14336
	global_load_b128 v[26:29], v[8:9], off
	ds_load_b128 v[30:33], v14 offset:14848
	ds_load_b128 v[50:53], v12 offset:464
	v_add_f64 v[38:39], v[58:59], v[56:57]
	s_waitcnt lgkmcnt(2)
	v_mul_f64 v[62:63], v[4:5], v[2:3]
	v_mul_f64 v[2:3], v[6:7], v[2:3]
	s_waitcnt lgkmcnt(0)
	v_mul_f64 v[54:55], v[30:31], v[52:53]
	v_fma_f64 v[56:57], v[42:43], v[46:47], -v[48:49]
	v_mul_f64 v[52:53], v[32:33], v[52:53]
	v_add_f64 v[40:41], v[60:61], v[40:41]
	v_add_f64 v[58:59], v[38:39], v[34:35]
	v_fma_f64 v[6:7], v[6:7], v[0:1], v[62:63]
	v_fma_f64 v[0:1], v[4:5], v[0:1], -v[2:3]
	v_fma_f64 v[2:3], v[32:33], v[50:51], v[54:55]
	v_fma_f64 v[30:31], v[30:31], v[50:51], -v[52:53]
	v_add_f64 v[60:61], v[40:41], v[36:37]
	ds_load_b128 v[34:37], v12 offset:480
	ds_load_b128 v[38:41], v14 offset:15360
	ds_load_b128 v[42:45], v14 offset:15872
	ds_load_b128 v[46:49], v12 offset:496
	s_waitcnt lgkmcnt(2)
	v_mul_f64 v[62:63], v[38:39], v[36:37]
	v_add_f64 v[4:5], v[58:59], v[56:57]
	v_mul_f64 v[32:33], v[40:41], v[36:37]
	s_waitcnt lgkmcnt(0)
	v_mul_f64 v[36:37], v[42:43], v[48:49]
	v_add_f64 v[6:7], v[60:61], v[6:7]
	v_fma_f64 v[40:41], v[40:41], v[34:35], v[62:63]
	v_add_f64 v[0:1], v[4:5], v[0:1]
	v_mul_f64 v[4:5], v[44:45], v[48:49]
	s_delay_alu instid0(VALU_DEP_4)
	v_add_f64 v[2:3], v[6:7], v[2:3]
	v_fma_f64 v[6:7], v[38:39], v[34:35], -v[32:33]
	v_fma_f64 v[32:33], v[44:45], v[46:47], v[36:37]
	v_add_f64 v[0:1], v[0:1], v[30:31]
	v_fma_f64 v[4:5], v[42:43], v[46:47], -v[4:5]
	v_add_f64 v[2:3], v[2:3], v[40:41]
	s_delay_alu instid0(VALU_DEP_3) | instskip(NEXT) | instid1(VALU_DEP_2)
	v_add_f64 v[0:1], v[0:1], v[6:7]
	v_add_f64 v[2:3], v[2:3], v[32:33]
	s_delay_alu instid0(VALU_DEP_2) | instskip(NEXT) | instid1(VALU_DEP_2)
	v_add_f64 v[0:1], v[0:1], v[4:5]
	v_mul_f64 v[4:5], s[6:7], v[2:3]
	v_mul_f64 v[2:3], s[4:5], v[2:3]
	s_delay_alu instid0(VALU_DEP_2) | instskip(NEXT) | instid1(VALU_DEP_2)
	v_fma_f64 v[4:5], s[4:5], v[0:1], -v[4:5]
	v_fma_f64 v[2:3], s[6:7], v[0:1], v[2:3]
	s_waitcnt vmcnt(0)
	s_delay_alu instid0(VALU_DEP_2) | instskip(NEXT) | instid1(VALU_DEP_2)
	v_add_f64 v[0:1], v[26:27], v[4:5]
	v_add_f64 v[2:3], v[28:29], v[2:3]
	global_store_b128 v[8:9], v[0:3], off
.LBB1940_11:                            ;   in Loop: Header=BB1940_5 Depth=1
	s_or_b32 exec_lo, exec_lo, s1
	v_mov_b32_e32 v2, 0
	v_mov_b32_e32 v3, 0
	s_waitcnt_vscnt null, 0x0
	s_barrier
	buffer_gl0_inv
	v_dual_mov_b32 v7, v3 :: v_dual_mov_b32 v6, v2
	v_dual_mov_b32 v5, v3 :: v_dual_mov_b32 v4, v2
	s_and_saveexec_b32 s13, s9
	s_cbranch_execz .LBB1940_13
; %bb.12:                               ;   in Loop: Header=BB1940_5 Depth=1
	v_mad_i64_i32 v[0:1], null, v24, s11, 0
	s_delay_alu instid0(VALU_DEP_1) | instskip(NEXT) | instid1(VALU_DEP_1)
	v_lshlrev_b64 v[0:1], 4, v[0:1]
	v_add_co_u32 v0, s1, v20, v0
	s_delay_alu instid0(VALU_DEP_1)
	v_add_co_ci_u32_e64 v1, s1, v21, v1, s1
	global_load_b128 v[4:7], v[0:1], off
.LBB1940_13:                            ;   in Loop: Header=BB1940_5 Depth=1
	s_or_b32 exec_lo, exec_lo, s13
	v_dual_mov_b32 v0, v2 :: v_dual_mov_b32 v1, v3
	s_waitcnt vmcnt(0)
	ds_store_b128 v13, v[4:7]
	s_and_saveexec_b32 s9, s12
	s_cbranch_execz .LBB1940_15
; %bb.14:                               ;   in Loop: Header=BB1940_5 Depth=1
	v_mad_i64_i32 v[0:1], null, v25, s8, 0
	s_delay_alu instid0(VALU_DEP_1) | instskip(NEXT) | instid1(VALU_DEP_1)
	v_lshlrev_b64 v[0:1], 4, v[0:1]
	v_add_co_u32 v0, s1, v22, v0
	s_delay_alu instid0(VALU_DEP_1)
	v_add_co_ci_u32_e64 v1, s1, v23, v1, s1
	global_load_b128 v[0:3], v[0:1], off
	s_waitcnt vmcnt(0)
	v_xor_b32_e32 v3, 0x80000000, v3
.LBB1940_15:                            ;   in Loop: Header=BB1940_5 Depth=1
	s_or_b32 exec_lo, exec_lo, s9
	ds_store_b128 v19, v[0:3]
	s_waitcnt lgkmcnt(0)
	s_barrier
	buffer_gl0_inv
	s_and_saveexec_b32 s1, s2
	s_cbranch_execz .LBB1940_4
; %bb.16:                               ;   in Loop: Header=BB1940_5 Depth=1
	ds_load_b128 v[0:3], v14
	ds_load_b128 v[4:7], v12
	ds_load_b128 v[24:27], v12 offset:16
	ds_load_b128 v[28:31], v14 offset:512
	s_waitcnt lgkmcnt(2)
	v_mul_f64 v[32:33], v[2:3], v[6:7]
	v_mul_f64 v[6:7], v[0:1], v[6:7]
	s_waitcnt lgkmcnt(0)
	v_mul_f64 v[48:49], v[30:31], v[26:27]
	v_mul_f64 v[26:27], v[28:29], v[26:27]
	s_delay_alu instid0(VALU_DEP_4)
	v_fma_f64 v[0:1], v[0:1], v[4:5], -v[32:33]
	ds_load_b128 v[32:35], v14 offset:1024
	ds_load_b128 v[36:39], v12 offset:32
	;; [unrolled: 1-line block ×4, first 2 shown]
	v_fma_f64 v[2:3], v[2:3], v[4:5], v[6:7]
	v_fma_f64 v[4:5], v[28:29], v[24:25], -v[48:49]
	v_fma_f64 v[52:53], v[30:31], v[24:25], v[26:27]
	s_waitcnt lgkmcnt(2)
	v_mul_f64 v[50:51], v[34:35], v[38:39]
	v_mul_f64 v[38:39], v[32:33], v[38:39]
	s_waitcnt lgkmcnt(0)
	v_mul_f64 v[48:49], v[46:47], v[42:43]
	v_mul_f64 v[42:43], v[44:45], v[42:43]
	v_add_f64 v[0:1], v[0:1], 0
	v_fma_f64 v[32:33], v[32:33], v[36:37], -v[50:51]
	v_add_f64 v[50:51], v[2:3], 0
	v_fma_f64 v[34:35], v[34:35], v[36:37], v[38:39]
	v_fma_f64 v[36:37], v[44:45], v[40:41], -v[48:49]
	v_fma_f64 v[46:47], v[46:47], v[40:41], v[42:43]
	v_add_f64 v[54:55], v[0:1], v[4:5]
	ds_load_b128 v[0:3], v12 offset:64
	ds_load_b128 v[4:7], v14 offset:2048
	;; [unrolled: 1-line block ×4, first 2 shown]
	s_waitcnt lgkmcnt(2)
	v_mul_f64 v[56:57], v[6:7], v[2:3]
	v_add_f64 v[38:39], v[50:51], v[52:53]
	v_mul_f64 v[44:45], v[4:5], v[2:3]
	s_waitcnt lgkmcnt(0)
	v_mul_f64 v[48:49], v[26:27], v[30:31]
	v_mul_f64 v[30:31], v[24:25], v[30:31]
	v_add_f64 v[32:33], v[54:55], v[32:33]
	v_fma_f64 v[50:51], v[4:5], v[0:1], -v[56:57]
	v_add_f64 v[52:53], v[38:39], v[34:35]
	v_fma_f64 v[0:1], v[6:7], v[0:1], v[44:45]
	v_fma_f64 v[6:7], v[24:25], v[28:29], -v[48:49]
	v_add_f64 v[54:55], v[32:33], v[36:37]
	ds_load_b128 v[2:5], v12 offset:96
	ds_load_b128 v[32:35], v14 offset:3072
	;; [unrolled: 1-line block ×4, first 2 shown]
	s_waitcnt lgkmcnt(2)
	v_mul_f64 v[56:57], v[34:35], v[4:5]
	v_add_f64 v[24:25], v[52:53], v[46:47]
	v_mul_f64 v[48:49], v[32:33], v[4:5]
	v_fma_f64 v[52:53], v[26:27], v[28:29], v[30:31]
	v_add_f64 v[44:45], v[54:55], v[50:51]
	s_waitcnt lgkmcnt(0)
	v_mul_f64 v[50:51], v[38:39], v[42:43]
	v_mul_f64 v[42:43], v[36:37], v[42:43]
	v_fma_f64 v[32:33], v[32:33], v[2:3], -v[56:57]
	v_add_f64 v[0:1], v[24:25], v[0:1]
	v_fma_f64 v[2:3], v[34:35], v[2:3], v[48:49]
	v_add_f64 v[54:55], v[44:45], v[6:7]
	ds_load_b128 v[4:7], v12 offset:128
	ds_load_b128 v[24:27], v14 offset:4096
	;; [unrolled: 1-line block ×4, first 2 shown]
	v_fma_f64 v[34:35], v[36:37], v[40:41], -v[50:51]
	v_fma_f64 v[50:51], v[38:39], v[40:41], v[42:43]
	s_waitcnt lgkmcnt(2)
	v_mul_f64 v[56:57], v[26:27], v[6:7]
	v_add_f64 v[0:1], v[0:1], v[52:53]
	v_mul_f64 v[6:7], v[24:25], v[6:7]
	s_waitcnt lgkmcnt(0)
	v_mul_f64 v[48:49], v[30:31], v[46:47]
	v_mul_f64 v[46:47], v[28:29], v[46:47]
	v_add_f64 v[32:33], v[54:55], v[32:33]
	v_fma_f64 v[24:25], v[24:25], v[4:5], -v[56:57]
	v_add_f64 v[52:53], v[0:1], v[2:3]
	v_fma_f64 v[4:5], v[26:27], v[4:5], v[6:7]
	v_fma_f64 v[6:7], v[28:29], v[44:45], -v[48:49]
	v_add_f64 v[54:55], v[32:33], v[34:35]
	ds_load_b128 v[0:3], v12 offset:160
	ds_load_b128 v[32:35], v14 offset:5120
	;; [unrolled: 1-line block ×4, first 2 shown]
	s_waitcnt lgkmcnt(2)
	v_mul_f64 v[56:57], v[34:35], v[2:3]
	v_add_f64 v[26:27], v[52:53], v[50:51]
	v_mul_f64 v[48:49], v[32:33], v[2:3]
	s_waitcnt lgkmcnt(0)
	v_mul_f64 v[50:51], v[38:39], v[42:43]
	v_fma_f64 v[52:53], v[30:31], v[44:45], v[46:47]
	v_mul_f64 v[42:43], v[36:37], v[42:43]
	v_add_f64 v[24:25], v[54:55], v[24:25]
	v_fma_f64 v[32:33], v[32:33], v[0:1], -v[56:57]
	v_add_f64 v[54:55], v[26:27], v[4:5]
	v_fma_f64 v[0:1], v[34:35], v[0:1], v[48:49]
	v_fma_f64 v[34:35], v[36:37], v[40:41], -v[50:51]
	v_add_f64 v[6:7], v[24:25], v[6:7]
	ds_load_b128 v[2:5], v12 offset:192
	ds_load_b128 v[24:27], v14 offset:6144
	;; [unrolled: 1-line block ×4, first 2 shown]
	s_waitcnt lgkmcnt(2)
	v_mul_f64 v[56:57], v[26:27], v[4:5]
	v_add_f64 v[36:37], v[54:55], v[52:53]
	v_mul_f64 v[48:49], v[24:25], v[4:5]
	s_waitcnt lgkmcnt(0)
	v_mul_f64 v[50:51], v[30:31], v[46:47]
	v_fma_f64 v[52:53], v[38:39], v[40:41], v[42:43]
	v_mul_f64 v[46:47], v[28:29], v[46:47]
	v_add_f64 v[6:7], v[6:7], v[32:33]
	v_fma_f64 v[24:25], v[24:25], v[2:3], -v[56:57]
	v_add_f64 v[0:1], v[36:37], v[0:1]
	v_fma_f64 v[2:3], v[26:27], v[2:3], v[48:49]
	v_fma_f64 v[26:27], v[28:29], v[44:45], -v[50:51]
	v_fma_f64 v[50:51], v[30:31], v[44:45], v[46:47]
	v_add_f64 v[54:55], v[6:7], v[34:35]
	ds_load_b128 v[4:7], v12 offset:224
	ds_load_b128 v[32:35], v14 offset:7168
	ds_load_b128 v[36:39], v14 offset:7680
	ds_load_b128 v[40:43], v12 offset:240
	s_waitcnt lgkmcnt(2)
	v_mul_f64 v[56:57], v[34:35], v[6:7]
	v_add_f64 v[0:1], v[0:1], v[52:53]
	v_mul_f64 v[6:7], v[32:33], v[6:7]
	s_waitcnt lgkmcnt(0)
	v_mul_f64 v[48:49], v[38:39], v[42:43]
	v_mul_f64 v[42:43], v[36:37], v[42:43]
	v_add_f64 v[24:25], v[54:55], v[24:25]
	v_fma_f64 v[32:33], v[32:33], v[4:5], -v[56:57]
	v_add_f64 v[52:53], v[0:1], v[2:3]
	v_fma_f64 v[4:5], v[34:35], v[4:5], v[6:7]
	v_fma_f64 v[6:7], v[36:37], v[40:41], -v[48:49]
	v_add_f64 v[54:55], v[24:25], v[26:27]
	ds_load_b128 v[0:3], v12 offset:256
	ds_load_b128 v[24:27], v14 offset:8192
	;; [unrolled: 1-line block ×4, first 2 shown]
	s_waitcnt lgkmcnt(2)
	v_mul_f64 v[56:57], v[26:27], v[2:3]
	v_add_f64 v[34:35], v[52:53], v[50:51]
	v_mul_f64 v[48:49], v[24:25], v[2:3]
	s_waitcnt lgkmcnt(0)
	v_mul_f64 v[50:51], v[30:31], v[46:47]
	v_fma_f64 v[52:53], v[38:39], v[40:41], v[42:43]
	v_mul_f64 v[46:47], v[28:29], v[46:47]
	v_add_f64 v[32:33], v[54:55], v[32:33]
	v_fma_f64 v[24:25], v[24:25], v[0:1], -v[56:57]
	v_add_f64 v[54:55], v[34:35], v[4:5]
	v_fma_f64 v[0:1], v[26:27], v[0:1], v[48:49]
	v_fma_f64 v[26:27], v[28:29], v[44:45], -v[50:51]
	v_add_f64 v[6:7], v[32:33], v[6:7]
	ds_load_b128 v[2:5], v12 offset:288
	ds_load_b128 v[32:35], v14 offset:9216
	;; [unrolled: 1-line block ×4, first 2 shown]
	s_waitcnt lgkmcnt(2)
	v_mul_f64 v[56:57], v[34:35], v[4:5]
	v_add_f64 v[28:29], v[54:55], v[52:53]
	v_mul_f64 v[48:49], v[32:33], v[4:5]
	s_waitcnt lgkmcnt(0)
	v_mul_f64 v[50:51], v[38:39], v[42:43]
	v_fma_f64 v[52:53], v[30:31], v[44:45], v[46:47]
	v_mul_f64 v[42:43], v[36:37], v[42:43]
	v_add_f64 v[6:7], v[6:7], v[24:25]
	v_fma_f64 v[32:33], v[32:33], v[2:3], -v[56:57]
	v_add_f64 v[0:1], v[28:29], v[0:1]
	v_fma_f64 v[2:3], v[34:35], v[2:3], v[48:49]
	v_fma_f64 v[34:35], v[36:37], v[40:41], -v[50:51]
	v_fma_f64 v[50:51], v[38:39], v[40:41], v[42:43]
	v_add_f64 v[54:55], v[6:7], v[26:27]
	ds_load_b128 v[4:7], v12 offset:320
	ds_load_b128 v[24:27], v14 offset:10240
	;; [unrolled: 1-line block ×4, first 2 shown]
	s_waitcnt lgkmcnt(2)
	v_mul_f64 v[56:57], v[26:27], v[6:7]
	v_add_f64 v[0:1], v[0:1], v[52:53]
	v_mul_f64 v[6:7], v[24:25], v[6:7]
	s_waitcnt lgkmcnt(0)
	v_mul_f64 v[48:49], v[30:31], v[46:47]
	v_mul_f64 v[46:47], v[28:29], v[46:47]
	v_add_f64 v[32:33], v[54:55], v[32:33]
	v_fma_f64 v[24:25], v[24:25], v[4:5], -v[56:57]
	v_add_f64 v[52:53], v[0:1], v[2:3]
	v_fma_f64 v[4:5], v[26:27], v[4:5], v[6:7]
	v_fma_f64 v[6:7], v[28:29], v[44:45], -v[48:49]
	v_add_f64 v[54:55], v[32:33], v[34:35]
	ds_load_b128 v[0:3], v12 offset:352
	ds_load_b128 v[32:35], v14 offset:11264
	;; [unrolled: 1-line block ×4, first 2 shown]
	s_waitcnt lgkmcnt(2)
	v_mul_f64 v[56:57], v[34:35], v[2:3]
	v_add_f64 v[26:27], v[52:53], v[50:51]
	v_mul_f64 v[48:49], v[32:33], v[2:3]
	s_waitcnt lgkmcnt(0)
	v_mul_f64 v[50:51], v[38:39], v[42:43]
	v_fma_f64 v[52:53], v[30:31], v[44:45], v[46:47]
	v_mul_f64 v[42:43], v[36:37], v[42:43]
	v_add_f64 v[24:25], v[54:55], v[24:25]
	v_fma_f64 v[32:33], v[32:33], v[0:1], -v[56:57]
	v_add_f64 v[54:55], v[26:27], v[4:5]
	v_fma_f64 v[0:1], v[34:35], v[0:1], v[48:49]
	v_fma_f64 v[34:35], v[36:37], v[40:41], -v[50:51]
	v_add_f64 v[6:7], v[24:25], v[6:7]
	ds_load_b128 v[2:5], v12 offset:384
	ds_load_b128 v[24:27], v14 offset:12288
	ds_load_b128 v[28:31], v14 offset:12800
	ds_load_b128 v[44:47], v12 offset:400
	s_waitcnt lgkmcnt(2)
	v_mul_f64 v[56:57], v[26:27], v[4:5]
	v_add_f64 v[36:37], v[54:55], v[52:53]
	v_mul_f64 v[48:49], v[24:25], v[4:5]
	s_waitcnt lgkmcnt(0)
	v_mul_f64 v[50:51], v[30:31], v[46:47]
	v_fma_f64 v[52:53], v[38:39], v[40:41], v[42:43]
	v_mul_f64 v[46:47], v[28:29], v[46:47]
	v_add_f64 v[6:7], v[6:7], v[32:33]
	v_fma_f64 v[24:25], v[24:25], v[2:3], -v[56:57]
	v_add_f64 v[0:1], v[36:37], v[0:1]
	v_fma_f64 v[2:3], v[26:27], v[2:3], v[48:49]
	v_fma_f64 v[26:27], v[28:29], v[44:45], -v[50:51]
	v_add_f64 v[54:55], v[6:7], v[34:35]
	ds_load_b128 v[4:7], v12 offset:416
	ds_load_b128 v[32:35], v14 offset:13312
	;; [unrolled: 1-line block ×4, first 2 shown]
	s_waitcnt lgkmcnt(2)
	v_mul_f64 v[56:57], v[34:35], v[6:7]
	v_add_f64 v[0:1], v[0:1], v[52:53]
	v_mul_f64 v[6:7], v[32:33], v[6:7]
	s_waitcnt lgkmcnt(0)
	v_mul_f64 v[52:53], v[38:39], v[42:43]
	v_mul_f64 v[42:43], v[36:37], v[42:43]
	v_add_f64 v[24:25], v[54:55], v[24:25]
	v_fma_f64 v[54:55], v[30:31], v[44:45], v[46:47]
	v_fma_f64 v[32:33], v[32:33], v[4:5], -v[56:57]
	v_add_f64 v[56:57], v[0:1], v[2:3]
	v_fma_f64 v[4:5], v[34:35], v[4:5], v[6:7]
	v_fma_f64 v[6:7], v[36:37], v[40:41], -v[52:53]
	v_add_f64 v[58:59], v[24:25], v[26:27]
	ds_load_b128 v[0:3], v12 offset:448
	ds_load_b128 v[24:27], v14 offset:14336
	global_load_b128 v[28:31], v[8:9], off
	ds_load_b128 v[44:47], v14 offset:14848
	ds_load_b128 v[48:51], v12 offset:464
	v_add_f64 v[34:35], v[56:57], v[54:55]
	s_waitcnt lgkmcnt(2)
	v_mul_f64 v[60:61], v[26:27], v[2:3]
	v_mul_f64 v[52:53], v[24:25], v[2:3]
	s_waitcnt lgkmcnt(0)
	v_mul_f64 v[54:55], v[46:47], v[50:51]
	v_fma_f64 v[56:57], v[38:39], v[40:41], v[42:43]
	v_mul_f64 v[50:51], v[44:45], v[50:51]
	v_add_f64 v[32:33], v[58:59], v[32:33]
	v_add_f64 v[58:59], v[34:35], v[4:5]
	v_fma_f64 v[24:25], v[24:25], v[0:1], -v[60:61]
	v_fma_f64 v[0:1], v[26:27], v[0:1], v[52:53]
	v_fma_f64 v[26:27], v[44:45], v[48:49], -v[54:55]
	v_fma_f64 v[46:47], v[46:47], v[48:49], v[50:51]
	v_add_f64 v[6:7], v[32:33], v[6:7]
	ds_load_b128 v[2:5], v12 offset:480
	ds_load_b128 v[32:35], v14 offset:15360
	ds_load_b128 v[36:39], v14 offset:15872
	ds_load_b128 v[40:43], v12 offset:496
	s_waitcnt lgkmcnt(2)
	v_mul_f64 v[60:61], v[34:35], v[4:5]
	v_add_f64 v[44:45], v[58:59], v[56:57]
	v_mul_f64 v[4:5], v[32:33], v[4:5]
	v_add_f64 v[6:7], v[6:7], v[24:25]
	s_waitcnt lgkmcnt(0)
	v_mul_f64 v[24:25], v[38:39], v[42:43]
	v_fma_f64 v[32:33], v[32:33], v[2:3], -v[60:61]
	v_add_f64 v[0:1], v[44:45], v[0:1]
	v_fma_f64 v[2:3], v[34:35], v[2:3], v[4:5]
	v_add_f64 v[6:7], v[6:7], v[26:27]
	v_mul_f64 v[26:27], v[36:37], v[42:43]
	v_fma_f64 v[4:5], v[36:37], v[40:41], -v[24:25]
	v_add_f64 v[0:1], v[0:1], v[46:47]
	s_delay_alu instid0(VALU_DEP_4) | instskip(NEXT) | instid1(VALU_DEP_4)
	v_add_f64 v[6:7], v[6:7], v[32:33]
	v_fma_f64 v[24:25], v[38:39], v[40:41], v[26:27]
	s_delay_alu instid0(VALU_DEP_3) | instskip(NEXT) | instid1(VALU_DEP_3)
	v_add_f64 v[0:1], v[0:1], v[2:3]
	v_add_f64 v[2:3], v[6:7], v[4:5]
	s_delay_alu instid0(VALU_DEP_2) | instskip(NEXT) | instid1(VALU_DEP_2)
	v_add_f64 v[0:1], v[0:1], v[24:25]
	v_mul_f64 v[4:5], s[4:5], v[2:3]
	v_mul_f64 v[2:3], s[6:7], v[2:3]
	s_delay_alu instid0(VALU_DEP_2) | instskip(NEXT) | instid1(VALU_DEP_2)
	v_fma_f64 v[4:5], s[6:7], v[0:1], v[4:5]
	v_fma_f64 v[2:3], s[4:5], v[0:1], -v[2:3]
	s_waitcnt vmcnt(0)
	s_delay_alu instid0(VALU_DEP_2) | instskip(NEXT) | instid1(VALU_DEP_2)
	v_add_f64 v[0:1], v[28:29], v[4:5]
	v_add_f64 v[2:3], v[30:31], v[2:3]
	global_store_b128 v[8:9], v[0:3], off
	s_branch .LBB1940_4
.LBB1940_17:
	s_endpgm
	.section	.rodata,"a",@progbits
	.p2align	6, 0x0
	.amdhsa_kernel _ZL26rocblas_syr2k_her2k_kernelIiLb1ELb1ELb0ELi32E19rocblas_complex_numIdEPKPKS1_PKPS1_EvbiT_T4_T5_S9_lSB_S9_lT6_S9_li
		.amdhsa_group_segment_fixed_size 32768
		.amdhsa_private_segment_fixed_size 0
		.amdhsa_kernarg_size 108
		.amdhsa_user_sgpr_count 13
		.amdhsa_user_sgpr_dispatch_ptr 0
		.amdhsa_user_sgpr_queue_ptr 0
		.amdhsa_user_sgpr_kernarg_segment_ptr 1
		.amdhsa_user_sgpr_dispatch_id 0
		.amdhsa_user_sgpr_private_segment_size 0
		.amdhsa_wavefront_size32 1
		.amdhsa_uses_dynamic_stack 0
		.amdhsa_enable_private_segment 0
		.amdhsa_system_sgpr_workgroup_id_x 1
		.amdhsa_system_sgpr_workgroup_id_y 1
		.amdhsa_system_sgpr_workgroup_id_z 1
		.amdhsa_system_sgpr_workgroup_info 0
		.amdhsa_system_vgpr_workitem_id 1
		.amdhsa_next_free_vgpr 64
		.amdhsa_next_free_sgpr 27
		.amdhsa_reserve_vcc 1
		.amdhsa_float_round_mode_32 0
		.amdhsa_float_round_mode_16_64 0
		.amdhsa_float_denorm_mode_32 3
		.amdhsa_float_denorm_mode_16_64 3
		.amdhsa_dx10_clamp 1
		.amdhsa_ieee_mode 1
		.amdhsa_fp16_overflow 0
		.amdhsa_workgroup_processor_mode 1
		.amdhsa_memory_ordered 1
		.amdhsa_forward_progress 0
		.amdhsa_shared_vgpr_count 0
		.amdhsa_exception_fp_ieee_invalid_op 0
		.amdhsa_exception_fp_denorm_src 0
		.amdhsa_exception_fp_ieee_div_zero 0
		.amdhsa_exception_fp_ieee_overflow 0
		.amdhsa_exception_fp_ieee_underflow 0
		.amdhsa_exception_fp_ieee_inexact 0
		.amdhsa_exception_int_div_zero 0
	.end_amdhsa_kernel
	.section	.text._ZL26rocblas_syr2k_her2k_kernelIiLb1ELb1ELb0ELi32E19rocblas_complex_numIdEPKPKS1_PKPS1_EvbiT_T4_T5_S9_lSB_S9_lT6_S9_li,"axG",@progbits,_ZL26rocblas_syr2k_her2k_kernelIiLb1ELb1ELb0ELi32E19rocblas_complex_numIdEPKPKS1_PKPS1_EvbiT_T4_T5_S9_lSB_S9_lT6_S9_li,comdat
.Lfunc_end1940:
	.size	_ZL26rocblas_syr2k_her2k_kernelIiLb1ELb1ELb0ELi32E19rocblas_complex_numIdEPKPKS1_PKPS1_EvbiT_T4_T5_S9_lSB_S9_lT6_S9_li, .Lfunc_end1940-_ZL26rocblas_syr2k_her2k_kernelIiLb1ELb1ELb0ELi32E19rocblas_complex_numIdEPKPKS1_PKPS1_EvbiT_T4_T5_S9_lSB_S9_lT6_S9_li
                                        ; -- End function
	.section	.AMDGPU.csdata,"",@progbits
; Kernel info:
; codeLenInByte = 5576
; NumSgprs: 29
; NumVgprs: 64
; ScratchSize: 0
; MemoryBound: 1
; FloatMode: 240
; IeeeMode: 1
; LDSByteSize: 32768 bytes/workgroup (compile time only)
; SGPRBlocks: 3
; VGPRBlocks: 7
; NumSGPRsForWavesPerEU: 29
; NumVGPRsForWavesPerEU: 64
; Occupancy: 16
; WaveLimiterHint : 1
; COMPUTE_PGM_RSRC2:SCRATCH_EN: 0
; COMPUTE_PGM_RSRC2:USER_SGPR: 13
; COMPUTE_PGM_RSRC2:TRAP_HANDLER: 0
; COMPUTE_PGM_RSRC2:TGID_X_EN: 1
; COMPUTE_PGM_RSRC2:TGID_Y_EN: 1
; COMPUTE_PGM_RSRC2:TGID_Z_EN: 1
; COMPUTE_PGM_RSRC2:TIDIG_COMP_CNT: 1
	.section	.text._ZL26rocblas_syr2k_her2k_kernelIiLb1ELb1ELb1ELi32E19rocblas_complex_numIdEPKPKS1_PKPS1_EvbiT_T4_T5_S9_lSB_S9_lT6_S9_li,"axG",@progbits,_ZL26rocblas_syr2k_her2k_kernelIiLb1ELb1ELb1ELi32E19rocblas_complex_numIdEPKPKS1_PKPS1_EvbiT_T4_T5_S9_lSB_S9_lT6_S9_li,comdat
	.globl	_ZL26rocblas_syr2k_her2k_kernelIiLb1ELb1ELb1ELi32E19rocblas_complex_numIdEPKPKS1_PKPS1_EvbiT_T4_T5_S9_lSB_S9_lT6_S9_li ; -- Begin function _ZL26rocblas_syr2k_her2k_kernelIiLb1ELb1ELb1ELi32E19rocblas_complex_numIdEPKPKS1_PKPS1_EvbiT_T4_T5_S9_lSB_S9_lT6_S9_li
	.p2align	8
	.type	_ZL26rocblas_syr2k_her2k_kernelIiLb1ELb1ELb1ELi32E19rocblas_complex_numIdEPKPKS1_PKPS1_EvbiT_T4_T5_S9_lSB_S9_lT6_S9_li,@function
_ZL26rocblas_syr2k_her2k_kernelIiLb1ELb1ELb1ELi32E19rocblas_complex_numIdEPKPKS1_PKPS1_EvbiT_T4_T5_S9_lSB_S9_lT6_S9_li: ; @_ZL26rocblas_syr2k_her2k_kernelIiLb1ELb1ELb1ELi32E19rocblas_complex_numIdEPKPKS1_PKPS1_EvbiT_T4_T5_S9_lSB_S9_lT6_S9_li
; %bb.0:
	s_load_b128 s[4:7], s[0:1], 0x10
	s_waitcnt lgkmcnt(0)
	v_cmp_eq_f64_e64 s3, s[4:5], 0
	v_cmp_eq_f64_e64 s8, s[6:7], 0
	s_delay_alu instid0(VALU_DEP_1) | instskip(NEXT) | instid1(SALU_CYCLE_1)
	s_and_b32 s3, s3, s8
	s_and_b32 vcc_lo, exec_lo, s3
	s_cbranch_vccnz .LBB1941_17
; %bb.1:
	s_load_b128 s[8:11], s[0:1], 0x0
	s_waitcnt lgkmcnt(0)
	s_lshl_b32 s11, s14, 5
	s_and_b32 s3, 1, s8
	s_lshl_b32 s8, s13, 5
	s_cmp_eq_u32 s3, 1
	s_cselect_b32 vcc_lo, -1, 0
	s_delay_alu instid0(SALU_CYCLE_1) | instskip(SKIP_2) | instid1(SALU_CYCLE_1)
	s_and_b32 s3, vcc_lo, exec_lo
	s_cselect_b32 s3, s8, s11
	s_cselect_b32 s12, s11, s8
	s_cmp_gt_i32 s3, s12
	s_cbranch_scc1 .LBB1941_17
; %bb.2:
	s_cmp_lt_i32 s10, 1
	s_cbranch_scc1 .LBB1941_17
; %bb.3:
	s_mov_b32 s2, s15
	s_clause 0x5
	s_load_b64 s[20:21], s[0:1], 0x20
	s_load_b128 s[16:19], s[0:1], 0x30
	s_load_b32 s24, s[0:1], 0x28
	s_load_b32 s25, s[0:1], 0x40
	s_load_b128 s[12:15], s[0:1], 0x48
	s_load_b32 s26, s[0:1], 0x58
	s_mov_b32 s3, 0
	s_load_b64 s[22:23], s[0:1], 0x60
	s_lshl_b64 s[0:1], s[2:3], 3
	v_and_b32_e32 v15, 0x3ff, v0
	v_bfe_u32 v14, v0, 10, 10
	s_delay_alu instid0(VALU_DEP_2) | instskip(NEXT) | instid1(VALU_DEP_2)
	v_add_nc_u32_e32 v0, s8, v15
	v_add_nc_u32_e32 v8, s11, v14
	v_lshlrev_b32_e32 v9, 4, v14
	v_lshlrev_b32_e32 v16, 9, v15
	s_delay_alu instid0(VALU_DEP_4) | instskip(NEXT) | instid1(VALU_DEP_4)
	v_ashrrev_i32_e32 v1, 31, v0
	v_cndmask_b32_e32 v11, v8, v0, vcc_lo
	s_waitcnt lgkmcnt(0)
	s_add_u32 s20, s20, s0
	s_addc_u32 s21, s21, s1
	s_add_u32 s18, s18, s0
	s_load_b64 s[20:21], s[20:21], 0x0
	s_addc_u32 s19, s19, s1
	s_add_u32 s0, s14, s0
	s_load_b64 s[18:19], s[18:19], 0x0
	s_addc_u32 s1, s15, s1
	v_mad_i64_i32 v[2:3], null, s24, v0, 0
	s_load_b64 s[14:15], s[0:1], 0x0
	v_mad_i64_i32 v[4:5], null, s25, v8, 0
	v_mad_i64_i32 v[6:7], null, s26, v8, 0
	v_cndmask_b32_e32 v10, v0, v8, vcc_lo
	s_delay_alu instid0(VALU_DEP_4)
	v_lshlrev_b64 v[2:3], 4, v[2:3]
	v_cmp_gt_i32_e32 vcc_lo, s9, v0
	v_cmp_gt_i32_e64 s0, s9, v8
	s_lshl_b64 s[8:9], s[16:17], 4
	v_lshlrev_b64 v[4:5], 4, v[4:5]
	v_add_nc_u32_e32 v17, v16, v9
	v_or_b32_e32 v20, 0x4000, v9
	s_waitcnt lgkmcnt(0)
	s_add_u32 s11, s20, s8
	s_addc_u32 s16, s21, s9
	s_lshl_b64 s[8:9], s[12:13], 4
	v_add_co_u32 v18, s1, s11, v2
	s_add_u32 s12, s18, s8
	v_add_co_ci_u32_e64 v19, s1, s16, v3, s1
	s_addc_u32 s13, s19, s9
	v_add_co_u32 v21, s1, s12, v4
	v_lshlrev_b64 v[2:3], 4, v[6:7]
	s_lshl_b64 s[8:9], s[22:23], 4
	v_add_co_ci_u32_e64 v22, s1, s13, v5, s1
	v_mad_i64_i32 v[4:5], null, s25, v0, 0
	s_add_u32 s2, s14, s8
	v_lshlrev_b64 v[0:1], 4, v[0:1]
	v_mad_i64_i32 v[6:7], null, s24, v8, 0
	s_addc_u32 s8, s15, s9
	v_add_co_u32 v8, s2, s2, v2
	s_delay_alu instid0(VALU_DEP_1) | instskip(SKIP_1) | instid1(VALU_DEP_3)
	v_add_co_ci_u32_e64 v9, s2, s8, v3, s2
	v_lshlrev_b64 v[2:3], 4, v[4:5]
	v_add_co_u32 v8, s2, v8, v0
	s_delay_alu instid0(VALU_DEP_1) | instskip(SKIP_1) | instid1(VALU_DEP_4)
	v_add_co_ci_u32_e64 v9, s2, v9, v1, s2
	v_lshlrev_b64 v[0:1], 4, v[6:7]
	v_add_co_u32 v24, s2, s12, v2
	s_delay_alu instid0(VALU_DEP_1) | instskip(SKIP_1) | instid1(VALU_DEP_4)
	v_add_co_ci_u32_e64 v25, s2, s13, v3, s2
	v_cmp_le_i32_e64 s1, v11, v10
	v_add_co_u32 v26, s2, s11, v0
	v_add_nc_u32_e32 v23, v20, v16
	v_add_co_ci_u32_e64 v27, s2, s16, v1, s2
	s_and_b32 s2, s0, vcc_lo
	s_delay_alu instid0(SALU_CYCLE_1)
	s_and_b32 s2, s2, s1
	s_branch .LBB1941_5
.LBB1941_4:                             ;   in Loop: Header=BB1941_5 Depth=1
	s_or_b32 exec_lo, exec_lo, s1
	s_add_i32 s3, s3, 32
	s_waitcnt_vscnt null, 0x0
	s_cmp_lt_i32 s3, s10
	s_barrier
	buffer_gl0_inv
	s_cbranch_scc0 .LBB1941_17
.LBB1941_5:                             ; =>This Inner Loop Header: Depth=1
	v_add_nc_u32_e32 v10, s3, v14
	v_mov_b32_e32 v0, 0
	v_mov_b32_e32 v1, 0
	s_delay_alu instid0(VALU_DEP_3) | instskip(NEXT) | instid1(VALU_DEP_2)
	v_cmp_gt_i32_e64 s1, s10, v10
	v_dual_mov_b32 v5, v1 :: v_dual_mov_b32 v4, v0
	v_dual_mov_b32 v7, v1 :: v_dual_mov_b32 v6, v0
	s_delay_alu instid0(VALU_DEP_3) | instskip(NEXT) | instid1(SALU_CYCLE_1)
	s_and_b32 s8, vcc_lo, s1
	s_and_saveexec_b32 s9, s8
	s_cbranch_execz .LBB1941_7
; %bb.6:                                ;   in Loop: Header=BB1941_5 Depth=1
	v_ashrrev_i32_e32 v11, 31, v10
	s_delay_alu instid0(VALU_DEP_1) | instskip(NEXT) | instid1(VALU_DEP_1)
	v_lshlrev_b64 v[2:3], 4, v[10:11]
	v_add_co_u32 v2, s1, v18, v2
	s_delay_alu instid0(VALU_DEP_1)
	v_add_co_ci_u32_e64 v3, s1, v19, v3, s1
	global_load_b128 v[4:7], v[2:3], off
	s_waitcnt vmcnt(0)
	v_xor_b32_e32 v7, 0x80000000, v7
.LBB1941_7:                             ;   in Loop: Header=BB1941_5 Depth=1
	s_or_b32 exec_lo, exec_lo, s9
	v_dual_mov_b32 v3, v1 :: v_dual_add_nc_u32 v12, s3, v15
	v_mov_b32_e32 v2, v0
	ds_store_b128 v17, v[4:7]
	v_cmp_gt_i32_e64 s1, s10, v12
	s_delay_alu instid0(VALU_DEP_1) | instskip(NEXT) | instid1(SALU_CYCLE_1)
	s_and_b32 s9, s0, s1
	s_and_saveexec_b32 s11, s9
	s_cbranch_execz .LBB1941_9
; %bb.8:                                ;   in Loop: Header=BB1941_5 Depth=1
	v_ashrrev_i32_e32 v13, 31, v12
	s_delay_alu instid0(VALU_DEP_1) | instskip(NEXT) | instid1(VALU_DEP_1)
	v_lshlrev_b64 v[0:1], 4, v[12:13]
	v_add_co_u32 v0, s1, v21, v0
	s_delay_alu instid0(VALU_DEP_1)
	v_add_co_ci_u32_e64 v1, s1, v22, v1, s1
	global_load_b128 v[0:3], v[0:1], off
.LBB1941_9:                             ;   in Loop: Header=BB1941_5 Depth=1
	s_or_b32 exec_lo, exec_lo, s11
	s_waitcnt vmcnt(0)
	ds_store_b128 v23, v[0:3]
	s_waitcnt lgkmcnt(0)
	s_barrier
	buffer_gl0_inv
	s_and_saveexec_b32 s1, s2
	s_cbranch_execz .LBB1941_11
; %bb.10:                               ;   in Loop: Header=BB1941_5 Depth=1
	ds_load_b128 v[0:3], v20
	ds_load_b128 v[4:7], v16
	ds_load_b128 v[28:31], v16 offset:16
	ds_load_b128 v[32:35], v20 offset:512
	s_waitcnt lgkmcnt(2)
	v_mul_f64 v[36:37], v[0:1], v[6:7]
	v_mul_f64 v[6:7], v[2:3], v[6:7]
	s_waitcnt lgkmcnt(0)
	v_mul_f64 v[52:53], v[32:33], v[30:31]
	v_mul_f64 v[30:31], v[34:35], v[30:31]
	s_delay_alu instid0(VALU_DEP_4)
	v_fma_f64 v[2:3], v[2:3], v[4:5], v[36:37]
	ds_load_b128 v[36:39], v20 offset:1024
	ds_load_b128 v[40:43], v16 offset:32
	;; [unrolled: 1-line block ×4, first 2 shown]
	v_fma_f64 v[0:1], v[0:1], v[4:5], -v[6:7]
	v_fma_f64 v[4:5], v[34:35], v[28:29], v[52:53]
	v_fma_f64 v[56:57], v[32:33], v[28:29], -v[30:31]
	s_waitcnt lgkmcnt(2)
	v_mul_f64 v[54:55], v[36:37], v[42:43]
	v_mul_f64 v[42:43], v[38:39], v[42:43]
	s_waitcnt lgkmcnt(0)
	v_mul_f64 v[52:53], v[48:49], v[46:47]
	v_mul_f64 v[46:47], v[50:51], v[46:47]
	v_add_f64 v[2:3], v[2:3], 0
	v_fma_f64 v[38:39], v[38:39], v[40:41], v[54:55]
	v_add_f64 v[54:55], v[0:1], 0
	v_fma_f64 v[36:37], v[36:37], v[40:41], -v[42:43]
	v_fma_f64 v[40:41], v[50:51], v[44:45], v[52:53]
	v_add_f64 v[58:59], v[2:3], v[4:5]
	ds_load_b128 v[0:3], v16 offset:64
	ds_load_b128 v[4:7], v20 offset:2048
	ds_load_b128 v[28:31], v20 offset:2560
	ds_load_b128 v[32:35], v16 offset:80
	s_waitcnt lgkmcnt(2)
	v_mul_f64 v[60:61], v[4:5], v[2:3]
	v_add_f64 v[42:43], v[54:55], v[56:57]
	v_mul_f64 v[2:3], v[6:7], v[2:3]
	s_waitcnt lgkmcnt(0)
	v_mul_f64 v[52:53], v[28:29], v[34:35]
	v_fma_f64 v[54:55], v[48:49], v[44:45], -v[46:47]
	v_mul_f64 v[34:35], v[30:31], v[34:35]
	v_add_f64 v[38:39], v[58:59], v[38:39]
	v_fma_f64 v[6:7], v[6:7], v[0:1], v[60:61]
	v_add_f64 v[56:57], v[42:43], v[36:37]
	v_fma_f64 v[0:1], v[4:5], v[0:1], -v[2:3]
	v_fma_f64 v[2:3], v[30:31], v[32:33], v[52:53]
	v_add_f64 v[58:59], v[38:39], v[40:41]
	ds_load_b128 v[36:39], v16 offset:96
	ds_load_b128 v[40:43], v20 offset:3072
	ds_load_b128 v[44:47], v20 offset:3584
	ds_load_b128 v[48:51], v16 offset:112
	s_waitcnt lgkmcnt(2)
	v_mul_f64 v[60:61], v[40:41], v[38:39]
	v_add_f64 v[4:5], v[56:57], v[54:55]
	v_mul_f64 v[38:39], v[42:43], v[38:39]
	s_waitcnt lgkmcnt(0)
	v_mul_f64 v[52:53], v[44:45], v[50:51]
	v_fma_f64 v[54:55], v[28:29], v[32:33], -v[34:35]
	v_mul_f64 v[50:51], v[46:47], v[50:51]
	v_add_f64 v[6:7], v[58:59], v[6:7]
	v_fma_f64 v[42:43], v[42:43], v[36:37], v[60:61]
	v_add_f64 v[56:57], v[4:5], v[0:1]
	v_fma_f64 v[36:37], v[40:41], v[36:37], -v[38:39]
	v_fma_f64 v[38:39], v[46:47], v[48:49], v[52:53]
	v_add_f64 v[58:59], v[6:7], v[2:3]
	ds_load_b128 v[0:3], v16 offset:128
	ds_load_b128 v[4:7], v20 offset:4096
	ds_load_b128 v[28:31], v20 offset:4608
	ds_load_b128 v[32:35], v16 offset:144
	s_waitcnt lgkmcnt(2)
	v_mul_f64 v[60:61], v[4:5], v[2:3]
	v_add_f64 v[40:41], v[56:57], v[54:55]
	v_mul_f64 v[2:3], v[6:7], v[2:3]
	s_waitcnt lgkmcnt(0)
	v_mul_f64 v[52:53], v[28:29], v[34:35]
	v_fma_f64 v[54:55], v[44:45], v[48:49], -v[50:51]
	v_mul_f64 v[34:35], v[30:31], v[34:35]
	v_add_f64 v[42:43], v[58:59], v[42:43]
	v_fma_f64 v[6:7], v[6:7], v[0:1], v[60:61]
	v_add_f64 v[56:57], v[40:41], v[36:37]
	v_fma_f64 v[0:1], v[4:5], v[0:1], -v[2:3]
	v_fma_f64 v[2:3], v[30:31], v[32:33], v[52:53]
	v_add_f64 v[58:59], v[42:43], v[38:39]
	ds_load_b128 v[36:39], v16 offset:160
	ds_load_b128 v[40:43], v20 offset:5120
	ds_load_b128 v[44:47], v20 offset:5632
	ds_load_b128 v[48:51], v16 offset:176
	s_waitcnt lgkmcnt(2)
	v_mul_f64 v[60:61], v[40:41], v[38:39]
	v_add_f64 v[4:5], v[56:57], v[54:55]
	v_mul_f64 v[38:39], v[42:43], v[38:39]
	s_waitcnt lgkmcnt(0)
	v_mul_f64 v[52:53], v[44:45], v[50:51]
	v_fma_f64 v[54:55], v[28:29], v[32:33], -v[34:35]
	v_mul_f64 v[50:51], v[46:47], v[50:51]
	v_add_f64 v[6:7], v[58:59], v[6:7]
	v_fma_f64 v[42:43], v[42:43], v[36:37], v[60:61]
	v_add_f64 v[56:57], v[4:5], v[0:1]
	v_fma_f64 v[36:37], v[40:41], v[36:37], -v[38:39]
	v_fma_f64 v[38:39], v[46:47], v[48:49], v[52:53]
	v_add_f64 v[58:59], v[6:7], v[2:3]
	ds_load_b128 v[0:3], v16 offset:192
	ds_load_b128 v[4:7], v20 offset:6144
	ds_load_b128 v[28:31], v20 offset:6656
	ds_load_b128 v[32:35], v16 offset:208
	s_waitcnt lgkmcnt(2)
	v_mul_f64 v[60:61], v[4:5], v[2:3]
	v_add_f64 v[40:41], v[56:57], v[54:55]
	v_mul_f64 v[2:3], v[6:7], v[2:3]
	s_waitcnt lgkmcnt(0)
	v_mul_f64 v[52:53], v[28:29], v[34:35]
	v_fma_f64 v[54:55], v[44:45], v[48:49], -v[50:51]
	v_mul_f64 v[34:35], v[30:31], v[34:35]
	v_add_f64 v[42:43], v[58:59], v[42:43]
	v_fma_f64 v[6:7], v[6:7], v[0:1], v[60:61]
	v_add_f64 v[56:57], v[40:41], v[36:37]
	v_fma_f64 v[0:1], v[4:5], v[0:1], -v[2:3]
	v_fma_f64 v[2:3], v[30:31], v[32:33], v[52:53]
	v_add_f64 v[58:59], v[42:43], v[38:39]
	ds_load_b128 v[36:39], v16 offset:224
	ds_load_b128 v[40:43], v20 offset:7168
	ds_load_b128 v[44:47], v20 offset:7680
	ds_load_b128 v[48:51], v16 offset:240
	s_waitcnt lgkmcnt(2)
	v_mul_f64 v[60:61], v[40:41], v[38:39]
	v_add_f64 v[4:5], v[56:57], v[54:55]
	v_mul_f64 v[38:39], v[42:43], v[38:39]
	s_waitcnt lgkmcnt(0)
	v_mul_f64 v[52:53], v[44:45], v[50:51]
	v_fma_f64 v[54:55], v[28:29], v[32:33], -v[34:35]
	v_mul_f64 v[50:51], v[46:47], v[50:51]
	v_add_f64 v[6:7], v[58:59], v[6:7]
	v_fma_f64 v[42:43], v[42:43], v[36:37], v[60:61]
	v_add_f64 v[56:57], v[4:5], v[0:1]
	v_fma_f64 v[36:37], v[40:41], v[36:37], -v[38:39]
	v_fma_f64 v[38:39], v[46:47], v[48:49], v[52:53]
	v_add_f64 v[58:59], v[6:7], v[2:3]
	ds_load_b128 v[0:3], v16 offset:256
	ds_load_b128 v[4:7], v20 offset:8192
	ds_load_b128 v[28:31], v20 offset:8704
	ds_load_b128 v[32:35], v16 offset:272
	s_waitcnt lgkmcnt(2)
	v_mul_f64 v[60:61], v[4:5], v[2:3]
	v_add_f64 v[40:41], v[56:57], v[54:55]
	v_mul_f64 v[2:3], v[6:7], v[2:3]
	s_waitcnt lgkmcnt(0)
	v_mul_f64 v[52:53], v[28:29], v[34:35]
	v_fma_f64 v[54:55], v[44:45], v[48:49], -v[50:51]
	v_mul_f64 v[34:35], v[30:31], v[34:35]
	v_add_f64 v[42:43], v[58:59], v[42:43]
	v_fma_f64 v[6:7], v[6:7], v[0:1], v[60:61]
	v_add_f64 v[56:57], v[40:41], v[36:37]
	v_fma_f64 v[0:1], v[4:5], v[0:1], -v[2:3]
	v_fma_f64 v[2:3], v[30:31], v[32:33], v[52:53]
	v_add_f64 v[58:59], v[42:43], v[38:39]
	ds_load_b128 v[36:39], v16 offset:288
	ds_load_b128 v[40:43], v20 offset:9216
	ds_load_b128 v[44:47], v20 offset:9728
	ds_load_b128 v[48:51], v16 offset:304
	s_waitcnt lgkmcnt(2)
	v_mul_f64 v[60:61], v[40:41], v[38:39]
	v_add_f64 v[4:5], v[56:57], v[54:55]
	v_mul_f64 v[38:39], v[42:43], v[38:39]
	s_waitcnt lgkmcnt(0)
	v_mul_f64 v[52:53], v[44:45], v[50:51]
	v_fma_f64 v[54:55], v[28:29], v[32:33], -v[34:35]
	v_mul_f64 v[50:51], v[46:47], v[50:51]
	v_add_f64 v[6:7], v[58:59], v[6:7]
	v_fma_f64 v[42:43], v[42:43], v[36:37], v[60:61]
	v_add_f64 v[56:57], v[4:5], v[0:1]
	v_fma_f64 v[36:37], v[40:41], v[36:37], -v[38:39]
	v_fma_f64 v[38:39], v[46:47], v[48:49], v[52:53]
	v_add_f64 v[58:59], v[6:7], v[2:3]
	ds_load_b128 v[0:3], v16 offset:320
	ds_load_b128 v[4:7], v20 offset:10240
	ds_load_b128 v[28:31], v20 offset:10752
	ds_load_b128 v[32:35], v16 offset:336
	s_waitcnt lgkmcnt(2)
	v_mul_f64 v[60:61], v[4:5], v[2:3]
	v_add_f64 v[40:41], v[56:57], v[54:55]
	v_mul_f64 v[2:3], v[6:7], v[2:3]
	s_waitcnt lgkmcnt(0)
	v_mul_f64 v[52:53], v[28:29], v[34:35]
	v_fma_f64 v[54:55], v[44:45], v[48:49], -v[50:51]
	v_mul_f64 v[34:35], v[30:31], v[34:35]
	v_add_f64 v[42:43], v[58:59], v[42:43]
	v_fma_f64 v[6:7], v[6:7], v[0:1], v[60:61]
	v_add_f64 v[56:57], v[40:41], v[36:37]
	v_fma_f64 v[0:1], v[4:5], v[0:1], -v[2:3]
	v_fma_f64 v[2:3], v[30:31], v[32:33], v[52:53]
	v_add_f64 v[58:59], v[42:43], v[38:39]
	ds_load_b128 v[36:39], v16 offset:352
	ds_load_b128 v[40:43], v20 offset:11264
	ds_load_b128 v[44:47], v20 offset:11776
	ds_load_b128 v[48:51], v16 offset:368
	s_waitcnt lgkmcnt(2)
	v_mul_f64 v[60:61], v[40:41], v[38:39]
	v_add_f64 v[4:5], v[56:57], v[54:55]
	v_mul_f64 v[38:39], v[42:43], v[38:39]
	s_waitcnt lgkmcnt(0)
	v_mul_f64 v[52:53], v[44:45], v[50:51]
	v_fma_f64 v[54:55], v[28:29], v[32:33], -v[34:35]
	v_mul_f64 v[50:51], v[46:47], v[50:51]
	v_add_f64 v[6:7], v[58:59], v[6:7]
	v_fma_f64 v[42:43], v[42:43], v[36:37], v[60:61]
	v_add_f64 v[56:57], v[4:5], v[0:1]
	v_fma_f64 v[36:37], v[40:41], v[36:37], -v[38:39]
	v_fma_f64 v[38:39], v[46:47], v[48:49], v[52:53]
	v_add_f64 v[58:59], v[6:7], v[2:3]
	ds_load_b128 v[0:3], v16 offset:384
	ds_load_b128 v[4:7], v20 offset:12288
	ds_load_b128 v[28:31], v20 offset:12800
	ds_load_b128 v[32:35], v16 offset:400
	s_waitcnt lgkmcnt(2)
	v_mul_f64 v[60:61], v[4:5], v[2:3]
	v_add_f64 v[40:41], v[56:57], v[54:55]
	v_mul_f64 v[2:3], v[6:7], v[2:3]
	s_waitcnt lgkmcnt(0)
	v_mul_f64 v[52:53], v[28:29], v[34:35]
	v_fma_f64 v[54:55], v[44:45], v[48:49], -v[50:51]
	v_mul_f64 v[34:35], v[30:31], v[34:35]
	v_add_f64 v[42:43], v[58:59], v[42:43]
	v_fma_f64 v[6:7], v[6:7], v[0:1], v[60:61]
	v_add_f64 v[56:57], v[40:41], v[36:37]
	v_fma_f64 v[0:1], v[4:5], v[0:1], -v[2:3]
	v_fma_f64 v[2:3], v[30:31], v[32:33], v[52:53]
	v_add_f64 v[58:59], v[42:43], v[38:39]
	ds_load_b128 v[36:39], v16 offset:416
	ds_load_b128 v[40:43], v20 offset:13312
	;; [unrolled: 1-line block ×4, first 2 shown]
	s_waitcnt lgkmcnt(2)
	v_mul_f64 v[60:61], v[40:41], v[38:39]
	v_add_f64 v[4:5], v[56:57], v[54:55]
	v_mul_f64 v[38:39], v[42:43], v[38:39]
	s_waitcnt lgkmcnt(0)
	v_mul_f64 v[56:57], v[44:45], v[50:51]
	v_mul_f64 v[50:51], v[46:47], v[50:51]
	v_add_f64 v[6:7], v[58:59], v[6:7]
	v_fma_f64 v[58:59], v[28:29], v[32:33], -v[34:35]
	v_fma_f64 v[42:43], v[42:43], v[36:37], v[60:61]
	v_add_f64 v[60:61], v[4:5], v[0:1]
	v_fma_f64 v[36:37], v[40:41], v[36:37], -v[38:39]
	v_fma_f64 v[38:39], v[46:47], v[48:49], v[56:57]
	v_add_f64 v[62:63], v[6:7], v[2:3]
	ds_load_b128 v[0:3], v16 offset:448
	ds_load_b128 v[4:7], v20 offset:14336
	global_load_b128 v[28:31], v[8:9], off
	ds_load_b128 v[32:35], v20 offset:14848
	ds_load_b128 v[52:55], v16 offset:464
	v_add_f64 v[40:41], v[60:61], v[58:59]
	s_waitcnt lgkmcnt(2)
	v_mul_f64 v[64:65], v[4:5], v[2:3]
	v_mul_f64 v[2:3], v[6:7], v[2:3]
	s_waitcnt lgkmcnt(0)
	v_mul_f64 v[56:57], v[32:33], v[54:55]
	v_fma_f64 v[58:59], v[44:45], v[48:49], -v[50:51]
	v_mul_f64 v[54:55], v[34:35], v[54:55]
	v_add_f64 v[42:43], v[62:63], v[42:43]
	v_add_f64 v[60:61], v[40:41], v[36:37]
	v_fma_f64 v[6:7], v[6:7], v[0:1], v[64:65]
	v_fma_f64 v[0:1], v[4:5], v[0:1], -v[2:3]
	v_fma_f64 v[2:3], v[34:35], v[52:53], v[56:57]
	v_fma_f64 v[32:33], v[32:33], v[52:53], -v[54:55]
	v_add_f64 v[62:63], v[42:43], v[38:39]
	ds_load_b128 v[36:39], v16 offset:480
	ds_load_b128 v[40:43], v20 offset:15360
	;; [unrolled: 1-line block ×4, first 2 shown]
	s_waitcnt lgkmcnt(2)
	v_mul_f64 v[64:65], v[40:41], v[38:39]
	v_add_f64 v[4:5], v[60:61], v[58:59]
	v_mul_f64 v[34:35], v[42:43], v[38:39]
	s_waitcnt lgkmcnt(0)
	v_mul_f64 v[38:39], v[44:45], v[50:51]
	v_add_f64 v[6:7], v[62:63], v[6:7]
	v_fma_f64 v[42:43], v[42:43], v[36:37], v[64:65]
	v_add_f64 v[0:1], v[4:5], v[0:1]
	v_mul_f64 v[4:5], v[46:47], v[50:51]
	s_delay_alu instid0(VALU_DEP_4)
	v_add_f64 v[2:3], v[6:7], v[2:3]
	v_fma_f64 v[6:7], v[40:41], v[36:37], -v[34:35]
	v_fma_f64 v[34:35], v[46:47], v[48:49], v[38:39]
	v_add_f64 v[0:1], v[0:1], v[32:33]
	v_fma_f64 v[4:5], v[44:45], v[48:49], -v[4:5]
	v_add_f64 v[2:3], v[2:3], v[42:43]
	s_delay_alu instid0(VALU_DEP_3) | instskip(NEXT) | instid1(VALU_DEP_2)
	v_add_f64 v[0:1], v[0:1], v[6:7]
	v_add_f64 v[2:3], v[2:3], v[34:35]
	s_delay_alu instid0(VALU_DEP_2) | instskip(NEXT) | instid1(VALU_DEP_2)
	v_add_f64 v[0:1], v[0:1], v[4:5]
	v_mul_f64 v[4:5], s[6:7], v[2:3]
	v_mul_f64 v[2:3], s[4:5], v[2:3]
	s_delay_alu instid0(VALU_DEP_2) | instskip(NEXT) | instid1(VALU_DEP_2)
	v_fma_f64 v[4:5], s[4:5], v[0:1], -v[4:5]
	v_fma_f64 v[2:3], s[6:7], v[0:1], v[2:3]
	s_waitcnt vmcnt(0)
	s_delay_alu instid0(VALU_DEP_2) | instskip(NEXT) | instid1(VALU_DEP_2)
	v_add_f64 v[0:1], v[28:29], v[4:5]
	v_add_f64 v[2:3], v[30:31], v[2:3]
	global_store_b128 v[8:9], v[0:3], off
.LBB1941_11:                            ;   in Loop: Header=BB1941_5 Depth=1
	s_or_b32 exec_lo, exec_lo, s1
	v_mov_b32_e32 v2, 0
	v_mov_b32_e32 v3, 0
	s_waitcnt_vscnt null, 0x0
	s_barrier
	buffer_gl0_inv
	v_dual_mov_b32 v7, v3 :: v_dual_mov_b32 v6, v2
	v_dual_mov_b32 v5, v3 :: v_dual_mov_b32 v4, v2
	s_and_saveexec_b32 s11, s8
	s_cbranch_execz .LBB1941_13
; %bb.12:                               ;   in Loop: Header=BB1941_5 Depth=1
	v_ashrrev_i32_e32 v11, 31, v10
	s_delay_alu instid0(VALU_DEP_1) | instskip(NEXT) | instid1(VALU_DEP_1)
	v_lshlrev_b64 v[0:1], 4, v[10:11]
	v_add_co_u32 v0, s1, v24, v0
	s_delay_alu instid0(VALU_DEP_1)
	v_add_co_ci_u32_e64 v1, s1, v25, v1, s1
	global_load_b128 v[4:7], v[0:1], off
	s_waitcnt vmcnt(0)
	v_xor_b32_e32 v7, 0x80000000, v7
.LBB1941_13:                            ;   in Loop: Header=BB1941_5 Depth=1
	s_or_b32 exec_lo, exec_lo, s11
	v_dual_mov_b32 v0, v2 :: v_dual_mov_b32 v1, v3
	ds_store_b128 v17, v[4:7]
	s_and_saveexec_b32 s8, s9
	s_cbranch_execz .LBB1941_15
; %bb.14:                               ;   in Loop: Header=BB1941_5 Depth=1
	v_ashrrev_i32_e32 v13, 31, v12
	s_delay_alu instid0(VALU_DEP_1) | instskip(NEXT) | instid1(VALU_DEP_1)
	v_lshlrev_b64 v[0:1], 4, v[12:13]
	v_add_co_u32 v0, s1, v26, v0
	s_delay_alu instid0(VALU_DEP_1)
	v_add_co_ci_u32_e64 v1, s1, v27, v1, s1
	global_load_b128 v[0:3], v[0:1], off
.LBB1941_15:                            ;   in Loop: Header=BB1941_5 Depth=1
	s_or_b32 exec_lo, exec_lo, s8
	s_waitcnt vmcnt(0)
	ds_store_b128 v23, v[0:3]
	s_waitcnt lgkmcnt(0)
	s_barrier
	buffer_gl0_inv
	s_and_saveexec_b32 s1, s2
	s_cbranch_execz .LBB1941_4
; %bb.16:                               ;   in Loop: Header=BB1941_5 Depth=1
	ds_load_b128 v[0:3], v20
	ds_load_b128 v[4:7], v16
	ds_load_b128 v[10:13], v16 offset:16
	ds_load_b128 v[28:31], v20 offset:512
	s_waitcnt lgkmcnt(2)
	v_mul_f64 v[32:33], v[2:3], v[6:7]
	v_mul_f64 v[6:7], v[0:1], v[6:7]
	s_waitcnt lgkmcnt(0)
	v_mul_f64 v[48:49], v[30:31], v[12:13]
	v_mul_f64 v[12:13], v[28:29], v[12:13]
	s_delay_alu instid0(VALU_DEP_4)
	v_fma_f64 v[0:1], v[0:1], v[4:5], -v[32:33]
	ds_load_b128 v[32:35], v20 offset:1024
	ds_load_b128 v[36:39], v16 offset:32
	;; [unrolled: 1-line block ×4, first 2 shown]
	v_fma_f64 v[2:3], v[2:3], v[4:5], v[6:7]
	v_fma_f64 v[4:5], v[28:29], v[10:11], -v[48:49]
	v_fma_f64 v[52:53], v[30:31], v[10:11], v[12:13]
	s_waitcnt lgkmcnt(2)
	v_mul_f64 v[50:51], v[34:35], v[38:39]
	v_mul_f64 v[38:39], v[32:33], v[38:39]
	s_waitcnt lgkmcnt(0)
	v_mul_f64 v[48:49], v[46:47], v[42:43]
	v_mul_f64 v[42:43], v[44:45], v[42:43]
	v_add_f64 v[0:1], v[0:1], 0
	v_fma_f64 v[32:33], v[32:33], v[36:37], -v[50:51]
	v_add_f64 v[50:51], v[2:3], 0
	v_fma_f64 v[34:35], v[34:35], v[36:37], v[38:39]
	v_fma_f64 v[36:37], v[44:45], v[40:41], -v[48:49]
	v_fma_f64 v[46:47], v[46:47], v[40:41], v[42:43]
	v_add_f64 v[54:55], v[0:1], v[4:5]
	ds_load_b128 v[0:3], v16 offset:64
	ds_load_b128 v[4:7], v20 offset:2048
	;; [unrolled: 1-line block ×4, first 2 shown]
	s_waitcnt lgkmcnt(2)
	v_mul_f64 v[56:57], v[6:7], v[2:3]
	v_add_f64 v[38:39], v[50:51], v[52:53]
	v_mul_f64 v[44:45], v[4:5], v[2:3]
	s_waitcnt lgkmcnt(0)
	v_mul_f64 v[48:49], v[12:13], v[30:31]
	v_mul_f64 v[30:31], v[10:11], v[30:31]
	v_add_f64 v[32:33], v[54:55], v[32:33]
	v_fma_f64 v[50:51], v[4:5], v[0:1], -v[56:57]
	v_add_f64 v[52:53], v[38:39], v[34:35]
	v_fma_f64 v[0:1], v[6:7], v[0:1], v[44:45]
	v_fma_f64 v[6:7], v[10:11], v[28:29], -v[48:49]
	v_add_f64 v[54:55], v[32:33], v[36:37]
	ds_load_b128 v[2:5], v16 offset:96
	ds_load_b128 v[32:35], v20 offset:3072
	;; [unrolled: 1-line block ×4, first 2 shown]
	s_waitcnt lgkmcnt(2)
	v_mul_f64 v[56:57], v[34:35], v[4:5]
	v_add_f64 v[10:11], v[52:53], v[46:47]
	v_mul_f64 v[48:49], v[32:33], v[4:5]
	v_fma_f64 v[52:53], v[12:13], v[28:29], v[30:31]
	v_add_f64 v[44:45], v[54:55], v[50:51]
	s_waitcnt lgkmcnt(0)
	v_mul_f64 v[50:51], v[38:39], v[42:43]
	v_mul_f64 v[42:43], v[36:37], v[42:43]
	v_fma_f64 v[32:33], v[32:33], v[2:3], -v[56:57]
	v_add_f64 v[0:1], v[10:11], v[0:1]
	v_fma_f64 v[2:3], v[34:35], v[2:3], v[48:49]
	v_add_f64 v[54:55], v[44:45], v[6:7]
	ds_load_b128 v[4:7], v16 offset:128
	ds_load_b128 v[10:13], v20 offset:4096
	;; [unrolled: 1-line block ×4, first 2 shown]
	v_fma_f64 v[34:35], v[36:37], v[40:41], -v[50:51]
	v_fma_f64 v[50:51], v[38:39], v[40:41], v[42:43]
	s_waitcnt lgkmcnt(2)
	v_mul_f64 v[56:57], v[12:13], v[6:7]
	v_add_f64 v[0:1], v[0:1], v[52:53]
	v_mul_f64 v[6:7], v[10:11], v[6:7]
	s_waitcnt lgkmcnt(0)
	v_mul_f64 v[48:49], v[30:31], v[46:47]
	v_mul_f64 v[46:47], v[28:29], v[46:47]
	v_add_f64 v[32:33], v[54:55], v[32:33]
	v_fma_f64 v[10:11], v[10:11], v[4:5], -v[56:57]
	v_add_f64 v[52:53], v[0:1], v[2:3]
	v_fma_f64 v[4:5], v[12:13], v[4:5], v[6:7]
	v_fma_f64 v[6:7], v[28:29], v[44:45], -v[48:49]
	v_add_f64 v[54:55], v[32:33], v[34:35]
	ds_load_b128 v[0:3], v16 offset:160
	ds_load_b128 v[32:35], v20 offset:5120
	ds_load_b128 v[36:39], v20 offset:5632
	ds_load_b128 v[40:43], v16 offset:176
	s_waitcnt lgkmcnt(2)
	v_mul_f64 v[56:57], v[34:35], v[2:3]
	v_add_f64 v[12:13], v[52:53], v[50:51]
	v_mul_f64 v[48:49], v[32:33], v[2:3]
	s_waitcnt lgkmcnt(0)
	v_mul_f64 v[50:51], v[38:39], v[42:43]
	v_fma_f64 v[52:53], v[30:31], v[44:45], v[46:47]
	v_mul_f64 v[42:43], v[36:37], v[42:43]
	v_add_f64 v[10:11], v[54:55], v[10:11]
	v_fma_f64 v[32:33], v[32:33], v[0:1], -v[56:57]
	v_add_f64 v[54:55], v[12:13], v[4:5]
	v_fma_f64 v[0:1], v[34:35], v[0:1], v[48:49]
	v_fma_f64 v[34:35], v[36:37], v[40:41], -v[50:51]
	v_add_f64 v[6:7], v[10:11], v[6:7]
	ds_load_b128 v[2:5], v16 offset:192
	ds_load_b128 v[10:13], v20 offset:6144
	;; [unrolled: 1-line block ×4, first 2 shown]
	s_waitcnt lgkmcnt(2)
	v_mul_f64 v[56:57], v[12:13], v[4:5]
	v_add_f64 v[36:37], v[54:55], v[52:53]
	v_mul_f64 v[48:49], v[10:11], v[4:5]
	s_waitcnt lgkmcnt(0)
	v_mul_f64 v[50:51], v[30:31], v[46:47]
	v_fma_f64 v[52:53], v[38:39], v[40:41], v[42:43]
	v_mul_f64 v[46:47], v[28:29], v[46:47]
	v_add_f64 v[6:7], v[6:7], v[32:33]
	v_fma_f64 v[10:11], v[10:11], v[2:3], -v[56:57]
	v_add_f64 v[0:1], v[36:37], v[0:1]
	v_fma_f64 v[2:3], v[12:13], v[2:3], v[48:49]
	v_fma_f64 v[12:13], v[28:29], v[44:45], -v[50:51]
	v_fma_f64 v[50:51], v[30:31], v[44:45], v[46:47]
	v_add_f64 v[54:55], v[6:7], v[34:35]
	ds_load_b128 v[4:7], v16 offset:224
	ds_load_b128 v[32:35], v20 offset:7168
	;; [unrolled: 1-line block ×4, first 2 shown]
	s_waitcnt lgkmcnt(2)
	v_mul_f64 v[56:57], v[34:35], v[6:7]
	v_add_f64 v[0:1], v[0:1], v[52:53]
	v_mul_f64 v[6:7], v[32:33], v[6:7]
	s_waitcnt lgkmcnt(0)
	v_mul_f64 v[48:49], v[38:39], v[42:43]
	v_mul_f64 v[42:43], v[36:37], v[42:43]
	v_add_f64 v[10:11], v[54:55], v[10:11]
	v_fma_f64 v[32:33], v[32:33], v[4:5], -v[56:57]
	v_add_f64 v[52:53], v[0:1], v[2:3]
	v_fma_f64 v[4:5], v[34:35], v[4:5], v[6:7]
	v_fma_f64 v[6:7], v[36:37], v[40:41], -v[48:49]
	v_add_f64 v[54:55], v[10:11], v[12:13]
	ds_load_b128 v[0:3], v16 offset:256
	ds_load_b128 v[10:13], v20 offset:8192
	;; [unrolled: 1-line block ×4, first 2 shown]
	s_waitcnt lgkmcnt(2)
	v_mul_f64 v[56:57], v[12:13], v[2:3]
	v_add_f64 v[34:35], v[52:53], v[50:51]
	v_mul_f64 v[48:49], v[10:11], v[2:3]
	s_waitcnt lgkmcnt(0)
	v_mul_f64 v[50:51], v[30:31], v[46:47]
	v_fma_f64 v[52:53], v[38:39], v[40:41], v[42:43]
	v_mul_f64 v[46:47], v[28:29], v[46:47]
	v_add_f64 v[32:33], v[54:55], v[32:33]
	v_fma_f64 v[10:11], v[10:11], v[0:1], -v[56:57]
	v_add_f64 v[54:55], v[34:35], v[4:5]
	v_fma_f64 v[0:1], v[12:13], v[0:1], v[48:49]
	v_fma_f64 v[12:13], v[28:29], v[44:45], -v[50:51]
	v_add_f64 v[6:7], v[32:33], v[6:7]
	ds_load_b128 v[2:5], v16 offset:288
	ds_load_b128 v[32:35], v20 offset:9216
	;; [unrolled: 1-line block ×4, first 2 shown]
	s_waitcnt lgkmcnt(2)
	v_mul_f64 v[56:57], v[34:35], v[4:5]
	v_add_f64 v[28:29], v[54:55], v[52:53]
	v_mul_f64 v[48:49], v[32:33], v[4:5]
	s_waitcnt lgkmcnt(0)
	v_mul_f64 v[50:51], v[38:39], v[42:43]
	v_fma_f64 v[52:53], v[30:31], v[44:45], v[46:47]
	v_mul_f64 v[42:43], v[36:37], v[42:43]
	v_add_f64 v[6:7], v[6:7], v[10:11]
	v_fma_f64 v[32:33], v[32:33], v[2:3], -v[56:57]
	v_add_f64 v[0:1], v[28:29], v[0:1]
	v_fma_f64 v[2:3], v[34:35], v[2:3], v[48:49]
	v_fma_f64 v[34:35], v[36:37], v[40:41], -v[50:51]
	v_fma_f64 v[50:51], v[38:39], v[40:41], v[42:43]
	v_add_f64 v[54:55], v[6:7], v[12:13]
	ds_load_b128 v[4:7], v16 offset:320
	ds_load_b128 v[10:13], v20 offset:10240
	;; [unrolled: 1-line block ×4, first 2 shown]
	s_waitcnt lgkmcnt(2)
	v_mul_f64 v[56:57], v[12:13], v[6:7]
	v_add_f64 v[0:1], v[0:1], v[52:53]
	v_mul_f64 v[6:7], v[10:11], v[6:7]
	s_waitcnt lgkmcnt(0)
	v_mul_f64 v[48:49], v[30:31], v[46:47]
	v_mul_f64 v[46:47], v[28:29], v[46:47]
	v_add_f64 v[32:33], v[54:55], v[32:33]
	v_fma_f64 v[10:11], v[10:11], v[4:5], -v[56:57]
	v_add_f64 v[52:53], v[0:1], v[2:3]
	v_fma_f64 v[4:5], v[12:13], v[4:5], v[6:7]
	v_fma_f64 v[6:7], v[28:29], v[44:45], -v[48:49]
	v_add_f64 v[54:55], v[32:33], v[34:35]
	ds_load_b128 v[0:3], v16 offset:352
	ds_load_b128 v[32:35], v20 offset:11264
	;; [unrolled: 1-line block ×4, first 2 shown]
	s_waitcnt lgkmcnt(2)
	v_mul_f64 v[56:57], v[34:35], v[2:3]
	v_add_f64 v[12:13], v[52:53], v[50:51]
	v_mul_f64 v[48:49], v[32:33], v[2:3]
	s_waitcnt lgkmcnt(0)
	v_mul_f64 v[50:51], v[38:39], v[42:43]
	v_fma_f64 v[52:53], v[30:31], v[44:45], v[46:47]
	v_mul_f64 v[42:43], v[36:37], v[42:43]
	v_add_f64 v[10:11], v[54:55], v[10:11]
	v_fma_f64 v[32:33], v[32:33], v[0:1], -v[56:57]
	v_add_f64 v[54:55], v[12:13], v[4:5]
	v_fma_f64 v[0:1], v[34:35], v[0:1], v[48:49]
	v_fma_f64 v[34:35], v[36:37], v[40:41], -v[50:51]
	v_add_f64 v[6:7], v[10:11], v[6:7]
	ds_load_b128 v[2:5], v16 offset:384
	ds_load_b128 v[10:13], v20 offset:12288
	;; [unrolled: 1-line block ×4, first 2 shown]
	s_waitcnt lgkmcnt(2)
	v_mul_f64 v[56:57], v[12:13], v[4:5]
	v_add_f64 v[36:37], v[54:55], v[52:53]
	v_mul_f64 v[48:49], v[10:11], v[4:5]
	s_waitcnt lgkmcnt(0)
	v_mul_f64 v[50:51], v[30:31], v[46:47]
	v_fma_f64 v[52:53], v[38:39], v[40:41], v[42:43]
	v_mul_f64 v[46:47], v[28:29], v[46:47]
	v_add_f64 v[6:7], v[6:7], v[32:33]
	v_fma_f64 v[10:11], v[10:11], v[2:3], -v[56:57]
	v_add_f64 v[0:1], v[36:37], v[0:1]
	v_fma_f64 v[2:3], v[12:13], v[2:3], v[48:49]
	v_fma_f64 v[12:13], v[28:29], v[44:45], -v[50:51]
	v_add_f64 v[54:55], v[6:7], v[34:35]
	ds_load_b128 v[4:7], v16 offset:416
	ds_load_b128 v[32:35], v20 offset:13312
	;; [unrolled: 1-line block ×4, first 2 shown]
	s_waitcnt lgkmcnt(2)
	v_mul_f64 v[56:57], v[34:35], v[6:7]
	v_add_f64 v[0:1], v[0:1], v[52:53]
	v_mul_f64 v[6:7], v[32:33], v[6:7]
	s_waitcnt lgkmcnt(0)
	v_mul_f64 v[52:53], v[38:39], v[42:43]
	v_mul_f64 v[42:43], v[36:37], v[42:43]
	v_add_f64 v[10:11], v[54:55], v[10:11]
	v_fma_f64 v[54:55], v[30:31], v[44:45], v[46:47]
	v_fma_f64 v[32:33], v[32:33], v[4:5], -v[56:57]
	v_add_f64 v[56:57], v[0:1], v[2:3]
	v_fma_f64 v[4:5], v[34:35], v[4:5], v[6:7]
	v_fma_f64 v[6:7], v[36:37], v[40:41], -v[52:53]
	v_add_f64 v[58:59], v[10:11], v[12:13]
	ds_load_b128 v[0:3], v16 offset:448
	ds_load_b128 v[10:13], v20 offset:14336
	global_load_b128 v[28:31], v[8:9], off
	ds_load_b128 v[44:47], v20 offset:14848
	ds_load_b128 v[48:51], v16 offset:464
	v_add_f64 v[34:35], v[56:57], v[54:55]
	s_waitcnt lgkmcnt(2)
	v_mul_f64 v[60:61], v[12:13], v[2:3]
	v_mul_f64 v[52:53], v[10:11], v[2:3]
	s_waitcnt lgkmcnt(0)
	v_mul_f64 v[54:55], v[46:47], v[50:51]
	v_fma_f64 v[56:57], v[38:39], v[40:41], v[42:43]
	v_mul_f64 v[50:51], v[44:45], v[50:51]
	v_add_f64 v[32:33], v[58:59], v[32:33]
	v_add_f64 v[58:59], v[34:35], v[4:5]
	v_fma_f64 v[10:11], v[10:11], v[0:1], -v[60:61]
	v_fma_f64 v[0:1], v[12:13], v[0:1], v[52:53]
	v_fma_f64 v[12:13], v[44:45], v[48:49], -v[54:55]
	v_fma_f64 v[46:47], v[46:47], v[48:49], v[50:51]
	v_add_f64 v[6:7], v[32:33], v[6:7]
	ds_load_b128 v[2:5], v16 offset:480
	ds_load_b128 v[32:35], v20 offset:15360
	;; [unrolled: 1-line block ×4, first 2 shown]
	s_waitcnt lgkmcnt(2)
	v_mul_f64 v[60:61], v[34:35], v[4:5]
	v_add_f64 v[44:45], v[58:59], v[56:57]
	v_mul_f64 v[4:5], v[32:33], v[4:5]
	v_add_f64 v[6:7], v[6:7], v[10:11]
	s_waitcnt lgkmcnt(0)
	v_mul_f64 v[10:11], v[38:39], v[42:43]
	v_fma_f64 v[32:33], v[32:33], v[2:3], -v[60:61]
	v_add_f64 v[0:1], v[44:45], v[0:1]
	v_fma_f64 v[2:3], v[34:35], v[2:3], v[4:5]
	v_add_f64 v[6:7], v[6:7], v[12:13]
	v_mul_f64 v[12:13], v[36:37], v[42:43]
	v_fma_f64 v[4:5], v[36:37], v[40:41], -v[10:11]
	v_add_f64 v[0:1], v[0:1], v[46:47]
	s_delay_alu instid0(VALU_DEP_4) | instskip(NEXT) | instid1(VALU_DEP_4)
	v_add_f64 v[6:7], v[6:7], v[32:33]
	v_fma_f64 v[10:11], v[38:39], v[40:41], v[12:13]
	s_delay_alu instid0(VALU_DEP_3) | instskip(NEXT) | instid1(VALU_DEP_3)
	v_add_f64 v[0:1], v[0:1], v[2:3]
	v_add_f64 v[2:3], v[6:7], v[4:5]
	s_delay_alu instid0(VALU_DEP_2) | instskip(NEXT) | instid1(VALU_DEP_2)
	v_add_f64 v[0:1], v[0:1], v[10:11]
	v_mul_f64 v[4:5], s[4:5], v[2:3]
	v_mul_f64 v[2:3], s[6:7], v[2:3]
	s_delay_alu instid0(VALU_DEP_2) | instskip(NEXT) | instid1(VALU_DEP_2)
	v_fma_f64 v[4:5], s[6:7], v[0:1], v[4:5]
	v_fma_f64 v[2:3], s[4:5], v[0:1], -v[2:3]
	s_waitcnt vmcnt(0)
	s_delay_alu instid0(VALU_DEP_2) | instskip(NEXT) | instid1(VALU_DEP_2)
	v_add_f64 v[0:1], v[28:29], v[4:5]
	v_add_f64 v[2:3], v[30:31], v[2:3]
	global_store_b128 v[8:9], v[0:3], off
	s_branch .LBB1941_4
.LBB1941_17:
	s_endpgm
	.section	.rodata,"a",@progbits
	.p2align	6, 0x0
	.amdhsa_kernel _ZL26rocblas_syr2k_her2k_kernelIiLb1ELb1ELb1ELi32E19rocblas_complex_numIdEPKPKS1_PKPS1_EvbiT_T4_T5_S9_lSB_S9_lT6_S9_li
		.amdhsa_group_segment_fixed_size 32768
		.amdhsa_private_segment_fixed_size 0
		.amdhsa_kernarg_size 108
		.amdhsa_user_sgpr_count 13
		.amdhsa_user_sgpr_dispatch_ptr 0
		.amdhsa_user_sgpr_queue_ptr 0
		.amdhsa_user_sgpr_kernarg_segment_ptr 1
		.amdhsa_user_sgpr_dispatch_id 0
		.amdhsa_user_sgpr_private_segment_size 0
		.amdhsa_wavefront_size32 1
		.amdhsa_uses_dynamic_stack 0
		.amdhsa_enable_private_segment 0
		.amdhsa_system_sgpr_workgroup_id_x 1
		.amdhsa_system_sgpr_workgroup_id_y 1
		.amdhsa_system_sgpr_workgroup_id_z 1
		.amdhsa_system_sgpr_workgroup_info 0
		.amdhsa_system_vgpr_workitem_id 1
		.amdhsa_next_free_vgpr 66
		.amdhsa_next_free_sgpr 27
		.amdhsa_reserve_vcc 1
		.amdhsa_float_round_mode_32 0
		.amdhsa_float_round_mode_16_64 0
		.amdhsa_float_denorm_mode_32 3
		.amdhsa_float_denorm_mode_16_64 3
		.amdhsa_dx10_clamp 1
		.amdhsa_ieee_mode 1
		.amdhsa_fp16_overflow 0
		.amdhsa_workgroup_processor_mode 1
		.amdhsa_memory_ordered 1
		.amdhsa_forward_progress 0
		.amdhsa_shared_vgpr_count 0
		.amdhsa_exception_fp_ieee_invalid_op 0
		.amdhsa_exception_fp_denorm_src 0
		.amdhsa_exception_fp_ieee_div_zero 0
		.amdhsa_exception_fp_ieee_overflow 0
		.amdhsa_exception_fp_ieee_underflow 0
		.amdhsa_exception_fp_ieee_inexact 0
		.amdhsa_exception_int_div_zero 0
	.end_amdhsa_kernel
	.section	.text._ZL26rocblas_syr2k_her2k_kernelIiLb1ELb1ELb1ELi32E19rocblas_complex_numIdEPKPKS1_PKPS1_EvbiT_T4_T5_S9_lSB_S9_lT6_S9_li,"axG",@progbits,_ZL26rocblas_syr2k_her2k_kernelIiLb1ELb1ELb1ELi32E19rocblas_complex_numIdEPKPKS1_PKPS1_EvbiT_T4_T5_S9_lSB_S9_lT6_S9_li,comdat
.Lfunc_end1941:
	.size	_ZL26rocblas_syr2k_her2k_kernelIiLb1ELb1ELb1ELi32E19rocblas_complex_numIdEPKPKS1_PKPS1_EvbiT_T4_T5_S9_lSB_S9_lT6_S9_li, .Lfunc_end1941-_ZL26rocblas_syr2k_her2k_kernelIiLb1ELb1ELb1ELi32E19rocblas_complex_numIdEPKPKS1_PKPS1_EvbiT_T4_T5_S9_lSB_S9_lT6_S9_li
                                        ; -- End function
	.section	.AMDGPU.csdata,"",@progbits
; Kernel info:
; codeLenInByte = 5616
; NumSgprs: 29
; NumVgprs: 66
; ScratchSize: 0
; MemoryBound: 1
; FloatMode: 240
; IeeeMode: 1
; LDSByteSize: 32768 bytes/workgroup (compile time only)
; SGPRBlocks: 3
; VGPRBlocks: 8
; NumSGPRsForWavesPerEU: 29
; NumVGPRsForWavesPerEU: 66
; Occupancy: 16
; WaveLimiterHint : 1
; COMPUTE_PGM_RSRC2:SCRATCH_EN: 0
; COMPUTE_PGM_RSRC2:USER_SGPR: 13
; COMPUTE_PGM_RSRC2:TRAP_HANDLER: 0
; COMPUTE_PGM_RSRC2:TGID_X_EN: 1
; COMPUTE_PGM_RSRC2:TGID_Y_EN: 1
; COMPUTE_PGM_RSRC2:TGID_Z_EN: 1
; COMPUTE_PGM_RSRC2:TIDIG_COMP_CNT: 1
	.section	.text._ZL26rocblas_syr2k_her2k_kernelIiLb1ELb1ELb0ELi32EPK19rocblas_complex_numIdEPKS3_PKPS1_EvbiT_T4_T5_S9_lSB_S9_lT6_S9_li,"axG",@progbits,_ZL26rocblas_syr2k_her2k_kernelIiLb1ELb1ELb0ELi32EPK19rocblas_complex_numIdEPKS3_PKPS1_EvbiT_T4_T5_S9_lSB_S9_lT6_S9_li,comdat
	.globl	_ZL26rocblas_syr2k_her2k_kernelIiLb1ELb1ELb0ELi32EPK19rocblas_complex_numIdEPKS3_PKPS1_EvbiT_T4_T5_S9_lSB_S9_lT6_S9_li ; -- Begin function _ZL26rocblas_syr2k_her2k_kernelIiLb1ELb1ELb0ELi32EPK19rocblas_complex_numIdEPKS3_PKPS1_EvbiT_T4_T5_S9_lSB_S9_lT6_S9_li
	.p2align	8
	.type	_ZL26rocblas_syr2k_her2k_kernelIiLb1ELb1ELb0ELi32EPK19rocblas_complex_numIdEPKS3_PKPS1_EvbiT_T4_T5_S9_lSB_S9_lT6_S9_li,@function
_ZL26rocblas_syr2k_her2k_kernelIiLb1ELb1ELb0ELi32EPK19rocblas_complex_numIdEPKS3_PKPS1_EvbiT_T4_T5_S9_lSB_S9_lT6_S9_li: ; @_ZL26rocblas_syr2k_her2k_kernelIiLb1ELb1ELb0ELi32EPK19rocblas_complex_numIdEPKS3_PKPS1_EvbiT_T4_T5_S9_lSB_S9_lT6_S9_li
; %bb.0:
	s_load_b128 s[20:23], s[0:1], 0x10
	s_waitcnt lgkmcnt(0)
	s_load_b128 s[4:7], s[20:21], 0x0
	s_waitcnt lgkmcnt(0)
	v_cmp_eq_f64_e64 s3, s[4:5], 0
	v_cmp_eq_f64_e64 s8, s[6:7], 0
	s_delay_alu instid0(VALU_DEP_1) | instskip(NEXT) | instid1(SALU_CYCLE_1)
	s_and_b32 s3, s3, s8
	s_and_b32 vcc_lo, exec_lo, s3
	s_cbranch_vccnz .LBB1942_17
; %bb.1:
	s_load_b128 s[8:11], s[0:1], 0x0
	s_lshl_b32 s20, s14, 5
	s_lshl_b32 s21, s13, 5
	s_waitcnt lgkmcnt(0)
	s_and_b32 s3, 1, s8
	s_delay_alu instid0(SALU_CYCLE_1) | instskip(SKIP_1) | instid1(SALU_CYCLE_1)
	s_cmp_eq_u32 s3, 1
	s_cselect_b32 vcc_lo, -1, 0
	s_and_b32 s3, vcc_lo, exec_lo
	s_cselect_b32 s3, s21, s20
	s_cselect_b32 s8, s20, s21
	s_delay_alu instid0(SALU_CYCLE_1)
	s_cmp_gt_i32 s3, s8
	s_cbranch_scc1 .LBB1942_17
; %bb.2:
	s_cmp_lt_i32 s10, 1
	s_cbranch_scc1 .LBB1942_17
; %bb.3:
	s_mov_b32 s2, s15
	s_clause 0x4
	s_load_b128 s[16:19], s[0:1], 0x28
	s_load_b32 s8, s[0:1], 0x20
	s_load_b32 s11, s[0:1], 0x38
	s_load_b128 s[12:15], s[0:1], 0x40
	s_load_b32 s28, s[0:1], 0x50
	s_mov_b32 s3, 0
	v_and_b32_e32 v10, 0x3ff, v0
	v_bfe_u32 v11, v0, 10, 10
	s_lshl_b64 s[24:25], s[2:3], 3
	s_load_b64 s[26:27], s[0:1], 0x58
	s_add_u32 s0, s22, s24
	s_addc_u32 s1, s23, s25
	v_add_nc_u32_e32 v0, s20, v11
	v_add_nc_u32_e32 v2, s21, v10
	s_load_b64 s[20:21], s[0:1], 0x0
	v_lshlrev_b32_e32 v4, 4, v11
	s_delay_alu instid0(VALU_DEP_3) | instskip(NEXT) | instid1(VALU_DEP_3)
	v_ashrrev_i32_e32 v1, 31, v0
	v_cndmask_b32_e32 v9, v0, v2, vcc_lo
	v_ashrrev_i32_e32 v3, 31, v2
	s_waitcnt lgkmcnt(0)
	s_add_u32 s0, s18, s24
	s_addc_u32 s1, s19, s25
	v_lshlrev_b32_e32 v12, 9, v10
	s_load_b64 s[18:19], s[0:1], 0x0
	s_add_u32 s0, s14, s24
	s_addc_u32 s1, s15, s25
	v_mad_i64_i32 v[6:7], null, s28, v0, 0
	s_load_b64 s[14:15], s[0:1], 0x0
	v_cndmask_b32_e32 v8, v2, v0, vcc_lo
	v_cmp_gt_i32_e32 vcc_lo, s9, v2
	v_lshlrev_b64 v[2:3], 4, v[2:3]
	s_lshl_b64 s[16:17], s[16:17], 4
	v_add_nc_u32_e32 v13, v12, v4
	v_or_b32_e32 v14, 0x4000, v4
	v_lshlrev_b64 v[4:5], 4, v[0:1]
	v_cmp_gt_i32_e64 s0, s9, v0
	s_add_u32 s9, s20, s16
	s_addc_u32 s16, s21, s17
	s_lshl_b64 s[12:13], s[12:13], 4
	v_add_co_u32 v15, s1, s9, v2
	v_lshlrev_b64 v[0:1], 4, v[6:7]
	s_waitcnt lgkmcnt(0)
	s_add_u32 s17, s18, s12
	s_addc_u32 s18, s19, s13
	s_lshl_b64 s[12:13], s[26:27], 4
	v_add_co_ci_u32_e64 v16, s1, s16, v3, s1
	v_add_co_u32 v17, s1, s17, v4
	s_add_u32 s2, s14, s12
	v_add_co_ci_u32_e64 v18, s1, s18, v5, s1
	s_addc_u32 s12, s15, s13
	v_add_co_u32 v0, s1, s2, v0
	s_delay_alu instid0(VALU_DEP_1) | instskip(SKIP_1) | instid1(VALU_DEP_3)
	v_add_co_ci_u32_e64 v1, s1, s12, v1, s1
	v_cmp_le_i32_e64 s1, v9, v8
	v_add_co_u32 v8, s2, v0, v2
	s_delay_alu instid0(VALU_DEP_1) | instskip(SKIP_1) | instid1(VALU_DEP_1)
	v_add_co_ci_u32_e64 v9, s2, v1, v3, s2
	v_add_co_u32 v20, s2, s17, v2
	v_add_co_ci_u32_e64 v21, s2, s18, v3, s2
	v_add_co_u32 v22, s2, s9, v4
	v_add_nc_u32_e32 v19, v14, v12
	v_add_co_ci_u32_e64 v23, s2, s16, v5, s2
	s_and_b32 s2, s0, vcc_lo
	s_delay_alu instid0(SALU_CYCLE_1)
	s_and_b32 s2, s2, s1
	s_branch .LBB1942_5
.LBB1942_4:                             ;   in Loop: Header=BB1942_5 Depth=1
	s_or_b32 exec_lo, exec_lo, s1
	s_add_i32 s3, s3, 32
	s_waitcnt_vscnt null, 0x0
	s_cmp_lt_i32 s3, s10
	s_barrier
	buffer_gl0_inv
	s_cbranch_scc0 .LBB1942_17
.LBB1942_5:                             ; =>This Inner Loop Header: Depth=1
	v_add_nc_u32_e32 v24, s3, v11
	v_mov_b32_e32 v0, 0
	v_mov_b32_e32 v1, 0
	s_delay_alu instid0(VALU_DEP_3) | instskip(NEXT) | instid1(VALU_DEP_2)
	v_cmp_gt_i32_e64 s1, s10, v24
	v_dual_mov_b32 v5, v1 :: v_dual_mov_b32 v4, v0
	v_dual_mov_b32 v7, v1 :: v_dual_mov_b32 v6, v0
	s_delay_alu instid0(VALU_DEP_3) | instskip(NEXT) | instid1(SALU_CYCLE_1)
	s_and_b32 s9, vcc_lo, s1
	s_and_saveexec_b32 s12, s9
	s_cbranch_execz .LBB1942_7
; %bb.6:                                ;   in Loop: Header=BB1942_5 Depth=1
	v_mad_i64_i32 v[2:3], null, v24, s8, 0
	s_delay_alu instid0(VALU_DEP_1) | instskip(NEXT) | instid1(VALU_DEP_1)
	v_lshlrev_b64 v[2:3], 4, v[2:3]
	v_add_co_u32 v2, s1, v15, v2
	s_delay_alu instid0(VALU_DEP_1)
	v_add_co_ci_u32_e64 v3, s1, v16, v3, s1
	global_load_b128 v[4:7], v[2:3], off
.LBB1942_7:                             ;   in Loop: Header=BB1942_5 Depth=1
	s_or_b32 exec_lo, exec_lo, s12
	v_add_nc_u32_e32 v25, s3, v10
	v_dual_mov_b32 v3, v1 :: v_dual_mov_b32 v2, v0
	s_waitcnt vmcnt(0)
	ds_store_b128 v13, v[4:7]
	v_cmp_gt_i32_e64 s1, s10, v25
	s_delay_alu instid0(VALU_DEP_1) | instskip(NEXT) | instid1(SALU_CYCLE_1)
	s_and_b32 s12, s0, s1
	s_and_saveexec_b32 s13, s12
	s_cbranch_execz .LBB1942_9
; %bb.8:                                ;   in Loop: Header=BB1942_5 Depth=1
	v_mad_i64_i32 v[0:1], null, v25, s11, 0
	s_delay_alu instid0(VALU_DEP_1) | instskip(NEXT) | instid1(VALU_DEP_1)
	v_lshlrev_b64 v[0:1], 4, v[0:1]
	v_add_co_u32 v0, s1, v17, v0
	s_delay_alu instid0(VALU_DEP_1)
	v_add_co_ci_u32_e64 v1, s1, v18, v1, s1
	global_load_b128 v[0:3], v[0:1], off
	s_waitcnt vmcnt(0)
	v_xor_b32_e32 v3, 0x80000000, v3
.LBB1942_9:                             ;   in Loop: Header=BB1942_5 Depth=1
	s_or_b32 exec_lo, exec_lo, s13
	ds_store_b128 v19, v[0:3]
	s_waitcnt lgkmcnt(0)
	s_barrier
	buffer_gl0_inv
	s_and_saveexec_b32 s1, s2
	s_cbranch_execz .LBB1942_11
; %bb.10:                               ;   in Loop: Header=BB1942_5 Depth=1
	ds_load_b128 v[0:3], v14
	ds_load_b128 v[4:7], v12
	ds_load_b128 v[26:29], v12 offset:16
	ds_load_b128 v[30:33], v14 offset:512
	s_waitcnt lgkmcnt(2)
	v_mul_f64 v[34:35], v[0:1], v[6:7]
	v_mul_f64 v[6:7], v[2:3], v[6:7]
	s_waitcnt lgkmcnt(0)
	v_mul_f64 v[50:51], v[30:31], v[28:29]
	v_mul_f64 v[28:29], v[32:33], v[28:29]
	s_delay_alu instid0(VALU_DEP_4)
	v_fma_f64 v[2:3], v[2:3], v[4:5], v[34:35]
	ds_load_b128 v[34:37], v14 offset:1024
	ds_load_b128 v[38:41], v12 offset:32
	ds_load_b128 v[42:45], v12 offset:48
	ds_load_b128 v[46:49], v14 offset:1536
	v_fma_f64 v[0:1], v[0:1], v[4:5], -v[6:7]
	v_fma_f64 v[4:5], v[32:33], v[26:27], v[50:51]
	v_fma_f64 v[54:55], v[30:31], v[26:27], -v[28:29]
	s_waitcnt lgkmcnt(2)
	v_mul_f64 v[52:53], v[34:35], v[40:41]
	v_mul_f64 v[40:41], v[36:37], v[40:41]
	s_waitcnt lgkmcnt(0)
	v_mul_f64 v[50:51], v[46:47], v[44:45]
	v_mul_f64 v[44:45], v[48:49], v[44:45]
	v_add_f64 v[2:3], v[2:3], 0
	v_fma_f64 v[36:37], v[36:37], v[38:39], v[52:53]
	v_add_f64 v[52:53], v[0:1], 0
	v_fma_f64 v[34:35], v[34:35], v[38:39], -v[40:41]
	v_fma_f64 v[38:39], v[48:49], v[42:43], v[50:51]
	v_add_f64 v[56:57], v[2:3], v[4:5]
	ds_load_b128 v[0:3], v12 offset:64
	ds_load_b128 v[4:7], v14 offset:2048
	ds_load_b128 v[26:29], v14 offset:2560
	ds_load_b128 v[30:33], v12 offset:80
	s_waitcnt lgkmcnt(2)
	v_mul_f64 v[58:59], v[4:5], v[2:3]
	v_add_f64 v[40:41], v[52:53], v[54:55]
	v_mul_f64 v[2:3], v[6:7], v[2:3]
	s_waitcnt lgkmcnt(0)
	v_mul_f64 v[50:51], v[26:27], v[32:33]
	v_fma_f64 v[52:53], v[46:47], v[42:43], -v[44:45]
	v_mul_f64 v[32:33], v[28:29], v[32:33]
	v_add_f64 v[36:37], v[56:57], v[36:37]
	v_fma_f64 v[6:7], v[6:7], v[0:1], v[58:59]
	v_add_f64 v[54:55], v[40:41], v[34:35]
	v_fma_f64 v[0:1], v[4:5], v[0:1], -v[2:3]
	v_fma_f64 v[2:3], v[28:29], v[30:31], v[50:51]
	v_add_f64 v[56:57], v[36:37], v[38:39]
	ds_load_b128 v[34:37], v12 offset:96
	ds_load_b128 v[38:41], v14 offset:3072
	ds_load_b128 v[42:45], v14 offset:3584
	ds_load_b128 v[46:49], v12 offset:112
	s_waitcnt lgkmcnt(2)
	v_mul_f64 v[58:59], v[38:39], v[36:37]
	v_add_f64 v[4:5], v[54:55], v[52:53]
	v_mul_f64 v[36:37], v[40:41], v[36:37]
	s_waitcnt lgkmcnt(0)
	v_mul_f64 v[50:51], v[42:43], v[48:49]
	v_fma_f64 v[52:53], v[26:27], v[30:31], -v[32:33]
	;; [unrolled: 18-line block ×11, first 2 shown]
	v_mul_f64 v[32:33], v[28:29], v[32:33]
	v_add_f64 v[40:41], v[56:57], v[40:41]
	v_fma_f64 v[6:7], v[6:7], v[0:1], v[58:59]
	v_add_f64 v[54:55], v[38:39], v[34:35]
	v_fma_f64 v[0:1], v[4:5], v[0:1], -v[2:3]
	v_fma_f64 v[2:3], v[28:29], v[30:31], v[50:51]
	v_add_f64 v[56:57], v[40:41], v[36:37]
	ds_load_b128 v[34:37], v12 offset:416
	ds_load_b128 v[38:41], v14 offset:13312
	;; [unrolled: 1-line block ×4, first 2 shown]
	s_waitcnt lgkmcnt(2)
	v_mul_f64 v[58:59], v[38:39], v[36:37]
	v_add_f64 v[4:5], v[54:55], v[52:53]
	v_mul_f64 v[36:37], v[40:41], v[36:37]
	s_waitcnt lgkmcnt(0)
	v_mul_f64 v[54:55], v[42:43], v[48:49]
	v_mul_f64 v[48:49], v[44:45], v[48:49]
	v_add_f64 v[6:7], v[56:57], v[6:7]
	v_fma_f64 v[56:57], v[26:27], v[30:31], -v[32:33]
	v_fma_f64 v[40:41], v[40:41], v[34:35], v[58:59]
	v_add_f64 v[58:59], v[4:5], v[0:1]
	v_fma_f64 v[34:35], v[38:39], v[34:35], -v[36:37]
	v_fma_f64 v[36:37], v[44:45], v[46:47], v[54:55]
	v_add_f64 v[60:61], v[6:7], v[2:3]
	ds_load_b128 v[0:3], v12 offset:448
	ds_load_b128 v[4:7], v14 offset:14336
	global_load_b128 v[26:29], v[8:9], off
	ds_load_b128 v[30:33], v14 offset:14848
	ds_load_b128 v[50:53], v12 offset:464
	v_add_f64 v[38:39], v[58:59], v[56:57]
	s_waitcnt lgkmcnt(2)
	v_mul_f64 v[62:63], v[4:5], v[2:3]
	v_mul_f64 v[2:3], v[6:7], v[2:3]
	s_waitcnt lgkmcnt(0)
	v_mul_f64 v[54:55], v[30:31], v[52:53]
	v_fma_f64 v[56:57], v[42:43], v[46:47], -v[48:49]
	v_mul_f64 v[52:53], v[32:33], v[52:53]
	v_add_f64 v[40:41], v[60:61], v[40:41]
	v_add_f64 v[58:59], v[38:39], v[34:35]
	v_fma_f64 v[6:7], v[6:7], v[0:1], v[62:63]
	v_fma_f64 v[0:1], v[4:5], v[0:1], -v[2:3]
	v_fma_f64 v[2:3], v[32:33], v[50:51], v[54:55]
	v_fma_f64 v[30:31], v[30:31], v[50:51], -v[52:53]
	v_add_f64 v[60:61], v[40:41], v[36:37]
	ds_load_b128 v[34:37], v12 offset:480
	ds_load_b128 v[38:41], v14 offset:15360
	ds_load_b128 v[42:45], v14 offset:15872
	ds_load_b128 v[46:49], v12 offset:496
	s_waitcnt lgkmcnt(2)
	v_mul_f64 v[62:63], v[38:39], v[36:37]
	v_add_f64 v[4:5], v[58:59], v[56:57]
	v_mul_f64 v[32:33], v[40:41], v[36:37]
	s_waitcnt lgkmcnt(0)
	v_mul_f64 v[36:37], v[42:43], v[48:49]
	v_add_f64 v[6:7], v[60:61], v[6:7]
	v_fma_f64 v[40:41], v[40:41], v[34:35], v[62:63]
	v_add_f64 v[0:1], v[4:5], v[0:1]
	v_mul_f64 v[4:5], v[44:45], v[48:49]
	s_delay_alu instid0(VALU_DEP_4)
	v_add_f64 v[2:3], v[6:7], v[2:3]
	v_fma_f64 v[6:7], v[38:39], v[34:35], -v[32:33]
	v_fma_f64 v[32:33], v[44:45], v[46:47], v[36:37]
	v_add_f64 v[0:1], v[0:1], v[30:31]
	v_fma_f64 v[4:5], v[42:43], v[46:47], -v[4:5]
	v_add_f64 v[2:3], v[2:3], v[40:41]
	s_delay_alu instid0(VALU_DEP_3) | instskip(NEXT) | instid1(VALU_DEP_2)
	v_add_f64 v[0:1], v[0:1], v[6:7]
	v_add_f64 v[2:3], v[2:3], v[32:33]
	s_delay_alu instid0(VALU_DEP_2) | instskip(NEXT) | instid1(VALU_DEP_2)
	v_add_f64 v[0:1], v[0:1], v[4:5]
	v_mul_f64 v[4:5], s[6:7], v[2:3]
	v_mul_f64 v[2:3], s[4:5], v[2:3]
	s_delay_alu instid0(VALU_DEP_2) | instskip(NEXT) | instid1(VALU_DEP_2)
	v_fma_f64 v[4:5], s[4:5], v[0:1], -v[4:5]
	v_fma_f64 v[2:3], s[6:7], v[0:1], v[2:3]
	s_waitcnt vmcnt(0)
	s_delay_alu instid0(VALU_DEP_2) | instskip(NEXT) | instid1(VALU_DEP_2)
	v_add_f64 v[0:1], v[26:27], v[4:5]
	v_add_f64 v[2:3], v[28:29], v[2:3]
	global_store_b128 v[8:9], v[0:3], off
.LBB1942_11:                            ;   in Loop: Header=BB1942_5 Depth=1
	s_or_b32 exec_lo, exec_lo, s1
	v_mov_b32_e32 v2, 0
	v_mov_b32_e32 v3, 0
	s_waitcnt_vscnt null, 0x0
	s_barrier
	buffer_gl0_inv
	v_dual_mov_b32 v7, v3 :: v_dual_mov_b32 v6, v2
	v_dual_mov_b32 v5, v3 :: v_dual_mov_b32 v4, v2
	s_and_saveexec_b32 s13, s9
	s_cbranch_execz .LBB1942_13
; %bb.12:                               ;   in Loop: Header=BB1942_5 Depth=1
	v_mad_i64_i32 v[0:1], null, v24, s11, 0
	s_delay_alu instid0(VALU_DEP_1) | instskip(NEXT) | instid1(VALU_DEP_1)
	v_lshlrev_b64 v[0:1], 4, v[0:1]
	v_add_co_u32 v0, s1, v20, v0
	s_delay_alu instid0(VALU_DEP_1)
	v_add_co_ci_u32_e64 v1, s1, v21, v1, s1
	global_load_b128 v[4:7], v[0:1], off
.LBB1942_13:                            ;   in Loop: Header=BB1942_5 Depth=1
	s_or_b32 exec_lo, exec_lo, s13
	v_dual_mov_b32 v0, v2 :: v_dual_mov_b32 v1, v3
	s_waitcnt vmcnt(0)
	ds_store_b128 v13, v[4:7]
	s_and_saveexec_b32 s9, s12
	s_cbranch_execz .LBB1942_15
; %bb.14:                               ;   in Loop: Header=BB1942_5 Depth=1
	v_mad_i64_i32 v[0:1], null, v25, s8, 0
	s_delay_alu instid0(VALU_DEP_1) | instskip(NEXT) | instid1(VALU_DEP_1)
	v_lshlrev_b64 v[0:1], 4, v[0:1]
	v_add_co_u32 v0, s1, v22, v0
	s_delay_alu instid0(VALU_DEP_1)
	v_add_co_ci_u32_e64 v1, s1, v23, v1, s1
	global_load_b128 v[0:3], v[0:1], off
	s_waitcnt vmcnt(0)
	v_xor_b32_e32 v3, 0x80000000, v3
.LBB1942_15:                            ;   in Loop: Header=BB1942_5 Depth=1
	s_or_b32 exec_lo, exec_lo, s9
	ds_store_b128 v19, v[0:3]
	s_waitcnt lgkmcnt(0)
	s_barrier
	buffer_gl0_inv
	s_and_saveexec_b32 s1, s2
	s_cbranch_execz .LBB1942_4
; %bb.16:                               ;   in Loop: Header=BB1942_5 Depth=1
	ds_load_b128 v[0:3], v14
	ds_load_b128 v[4:7], v12
	ds_load_b128 v[24:27], v12 offset:16
	ds_load_b128 v[28:31], v14 offset:512
	s_waitcnt lgkmcnt(2)
	v_mul_f64 v[32:33], v[2:3], v[6:7]
	v_mul_f64 v[6:7], v[0:1], v[6:7]
	s_waitcnt lgkmcnt(0)
	v_mul_f64 v[48:49], v[30:31], v[26:27]
	v_mul_f64 v[26:27], v[28:29], v[26:27]
	s_delay_alu instid0(VALU_DEP_4)
	v_fma_f64 v[0:1], v[0:1], v[4:5], -v[32:33]
	ds_load_b128 v[32:35], v14 offset:1024
	ds_load_b128 v[36:39], v12 offset:32
	;; [unrolled: 1-line block ×4, first 2 shown]
	v_fma_f64 v[2:3], v[2:3], v[4:5], v[6:7]
	v_fma_f64 v[4:5], v[28:29], v[24:25], -v[48:49]
	v_fma_f64 v[52:53], v[30:31], v[24:25], v[26:27]
	s_waitcnt lgkmcnt(2)
	v_mul_f64 v[50:51], v[34:35], v[38:39]
	v_mul_f64 v[38:39], v[32:33], v[38:39]
	s_waitcnt lgkmcnt(0)
	v_mul_f64 v[48:49], v[46:47], v[42:43]
	v_mul_f64 v[42:43], v[44:45], v[42:43]
	v_add_f64 v[0:1], v[0:1], 0
	v_fma_f64 v[32:33], v[32:33], v[36:37], -v[50:51]
	v_add_f64 v[50:51], v[2:3], 0
	v_fma_f64 v[34:35], v[34:35], v[36:37], v[38:39]
	v_fma_f64 v[36:37], v[44:45], v[40:41], -v[48:49]
	v_fma_f64 v[46:47], v[46:47], v[40:41], v[42:43]
	v_add_f64 v[54:55], v[0:1], v[4:5]
	ds_load_b128 v[0:3], v12 offset:64
	ds_load_b128 v[4:7], v14 offset:2048
	;; [unrolled: 1-line block ×4, first 2 shown]
	s_waitcnt lgkmcnt(2)
	v_mul_f64 v[56:57], v[6:7], v[2:3]
	v_add_f64 v[38:39], v[50:51], v[52:53]
	v_mul_f64 v[44:45], v[4:5], v[2:3]
	s_waitcnt lgkmcnt(0)
	v_mul_f64 v[48:49], v[26:27], v[30:31]
	v_mul_f64 v[30:31], v[24:25], v[30:31]
	v_add_f64 v[32:33], v[54:55], v[32:33]
	v_fma_f64 v[50:51], v[4:5], v[0:1], -v[56:57]
	v_add_f64 v[52:53], v[38:39], v[34:35]
	v_fma_f64 v[0:1], v[6:7], v[0:1], v[44:45]
	v_fma_f64 v[6:7], v[24:25], v[28:29], -v[48:49]
	v_add_f64 v[54:55], v[32:33], v[36:37]
	ds_load_b128 v[2:5], v12 offset:96
	ds_load_b128 v[32:35], v14 offset:3072
	;; [unrolled: 1-line block ×4, first 2 shown]
	s_waitcnt lgkmcnt(2)
	v_mul_f64 v[56:57], v[34:35], v[4:5]
	v_add_f64 v[24:25], v[52:53], v[46:47]
	v_mul_f64 v[48:49], v[32:33], v[4:5]
	v_fma_f64 v[52:53], v[26:27], v[28:29], v[30:31]
	v_add_f64 v[44:45], v[54:55], v[50:51]
	s_waitcnt lgkmcnt(0)
	v_mul_f64 v[50:51], v[38:39], v[42:43]
	v_mul_f64 v[42:43], v[36:37], v[42:43]
	v_fma_f64 v[32:33], v[32:33], v[2:3], -v[56:57]
	v_add_f64 v[0:1], v[24:25], v[0:1]
	v_fma_f64 v[2:3], v[34:35], v[2:3], v[48:49]
	v_add_f64 v[54:55], v[44:45], v[6:7]
	ds_load_b128 v[4:7], v12 offset:128
	ds_load_b128 v[24:27], v14 offset:4096
	;; [unrolled: 1-line block ×4, first 2 shown]
	v_fma_f64 v[34:35], v[36:37], v[40:41], -v[50:51]
	v_fma_f64 v[50:51], v[38:39], v[40:41], v[42:43]
	s_waitcnt lgkmcnt(2)
	v_mul_f64 v[56:57], v[26:27], v[6:7]
	v_add_f64 v[0:1], v[0:1], v[52:53]
	v_mul_f64 v[6:7], v[24:25], v[6:7]
	s_waitcnt lgkmcnt(0)
	v_mul_f64 v[48:49], v[30:31], v[46:47]
	v_mul_f64 v[46:47], v[28:29], v[46:47]
	v_add_f64 v[32:33], v[54:55], v[32:33]
	v_fma_f64 v[24:25], v[24:25], v[4:5], -v[56:57]
	v_add_f64 v[52:53], v[0:1], v[2:3]
	v_fma_f64 v[4:5], v[26:27], v[4:5], v[6:7]
	v_fma_f64 v[6:7], v[28:29], v[44:45], -v[48:49]
	v_add_f64 v[54:55], v[32:33], v[34:35]
	ds_load_b128 v[0:3], v12 offset:160
	ds_load_b128 v[32:35], v14 offset:5120
	;; [unrolled: 1-line block ×4, first 2 shown]
	s_waitcnt lgkmcnt(2)
	v_mul_f64 v[56:57], v[34:35], v[2:3]
	v_add_f64 v[26:27], v[52:53], v[50:51]
	v_mul_f64 v[48:49], v[32:33], v[2:3]
	s_waitcnt lgkmcnt(0)
	v_mul_f64 v[50:51], v[38:39], v[42:43]
	v_fma_f64 v[52:53], v[30:31], v[44:45], v[46:47]
	v_mul_f64 v[42:43], v[36:37], v[42:43]
	v_add_f64 v[24:25], v[54:55], v[24:25]
	v_fma_f64 v[32:33], v[32:33], v[0:1], -v[56:57]
	v_add_f64 v[54:55], v[26:27], v[4:5]
	v_fma_f64 v[0:1], v[34:35], v[0:1], v[48:49]
	v_fma_f64 v[34:35], v[36:37], v[40:41], -v[50:51]
	v_add_f64 v[6:7], v[24:25], v[6:7]
	ds_load_b128 v[2:5], v12 offset:192
	ds_load_b128 v[24:27], v14 offset:6144
	;; [unrolled: 1-line block ×4, first 2 shown]
	s_waitcnt lgkmcnt(2)
	v_mul_f64 v[56:57], v[26:27], v[4:5]
	v_add_f64 v[36:37], v[54:55], v[52:53]
	v_mul_f64 v[48:49], v[24:25], v[4:5]
	s_waitcnt lgkmcnt(0)
	v_mul_f64 v[50:51], v[30:31], v[46:47]
	v_fma_f64 v[52:53], v[38:39], v[40:41], v[42:43]
	v_mul_f64 v[46:47], v[28:29], v[46:47]
	v_add_f64 v[6:7], v[6:7], v[32:33]
	v_fma_f64 v[24:25], v[24:25], v[2:3], -v[56:57]
	v_add_f64 v[0:1], v[36:37], v[0:1]
	v_fma_f64 v[2:3], v[26:27], v[2:3], v[48:49]
	v_fma_f64 v[26:27], v[28:29], v[44:45], -v[50:51]
	v_fma_f64 v[50:51], v[30:31], v[44:45], v[46:47]
	v_add_f64 v[54:55], v[6:7], v[34:35]
	ds_load_b128 v[4:7], v12 offset:224
	ds_load_b128 v[32:35], v14 offset:7168
	;; [unrolled: 1-line block ×4, first 2 shown]
	s_waitcnt lgkmcnt(2)
	v_mul_f64 v[56:57], v[34:35], v[6:7]
	v_add_f64 v[0:1], v[0:1], v[52:53]
	v_mul_f64 v[6:7], v[32:33], v[6:7]
	s_waitcnt lgkmcnt(0)
	v_mul_f64 v[48:49], v[38:39], v[42:43]
	v_mul_f64 v[42:43], v[36:37], v[42:43]
	v_add_f64 v[24:25], v[54:55], v[24:25]
	v_fma_f64 v[32:33], v[32:33], v[4:5], -v[56:57]
	v_add_f64 v[52:53], v[0:1], v[2:3]
	v_fma_f64 v[4:5], v[34:35], v[4:5], v[6:7]
	v_fma_f64 v[6:7], v[36:37], v[40:41], -v[48:49]
	v_add_f64 v[54:55], v[24:25], v[26:27]
	ds_load_b128 v[0:3], v12 offset:256
	ds_load_b128 v[24:27], v14 offset:8192
	;; [unrolled: 1-line block ×4, first 2 shown]
	s_waitcnt lgkmcnt(2)
	v_mul_f64 v[56:57], v[26:27], v[2:3]
	v_add_f64 v[34:35], v[52:53], v[50:51]
	v_mul_f64 v[48:49], v[24:25], v[2:3]
	s_waitcnt lgkmcnt(0)
	v_mul_f64 v[50:51], v[30:31], v[46:47]
	v_fma_f64 v[52:53], v[38:39], v[40:41], v[42:43]
	v_mul_f64 v[46:47], v[28:29], v[46:47]
	v_add_f64 v[32:33], v[54:55], v[32:33]
	v_fma_f64 v[24:25], v[24:25], v[0:1], -v[56:57]
	v_add_f64 v[54:55], v[34:35], v[4:5]
	v_fma_f64 v[0:1], v[26:27], v[0:1], v[48:49]
	v_fma_f64 v[26:27], v[28:29], v[44:45], -v[50:51]
	v_add_f64 v[6:7], v[32:33], v[6:7]
	ds_load_b128 v[2:5], v12 offset:288
	ds_load_b128 v[32:35], v14 offset:9216
	;; [unrolled: 1-line block ×4, first 2 shown]
	s_waitcnt lgkmcnt(2)
	v_mul_f64 v[56:57], v[34:35], v[4:5]
	v_add_f64 v[28:29], v[54:55], v[52:53]
	v_mul_f64 v[48:49], v[32:33], v[4:5]
	s_waitcnt lgkmcnt(0)
	v_mul_f64 v[50:51], v[38:39], v[42:43]
	v_fma_f64 v[52:53], v[30:31], v[44:45], v[46:47]
	v_mul_f64 v[42:43], v[36:37], v[42:43]
	v_add_f64 v[6:7], v[6:7], v[24:25]
	v_fma_f64 v[32:33], v[32:33], v[2:3], -v[56:57]
	v_add_f64 v[0:1], v[28:29], v[0:1]
	v_fma_f64 v[2:3], v[34:35], v[2:3], v[48:49]
	v_fma_f64 v[34:35], v[36:37], v[40:41], -v[50:51]
	v_fma_f64 v[50:51], v[38:39], v[40:41], v[42:43]
	v_add_f64 v[54:55], v[6:7], v[26:27]
	ds_load_b128 v[4:7], v12 offset:320
	ds_load_b128 v[24:27], v14 offset:10240
	;; [unrolled: 1-line block ×4, first 2 shown]
	s_waitcnt lgkmcnt(2)
	v_mul_f64 v[56:57], v[26:27], v[6:7]
	v_add_f64 v[0:1], v[0:1], v[52:53]
	v_mul_f64 v[6:7], v[24:25], v[6:7]
	s_waitcnt lgkmcnt(0)
	v_mul_f64 v[48:49], v[30:31], v[46:47]
	v_mul_f64 v[46:47], v[28:29], v[46:47]
	v_add_f64 v[32:33], v[54:55], v[32:33]
	v_fma_f64 v[24:25], v[24:25], v[4:5], -v[56:57]
	v_add_f64 v[52:53], v[0:1], v[2:3]
	v_fma_f64 v[4:5], v[26:27], v[4:5], v[6:7]
	v_fma_f64 v[6:7], v[28:29], v[44:45], -v[48:49]
	v_add_f64 v[54:55], v[32:33], v[34:35]
	ds_load_b128 v[0:3], v12 offset:352
	ds_load_b128 v[32:35], v14 offset:11264
	;; [unrolled: 1-line block ×4, first 2 shown]
	s_waitcnt lgkmcnt(2)
	v_mul_f64 v[56:57], v[34:35], v[2:3]
	v_add_f64 v[26:27], v[52:53], v[50:51]
	v_mul_f64 v[48:49], v[32:33], v[2:3]
	s_waitcnt lgkmcnt(0)
	v_mul_f64 v[50:51], v[38:39], v[42:43]
	v_fma_f64 v[52:53], v[30:31], v[44:45], v[46:47]
	v_mul_f64 v[42:43], v[36:37], v[42:43]
	v_add_f64 v[24:25], v[54:55], v[24:25]
	v_fma_f64 v[32:33], v[32:33], v[0:1], -v[56:57]
	v_add_f64 v[54:55], v[26:27], v[4:5]
	v_fma_f64 v[0:1], v[34:35], v[0:1], v[48:49]
	v_fma_f64 v[34:35], v[36:37], v[40:41], -v[50:51]
	v_add_f64 v[6:7], v[24:25], v[6:7]
	ds_load_b128 v[2:5], v12 offset:384
	ds_load_b128 v[24:27], v14 offset:12288
	;; [unrolled: 1-line block ×4, first 2 shown]
	s_waitcnt lgkmcnt(2)
	v_mul_f64 v[56:57], v[26:27], v[4:5]
	v_add_f64 v[36:37], v[54:55], v[52:53]
	v_mul_f64 v[48:49], v[24:25], v[4:5]
	s_waitcnt lgkmcnt(0)
	v_mul_f64 v[50:51], v[30:31], v[46:47]
	v_fma_f64 v[52:53], v[38:39], v[40:41], v[42:43]
	v_mul_f64 v[46:47], v[28:29], v[46:47]
	v_add_f64 v[6:7], v[6:7], v[32:33]
	v_fma_f64 v[24:25], v[24:25], v[2:3], -v[56:57]
	v_add_f64 v[0:1], v[36:37], v[0:1]
	v_fma_f64 v[2:3], v[26:27], v[2:3], v[48:49]
	v_fma_f64 v[26:27], v[28:29], v[44:45], -v[50:51]
	v_add_f64 v[54:55], v[6:7], v[34:35]
	ds_load_b128 v[4:7], v12 offset:416
	ds_load_b128 v[32:35], v14 offset:13312
	;; [unrolled: 1-line block ×4, first 2 shown]
	s_waitcnt lgkmcnt(2)
	v_mul_f64 v[56:57], v[34:35], v[6:7]
	v_add_f64 v[0:1], v[0:1], v[52:53]
	v_mul_f64 v[6:7], v[32:33], v[6:7]
	s_waitcnt lgkmcnt(0)
	v_mul_f64 v[52:53], v[38:39], v[42:43]
	v_mul_f64 v[42:43], v[36:37], v[42:43]
	v_add_f64 v[24:25], v[54:55], v[24:25]
	v_fma_f64 v[54:55], v[30:31], v[44:45], v[46:47]
	v_fma_f64 v[32:33], v[32:33], v[4:5], -v[56:57]
	v_add_f64 v[56:57], v[0:1], v[2:3]
	v_fma_f64 v[4:5], v[34:35], v[4:5], v[6:7]
	v_fma_f64 v[6:7], v[36:37], v[40:41], -v[52:53]
	v_add_f64 v[58:59], v[24:25], v[26:27]
	ds_load_b128 v[0:3], v12 offset:448
	ds_load_b128 v[24:27], v14 offset:14336
	global_load_b128 v[28:31], v[8:9], off
	ds_load_b128 v[44:47], v14 offset:14848
	ds_load_b128 v[48:51], v12 offset:464
	v_add_f64 v[34:35], v[56:57], v[54:55]
	s_waitcnt lgkmcnt(2)
	v_mul_f64 v[60:61], v[26:27], v[2:3]
	v_mul_f64 v[52:53], v[24:25], v[2:3]
	s_waitcnt lgkmcnt(0)
	v_mul_f64 v[54:55], v[46:47], v[50:51]
	v_fma_f64 v[56:57], v[38:39], v[40:41], v[42:43]
	v_mul_f64 v[50:51], v[44:45], v[50:51]
	v_add_f64 v[32:33], v[58:59], v[32:33]
	v_add_f64 v[58:59], v[34:35], v[4:5]
	v_fma_f64 v[24:25], v[24:25], v[0:1], -v[60:61]
	v_fma_f64 v[0:1], v[26:27], v[0:1], v[52:53]
	v_fma_f64 v[26:27], v[44:45], v[48:49], -v[54:55]
	v_fma_f64 v[46:47], v[46:47], v[48:49], v[50:51]
	v_add_f64 v[6:7], v[32:33], v[6:7]
	ds_load_b128 v[2:5], v12 offset:480
	ds_load_b128 v[32:35], v14 offset:15360
	;; [unrolled: 1-line block ×4, first 2 shown]
	s_waitcnt lgkmcnt(2)
	v_mul_f64 v[60:61], v[34:35], v[4:5]
	v_add_f64 v[44:45], v[58:59], v[56:57]
	v_mul_f64 v[4:5], v[32:33], v[4:5]
	v_add_f64 v[6:7], v[6:7], v[24:25]
	s_waitcnt lgkmcnt(0)
	v_mul_f64 v[24:25], v[38:39], v[42:43]
	v_fma_f64 v[32:33], v[32:33], v[2:3], -v[60:61]
	v_add_f64 v[0:1], v[44:45], v[0:1]
	v_fma_f64 v[2:3], v[34:35], v[2:3], v[4:5]
	v_add_f64 v[6:7], v[6:7], v[26:27]
	v_mul_f64 v[26:27], v[36:37], v[42:43]
	v_fma_f64 v[4:5], v[36:37], v[40:41], -v[24:25]
	v_add_f64 v[0:1], v[0:1], v[46:47]
	s_delay_alu instid0(VALU_DEP_4) | instskip(NEXT) | instid1(VALU_DEP_4)
	v_add_f64 v[6:7], v[6:7], v[32:33]
	v_fma_f64 v[24:25], v[38:39], v[40:41], v[26:27]
	s_delay_alu instid0(VALU_DEP_3) | instskip(NEXT) | instid1(VALU_DEP_3)
	v_add_f64 v[0:1], v[0:1], v[2:3]
	v_add_f64 v[2:3], v[6:7], v[4:5]
	s_delay_alu instid0(VALU_DEP_2) | instskip(NEXT) | instid1(VALU_DEP_2)
	v_add_f64 v[0:1], v[0:1], v[24:25]
	v_mul_f64 v[4:5], s[4:5], v[2:3]
	v_mul_f64 v[2:3], s[6:7], v[2:3]
	s_delay_alu instid0(VALU_DEP_2) | instskip(NEXT) | instid1(VALU_DEP_2)
	v_fma_f64 v[4:5], s[6:7], v[0:1], v[4:5]
	v_fma_f64 v[2:3], s[4:5], v[0:1], -v[2:3]
	s_waitcnt vmcnt(0)
	s_delay_alu instid0(VALU_DEP_2) | instskip(NEXT) | instid1(VALU_DEP_2)
	v_add_f64 v[0:1], v[28:29], v[4:5]
	v_add_f64 v[2:3], v[30:31], v[2:3]
	global_store_b128 v[8:9], v[0:3], off
	s_branch .LBB1942_4
.LBB1942_17:
	s_endpgm
	.section	.rodata,"a",@progbits
	.p2align	6, 0x0
	.amdhsa_kernel _ZL26rocblas_syr2k_her2k_kernelIiLb1ELb1ELb0ELi32EPK19rocblas_complex_numIdEPKS3_PKPS1_EvbiT_T4_T5_S9_lSB_S9_lT6_S9_li
		.amdhsa_group_segment_fixed_size 32768
		.amdhsa_private_segment_fixed_size 0
		.amdhsa_kernarg_size 100
		.amdhsa_user_sgpr_count 13
		.amdhsa_user_sgpr_dispatch_ptr 0
		.amdhsa_user_sgpr_queue_ptr 0
		.amdhsa_user_sgpr_kernarg_segment_ptr 1
		.amdhsa_user_sgpr_dispatch_id 0
		.amdhsa_user_sgpr_private_segment_size 0
		.amdhsa_wavefront_size32 1
		.amdhsa_uses_dynamic_stack 0
		.amdhsa_enable_private_segment 0
		.amdhsa_system_sgpr_workgroup_id_x 1
		.amdhsa_system_sgpr_workgroup_id_y 1
		.amdhsa_system_sgpr_workgroup_id_z 1
		.amdhsa_system_sgpr_workgroup_info 0
		.amdhsa_system_vgpr_workitem_id 1
		.amdhsa_next_free_vgpr 64
		.amdhsa_next_free_sgpr 29
		.amdhsa_reserve_vcc 1
		.amdhsa_float_round_mode_32 0
		.amdhsa_float_round_mode_16_64 0
		.amdhsa_float_denorm_mode_32 3
		.amdhsa_float_denorm_mode_16_64 3
		.amdhsa_dx10_clamp 1
		.amdhsa_ieee_mode 1
		.amdhsa_fp16_overflow 0
		.amdhsa_workgroup_processor_mode 1
		.amdhsa_memory_ordered 1
		.amdhsa_forward_progress 0
		.amdhsa_shared_vgpr_count 0
		.amdhsa_exception_fp_ieee_invalid_op 0
		.amdhsa_exception_fp_denorm_src 0
		.amdhsa_exception_fp_ieee_div_zero 0
		.amdhsa_exception_fp_ieee_overflow 0
		.amdhsa_exception_fp_ieee_underflow 0
		.amdhsa_exception_fp_ieee_inexact 0
		.amdhsa_exception_int_div_zero 0
	.end_amdhsa_kernel
	.section	.text._ZL26rocblas_syr2k_her2k_kernelIiLb1ELb1ELb0ELi32EPK19rocblas_complex_numIdEPKS3_PKPS1_EvbiT_T4_T5_S9_lSB_S9_lT6_S9_li,"axG",@progbits,_ZL26rocblas_syr2k_her2k_kernelIiLb1ELb1ELb0ELi32EPK19rocblas_complex_numIdEPKS3_PKPS1_EvbiT_T4_T5_S9_lSB_S9_lT6_S9_li,comdat
.Lfunc_end1942:
	.size	_ZL26rocblas_syr2k_her2k_kernelIiLb1ELb1ELb0ELi32EPK19rocblas_complex_numIdEPKS3_PKPS1_EvbiT_T4_T5_S9_lSB_S9_lT6_S9_li, .Lfunc_end1942-_ZL26rocblas_syr2k_her2k_kernelIiLb1ELb1ELb0ELi32EPK19rocblas_complex_numIdEPKS3_PKPS1_EvbiT_T4_T5_S9_lSB_S9_lT6_S9_li
                                        ; -- End function
	.section	.AMDGPU.csdata,"",@progbits
; Kernel info:
; codeLenInByte = 5576
; NumSgprs: 31
; NumVgprs: 64
; ScratchSize: 0
; MemoryBound: 1
; FloatMode: 240
; IeeeMode: 1
; LDSByteSize: 32768 bytes/workgroup (compile time only)
; SGPRBlocks: 3
; VGPRBlocks: 7
; NumSGPRsForWavesPerEU: 31
; NumVGPRsForWavesPerEU: 64
; Occupancy: 16
; WaveLimiterHint : 1
; COMPUTE_PGM_RSRC2:SCRATCH_EN: 0
; COMPUTE_PGM_RSRC2:USER_SGPR: 13
; COMPUTE_PGM_RSRC2:TRAP_HANDLER: 0
; COMPUTE_PGM_RSRC2:TGID_X_EN: 1
; COMPUTE_PGM_RSRC2:TGID_Y_EN: 1
; COMPUTE_PGM_RSRC2:TGID_Z_EN: 1
; COMPUTE_PGM_RSRC2:TIDIG_COMP_CNT: 1
	.section	.text._ZL26rocblas_syr2k_her2k_kernelIiLb1ELb1ELb1ELi32EPK19rocblas_complex_numIdEPKS3_PKPS1_EvbiT_T4_T5_S9_lSB_S9_lT6_S9_li,"axG",@progbits,_ZL26rocblas_syr2k_her2k_kernelIiLb1ELb1ELb1ELi32EPK19rocblas_complex_numIdEPKS3_PKPS1_EvbiT_T4_T5_S9_lSB_S9_lT6_S9_li,comdat
	.globl	_ZL26rocblas_syr2k_her2k_kernelIiLb1ELb1ELb1ELi32EPK19rocblas_complex_numIdEPKS3_PKPS1_EvbiT_T4_T5_S9_lSB_S9_lT6_S9_li ; -- Begin function _ZL26rocblas_syr2k_her2k_kernelIiLb1ELb1ELb1ELi32EPK19rocblas_complex_numIdEPKS3_PKPS1_EvbiT_T4_T5_S9_lSB_S9_lT6_S9_li
	.p2align	8
	.type	_ZL26rocblas_syr2k_her2k_kernelIiLb1ELb1ELb1ELi32EPK19rocblas_complex_numIdEPKS3_PKPS1_EvbiT_T4_T5_S9_lSB_S9_lT6_S9_li,@function
_ZL26rocblas_syr2k_her2k_kernelIiLb1ELb1ELb1ELi32EPK19rocblas_complex_numIdEPKS3_PKPS1_EvbiT_T4_T5_S9_lSB_S9_lT6_S9_li: ; @_ZL26rocblas_syr2k_her2k_kernelIiLb1ELb1ELb1ELi32EPK19rocblas_complex_numIdEPKS3_PKPS1_EvbiT_T4_T5_S9_lSB_S9_lT6_S9_li
; %bb.0:
	s_load_b128 s[20:23], s[0:1], 0x10
	s_waitcnt lgkmcnt(0)
	s_load_b128 s[4:7], s[20:21], 0x0
	s_waitcnt lgkmcnt(0)
	v_cmp_eq_f64_e64 s3, s[4:5], 0
	v_cmp_eq_f64_e64 s8, s[6:7], 0
	s_delay_alu instid0(VALU_DEP_1) | instskip(NEXT) | instid1(SALU_CYCLE_1)
	s_and_b32 s3, s3, s8
	s_and_b32 vcc_lo, exec_lo, s3
	s_cbranch_vccnz .LBB1943_17
; %bb.1:
	s_load_b128 s[8:11], s[0:1], 0x0
	s_waitcnt lgkmcnt(0)
	s_lshl_b32 s11, s14, 5
	s_and_b32 s3, 1, s8
	s_lshl_b32 s8, s13, 5
	s_cmp_eq_u32 s3, 1
	s_cselect_b32 vcc_lo, -1, 0
	s_delay_alu instid0(SALU_CYCLE_1) | instskip(SKIP_2) | instid1(SALU_CYCLE_1)
	s_and_b32 s3, vcc_lo, exec_lo
	s_cselect_b32 s3, s8, s11
	s_cselect_b32 s12, s11, s8
	s_cmp_gt_i32 s3, s12
	s_cbranch_scc1 .LBB1943_17
; %bb.2:
	s_cmp_lt_i32 s10, 1
	s_cbranch_scc1 .LBB1943_17
; %bb.3:
	s_mov_b32 s2, s15
	s_clause 0x4
	s_load_b128 s[16:19], s[0:1], 0x28
	s_load_b32 s26, s[0:1], 0x20
	s_load_b32 s27, s[0:1], 0x38
	s_load_b128 s[12:15], s[0:1], 0x40
	s_load_b32 s28, s[0:1], 0x50
	s_mov_b32 s3, 0
	s_load_b64 s[24:25], s[0:1], 0x58
	s_lshl_b64 s[20:21], s[2:3], 3
	v_and_b32_e32 v14, 0x3ff, v0
	s_add_u32 s0, s22, s20
	s_addc_u32 s1, s23, s21
	v_bfe_u32 v15, v0, 10, 10
	s_load_b64 s[22:23], s[0:1], 0x0
	v_add_nc_u32_e32 v0, s8, v14
	s_delay_alu instid0(VALU_DEP_2) | instskip(SKIP_2) | instid1(VALU_DEP_4)
	v_add_nc_u32_e32 v8, s11, v15
	v_lshlrev_b32_e32 v6, 4, v15
	v_lshlrev_b32_e32 v16, 9, v14
	v_ashrrev_i32_e32 v1, 31, v0
	s_waitcnt lgkmcnt(0)
	s_add_u32 s0, s18, s20
	v_cndmask_b32_e32 v9, v8, v0, vcc_lo
	s_addc_u32 s1, s19, s21
	v_mad_i64_i32 v[2:3], null, s26, v0, 0
	s_load_b64 s[18:19], s[0:1], 0x0
	s_add_u32 s0, s14, s20
	s_addc_u32 s1, s15, s21
	v_mad_i64_i32 v[4:5], null, s27, v8, 0
	s_load_b64 s[14:15], s[0:1], 0x0
	s_delay_alu instid0(VALU_DEP_2) | instskip(SKIP_4) | instid1(VALU_DEP_3)
	v_lshlrev_b64 v[2:3], 4, v[2:3]
	s_lshl_b64 s[16:17], s[16:17], 4
	v_cndmask_b32_e32 v7, v0, v8, vcc_lo
	s_add_u32 s11, s22, s16
	s_addc_u32 s16, s23, s17
	v_lshlrev_b64 v[4:5], 4, v[4:5]
	v_add_co_u32 v18, s1, s11, v2
	s_delay_alu instid0(VALU_DEP_1)
	v_add_co_ci_u32_e64 v19, s1, s16, v3, s1
	v_mad_i64_i32 v[2:3], null, s28, v8, 0
	v_cmp_gt_i32_e32 vcc_lo, s9, v0
	v_cmp_gt_i32_e64 s0, s9, v8
	s_lshl_b64 s[8:9], s[12:13], 4
	v_add_nc_u32_e32 v17, v16, v6
	s_waitcnt lgkmcnt(0)
	s_add_u32 s12, s18, s8
	s_addc_u32 s13, s19, s9
	v_add_co_u32 v21, s1, s12, v4
	v_lshlrev_b64 v[2:3], 4, v[2:3]
	s_lshl_b64 s[8:9], s[24:25], 4
	v_add_co_ci_u32_e64 v22, s1, s13, v5, s1
	v_mad_i64_i32 v[4:5], null, s27, v0, 0
	s_add_u32 s2, s14, s8
	v_or_b32_e32 v20, 0x4000, v6
	v_cmp_le_i32_e64 s1, v9, v7
	v_lshlrev_b64 v[0:1], 4, v[0:1]
	v_mad_i64_i32 v[6:7], null, s26, v8, 0
	s_addc_u32 s8, s15, s9
	v_add_co_u32 v8, s2, s2, v2
	s_delay_alu instid0(VALU_DEP_1) | instskip(SKIP_1) | instid1(VALU_DEP_3)
	v_add_co_ci_u32_e64 v9, s2, s8, v3, s2
	v_lshlrev_b64 v[2:3], 4, v[4:5]
	v_add_co_u32 v8, s2, v8, v0
	s_delay_alu instid0(VALU_DEP_1) | instskip(SKIP_1) | instid1(VALU_DEP_4)
	v_add_co_ci_u32_e64 v9, s2, v9, v1, s2
	v_lshlrev_b64 v[0:1], 4, v[6:7]
	v_add_co_u32 v24, s2, s12, v2
	s_delay_alu instid0(VALU_DEP_1) | instskip(SKIP_1) | instid1(VALU_DEP_4)
	v_add_co_ci_u32_e64 v25, s2, s13, v3, s2
	v_add_nc_u32_e32 v23, v20, v16
	v_add_co_u32 v26, s2, s11, v0
	s_delay_alu instid0(VALU_DEP_1) | instskip(SKIP_1) | instid1(SALU_CYCLE_1)
	v_add_co_ci_u32_e64 v27, s2, s16, v1, s2
	s_and_b32 s2, s0, vcc_lo
	s_and_b32 s2, s2, s1
	s_branch .LBB1943_5
.LBB1943_4:                             ;   in Loop: Header=BB1943_5 Depth=1
	s_or_b32 exec_lo, exec_lo, s1
	s_add_i32 s3, s3, 32
	s_waitcnt_vscnt null, 0x0
	s_cmp_lt_i32 s3, s10
	s_barrier
	buffer_gl0_inv
	s_cbranch_scc0 .LBB1943_17
.LBB1943_5:                             ; =>This Inner Loop Header: Depth=1
	v_add_nc_u32_e32 v10, s3, v15
	v_mov_b32_e32 v0, 0
	v_mov_b32_e32 v1, 0
	s_delay_alu instid0(VALU_DEP_3) | instskip(NEXT) | instid1(VALU_DEP_2)
	v_cmp_gt_i32_e64 s1, s10, v10
	v_dual_mov_b32 v5, v1 :: v_dual_mov_b32 v4, v0
	v_dual_mov_b32 v7, v1 :: v_dual_mov_b32 v6, v0
	s_delay_alu instid0(VALU_DEP_3) | instskip(NEXT) | instid1(SALU_CYCLE_1)
	s_and_b32 s8, vcc_lo, s1
	s_and_saveexec_b32 s9, s8
	s_cbranch_execz .LBB1943_7
; %bb.6:                                ;   in Loop: Header=BB1943_5 Depth=1
	v_ashrrev_i32_e32 v11, 31, v10
	s_delay_alu instid0(VALU_DEP_1) | instskip(NEXT) | instid1(VALU_DEP_1)
	v_lshlrev_b64 v[2:3], 4, v[10:11]
	v_add_co_u32 v2, s1, v18, v2
	s_delay_alu instid0(VALU_DEP_1)
	v_add_co_ci_u32_e64 v3, s1, v19, v3, s1
	global_load_b128 v[4:7], v[2:3], off
	s_waitcnt vmcnt(0)
	v_xor_b32_e32 v7, 0x80000000, v7
.LBB1943_7:                             ;   in Loop: Header=BB1943_5 Depth=1
	s_or_b32 exec_lo, exec_lo, s9
	v_dual_mov_b32 v3, v1 :: v_dual_add_nc_u32 v12, s3, v14
	v_mov_b32_e32 v2, v0
	ds_store_b128 v17, v[4:7]
	v_cmp_gt_i32_e64 s1, s10, v12
	s_delay_alu instid0(VALU_DEP_1) | instskip(NEXT) | instid1(SALU_CYCLE_1)
	s_and_b32 s9, s0, s1
	s_and_saveexec_b32 s11, s9
	s_cbranch_execz .LBB1943_9
; %bb.8:                                ;   in Loop: Header=BB1943_5 Depth=1
	v_ashrrev_i32_e32 v13, 31, v12
	s_delay_alu instid0(VALU_DEP_1) | instskip(NEXT) | instid1(VALU_DEP_1)
	v_lshlrev_b64 v[0:1], 4, v[12:13]
	v_add_co_u32 v0, s1, v21, v0
	s_delay_alu instid0(VALU_DEP_1)
	v_add_co_ci_u32_e64 v1, s1, v22, v1, s1
	global_load_b128 v[0:3], v[0:1], off
.LBB1943_9:                             ;   in Loop: Header=BB1943_5 Depth=1
	s_or_b32 exec_lo, exec_lo, s11
	s_waitcnt vmcnt(0)
	ds_store_b128 v23, v[0:3]
	s_waitcnt lgkmcnt(0)
	s_barrier
	buffer_gl0_inv
	s_and_saveexec_b32 s1, s2
	s_cbranch_execz .LBB1943_11
; %bb.10:                               ;   in Loop: Header=BB1943_5 Depth=1
	ds_load_b128 v[0:3], v20
	ds_load_b128 v[4:7], v16
	ds_load_b128 v[28:31], v16 offset:16
	ds_load_b128 v[32:35], v20 offset:512
	s_waitcnt lgkmcnt(2)
	v_mul_f64 v[36:37], v[0:1], v[6:7]
	v_mul_f64 v[6:7], v[2:3], v[6:7]
	s_waitcnt lgkmcnt(0)
	v_mul_f64 v[52:53], v[32:33], v[30:31]
	v_mul_f64 v[30:31], v[34:35], v[30:31]
	s_delay_alu instid0(VALU_DEP_4)
	v_fma_f64 v[2:3], v[2:3], v[4:5], v[36:37]
	ds_load_b128 v[36:39], v20 offset:1024
	ds_load_b128 v[40:43], v16 offset:32
	ds_load_b128 v[44:47], v16 offset:48
	ds_load_b128 v[48:51], v20 offset:1536
	v_fma_f64 v[0:1], v[0:1], v[4:5], -v[6:7]
	v_fma_f64 v[4:5], v[34:35], v[28:29], v[52:53]
	v_fma_f64 v[56:57], v[32:33], v[28:29], -v[30:31]
	s_waitcnt lgkmcnt(2)
	v_mul_f64 v[54:55], v[36:37], v[42:43]
	v_mul_f64 v[42:43], v[38:39], v[42:43]
	s_waitcnt lgkmcnt(0)
	v_mul_f64 v[52:53], v[48:49], v[46:47]
	v_mul_f64 v[46:47], v[50:51], v[46:47]
	v_add_f64 v[2:3], v[2:3], 0
	v_fma_f64 v[38:39], v[38:39], v[40:41], v[54:55]
	v_add_f64 v[54:55], v[0:1], 0
	v_fma_f64 v[36:37], v[36:37], v[40:41], -v[42:43]
	v_fma_f64 v[40:41], v[50:51], v[44:45], v[52:53]
	v_add_f64 v[58:59], v[2:3], v[4:5]
	ds_load_b128 v[0:3], v16 offset:64
	ds_load_b128 v[4:7], v20 offset:2048
	ds_load_b128 v[28:31], v20 offset:2560
	ds_load_b128 v[32:35], v16 offset:80
	s_waitcnt lgkmcnt(2)
	v_mul_f64 v[60:61], v[4:5], v[2:3]
	v_add_f64 v[42:43], v[54:55], v[56:57]
	v_mul_f64 v[2:3], v[6:7], v[2:3]
	s_waitcnt lgkmcnt(0)
	v_mul_f64 v[52:53], v[28:29], v[34:35]
	v_fma_f64 v[54:55], v[48:49], v[44:45], -v[46:47]
	v_mul_f64 v[34:35], v[30:31], v[34:35]
	v_add_f64 v[38:39], v[58:59], v[38:39]
	v_fma_f64 v[6:7], v[6:7], v[0:1], v[60:61]
	v_add_f64 v[56:57], v[42:43], v[36:37]
	v_fma_f64 v[0:1], v[4:5], v[0:1], -v[2:3]
	v_fma_f64 v[2:3], v[30:31], v[32:33], v[52:53]
	v_add_f64 v[58:59], v[38:39], v[40:41]
	ds_load_b128 v[36:39], v16 offset:96
	ds_load_b128 v[40:43], v20 offset:3072
	ds_load_b128 v[44:47], v20 offset:3584
	ds_load_b128 v[48:51], v16 offset:112
	s_waitcnt lgkmcnt(2)
	v_mul_f64 v[60:61], v[40:41], v[38:39]
	v_add_f64 v[4:5], v[56:57], v[54:55]
	v_mul_f64 v[38:39], v[42:43], v[38:39]
	s_waitcnt lgkmcnt(0)
	v_mul_f64 v[52:53], v[44:45], v[50:51]
	v_fma_f64 v[54:55], v[28:29], v[32:33], -v[34:35]
	;; [unrolled: 18-line block ×11, first 2 shown]
	v_mul_f64 v[34:35], v[30:31], v[34:35]
	v_add_f64 v[42:43], v[58:59], v[42:43]
	v_fma_f64 v[6:7], v[6:7], v[0:1], v[60:61]
	v_add_f64 v[56:57], v[40:41], v[36:37]
	v_fma_f64 v[0:1], v[4:5], v[0:1], -v[2:3]
	v_fma_f64 v[2:3], v[30:31], v[32:33], v[52:53]
	v_add_f64 v[58:59], v[42:43], v[38:39]
	ds_load_b128 v[36:39], v16 offset:416
	ds_load_b128 v[40:43], v20 offset:13312
	;; [unrolled: 1-line block ×4, first 2 shown]
	s_waitcnt lgkmcnt(2)
	v_mul_f64 v[60:61], v[40:41], v[38:39]
	v_add_f64 v[4:5], v[56:57], v[54:55]
	v_mul_f64 v[38:39], v[42:43], v[38:39]
	s_waitcnt lgkmcnt(0)
	v_mul_f64 v[56:57], v[44:45], v[50:51]
	v_mul_f64 v[50:51], v[46:47], v[50:51]
	v_add_f64 v[6:7], v[58:59], v[6:7]
	v_fma_f64 v[58:59], v[28:29], v[32:33], -v[34:35]
	v_fma_f64 v[42:43], v[42:43], v[36:37], v[60:61]
	v_add_f64 v[60:61], v[4:5], v[0:1]
	v_fma_f64 v[36:37], v[40:41], v[36:37], -v[38:39]
	v_fma_f64 v[38:39], v[46:47], v[48:49], v[56:57]
	v_add_f64 v[62:63], v[6:7], v[2:3]
	ds_load_b128 v[0:3], v16 offset:448
	ds_load_b128 v[4:7], v20 offset:14336
	global_load_b128 v[28:31], v[8:9], off
	ds_load_b128 v[32:35], v20 offset:14848
	ds_load_b128 v[52:55], v16 offset:464
	v_add_f64 v[40:41], v[60:61], v[58:59]
	s_waitcnt lgkmcnt(2)
	v_mul_f64 v[64:65], v[4:5], v[2:3]
	v_mul_f64 v[2:3], v[6:7], v[2:3]
	s_waitcnt lgkmcnt(0)
	v_mul_f64 v[56:57], v[32:33], v[54:55]
	v_fma_f64 v[58:59], v[44:45], v[48:49], -v[50:51]
	v_mul_f64 v[54:55], v[34:35], v[54:55]
	v_add_f64 v[42:43], v[62:63], v[42:43]
	v_add_f64 v[60:61], v[40:41], v[36:37]
	v_fma_f64 v[6:7], v[6:7], v[0:1], v[64:65]
	v_fma_f64 v[0:1], v[4:5], v[0:1], -v[2:3]
	v_fma_f64 v[2:3], v[34:35], v[52:53], v[56:57]
	v_fma_f64 v[32:33], v[32:33], v[52:53], -v[54:55]
	v_add_f64 v[62:63], v[42:43], v[38:39]
	ds_load_b128 v[36:39], v16 offset:480
	ds_load_b128 v[40:43], v20 offset:15360
	;; [unrolled: 1-line block ×4, first 2 shown]
	s_waitcnt lgkmcnt(2)
	v_mul_f64 v[64:65], v[40:41], v[38:39]
	v_add_f64 v[4:5], v[60:61], v[58:59]
	v_mul_f64 v[34:35], v[42:43], v[38:39]
	s_waitcnt lgkmcnt(0)
	v_mul_f64 v[38:39], v[44:45], v[50:51]
	v_add_f64 v[6:7], v[62:63], v[6:7]
	v_fma_f64 v[42:43], v[42:43], v[36:37], v[64:65]
	v_add_f64 v[0:1], v[4:5], v[0:1]
	v_mul_f64 v[4:5], v[46:47], v[50:51]
	s_delay_alu instid0(VALU_DEP_4)
	v_add_f64 v[2:3], v[6:7], v[2:3]
	v_fma_f64 v[6:7], v[40:41], v[36:37], -v[34:35]
	v_fma_f64 v[34:35], v[46:47], v[48:49], v[38:39]
	v_add_f64 v[0:1], v[0:1], v[32:33]
	v_fma_f64 v[4:5], v[44:45], v[48:49], -v[4:5]
	v_add_f64 v[2:3], v[2:3], v[42:43]
	s_delay_alu instid0(VALU_DEP_3) | instskip(NEXT) | instid1(VALU_DEP_2)
	v_add_f64 v[0:1], v[0:1], v[6:7]
	v_add_f64 v[2:3], v[2:3], v[34:35]
	s_delay_alu instid0(VALU_DEP_2) | instskip(NEXT) | instid1(VALU_DEP_2)
	v_add_f64 v[0:1], v[0:1], v[4:5]
	v_mul_f64 v[4:5], s[6:7], v[2:3]
	v_mul_f64 v[2:3], s[4:5], v[2:3]
	s_delay_alu instid0(VALU_DEP_2) | instskip(NEXT) | instid1(VALU_DEP_2)
	v_fma_f64 v[4:5], s[4:5], v[0:1], -v[4:5]
	v_fma_f64 v[2:3], s[6:7], v[0:1], v[2:3]
	s_waitcnt vmcnt(0)
	s_delay_alu instid0(VALU_DEP_2) | instskip(NEXT) | instid1(VALU_DEP_2)
	v_add_f64 v[0:1], v[28:29], v[4:5]
	v_add_f64 v[2:3], v[30:31], v[2:3]
	global_store_b128 v[8:9], v[0:3], off
.LBB1943_11:                            ;   in Loop: Header=BB1943_5 Depth=1
	s_or_b32 exec_lo, exec_lo, s1
	v_mov_b32_e32 v2, 0
	v_mov_b32_e32 v3, 0
	s_waitcnt_vscnt null, 0x0
	s_barrier
	buffer_gl0_inv
	v_dual_mov_b32 v7, v3 :: v_dual_mov_b32 v6, v2
	v_dual_mov_b32 v5, v3 :: v_dual_mov_b32 v4, v2
	s_and_saveexec_b32 s11, s8
	s_cbranch_execz .LBB1943_13
; %bb.12:                               ;   in Loop: Header=BB1943_5 Depth=1
	v_ashrrev_i32_e32 v11, 31, v10
	s_delay_alu instid0(VALU_DEP_1) | instskip(NEXT) | instid1(VALU_DEP_1)
	v_lshlrev_b64 v[0:1], 4, v[10:11]
	v_add_co_u32 v0, s1, v24, v0
	s_delay_alu instid0(VALU_DEP_1)
	v_add_co_ci_u32_e64 v1, s1, v25, v1, s1
	global_load_b128 v[4:7], v[0:1], off
	s_waitcnt vmcnt(0)
	v_xor_b32_e32 v7, 0x80000000, v7
.LBB1943_13:                            ;   in Loop: Header=BB1943_5 Depth=1
	s_or_b32 exec_lo, exec_lo, s11
	v_dual_mov_b32 v0, v2 :: v_dual_mov_b32 v1, v3
	ds_store_b128 v17, v[4:7]
	s_and_saveexec_b32 s8, s9
	s_cbranch_execz .LBB1943_15
; %bb.14:                               ;   in Loop: Header=BB1943_5 Depth=1
	v_ashrrev_i32_e32 v13, 31, v12
	s_delay_alu instid0(VALU_DEP_1) | instskip(NEXT) | instid1(VALU_DEP_1)
	v_lshlrev_b64 v[0:1], 4, v[12:13]
	v_add_co_u32 v0, s1, v26, v0
	s_delay_alu instid0(VALU_DEP_1)
	v_add_co_ci_u32_e64 v1, s1, v27, v1, s1
	global_load_b128 v[0:3], v[0:1], off
.LBB1943_15:                            ;   in Loop: Header=BB1943_5 Depth=1
	s_or_b32 exec_lo, exec_lo, s8
	s_waitcnt vmcnt(0)
	ds_store_b128 v23, v[0:3]
	s_waitcnt lgkmcnt(0)
	s_barrier
	buffer_gl0_inv
	s_and_saveexec_b32 s1, s2
	s_cbranch_execz .LBB1943_4
; %bb.16:                               ;   in Loop: Header=BB1943_5 Depth=1
	ds_load_b128 v[0:3], v20
	ds_load_b128 v[4:7], v16
	ds_load_b128 v[10:13], v16 offset:16
	ds_load_b128 v[28:31], v20 offset:512
	s_waitcnt lgkmcnt(2)
	v_mul_f64 v[32:33], v[2:3], v[6:7]
	v_mul_f64 v[6:7], v[0:1], v[6:7]
	s_waitcnt lgkmcnt(0)
	v_mul_f64 v[48:49], v[30:31], v[12:13]
	v_mul_f64 v[12:13], v[28:29], v[12:13]
	s_delay_alu instid0(VALU_DEP_4)
	v_fma_f64 v[0:1], v[0:1], v[4:5], -v[32:33]
	ds_load_b128 v[32:35], v20 offset:1024
	ds_load_b128 v[36:39], v16 offset:32
	ds_load_b128 v[40:43], v16 offset:48
	ds_load_b128 v[44:47], v20 offset:1536
	v_fma_f64 v[2:3], v[2:3], v[4:5], v[6:7]
	v_fma_f64 v[4:5], v[28:29], v[10:11], -v[48:49]
	v_fma_f64 v[52:53], v[30:31], v[10:11], v[12:13]
	s_waitcnt lgkmcnt(2)
	v_mul_f64 v[50:51], v[34:35], v[38:39]
	v_mul_f64 v[38:39], v[32:33], v[38:39]
	s_waitcnt lgkmcnt(0)
	v_mul_f64 v[48:49], v[46:47], v[42:43]
	v_mul_f64 v[42:43], v[44:45], v[42:43]
	v_add_f64 v[0:1], v[0:1], 0
	v_fma_f64 v[32:33], v[32:33], v[36:37], -v[50:51]
	v_add_f64 v[50:51], v[2:3], 0
	v_fma_f64 v[34:35], v[34:35], v[36:37], v[38:39]
	v_fma_f64 v[36:37], v[44:45], v[40:41], -v[48:49]
	v_fma_f64 v[46:47], v[46:47], v[40:41], v[42:43]
	v_add_f64 v[54:55], v[0:1], v[4:5]
	ds_load_b128 v[0:3], v16 offset:64
	ds_load_b128 v[4:7], v20 offset:2048
	;; [unrolled: 1-line block ×4, first 2 shown]
	s_waitcnt lgkmcnt(2)
	v_mul_f64 v[56:57], v[6:7], v[2:3]
	v_add_f64 v[38:39], v[50:51], v[52:53]
	v_mul_f64 v[44:45], v[4:5], v[2:3]
	s_waitcnt lgkmcnt(0)
	v_mul_f64 v[48:49], v[12:13], v[30:31]
	v_mul_f64 v[30:31], v[10:11], v[30:31]
	v_add_f64 v[32:33], v[54:55], v[32:33]
	v_fma_f64 v[50:51], v[4:5], v[0:1], -v[56:57]
	v_add_f64 v[52:53], v[38:39], v[34:35]
	v_fma_f64 v[0:1], v[6:7], v[0:1], v[44:45]
	v_fma_f64 v[6:7], v[10:11], v[28:29], -v[48:49]
	v_add_f64 v[54:55], v[32:33], v[36:37]
	ds_load_b128 v[2:5], v16 offset:96
	ds_load_b128 v[32:35], v20 offset:3072
	;; [unrolled: 1-line block ×4, first 2 shown]
	s_waitcnt lgkmcnt(2)
	v_mul_f64 v[56:57], v[34:35], v[4:5]
	v_add_f64 v[10:11], v[52:53], v[46:47]
	v_mul_f64 v[48:49], v[32:33], v[4:5]
	v_fma_f64 v[52:53], v[12:13], v[28:29], v[30:31]
	v_add_f64 v[44:45], v[54:55], v[50:51]
	s_waitcnt lgkmcnt(0)
	v_mul_f64 v[50:51], v[38:39], v[42:43]
	v_mul_f64 v[42:43], v[36:37], v[42:43]
	v_fma_f64 v[32:33], v[32:33], v[2:3], -v[56:57]
	v_add_f64 v[0:1], v[10:11], v[0:1]
	v_fma_f64 v[2:3], v[34:35], v[2:3], v[48:49]
	v_add_f64 v[54:55], v[44:45], v[6:7]
	ds_load_b128 v[4:7], v16 offset:128
	ds_load_b128 v[10:13], v20 offset:4096
	ds_load_b128 v[28:31], v20 offset:4608
	ds_load_b128 v[44:47], v16 offset:144
	v_fma_f64 v[34:35], v[36:37], v[40:41], -v[50:51]
	v_fma_f64 v[50:51], v[38:39], v[40:41], v[42:43]
	s_waitcnt lgkmcnt(2)
	v_mul_f64 v[56:57], v[12:13], v[6:7]
	v_add_f64 v[0:1], v[0:1], v[52:53]
	v_mul_f64 v[6:7], v[10:11], v[6:7]
	s_waitcnt lgkmcnt(0)
	v_mul_f64 v[48:49], v[30:31], v[46:47]
	v_mul_f64 v[46:47], v[28:29], v[46:47]
	v_add_f64 v[32:33], v[54:55], v[32:33]
	v_fma_f64 v[10:11], v[10:11], v[4:5], -v[56:57]
	v_add_f64 v[52:53], v[0:1], v[2:3]
	v_fma_f64 v[4:5], v[12:13], v[4:5], v[6:7]
	v_fma_f64 v[6:7], v[28:29], v[44:45], -v[48:49]
	v_add_f64 v[54:55], v[32:33], v[34:35]
	ds_load_b128 v[0:3], v16 offset:160
	ds_load_b128 v[32:35], v20 offset:5120
	;; [unrolled: 1-line block ×4, first 2 shown]
	s_waitcnt lgkmcnt(2)
	v_mul_f64 v[56:57], v[34:35], v[2:3]
	v_add_f64 v[12:13], v[52:53], v[50:51]
	v_mul_f64 v[48:49], v[32:33], v[2:3]
	s_waitcnt lgkmcnt(0)
	v_mul_f64 v[50:51], v[38:39], v[42:43]
	v_fma_f64 v[52:53], v[30:31], v[44:45], v[46:47]
	v_mul_f64 v[42:43], v[36:37], v[42:43]
	v_add_f64 v[10:11], v[54:55], v[10:11]
	v_fma_f64 v[32:33], v[32:33], v[0:1], -v[56:57]
	v_add_f64 v[54:55], v[12:13], v[4:5]
	v_fma_f64 v[0:1], v[34:35], v[0:1], v[48:49]
	v_fma_f64 v[34:35], v[36:37], v[40:41], -v[50:51]
	v_add_f64 v[6:7], v[10:11], v[6:7]
	ds_load_b128 v[2:5], v16 offset:192
	ds_load_b128 v[10:13], v20 offset:6144
	;; [unrolled: 1-line block ×4, first 2 shown]
	s_waitcnt lgkmcnt(2)
	v_mul_f64 v[56:57], v[12:13], v[4:5]
	v_add_f64 v[36:37], v[54:55], v[52:53]
	v_mul_f64 v[48:49], v[10:11], v[4:5]
	s_waitcnt lgkmcnt(0)
	v_mul_f64 v[50:51], v[30:31], v[46:47]
	v_fma_f64 v[52:53], v[38:39], v[40:41], v[42:43]
	v_mul_f64 v[46:47], v[28:29], v[46:47]
	v_add_f64 v[6:7], v[6:7], v[32:33]
	v_fma_f64 v[10:11], v[10:11], v[2:3], -v[56:57]
	v_add_f64 v[0:1], v[36:37], v[0:1]
	v_fma_f64 v[2:3], v[12:13], v[2:3], v[48:49]
	v_fma_f64 v[12:13], v[28:29], v[44:45], -v[50:51]
	v_fma_f64 v[50:51], v[30:31], v[44:45], v[46:47]
	v_add_f64 v[54:55], v[6:7], v[34:35]
	ds_load_b128 v[4:7], v16 offset:224
	ds_load_b128 v[32:35], v20 offset:7168
	;; [unrolled: 1-line block ×4, first 2 shown]
	s_waitcnt lgkmcnt(2)
	v_mul_f64 v[56:57], v[34:35], v[6:7]
	v_add_f64 v[0:1], v[0:1], v[52:53]
	v_mul_f64 v[6:7], v[32:33], v[6:7]
	s_waitcnt lgkmcnt(0)
	v_mul_f64 v[48:49], v[38:39], v[42:43]
	v_mul_f64 v[42:43], v[36:37], v[42:43]
	v_add_f64 v[10:11], v[54:55], v[10:11]
	v_fma_f64 v[32:33], v[32:33], v[4:5], -v[56:57]
	v_add_f64 v[52:53], v[0:1], v[2:3]
	v_fma_f64 v[4:5], v[34:35], v[4:5], v[6:7]
	v_fma_f64 v[6:7], v[36:37], v[40:41], -v[48:49]
	v_add_f64 v[54:55], v[10:11], v[12:13]
	ds_load_b128 v[0:3], v16 offset:256
	ds_load_b128 v[10:13], v20 offset:8192
	;; [unrolled: 1-line block ×4, first 2 shown]
	s_waitcnt lgkmcnt(2)
	v_mul_f64 v[56:57], v[12:13], v[2:3]
	v_add_f64 v[34:35], v[52:53], v[50:51]
	v_mul_f64 v[48:49], v[10:11], v[2:3]
	s_waitcnt lgkmcnt(0)
	v_mul_f64 v[50:51], v[30:31], v[46:47]
	v_fma_f64 v[52:53], v[38:39], v[40:41], v[42:43]
	v_mul_f64 v[46:47], v[28:29], v[46:47]
	v_add_f64 v[32:33], v[54:55], v[32:33]
	v_fma_f64 v[10:11], v[10:11], v[0:1], -v[56:57]
	v_add_f64 v[54:55], v[34:35], v[4:5]
	v_fma_f64 v[0:1], v[12:13], v[0:1], v[48:49]
	v_fma_f64 v[12:13], v[28:29], v[44:45], -v[50:51]
	v_add_f64 v[6:7], v[32:33], v[6:7]
	ds_load_b128 v[2:5], v16 offset:288
	ds_load_b128 v[32:35], v20 offset:9216
	;; [unrolled: 1-line block ×4, first 2 shown]
	s_waitcnt lgkmcnt(2)
	v_mul_f64 v[56:57], v[34:35], v[4:5]
	v_add_f64 v[28:29], v[54:55], v[52:53]
	v_mul_f64 v[48:49], v[32:33], v[4:5]
	s_waitcnt lgkmcnt(0)
	v_mul_f64 v[50:51], v[38:39], v[42:43]
	v_fma_f64 v[52:53], v[30:31], v[44:45], v[46:47]
	v_mul_f64 v[42:43], v[36:37], v[42:43]
	v_add_f64 v[6:7], v[6:7], v[10:11]
	v_fma_f64 v[32:33], v[32:33], v[2:3], -v[56:57]
	v_add_f64 v[0:1], v[28:29], v[0:1]
	v_fma_f64 v[2:3], v[34:35], v[2:3], v[48:49]
	v_fma_f64 v[34:35], v[36:37], v[40:41], -v[50:51]
	v_fma_f64 v[50:51], v[38:39], v[40:41], v[42:43]
	v_add_f64 v[54:55], v[6:7], v[12:13]
	ds_load_b128 v[4:7], v16 offset:320
	ds_load_b128 v[10:13], v20 offset:10240
	;; [unrolled: 1-line block ×4, first 2 shown]
	s_waitcnt lgkmcnt(2)
	v_mul_f64 v[56:57], v[12:13], v[6:7]
	v_add_f64 v[0:1], v[0:1], v[52:53]
	v_mul_f64 v[6:7], v[10:11], v[6:7]
	s_waitcnt lgkmcnt(0)
	v_mul_f64 v[48:49], v[30:31], v[46:47]
	v_mul_f64 v[46:47], v[28:29], v[46:47]
	v_add_f64 v[32:33], v[54:55], v[32:33]
	v_fma_f64 v[10:11], v[10:11], v[4:5], -v[56:57]
	v_add_f64 v[52:53], v[0:1], v[2:3]
	v_fma_f64 v[4:5], v[12:13], v[4:5], v[6:7]
	v_fma_f64 v[6:7], v[28:29], v[44:45], -v[48:49]
	v_add_f64 v[54:55], v[32:33], v[34:35]
	ds_load_b128 v[0:3], v16 offset:352
	ds_load_b128 v[32:35], v20 offset:11264
	;; [unrolled: 1-line block ×4, first 2 shown]
	s_waitcnt lgkmcnt(2)
	v_mul_f64 v[56:57], v[34:35], v[2:3]
	v_add_f64 v[12:13], v[52:53], v[50:51]
	v_mul_f64 v[48:49], v[32:33], v[2:3]
	s_waitcnt lgkmcnt(0)
	v_mul_f64 v[50:51], v[38:39], v[42:43]
	v_fma_f64 v[52:53], v[30:31], v[44:45], v[46:47]
	v_mul_f64 v[42:43], v[36:37], v[42:43]
	v_add_f64 v[10:11], v[54:55], v[10:11]
	v_fma_f64 v[32:33], v[32:33], v[0:1], -v[56:57]
	v_add_f64 v[54:55], v[12:13], v[4:5]
	v_fma_f64 v[0:1], v[34:35], v[0:1], v[48:49]
	v_fma_f64 v[34:35], v[36:37], v[40:41], -v[50:51]
	v_add_f64 v[6:7], v[10:11], v[6:7]
	ds_load_b128 v[2:5], v16 offset:384
	ds_load_b128 v[10:13], v20 offset:12288
	;; [unrolled: 1-line block ×4, first 2 shown]
	s_waitcnt lgkmcnt(2)
	v_mul_f64 v[56:57], v[12:13], v[4:5]
	v_add_f64 v[36:37], v[54:55], v[52:53]
	v_mul_f64 v[48:49], v[10:11], v[4:5]
	s_waitcnt lgkmcnt(0)
	v_mul_f64 v[50:51], v[30:31], v[46:47]
	v_fma_f64 v[52:53], v[38:39], v[40:41], v[42:43]
	v_mul_f64 v[46:47], v[28:29], v[46:47]
	v_add_f64 v[6:7], v[6:7], v[32:33]
	v_fma_f64 v[10:11], v[10:11], v[2:3], -v[56:57]
	v_add_f64 v[0:1], v[36:37], v[0:1]
	v_fma_f64 v[2:3], v[12:13], v[2:3], v[48:49]
	v_fma_f64 v[12:13], v[28:29], v[44:45], -v[50:51]
	v_add_f64 v[54:55], v[6:7], v[34:35]
	ds_load_b128 v[4:7], v16 offset:416
	ds_load_b128 v[32:35], v20 offset:13312
	;; [unrolled: 1-line block ×4, first 2 shown]
	s_waitcnt lgkmcnt(2)
	v_mul_f64 v[56:57], v[34:35], v[6:7]
	v_add_f64 v[0:1], v[0:1], v[52:53]
	v_mul_f64 v[6:7], v[32:33], v[6:7]
	s_waitcnt lgkmcnt(0)
	v_mul_f64 v[52:53], v[38:39], v[42:43]
	v_mul_f64 v[42:43], v[36:37], v[42:43]
	v_add_f64 v[10:11], v[54:55], v[10:11]
	v_fma_f64 v[54:55], v[30:31], v[44:45], v[46:47]
	v_fma_f64 v[32:33], v[32:33], v[4:5], -v[56:57]
	v_add_f64 v[56:57], v[0:1], v[2:3]
	v_fma_f64 v[4:5], v[34:35], v[4:5], v[6:7]
	v_fma_f64 v[6:7], v[36:37], v[40:41], -v[52:53]
	v_add_f64 v[58:59], v[10:11], v[12:13]
	ds_load_b128 v[0:3], v16 offset:448
	ds_load_b128 v[10:13], v20 offset:14336
	global_load_b128 v[28:31], v[8:9], off
	ds_load_b128 v[44:47], v20 offset:14848
	ds_load_b128 v[48:51], v16 offset:464
	v_add_f64 v[34:35], v[56:57], v[54:55]
	s_waitcnt lgkmcnt(2)
	v_mul_f64 v[60:61], v[12:13], v[2:3]
	v_mul_f64 v[52:53], v[10:11], v[2:3]
	s_waitcnt lgkmcnt(0)
	v_mul_f64 v[54:55], v[46:47], v[50:51]
	v_fma_f64 v[56:57], v[38:39], v[40:41], v[42:43]
	v_mul_f64 v[50:51], v[44:45], v[50:51]
	v_add_f64 v[32:33], v[58:59], v[32:33]
	v_add_f64 v[58:59], v[34:35], v[4:5]
	v_fma_f64 v[10:11], v[10:11], v[0:1], -v[60:61]
	v_fma_f64 v[0:1], v[12:13], v[0:1], v[52:53]
	v_fma_f64 v[12:13], v[44:45], v[48:49], -v[54:55]
	v_fma_f64 v[46:47], v[46:47], v[48:49], v[50:51]
	v_add_f64 v[6:7], v[32:33], v[6:7]
	ds_load_b128 v[2:5], v16 offset:480
	ds_load_b128 v[32:35], v20 offset:15360
	;; [unrolled: 1-line block ×4, first 2 shown]
	s_waitcnt lgkmcnt(2)
	v_mul_f64 v[60:61], v[34:35], v[4:5]
	v_add_f64 v[44:45], v[58:59], v[56:57]
	v_mul_f64 v[4:5], v[32:33], v[4:5]
	v_add_f64 v[6:7], v[6:7], v[10:11]
	s_waitcnt lgkmcnt(0)
	v_mul_f64 v[10:11], v[38:39], v[42:43]
	v_fma_f64 v[32:33], v[32:33], v[2:3], -v[60:61]
	v_add_f64 v[0:1], v[44:45], v[0:1]
	v_fma_f64 v[2:3], v[34:35], v[2:3], v[4:5]
	v_add_f64 v[6:7], v[6:7], v[12:13]
	v_mul_f64 v[12:13], v[36:37], v[42:43]
	v_fma_f64 v[4:5], v[36:37], v[40:41], -v[10:11]
	v_add_f64 v[0:1], v[0:1], v[46:47]
	s_delay_alu instid0(VALU_DEP_4) | instskip(NEXT) | instid1(VALU_DEP_4)
	v_add_f64 v[6:7], v[6:7], v[32:33]
	v_fma_f64 v[10:11], v[38:39], v[40:41], v[12:13]
	s_delay_alu instid0(VALU_DEP_3) | instskip(NEXT) | instid1(VALU_DEP_3)
	v_add_f64 v[0:1], v[0:1], v[2:3]
	v_add_f64 v[2:3], v[6:7], v[4:5]
	s_delay_alu instid0(VALU_DEP_2) | instskip(NEXT) | instid1(VALU_DEP_2)
	v_add_f64 v[0:1], v[0:1], v[10:11]
	v_mul_f64 v[4:5], s[4:5], v[2:3]
	v_mul_f64 v[2:3], s[6:7], v[2:3]
	s_delay_alu instid0(VALU_DEP_2) | instskip(NEXT) | instid1(VALU_DEP_2)
	v_fma_f64 v[4:5], s[6:7], v[0:1], v[4:5]
	v_fma_f64 v[2:3], s[4:5], v[0:1], -v[2:3]
	s_waitcnt vmcnt(0)
	s_delay_alu instid0(VALU_DEP_2) | instskip(NEXT) | instid1(VALU_DEP_2)
	v_add_f64 v[0:1], v[28:29], v[4:5]
	v_add_f64 v[2:3], v[30:31], v[2:3]
	global_store_b128 v[8:9], v[0:3], off
	s_branch .LBB1943_4
.LBB1943_17:
	s_endpgm
	.section	.rodata,"a",@progbits
	.p2align	6, 0x0
	.amdhsa_kernel _ZL26rocblas_syr2k_her2k_kernelIiLb1ELb1ELb1ELi32EPK19rocblas_complex_numIdEPKS3_PKPS1_EvbiT_T4_T5_S9_lSB_S9_lT6_S9_li
		.amdhsa_group_segment_fixed_size 32768
		.amdhsa_private_segment_fixed_size 0
		.amdhsa_kernarg_size 100
		.amdhsa_user_sgpr_count 13
		.amdhsa_user_sgpr_dispatch_ptr 0
		.amdhsa_user_sgpr_queue_ptr 0
		.amdhsa_user_sgpr_kernarg_segment_ptr 1
		.amdhsa_user_sgpr_dispatch_id 0
		.amdhsa_user_sgpr_private_segment_size 0
		.amdhsa_wavefront_size32 1
		.amdhsa_uses_dynamic_stack 0
		.amdhsa_enable_private_segment 0
		.amdhsa_system_sgpr_workgroup_id_x 1
		.amdhsa_system_sgpr_workgroup_id_y 1
		.amdhsa_system_sgpr_workgroup_id_z 1
		.amdhsa_system_sgpr_workgroup_info 0
		.amdhsa_system_vgpr_workitem_id 1
		.amdhsa_next_free_vgpr 66
		.amdhsa_next_free_sgpr 29
		.amdhsa_reserve_vcc 1
		.amdhsa_float_round_mode_32 0
		.amdhsa_float_round_mode_16_64 0
		.amdhsa_float_denorm_mode_32 3
		.amdhsa_float_denorm_mode_16_64 3
		.amdhsa_dx10_clamp 1
		.amdhsa_ieee_mode 1
		.amdhsa_fp16_overflow 0
		.amdhsa_workgroup_processor_mode 1
		.amdhsa_memory_ordered 1
		.amdhsa_forward_progress 0
		.amdhsa_shared_vgpr_count 0
		.amdhsa_exception_fp_ieee_invalid_op 0
		.amdhsa_exception_fp_denorm_src 0
		.amdhsa_exception_fp_ieee_div_zero 0
		.amdhsa_exception_fp_ieee_overflow 0
		.amdhsa_exception_fp_ieee_underflow 0
		.amdhsa_exception_fp_ieee_inexact 0
		.amdhsa_exception_int_div_zero 0
	.end_amdhsa_kernel
	.section	.text._ZL26rocblas_syr2k_her2k_kernelIiLb1ELb1ELb1ELi32EPK19rocblas_complex_numIdEPKS3_PKPS1_EvbiT_T4_T5_S9_lSB_S9_lT6_S9_li,"axG",@progbits,_ZL26rocblas_syr2k_her2k_kernelIiLb1ELb1ELb1ELi32EPK19rocblas_complex_numIdEPKS3_PKPS1_EvbiT_T4_T5_S9_lSB_S9_lT6_S9_li,comdat
.Lfunc_end1943:
	.size	_ZL26rocblas_syr2k_her2k_kernelIiLb1ELb1ELb1ELi32EPK19rocblas_complex_numIdEPKS3_PKPS1_EvbiT_T4_T5_S9_lSB_S9_lT6_S9_li, .Lfunc_end1943-_ZL26rocblas_syr2k_her2k_kernelIiLb1ELb1ELb1ELi32EPK19rocblas_complex_numIdEPKS3_PKPS1_EvbiT_T4_T5_S9_lSB_S9_lT6_S9_li
                                        ; -- End function
	.section	.AMDGPU.csdata,"",@progbits
; Kernel info:
; codeLenInByte = 5620
; NumSgprs: 31
; NumVgprs: 66
; ScratchSize: 0
; MemoryBound: 1
; FloatMode: 240
; IeeeMode: 1
; LDSByteSize: 32768 bytes/workgroup (compile time only)
; SGPRBlocks: 3
; VGPRBlocks: 8
; NumSGPRsForWavesPerEU: 31
; NumVGPRsForWavesPerEU: 66
; Occupancy: 16
; WaveLimiterHint : 1
; COMPUTE_PGM_RSRC2:SCRATCH_EN: 0
; COMPUTE_PGM_RSRC2:USER_SGPR: 13
; COMPUTE_PGM_RSRC2:TRAP_HANDLER: 0
; COMPUTE_PGM_RSRC2:TGID_X_EN: 1
; COMPUTE_PGM_RSRC2:TGID_Y_EN: 1
; COMPUTE_PGM_RSRC2:TGID_Z_EN: 1
; COMPUTE_PGM_RSRC2:TIDIG_COMP_CNT: 1
	.text
	.p2alignl 7, 3214868480
	.fill 96, 4, 3214868480
	.type	__hip_cuid_ed81d62a10a0037e,@object ; @__hip_cuid_ed81d62a10a0037e
	.section	.bss,"aw",@nobits
	.globl	__hip_cuid_ed81d62a10a0037e
__hip_cuid_ed81d62a10a0037e:
	.byte	0                               ; 0x0
	.size	__hip_cuid_ed81d62a10a0037e, 1

	.ident	"AMD clang version 19.0.0git (https://github.com/RadeonOpenCompute/llvm-project roc-6.4.0 25133 c7fe45cf4b819c5991fe208aaa96edf142730f1d)"
	.section	".note.GNU-stack","",@progbits
	.addrsig
	.addrsig_sym __hip_cuid_ed81d62a10a0037e
	.amdgpu_metadata
---
amdhsa.kernels:
  - .args:
      - .offset:         0
        .size:           1
        .value_kind:     by_value
      - .offset:         4
        .size:           4
        .value_kind:     by_value
      - .offset:         8
        .size:           4
        .value_kind:     by_value
      - .offset:         12
        .size:           4
        .value_kind:     by_value
      - .address_space:  global
        .offset:         16
        .size:           8
        .value_kind:     global_buffer
      - .offset:         24
        .size:           4
        .value_kind:     by_value
      - .offset:         32
        .size:           8
        .value_kind:     by_value
      - .address_space:  global
        .offset:         40
        .size:           8
        .value_kind:     global_buffer
      - .offset:         48
        .size:           4
        .value_kind:     by_value
      - .offset:         56
        .size:           8
        .value_kind:     by_value
      - .address_space:  global
        .offset:         64
        .size:           8
        .value_kind:     global_buffer
      - .offset:         72
        .size:           4
        .value_kind:     by_value
      - .offset:         80
        .size:           8
        .value_kind:     by_value
      - .offset:         88
        .size:           4
        .value_kind:     by_value
    .group_segment_fixed_size: 8192
    .kernarg_segment_align: 8
    .kernarg_segment_size: 92
    .language:       OpenCL C
    .language_version:
      - 2
      - 0
    .max_flat_workgroup_size: 1024
    .name:           _ZL26rocblas_syr2k_her2k_kernelIiLb0ELb0ELb0ELi32EfPKfPfEvbiT_T4_T5_S3_lS5_S3_lT6_S3_li
    .private_segment_fixed_size: 0
    .sgpr_count:     24
    .sgpr_spill_count: 0
    .symbol:         _ZL26rocblas_syr2k_her2k_kernelIiLb0ELb0ELb0ELi32EfPKfPfEvbiT_T4_T5_S3_lS5_S3_lT6_S3_li.kd
    .uniform_work_group_size: 1
    .uses_dynamic_stack: false
    .vgpr_count:     31
    .vgpr_spill_count: 0
    .wavefront_size: 32
    .workgroup_processor_mode: 1
  - .args:
      - .offset:         0
        .size:           1
        .value_kind:     by_value
      - .offset:         4
        .size:           4
        .value_kind:     by_value
      - .offset:         8
        .size:           4
        .value_kind:     by_value
      - .offset:         12
        .size:           4
        .value_kind:     by_value
      - .address_space:  global
        .offset:         16
        .size:           8
        .value_kind:     global_buffer
      - .offset:         24
        .size:           4
        .value_kind:     by_value
      - .offset:         32
        .size:           8
        .value_kind:     by_value
      - .address_space:  global
        .offset:         40
        .size:           8
        .value_kind:     global_buffer
      - .offset:         48
        .size:           4
        .value_kind:     by_value
      - .offset:         56
        .size:           8
        .value_kind:     by_value
      - .address_space:  global
        .offset:         64
        .size:           8
        .value_kind:     global_buffer
      - .offset:         72
        .size:           4
        .value_kind:     by_value
      - .offset:         80
        .size:           8
        .value_kind:     by_value
      - .offset:         88
        .size:           4
        .value_kind:     by_value
    .group_segment_fixed_size: 8192
    .kernarg_segment_align: 8
    .kernarg_segment_size: 92
    .language:       OpenCL C
    .language_version:
      - 2
      - 0
    .max_flat_workgroup_size: 1024
    .name:           _ZL26rocblas_syr2k_her2k_kernelIiLb0ELb0ELb1ELi32EfPKfPfEvbiT_T4_T5_S3_lS5_S3_lT6_S3_li
    .private_segment_fixed_size: 0
    .sgpr_count:     25
    .sgpr_spill_count: 0
    .symbol:         _ZL26rocblas_syr2k_her2k_kernelIiLb0ELb0ELb1ELi32EfPKfPfEvbiT_T4_T5_S3_lS5_S3_lT6_S3_li.kd
    .uniform_work_group_size: 1
    .uses_dynamic_stack: false
    .vgpr_count:     31
    .vgpr_spill_count: 0
    .wavefront_size: 32
    .workgroup_processor_mode: 1
  - .args:
      - .offset:         0
        .size:           4
        .value_kind:     by_value
      - .offset:         4
        .size:           4
        .value_kind:     by_value
      - .address_space:  global
        .offset:         8
        .size:           8
        .value_kind:     global_buffer
      - .offset:         16
        .size:           4
        .value_kind:     by_value
      - .offset:         24
        .size:           8
        .value_kind:     by_value
      - .address_space:  global
        .offset:         32
        .size:           8
        .value_kind:     global_buffer
      - .offset:         40
        .size:           4
        .value_kind:     by_value
      - .offset:         48
        .size:           8
        .value_kind:     by_value
      - .address_space:  global
        .offset:         56
        .size:           8
        .value_kind:     global_buffer
      - .offset:         64
        .size:           4
        .value_kind:     by_value
      - .offset:         72
        .size:           8
        .value_kind:     by_value
      - .offset:         80
        .size:           4
        .value_kind:     by_value
    .group_segment_fixed_size: 2048
    .kernarg_segment_align: 8
    .kernarg_segment_size: 84
    .language:       OpenCL C
    .language_version:
      - 2
      - 0
    .max_flat_workgroup_size: 256
    .name:           _ZL37rocblas_syrkx_herkx_restricted_kernelIifLi16ELi32ELi8ELi1ELi1ELb0ELc84ELc76EKffEviT_PT9_S1_lS3_S1_lPT10_S1_li
    .private_segment_fixed_size: 0
    .sgpr_count:     22
    .sgpr_spill_count: 0
    .symbol:         _ZL37rocblas_syrkx_herkx_restricted_kernelIifLi16ELi32ELi8ELi1ELi1ELb0ELc84ELc76EKffEviT_PT9_S1_lS3_S1_lPT10_S1_li.kd
    .uniform_work_group_size: 1
    .uses_dynamic_stack: false
    .vgpr_count:     46
    .vgpr_spill_count: 0
    .wavefront_size: 32
    .workgroup_processor_mode: 1
  - .args:
      - .offset:         0
        .size:           4
        .value_kind:     by_value
      - .offset:         4
        .size:           4
        .value_kind:     by_value
      - .address_space:  global
        .offset:         8
        .size:           8
        .value_kind:     global_buffer
      - .offset:         16
        .size:           4
        .value_kind:     by_value
      - .offset:         24
        .size:           8
        .value_kind:     by_value
      - .address_space:  global
        .offset:         32
        .size:           8
        .value_kind:     global_buffer
      - .offset:         40
        .size:           4
        .value_kind:     by_value
      - .offset:         48
        .size:           8
        .value_kind:     by_value
      - .address_space:  global
        .offset:         56
        .size:           8
        .value_kind:     global_buffer
      - .offset:         64
        .size:           4
        .value_kind:     by_value
      - .offset:         72
        .size:           8
        .value_kind:     by_value
      - .offset:         80
        .size:           4
        .value_kind:     by_value
    .group_segment_fixed_size: 2048
    .kernarg_segment_align: 8
    .kernarg_segment_size: 84
    .language:       OpenCL C
    .language_version:
      - 2
      - 0
    .max_flat_workgroup_size: 256
    .name:           _ZL37rocblas_syrkx_herkx_restricted_kernelIifLi16ELi32ELi8ELi1ELi1ELb0ELc67ELc76EKffEviT_PT9_S1_lS3_S1_lPT10_S1_li
    .private_segment_fixed_size: 0
    .sgpr_count:     22
    .sgpr_spill_count: 0
    .symbol:         _ZL37rocblas_syrkx_herkx_restricted_kernelIifLi16ELi32ELi8ELi1ELi1ELb0ELc67ELc76EKffEviT_PT9_S1_lS3_S1_lPT10_S1_li.kd
    .uniform_work_group_size: 1
    .uses_dynamic_stack: false
    .vgpr_count:     46
    .vgpr_spill_count: 0
    .wavefront_size: 32
    .workgroup_processor_mode: 1
  - .args:
      - .offset:         0
        .size:           4
        .value_kind:     by_value
      - .offset:         4
        .size:           4
        .value_kind:     by_value
      - .address_space:  global
        .offset:         8
        .size:           8
        .value_kind:     global_buffer
      - .offset:         16
        .size:           4
        .value_kind:     by_value
      - .offset:         24
        .size:           8
        .value_kind:     by_value
      - .address_space:  global
        .offset:         32
        .size:           8
        .value_kind:     global_buffer
      - .offset:         40
        .size:           4
        .value_kind:     by_value
      - .offset:         48
        .size:           8
        .value_kind:     by_value
      - .address_space:  global
        .offset:         56
        .size:           8
        .value_kind:     global_buffer
      - .offset:         64
        .size:           4
        .value_kind:     by_value
      - .offset:         72
        .size:           8
        .value_kind:     by_value
      - .offset:         80
        .size:           4
        .value_kind:     by_value
    .group_segment_fixed_size: 2048
    .kernarg_segment_align: 8
    .kernarg_segment_size: 84
    .language:       OpenCL C
    .language_version:
      - 2
      - 0
    .max_flat_workgroup_size: 256
    .name:           _ZL37rocblas_syrkx_herkx_restricted_kernelIifLi16ELi32ELi8ELi1ELi1ELb0ELc78ELc76EKffEviT_PT9_S1_lS3_S1_lPT10_S1_li
    .private_segment_fixed_size: 0
    .sgpr_count:     25
    .sgpr_spill_count: 0
    .symbol:         _ZL37rocblas_syrkx_herkx_restricted_kernelIifLi16ELi32ELi8ELi1ELi1ELb0ELc78ELc76EKffEviT_PT9_S1_lS3_S1_lPT10_S1_li.kd
    .uniform_work_group_size: 1
    .uses_dynamic_stack: false
    .vgpr_count:     46
    .vgpr_spill_count: 0
    .wavefront_size: 32
    .workgroup_processor_mode: 1
  - .args:
      - .offset:         0
        .size:           4
        .value_kind:     by_value
      - .offset:         4
        .size:           4
        .value_kind:     by_value
      - .address_space:  global
        .offset:         8
        .size:           8
        .value_kind:     global_buffer
      - .offset:         16
        .size:           4
        .value_kind:     by_value
      - .offset:         24
        .size:           8
        .value_kind:     by_value
      - .address_space:  global
        .offset:         32
        .size:           8
        .value_kind:     global_buffer
      - .offset:         40
        .size:           4
        .value_kind:     by_value
      - .offset:         48
        .size:           8
        .value_kind:     by_value
      - .address_space:  global
        .offset:         56
        .size:           8
        .value_kind:     global_buffer
      - .offset:         64
        .size:           4
        .value_kind:     by_value
      - .offset:         72
        .size:           8
        .value_kind:     by_value
      - .offset:         80
        .size:           4
        .value_kind:     by_value
    .group_segment_fixed_size: 2048
    .kernarg_segment_align: 8
    .kernarg_segment_size: 84
    .language:       OpenCL C
    .language_version:
      - 2
      - 0
    .max_flat_workgroup_size: 256
    .name:           _ZL37rocblas_syrkx_herkx_restricted_kernelIifLi16ELi32ELi8ELi1ELi1ELb0ELc84ELc85EKffEviT_PT9_S1_lS3_S1_lPT10_S1_li
    .private_segment_fixed_size: 0
    .sgpr_count:     22
    .sgpr_spill_count: 0
    .symbol:         _ZL37rocblas_syrkx_herkx_restricted_kernelIifLi16ELi32ELi8ELi1ELi1ELb0ELc84ELc85EKffEviT_PT9_S1_lS3_S1_lPT10_S1_li.kd
    .uniform_work_group_size: 1
    .uses_dynamic_stack: false
    .vgpr_count:     46
    .vgpr_spill_count: 0
    .wavefront_size: 32
    .workgroup_processor_mode: 1
  - .args:
      - .offset:         0
        .size:           4
        .value_kind:     by_value
      - .offset:         4
        .size:           4
        .value_kind:     by_value
      - .address_space:  global
        .offset:         8
        .size:           8
        .value_kind:     global_buffer
      - .offset:         16
        .size:           4
        .value_kind:     by_value
      - .offset:         24
        .size:           8
        .value_kind:     by_value
      - .address_space:  global
        .offset:         32
        .size:           8
        .value_kind:     global_buffer
      - .offset:         40
        .size:           4
        .value_kind:     by_value
      - .offset:         48
        .size:           8
        .value_kind:     by_value
      - .address_space:  global
        .offset:         56
        .size:           8
        .value_kind:     global_buffer
      - .offset:         64
        .size:           4
        .value_kind:     by_value
      - .offset:         72
        .size:           8
        .value_kind:     by_value
      - .offset:         80
        .size:           4
        .value_kind:     by_value
    .group_segment_fixed_size: 2048
    .kernarg_segment_align: 8
    .kernarg_segment_size: 84
    .language:       OpenCL C
    .language_version:
      - 2
      - 0
    .max_flat_workgroup_size: 256
    .name:           _ZL37rocblas_syrkx_herkx_restricted_kernelIifLi16ELi32ELi8ELi1ELi1ELb0ELc67ELc85EKffEviT_PT9_S1_lS3_S1_lPT10_S1_li
    .private_segment_fixed_size: 0
    .sgpr_count:     22
    .sgpr_spill_count: 0
    .symbol:         _ZL37rocblas_syrkx_herkx_restricted_kernelIifLi16ELi32ELi8ELi1ELi1ELb0ELc67ELc85EKffEviT_PT9_S1_lS3_S1_lPT10_S1_li.kd
    .uniform_work_group_size: 1
    .uses_dynamic_stack: false
    .vgpr_count:     46
    .vgpr_spill_count: 0
    .wavefront_size: 32
    .workgroup_processor_mode: 1
  - .args:
      - .offset:         0
        .size:           4
        .value_kind:     by_value
      - .offset:         4
        .size:           4
        .value_kind:     by_value
      - .address_space:  global
        .offset:         8
        .size:           8
        .value_kind:     global_buffer
      - .offset:         16
        .size:           4
        .value_kind:     by_value
      - .offset:         24
        .size:           8
        .value_kind:     by_value
      - .address_space:  global
        .offset:         32
        .size:           8
        .value_kind:     global_buffer
      - .offset:         40
        .size:           4
        .value_kind:     by_value
      - .offset:         48
        .size:           8
        .value_kind:     by_value
      - .address_space:  global
        .offset:         56
        .size:           8
        .value_kind:     global_buffer
      - .offset:         64
        .size:           4
        .value_kind:     by_value
      - .offset:         72
        .size:           8
        .value_kind:     by_value
      - .offset:         80
        .size:           4
        .value_kind:     by_value
    .group_segment_fixed_size: 2048
    .kernarg_segment_align: 8
    .kernarg_segment_size: 84
    .language:       OpenCL C
    .language_version:
      - 2
      - 0
    .max_flat_workgroup_size: 256
    .name:           _ZL37rocblas_syrkx_herkx_restricted_kernelIifLi16ELi32ELi8ELi1ELi1ELb0ELc78ELc85EKffEviT_PT9_S1_lS3_S1_lPT10_S1_li
    .private_segment_fixed_size: 0
    .sgpr_count:     25
    .sgpr_spill_count: 0
    .symbol:         _ZL37rocblas_syrkx_herkx_restricted_kernelIifLi16ELi32ELi8ELi1ELi1ELb0ELc78ELc85EKffEviT_PT9_S1_lS3_S1_lPT10_S1_li.kd
    .uniform_work_group_size: 1
    .uses_dynamic_stack: false
    .vgpr_count:     46
    .vgpr_spill_count: 0
    .wavefront_size: 32
    .workgroup_processor_mode: 1
  - .args:
      - .offset:         0
        .size:           4
        .value_kind:     by_value
      - .offset:         4
        .size:           4
        .value_kind:     by_value
      - .address_space:  global
        .offset:         8
        .size:           8
        .value_kind:     global_buffer
      - .offset:         16
        .size:           4
        .value_kind:     by_value
      - .offset:         24
        .size:           8
        .value_kind:     by_value
      - .address_space:  global
        .offset:         32
        .size:           8
        .value_kind:     global_buffer
      - .offset:         40
        .size:           4
        .value_kind:     by_value
      - .offset:         48
        .size:           8
        .value_kind:     by_value
      - .address_space:  global
        .offset:         56
        .size:           8
        .value_kind:     global_buffer
      - .offset:         64
        .size:           4
        .value_kind:     by_value
      - .offset:         72
        .size:           8
        .value_kind:     by_value
      - .offset:         80
        .size:           4
        .value_kind:     by_value
    .group_segment_fixed_size: 2048
    .kernarg_segment_align: 8
    .kernarg_segment_size: 84
    .language:       OpenCL C
    .language_version:
      - 2
      - 0
    .max_flat_workgroup_size: 256
    .name:           _ZL37rocblas_syrkx_herkx_restricted_kernelIifLi16ELi32ELi8ELi1ELin1ELb0ELc84ELc76EKffEviT_PT9_S1_lS3_S1_lPT10_S1_li
    .private_segment_fixed_size: 0
    .sgpr_count:     22
    .sgpr_spill_count: 0
    .symbol:         _ZL37rocblas_syrkx_herkx_restricted_kernelIifLi16ELi32ELi8ELi1ELin1ELb0ELc84ELc76EKffEviT_PT9_S1_lS3_S1_lPT10_S1_li.kd
    .uniform_work_group_size: 1
    .uses_dynamic_stack: false
    .vgpr_count:     46
    .vgpr_spill_count: 0
    .wavefront_size: 32
    .workgroup_processor_mode: 1
  - .args:
      - .offset:         0
        .size:           4
        .value_kind:     by_value
      - .offset:         4
        .size:           4
        .value_kind:     by_value
      - .address_space:  global
        .offset:         8
        .size:           8
        .value_kind:     global_buffer
      - .offset:         16
        .size:           4
        .value_kind:     by_value
      - .offset:         24
        .size:           8
        .value_kind:     by_value
      - .address_space:  global
        .offset:         32
        .size:           8
        .value_kind:     global_buffer
      - .offset:         40
        .size:           4
        .value_kind:     by_value
      - .offset:         48
        .size:           8
        .value_kind:     by_value
      - .address_space:  global
        .offset:         56
        .size:           8
        .value_kind:     global_buffer
      - .offset:         64
        .size:           4
        .value_kind:     by_value
      - .offset:         72
        .size:           8
        .value_kind:     by_value
      - .offset:         80
        .size:           4
        .value_kind:     by_value
    .group_segment_fixed_size: 2048
    .kernarg_segment_align: 8
    .kernarg_segment_size: 84
    .language:       OpenCL C
    .language_version:
      - 2
      - 0
    .max_flat_workgroup_size: 256
    .name:           _ZL37rocblas_syrkx_herkx_restricted_kernelIifLi16ELi32ELi8ELi1ELin1ELb0ELc67ELc76EKffEviT_PT9_S1_lS3_S1_lPT10_S1_li
    .private_segment_fixed_size: 0
    .sgpr_count:     22
    .sgpr_spill_count: 0
    .symbol:         _ZL37rocblas_syrkx_herkx_restricted_kernelIifLi16ELi32ELi8ELi1ELin1ELb0ELc67ELc76EKffEviT_PT9_S1_lS3_S1_lPT10_S1_li.kd
    .uniform_work_group_size: 1
    .uses_dynamic_stack: false
    .vgpr_count:     46
    .vgpr_spill_count: 0
    .wavefront_size: 32
    .workgroup_processor_mode: 1
  - .args:
      - .offset:         0
        .size:           4
        .value_kind:     by_value
      - .offset:         4
        .size:           4
        .value_kind:     by_value
      - .address_space:  global
        .offset:         8
        .size:           8
        .value_kind:     global_buffer
      - .offset:         16
        .size:           4
        .value_kind:     by_value
      - .offset:         24
        .size:           8
        .value_kind:     by_value
      - .address_space:  global
        .offset:         32
        .size:           8
        .value_kind:     global_buffer
      - .offset:         40
        .size:           4
        .value_kind:     by_value
      - .offset:         48
        .size:           8
        .value_kind:     by_value
      - .address_space:  global
        .offset:         56
        .size:           8
        .value_kind:     global_buffer
      - .offset:         64
        .size:           4
        .value_kind:     by_value
      - .offset:         72
        .size:           8
        .value_kind:     by_value
      - .offset:         80
        .size:           4
        .value_kind:     by_value
    .group_segment_fixed_size: 2048
    .kernarg_segment_align: 8
    .kernarg_segment_size: 84
    .language:       OpenCL C
    .language_version:
      - 2
      - 0
    .max_flat_workgroup_size: 256
    .name:           _ZL37rocblas_syrkx_herkx_restricted_kernelIifLi16ELi32ELi8ELi1ELin1ELb0ELc78ELc76EKffEviT_PT9_S1_lS3_S1_lPT10_S1_li
    .private_segment_fixed_size: 0
    .sgpr_count:     25
    .sgpr_spill_count: 0
    .symbol:         _ZL37rocblas_syrkx_herkx_restricted_kernelIifLi16ELi32ELi8ELi1ELin1ELb0ELc78ELc76EKffEviT_PT9_S1_lS3_S1_lPT10_S1_li.kd
    .uniform_work_group_size: 1
    .uses_dynamic_stack: false
    .vgpr_count:     46
    .vgpr_spill_count: 0
    .wavefront_size: 32
    .workgroup_processor_mode: 1
  - .args:
      - .offset:         0
        .size:           4
        .value_kind:     by_value
      - .offset:         4
        .size:           4
        .value_kind:     by_value
      - .address_space:  global
        .offset:         8
        .size:           8
        .value_kind:     global_buffer
      - .offset:         16
        .size:           4
        .value_kind:     by_value
      - .offset:         24
        .size:           8
        .value_kind:     by_value
      - .address_space:  global
        .offset:         32
        .size:           8
        .value_kind:     global_buffer
      - .offset:         40
        .size:           4
        .value_kind:     by_value
      - .offset:         48
        .size:           8
        .value_kind:     by_value
      - .address_space:  global
        .offset:         56
        .size:           8
        .value_kind:     global_buffer
      - .offset:         64
        .size:           4
        .value_kind:     by_value
      - .offset:         72
        .size:           8
        .value_kind:     by_value
      - .offset:         80
        .size:           4
        .value_kind:     by_value
    .group_segment_fixed_size: 2048
    .kernarg_segment_align: 8
    .kernarg_segment_size: 84
    .language:       OpenCL C
    .language_version:
      - 2
      - 0
    .max_flat_workgroup_size: 256
    .name:           _ZL37rocblas_syrkx_herkx_restricted_kernelIifLi16ELi32ELi8ELi1ELin1ELb0ELc84ELc85EKffEviT_PT9_S1_lS3_S1_lPT10_S1_li
    .private_segment_fixed_size: 0
    .sgpr_count:     22
    .sgpr_spill_count: 0
    .symbol:         _ZL37rocblas_syrkx_herkx_restricted_kernelIifLi16ELi32ELi8ELi1ELin1ELb0ELc84ELc85EKffEviT_PT9_S1_lS3_S1_lPT10_S1_li.kd
    .uniform_work_group_size: 1
    .uses_dynamic_stack: false
    .vgpr_count:     46
    .vgpr_spill_count: 0
    .wavefront_size: 32
    .workgroup_processor_mode: 1
  - .args:
      - .offset:         0
        .size:           4
        .value_kind:     by_value
      - .offset:         4
        .size:           4
        .value_kind:     by_value
      - .address_space:  global
        .offset:         8
        .size:           8
        .value_kind:     global_buffer
      - .offset:         16
        .size:           4
        .value_kind:     by_value
      - .offset:         24
        .size:           8
        .value_kind:     by_value
      - .address_space:  global
        .offset:         32
        .size:           8
        .value_kind:     global_buffer
      - .offset:         40
        .size:           4
        .value_kind:     by_value
      - .offset:         48
        .size:           8
        .value_kind:     by_value
      - .address_space:  global
        .offset:         56
        .size:           8
        .value_kind:     global_buffer
      - .offset:         64
        .size:           4
        .value_kind:     by_value
      - .offset:         72
        .size:           8
        .value_kind:     by_value
      - .offset:         80
        .size:           4
        .value_kind:     by_value
    .group_segment_fixed_size: 2048
    .kernarg_segment_align: 8
    .kernarg_segment_size: 84
    .language:       OpenCL C
    .language_version:
      - 2
      - 0
    .max_flat_workgroup_size: 256
    .name:           _ZL37rocblas_syrkx_herkx_restricted_kernelIifLi16ELi32ELi8ELi1ELin1ELb0ELc67ELc85EKffEviT_PT9_S1_lS3_S1_lPT10_S1_li
    .private_segment_fixed_size: 0
    .sgpr_count:     22
    .sgpr_spill_count: 0
    .symbol:         _ZL37rocblas_syrkx_herkx_restricted_kernelIifLi16ELi32ELi8ELi1ELin1ELb0ELc67ELc85EKffEviT_PT9_S1_lS3_S1_lPT10_S1_li.kd
    .uniform_work_group_size: 1
    .uses_dynamic_stack: false
    .vgpr_count:     46
    .vgpr_spill_count: 0
    .wavefront_size: 32
    .workgroup_processor_mode: 1
  - .args:
      - .offset:         0
        .size:           4
        .value_kind:     by_value
      - .offset:         4
        .size:           4
        .value_kind:     by_value
      - .address_space:  global
        .offset:         8
        .size:           8
        .value_kind:     global_buffer
      - .offset:         16
        .size:           4
        .value_kind:     by_value
      - .offset:         24
        .size:           8
        .value_kind:     by_value
      - .address_space:  global
        .offset:         32
        .size:           8
        .value_kind:     global_buffer
      - .offset:         40
        .size:           4
        .value_kind:     by_value
      - .offset:         48
        .size:           8
        .value_kind:     by_value
      - .address_space:  global
        .offset:         56
        .size:           8
        .value_kind:     global_buffer
      - .offset:         64
        .size:           4
        .value_kind:     by_value
      - .offset:         72
        .size:           8
        .value_kind:     by_value
      - .offset:         80
        .size:           4
        .value_kind:     by_value
    .group_segment_fixed_size: 2048
    .kernarg_segment_align: 8
    .kernarg_segment_size: 84
    .language:       OpenCL C
    .language_version:
      - 2
      - 0
    .max_flat_workgroup_size: 256
    .name:           _ZL37rocblas_syrkx_herkx_restricted_kernelIifLi16ELi32ELi8ELi1ELin1ELb0ELc78ELc85EKffEviT_PT9_S1_lS3_S1_lPT10_S1_li
    .private_segment_fixed_size: 0
    .sgpr_count:     25
    .sgpr_spill_count: 0
    .symbol:         _ZL37rocblas_syrkx_herkx_restricted_kernelIifLi16ELi32ELi8ELi1ELin1ELb0ELc78ELc85EKffEviT_PT9_S1_lS3_S1_lPT10_S1_li.kd
    .uniform_work_group_size: 1
    .uses_dynamic_stack: false
    .vgpr_count:     46
    .vgpr_spill_count: 0
    .wavefront_size: 32
    .workgroup_processor_mode: 1
  - .args:
      - .offset:         0
        .size:           4
        .value_kind:     by_value
      - .offset:         4
        .size:           4
        .value_kind:     by_value
      - .address_space:  global
        .offset:         8
        .size:           8
        .value_kind:     global_buffer
      - .offset:         16
        .size:           4
        .value_kind:     by_value
      - .offset:         24
        .size:           8
        .value_kind:     by_value
      - .address_space:  global
        .offset:         32
        .size:           8
        .value_kind:     global_buffer
      - .offset:         40
        .size:           4
        .value_kind:     by_value
      - .offset:         48
        .size:           8
        .value_kind:     by_value
      - .address_space:  global
        .offset:         56
        .size:           8
        .value_kind:     global_buffer
      - .offset:         64
        .size:           4
        .value_kind:     by_value
      - .offset:         72
        .size:           8
        .value_kind:     by_value
      - .offset:         80
        .size:           4
        .value_kind:     by_value
    .group_segment_fixed_size: 2048
    .kernarg_segment_align: 8
    .kernarg_segment_size: 84
    .language:       OpenCL C
    .language_version:
      - 2
      - 0
    .max_flat_workgroup_size: 256
    .name:           _ZL37rocblas_syrkx_herkx_restricted_kernelIifLi16ELi32ELi8ELi1ELi0ELb0ELc84ELc76EKffEviT_PT9_S1_lS3_S1_lPT10_S1_li
    .private_segment_fixed_size: 0
    .sgpr_count:     22
    .sgpr_spill_count: 0
    .symbol:         _ZL37rocblas_syrkx_herkx_restricted_kernelIifLi16ELi32ELi8ELi1ELi0ELb0ELc84ELc76EKffEviT_PT9_S1_lS3_S1_lPT10_S1_li.kd
    .uniform_work_group_size: 1
    .uses_dynamic_stack: false
    .vgpr_count:     46
    .vgpr_spill_count: 0
    .wavefront_size: 32
    .workgroup_processor_mode: 1
  - .args:
      - .offset:         0
        .size:           4
        .value_kind:     by_value
      - .offset:         4
        .size:           4
        .value_kind:     by_value
      - .address_space:  global
        .offset:         8
        .size:           8
        .value_kind:     global_buffer
      - .offset:         16
        .size:           4
        .value_kind:     by_value
      - .offset:         24
        .size:           8
        .value_kind:     by_value
      - .address_space:  global
        .offset:         32
        .size:           8
        .value_kind:     global_buffer
      - .offset:         40
        .size:           4
        .value_kind:     by_value
      - .offset:         48
        .size:           8
        .value_kind:     by_value
      - .address_space:  global
        .offset:         56
        .size:           8
        .value_kind:     global_buffer
      - .offset:         64
        .size:           4
        .value_kind:     by_value
      - .offset:         72
        .size:           8
        .value_kind:     by_value
      - .offset:         80
        .size:           4
        .value_kind:     by_value
    .group_segment_fixed_size: 2048
    .kernarg_segment_align: 8
    .kernarg_segment_size: 84
    .language:       OpenCL C
    .language_version:
      - 2
      - 0
    .max_flat_workgroup_size: 256
    .name:           _ZL37rocblas_syrkx_herkx_restricted_kernelIifLi16ELi32ELi8ELi1ELi0ELb0ELc67ELc76EKffEviT_PT9_S1_lS3_S1_lPT10_S1_li
    .private_segment_fixed_size: 0
    .sgpr_count:     22
    .sgpr_spill_count: 0
    .symbol:         _ZL37rocblas_syrkx_herkx_restricted_kernelIifLi16ELi32ELi8ELi1ELi0ELb0ELc67ELc76EKffEviT_PT9_S1_lS3_S1_lPT10_S1_li.kd
    .uniform_work_group_size: 1
    .uses_dynamic_stack: false
    .vgpr_count:     46
    .vgpr_spill_count: 0
    .wavefront_size: 32
    .workgroup_processor_mode: 1
  - .args:
      - .offset:         0
        .size:           4
        .value_kind:     by_value
      - .offset:         4
        .size:           4
        .value_kind:     by_value
      - .address_space:  global
        .offset:         8
        .size:           8
        .value_kind:     global_buffer
      - .offset:         16
        .size:           4
        .value_kind:     by_value
      - .offset:         24
        .size:           8
        .value_kind:     by_value
      - .address_space:  global
        .offset:         32
        .size:           8
        .value_kind:     global_buffer
      - .offset:         40
        .size:           4
        .value_kind:     by_value
      - .offset:         48
        .size:           8
        .value_kind:     by_value
      - .address_space:  global
        .offset:         56
        .size:           8
        .value_kind:     global_buffer
      - .offset:         64
        .size:           4
        .value_kind:     by_value
      - .offset:         72
        .size:           8
        .value_kind:     by_value
      - .offset:         80
        .size:           4
        .value_kind:     by_value
    .group_segment_fixed_size: 2048
    .kernarg_segment_align: 8
    .kernarg_segment_size: 84
    .language:       OpenCL C
    .language_version:
      - 2
      - 0
    .max_flat_workgroup_size: 256
    .name:           _ZL37rocblas_syrkx_herkx_restricted_kernelIifLi16ELi32ELi8ELi1ELi0ELb0ELc78ELc76EKffEviT_PT9_S1_lS3_S1_lPT10_S1_li
    .private_segment_fixed_size: 0
    .sgpr_count:     25
    .sgpr_spill_count: 0
    .symbol:         _ZL37rocblas_syrkx_herkx_restricted_kernelIifLi16ELi32ELi8ELi1ELi0ELb0ELc78ELc76EKffEviT_PT9_S1_lS3_S1_lPT10_S1_li.kd
    .uniform_work_group_size: 1
    .uses_dynamic_stack: false
    .vgpr_count:     46
    .vgpr_spill_count: 0
    .wavefront_size: 32
    .workgroup_processor_mode: 1
  - .args:
      - .offset:         0
        .size:           4
        .value_kind:     by_value
      - .offset:         4
        .size:           4
        .value_kind:     by_value
      - .address_space:  global
        .offset:         8
        .size:           8
        .value_kind:     global_buffer
      - .offset:         16
        .size:           4
        .value_kind:     by_value
      - .offset:         24
        .size:           8
        .value_kind:     by_value
      - .address_space:  global
        .offset:         32
        .size:           8
        .value_kind:     global_buffer
      - .offset:         40
        .size:           4
        .value_kind:     by_value
      - .offset:         48
        .size:           8
        .value_kind:     by_value
      - .address_space:  global
        .offset:         56
        .size:           8
        .value_kind:     global_buffer
      - .offset:         64
        .size:           4
        .value_kind:     by_value
      - .offset:         72
        .size:           8
        .value_kind:     by_value
      - .offset:         80
        .size:           4
        .value_kind:     by_value
    .group_segment_fixed_size: 2048
    .kernarg_segment_align: 8
    .kernarg_segment_size: 84
    .language:       OpenCL C
    .language_version:
      - 2
      - 0
    .max_flat_workgroup_size: 256
    .name:           _ZL37rocblas_syrkx_herkx_restricted_kernelIifLi16ELi32ELi8ELi1ELi0ELb0ELc84ELc85EKffEviT_PT9_S1_lS3_S1_lPT10_S1_li
    .private_segment_fixed_size: 0
    .sgpr_count:     22
    .sgpr_spill_count: 0
    .symbol:         _ZL37rocblas_syrkx_herkx_restricted_kernelIifLi16ELi32ELi8ELi1ELi0ELb0ELc84ELc85EKffEviT_PT9_S1_lS3_S1_lPT10_S1_li.kd
    .uniform_work_group_size: 1
    .uses_dynamic_stack: false
    .vgpr_count:     46
    .vgpr_spill_count: 0
    .wavefront_size: 32
    .workgroup_processor_mode: 1
  - .args:
      - .offset:         0
        .size:           4
        .value_kind:     by_value
      - .offset:         4
        .size:           4
        .value_kind:     by_value
      - .address_space:  global
        .offset:         8
        .size:           8
        .value_kind:     global_buffer
      - .offset:         16
        .size:           4
        .value_kind:     by_value
      - .offset:         24
        .size:           8
        .value_kind:     by_value
      - .address_space:  global
        .offset:         32
        .size:           8
        .value_kind:     global_buffer
      - .offset:         40
        .size:           4
        .value_kind:     by_value
      - .offset:         48
        .size:           8
        .value_kind:     by_value
      - .address_space:  global
        .offset:         56
        .size:           8
        .value_kind:     global_buffer
      - .offset:         64
        .size:           4
        .value_kind:     by_value
      - .offset:         72
        .size:           8
        .value_kind:     by_value
      - .offset:         80
        .size:           4
        .value_kind:     by_value
    .group_segment_fixed_size: 2048
    .kernarg_segment_align: 8
    .kernarg_segment_size: 84
    .language:       OpenCL C
    .language_version:
      - 2
      - 0
    .max_flat_workgroup_size: 256
    .name:           _ZL37rocblas_syrkx_herkx_restricted_kernelIifLi16ELi32ELi8ELi1ELi0ELb0ELc67ELc85EKffEviT_PT9_S1_lS3_S1_lPT10_S1_li
    .private_segment_fixed_size: 0
    .sgpr_count:     22
    .sgpr_spill_count: 0
    .symbol:         _ZL37rocblas_syrkx_herkx_restricted_kernelIifLi16ELi32ELi8ELi1ELi0ELb0ELc67ELc85EKffEviT_PT9_S1_lS3_S1_lPT10_S1_li.kd
    .uniform_work_group_size: 1
    .uses_dynamic_stack: false
    .vgpr_count:     46
    .vgpr_spill_count: 0
    .wavefront_size: 32
    .workgroup_processor_mode: 1
  - .args:
      - .offset:         0
        .size:           4
        .value_kind:     by_value
      - .offset:         4
        .size:           4
        .value_kind:     by_value
      - .address_space:  global
        .offset:         8
        .size:           8
        .value_kind:     global_buffer
      - .offset:         16
        .size:           4
        .value_kind:     by_value
      - .offset:         24
        .size:           8
        .value_kind:     by_value
      - .address_space:  global
        .offset:         32
        .size:           8
        .value_kind:     global_buffer
      - .offset:         40
        .size:           4
        .value_kind:     by_value
      - .offset:         48
        .size:           8
        .value_kind:     by_value
      - .address_space:  global
        .offset:         56
        .size:           8
        .value_kind:     global_buffer
      - .offset:         64
        .size:           4
        .value_kind:     by_value
      - .offset:         72
        .size:           8
        .value_kind:     by_value
      - .offset:         80
        .size:           4
        .value_kind:     by_value
    .group_segment_fixed_size: 2048
    .kernarg_segment_align: 8
    .kernarg_segment_size: 84
    .language:       OpenCL C
    .language_version:
      - 2
      - 0
    .max_flat_workgroup_size: 256
    .name:           _ZL37rocblas_syrkx_herkx_restricted_kernelIifLi16ELi32ELi8ELi1ELi0ELb0ELc78ELc85EKffEviT_PT9_S1_lS3_S1_lPT10_S1_li
    .private_segment_fixed_size: 0
    .sgpr_count:     25
    .sgpr_spill_count: 0
    .symbol:         _ZL37rocblas_syrkx_herkx_restricted_kernelIifLi16ELi32ELi8ELi1ELi0ELb0ELc78ELc85EKffEviT_PT9_S1_lS3_S1_lPT10_S1_li.kd
    .uniform_work_group_size: 1
    .uses_dynamic_stack: false
    .vgpr_count:     46
    .vgpr_spill_count: 0
    .wavefront_size: 32
    .workgroup_processor_mode: 1
  - .args:
      - .offset:         0
        .size:           4
        .value_kind:     by_value
      - .offset:         4
        .size:           4
        .value_kind:     by_value
      - .address_space:  global
        .offset:         8
        .size:           8
        .value_kind:     global_buffer
      - .offset:         16
        .size:           4
        .value_kind:     by_value
      - .offset:         24
        .size:           8
        .value_kind:     by_value
      - .address_space:  global
        .offset:         32
        .size:           8
        .value_kind:     global_buffer
      - .offset:         40
        .size:           4
        .value_kind:     by_value
      - .offset:         48
        .size:           8
        .value_kind:     by_value
      - .address_space:  global
        .offset:         56
        .size:           8
        .value_kind:     global_buffer
      - .offset:         64
        .size:           4
        .value_kind:     by_value
      - .offset:         72
        .size:           8
        .value_kind:     by_value
      - .offset:         80
        .size:           4
        .value_kind:     by_value
    .group_segment_fixed_size: 2048
    .kernarg_segment_align: 8
    .kernarg_segment_size: 84
    .language:       OpenCL C
    .language_version:
      - 2
      - 0
    .max_flat_workgroup_size: 256
    .name:           _ZL37rocblas_syrkx_herkx_restricted_kernelIifLi16ELi32ELi8ELin1ELi0ELb0ELc84ELc76EKffEviT_PT9_S1_lS3_S1_lPT10_S1_li
    .private_segment_fixed_size: 0
    .sgpr_count:     22
    .sgpr_spill_count: 0
    .symbol:         _ZL37rocblas_syrkx_herkx_restricted_kernelIifLi16ELi32ELi8ELin1ELi0ELb0ELc84ELc76EKffEviT_PT9_S1_lS3_S1_lPT10_S1_li.kd
    .uniform_work_group_size: 1
    .uses_dynamic_stack: false
    .vgpr_count:     46
    .vgpr_spill_count: 0
    .wavefront_size: 32
    .workgroup_processor_mode: 1
  - .args:
      - .offset:         0
        .size:           4
        .value_kind:     by_value
      - .offset:         4
        .size:           4
        .value_kind:     by_value
      - .address_space:  global
        .offset:         8
        .size:           8
        .value_kind:     global_buffer
      - .offset:         16
        .size:           4
        .value_kind:     by_value
      - .offset:         24
        .size:           8
        .value_kind:     by_value
      - .address_space:  global
        .offset:         32
        .size:           8
        .value_kind:     global_buffer
      - .offset:         40
        .size:           4
        .value_kind:     by_value
      - .offset:         48
        .size:           8
        .value_kind:     by_value
      - .address_space:  global
        .offset:         56
        .size:           8
        .value_kind:     global_buffer
      - .offset:         64
        .size:           4
        .value_kind:     by_value
      - .offset:         72
        .size:           8
        .value_kind:     by_value
      - .offset:         80
        .size:           4
        .value_kind:     by_value
    .group_segment_fixed_size: 2048
    .kernarg_segment_align: 8
    .kernarg_segment_size: 84
    .language:       OpenCL C
    .language_version:
      - 2
      - 0
    .max_flat_workgroup_size: 256
    .name:           _ZL37rocblas_syrkx_herkx_restricted_kernelIifLi16ELi32ELi8ELin1ELi0ELb0ELc67ELc76EKffEviT_PT9_S1_lS3_S1_lPT10_S1_li
    .private_segment_fixed_size: 0
    .sgpr_count:     22
    .sgpr_spill_count: 0
    .symbol:         _ZL37rocblas_syrkx_herkx_restricted_kernelIifLi16ELi32ELi8ELin1ELi0ELb0ELc67ELc76EKffEviT_PT9_S1_lS3_S1_lPT10_S1_li.kd
    .uniform_work_group_size: 1
    .uses_dynamic_stack: false
    .vgpr_count:     46
    .vgpr_spill_count: 0
    .wavefront_size: 32
    .workgroup_processor_mode: 1
  - .args:
      - .offset:         0
        .size:           4
        .value_kind:     by_value
      - .offset:         4
        .size:           4
        .value_kind:     by_value
      - .address_space:  global
        .offset:         8
        .size:           8
        .value_kind:     global_buffer
      - .offset:         16
        .size:           4
        .value_kind:     by_value
      - .offset:         24
        .size:           8
        .value_kind:     by_value
      - .address_space:  global
        .offset:         32
        .size:           8
        .value_kind:     global_buffer
      - .offset:         40
        .size:           4
        .value_kind:     by_value
      - .offset:         48
        .size:           8
        .value_kind:     by_value
      - .address_space:  global
        .offset:         56
        .size:           8
        .value_kind:     global_buffer
      - .offset:         64
        .size:           4
        .value_kind:     by_value
      - .offset:         72
        .size:           8
        .value_kind:     by_value
      - .offset:         80
        .size:           4
        .value_kind:     by_value
    .group_segment_fixed_size: 2048
    .kernarg_segment_align: 8
    .kernarg_segment_size: 84
    .language:       OpenCL C
    .language_version:
      - 2
      - 0
    .max_flat_workgroup_size: 256
    .name:           _ZL37rocblas_syrkx_herkx_restricted_kernelIifLi16ELi32ELi8ELin1ELi0ELb0ELc78ELc76EKffEviT_PT9_S1_lS3_S1_lPT10_S1_li
    .private_segment_fixed_size: 0
    .sgpr_count:     25
    .sgpr_spill_count: 0
    .symbol:         _ZL37rocblas_syrkx_herkx_restricted_kernelIifLi16ELi32ELi8ELin1ELi0ELb0ELc78ELc76EKffEviT_PT9_S1_lS3_S1_lPT10_S1_li.kd
    .uniform_work_group_size: 1
    .uses_dynamic_stack: false
    .vgpr_count:     46
    .vgpr_spill_count: 0
    .wavefront_size: 32
    .workgroup_processor_mode: 1
  - .args:
      - .offset:         0
        .size:           4
        .value_kind:     by_value
      - .offset:         4
        .size:           4
        .value_kind:     by_value
      - .address_space:  global
        .offset:         8
        .size:           8
        .value_kind:     global_buffer
      - .offset:         16
        .size:           4
        .value_kind:     by_value
      - .offset:         24
        .size:           8
        .value_kind:     by_value
      - .address_space:  global
        .offset:         32
        .size:           8
        .value_kind:     global_buffer
      - .offset:         40
        .size:           4
        .value_kind:     by_value
      - .offset:         48
        .size:           8
        .value_kind:     by_value
      - .address_space:  global
        .offset:         56
        .size:           8
        .value_kind:     global_buffer
      - .offset:         64
        .size:           4
        .value_kind:     by_value
      - .offset:         72
        .size:           8
        .value_kind:     by_value
      - .offset:         80
        .size:           4
        .value_kind:     by_value
    .group_segment_fixed_size: 2048
    .kernarg_segment_align: 8
    .kernarg_segment_size: 84
    .language:       OpenCL C
    .language_version:
      - 2
      - 0
    .max_flat_workgroup_size: 256
    .name:           _ZL37rocblas_syrkx_herkx_restricted_kernelIifLi16ELi32ELi8ELin1ELi0ELb0ELc84ELc85EKffEviT_PT9_S1_lS3_S1_lPT10_S1_li
    .private_segment_fixed_size: 0
    .sgpr_count:     22
    .sgpr_spill_count: 0
    .symbol:         _ZL37rocblas_syrkx_herkx_restricted_kernelIifLi16ELi32ELi8ELin1ELi0ELb0ELc84ELc85EKffEviT_PT9_S1_lS3_S1_lPT10_S1_li.kd
    .uniform_work_group_size: 1
    .uses_dynamic_stack: false
    .vgpr_count:     46
    .vgpr_spill_count: 0
    .wavefront_size: 32
    .workgroup_processor_mode: 1
  - .args:
      - .offset:         0
        .size:           4
        .value_kind:     by_value
      - .offset:         4
        .size:           4
        .value_kind:     by_value
      - .address_space:  global
        .offset:         8
        .size:           8
        .value_kind:     global_buffer
      - .offset:         16
        .size:           4
        .value_kind:     by_value
      - .offset:         24
        .size:           8
        .value_kind:     by_value
      - .address_space:  global
        .offset:         32
        .size:           8
        .value_kind:     global_buffer
      - .offset:         40
        .size:           4
        .value_kind:     by_value
      - .offset:         48
        .size:           8
        .value_kind:     by_value
      - .address_space:  global
        .offset:         56
        .size:           8
        .value_kind:     global_buffer
      - .offset:         64
        .size:           4
        .value_kind:     by_value
      - .offset:         72
        .size:           8
        .value_kind:     by_value
      - .offset:         80
        .size:           4
        .value_kind:     by_value
    .group_segment_fixed_size: 2048
    .kernarg_segment_align: 8
    .kernarg_segment_size: 84
    .language:       OpenCL C
    .language_version:
      - 2
      - 0
    .max_flat_workgroup_size: 256
    .name:           _ZL37rocblas_syrkx_herkx_restricted_kernelIifLi16ELi32ELi8ELin1ELi0ELb0ELc67ELc85EKffEviT_PT9_S1_lS3_S1_lPT10_S1_li
    .private_segment_fixed_size: 0
    .sgpr_count:     22
    .sgpr_spill_count: 0
    .symbol:         _ZL37rocblas_syrkx_herkx_restricted_kernelIifLi16ELi32ELi8ELin1ELi0ELb0ELc67ELc85EKffEviT_PT9_S1_lS3_S1_lPT10_S1_li.kd
    .uniform_work_group_size: 1
    .uses_dynamic_stack: false
    .vgpr_count:     46
    .vgpr_spill_count: 0
    .wavefront_size: 32
    .workgroup_processor_mode: 1
  - .args:
      - .offset:         0
        .size:           4
        .value_kind:     by_value
      - .offset:         4
        .size:           4
        .value_kind:     by_value
      - .address_space:  global
        .offset:         8
        .size:           8
        .value_kind:     global_buffer
      - .offset:         16
        .size:           4
        .value_kind:     by_value
      - .offset:         24
        .size:           8
        .value_kind:     by_value
      - .address_space:  global
        .offset:         32
        .size:           8
        .value_kind:     global_buffer
      - .offset:         40
        .size:           4
        .value_kind:     by_value
      - .offset:         48
        .size:           8
        .value_kind:     by_value
      - .address_space:  global
        .offset:         56
        .size:           8
        .value_kind:     global_buffer
      - .offset:         64
        .size:           4
        .value_kind:     by_value
      - .offset:         72
        .size:           8
        .value_kind:     by_value
      - .offset:         80
        .size:           4
        .value_kind:     by_value
    .group_segment_fixed_size: 2048
    .kernarg_segment_align: 8
    .kernarg_segment_size: 84
    .language:       OpenCL C
    .language_version:
      - 2
      - 0
    .max_flat_workgroup_size: 256
    .name:           _ZL37rocblas_syrkx_herkx_restricted_kernelIifLi16ELi32ELi8ELin1ELi0ELb0ELc78ELc85EKffEviT_PT9_S1_lS3_S1_lPT10_S1_li
    .private_segment_fixed_size: 0
    .sgpr_count:     25
    .sgpr_spill_count: 0
    .symbol:         _ZL37rocblas_syrkx_herkx_restricted_kernelIifLi16ELi32ELi8ELin1ELi0ELb0ELc78ELc85EKffEviT_PT9_S1_lS3_S1_lPT10_S1_li.kd
    .uniform_work_group_size: 1
    .uses_dynamic_stack: false
    .vgpr_count:     46
    .vgpr_spill_count: 0
    .wavefront_size: 32
    .workgroup_processor_mode: 1
  - .args:
      - .offset:         0
        .size:           4
        .value_kind:     by_value
      - .offset:         4
        .size:           4
        .value_kind:     by_value
      - .offset:         8
        .size:           4
        .value_kind:     by_value
      - .address_space:  global
        .offset:         16
        .size:           8
        .value_kind:     global_buffer
      - .offset:         24
        .size:           4
        .value_kind:     by_value
      - .offset:         32
        .size:           8
        .value_kind:     by_value
      - .address_space:  global
        .offset:         40
        .size:           8
        .value_kind:     global_buffer
      - .offset:         48
        .size:           4
        .value_kind:     by_value
      - .offset:         56
        .size:           8
        .value_kind:     by_value
      - .offset:         64
        .size:           4
        .value_kind:     by_value
      - .address_space:  global
        .offset:         72
        .size:           8
        .value_kind:     global_buffer
      - .offset:         80
        .size:           4
        .value_kind:     by_value
      - .offset:         88
        .size:           8
        .value_kind:     by_value
      - .offset:         96
        .size:           4
        .value_kind:     by_value
    .group_segment_fixed_size: 2048
    .kernarg_segment_align: 8
    .kernarg_segment_size: 100
    .language:       OpenCL C
    .language_version:
      - 2
      - 0
    .max_flat_workgroup_size: 256
    .name:           _ZL37rocblas_syrkx_herkx_restricted_kernelIifLi16ELi32ELi8ELb1ELb0ELc84ELc76EKffEviT_T0_PT8_S1_lS4_S1_lS2_PT9_S1_li
    .private_segment_fixed_size: 0
    .sgpr_count:     21
    .sgpr_spill_count: 0
    .symbol:         _ZL37rocblas_syrkx_herkx_restricted_kernelIifLi16ELi32ELi8ELb1ELb0ELc84ELc76EKffEviT_T0_PT8_S1_lS4_S1_lS2_PT9_S1_li.kd
    .uniform_work_group_size: 1
    .uses_dynamic_stack: false
    .vgpr_count:     46
    .vgpr_spill_count: 0
    .wavefront_size: 32
    .workgroup_processor_mode: 1
  - .args:
      - .offset:         0
        .size:           4
        .value_kind:     by_value
      - .offset:         4
        .size:           4
        .value_kind:     by_value
      - .offset:         8
        .size:           4
        .value_kind:     by_value
      - .address_space:  global
        .offset:         16
        .size:           8
        .value_kind:     global_buffer
      - .offset:         24
        .size:           4
        .value_kind:     by_value
      - .offset:         32
        .size:           8
        .value_kind:     by_value
      - .address_space:  global
        .offset:         40
        .size:           8
        .value_kind:     global_buffer
      - .offset:         48
        .size:           4
        .value_kind:     by_value
      - .offset:         56
        .size:           8
        .value_kind:     by_value
      - .offset:         64
        .size:           4
        .value_kind:     by_value
      - .address_space:  global
        .offset:         72
        .size:           8
        .value_kind:     global_buffer
      - .offset:         80
        .size:           4
        .value_kind:     by_value
      - .offset:         88
        .size:           8
        .value_kind:     by_value
      - .offset:         96
        .size:           4
        .value_kind:     by_value
    .group_segment_fixed_size: 2048
    .kernarg_segment_align: 8
    .kernarg_segment_size: 100
    .language:       OpenCL C
    .language_version:
      - 2
      - 0
    .max_flat_workgroup_size: 256
    .name:           _ZL37rocblas_syrkx_herkx_restricted_kernelIifLi16ELi32ELi8ELb1ELb0ELc67ELc76EKffEviT_T0_PT8_S1_lS4_S1_lS2_PT9_S1_li
    .private_segment_fixed_size: 0
    .sgpr_count:     21
    .sgpr_spill_count: 0
    .symbol:         _ZL37rocblas_syrkx_herkx_restricted_kernelIifLi16ELi32ELi8ELb1ELb0ELc67ELc76EKffEviT_T0_PT8_S1_lS4_S1_lS2_PT9_S1_li.kd
    .uniform_work_group_size: 1
    .uses_dynamic_stack: false
    .vgpr_count:     46
    .vgpr_spill_count: 0
    .wavefront_size: 32
    .workgroup_processor_mode: 1
  - .args:
      - .offset:         0
        .size:           4
        .value_kind:     by_value
      - .offset:         4
        .size:           4
        .value_kind:     by_value
      - .offset:         8
        .size:           4
        .value_kind:     by_value
      - .address_space:  global
        .offset:         16
        .size:           8
        .value_kind:     global_buffer
      - .offset:         24
        .size:           4
        .value_kind:     by_value
      - .offset:         32
        .size:           8
        .value_kind:     by_value
      - .address_space:  global
        .offset:         40
        .size:           8
        .value_kind:     global_buffer
      - .offset:         48
        .size:           4
        .value_kind:     by_value
      - .offset:         56
        .size:           8
        .value_kind:     by_value
      - .offset:         64
        .size:           4
        .value_kind:     by_value
      - .address_space:  global
        .offset:         72
        .size:           8
        .value_kind:     global_buffer
      - .offset:         80
        .size:           4
        .value_kind:     by_value
      - .offset:         88
        .size:           8
        .value_kind:     by_value
      - .offset:         96
        .size:           4
        .value_kind:     by_value
    .group_segment_fixed_size: 2048
    .kernarg_segment_align: 8
    .kernarg_segment_size: 100
    .language:       OpenCL C
    .language_version:
      - 2
      - 0
    .max_flat_workgroup_size: 256
    .name:           _ZL37rocblas_syrkx_herkx_restricted_kernelIifLi16ELi32ELi8ELb1ELb0ELc78ELc76EKffEviT_T0_PT8_S1_lS4_S1_lS2_PT9_S1_li
    .private_segment_fixed_size: 0
    .sgpr_count:     24
    .sgpr_spill_count: 0
    .symbol:         _ZL37rocblas_syrkx_herkx_restricted_kernelIifLi16ELi32ELi8ELb1ELb0ELc78ELc76EKffEviT_T0_PT8_S1_lS4_S1_lS2_PT9_S1_li.kd
    .uniform_work_group_size: 1
    .uses_dynamic_stack: false
    .vgpr_count:     46
    .vgpr_spill_count: 0
    .wavefront_size: 32
    .workgroup_processor_mode: 1
  - .args:
      - .offset:         0
        .size:           4
        .value_kind:     by_value
      - .offset:         4
        .size:           4
        .value_kind:     by_value
      - .offset:         8
        .size:           4
        .value_kind:     by_value
      - .address_space:  global
        .offset:         16
        .size:           8
        .value_kind:     global_buffer
      - .offset:         24
        .size:           4
        .value_kind:     by_value
      - .offset:         32
        .size:           8
        .value_kind:     by_value
      - .address_space:  global
        .offset:         40
        .size:           8
        .value_kind:     global_buffer
      - .offset:         48
        .size:           4
        .value_kind:     by_value
      - .offset:         56
        .size:           8
        .value_kind:     by_value
      - .offset:         64
        .size:           4
        .value_kind:     by_value
      - .address_space:  global
        .offset:         72
        .size:           8
        .value_kind:     global_buffer
      - .offset:         80
        .size:           4
        .value_kind:     by_value
      - .offset:         88
        .size:           8
        .value_kind:     by_value
      - .offset:         96
        .size:           4
        .value_kind:     by_value
    .group_segment_fixed_size: 2048
    .kernarg_segment_align: 8
    .kernarg_segment_size: 100
    .language:       OpenCL C
    .language_version:
      - 2
      - 0
    .max_flat_workgroup_size: 256
    .name:           _ZL37rocblas_syrkx_herkx_restricted_kernelIifLi16ELi32ELi8ELb1ELb0ELc84ELc85EKffEviT_T0_PT8_S1_lS4_S1_lS2_PT9_S1_li
    .private_segment_fixed_size: 0
    .sgpr_count:     21
    .sgpr_spill_count: 0
    .symbol:         _ZL37rocblas_syrkx_herkx_restricted_kernelIifLi16ELi32ELi8ELb1ELb0ELc84ELc85EKffEviT_T0_PT8_S1_lS4_S1_lS2_PT9_S1_li.kd
    .uniform_work_group_size: 1
    .uses_dynamic_stack: false
    .vgpr_count:     46
    .vgpr_spill_count: 0
    .wavefront_size: 32
    .workgroup_processor_mode: 1
  - .args:
      - .offset:         0
        .size:           4
        .value_kind:     by_value
      - .offset:         4
        .size:           4
        .value_kind:     by_value
      - .offset:         8
        .size:           4
        .value_kind:     by_value
      - .address_space:  global
        .offset:         16
        .size:           8
        .value_kind:     global_buffer
      - .offset:         24
        .size:           4
        .value_kind:     by_value
      - .offset:         32
        .size:           8
        .value_kind:     by_value
      - .address_space:  global
        .offset:         40
        .size:           8
        .value_kind:     global_buffer
      - .offset:         48
        .size:           4
        .value_kind:     by_value
      - .offset:         56
        .size:           8
        .value_kind:     by_value
      - .offset:         64
        .size:           4
        .value_kind:     by_value
      - .address_space:  global
        .offset:         72
        .size:           8
        .value_kind:     global_buffer
      - .offset:         80
        .size:           4
        .value_kind:     by_value
      - .offset:         88
        .size:           8
        .value_kind:     by_value
      - .offset:         96
        .size:           4
        .value_kind:     by_value
    .group_segment_fixed_size: 2048
    .kernarg_segment_align: 8
    .kernarg_segment_size: 100
    .language:       OpenCL C
    .language_version:
      - 2
      - 0
    .max_flat_workgroup_size: 256
    .name:           _ZL37rocblas_syrkx_herkx_restricted_kernelIifLi16ELi32ELi8ELb1ELb0ELc67ELc85EKffEviT_T0_PT8_S1_lS4_S1_lS2_PT9_S1_li
    .private_segment_fixed_size: 0
    .sgpr_count:     21
    .sgpr_spill_count: 0
    .symbol:         _ZL37rocblas_syrkx_herkx_restricted_kernelIifLi16ELi32ELi8ELb1ELb0ELc67ELc85EKffEviT_T0_PT8_S1_lS4_S1_lS2_PT9_S1_li.kd
    .uniform_work_group_size: 1
    .uses_dynamic_stack: false
    .vgpr_count:     46
    .vgpr_spill_count: 0
    .wavefront_size: 32
    .workgroup_processor_mode: 1
  - .args:
      - .offset:         0
        .size:           4
        .value_kind:     by_value
      - .offset:         4
        .size:           4
        .value_kind:     by_value
      - .offset:         8
        .size:           4
        .value_kind:     by_value
      - .address_space:  global
        .offset:         16
        .size:           8
        .value_kind:     global_buffer
      - .offset:         24
        .size:           4
        .value_kind:     by_value
      - .offset:         32
        .size:           8
        .value_kind:     by_value
      - .address_space:  global
        .offset:         40
        .size:           8
        .value_kind:     global_buffer
      - .offset:         48
        .size:           4
        .value_kind:     by_value
      - .offset:         56
        .size:           8
        .value_kind:     by_value
      - .offset:         64
        .size:           4
        .value_kind:     by_value
      - .address_space:  global
        .offset:         72
        .size:           8
        .value_kind:     global_buffer
      - .offset:         80
        .size:           4
        .value_kind:     by_value
      - .offset:         88
        .size:           8
        .value_kind:     by_value
      - .offset:         96
        .size:           4
        .value_kind:     by_value
    .group_segment_fixed_size: 2048
    .kernarg_segment_align: 8
    .kernarg_segment_size: 100
    .language:       OpenCL C
    .language_version:
      - 2
      - 0
    .max_flat_workgroup_size: 256
    .name:           _ZL37rocblas_syrkx_herkx_restricted_kernelIifLi16ELi32ELi8ELb1ELb0ELc78ELc85EKffEviT_T0_PT8_S1_lS4_S1_lS2_PT9_S1_li
    .private_segment_fixed_size: 0
    .sgpr_count:     24
    .sgpr_spill_count: 0
    .symbol:         _ZL37rocblas_syrkx_herkx_restricted_kernelIifLi16ELi32ELi8ELb1ELb0ELc78ELc85EKffEviT_T0_PT8_S1_lS4_S1_lS2_PT9_S1_li.kd
    .uniform_work_group_size: 1
    .uses_dynamic_stack: false
    .vgpr_count:     46
    .vgpr_spill_count: 0
    .wavefront_size: 32
    .workgroup_processor_mode: 1
  - .args:
      - .offset:         0
        .size:           4
        .value_kind:     by_value
      - .offset:         4
        .size:           4
        .value_kind:     by_value
      - .offset:         8
        .size:           4
        .value_kind:     by_value
      - .address_space:  global
        .offset:         16
        .size:           8
        .value_kind:     global_buffer
      - .offset:         24
        .size:           4
        .value_kind:     by_value
      - .offset:         32
        .size:           8
        .value_kind:     by_value
      - .address_space:  global
        .offset:         40
        .size:           8
        .value_kind:     global_buffer
      - .offset:         48
        .size:           4
        .value_kind:     by_value
      - .offset:         56
        .size:           8
        .value_kind:     by_value
      - .offset:         64
        .size:           4
        .value_kind:     by_value
      - .address_space:  global
        .offset:         72
        .size:           8
        .value_kind:     global_buffer
      - .offset:         80
        .size:           4
        .value_kind:     by_value
      - .offset:         88
        .size:           8
        .value_kind:     by_value
      - .offset:         96
        .size:           4
        .value_kind:     by_value
    .group_segment_fixed_size: 2048
    .kernarg_segment_align: 8
    .kernarg_segment_size: 100
    .language:       OpenCL C
    .language_version:
      - 2
      - 0
    .max_flat_workgroup_size: 256
    .name:           _ZL37rocblas_syrkx_herkx_restricted_kernelIifLi16ELi32ELi8ELb0ELb0ELc84ELc76EKffEviT_T0_PT8_S1_lS4_S1_lS2_PT9_S1_li
    .private_segment_fixed_size: 0
    .sgpr_count:     21
    .sgpr_spill_count: 0
    .symbol:         _ZL37rocblas_syrkx_herkx_restricted_kernelIifLi16ELi32ELi8ELb0ELb0ELc84ELc76EKffEviT_T0_PT8_S1_lS4_S1_lS2_PT9_S1_li.kd
    .uniform_work_group_size: 1
    .uses_dynamic_stack: false
    .vgpr_count:     46
    .vgpr_spill_count: 0
    .wavefront_size: 32
    .workgroup_processor_mode: 1
  - .args:
      - .offset:         0
        .size:           4
        .value_kind:     by_value
      - .offset:         4
        .size:           4
        .value_kind:     by_value
      - .offset:         8
        .size:           4
        .value_kind:     by_value
      - .address_space:  global
        .offset:         16
        .size:           8
        .value_kind:     global_buffer
      - .offset:         24
        .size:           4
        .value_kind:     by_value
      - .offset:         32
        .size:           8
        .value_kind:     by_value
      - .address_space:  global
        .offset:         40
        .size:           8
        .value_kind:     global_buffer
      - .offset:         48
        .size:           4
        .value_kind:     by_value
      - .offset:         56
        .size:           8
        .value_kind:     by_value
      - .offset:         64
        .size:           4
        .value_kind:     by_value
      - .address_space:  global
        .offset:         72
        .size:           8
        .value_kind:     global_buffer
      - .offset:         80
        .size:           4
        .value_kind:     by_value
      - .offset:         88
        .size:           8
        .value_kind:     by_value
      - .offset:         96
        .size:           4
        .value_kind:     by_value
    .group_segment_fixed_size: 2048
    .kernarg_segment_align: 8
    .kernarg_segment_size: 100
    .language:       OpenCL C
    .language_version:
      - 2
      - 0
    .max_flat_workgroup_size: 256
    .name:           _ZL37rocblas_syrkx_herkx_restricted_kernelIifLi16ELi32ELi8ELb0ELb0ELc67ELc76EKffEviT_T0_PT8_S1_lS4_S1_lS2_PT9_S1_li
    .private_segment_fixed_size: 0
    .sgpr_count:     21
    .sgpr_spill_count: 0
    .symbol:         _ZL37rocblas_syrkx_herkx_restricted_kernelIifLi16ELi32ELi8ELb0ELb0ELc67ELc76EKffEviT_T0_PT8_S1_lS4_S1_lS2_PT9_S1_li.kd
    .uniform_work_group_size: 1
    .uses_dynamic_stack: false
    .vgpr_count:     46
    .vgpr_spill_count: 0
    .wavefront_size: 32
    .workgroup_processor_mode: 1
  - .args:
      - .offset:         0
        .size:           4
        .value_kind:     by_value
      - .offset:         4
        .size:           4
        .value_kind:     by_value
      - .offset:         8
        .size:           4
        .value_kind:     by_value
      - .address_space:  global
        .offset:         16
        .size:           8
        .value_kind:     global_buffer
      - .offset:         24
        .size:           4
        .value_kind:     by_value
      - .offset:         32
        .size:           8
        .value_kind:     by_value
      - .address_space:  global
        .offset:         40
        .size:           8
        .value_kind:     global_buffer
      - .offset:         48
        .size:           4
        .value_kind:     by_value
      - .offset:         56
        .size:           8
        .value_kind:     by_value
      - .offset:         64
        .size:           4
        .value_kind:     by_value
      - .address_space:  global
        .offset:         72
        .size:           8
        .value_kind:     global_buffer
      - .offset:         80
        .size:           4
        .value_kind:     by_value
      - .offset:         88
        .size:           8
        .value_kind:     by_value
      - .offset:         96
        .size:           4
        .value_kind:     by_value
    .group_segment_fixed_size: 2048
    .kernarg_segment_align: 8
    .kernarg_segment_size: 100
    .language:       OpenCL C
    .language_version:
      - 2
      - 0
    .max_flat_workgroup_size: 256
    .name:           _ZL37rocblas_syrkx_herkx_restricted_kernelIifLi16ELi32ELi8ELb0ELb0ELc78ELc76EKffEviT_T0_PT8_S1_lS4_S1_lS2_PT9_S1_li
    .private_segment_fixed_size: 0
    .sgpr_count:     24
    .sgpr_spill_count: 0
    .symbol:         _ZL37rocblas_syrkx_herkx_restricted_kernelIifLi16ELi32ELi8ELb0ELb0ELc78ELc76EKffEviT_T0_PT8_S1_lS4_S1_lS2_PT9_S1_li.kd
    .uniform_work_group_size: 1
    .uses_dynamic_stack: false
    .vgpr_count:     46
    .vgpr_spill_count: 0
    .wavefront_size: 32
    .workgroup_processor_mode: 1
  - .args:
      - .offset:         0
        .size:           4
        .value_kind:     by_value
      - .offset:         4
        .size:           4
        .value_kind:     by_value
      - .offset:         8
        .size:           4
        .value_kind:     by_value
      - .address_space:  global
        .offset:         16
        .size:           8
        .value_kind:     global_buffer
      - .offset:         24
        .size:           4
        .value_kind:     by_value
      - .offset:         32
        .size:           8
        .value_kind:     by_value
      - .address_space:  global
        .offset:         40
        .size:           8
        .value_kind:     global_buffer
      - .offset:         48
        .size:           4
        .value_kind:     by_value
      - .offset:         56
        .size:           8
        .value_kind:     by_value
      - .offset:         64
        .size:           4
        .value_kind:     by_value
      - .address_space:  global
        .offset:         72
        .size:           8
        .value_kind:     global_buffer
      - .offset:         80
        .size:           4
        .value_kind:     by_value
      - .offset:         88
        .size:           8
        .value_kind:     by_value
      - .offset:         96
        .size:           4
        .value_kind:     by_value
    .group_segment_fixed_size: 2048
    .kernarg_segment_align: 8
    .kernarg_segment_size: 100
    .language:       OpenCL C
    .language_version:
      - 2
      - 0
    .max_flat_workgroup_size: 256
    .name:           _ZL37rocblas_syrkx_herkx_restricted_kernelIifLi16ELi32ELi8ELb0ELb0ELc84ELc85EKffEviT_T0_PT8_S1_lS4_S1_lS2_PT9_S1_li
    .private_segment_fixed_size: 0
    .sgpr_count:     21
    .sgpr_spill_count: 0
    .symbol:         _ZL37rocblas_syrkx_herkx_restricted_kernelIifLi16ELi32ELi8ELb0ELb0ELc84ELc85EKffEviT_T0_PT8_S1_lS4_S1_lS2_PT9_S1_li.kd
    .uniform_work_group_size: 1
    .uses_dynamic_stack: false
    .vgpr_count:     46
    .vgpr_spill_count: 0
    .wavefront_size: 32
    .workgroup_processor_mode: 1
  - .args:
      - .offset:         0
        .size:           4
        .value_kind:     by_value
      - .offset:         4
        .size:           4
        .value_kind:     by_value
      - .offset:         8
        .size:           4
        .value_kind:     by_value
      - .address_space:  global
        .offset:         16
        .size:           8
        .value_kind:     global_buffer
      - .offset:         24
        .size:           4
        .value_kind:     by_value
      - .offset:         32
        .size:           8
        .value_kind:     by_value
      - .address_space:  global
        .offset:         40
        .size:           8
        .value_kind:     global_buffer
      - .offset:         48
        .size:           4
        .value_kind:     by_value
      - .offset:         56
        .size:           8
        .value_kind:     by_value
      - .offset:         64
        .size:           4
        .value_kind:     by_value
      - .address_space:  global
        .offset:         72
        .size:           8
        .value_kind:     global_buffer
      - .offset:         80
        .size:           4
        .value_kind:     by_value
      - .offset:         88
        .size:           8
        .value_kind:     by_value
      - .offset:         96
        .size:           4
        .value_kind:     by_value
    .group_segment_fixed_size: 2048
    .kernarg_segment_align: 8
    .kernarg_segment_size: 100
    .language:       OpenCL C
    .language_version:
      - 2
      - 0
    .max_flat_workgroup_size: 256
    .name:           _ZL37rocblas_syrkx_herkx_restricted_kernelIifLi16ELi32ELi8ELb0ELb0ELc67ELc85EKffEviT_T0_PT8_S1_lS4_S1_lS2_PT9_S1_li
    .private_segment_fixed_size: 0
    .sgpr_count:     21
    .sgpr_spill_count: 0
    .symbol:         _ZL37rocblas_syrkx_herkx_restricted_kernelIifLi16ELi32ELi8ELb0ELb0ELc67ELc85EKffEviT_T0_PT8_S1_lS4_S1_lS2_PT9_S1_li.kd
    .uniform_work_group_size: 1
    .uses_dynamic_stack: false
    .vgpr_count:     46
    .vgpr_spill_count: 0
    .wavefront_size: 32
    .workgroup_processor_mode: 1
  - .args:
      - .offset:         0
        .size:           4
        .value_kind:     by_value
      - .offset:         4
        .size:           4
        .value_kind:     by_value
      - .offset:         8
        .size:           4
        .value_kind:     by_value
      - .address_space:  global
        .offset:         16
        .size:           8
        .value_kind:     global_buffer
      - .offset:         24
        .size:           4
        .value_kind:     by_value
      - .offset:         32
        .size:           8
        .value_kind:     by_value
      - .address_space:  global
        .offset:         40
        .size:           8
        .value_kind:     global_buffer
      - .offset:         48
        .size:           4
        .value_kind:     by_value
      - .offset:         56
        .size:           8
        .value_kind:     by_value
      - .offset:         64
        .size:           4
        .value_kind:     by_value
      - .address_space:  global
        .offset:         72
        .size:           8
        .value_kind:     global_buffer
      - .offset:         80
        .size:           4
        .value_kind:     by_value
      - .offset:         88
        .size:           8
        .value_kind:     by_value
      - .offset:         96
        .size:           4
        .value_kind:     by_value
    .group_segment_fixed_size: 2048
    .kernarg_segment_align: 8
    .kernarg_segment_size: 100
    .language:       OpenCL C
    .language_version:
      - 2
      - 0
    .max_flat_workgroup_size: 256
    .name:           _ZL37rocblas_syrkx_herkx_restricted_kernelIifLi16ELi32ELi8ELb0ELb0ELc78ELc85EKffEviT_T0_PT8_S1_lS4_S1_lS2_PT9_S1_li
    .private_segment_fixed_size: 0
    .sgpr_count:     24
    .sgpr_spill_count: 0
    .symbol:         _ZL37rocblas_syrkx_herkx_restricted_kernelIifLi16ELi32ELi8ELb0ELb0ELc78ELc85EKffEviT_T0_PT8_S1_lS4_S1_lS2_PT9_S1_li.kd
    .uniform_work_group_size: 1
    .uses_dynamic_stack: false
    .vgpr_count:     46
    .vgpr_spill_count: 0
    .wavefront_size: 32
    .workgroup_processor_mode: 1
  - .args:
      - .offset:         0
        .size:           4
        .value_kind:     by_value
      - .offset:         4
        .size:           4
        .value_kind:     by_value
      - .offset:         8
        .size:           4
        .value_kind:     by_value
      - .address_space:  global
        .offset:         16
        .size:           8
        .value_kind:     global_buffer
      - .offset:         24
        .size:           4
        .value_kind:     by_value
      - .offset:         32
        .size:           8
        .value_kind:     by_value
      - .address_space:  global
        .offset:         40
        .size:           8
        .value_kind:     global_buffer
      - .offset:         48
        .size:           4
        .value_kind:     by_value
      - .offset:         56
        .size:           8
        .value_kind:     by_value
      - .offset:         64
        .size:           4
        .value_kind:     by_value
      - .address_space:  global
        .offset:         72
        .size:           8
        .value_kind:     global_buffer
      - .offset:         80
        .size:           4
        .value_kind:     by_value
      - .offset:         88
        .size:           8
        .value_kind:     by_value
      - .offset:         96
        .size:           4
        .value_kind:     by_value
    .group_segment_fixed_size: 2048
    .kernarg_segment_align: 8
    .kernarg_segment_size: 100
    .language:       OpenCL C
    .language_version:
      - 2
      - 0
    .max_flat_workgroup_size: 256
    .name:           _ZL41rocblas_syrkx_herkx_small_restrict_kernelIifLi16ELb1ELb0ELc84ELc76EKffEviT_T0_PT6_S1_lS4_S1_lS2_PT7_S1_li
    .private_segment_fixed_size: 0
    .sgpr_count:     18
    .sgpr_spill_count: 0
    .symbol:         _ZL41rocblas_syrkx_herkx_small_restrict_kernelIifLi16ELb1ELb0ELc84ELc76EKffEviT_T0_PT6_S1_lS4_S1_lS2_PT7_S1_li.kd
    .uniform_work_group_size: 1
    .uses_dynamic_stack: false
    .vgpr_count:     25
    .vgpr_spill_count: 0
    .wavefront_size: 32
    .workgroup_processor_mode: 1
  - .args:
      - .offset:         0
        .size:           4
        .value_kind:     by_value
      - .offset:         4
        .size:           4
        .value_kind:     by_value
      - .offset:         8
        .size:           4
        .value_kind:     by_value
      - .address_space:  global
        .offset:         16
        .size:           8
        .value_kind:     global_buffer
      - .offset:         24
        .size:           4
        .value_kind:     by_value
      - .offset:         32
        .size:           8
        .value_kind:     by_value
      - .address_space:  global
        .offset:         40
        .size:           8
        .value_kind:     global_buffer
      - .offset:         48
        .size:           4
        .value_kind:     by_value
      - .offset:         56
        .size:           8
        .value_kind:     by_value
      - .offset:         64
        .size:           4
        .value_kind:     by_value
      - .address_space:  global
        .offset:         72
        .size:           8
        .value_kind:     global_buffer
      - .offset:         80
        .size:           4
        .value_kind:     by_value
      - .offset:         88
        .size:           8
        .value_kind:     by_value
      - .offset:         96
        .size:           4
        .value_kind:     by_value
    .group_segment_fixed_size: 2048
    .kernarg_segment_align: 8
    .kernarg_segment_size: 100
    .language:       OpenCL C
    .language_version:
      - 2
      - 0
    .max_flat_workgroup_size: 256
    .name:           _ZL41rocblas_syrkx_herkx_small_restrict_kernelIifLi16ELb1ELb0ELc67ELc76EKffEviT_T0_PT6_S1_lS4_S1_lS2_PT7_S1_li
    .private_segment_fixed_size: 0
    .sgpr_count:     18
    .sgpr_spill_count: 0
    .symbol:         _ZL41rocblas_syrkx_herkx_small_restrict_kernelIifLi16ELb1ELb0ELc67ELc76EKffEviT_T0_PT6_S1_lS4_S1_lS2_PT7_S1_li.kd
    .uniform_work_group_size: 1
    .uses_dynamic_stack: false
    .vgpr_count:     25
    .vgpr_spill_count: 0
    .wavefront_size: 32
    .workgroup_processor_mode: 1
  - .args:
      - .offset:         0
        .size:           4
        .value_kind:     by_value
      - .offset:         4
        .size:           4
        .value_kind:     by_value
      - .offset:         8
        .size:           4
        .value_kind:     by_value
      - .address_space:  global
        .offset:         16
        .size:           8
        .value_kind:     global_buffer
      - .offset:         24
        .size:           4
        .value_kind:     by_value
      - .offset:         32
        .size:           8
        .value_kind:     by_value
      - .address_space:  global
        .offset:         40
        .size:           8
        .value_kind:     global_buffer
      - .offset:         48
        .size:           4
        .value_kind:     by_value
      - .offset:         56
        .size:           8
        .value_kind:     by_value
      - .offset:         64
        .size:           4
        .value_kind:     by_value
      - .address_space:  global
        .offset:         72
        .size:           8
        .value_kind:     global_buffer
      - .offset:         80
        .size:           4
        .value_kind:     by_value
      - .offset:         88
        .size:           8
        .value_kind:     by_value
      - .offset:         96
        .size:           4
        .value_kind:     by_value
    .group_segment_fixed_size: 2048
    .kernarg_segment_align: 8
    .kernarg_segment_size: 100
    .language:       OpenCL C
    .language_version:
      - 2
      - 0
    .max_flat_workgroup_size: 256
    .name:           _ZL41rocblas_syrkx_herkx_small_restrict_kernelIifLi16ELb1ELb0ELc78ELc76EKffEviT_T0_PT6_S1_lS4_S1_lS2_PT7_S1_li
    .private_segment_fixed_size: 0
    .sgpr_count:     22
    .sgpr_spill_count: 0
    .symbol:         _ZL41rocblas_syrkx_herkx_small_restrict_kernelIifLi16ELb1ELb0ELc78ELc76EKffEviT_T0_PT6_S1_lS4_S1_lS2_PT7_S1_li.kd
    .uniform_work_group_size: 1
    .uses_dynamic_stack: false
    .vgpr_count:     26
    .vgpr_spill_count: 0
    .wavefront_size: 32
    .workgroup_processor_mode: 1
  - .args:
      - .offset:         0
        .size:           4
        .value_kind:     by_value
      - .offset:         4
        .size:           4
        .value_kind:     by_value
      - .offset:         8
        .size:           4
        .value_kind:     by_value
      - .address_space:  global
        .offset:         16
        .size:           8
        .value_kind:     global_buffer
      - .offset:         24
        .size:           4
        .value_kind:     by_value
      - .offset:         32
        .size:           8
        .value_kind:     by_value
      - .address_space:  global
        .offset:         40
        .size:           8
        .value_kind:     global_buffer
      - .offset:         48
        .size:           4
        .value_kind:     by_value
      - .offset:         56
        .size:           8
        .value_kind:     by_value
      - .offset:         64
        .size:           4
        .value_kind:     by_value
      - .address_space:  global
        .offset:         72
        .size:           8
        .value_kind:     global_buffer
      - .offset:         80
        .size:           4
        .value_kind:     by_value
      - .offset:         88
        .size:           8
        .value_kind:     by_value
      - .offset:         96
        .size:           4
        .value_kind:     by_value
    .group_segment_fixed_size: 2048
    .kernarg_segment_align: 8
    .kernarg_segment_size: 100
    .language:       OpenCL C
    .language_version:
      - 2
      - 0
    .max_flat_workgroup_size: 256
    .name:           _ZL41rocblas_syrkx_herkx_small_restrict_kernelIifLi16ELb1ELb0ELc84ELc85EKffEviT_T0_PT6_S1_lS4_S1_lS2_PT7_S1_li
    .private_segment_fixed_size: 0
    .sgpr_count:     18
    .sgpr_spill_count: 0
    .symbol:         _ZL41rocblas_syrkx_herkx_small_restrict_kernelIifLi16ELb1ELb0ELc84ELc85EKffEviT_T0_PT6_S1_lS4_S1_lS2_PT7_S1_li.kd
    .uniform_work_group_size: 1
    .uses_dynamic_stack: false
    .vgpr_count:     25
    .vgpr_spill_count: 0
    .wavefront_size: 32
    .workgroup_processor_mode: 1
  - .args:
      - .offset:         0
        .size:           4
        .value_kind:     by_value
      - .offset:         4
        .size:           4
        .value_kind:     by_value
      - .offset:         8
        .size:           4
        .value_kind:     by_value
      - .address_space:  global
        .offset:         16
        .size:           8
        .value_kind:     global_buffer
      - .offset:         24
        .size:           4
        .value_kind:     by_value
      - .offset:         32
        .size:           8
        .value_kind:     by_value
      - .address_space:  global
        .offset:         40
        .size:           8
        .value_kind:     global_buffer
      - .offset:         48
        .size:           4
        .value_kind:     by_value
      - .offset:         56
        .size:           8
        .value_kind:     by_value
      - .offset:         64
        .size:           4
        .value_kind:     by_value
      - .address_space:  global
        .offset:         72
        .size:           8
        .value_kind:     global_buffer
      - .offset:         80
        .size:           4
        .value_kind:     by_value
      - .offset:         88
        .size:           8
        .value_kind:     by_value
      - .offset:         96
        .size:           4
        .value_kind:     by_value
    .group_segment_fixed_size: 2048
    .kernarg_segment_align: 8
    .kernarg_segment_size: 100
    .language:       OpenCL C
    .language_version:
      - 2
      - 0
    .max_flat_workgroup_size: 256
    .name:           _ZL41rocblas_syrkx_herkx_small_restrict_kernelIifLi16ELb1ELb0ELc67ELc85EKffEviT_T0_PT6_S1_lS4_S1_lS2_PT7_S1_li
    .private_segment_fixed_size: 0
    .sgpr_count:     18
    .sgpr_spill_count: 0
    .symbol:         _ZL41rocblas_syrkx_herkx_small_restrict_kernelIifLi16ELb1ELb0ELc67ELc85EKffEviT_T0_PT6_S1_lS4_S1_lS2_PT7_S1_li.kd
    .uniform_work_group_size: 1
    .uses_dynamic_stack: false
    .vgpr_count:     25
    .vgpr_spill_count: 0
    .wavefront_size: 32
    .workgroup_processor_mode: 1
  - .args:
      - .offset:         0
        .size:           4
        .value_kind:     by_value
      - .offset:         4
        .size:           4
        .value_kind:     by_value
      - .offset:         8
        .size:           4
        .value_kind:     by_value
      - .address_space:  global
        .offset:         16
        .size:           8
        .value_kind:     global_buffer
      - .offset:         24
        .size:           4
        .value_kind:     by_value
      - .offset:         32
        .size:           8
        .value_kind:     by_value
      - .address_space:  global
        .offset:         40
        .size:           8
        .value_kind:     global_buffer
      - .offset:         48
        .size:           4
        .value_kind:     by_value
      - .offset:         56
        .size:           8
        .value_kind:     by_value
      - .offset:         64
        .size:           4
        .value_kind:     by_value
      - .address_space:  global
        .offset:         72
        .size:           8
        .value_kind:     global_buffer
      - .offset:         80
        .size:           4
        .value_kind:     by_value
      - .offset:         88
        .size:           8
        .value_kind:     by_value
      - .offset:         96
        .size:           4
        .value_kind:     by_value
    .group_segment_fixed_size: 2048
    .kernarg_segment_align: 8
    .kernarg_segment_size: 100
    .language:       OpenCL C
    .language_version:
      - 2
      - 0
    .max_flat_workgroup_size: 256
    .name:           _ZL41rocblas_syrkx_herkx_small_restrict_kernelIifLi16ELb1ELb0ELc78ELc85EKffEviT_T0_PT6_S1_lS4_S1_lS2_PT7_S1_li
    .private_segment_fixed_size: 0
    .sgpr_count:     22
    .sgpr_spill_count: 0
    .symbol:         _ZL41rocblas_syrkx_herkx_small_restrict_kernelIifLi16ELb1ELb0ELc78ELc85EKffEviT_T0_PT6_S1_lS4_S1_lS2_PT7_S1_li.kd
    .uniform_work_group_size: 1
    .uses_dynamic_stack: false
    .vgpr_count:     26
    .vgpr_spill_count: 0
    .wavefront_size: 32
    .workgroup_processor_mode: 1
  - .args:
      - .offset:         0
        .size:           4
        .value_kind:     by_value
      - .offset:         4
        .size:           4
        .value_kind:     by_value
      - .offset:         8
        .size:           4
        .value_kind:     by_value
      - .address_space:  global
        .offset:         16
        .size:           8
        .value_kind:     global_buffer
      - .offset:         24
        .size:           4
        .value_kind:     by_value
      - .offset:         32
        .size:           8
        .value_kind:     by_value
      - .address_space:  global
        .offset:         40
        .size:           8
        .value_kind:     global_buffer
      - .offset:         48
        .size:           4
        .value_kind:     by_value
      - .offset:         56
        .size:           8
        .value_kind:     by_value
      - .offset:         64
        .size:           4
        .value_kind:     by_value
      - .address_space:  global
        .offset:         72
        .size:           8
        .value_kind:     global_buffer
      - .offset:         80
        .size:           4
        .value_kind:     by_value
      - .offset:         88
        .size:           8
        .value_kind:     by_value
      - .offset:         96
        .size:           4
        .value_kind:     by_value
    .group_segment_fixed_size: 2048
    .kernarg_segment_align: 8
    .kernarg_segment_size: 100
    .language:       OpenCL C
    .language_version:
      - 2
      - 0
    .max_flat_workgroup_size: 256
    .name:           _ZL41rocblas_syrkx_herkx_small_restrict_kernelIifLi16ELb0ELb0ELc84ELc76EKffEviT_T0_PT6_S1_lS4_S1_lS2_PT7_S1_li
    .private_segment_fixed_size: 0
    .sgpr_count:     18
    .sgpr_spill_count: 0
    .symbol:         _ZL41rocblas_syrkx_herkx_small_restrict_kernelIifLi16ELb0ELb0ELc84ELc76EKffEviT_T0_PT6_S1_lS4_S1_lS2_PT7_S1_li.kd
    .uniform_work_group_size: 1
    .uses_dynamic_stack: false
    .vgpr_count:     25
    .vgpr_spill_count: 0
    .wavefront_size: 32
    .workgroup_processor_mode: 1
  - .args:
      - .offset:         0
        .size:           4
        .value_kind:     by_value
      - .offset:         4
        .size:           4
        .value_kind:     by_value
      - .offset:         8
        .size:           4
        .value_kind:     by_value
      - .address_space:  global
        .offset:         16
        .size:           8
        .value_kind:     global_buffer
      - .offset:         24
        .size:           4
        .value_kind:     by_value
      - .offset:         32
        .size:           8
        .value_kind:     by_value
      - .address_space:  global
        .offset:         40
        .size:           8
        .value_kind:     global_buffer
      - .offset:         48
        .size:           4
        .value_kind:     by_value
      - .offset:         56
        .size:           8
        .value_kind:     by_value
      - .offset:         64
        .size:           4
        .value_kind:     by_value
      - .address_space:  global
        .offset:         72
        .size:           8
        .value_kind:     global_buffer
      - .offset:         80
        .size:           4
        .value_kind:     by_value
      - .offset:         88
        .size:           8
        .value_kind:     by_value
      - .offset:         96
        .size:           4
        .value_kind:     by_value
    .group_segment_fixed_size: 2048
    .kernarg_segment_align: 8
    .kernarg_segment_size: 100
    .language:       OpenCL C
    .language_version:
      - 2
      - 0
    .max_flat_workgroup_size: 256
    .name:           _ZL41rocblas_syrkx_herkx_small_restrict_kernelIifLi16ELb0ELb0ELc67ELc76EKffEviT_T0_PT6_S1_lS4_S1_lS2_PT7_S1_li
    .private_segment_fixed_size: 0
    .sgpr_count:     18
    .sgpr_spill_count: 0
    .symbol:         _ZL41rocblas_syrkx_herkx_small_restrict_kernelIifLi16ELb0ELb0ELc67ELc76EKffEviT_T0_PT6_S1_lS4_S1_lS2_PT7_S1_li.kd
    .uniform_work_group_size: 1
    .uses_dynamic_stack: false
    .vgpr_count:     25
    .vgpr_spill_count: 0
    .wavefront_size: 32
    .workgroup_processor_mode: 1
  - .args:
      - .offset:         0
        .size:           4
        .value_kind:     by_value
      - .offset:         4
        .size:           4
        .value_kind:     by_value
      - .offset:         8
        .size:           4
        .value_kind:     by_value
      - .address_space:  global
        .offset:         16
        .size:           8
        .value_kind:     global_buffer
      - .offset:         24
        .size:           4
        .value_kind:     by_value
      - .offset:         32
        .size:           8
        .value_kind:     by_value
      - .address_space:  global
        .offset:         40
        .size:           8
        .value_kind:     global_buffer
      - .offset:         48
        .size:           4
        .value_kind:     by_value
      - .offset:         56
        .size:           8
        .value_kind:     by_value
      - .offset:         64
        .size:           4
        .value_kind:     by_value
      - .address_space:  global
        .offset:         72
        .size:           8
        .value_kind:     global_buffer
      - .offset:         80
        .size:           4
        .value_kind:     by_value
      - .offset:         88
        .size:           8
        .value_kind:     by_value
      - .offset:         96
        .size:           4
        .value_kind:     by_value
    .group_segment_fixed_size: 2048
    .kernarg_segment_align: 8
    .kernarg_segment_size: 100
    .language:       OpenCL C
    .language_version:
      - 2
      - 0
    .max_flat_workgroup_size: 256
    .name:           _ZL41rocblas_syrkx_herkx_small_restrict_kernelIifLi16ELb0ELb0ELc78ELc76EKffEviT_T0_PT6_S1_lS4_S1_lS2_PT7_S1_li
    .private_segment_fixed_size: 0
    .sgpr_count:     22
    .sgpr_spill_count: 0
    .symbol:         _ZL41rocblas_syrkx_herkx_small_restrict_kernelIifLi16ELb0ELb0ELc78ELc76EKffEviT_T0_PT6_S1_lS4_S1_lS2_PT7_S1_li.kd
    .uniform_work_group_size: 1
    .uses_dynamic_stack: false
    .vgpr_count:     26
    .vgpr_spill_count: 0
    .wavefront_size: 32
    .workgroup_processor_mode: 1
  - .args:
      - .offset:         0
        .size:           4
        .value_kind:     by_value
      - .offset:         4
        .size:           4
        .value_kind:     by_value
      - .offset:         8
        .size:           4
        .value_kind:     by_value
      - .address_space:  global
        .offset:         16
        .size:           8
        .value_kind:     global_buffer
      - .offset:         24
        .size:           4
        .value_kind:     by_value
      - .offset:         32
        .size:           8
        .value_kind:     by_value
      - .address_space:  global
        .offset:         40
        .size:           8
        .value_kind:     global_buffer
      - .offset:         48
        .size:           4
        .value_kind:     by_value
      - .offset:         56
        .size:           8
        .value_kind:     by_value
      - .offset:         64
        .size:           4
        .value_kind:     by_value
      - .address_space:  global
        .offset:         72
        .size:           8
        .value_kind:     global_buffer
      - .offset:         80
        .size:           4
        .value_kind:     by_value
      - .offset:         88
        .size:           8
        .value_kind:     by_value
      - .offset:         96
        .size:           4
        .value_kind:     by_value
    .group_segment_fixed_size: 2048
    .kernarg_segment_align: 8
    .kernarg_segment_size: 100
    .language:       OpenCL C
    .language_version:
      - 2
      - 0
    .max_flat_workgroup_size: 256
    .name:           _ZL41rocblas_syrkx_herkx_small_restrict_kernelIifLi16ELb0ELb0ELc84ELc85EKffEviT_T0_PT6_S1_lS4_S1_lS2_PT7_S1_li
    .private_segment_fixed_size: 0
    .sgpr_count:     18
    .sgpr_spill_count: 0
    .symbol:         _ZL41rocblas_syrkx_herkx_small_restrict_kernelIifLi16ELb0ELb0ELc84ELc85EKffEviT_T0_PT6_S1_lS4_S1_lS2_PT7_S1_li.kd
    .uniform_work_group_size: 1
    .uses_dynamic_stack: false
    .vgpr_count:     25
    .vgpr_spill_count: 0
    .wavefront_size: 32
    .workgroup_processor_mode: 1
  - .args:
      - .offset:         0
        .size:           4
        .value_kind:     by_value
      - .offset:         4
        .size:           4
        .value_kind:     by_value
      - .offset:         8
        .size:           4
        .value_kind:     by_value
      - .address_space:  global
        .offset:         16
        .size:           8
        .value_kind:     global_buffer
      - .offset:         24
        .size:           4
        .value_kind:     by_value
      - .offset:         32
        .size:           8
        .value_kind:     by_value
      - .address_space:  global
        .offset:         40
        .size:           8
        .value_kind:     global_buffer
      - .offset:         48
        .size:           4
        .value_kind:     by_value
      - .offset:         56
        .size:           8
        .value_kind:     by_value
      - .offset:         64
        .size:           4
        .value_kind:     by_value
      - .address_space:  global
        .offset:         72
        .size:           8
        .value_kind:     global_buffer
      - .offset:         80
        .size:           4
        .value_kind:     by_value
      - .offset:         88
        .size:           8
        .value_kind:     by_value
      - .offset:         96
        .size:           4
        .value_kind:     by_value
    .group_segment_fixed_size: 2048
    .kernarg_segment_align: 8
    .kernarg_segment_size: 100
    .language:       OpenCL C
    .language_version:
      - 2
      - 0
    .max_flat_workgroup_size: 256
    .name:           _ZL41rocblas_syrkx_herkx_small_restrict_kernelIifLi16ELb0ELb0ELc67ELc85EKffEviT_T0_PT6_S1_lS4_S1_lS2_PT7_S1_li
    .private_segment_fixed_size: 0
    .sgpr_count:     18
    .sgpr_spill_count: 0
    .symbol:         _ZL41rocblas_syrkx_herkx_small_restrict_kernelIifLi16ELb0ELb0ELc67ELc85EKffEviT_T0_PT6_S1_lS4_S1_lS2_PT7_S1_li.kd
    .uniform_work_group_size: 1
    .uses_dynamic_stack: false
    .vgpr_count:     25
    .vgpr_spill_count: 0
    .wavefront_size: 32
    .workgroup_processor_mode: 1
  - .args:
      - .offset:         0
        .size:           4
        .value_kind:     by_value
      - .offset:         4
        .size:           4
        .value_kind:     by_value
      - .offset:         8
        .size:           4
        .value_kind:     by_value
      - .address_space:  global
        .offset:         16
        .size:           8
        .value_kind:     global_buffer
      - .offset:         24
        .size:           4
        .value_kind:     by_value
      - .offset:         32
        .size:           8
        .value_kind:     by_value
      - .address_space:  global
        .offset:         40
        .size:           8
        .value_kind:     global_buffer
      - .offset:         48
        .size:           4
        .value_kind:     by_value
      - .offset:         56
        .size:           8
        .value_kind:     by_value
      - .offset:         64
        .size:           4
        .value_kind:     by_value
      - .address_space:  global
        .offset:         72
        .size:           8
        .value_kind:     global_buffer
      - .offset:         80
        .size:           4
        .value_kind:     by_value
      - .offset:         88
        .size:           8
        .value_kind:     by_value
      - .offset:         96
        .size:           4
        .value_kind:     by_value
    .group_segment_fixed_size: 2048
    .kernarg_segment_align: 8
    .kernarg_segment_size: 100
    .language:       OpenCL C
    .language_version:
      - 2
      - 0
    .max_flat_workgroup_size: 256
    .name:           _ZL41rocblas_syrkx_herkx_small_restrict_kernelIifLi16ELb0ELb0ELc78ELc85EKffEviT_T0_PT6_S1_lS4_S1_lS2_PT7_S1_li
    .private_segment_fixed_size: 0
    .sgpr_count:     22
    .sgpr_spill_count: 0
    .symbol:         _ZL41rocblas_syrkx_herkx_small_restrict_kernelIifLi16ELb0ELb0ELc78ELc85EKffEviT_T0_PT6_S1_lS4_S1_lS2_PT7_S1_li.kd
    .uniform_work_group_size: 1
    .uses_dynamic_stack: false
    .vgpr_count:     26
    .vgpr_spill_count: 0
    .wavefront_size: 32
    .workgroup_processor_mode: 1
  - .args:
      - .offset:         0
        .size:           4
        .value_kind:     by_value
      - .offset:         4
        .size:           4
        .value_kind:     by_value
      - .offset:         8
        .size:           4
        .value_kind:     by_value
      - .address_space:  global
        .offset:         16
        .size:           8
        .value_kind:     global_buffer
      - .offset:         24
        .size:           4
        .value_kind:     by_value
      - .offset:         32
        .size:           8
        .value_kind:     by_value
      - .address_space:  global
        .offset:         40
        .size:           8
        .value_kind:     global_buffer
      - .offset:         48
        .size:           4
        .value_kind:     by_value
      - .offset:         56
        .size:           8
        .value_kind:     by_value
      - .offset:         64
        .size:           4
        .value_kind:     by_value
      - .address_space:  global
        .offset:         72
        .size:           8
        .value_kind:     global_buffer
      - .offset:         80
        .size:           4
        .value_kind:     by_value
      - .offset:         88
        .size:           8
        .value_kind:     by_value
      - .offset:         96
        .size:           4
        .value_kind:     by_value
    .group_segment_fixed_size: 2048
    .kernarg_segment_align: 8
    .kernarg_segment_size: 100
    .language:       OpenCL C
    .language_version:
      - 2
      - 0
    .max_flat_workgroup_size: 256
    .name:           _ZL32rocblas_syrkx_herkx_small_kernelIifLi16ELb1ELb0ELc84ELc76EKffEviT_T0_PT6_S1_lS4_S1_lS2_PT7_S1_li
    .private_segment_fixed_size: 0
    .sgpr_count:     20
    .sgpr_spill_count: 0
    .symbol:         _ZL32rocblas_syrkx_herkx_small_kernelIifLi16ELb1ELb0ELc84ELc76EKffEviT_T0_PT6_S1_lS4_S1_lS2_PT7_S1_li.kd
    .uniform_work_group_size: 1
    .uses_dynamic_stack: false
    .vgpr_count:     27
    .vgpr_spill_count: 0
    .wavefront_size: 32
    .workgroup_processor_mode: 1
  - .args:
      - .offset:         0
        .size:           4
        .value_kind:     by_value
      - .offset:         4
        .size:           4
        .value_kind:     by_value
      - .offset:         8
        .size:           4
        .value_kind:     by_value
      - .address_space:  global
        .offset:         16
        .size:           8
        .value_kind:     global_buffer
      - .offset:         24
        .size:           4
        .value_kind:     by_value
      - .offset:         32
        .size:           8
        .value_kind:     by_value
      - .address_space:  global
        .offset:         40
        .size:           8
        .value_kind:     global_buffer
      - .offset:         48
        .size:           4
        .value_kind:     by_value
      - .offset:         56
        .size:           8
        .value_kind:     by_value
      - .offset:         64
        .size:           4
        .value_kind:     by_value
      - .address_space:  global
        .offset:         72
        .size:           8
        .value_kind:     global_buffer
      - .offset:         80
        .size:           4
        .value_kind:     by_value
      - .offset:         88
        .size:           8
        .value_kind:     by_value
      - .offset:         96
        .size:           4
        .value_kind:     by_value
    .group_segment_fixed_size: 2048
    .kernarg_segment_align: 8
    .kernarg_segment_size: 100
    .language:       OpenCL C
    .language_version:
      - 2
      - 0
    .max_flat_workgroup_size: 256
    .name:           _ZL32rocblas_syrkx_herkx_small_kernelIifLi16ELb1ELb0ELc67ELc76EKffEviT_T0_PT6_S1_lS4_S1_lS2_PT7_S1_li
    .private_segment_fixed_size: 0
    .sgpr_count:     20
    .sgpr_spill_count: 0
    .symbol:         _ZL32rocblas_syrkx_herkx_small_kernelIifLi16ELb1ELb0ELc67ELc76EKffEviT_T0_PT6_S1_lS4_S1_lS2_PT7_S1_li.kd
    .uniform_work_group_size: 1
    .uses_dynamic_stack: false
    .vgpr_count:     27
    .vgpr_spill_count: 0
    .wavefront_size: 32
    .workgroup_processor_mode: 1
  - .args:
      - .offset:         0
        .size:           4
        .value_kind:     by_value
      - .offset:         4
        .size:           4
        .value_kind:     by_value
      - .offset:         8
        .size:           4
        .value_kind:     by_value
      - .address_space:  global
        .offset:         16
        .size:           8
        .value_kind:     global_buffer
      - .offset:         24
        .size:           4
        .value_kind:     by_value
      - .offset:         32
        .size:           8
        .value_kind:     by_value
      - .address_space:  global
        .offset:         40
        .size:           8
        .value_kind:     global_buffer
      - .offset:         48
        .size:           4
        .value_kind:     by_value
      - .offset:         56
        .size:           8
        .value_kind:     by_value
      - .offset:         64
        .size:           4
        .value_kind:     by_value
      - .address_space:  global
        .offset:         72
        .size:           8
        .value_kind:     global_buffer
      - .offset:         80
        .size:           4
        .value_kind:     by_value
      - .offset:         88
        .size:           8
        .value_kind:     by_value
      - .offset:         96
        .size:           4
        .value_kind:     by_value
    .group_segment_fixed_size: 2048
    .kernarg_segment_align: 8
    .kernarg_segment_size: 100
    .language:       OpenCL C
    .language_version:
      - 2
      - 0
    .max_flat_workgroup_size: 256
    .name:           _ZL32rocblas_syrkx_herkx_small_kernelIifLi16ELb1ELb0ELc78ELc76EKffEviT_T0_PT6_S1_lS4_S1_lS2_PT7_S1_li
    .private_segment_fixed_size: 0
    .sgpr_count:     24
    .sgpr_spill_count: 0
    .symbol:         _ZL32rocblas_syrkx_herkx_small_kernelIifLi16ELb1ELb0ELc78ELc76EKffEviT_T0_PT6_S1_lS4_S1_lS2_PT7_S1_li.kd
    .uniform_work_group_size: 1
    .uses_dynamic_stack: false
    .vgpr_count:     28
    .vgpr_spill_count: 0
    .wavefront_size: 32
    .workgroup_processor_mode: 1
  - .args:
      - .offset:         0
        .size:           4
        .value_kind:     by_value
      - .offset:         4
        .size:           4
        .value_kind:     by_value
      - .offset:         8
        .size:           4
        .value_kind:     by_value
      - .address_space:  global
        .offset:         16
        .size:           8
        .value_kind:     global_buffer
      - .offset:         24
        .size:           4
        .value_kind:     by_value
      - .offset:         32
        .size:           8
        .value_kind:     by_value
      - .address_space:  global
        .offset:         40
        .size:           8
        .value_kind:     global_buffer
      - .offset:         48
        .size:           4
        .value_kind:     by_value
      - .offset:         56
        .size:           8
        .value_kind:     by_value
      - .offset:         64
        .size:           4
        .value_kind:     by_value
      - .address_space:  global
        .offset:         72
        .size:           8
        .value_kind:     global_buffer
      - .offset:         80
        .size:           4
        .value_kind:     by_value
      - .offset:         88
        .size:           8
        .value_kind:     by_value
      - .offset:         96
        .size:           4
        .value_kind:     by_value
    .group_segment_fixed_size: 2048
    .kernarg_segment_align: 8
    .kernarg_segment_size: 100
    .language:       OpenCL C
    .language_version:
      - 2
      - 0
    .max_flat_workgroup_size: 256
    .name:           _ZL32rocblas_syrkx_herkx_small_kernelIifLi16ELb1ELb0ELc84ELc85EKffEviT_T0_PT6_S1_lS4_S1_lS2_PT7_S1_li
    .private_segment_fixed_size: 0
    .sgpr_count:     20
    .sgpr_spill_count: 0
    .symbol:         _ZL32rocblas_syrkx_herkx_small_kernelIifLi16ELb1ELb0ELc84ELc85EKffEviT_T0_PT6_S1_lS4_S1_lS2_PT7_S1_li.kd
    .uniform_work_group_size: 1
    .uses_dynamic_stack: false
    .vgpr_count:     27
    .vgpr_spill_count: 0
    .wavefront_size: 32
    .workgroup_processor_mode: 1
  - .args:
      - .offset:         0
        .size:           4
        .value_kind:     by_value
      - .offset:         4
        .size:           4
        .value_kind:     by_value
      - .offset:         8
        .size:           4
        .value_kind:     by_value
      - .address_space:  global
        .offset:         16
        .size:           8
        .value_kind:     global_buffer
      - .offset:         24
        .size:           4
        .value_kind:     by_value
      - .offset:         32
        .size:           8
        .value_kind:     by_value
      - .address_space:  global
        .offset:         40
        .size:           8
        .value_kind:     global_buffer
      - .offset:         48
        .size:           4
        .value_kind:     by_value
      - .offset:         56
        .size:           8
        .value_kind:     by_value
      - .offset:         64
        .size:           4
        .value_kind:     by_value
      - .address_space:  global
        .offset:         72
        .size:           8
        .value_kind:     global_buffer
      - .offset:         80
        .size:           4
        .value_kind:     by_value
      - .offset:         88
        .size:           8
        .value_kind:     by_value
      - .offset:         96
        .size:           4
        .value_kind:     by_value
    .group_segment_fixed_size: 2048
    .kernarg_segment_align: 8
    .kernarg_segment_size: 100
    .language:       OpenCL C
    .language_version:
      - 2
      - 0
    .max_flat_workgroup_size: 256
    .name:           _ZL32rocblas_syrkx_herkx_small_kernelIifLi16ELb1ELb0ELc67ELc85EKffEviT_T0_PT6_S1_lS4_S1_lS2_PT7_S1_li
    .private_segment_fixed_size: 0
    .sgpr_count:     20
    .sgpr_spill_count: 0
    .symbol:         _ZL32rocblas_syrkx_herkx_small_kernelIifLi16ELb1ELb0ELc67ELc85EKffEviT_T0_PT6_S1_lS4_S1_lS2_PT7_S1_li.kd
    .uniform_work_group_size: 1
    .uses_dynamic_stack: false
    .vgpr_count:     27
    .vgpr_spill_count: 0
    .wavefront_size: 32
    .workgroup_processor_mode: 1
  - .args:
      - .offset:         0
        .size:           4
        .value_kind:     by_value
      - .offset:         4
        .size:           4
        .value_kind:     by_value
      - .offset:         8
        .size:           4
        .value_kind:     by_value
      - .address_space:  global
        .offset:         16
        .size:           8
        .value_kind:     global_buffer
      - .offset:         24
        .size:           4
        .value_kind:     by_value
      - .offset:         32
        .size:           8
        .value_kind:     by_value
      - .address_space:  global
        .offset:         40
        .size:           8
        .value_kind:     global_buffer
      - .offset:         48
        .size:           4
        .value_kind:     by_value
      - .offset:         56
        .size:           8
        .value_kind:     by_value
      - .offset:         64
        .size:           4
        .value_kind:     by_value
      - .address_space:  global
        .offset:         72
        .size:           8
        .value_kind:     global_buffer
      - .offset:         80
        .size:           4
        .value_kind:     by_value
      - .offset:         88
        .size:           8
        .value_kind:     by_value
      - .offset:         96
        .size:           4
        .value_kind:     by_value
    .group_segment_fixed_size: 2048
    .kernarg_segment_align: 8
    .kernarg_segment_size: 100
    .language:       OpenCL C
    .language_version:
      - 2
      - 0
    .max_flat_workgroup_size: 256
    .name:           _ZL32rocblas_syrkx_herkx_small_kernelIifLi16ELb1ELb0ELc78ELc85EKffEviT_T0_PT6_S1_lS4_S1_lS2_PT7_S1_li
    .private_segment_fixed_size: 0
    .sgpr_count:     24
    .sgpr_spill_count: 0
    .symbol:         _ZL32rocblas_syrkx_herkx_small_kernelIifLi16ELb1ELb0ELc78ELc85EKffEviT_T0_PT6_S1_lS4_S1_lS2_PT7_S1_li.kd
    .uniform_work_group_size: 1
    .uses_dynamic_stack: false
    .vgpr_count:     28
    .vgpr_spill_count: 0
    .wavefront_size: 32
    .workgroup_processor_mode: 1
  - .args:
      - .offset:         0
        .size:           4
        .value_kind:     by_value
      - .offset:         4
        .size:           4
        .value_kind:     by_value
      - .offset:         8
        .size:           4
        .value_kind:     by_value
      - .address_space:  global
        .offset:         16
        .size:           8
        .value_kind:     global_buffer
      - .offset:         24
        .size:           4
        .value_kind:     by_value
      - .offset:         32
        .size:           8
        .value_kind:     by_value
      - .address_space:  global
        .offset:         40
        .size:           8
        .value_kind:     global_buffer
      - .offset:         48
        .size:           4
        .value_kind:     by_value
      - .offset:         56
        .size:           8
        .value_kind:     by_value
      - .offset:         64
        .size:           4
        .value_kind:     by_value
      - .address_space:  global
        .offset:         72
        .size:           8
        .value_kind:     global_buffer
      - .offset:         80
        .size:           4
        .value_kind:     by_value
      - .offset:         88
        .size:           8
        .value_kind:     by_value
      - .offset:         96
        .size:           4
        .value_kind:     by_value
    .group_segment_fixed_size: 2048
    .kernarg_segment_align: 8
    .kernarg_segment_size: 100
    .language:       OpenCL C
    .language_version:
      - 2
      - 0
    .max_flat_workgroup_size: 256
    .name:           _ZL32rocblas_syrkx_herkx_small_kernelIifLi16ELb0ELb0ELc84ELc76EKffEviT_T0_PT6_S1_lS4_S1_lS2_PT7_S1_li
    .private_segment_fixed_size: 0
    .sgpr_count:     20
    .sgpr_spill_count: 0
    .symbol:         _ZL32rocblas_syrkx_herkx_small_kernelIifLi16ELb0ELb0ELc84ELc76EKffEviT_T0_PT6_S1_lS4_S1_lS2_PT7_S1_li.kd
    .uniform_work_group_size: 1
    .uses_dynamic_stack: false
    .vgpr_count:     27
    .vgpr_spill_count: 0
    .wavefront_size: 32
    .workgroup_processor_mode: 1
  - .args:
      - .offset:         0
        .size:           4
        .value_kind:     by_value
      - .offset:         4
        .size:           4
        .value_kind:     by_value
      - .offset:         8
        .size:           4
        .value_kind:     by_value
      - .address_space:  global
        .offset:         16
        .size:           8
        .value_kind:     global_buffer
      - .offset:         24
        .size:           4
        .value_kind:     by_value
      - .offset:         32
        .size:           8
        .value_kind:     by_value
      - .address_space:  global
        .offset:         40
        .size:           8
        .value_kind:     global_buffer
      - .offset:         48
        .size:           4
        .value_kind:     by_value
      - .offset:         56
        .size:           8
        .value_kind:     by_value
      - .offset:         64
        .size:           4
        .value_kind:     by_value
      - .address_space:  global
        .offset:         72
        .size:           8
        .value_kind:     global_buffer
      - .offset:         80
        .size:           4
        .value_kind:     by_value
      - .offset:         88
        .size:           8
        .value_kind:     by_value
      - .offset:         96
        .size:           4
        .value_kind:     by_value
    .group_segment_fixed_size: 2048
    .kernarg_segment_align: 8
    .kernarg_segment_size: 100
    .language:       OpenCL C
    .language_version:
      - 2
      - 0
    .max_flat_workgroup_size: 256
    .name:           _ZL32rocblas_syrkx_herkx_small_kernelIifLi16ELb0ELb0ELc67ELc76EKffEviT_T0_PT6_S1_lS4_S1_lS2_PT7_S1_li
    .private_segment_fixed_size: 0
    .sgpr_count:     20
    .sgpr_spill_count: 0
    .symbol:         _ZL32rocblas_syrkx_herkx_small_kernelIifLi16ELb0ELb0ELc67ELc76EKffEviT_T0_PT6_S1_lS4_S1_lS2_PT7_S1_li.kd
    .uniform_work_group_size: 1
    .uses_dynamic_stack: false
    .vgpr_count:     27
    .vgpr_spill_count: 0
    .wavefront_size: 32
    .workgroup_processor_mode: 1
  - .args:
      - .offset:         0
        .size:           4
        .value_kind:     by_value
      - .offset:         4
        .size:           4
        .value_kind:     by_value
      - .offset:         8
        .size:           4
        .value_kind:     by_value
      - .address_space:  global
        .offset:         16
        .size:           8
        .value_kind:     global_buffer
      - .offset:         24
        .size:           4
        .value_kind:     by_value
      - .offset:         32
        .size:           8
        .value_kind:     by_value
      - .address_space:  global
        .offset:         40
        .size:           8
        .value_kind:     global_buffer
      - .offset:         48
        .size:           4
        .value_kind:     by_value
      - .offset:         56
        .size:           8
        .value_kind:     by_value
      - .offset:         64
        .size:           4
        .value_kind:     by_value
      - .address_space:  global
        .offset:         72
        .size:           8
        .value_kind:     global_buffer
      - .offset:         80
        .size:           4
        .value_kind:     by_value
      - .offset:         88
        .size:           8
        .value_kind:     by_value
      - .offset:         96
        .size:           4
        .value_kind:     by_value
    .group_segment_fixed_size: 2048
    .kernarg_segment_align: 8
    .kernarg_segment_size: 100
    .language:       OpenCL C
    .language_version:
      - 2
      - 0
    .max_flat_workgroup_size: 256
    .name:           _ZL32rocblas_syrkx_herkx_small_kernelIifLi16ELb0ELb0ELc78ELc76EKffEviT_T0_PT6_S1_lS4_S1_lS2_PT7_S1_li
    .private_segment_fixed_size: 0
    .sgpr_count:     24
    .sgpr_spill_count: 0
    .symbol:         _ZL32rocblas_syrkx_herkx_small_kernelIifLi16ELb0ELb0ELc78ELc76EKffEviT_T0_PT6_S1_lS4_S1_lS2_PT7_S1_li.kd
    .uniform_work_group_size: 1
    .uses_dynamic_stack: false
    .vgpr_count:     28
    .vgpr_spill_count: 0
    .wavefront_size: 32
    .workgroup_processor_mode: 1
  - .args:
      - .offset:         0
        .size:           4
        .value_kind:     by_value
      - .offset:         4
        .size:           4
        .value_kind:     by_value
      - .offset:         8
        .size:           4
        .value_kind:     by_value
      - .address_space:  global
        .offset:         16
        .size:           8
        .value_kind:     global_buffer
      - .offset:         24
        .size:           4
        .value_kind:     by_value
      - .offset:         32
        .size:           8
        .value_kind:     by_value
      - .address_space:  global
        .offset:         40
        .size:           8
        .value_kind:     global_buffer
      - .offset:         48
        .size:           4
        .value_kind:     by_value
      - .offset:         56
        .size:           8
        .value_kind:     by_value
      - .offset:         64
        .size:           4
        .value_kind:     by_value
      - .address_space:  global
        .offset:         72
        .size:           8
        .value_kind:     global_buffer
      - .offset:         80
        .size:           4
        .value_kind:     by_value
      - .offset:         88
        .size:           8
        .value_kind:     by_value
      - .offset:         96
        .size:           4
        .value_kind:     by_value
    .group_segment_fixed_size: 2048
    .kernarg_segment_align: 8
    .kernarg_segment_size: 100
    .language:       OpenCL C
    .language_version:
      - 2
      - 0
    .max_flat_workgroup_size: 256
    .name:           _ZL32rocblas_syrkx_herkx_small_kernelIifLi16ELb0ELb0ELc84ELc85EKffEviT_T0_PT6_S1_lS4_S1_lS2_PT7_S1_li
    .private_segment_fixed_size: 0
    .sgpr_count:     20
    .sgpr_spill_count: 0
    .symbol:         _ZL32rocblas_syrkx_herkx_small_kernelIifLi16ELb0ELb0ELc84ELc85EKffEviT_T0_PT6_S1_lS4_S1_lS2_PT7_S1_li.kd
    .uniform_work_group_size: 1
    .uses_dynamic_stack: false
    .vgpr_count:     27
    .vgpr_spill_count: 0
    .wavefront_size: 32
    .workgroup_processor_mode: 1
  - .args:
      - .offset:         0
        .size:           4
        .value_kind:     by_value
      - .offset:         4
        .size:           4
        .value_kind:     by_value
      - .offset:         8
        .size:           4
        .value_kind:     by_value
      - .address_space:  global
        .offset:         16
        .size:           8
        .value_kind:     global_buffer
      - .offset:         24
        .size:           4
        .value_kind:     by_value
      - .offset:         32
        .size:           8
        .value_kind:     by_value
      - .address_space:  global
        .offset:         40
        .size:           8
        .value_kind:     global_buffer
      - .offset:         48
        .size:           4
        .value_kind:     by_value
      - .offset:         56
        .size:           8
        .value_kind:     by_value
      - .offset:         64
        .size:           4
        .value_kind:     by_value
      - .address_space:  global
        .offset:         72
        .size:           8
        .value_kind:     global_buffer
      - .offset:         80
        .size:           4
        .value_kind:     by_value
      - .offset:         88
        .size:           8
        .value_kind:     by_value
      - .offset:         96
        .size:           4
        .value_kind:     by_value
    .group_segment_fixed_size: 2048
    .kernarg_segment_align: 8
    .kernarg_segment_size: 100
    .language:       OpenCL C
    .language_version:
      - 2
      - 0
    .max_flat_workgroup_size: 256
    .name:           _ZL32rocblas_syrkx_herkx_small_kernelIifLi16ELb0ELb0ELc67ELc85EKffEviT_T0_PT6_S1_lS4_S1_lS2_PT7_S1_li
    .private_segment_fixed_size: 0
    .sgpr_count:     20
    .sgpr_spill_count: 0
    .symbol:         _ZL32rocblas_syrkx_herkx_small_kernelIifLi16ELb0ELb0ELc67ELc85EKffEviT_T0_PT6_S1_lS4_S1_lS2_PT7_S1_li.kd
    .uniform_work_group_size: 1
    .uses_dynamic_stack: false
    .vgpr_count:     27
    .vgpr_spill_count: 0
    .wavefront_size: 32
    .workgroup_processor_mode: 1
  - .args:
      - .offset:         0
        .size:           4
        .value_kind:     by_value
      - .offset:         4
        .size:           4
        .value_kind:     by_value
      - .offset:         8
        .size:           4
        .value_kind:     by_value
      - .address_space:  global
        .offset:         16
        .size:           8
        .value_kind:     global_buffer
      - .offset:         24
        .size:           4
        .value_kind:     by_value
      - .offset:         32
        .size:           8
        .value_kind:     by_value
      - .address_space:  global
        .offset:         40
        .size:           8
        .value_kind:     global_buffer
      - .offset:         48
        .size:           4
        .value_kind:     by_value
      - .offset:         56
        .size:           8
        .value_kind:     by_value
      - .offset:         64
        .size:           4
        .value_kind:     by_value
      - .address_space:  global
        .offset:         72
        .size:           8
        .value_kind:     global_buffer
      - .offset:         80
        .size:           4
        .value_kind:     by_value
      - .offset:         88
        .size:           8
        .value_kind:     by_value
      - .offset:         96
        .size:           4
        .value_kind:     by_value
    .group_segment_fixed_size: 2048
    .kernarg_segment_align: 8
    .kernarg_segment_size: 100
    .language:       OpenCL C
    .language_version:
      - 2
      - 0
    .max_flat_workgroup_size: 256
    .name:           _ZL32rocblas_syrkx_herkx_small_kernelIifLi16ELb0ELb0ELc78ELc85EKffEviT_T0_PT6_S1_lS4_S1_lS2_PT7_S1_li
    .private_segment_fixed_size: 0
    .sgpr_count:     24
    .sgpr_spill_count: 0
    .symbol:         _ZL32rocblas_syrkx_herkx_small_kernelIifLi16ELb0ELb0ELc78ELc85EKffEviT_T0_PT6_S1_lS4_S1_lS2_PT7_S1_li.kd
    .uniform_work_group_size: 1
    .uses_dynamic_stack: false
    .vgpr_count:     28
    .vgpr_spill_count: 0
    .wavefront_size: 32
    .workgroup_processor_mode: 1
  - .args:
      - .offset:         0
        .size:           4
        .value_kind:     by_value
      - .offset:         4
        .size:           4
        .value_kind:     by_value
      - .offset:         8
        .size:           4
        .value_kind:     by_value
      - .address_space:  global
        .offset:         16
        .size:           8
        .value_kind:     global_buffer
      - .offset:         24
        .size:           4
        .value_kind:     by_value
      - .offset:         32
        .size:           8
        .value_kind:     by_value
      - .address_space:  global
        .offset:         40
        .size:           8
        .value_kind:     global_buffer
      - .offset:         48
        .size:           4
        .value_kind:     by_value
      - .offset:         56
        .size:           8
        .value_kind:     by_value
      - .offset:         64
        .size:           4
        .value_kind:     by_value
      - .address_space:  global
        .offset:         72
        .size:           8
        .value_kind:     global_buffer
      - .offset:         80
        .size:           4
        .value_kind:     by_value
      - .offset:         88
        .size:           8
        .value_kind:     by_value
      - .offset:         96
        .size:           4
        .value_kind:     by_value
    .group_segment_fixed_size: 2048
    .kernarg_segment_align: 8
    .kernarg_segment_size: 100
    .language:       OpenCL C
    .language_version:
      - 2
      - 0
    .max_flat_workgroup_size: 256
    .name:           _ZL34rocblas_syrkx_herkx_general_kernelIifLi16ELi32ELi8ELb1ELb0ELc84ELc76EKffEviT_T0_PT8_S1_lS4_S1_lS2_PT9_S1_li
    .private_segment_fixed_size: 0
    .sgpr_count:     22
    .sgpr_spill_count: 0
    .symbol:         _ZL34rocblas_syrkx_herkx_general_kernelIifLi16ELi32ELi8ELb1ELb0ELc84ELc76EKffEviT_T0_PT8_S1_lS4_S1_lS2_PT9_S1_li.kd
    .uniform_work_group_size: 1
    .uses_dynamic_stack: false
    .vgpr_count:     42
    .vgpr_spill_count: 0
    .wavefront_size: 32
    .workgroup_processor_mode: 1
  - .args:
      - .offset:         0
        .size:           4
        .value_kind:     by_value
      - .offset:         4
        .size:           4
        .value_kind:     by_value
      - .offset:         8
        .size:           4
        .value_kind:     by_value
      - .address_space:  global
        .offset:         16
        .size:           8
        .value_kind:     global_buffer
      - .offset:         24
        .size:           4
        .value_kind:     by_value
      - .offset:         32
        .size:           8
        .value_kind:     by_value
      - .address_space:  global
        .offset:         40
        .size:           8
        .value_kind:     global_buffer
      - .offset:         48
        .size:           4
        .value_kind:     by_value
      - .offset:         56
        .size:           8
        .value_kind:     by_value
      - .offset:         64
        .size:           4
        .value_kind:     by_value
      - .address_space:  global
        .offset:         72
        .size:           8
        .value_kind:     global_buffer
      - .offset:         80
        .size:           4
        .value_kind:     by_value
      - .offset:         88
        .size:           8
        .value_kind:     by_value
      - .offset:         96
        .size:           4
        .value_kind:     by_value
    .group_segment_fixed_size: 2048
    .kernarg_segment_align: 8
    .kernarg_segment_size: 100
    .language:       OpenCL C
    .language_version:
      - 2
      - 0
    .max_flat_workgroup_size: 256
    .name:           _ZL34rocblas_syrkx_herkx_general_kernelIifLi16ELi32ELi8ELb1ELb0ELc67ELc76EKffEviT_T0_PT8_S1_lS4_S1_lS2_PT9_S1_li
    .private_segment_fixed_size: 0
    .sgpr_count:     22
    .sgpr_spill_count: 0
    .symbol:         _ZL34rocblas_syrkx_herkx_general_kernelIifLi16ELi32ELi8ELb1ELb0ELc67ELc76EKffEviT_T0_PT8_S1_lS4_S1_lS2_PT9_S1_li.kd
    .uniform_work_group_size: 1
    .uses_dynamic_stack: false
    .vgpr_count:     42
    .vgpr_spill_count: 0
    .wavefront_size: 32
    .workgroup_processor_mode: 1
  - .args:
      - .offset:         0
        .size:           4
        .value_kind:     by_value
      - .offset:         4
        .size:           4
        .value_kind:     by_value
      - .offset:         8
        .size:           4
        .value_kind:     by_value
      - .address_space:  global
        .offset:         16
        .size:           8
        .value_kind:     global_buffer
      - .offset:         24
        .size:           4
        .value_kind:     by_value
      - .offset:         32
        .size:           8
        .value_kind:     by_value
      - .address_space:  global
        .offset:         40
        .size:           8
        .value_kind:     global_buffer
      - .offset:         48
        .size:           4
        .value_kind:     by_value
      - .offset:         56
        .size:           8
        .value_kind:     by_value
      - .offset:         64
        .size:           4
        .value_kind:     by_value
      - .address_space:  global
        .offset:         72
        .size:           8
        .value_kind:     global_buffer
      - .offset:         80
        .size:           4
        .value_kind:     by_value
      - .offset:         88
        .size:           8
        .value_kind:     by_value
      - .offset:         96
        .size:           4
        .value_kind:     by_value
    .group_segment_fixed_size: 2048
    .kernarg_segment_align: 8
    .kernarg_segment_size: 100
    .language:       OpenCL C
    .language_version:
      - 2
      - 0
    .max_flat_workgroup_size: 256
    .name:           _ZL34rocblas_syrkx_herkx_general_kernelIifLi16ELi32ELi8ELb1ELb0ELc78ELc76EKffEviT_T0_PT8_S1_lS4_S1_lS2_PT9_S1_li
    .private_segment_fixed_size: 0
    .sgpr_count:     26
    .sgpr_spill_count: 0
    .symbol:         _ZL34rocblas_syrkx_herkx_general_kernelIifLi16ELi32ELi8ELb1ELb0ELc78ELc76EKffEviT_T0_PT8_S1_lS4_S1_lS2_PT9_S1_li.kd
    .uniform_work_group_size: 1
    .uses_dynamic_stack: false
    .vgpr_count:     42
    .vgpr_spill_count: 0
    .wavefront_size: 32
    .workgroup_processor_mode: 1
  - .args:
      - .offset:         0
        .size:           4
        .value_kind:     by_value
      - .offset:         4
        .size:           4
        .value_kind:     by_value
      - .offset:         8
        .size:           4
        .value_kind:     by_value
      - .address_space:  global
        .offset:         16
        .size:           8
        .value_kind:     global_buffer
      - .offset:         24
        .size:           4
        .value_kind:     by_value
      - .offset:         32
        .size:           8
        .value_kind:     by_value
      - .address_space:  global
        .offset:         40
        .size:           8
        .value_kind:     global_buffer
      - .offset:         48
        .size:           4
        .value_kind:     by_value
      - .offset:         56
        .size:           8
        .value_kind:     by_value
      - .offset:         64
        .size:           4
        .value_kind:     by_value
      - .address_space:  global
        .offset:         72
        .size:           8
        .value_kind:     global_buffer
      - .offset:         80
        .size:           4
        .value_kind:     by_value
      - .offset:         88
        .size:           8
        .value_kind:     by_value
      - .offset:         96
        .size:           4
        .value_kind:     by_value
    .group_segment_fixed_size: 2048
    .kernarg_segment_align: 8
    .kernarg_segment_size: 100
    .language:       OpenCL C
    .language_version:
      - 2
      - 0
    .max_flat_workgroup_size: 256
    .name:           _ZL34rocblas_syrkx_herkx_general_kernelIifLi16ELi32ELi8ELb1ELb0ELc84ELc85EKffEviT_T0_PT8_S1_lS4_S1_lS2_PT9_S1_li
    .private_segment_fixed_size: 0
    .sgpr_count:     22
    .sgpr_spill_count: 0
    .symbol:         _ZL34rocblas_syrkx_herkx_general_kernelIifLi16ELi32ELi8ELb1ELb0ELc84ELc85EKffEviT_T0_PT8_S1_lS4_S1_lS2_PT9_S1_li.kd
    .uniform_work_group_size: 1
    .uses_dynamic_stack: false
    .vgpr_count:     42
    .vgpr_spill_count: 0
    .wavefront_size: 32
    .workgroup_processor_mode: 1
  - .args:
      - .offset:         0
        .size:           4
        .value_kind:     by_value
      - .offset:         4
        .size:           4
        .value_kind:     by_value
      - .offset:         8
        .size:           4
        .value_kind:     by_value
      - .address_space:  global
        .offset:         16
        .size:           8
        .value_kind:     global_buffer
      - .offset:         24
        .size:           4
        .value_kind:     by_value
      - .offset:         32
        .size:           8
        .value_kind:     by_value
      - .address_space:  global
        .offset:         40
        .size:           8
        .value_kind:     global_buffer
      - .offset:         48
        .size:           4
        .value_kind:     by_value
      - .offset:         56
        .size:           8
        .value_kind:     by_value
      - .offset:         64
        .size:           4
        .value_kind:     by_value
      - .address_space:  global
        .offset:         72
        .size:           8
        .value_kind:     global_buffer
      - .offset:         80
        .size:           4
        .value_kind:     by_value
      - .offset:         88
        .size:           8
        .value_kind:     by_value
      - .offset:         96
        .size:           4
        .value_kind:     by_value
    .group_segment_fixed_size: 2048
    .kernarg_segment_align: 8
    .kernarg_segment_size: 100
    .language:       OpenCL C
    .language_version:
      - 2
      - 0
    .max_flat_workgroup_size: 256
    .name:           _ZL34rocblas_syrkx_herkx_general_kernelIifLi16ELi32ELi8ELb1ELb0ELc67ELc85EKffEviT_T0_PT8_S1_lS4_S1_lS2_PT9_S1_li
    .private_segment_fixed_size: 0
    .sgpr_count:     22
    .sgpr_spill_count: 0
    .symbol:         _ZL34rocblas_syrkx_herkx_general_kernelIifLi16ELi32ELi8ELb1ELb0ELc67ELc85EKffEviT_T0_PT8_S1_lS4_S1_lS2_PT9_S1_li.kd
    .uniform_work_group_size: 1
    .uses_dynamic_stack: false
    .vgpr_count:     42
    .vgpr_spill_count: 0
    .wavefront_size: 32
    .workgroup_processor_mode: 1
  - .args:
      - .offset:         0
        .size:           4
        .value_kind:     by_value
      - .offset:         4
        .size:           4
        .value_kind:     by_value
      - .offset:         8
        .size:           4
        .value_kind:     by_value
      - .address_space:  global
        .offset:         16
        .size:           8
        .value_kind:     global_buffer
      - .offset:         24
        .size:           4
        .value_kind:     by_value
      - .offset:         32
        .size:           8
        .value_kind:     by_value
      - .address_space:  global
        .offset:         40
        .size:           8
        .value_kind:     global_buffer
      - .offset:         48
        .size:           4
        .value_kind:     by_value
      - .offset:         56
        .size:           8
        .value_kind:     by_value
      - .offset:         64
        .size:           4
        .value_kind:     by_value
      - .address_space:  global
        .offset:         72
        .size:           8
        .value_kind:     global_buffer
      - .offset:         80
        .size:           4
        .value_kind:     by_value
      - .offset:         88
        .size:           8
        .value_kind:     by_value
      - .offset:         96
        .size:           4
        .value_kind:     by_value
    .group_segment_fixed_size: 2048
    .kernarg_segment_align: 8
    .kernarg_segment_size: 100
    .language:       OpenCL C
    .language_version:
      - 2
      - 0
    .max_flat_workgroup_size: 256
    .name:           _ZL34rocblas_syrkx_herkx_general_kernelIifLi16ELi32ELi8ELb1ELb0ELc78ELc85EKffEviT_T0_PT8_S1_lS4_S1_lS2_PT9_S1_li
    .private_segment_fixed_size: 0
    .sgpr_count:     26
    .sgpr_spill_count: 0
    .symbol:         _ZL34rocblas_syrkx_herkx_general_kernelIifLi16ELi32ELi8ELb1ELb0ELc78ELc85EKffEviT_T0_PT8_S1_lS4_S1_lS2_PT9_S1_li.kd
    .uniform_work_group_size: 1
    .uses_dynamic_stack: false
    .vgpr_count:     42
    .vgpr_spill_count: 0
    .wavefront_size: 32
    .workgroup_processor_mode: 1
  - .args:
      - .offset:         0
        .size:           4
        .value_kind:     by_value
      - .offset:         4
        .size:           4
        .value_kind:     by_value
      - .offset:         8
        .size:           4
        .value_kind:     by_value
      - .address_space:  global
        .offset:         16
        .size:           8
        .value_kind:     global_buffer
      - .offset:         24
        .size:           4
        .value_kind:     by_value
      - .offset:         32
        .size:           8
        .value_kind:     by_value
      - .address_space:  global
        .offset:         40
        .size:           8
        .value_kind:     global_buffer
      - .offset:         48
        .size:           4
        .value_kind:     by_value
      - .offset:         56
        .size:           8
        .value_kind:     by_value
      - .offset:         64
        .size:           4
        .value_kind:     by_value
      - .address_space:  global
        .offset:         72
        .size:           8
        .value_kind:     global_buffer
      - .offset:         80
        .size:           4
        .value_kind:     by_value
      - .offset:         88
        .size:           8
        .value_kind:     by_value
      - .offset:         96
        .size:           4
        .value_kind:     by_value
    .group_segment_fixed_size: 2048
    .kernarg_segment_align: 8
    .kernarg_segment_size: 100
    .language:       OpenCL C
    .language_version:
      - 2
      - 0
    .max_flat_workgroup_size: 256
    .name:           _ZL34rocblas_syrkx_herkx_general_kernelIifLi16ELi32ELi8ELb0ELb0ELc84ELc76EKffEviT_T0_PT8_S1_lS4_S1_lS2_PT9_S1_li
    .private_segment_fixed_size: 0
    .sgpr_count:     22
    .sgpr_spill_count: 0
    .symbol:         _ZL34rocblas_syrkx_herkx_general_kernelIifLi16ELi32ELi8ELb0ELb0ELc84ELc76EKffEviT_T0_PT8_S1_lS4_S1_lS2_PT9_S1_li.kd
    .uniform_work_group_size: 1
    .uses_dynamic_stack: false
    .vgpr_count:     42
    .vgpr_spill_count: 0
    .wavefront_size: 32
    .workgroup_processor_mode: 1
  - .args:
      - .offset:         0
        .size:           4
        .value_kind:     by_value
      - .offset:         4
        .size:           4
        .value_kind:     by_value
      - .offset:         8
        .size:           4
        .value_kind:     by_value
      - .address_space:  global
        .offset:         16
        .size:           8
        .value_kind:     global_buffer
      - .offset:         24
        .size:           4
        .value_kind:     by_value
      - .offset:         32
        .size:           8
        .value_kind:     by_value
      - .address_space:  global
        .offset:         40
        .size:           8
        .value_kind:     global_buffer
      - .offset:         48
        .size:           4
        .value_kind:     by_value
      - .offset:         56
        .size:           8
        .value_kind:     by_value
      - .offset:         64
        .size:           4
        .value_kind:     by_value
      - .address_space:  global
        .offset:         72
        .size:           8
        .value_kind:     global_buffer
      - .offset:         80
        .size:           4
        .value_kind:     by_value
      - .offset:         88
        .size:           8
        .value_kind:     by_value
      - .offset:         96
        .size:           4
        .value_kind:     by_value
    .group_segment_fixed_size: 2048
    .kernarg_segment_align: 8
    .kernarg_segment_size: 100
    .language:       OpenCL C
    .language_version:
      - 2
      - 0
    .max_flat_workgroup_size: 256
    .name:           _ZL34rocblas_syrkx_herkx_general_kernelIifLi16ELi32ELi8ELb0ELb0ELc67ELc76EKffEviT_T0_PT8_S1_lS4_S1_lS2_PT9_S1_li
    .private_segment_fixed_size: 0
    .sgpr_count:     22
    .sgpr_spill_count: 0
    .symbol:         _ZL34rocblas_syrkx_herkx_general_kernelIifLi16ELi32ELi8ELb0ELb0ELc67ELc76EKffEviT_T0_PT8_S1_lS4_S1_lS2_PT9_S1_li.kd
    .uniform_work_group_size: 1
    .uses_dynamic_stack: false
    .vgpr_count:     42
    .vgpr_spill_count: 0
    .wavefront_size: 32
    .workgroup_processor_mode: 1
  - .args:
      - .offset:         0
        .size:           4
        .value_kind:     by_value
      - .offset:         4
        .size:           4
        .value_kind:     by_value
      - .offset:         8
        .size:           4
        .value_kind:     by_value
      - .address_space:  global
        .offset:         16
        .size:           8
        .value_kind:     global_buffer
      - .offset:         24
        .size:           4
        .value_kind:     by_value
      - .offset:         32
        .size:           8
        .value_kind:     by_value
      - .address_space:  global
        .offset:         40
        .size:           8
        .value_kind:     global_buffer
      - .offset:         48
        .size:           4
        .value_kind:     by_value
      - .offset:         56
        .size:           8
        .value_kind:     by_value
      - .offset:         64
        .size:           4
        .value_kind:     by_value
      - .address_space:  global
        .offset:         72
        .size:           8
        .value_kind:     global_buffer
      - .offset:         80
        .size:           4
        .value_kind:     by_value
      - .offset:         88
        .size:           8
        .value_kind:     by_value
      - .offset:         96
        .size:           4
        .value_kind:     by_value
    .group_segment_fixed_size: 2048
    .kernarg_segment_align: 8
    .kernarg_segment_size: 100
    .language:       OpenCL C
    .language_version:
      - 2
      - 0
    .max_flat_workgroup_size: 256
    .name:           _ZL34rocblas_syrkx_herkx_general_kernelIifLi16ELi32ELi8ELb0ELb0ELc78ELc76EKffEviT_T0_PT8_S1_lS4_S1_lS2_PT9_S1_li
    .private_segment_fixed_size: 0
    .sgpr_count:     26
    .sgpr_spill_count: 0
    .symbol:         _ZL34rocblas_syrkx_herkx_general_kernelIifLi16ELi32ELi8ELb0ELb0ELc78ELc76EKffEviT_T0_PT8_S1_lS4_S1_lS2_PT9_S1_li.kd
    .uniform_work_group_size: 1
    .uses_dynamic_stack: false
    .vgpr_count:     42
    .vgpr_spill_count: 0
    .wavefront_size: 32
    .workgroup_processor_mode: 1
  - .args:
      - .offset:         0
        .size:           4
        .value_kind:     by_value
      - .offset:         4
        .size:           4
        .value_kind:     by_value
      - .offset:         8
        .size:           4
        .value_kind:     by_value
      - .address_space:  global
        .offset:         16
        .size:           8
        .value_kind:     global_buffer
      - .offset:         24
        .size:           4
        .value_kind:     by_value
      - .offset:         32
        .size:           8
        .value_kind:     by_value
      - .address_space:  global
        .offset:         40
        .size:           8
        .value_kind:     global_buffer
      - .offset:         48
        .size:           4
        .value_kind:     by_value
      - .offset:         56
        .size:           8
        .value_kind:     by_value
      - .offset:         64
        .size:           4
        .value_kind:     by_value
      - .address_space:  global
        .offset:         72
        .size:           8
        .value_kind:     global_buffer
      - .offset:         80
        .size:           4
        .value_kind:     by_value
      - .offset:         88
        .size:           8
        .value_kind:     by_value
      - .offset:         96
        .size:           4
        .value_kind:     by_value
    .group_segment_fixed_size: 2048
    .kernarg_segment_align: 8
    .kernarg_segment_size: 100
    .language:       OpenCL C
    .language_version:
      - 2
      - 0
    .max_flat_workgroup_size: 256
    .name:           _ZL34rocblas_syrkx_herkx_general_kernelIifLi16ELi32ELi8ELb0ELb0ELc84ELc85EKffEviT_T0_PT8_S1_lS4_S1_lS2_PT9_S1_li
    .private_segment_fixed_size: 0
    .sgpr_count:     22
    .sgpr_spill_count: 0
    .symbol:         _ZL34rocblas_syrkx_herkx_general_kernelIifLi16ELi32ELi8ELb0ELb0ELc84ELc85EKffEviT_T0_PT8_S1_lS4_S1_lS2_PT9_S1_li.kd
    .uniform_work_group_size: 1
    .uses_dynamic_stack: false
    .vgpr_count:     42
    .vgpr_spill_count: 0
    .wavefront_size: 32
    .workgroup_processor_mode: 1
  - .args:
      - .offset:         0
        .size:           4
        .value_kind:     by_value
      - .offset:         4
        .size:           4
        .value_kind:     by_value
      - .offset:         8
        .size:           4
        .value_kind:     by_value
      - .address_space:  global
        .offset:         16
        .size:           8
        .value_kind:     global_buffer
      - .offset:         24
        .size:           4
        .value_kind:     by_value
      - .offset:         32
        .size:           8
        .value_kind:     by_value
      - .address_space:  global
        .offset:         40
        .size:           8
        .value_kind:     global_buffer
      - .offset:         48
        .size:           4
        .value_kind:     by_value
      - .offset:         56
        .size:           8
        .value_kind:     by_value
      - .offset:         64
        .size:           4
        .value_kind:     by_value
      - .address_space:  global
        .offset:         72
        .size:           8
        .value_kind:     global_buffer
      - .offset:         80
        .size:           4
        .value_kind:     by_value
      - .offset:         88
        .size:           8
        .value_kind:     by_value
      - .offset:         96
        .size:           4
        .value_kind:     by_value
    .group_segment_fixed_size: 2048
    .kernarg_segment_align: 8
    .kernarg_segment_size: 100
    .language:       OpenCL C
    .language_version:
      - 2
      - 0
    .max_flat_workgroup_size: 256
    .name:           _ZL34rocblas_syrkx_herkx_general_kernelIifLi16ELi32ELi8ELb0ELb0ELc67ELc85EKffEviT_T0_PT8_S1_lS4_S1_lS2_PT9_S1_li
    .private_segment_fixed_size: 0
    .sgpr_count:     22
    .sgpr_spill_count: 0
    .symbol:         _ZL34rocblas_syrkx_herkx_general_kernelIifLi16ELi32ELi8ELb0ELb0ELc67ELc85EKffEviT_T0_PT8_S1_lS4_S1_lS2_PT9_S1_li.kd
    .uniform_work_group_size: 1
    .uses_dynamic_stack: false
    .vgpr_count:     42
    .vgpr_spill_count: 0
    .wavefront_size: 32
    .workgroup_processor_mode: 1
  - .args:
      - .offset:         0
        .size:           4
        .value_kind:     by_value
      - .offset:         4
        .size:           4
        .value_kind:     by_value
      - .offset:         8
        .size:           4
        .value_kind:     by_value
      - .address_space:  global
        .offset:         16
        .size:           8
        .value_kind:     global_buffer
      - .offset:         24
        .size:           4
        .value_kind:     by_value
      - .offset:         32
        .size:           8
        .value_kind:     by_value
      - .address_space:  global
        .offset:         40
        .size:           8
        .value_kind:     global_buffer
      - .offset:         48
        .size:           4
        .value_kind:     by_value
      - .offset:         56
        .size:           8
        .value_kind:     by_value
      - .offset:         64
        .size:           4
        .value_kind:     by_value
      - .address_space:  global
        .offset:         72
        .size:           8
        .value_kind:     global_buffer
      - .offset:         80
        .size:           4
        .value_kind:     by_value
      - .offset:         88
        .size:           8
        .value_kind:     by_value
      - .offset:         96
        .size:           4
        .value_kind:     by_value
    .group_segment_fixed_size: 2048
    .kernarg_segment_align: 8
    .kernarg_segment_size: 100
    .language:       OpenCL C
    .language_version:
      - 2
      - 0
    .max_flat_workgroup_size: 256
    .name:           _ZL34rocblas_syrkx_herkx_general_kernelIifLi16ELi32ELi8ELb0ELb0ELc78ELc85EKffEviT_T0_PT8_S1_lS4_S1_lS2_PT9_S1_li
    .private_segment_fixed_size: 0
    .sgpr_count:     26
    .sgpr_spill_count: 0
    .symbol:         _ZL34rocblas_syrkx_herkx_general_kernelIifLi16ELi32ELi8ELb0ELb0ELc78ELc85EKffEviT_T0_PT8_S1_lS4_S1_lS2_PT9_S1_li.kd
    .uniform_work_group_size: 1
    .uses_dynamic_stack: false
    .vgpr_count:     42
    .vgpr_spill_count: 0
    .wavefront_size: 32
    .workgroup_processor_mode: 1
  - .args:
      - .offset:         0
        .size:           1
        .value_kind:     by_value
      - .offset:         4
        .size:           4
        .value_kind:     by_value
      - .offset:         8
        .size:           4
        .value_kind:     by_value
      - .offset:         12
        .size:           4
        .value_kind:     by_value
      - .offset:         16
        .size:           4
        .value_kind:     by_value
      - .address_space:  global
        .offset:         24
        .size:           8
        .value_kind:     global_buffer
      - .offset:         32
        .size:           4
        .value_kind:     by_value
      - .offset:         40
        .size:           8
        .value_kind:     by_value
      - .offset:         48
        .size:           4
        .value_kind:     by_value
      - .offset:         56
        .size:           4
        .value_kind:     hidden_block_count_x
      - .offset:         60
        .size:           4
        .value_kind:     hidden_block_count_y
      - .offset:         64
        .size:           4
        .value_kind:     hidden_block_count_z
      - .offset:         68
        .size:           2
        .value_kind:     hidden_group_size_x
      - .offset:         70
        .size:           2
        .value_kind:     hidden_group_size_y
      - .offset:         72
        .size:           2
        .value_kind:     hidden_group_size_z
      - .offset:         74
        .size:           2
        .value_kind:     hidden_remainder_x
      - .offset:         76
        .size:           2
        .value_kind:     hidden_remainder_y
      - .offset:         78
        .size:           2
        .value_kind:     hidden_remainder_z
      - .offset:         96
        .size:           8
        .value_kind:     hidden_global_offset_x
      - .offset:         104
        .size:           8
        .value_kind:     hidden_global_offset_y
      - .offset:         112
        .size:           8
        .value_kind:     hidden_global_offset_z
      - .offset:         120
        .size:           2
        .value_kind:     hidden_grid_dims
    .group_segment_fixed_size: 0
    .kernarg_segment_align: 8
    .kernarg_segment_size: 312
    .language:       OpenCL C
    .language_version:
      - 2
      - 0
    .max_flat_workgroup_size: 1024
    .name:           _ZL26rocblas_syr2k_scale_kernelIiLi128ELi8ELb0EffPfEvbiT_T3_T4_T5_S1_li
    .private_segment_fixed_size: 0
    .sgpr_count:     18
    .sgpr_spill_count: 0
    .symbol:         _ZL26rocblas_syr2k_scale_kernelIiLi128ELi8ELb0EffPfEvbiT_T3_T4_T5_S1_li.kd
    .uniform_work_group_size: 1
    .uses_dynamic_stack: false
    .vgpr_count:     6
    .vgpr_spill_count: 0
    .wavefront_size: 32
    .workgroup_processor_mode: 1
  - .args:
      - .offset:         0
        .size:           1
        .value_kind:     by_value
      - .offset:         4
        .size:           4
        .value_kind:     by_value
      - .offset:         8
        .size:           4
        .value_kind:     by_value
      - .address_space:  global
        .offset:         16
        .size:           8
        .value_kind:     global_buffer
      - .address_space:  global
        .offset:         24
        .size:           8
        .value_kind:     global_buffer
      - .offset:         32
        .size:           4
        .value_kind:     by_value
      - .offset:         40
        .size:           8
        .value_kind:     by_value
      - .address_space:  global
        .offset:         48
        .size:           8
        .value_kind:     global_buffer
      - .offset:         56
        .size:           4
        .value_kind:     by_value
      - .offset:         64
        .size:           8
        .value_kind:     by_value
      - .address_space:  global
        .offset:         72
        .size:           8
        .value_kind:     global_buffer
      - .offset:         80
        .size:           4
        .value_kind:     by_value
      - .offset:         88
        .size:           8
        .value_kind:     by_value
      - .offset:         96
        .size:           4
        .value_kind:     by_value
    .group_segment_fixed_size: 8192
    .kernarg_segment_align: 8
    .kernarg_segment_size: 100
    .language:       OpenCL C
    .language_version:
      - 2
      - 0
    .max_flat_workgroup_size: 1024
    .name:           _ZL26rocblas_syr2k_her2k_kernelIiLb0ELb0ELb0ELi32EPKfS1_PfEvbiT_T4_T5_S3_lS5_S3_lT6_S3_li
    .private_segment_fixed_size: 0
    .sgpr_count:     26
    .sgpr_spill_count: 0
    .symbol:         _ZL26rocblas_syr2k_her2k_kernelIiLb0ELb0ELb0ELi32EPKfS1_PfEvbiT_T4_T5_S3_lS5_S3_lT6_S3_li.kd
    .uniform_work_group_size: 1
    .uses_dynamic_stack: false
    .vgpr_count:     31
    .vgpr_spill_count: 0
    .wavefront_size: 32
    .workgroup_processor_mode: 1
  - .args:
      - .offset:         0
        .size:           1
        .value_kind:     by_value
      - .offset:         4
        .size:           4
        .value_kind:     by_value
      - .offset:         8
        .size:           4
        .value_kind:     by_value
      - .address_space:  global
        .offset:         16
        .size:           8
        .value_kind:     global_buffer
      - .address_space:  global
        .offset:         24
        .size:           8
        .value_kind:     global_buffer
      - .offset:         32
        .size:           4
        .value_kind:     by_value
      - .offset:         40
        .size:           8
        .value_kind:     by_value
      - .address_space:  global
        .offset:         48
        .size:           8
        .value_kind:     global_buffer
      - .offset:         56
        .size:           4
        .value_kind:     by_value
      - .offset:         64
        .size:           8
        .value_kind:     by_value
      - .address_space:  global
        .offset:         72
        .size:           8
        .value_kind:     global_buffer
      - .offset:         80
        .size:           4
        .value_kind:     by_value
      - .offset:         88
        .size:           8
        .value_kind:     by_value
      - .offset:         96
        .size:           4
        .value_kind:     by_value
    .group_segment_fixed_size: 8192
    .kernarg_segment_align: 8
    .kernarg_segment_size: 100
    .language:       OpenCL C
    .language_version:
      - 2
      - 0
    .max_flat_workgroup_size: 1024
    .name:           _ZL26rocblas_syr2k_her2k_kernelIiLb0ELb0ELb1ELi32EPKfS1_PfEvbiT_T4_T5_S3_lS5_S3_lT6_S3_li
    .private_segment_fixed_size: 0
    .sgpr_count:     26
    .sgpr_spill_count: 0
    .symbol:         _ZL26rocblas_syr2k_her2k_kernelIiLb0ELb0ELb1ELi32EPKfS1_PfEvbiT_T4_T5_S3_lS5_S3_lT6_S3_li.kd
    .uniform_work_group_size: 1
    .uses_dynamic_stack: false
    .vgpr_count:     31
    .vgpr_spill_count: 0
    .wavefront_size: 32
    .workgroup_processor_mode: 1
  - .args:
      - .offset:         0
        .size:           1
        .value_kind:     by_value
      - .offset:         4
        .size:           4
        .value_kind:     by_value
      - .offset:         8
        .size:           4
        .value_kind:     by_value
      - .offset:         16
        .size:           8
        .value_kind:     by_value
      - .address_space:  global
        .offset:         24
        .size:           8
        .value_kind:     global_buffer
      - .offset:         32
        .size:           4
        .value_kind:     by_value
      - .offset:         40
        .size:           8
        .value_kind:     by_value
      - .address_space:  global
        .offset:         48
        .size:           8
        .value_kind:     global_buffer
      - .offset:         56
        .size:           4
        .value_kind:     by_value
      - .offset:         64
        .size:           8
        .value_kind:     by_value
      - .address_space:  global
        .offset:         72
        .size:           8
        .value_kind:     global_buffer
      - .offset:         80
        .size:           4
        .value_kind:     by_value
      - .offset:         88
        .size:           8
        .value_kind:     by_value
      - .offset:         96
        .size:           4
        .value_kind:     by_value
    .group_segment_fixed_size: 16384
    .kernarg_segment_align: 8
    .kernarg_segment_size: 100
    .language:       OpenCL C
    .language_version:
      - 2
      - 0
    .max_flat_workgroup_size: 1024
    .name:           _ZL26rocblas_syr2k_her2k_kernelIiLb0ELb0ELb0ELi32EdPKdPdEvbiT_T4_T5_S3_lS5_S3_lT6_S3_li
    .private_segment_fixed_size: 0
    .sgpr_count:     26
    .sgpr_spill_count: 0
    .symbol:         _ZL26rocblas_syr2k_her2k_kernelIiLb0ELb0ELb0ELi32EdPKdPdEvbiT_T4_T5_S3_lS5_S3_lT6_S3_li.kd
    .uniform_work_group_size: 1
    .uses_dynamic_stack: false
    .vgpr_count:     31
    .vgpr_spill_count: 0
    .wavefront_size: 32
    .workgroup_processor_mode: 1
  - .args:
      - .offset:         0
        .size:           1
        .value_kind:     by_value
      - .offset:         4
        .size:           4
        .value_kind:     by_value
      - .offset:         8
        .size:           4
        .value_kind:     by_value
      - .offset:         16
        .size:           8
        .value_kind:     by_value
      - .address_space:  global
        .offset:         24
        .size:           8
        .value_kind:     global_buffer
      - .offset:         32
        .size:           4
        .value_kind:     by_value
      - .offset:         40
        .size:           8
        .value_kind:     by_value
      - .address_space:  global
        .offset:         48
        .size:           8
        .value_kind:     global_buffer
      - .offset:         56
        .size:           4
        .value_kind:     by_value
      - .offset:         64
        .size:           8
        .value_kind:     by_value
      - .address_space:  global
        .offset:         72
        .size:           8
        .value_kind:     global_buffer
      - .offset:         80
        .size:           4
        .value_kind:     by_value
      - .offset:         88
        .size:           8
        .value_kind:     by_value
      - .offset:         96
        .size:           4
        .value_kind:     by_value
    .group_segment_fixed_size: 16384
    .kernarg_segment_align: 8
    .kernarg_segment_size: 100
    .language:       OpenCL C
    .language_version:
      - 2
      - 0
    .max_flat_workgroup_size: 1024
    .name:           _ZL26rocblas_syr2k_her2k_kernelIiLb0ELb0ELb1ELi32EdPKdPdEvbiT_T4_T5_S3_lS5_S3_lT6_S3_li
    .private_segment_fixed_size: 0
    .sgpr_count:     26
    .sgpr_spill_count: 0
    .symbol:         _ZL26rocblas_syr2k_her2k_kernelIiLb0ELb0ELb1ELi32EdPKdPdEvbiT_T4_T5_S3_lS5_S3_lT6_S3_li.kd
    .uniform_work_group_size: 1
    .uses_dynamic_stack: false
    .vgpr_count:     32
    .vgpr_spill_count: 0
    .wavefront_size: 32
    .workgroup_processor_mode: 1
  - .args:
      - .offset:         0
        .size:           4
        .value_kind:     by_value
      - .offset:         4
        .size:           4
        .value_kind:     by_value
      - .address_space:  global
        .offset:         8
        .size:           8
        .value_kind:     global_buffer
      - .offset:         16
        .size:           4
        .value_kind:     by_value
      - .offset:         24
        .size:           8
        .value_kind:     by_value
      - .address_space:  global
        .offset:         32
        .size:           8
        .value_kind:     global_buffer
      - .offset:         40
        .size:           4
        .value_kind:     by_value
      - .offset:         48
        .size:           8
        .value_kind:     by_value
      - .address_space:  global
        .offset:         56
        .size:           8
        .value_kind:     global_buffer
      - .offset:         64
        .size:           4
        .value_kind:     by_value
      - .offset:         72
        .size:           8
        .value_kind:     by_value
      - .offset:         80
        .size:           4
        .value_kind:     by_value
    .group_segment_fixed_size: 4096
    .kernarg_segment_align: 8
    .kernarg_segment_size: 84
    .language:       OpenCL C
    .language_version:
      - 2
      - 0
    .max_flat_workgroup_size: 256
    .name:           _ZL37rocblas_syrkx_herkx_restricted_kernelIidLi16ELi32ELi8ELi1ELi1ELb0ELc84ELc76EKddEviT_PT9_S1_lS3_S1_lPT10_S1_li
    .private_segment_fixed_size: 0
    .sgpr_count:     22
    .sgpr_spill_count: 0
    .symbol:         _ZL37rocblas_syrkx_herkx_restricted_kernelIidLi16ELi32ELi8ELi1ELi1ELb0ELc84ELc76EKddEviT_PT9_S1_lS3_S1_lPT10_S1_li.kd
    .uniform_work_group_size: 1
    .uses_dynamic_stack: false
    .vgpr_count:     38
    .vgpr_spill_count: 0
    .wavefront_size: 32
    .workgroup_processor_mode: 1
  - .args:
      - .offset:         0
        .size:           4
        .value_kind:     by_value
      - .offset:         4
        .size:           4
        .value_kind:     by_value
      - .address_space:  global
        .offset:         8
        .size:           8
        .value_kind:     global_buffer
      - .offset:         16
        .size:           4
        .value_kind:     by_value
      - .offset:         24
        .size:           8
        .value_kind:     by_value
      - .address_space:  global
        .offset:         32
        .size:           8
        .value_kind:     global_buffer
      - .offset:         40
        .size:           4
        .value_kind:     by_value
      - .offset:         48
        .size:           8
        .value_kind:     by_value
      - .address_space:  global
        .offset:         56
        .size:           8
        .value_kind:     global_buffer
      - .offset:         64
        .size:           4
        .value_kind:     by_value
      - .offset:         72
        .size:           8
        .value_kind:     by_value
      - .offset:         80
        .size:           4
        .value_kind:     by_value
    .group_segment_fixed_size: 4096
    .kernarg_segment_align: 8
    .kernarg_segment_size: 84
    .language:       OpenCL C
    .language_version:
      - 2
      - 0
    .max_flat_workgroup_size: 256
    .name:           _ZL37rocblas_syrkx_herkx_restricted_kernelIidLi16ELi32ELi8ELi1ELi1ELb0ELc67ELc76EKddEviT_PT9_S1_lS3_S1_lPT10_S1_li
    .private_segment_fixed_size: 0
    .sgpr_count:     22
    .sgpr_spill_count: 0
    .symbol:         _ZL37rocblas_syrkx_herkx_restricted_kernelIidLi16ELi32ELi8ELi1ELi1ELb0ELc67ELc76EKddEviT_PT9_S1_lS3_S1_lPT10_S1_li.kd
    .uniform_work_group_size: 1
    .uses_dynamic_stack: false
    .vgpr_count:     38
    .vgpr_spill_count: 0
    .wavefront_size: 32
    .workgroup_processor_mode: 1
  - .args:
      - .offset:         0
        .size:           4
        .value_kind:     by_value
      - .offset:         4
        .size:           4
        .value_kind:     by_value
      - .address_space:  global
        .offset:         8
        .size:           8
        .value_kind:     global_buffer
      - .offset:         16
        .size:           4
        .value_kind:     by_value
      - .offset:         24
        .size:           8
        .value_kind:     by_value
      - .address_space:  global
        .offset:         32
        .size:           8
        .value_kind:     global_buffer
      - .offset:         40
        .size:           4
        .value_kind:     by_value
      - .offset:         48
        .size:           8
        .value_kind:     by_value
      - .address_space:  global
        .offset:         56
        .size:           8
        .value_kind:     global_buffer
      - .offset:         64
        .size:           4
        .value_kind:     by_value
      - .offset:         72
        .size:           8
        .value_kind:     by_value
      - .offset:         80
        .size:           4
        .value_kind:     by_value
    .group_segment_fixed_size: 4096
    .kernarg_segment_align: 8
    .kernarg_segment_size: 84
    .language:       OpenCL C
    .language_version:
      - 2
      - 0
    .max_flat_workgroup_size: 256
    .name:           _ZL37rocblas_syrkx_herkx_restricted_kernelIidLi16ELi32ELi8ELi1ELi1ELb0ELc78ELc76EKddEviT_PT9_S1_lS3_S1_lPT10_S1_li
    .private_segment_fixed_size: 0
    .sgpr_count:     25
    .sgpr_spill_count: 0
    .symbol:         _ZL37rocblas_syrkx_herkx_restricted_kernelIidLi16ELi32ELi8ELi1ELi1ELb0ELc78ELc76EKddEviT_PT9_S1_lS3_S1_lPT10_S1_li.kd
    .uniform_work_group_size: 1
    .uses_dynamic_stack: false
    .vgpr_count:     38
    .vgpr_spill_count: 0
    .wavefront_size: 32
    .workgroup_processor_mode: 1
  - .args:
      - .offset:         0
        .size:           4
        .value_kind:     by_value
      - .offset:         4
        .size:           4
        .value_kind:     by_value
      - .address_space:  global
        .offset:         8
        .size:           8
        .value_kind:     global_buffer
      - .offset:         16
        .size:           4
        .value_kind:     by_value
      - .offset:         24
        .size:           8
        .value_kind:     by_value
      - .address_space:  global
        .offset:         32
        .size:           8
        .value_kind:     global_buffer
      - .offset:         40
        .size:           4
        .value_kind:     by_value
      - .offset:         48
        .size:           8
        .value_kind:     by_value
      - .address_space:  global
        .offset:         56
        .size:           8
        .value_kind:     global_buffer
      - .offset:         64
        .size:           4
        .value_kind:     by_value
      - .offset:         72
        .size:           8
        .value_kind:     by_value
      - .offset:         80
        .size:           4
        .value_kind:     by_value
    .group_segment_fixed_size: 4096
    .kernarg_segment_align: 8
    .kernarg_segment_size: 84
    .language:       OpenCL C
    .language_version:
      - 2
      - 0
    .max_flat_workgroup_size: 256
    .name:           _ZL37rocblas_syrkx_herkx_restricted_kernelIidLi16ELi32ELi8ELi1ELi1ELb0ELc84ELc85EKddEviT_PT9_S1_lS3_S1_lPT10_S1_li
    .private_segment_fixed_size: 0
    .sgpr_count:     22
    .sgpr_spill_count: 0
    .symbol:         _ZL37rocblas_syrkx_herkx_restricted_kernelIidLi16ELi32ELi8ELi1ELi1ELb0ELc84ELc85EKddEviT_PT9_S1_lS3_S1_lPT10_S1_li.kd
    .uniform_work_group_size: 1
    .uses_dynamic_stack: false
    .vgpr_count:     38
    .vgpr_spill_count: 0
    .wavefront_size: 32
    .workgroup_processor_mode: 1
  - .args:
      - .offset:         0
        .size:           4
        .value_kind:     by_value
      - .offset:         4
        .size:           4
        .value_kind:     by_value
      - .address_space:  global
        .offset:         8
        .size:           8
        .value_kind:     global_buffer
      - .offset:         16
        .size:           4
        .value_kind:     by_value
      - .offset:         24
        .size:           8
        .value_kind:     by_value
      - .address_space:  global
        .offset:         32
        .size:           8
        .value_kind:     global_buffer
      - .offset:         40
        .size:           4
        .value_kind:     by_value
      - .offset:         48
        .size:           8
        .value_kind:     by_value
      - .address_space:  global
        .offset:         56
        .size:           8
        .value_kind:     global_buffer
      - .offset:         64
        .size:           4
        .value_kind:     by_value
      - .offset:         72
        .size:           8
        .value_kind:     by_value
      - .offset:         80
        .size:           4
        .value_kind:     by_value
    .group_segment_fixed_size: 4096
    .kernarg_segment_align: 8
    .kernarg_segment_size: 84
    .language:       OpenCL C
    .language_version:
      - 2
      - 0
    .max_flat_workgroup_size: 256
    .name:           _ZL37rocblas_syrkx_herkx_restricted_kernelIidLi16ELi32ELi8ELi1ELi1ELb0ELc67ELc85EKddEviT_PT9_S1_lS3_S1_lPT10_S1_li
    .private_segment_fixed_size: 0
    .sgpr_count:     22
    .sgpr_spill_count: 0
    .symbol:         _ZL37rocblas_syrkx_herkx_restricted_kernelIidLi16ELi32ELi8ELi1ELi1ELb0ELc67ELc85EKddEviT_PT9_S1_lS3_S1_lPT10_S1_li.kd
    .uniform_work_group_size: 1
    .uses_dynamic_stack: false
    .vgpr_count:     38
    .vgpr_spill_count: 0
    .wavefront_size: 32
    .workgroup_processor_mode: 1
  - .args:
      - .offset:         0
        .size:           4
        .value_kind:     by_value
      - .offset:         4
        .size:           4
        .value_kind:     by_value
      - .address_space:  global
        .offset:         8
        .size:           8
        .value_kind:     global_buffer
      - .offset:         16
        .size:           4
        .value_kind:     by_value
      - .offset:         24
        .size:           8
        .value_kind:     by_value
      - .address_space:  global
        .offset:         32
        .size:           8
        .value_kind:     global_buffer
      - .offset:         40
        .size:           4
        .value_kind:     by_value
      - .offset:         48
        .size:           8
        .value_kind:     by_value
      - .address_space:  global
        .offset:         56
        .size:           8
        .value_kind:     global_buffer
      - .offset:         64
        .size:           4
        .value_kind:     by_value
      - .offset:         72
        .size:           8
        .value_kind:     by_value
      - .offset:         80
        .size:           4
        .value_kind:     by_value
    .group_segment_fixed_size: 4096
    .kernarg_segment_align: 8
    .kernarg_segment_size: 84
    .language:       OpenCL C
    .language_version:
      - 2
      - 0
    .max_flat_workgroup_size: 256
    .name:           _ZL37rocblas_syrkx_herkx_restricted_kernelIidLi16ELi32ELi8ELi1ELi1ELb0ELc78ELc85EKddEviT_PT9_S1_lS3_S1_lPT10_S1_li
    .private_segment_fixed_size: 0
    .sgpr_count:     25
    .sgpr_spill_count: 0
    .symbol:         _ZL37rocblas_syrkx_herkx_restricted_kernelIidLi16ELi32ELi8ELi1ELi1ELb0ELc78ELc85EKddEviT_PT9_S1_lS3_S1_lPT10_S1_li.kd
    .uniform_work_group_size: 1
    .uses_dynamic_stack: false
    .vgpr_count:     38
    .vgpr_spill_count: 0
    .wavefront_size: 32
    .workgroup_processor_mode: 1
  - .args:
      - .offset:         0
        .size:           4
        .value_kind:     by_value
      - .offset:         4
        .size:           4
        .value_kind:     by_value
      - .address_space:  global
        .offset:         8
        .size:           8
        .value_kind:     global_buffer
      - .offset:         16
        .size:           4
        .value_kind:     by_value
      - .offset:         24
        .size:           8
        .value_kind:     by_value
      - .address_space:  global
        .offset:         32
        .size:           8
        .value_kind:     global_buffer
      - .offset:         40
        .size:           4
        .value_kind:     by_value
      - .offset:         48
        .size:           8
        .value_kind:     by_value
      - .address_space:  global
        .offset:         56
        .size:           8
        .value_kind:     global_buffer
      - .offset:         64
        .size:           4
        .value_kind:     by_value
      - .offset:         72
        .size:           8
        .value_kind:     by_value
      - .offset:         80
        .size:           4
        .value_kind:     by_value
    .group_segment_fixed_size: 4096
    .kernarg_segment_align: 8
    .kernarg_segment_size: 84
    .language:       OpenCL C
    .language_version:
      - 2
      - 0
    .max_flat_workgroup_size: 256
    .name:           _ZL37rocblas_syrkx_herkx_restricted_kernelIidLi16ELi32ELi8ELi1ELin1ELb0ELc84ELc76EKddEviT_PT9_S1_lS3_S1_lPT10_S1_li
    .private_segment_fixed_size: 0
    .sgpr_count:     22
    .sgpr_spill_count: 0
    .symbol:         _ZL37rocblas_syrkx_herkx_restricted_kernelIidLi16ELi32ELi8ELi1ELin1ELb0ELc84ELc76EKddEviT_PT9_S1_lS3_S1_lPT10_S1_li.kd
    .uniform_work_group_size: 1
    .uses_dynamic_stack: false
    .vgpr_count:     38
    .vgpr_spill_count: 0
    .wavefront_size: 32
    .workgroup_processor_mode: 1
  - .args:
      - .offset:         0
        .size:           4
        .value_kind:     by_value
      - .offset:         4
        .size:           4
        .value_kind:     by_value
      - .address_space:  global
        .offset:         8
        .size:           8
        .value_kind:     global_buffer
      - .offset:         16
        .size:           4
        .value_kind:     by_value
      - .offset:         24
        .size:           8
        .value_kind:     by_value
      - .address_space:  global
        .offset:         32
        .size:           8
        .value_kind:     global_buffer
      - .offset:         40
        .size:           4
        .value_kind:     by_value
      - .offset:         48
        .size:           8
        .value_kind:     by_value
      - .address_space:  global
        .offset:         56
        .size:           8
        .value_kind:     global_buffer
      - .offset:         64
        .size:           4
        .value_kind:     by_value
      - .offset:         72
        .size:           8
        .value_kind:     by_value
      - .offset:         80
        .size:           4
        .value_kind:     by_value
    .group_segment_fixed_size: 4096
    .kernarg_segment_align: 8
    .kernarg_segment_size: 84
    .language:       OpenCL C
    .language_version:
      - 2
      - 0
    .max_flat_workgroup_size: 256
    .name:           _ZL37rocblas_syrkx_herkx_restricted_kernelIidLi16ELi32ELi8ELi1ELin1ELb0ELc67ELc76EKddEviT_PT9_S1_lS3_S1_lPT10_S1_li
    .private_segment_fixed_size: 0
    .sgpr_count:     22
    .sgpr_spill_count: 0
    .symbol:         _ZL37rocblas_syrkx_herkx_restricted_kernelIidLi16ELi32ELi8ELi1ELin1ELb0ELc67ELc76EKddEviT_PT9_S1_lS3_S1_lPT10_S1_li.kd
    .uniform_work_group_size: 1
    .uses_dynamic_stack: false
    .vgpr_count:     38
    .vgpr_spill_count: 0
    .wavefront_size: 32
    .workgroup_processor_mode: 1
  - .args:
      - .offset:         0
        .size:           4
        .value_kind:     by_value
      - .offset:         4
        .size:           4
        .value_kind:     by_value
      - .address_space:  global
        .offset:         8
        .size:           8
        .value_kind:     global_buffer
      - .offset:         16
        .size:           4
        .value_kind:     by_value
      - .offset:         24
        .size:           8
        .value_kind:     by_value
      - .address_space:  global
        .offset:         32
        .size:           8
        .value_kind:     global_buffer
      - .offset:         40
        .size:           4
        .value_kind:     by_value
      - .offset:         48
        .size:           8
        .value_kind:     by_value
      - .address_space:  global
        .offset:         56
        .size:           8
        .value_kind:     global_buffer
      - .offset:         64
        .size:           4
        .value_kind:     by_value
      - .offset:         72
        .size:           8
        .value_kind:     by_value
      - .offset:         80
        .size:           4
        .value_kind:     by_value
    .group_segment_fixed_size: 4096
    .kernarg_segment_align: 8
    .kernarg_segment_size: 84
    .language:       OpenCL C
    .language_version:
      - 2
      - 0
    .max_flat_workgroup_size: 256
    .name:           _ZL37rocblas_syrkx_herkx_restricted_kernelIidLi16ELi32ELi8ELi1ELin1ELb0ELc78ELc76EKddEviT_PT9_S1_lS3_S1_lPT10_S1_li
    .private_segment_fixed_size: 0
    .sgpr_count:     25
    .sgpr_spill_count: 0
    .symbol:         _ZL37rocblas_syrkx_herkx_restricted_kernelIidLi16ELi32ELi8ELi1ELin1ELb0ELc78ELc76EKddEviT_PT9_S1_lS3_S1_lPT10_S1_li.kd
    .uniform_work_group_size: 1
    .uses_dynamic_stack: false
    .vgpr_count:     38
    .vgpr_spill_count: 0
    .wavefront_size: 32
    .workgroup_processor_mode: 1
  - .args:
      - .offset:         0
        .size:           4
        .value_kind:     by_value
      - .offset:         4
        .size:           4
        .value_kind:     by_value
      - .address_space:  global
        .offset:         8
        .size:           8
        .value_kind:     global_buffer
      - .offset:         16
        .size:           4
        .value_kind:     by_value
      - .offset:         24
        .size:           8
        .value_kind:     by_value
      - .address_space:  global
        .offset:         32
        .size:           8
        .value_kind:     global_buffer
      - .offset:         40
        .size:           4
        .value_kind:     by_value
      - .offset:         48
        .size:           8
        .value_kind:     by_value
      - .address_space:  global
        .offset:         56
        .size:           8
        .value_kind:     global_buffer
      - .offset:         64
        .size:           4
        .value_kind:     by_value
      - .offset:         72
        .size:           8
        .value_kind:     by_value
      - .offset:         80
        .size:           4
        .value_kind:     by_value
    .group_segment_fixed_size: 4096
    .kernarg_segment_align: 8
    .kernarg_segment_size: 84
    .language:       OpenCL C
    .language_version:
      - 2
      - 0
    .max_flat_workgroup_size: 256
    .name:           _ZL37rocblas_syrkx_herkx_restricted_kernelIidLi16ELi32ELi8ELi1ELin1ELb0ELc84ELc85EKddEviT_PT9_S1_lS3_S1_lPT10_S1_li
    .private_segment_fixed_size: 0
    .sgpr_count:     22
    .sgpr_spill_count: 0
    .symbol:         _ZL37rocblas_syrkx_herkx_restricted_kernelIidLi16ELi32ELi8ELi1ELin1ELb0ELc84ELc85EKddEviT_PT9_S1_lS3_S1_lPT10_S1_li.kd
    .uniform_work_group_size: 1
    .uses_dynamic_stack: false
    .vgpr_count:     38
    .vgpr_spill_count: 0
    .wavefront_size: 32
    .workgroup_processor_mode: 1
  - .args:
      - .offset:         0
        .size:           4
        .value_kind:     by_value
      - .offset:         4
        .size:           4
        .value_kind:     by_value
      - .address_space:  global
        .offset:         8
        .size:           8
        .value_kind:     global_buffer
      - .offset:         16
        .size:           4
        .value_kind:     by_value
      - .offset:         24
        .size:           8
        .value_kind:     by_value
      - .address_space:  global
        .offset:         32
        .size:           8
        .value_kind:     global_buffer
      - .offset:         40
        .size:           4
        .value_kind:     by_value
      - .offset:         48
        .size:           8
        .value_kind:     by_value
      - .address_space:  global
        .offset:         56
        .size:           8
        .value_kind:     global_buffer
      - .offset:         64
        .size:           4
        .value_kind:     by_value
      - .offset:         72
        .size:           8
        .value_kind:     by_value
      - .offset:         80
        .size:           4
        .value_kind:     by_value
    .group_segment_fixed_size: 4096
    .kernarg_segment_align: 8
    .kernarg_segment_size: 84
    .language:       OpenCL C
    .language_version:
      - 2
      - 0
    .max_flat_workgroup_size: 256
    .name:           _ZL37rocblas_syrkx_herkx_restricted_kernelIidLi16ELi32ELi8ELi1ELin1ELb0ELc67ELc85EKddEviT_PT9_S1_lS3_S1_lPT10_S1_li
    .private_segment_fixed_size: 0
    .sgpr_count:     22
    .sgpr_spill_count: 0
    .symbol:         _ZL37rocblas_syrkx_herkx_restricted_kernelIidLi16ELi32ELi8ELi1ELin1ELb0ELc67ELc85EKddEviT_PT9_S1_lS3_S1_lPT10_S1_li.kd
    .uniform_work_group_size: 1
    .uses_dynamic_stack: false
    .vgpr_count:     38
    .vgpr_spill_count: 0
    .wavefront_size: 32
    .workgroup_processor_mode: 1
  - .args:
      - .offset:         0
        .size:           4
        .value_kind:     by_value
      - .offset:         4
        .size:           4
        .value_kind:     by_value
      - .address_space:  global
        .offset:         8
        .size:           8
        .value_kind:     global_buffer
      - .offset:         16
        .size:           4
        .value_kind:     by_value
      - .offset:         24
        .size:           8
        .value_kind:     by_value
      - .address_space:  global
        .offset:         32
        .size:           8
        .value_kind:     global_buffer
      - .offset:         40
        .size:           4
        .value_kind:     by_value
      - .offset:         48
        .size:           8
        .value_kind:     by_value
      - .address_space:  global
        .offset:         56
        .size:           8
        .value_kind:     global_buffer
      - .offset:         64
        .size:           4
        .value_kind:     by_value
      - .offset:         72
        .size:           8
        .value_kind:     by_value
      - .offset:         80
        .size:           4
        .value_kind:     by_value
    .group_segment_fixed_size: 4096
    .kernarg_segment_align: 8
    .kernarg_segment_size: 84
    .language:       OpenCL C
    .language_version:
      - 2
      - 0
    .max_flat_workgroup_size: 256
    .name:           _ZL37rocblas_syrkx_herkx_restricted_kernelIidLi16ELi32ELi8ELi1ELin1ELb0ELc78ELc85EKddEviT_PT9_S1_lS3_S1_lPT10_S1_li
    .private_segment_fixed_size: 0
    .sgpr_count:     25
    .sgpr_spill_count: 0
    .symbol:         _ZL37rocblas_syrkx_herkx_restricted_kernelIidLi16ELi32ELi8ELi1ELin1ELb0ELc78ELc85EKddEviT_PT9_S1_lS3_S1_lPT10_S1_li.kd
    .uniform_work_group_size: 1
    .uses_dynamic_stack: false
    .vgpr_count:     38
    .vgpr_spill_count: 0
    .wavefront_size: 32
    .workgroup_processor_mode: 1
  - .args:
      - .offset:         0
        .size:           4
        .value_kind:     by_value
      - .offset:         4
        .size:           4
        .value_kind:     by_value
      - .address_space:  global
        .offset:         8
        .size:           8
        .value_kind:     global_buffer
      - .offset:         16
        .size:           4
        .value_kind:     by_value
      - .offset:         24
        .size:           8
        .value_kind:     by_value
      - .address_space:  global
        .offset:         32
        .size:           8
        .value_kind:     global_buffer
      - .offset:         40
        .size:           4
        .value_kind:     by_value
      - .offset:         48
        .size:           8
        .value_kind:     by_value
      - .address_space:  global
        .offset:         56
        .size:           8
        .value_kind:     global_buffer
      - .offset:         64
        .size:           4
        .value_kind:     by_value
      - .offset:         72
        .size:           8
        .value_kind:     by_value
      - .offset:         80
        .size:           4
        .value_kind:     by_value
    .group_segment_fixed_size: 4096
    .kernarg_segment_align: 8
    .kernarg_segment_size: 84
    .language:       OpenCL C
    .language_version:
      - 2
      - 0
    .max_flat_workgroup_size: 256
    .name:           _ZL37rocblas_syrkx_herkx_restricted_kernelIidLi16ELi32ELi8ELi1ELi0ELb0ELc84ELc76EKddEviT_PT9_S1_lS3_S1_lPT10_S1_li
    .private_segment_fixed_size: 0
    .sgpr_count:     22
    .sgpr_spill_count: 0
    .symbol:         _ZL37rocblas_syrkx_herkx_restricted_kernelIidLi16ELi32ELi8ELi1ELi0ELb0ELc84ELc76EKddEviT_PT9_S1_lS3_S1_lPT10_S1_li.kd
    .uniform_work_group_size: 1
    .uses_dynamic_stack: false
    .vgpr_count:     38
    .vgpr_spill_count: 0
    .wavefront_size: 32
    .workgroup_processor_mode: 1
  - .args:
      - .offset:         0
        .size:           4
        .value_kind:     by_value
      - .offset:         4
        .size:           4
        .value_kind:     by_value
      - .address_space:  global
        .offset:         8
        .size:           8
        .value_kind:     global_buffer
      - .offset:         16
        .size:           4
        .value_kind:     by_value
      - .offset:         24
        .size:           8
        .value_kind:     by_value
      - .address_space:  global
        .offset:         32
        .size:           8
        .value_kind:     global_buffer
      - .offset:         40
        .size:           4
        .value_kind:     by_value
      - .offset:         48
        .size:           8
        .value_kind:     by_value
      - .address_space:  global
        .offset:         56
        .size:           8
        .value_kind:     global_buffer
      - .offset:         64
        .size:           4
        .value_kind:     by_value
      - .offset:         72
        .size:           8
        .value_kind:     by_value
      - .offset:         80
        .size:           4
        .value_kind:     by_value
    .group_segment_fixed_size: 4096
    .kernarg_segment_align: 8
    .kernarg_segment_size: 84
    .language:       OpenCL C
    .language_version:
      - 2
      - 0
    .max_flat_workgroup_size: 256
    .name:           _ZL37rocblas_syrkx_herkx_restricted_kernelIidLi16ELi32ELi8ELi1ELi0ELb0ELc67ELc76EKddEviT_PT9_S1_lS3_S1_lPT10_S1_li
    .private_segment_fixed_size: 0
    .sgpr_count:     22
    .sgpr_spill_count: 0
    .symbol:         _ZL37rocblas_syrkx_herkx_restricted_kernelIidLi16ELi32ELi8ELi1ELi0ELb0ELc67ELc76EKddEviT_PT9_S1_lS3_S1_lPT10_S1_li.kd
    .uniform_work_group_size: 1
    .uses_dynamic_stack: false
    .vgpr_count:     38
    .vgpr_spill_count: 0
    .wavefront_size: 32
    .workgroup_processor_mode: 1
  - .args:
      - .offset:         0
        .size:           4
        .value_kind:     by_value
      - .offset:         4
        .size:           4
        .value_kind:     by_value
      - .address_space:  global
        .offset:         8
        .size:           8
        .value_kind:     global_buffer
      - .offset:         16
        .size:           4
        .value_kind:     by_value
      - .offset:         24
        .size:           8
        .value_kind:     by_value
      - .address_space:  global
        .offset:         32
        .size:           8
        .value_kind:     global_buffer
      - .offset:         40
        .size:           4
        .value_kind:     by_value
      - .offset:         48
        .size:           8
        .value_kind:     by_value
      - .address_space:  global
        .offset:         56
        .size:           8
        .value_kind:     global_buffer
      - .offset:         64
        .size:           4
        .value_kind:     by_value
      - .offset:         72
        .size:           8
        .value_kind:     by_value
      - .offset:         80
        .size:           4
        .value_kind:     by_value
    .group_segment_fixed_size: 4096
    .kernarg_segment_align: 8
    .kernarg_segment_size: 84
    .language:       OpenCL C
    .language_version:
      - 2
      - 0
    .max_flat_workgroup_size: 256
    .name:           _ZL37rocblas_syrkx_herkx_restricted_kernelIidLi16ELi32ELi8ELi1ELi0ELb0ELc78ELc76EKddEviT_PT9_S1_lS3_S1_lPT10_S1_li
    .private_segment_fixed_size: 0
    .sgpr_count:     25
    .sgpr_spill_count: 0
    .symbol:         _ZL37rocblas_syrkx_herkx_restricted_kernelIidLi16ELi32ELi8ELi1ELi0ELb0ELc78ELc76EKddEviT_PT9_S1_lS3_S1_lPT10_S1_li.kd
    .uniform_work_group_size: 1
    .uses_dynamic_stack: false
    .vgpr_count:     38
    .vgpr_spill_count: 0
    .wavefront_size: 32
    .workgroup_processor_mode: 1
  - .args:
      - .offset:         0
        .size:           4
        .value_kind:     by_value
      - .offset:         4
        .size:           4
        .value_kind:     by_value
      - .address_space:  global
        .offset:         8
        .size:           8
        .value_kind:     global_buffer
      - .offset:         16
        .size:           4
        .value_kind:     by_value
      - .offset:         24
        .size:           8
        .value_kind:     by_value
      - .address_space:  global
        .offset:         32
        .size:           8
        .value_kind:     global_buffer
      - .offset:         40
        .size:           4
        .value_kind:     by_value
      - .offset:         48
        .size:           8
        .value_kind:     by_value
      - .address_space:  global
        .offset:         56
        .size:           8
        .value_kind:     global_buffer
      - .offset:         64
        .size:           4
        .value_kind:     by_value
      - .offset:         72
        .size:           8
        .value_kind:     by_value
      - .offset:         80
        .size:           4
        .value_kind:     by_value
    .group_segment_fixed_size: 4096
    .kernarg_segment_align: 8
    .kernarg_segment_size: 84
    .language:       OpenCL C
    .language_version:
      - 2
      - 0
    .max_flat_workgroup_size: 256
    .name:           _ZL37rocblas_syrkx_herkx_restricted_kernelIidLi16ELi32ELi8ELi1ELi0ELb0ELc84ELc85EKddEviT_PT9_S1_lS3_S1_lPT10_S1_li
    .private_segment_fixed_size: 0
    .sgpr_count:     22
    .sgpr_spill_count: 0
    .symbol:         _ZL37rocblas_syrkx_herkx_restricted_kernelIidLi16ELi32ELi8ELi1ELi0ELb0ELc84ELc85EKddEviT_PT9_S1_lS3_S1_lPT10_S1_li.kd
    .uniform_work_group_size: 1
    .uses_dynamic_stack: false
    .vgpr_count:     38
    .vgpr_spill_count: 0
    .wavefront_size: 32
    .workgroup_processor_mode: 1
  - .args:
      - .offset:         0
        .size:           4
        .value_kind:     by_value
      - .offset:         4
        .size:           4
        .value_kind:     by_value
      - .address_space:  global
        .offset:         8
        .size:           8
        .value_kind:     global_buffer
      - .offset:         16
        .size:           4
        .value_kind:     by_value
      - .offset:         24
        .size:           8
        .value_kind:     by_value
      - .address_space:  global
        .offset:         32
        .size:           8
        .value_kind:     global_buffer
      - .offset:         40
        .size:           4
        .value_kind:     by_value
      - .offset:         48
        .size:           8
        .value_kind:     by_value
      - .address_space:  global
        .offset:         56
        .size:           8
        .value_kind:     global_buffer
      - .offset:         64
        .size:           4
        .value_kind:     by_value
      - .offset:         72
        .size:           8
        .value_kind:     by_value
      - .offset:         80
        .size:           4
        .value_kind:     by_value
    .group_segment_fixed_size: 4096
    .kernarg_segment_align: 8
    .kernarg_segment_size: 84
    .language:       OpenCL C
    .language_version:
      - 2
      - 0
    .max_flat_workgroup_size: 256
    .name:           _ZL37rocblas_syrkx_herkx_restricted_kernelIidLi16ELi32ELi8ELi1ELi0ELb0ELc67ELc85EKddEviT_PT9_S1_lS3_S1_lPT10_S1_li
    .private_segment_fixed_size: 0
    .sgpr_count:     22
    .sgpr_spill_count: 0
    .symbol:         _ZL37rocblas_syrkx_herkx_restricted_kernelIidLi16ELi32ELi8ELi1ELi0ELb0ELc67ELc85EKddEviT_PT9_S1_lS3_S1_lPT10_S1_li.kd
    .uniform_work_group_size: 1
    .uses_dynamic_stack: false
    .vgpr_count:     38
    .vgpr_spill_count: 0
    .wavefront_size: 32
    .workgroup_processor_mode: 1
  - .args:
      - .offset:         0
        .size:           4
        .value_kind:     by_value
      - .offset:         4
        .size:           4
        .value_kind:     by_value
      - .address_space:  global
        .offset:         8
        .size:           8
        .value_kind:     global_buffer
      - .offset:         16
        .size:           4
        .value_kind:     by_value
      - .offset:         24
        .size:           8
        .value_kind:     by_value
      - .address_space:  global
        .offset:         32
        .size:           8
        .value_kind:     global_buffer
      - .offset:         40
        .size:           4
        .value_kind:     by_value
      - .offset:         48
        .size:           8
        .value_kind:     by_value
      - .address_space:  global
        .offset:         56
        .size:           8
        .value_kind:     global_buffer
      - .offset:         64
        .size:           4
        .value_kind:     by_value
      - .offset:         72
        .size:           8
        .value_kind:     by_value
      - .offset:         80
        .size:           4
        .value_kind:     by_value
    .group_segment_fixed_size: 4096
    .kernarg_segment_align: 8
    .kernarg_segment_size: 84
    .language:       OpenCL C
    .language_version:
      - 2
      - 0
    .max_flat_workgroup_size: 256
    .name:           _ZL37rocblas_syrkx_herkx_restricted_kernelIidLi16ELi32ELi8ELi1ELi0ELb0ELc78ELc85EKddEviT_PT9_S1_lS3_S1_lPT10_S1_li
    .private_segment_fixed_size: 0
    .sgpr_count:     25
    .sgpr_spill_count: 0
    .symbol:         _ZL37rocblas_syrkx_herkx_restricted_kernelIidLi16ELi32ELi8ELi1ELi0ELb0ELc78ELc85EKddEviT_PT9_S1_lS3_S1_lPT10_S1_li.kd
    .uniform_work_group_size: 1
    .uses_dynamic_stack: false
    .vgpr_count:     38
    .vgpr_spill_count: 0
    .wavefront_size: 32
    .workgroup_processor_mode: 1
  - .args:
      - .offset:         0
        .size:           4
        .value_kind:     by_value
      - .offset:         4
        .size:           4
        .value_kind:     by_value
      - .address_space:  global
        .offset:         8
        .size:           8
        .value_kind:     global_buffer
      - .offset:         16
        .size:           4
        .value_kind:     by_value
      - .offset:         24
        .size:           8
        .value_kind:     by_value
      - .address_space:  global
        .offset:         32
        .size:           8
        .value_kind:     global_buffer
      - .offset:         40
        .size:           4
        .value_kind:     by_value
      - .offset:         48
        .size:           8
        .value_kind:     by_value
      - .address_space:  global
        .offset:         56
        .size:           8
        .value_kind:     global_buffer
      - .offset:         64
        .size:           4
        .value_kind:     by_value
      - .offset:         72
        .size:           8
        .value_kind:     by_value
      - .offset:         80
        .size:           4
        .value_kind:     by_value
    .group_segment_fixed_size: 4096
    .kernarg_segment_align: 8
    .kernarg_segment_size: 84
    .language:       OpenCL C
    .language_version:
      - 2
      - 0
    .max_flat_workgroup_size: 256
    .name:           _ZL37rocblas_syrkx_herkx_restricted_kernelIidLi16ELi32ELi8ELin1ELi0ELb0ELc84ELc76EKddEviT_PT9_S1_lS3_S1_lPT10_S1_li
    .private_segment_fixed_size: 0
    .sgpr_count:     22
    .sgpr_spill_count: 0
    .symbol:         _ZL37rocblas_syrkx_herkx_restricted_kernelIidLi16ELi32ELi8ELin1ELi0ELb0ELc84ELc76EKddEviT_PT9_S1_lS3_S1_lPT10_S1_li.kd
    .uniform_work_group_size: 1
    .uses_dynamic_stack: false
    .vgpr_count:     38
    .vgpr_spill_count: 0
    .wavefront_size: 32
    .workgroup_processor_mode: 1
  - .args:
      - .offset:         0
        .size:           4
        .value_kind:     by_value
      - .offset:         4
        .size:           4
        .value_kind:     by_value
      - .address_space:  global
        .offset:         8
        .size:           8
        .value_kind:     global_buffer
      - .offset:         16
        .size:           4
        .value_kind:     by_value
      - .offset:         24
        .size:           8
        .value_kind:     by_value
      - .address_space:  global
        .offset:         32
        .size:           8
        .value_kind:     global_buffer
      - .offset:         40
        .size:           4
        .value_kind:     by_value
      - .offset:         48
        .size:           8
        .value_kind:     by_value
      - .address_space:  global
        .offset:         56
        .size:           8
        .value_kind:     global_buffer
      - .offset:         64
        .size:           4
        .value_kind:     by_value
      - .offset:         72
        .size:           8
        .value_kind:     by_value
      - .offset:         80
        .size:           4
        .value_kind:     by_value
    .group_segment_fixed_size: 4096
    .kernarg_segment_align: 8
    .kernarg_segment_size: 84
    .language:       OpenCL C
    .language_version:
      - 2
      - 0
    .max_flat_workgroup_size: 256
    .name:           _ZL37rocblas_syrkx_herkx_restricted_kernelIidLi16ELi32ELi8ELin1ELi0ELb0ELc67ELc76EKddEviT_PT9_S1_lS3_S1_lPT10_S1_li
    .private_segment_fixed_size: 0
    .sgpr_count:     22
    .sgpr_spill_count: 0
    .symbol:         _ZL37rocblas_syrkx_herkx_restricted_kernelIidLi16ELi32ELi8ELin1ELi0ELb0ELc67ELc76EKddEviT_PT9_S1_lS3_S1_lPT10_S1_li.kd
    .uniform_work_group_size: 1
    .uses_dynamic_stack: false
    .vgpr_count:     38
    .vgpr_spill_count: 0
    .wavefront_size: 32
    .workgroup_processor_mode: 1
  - .args:
      - .offset:         0
        .size:           4
        .value_kind:     by_value
      - .offset:         4
        .size:           4
        .value_kind:     by_value
      - .address_space:  global
        .offset:         8
        .size:           8
        .value_kind:     global_buffer
      - .offset:         16
        .size:           4
        .value_kind:     by_value
      - .offset:         24
        .size:           8
        .value_kind:     by_value
      - .address_space:  global
        .offset:         32
        .size:           8
        .value_kind:     global_buffer
      - .offset:         40
        .size:           4
        .value_kind:     by_value
      - .offset:         48
        .size:           8
        .value_kind:     by_value
      - .address_space:  global
        .offset:         56
        .size:           8
        .value_kind:     global_buffer
      - .offset:         64
        .size:           4
        .value_kind:     by_value
      - .offset:         72
        .size:           8
        .value_kind:     by_value
      - .offset:         80
        .size:           4
        .value_kind:     by_value
    .group_segment_fixed_size: 4096
    .kernarg_segment_align: 8
    .kernarg_segment_size: 84
    .language:       OpenCL C
    .language_version:
      - 2
      - 0
    .max_flat_workgroup_size: 256
    .name:           _ZL37rocblas_syrkx_herkx_restricted_kernelIidLi16ELi32ELi8ELin1ELi0ELb0ELc78ELc76EKddEviT_PT9_S1_lS3_S1_lPT10_S1_li
    .private_segment_fixed_size: 0
    .sgpr_count:     25
    .sgpr_spill_count: 0
    .symbol:         _ZL37rocblas_syrkx_herkx_restricted_kernelIidLi16ELi32ELi8ELin1ELi0ELb0ELc78ELc76EKddEviT_PT9_S1_lS3_S1_lPT10_S1_li.kd
    .uniform_work_group_size: 1
    .uses_dynamic_stack: false
    .vgpr_count:     38
    .vgpr_spill_count: 0
    .wavefront_size: 32
    .workgroup_processor_mode: 1
  - .args:
      - .offset:         0
        .size:           4
        .value_kind:     by_value
      - .offset:         4
        .size:           4
        .value_kind:     by_value
      - .address_space:  global
        .offset:         8
        .size:           8
        .value_kind:     global_buffer
      - .offset:         16
        .size:           4
        .value_kind:     by_value
      - .offset:         24
        .size:           8
        .value_kind:     by_value
      - .address_space:  global
        .offset:         32
        .size:           8
        .value_kind:     global_buffer
      - .offset:         40
        .size:           4
        .value_kind:     by_value
      - .offset:         48
        .size:           8
        .value_kind:     by_value
      - .address_space:  global
        .offset:         56
        .size:           8
        .value_kind:     global_buffer
      - .offset:         64
        .size:           4
        .value_kind:     by_value
      - .offset:         72
        .size:           8
        .value_kind:     by_value
      - .offset:         80
        .size:           4
        .value_kind:     by_value
    .group_segment_fixed_size: 4096
    .kernarg_segment_align: 8
    .kernarg_segment_size: 84
    .language:       OpenCL C
    .language_version:
      - 2
      - 0
    .max_flat_workgroup_size: 256
    .name:           _ZL37rocblas_syrkx_herkx_restricted_kernelIidLi16ELi32ELi8ELin1ELi0ELb0ELc84ELc85EKddEviT_PT9_S1_lS3_S1_lPT10_S1_li
    .private_segment_fixed_size: 0
    .sgpr_count:     22
    .sgpr_spill_count: 0
    .symbol:         _ZL37rocblas_syrkx_herkx_restricted_kernelIidLi16ELi32ELi8ELin1ELi0ELb0ELc84ELc85EKddEviT_PT9_S1_lS3_S1_lPT10_S1_li.kd
    .uniform_work_group_size: 1
    .uses_dynamic_stack: false
    .vgpr_count:     38
    .vgpr_spill_count: 0
    .wavefront_size: 32
    .workgroup_processor_mode: 1
  - .args:
      - .offset:         0
        .size:           4
        .value_kind:     by_value
      - .offset:         4
        .size:           4
        .value_kind:     by_value
      - .address_space:  global
        .offset:         8
        .size:           8
        .value_kind:     global_buffer
      - .offset:         16
        .size:           4
        .value_kind:     by_value
      - .offset:         24
        .size:           8
        .value_kind:     by_value
      - .address_space:  global
        .offset:         32
        .size:           8
        .value_kind:     global_buffer
      - .offset:         40
        .size:           4
        .value_kind:     by_value
      - .offset:         48
        .size:           8
        .value_kind:     by_value
      - .address_space:  global
        .offset:         56
        .size:           8
        .value_kind:     global_buffer
      - .offset:         64
        .size:           4
        .value_kind:     by_value
      - .offset:         72
        .size:           8
        .value_kind:     by_value
      - .offset:         80
        .size:           4
        .value_kind:     by_value
    .group_segment_fixed_size: 4096
    .kernarg_segment_align: 8
    .kernarg_segment_size: 84
    .language:       OpenCL C
    .language_version:
      - 2
      - 0
    .max_flat_workgroup_size: 256
    .name:           _ZL37rocblas_syrkx_herkx_restricted_kernelIidLi16ELi32ELi8ELin1ELi0ELb0ELc67ELc85EKddEviT_PT9_S1_lS3_S1_lPT10_S1_li
    .private_segment_fixed_size: 0
    .sgpr_count:     22
    .sgpr_spill_count: 0
    .symbol:         _ZL37rocblas_syrkx_herkx_restricted_kernelIidLi16ELi32ELi8ELin1ELi0ELb0ELc67ELc85EKddEviT_PT9_S1_lS3_S1_lPT10_S1_li.kd
    .uniform_work_group_size: 1
    .uses_dynamic_stack: false
    .vgpr_count:     38
    .vgpr_spill_count: 0
    .wavefront_size: 32
    .workgroup_processor_mode: 1
  - .args:
      - .offset:         0
        .size:           4
        .value_kind:     by_value
      - .offset:         4
        .size:           4
        .value_kind:     by_value
      - .address_space:  global
        .offset:         8
        .size:           8
        .value_kind:     global_buffer
      - .offset:         16
        .size:           4
        .value_kind:     by_value
      - .offset:         24
        .size:           8
        .value_kind:     by_value
      - .address_space:  global
        .offset:         32
        .size:           8
        .value_kind:     global_buffer
      - .offset:         40
        .size:           4
        .value_kind:     by_value
      - .offset:         48
        .size:           8
        .value_kind:     by_value
      - .address_space:  global
        .offset:         56
        .size:           8
        .value_kind:     global_buffer
      - .offset:         64
        .size:           4
        .value_kind:     by_value
      - .offset:         72
        .size:           8
        .value_kind:     by_value
      - .offset:         80
        .size:           4
        .value_kind:     by_value
    .group_segment_fixed_size: 4096
    .kernarg_segment_align: 8
    .kernarg_segment_size: 84
    .language:       OpenCL C
    .language_version:
      - 2
      - 0
    .max_flat_workgroup_size: 256
    .name:           _ZL37rocblas_syrkx_herkx_restricted_kernelIidLi16ELi32ELi8ELin1ELi0ELb0ELc78ELc85EKddEviT_PT9_S1_lS3_S1_lPT10_S1_li
    .private_segment_fixed_size: 0
    .sgpr_count:     25
    .sgpr_spill_count: 0
    .symbol:         _ZL37rocblas_syrkx_herkx_restricted_kernelIidLi16ELi32ELi8ELin1ELi0ELb0ELc78ELc85EKddEviT_PT9_S1_lS3_S1_lPT10_S1_li.kd
    .uniform_work_group_size: 1
    .uses_dynamic_stack: false
    .vgpr_count:     38
    .vgpr_spill_count: 0
    .wavefront_size: 32
    .workgroup_processor_mode: 1
  - .args:
      - .offset:         0
        .size:           4
        .value_kind:     by_value
      - .offset:         4
        .size:           4
        .value_kind:     by_value
      - .offset:         8
        .size:           8
        .value_kind:     by_value
      - .address_space:  global
        .offset:         16
        .size:           8
        .value_kind:     global_buffer
      - .offset:         24
        .size:           4
        .value_kind:     by_value
      - .offset:         32
        .size:           8
        .value_kind:     by_value
      - .address_space:  global
        .offset:         40
        .size:           8
        .value_kind:     global_buffer
      - .offset:         48
        .size:           4
        .value_kind:     by_value
      - .offset:         56
        .size:           8
        .value_kind:     by_value
      - .offset:         64
        .size:           8
        .value_kind:     by_value
      - .address_space:  global
        .offset:         72
        .size:           8
        .value_kind:     global_buffer
      - .offset:         80
        .size:           4
        .value_kind:     by_value
      - .offset:         88
        .size:           8
        .value_kind:     by_value
      - .offset:         96
        .size:           4
        .value_kind:     by_value
    .group_segment_fixed_size: 4096
    .kernarg_segment_align: 8
    .kernarg_segment_size: 100
    .language:       OpenCL C
    .language_version:
      - 2
      - 0
    .max_flat_workgroup_size: 256
    .name:           _ZL37rocblas_syrkx_herkx_restricted_kernelIidLi16ELi32ELi8ELb1ELb0ELc84ELc76EKddEviT_T0_PT8_S1_lS4_S1_lS2_PT9_S1_li
    .private_segment_fixed_size: 0
    .sgpr_count:     22
    .sgpr_spill_count: 0
    .symbol:         _ZL37rocblas_syrkx_herkx_restricted_kernelIidLi16ELi32ELi8ELb1ELb0ELc84ELc76EKddEviT_T0_PT8_S1_lS4_S1_lS2_PT9_S1_li.kd
    .uniform_work_group_size: 1
    .uses_dynamic_stack: false
    .vgpr_count:     38
    .vgpr_spill_count: 0
    .wavefront_size: 32
    .workgroup_processor_mode: 1
  - .args:
      - .offset:         0
        .size:           4
        .value_kind:     by_value
      - .offset:         4
        .size:           4
        .value_kind:     by_value
      - .offset:         8
        .size:           8
        .value_kind:     by_value
      - .address_space:  global
        .offset:         16
        .size:           8
        .value_kind:     global_buffer
      - .offset:         24
        .size:           4
        .value_kind:     by_value
      - .offset:         32
        .size:           8
        .value_kind:     by_value
      - .address_space:  global
        .offset:         40
        .size:           8
        .value_kind:     global_buffer
      - .offset:         48
        .size:           4
        .value_kind:     by_value
      - .offset:         56
        .size:           8
        .value_kind:     by_value
      - .offset:         64
        .size:           8
        .value_kind:     by_value
      - .address_space:  global
        .offset:         72
        .size:           8
        .value_kind:     global_buffer
      - .offset:         80
        .size:           4
        .value_kind:     by_value
      - .offset:         88
        .size:           8
        .value_kind:     by_value
      - .offset:         96
        .size:           4
        .value_kind:     by_value
    .group_segment_fixed_size: 4096
    .kernarg_segment_align: 8
    .kernarg_segment_size: 100
    .language:       OpenCL C
    .language_version:
      - 2
      - 0
    .max_flat_workgroup_size: 256
    .name:           _ZL37rocblas_syrkx_herkx_restricted_kernelIidLi16ELi32ELi8ELb1ELb0ELc67ELc76EKddEviT_T0_PT8_S1_lS4_S1_lS2_PT9_S1_li
    .private_segment_fixed_size: 0
    .sgpr_count:     22
    .sgpr_spill_count: 0
    .symbol:         _ZL37rocblas_syrkx_herkx_restricted_kernelIidLi16ELi32ELi8ELb1ELb0ELc67ELc76EKddEviT_T0_PT8_S1_lS4_S1_lS2_PT9_S1_li.kd
    .uniform_work_group_size: 1
    .uses_dynamic_stack: false
    .vgpr_count:     38
    .vgpr_spill_count: 0
    .wavefront_size: 32
    .workgroup_processor_mode: 1
  - .args:
      - .offset:         0
        .size:           4
        .value_kind:     by_value
      - .offset:         4
        .size:           4
        .value_kind:     by_value
      - .offset:         8
        .size:           8
        .value_kind:     by_value
      - .address_space:  global
        .offset:         16
        .size:           8
        .value_kind:     global_buffer
      - .offset:         24
        .size:           4
        .value_kind:     by_value
      - .offset:         32
        .size:           8
        .value_kind:     by_value
      - .address_space:  global
        .offset:         40
        .size:           8
        .value_kind:     global_buffer
      - .offset:         48
        .size:           4
        .value_kind:     by_value
      - .offset:         56
        .size:           8
        .value_kind:     by_value
      - .offset:         64
        .size:           8
        .value_kind:     by_value
      - .address_space:  global
        .offset:         72
        .size:           8
        .value_kind:     global_buffer
      - .offset:         80
        .size:           4
        .value_kind:     by_value
      - .offset:         88
        .size:           8
        .value_kind:     by_value
      - .offset:         96
        .size:           4
        .value_kind:     by_value
    .group_segment_fixed_size: 4096
    .kernarg_segment_align: 8
    .kernarg_segment_size: 100
    .language:       OpenCL C
    .language_version:
      - 2
      - 0
    .max_flat_workgroup_size: 256
    .name:           _ZL37rocblas_syrkx_herkx_restricted_kernelIidLi16ELi32ELi8ELb1ELb0ELc78ELc76EKddEviT_T0_PT8_S1_lS4_S1_lS2_PT9_S1_li
    .private_segment_fixed_size: 0
    .sgpr_count:     24
    .sgpr_spill_count: 0
    .symbol:         _ZL37rocblas_syrkx_herkx_restricted_kernelIidLi16ELi32ELi8ELb1ELb0ELc78ELc76EKddEviT_T0_PT8_S1_lS4_S1_lS2_PT9_S1_li.kd
    .uniform_work_group_size: 1
    .uses_dynamic_stack: false
    .vgpr_count:     38
    .vgpr_spill_count: 0
    .wavefront_size: 32
    .workgroup_processor_mode: 1
  - .args:
      - .offset:         0
        .size:           4
        .value_kind:     by_value
      - .offset:         4
        .size:           4
        .value_kind:     by_value
      - .offset:         8
        .size:           8
        .value_kind:     by_value
      - .address_space:  global
        .offset:         16
        .size:           8
        .value_kind:     global_buffer
      - .offset:         24
        .size:           4
        .value_kind:     by_value
      - .offset:         32
        .size:           8
        .value_kind:     by_value
      - .address_space:  global
        .offset:         40
        .size:           8
        .value_kind:     global_buffer
      - .offset:         48
        .size:           4
        .value_kind:     by_value
      - .offset:         56
        .size:           8
        .value_kind:     by_value
      - .offset:         64
        .size:           8
        .value_kind:     by_value
      - .address_space:  global
        .offset:         72
        .size:           8
        .value_kind:     global_buffer
      - .offset:         80
        .size:           4
        .value_kind:     by_value
      - .offset:         88
        .size:           8
        .value_kind:     by_value
      - .offset:         96
        .size:           4
        .value_kind:     by_value
    .group_segment_fixed_size: 4096
    .kernarg_segment_align: 8
    .kernarg_segment_size: 100
    .language:       OpenCL C
    .language_version:
      - 2
      - 0
    .max_flat_workgroup_size: 256
    .name:           _ZL37rocblas_syrkx_herkx_restricted_kernelIidLi16ELi32ELi8ELb1ELb0ELc84ELc85EKddEviT_T0_PT8_S1_lS4_S1_lS2_PT9_S1_li
    .private_segment_fixed_size: 0
    .sgpr_count:     22
    .sgpr_spill_count: 0
    .symbol:         _ZL37rocblas_syrkx_herkx_restricted_kernelIidLi16ELi32ELi8ELb1ELb0ELc84ELc85EKddEviT_T0_PT8_S1_lS4_S1_lS2_PT9_S1_li.kd
    .uniform_work_group_size: 1
    .uses_dynamic_stack: false
    .vgpr_count:     38
    .vgpr_spill_count: 0
    .wavefront_size: 32
    .workgroup_processor_mode: 1
  - .args:
      - .offset:         0
        .size:           4
        .value_kind:     by_value
      - .offset:         4
        .size:           4
        .value_kind:     by_value
      - .offset:         8
        .size:           8
        .value_kind:     by_value
      - .address_space:  global
        .offset:         16
        .size:           8
        .value_kind:     global_buffer
      - .offset:         24
        .size:           4
        .value_kind:     by_value
      - .offset:         32
        .size:           8
        .value_kind:     by_value
      - .address_space:  global
        .offset:         40
        .size:           8
        .value_kind:     global_buffer
      - .offset:         48
        .size:           4
        .value_kind:     by_value
      - .offset:         56
        .size:           8
        .value_kind:     by_value
      - .offset:         64
        .size:           8
        .value_kind:     by_value
      - .address_space:  global
        .offset:         72
        .size:           8
        .value_kind:     global_buffer
      - .offset:         80
        .size:           4
        .value_kind:     by_value
      - .offset:         88
        .size:           8
        .value_kind:     by_value
      - .offset:         96
        .size:           4
        .value_kind:     by_value
    .group_segment_fixed_size: 4096
    .kernarg_segment_align: 8
    .kernarg_segment_size: 100
    .language:       OpenCL C
    .language_version:
      - 2
      - 0
    .max_flat_workgroup_size: 256
    .name:           _ZL37rocblas_syrkx_herkx_restricted_kernelIidLi16ELi32ELi8ELb1ELb0ELc67ELc85EKddEviT_T0_PT8_S1_lS4_S1_lS2_PT9_S1_li
    .private_segment_fixed_size: 0
    .sgpr_count:     22
    .sgpr_spill_count: 0
    .symbol:         _ZL37rocblas_syrkx_herkx_restricted_kernelIidLi16ELi32ELi8ELb1ELb0ELc67ELc85EKddEviT_T0_PT8_S1_lS4_S1_lS2_PT9_S1_li.kd
    .uniform_work_group_size: 1
    .uses_dynamic_stack: false
    .vgpr_count:     38
    .vgpr_spill_count: 0
    .wavefront_size: 32
    .workgroup_processor_mode: 1
  - .args:
      - .offset:         0
        .size:           4
        .value_kind:     by_value
      - .offset:         4
        .size:           4
        .value_kind:     by_value
      - .offset:         8
        .size:           8
        .value_kind:     by_value
      - .address_space:  global
        .offset:         16
        .size:           8
        .value_kind:     global_buffer
      - .offset:         24
        .size:           4
        .value_kind:     by_value
      - .offset:         32
        .size:           8
        .value_kind:     by_value
      - .address_space:  global
        .offset:         40
        .size:           8
        .value_kind:     global_buffer
      - .offset:         48
        .size:           4
        .value_kind:     by_value
      - .offset:         56
        .size:           8
        .value_kind:     by_value
      - .offset:         64
        .size:           8
        .value_kind:     by_value
      - .address_space:  global
        .offset:         72
        .size:           8
        .value_kind:     global_buffer
      - .offset:         80
        .size:           4
        .value_kind:     by_value
      - .offset:         88
        .size:           8
        .value_kind:     by_value
      - .offset:         96
        .size:           4
        .value_kind:     by_value
    .group_segment_fixed_size: 4096
    .kernarg_segment_align: 8
    .kernarg_segment_size: 100
    .language:       OpenCL C
    .language_version:
      - 2
      - 0
    .max_flat_workgroup_size: 256
    .name:           _ZL37rocblas_syrkx_herkx_restricted_kernelIidLi16ELi32ELi8ELb1ELb0ELc78ELc85EKddEviT_T0_PT8_S1_lS4_S1_lS2_PT9_S1_li
    .private_segment_fixed_size: 0
    .sgpr_count:     24
    .sgpr_spill_count: 0
    .symbol:         _ZL37rocblas_syrkx_herkx_restricted_kernelIidLi16ELi32ELi8ELb1ELb0ELc78ELc85EKddEviT_T0_PT8_S1_lS4_S1_lS2_PT9_S1_li.kd
    .uniform_work_group_size: 1
    .uses_dynamic_stack: false
    .vgpr_count:     38
    .vgpr_spill_count: 0
    .wavefront_size: 32
    .workgroup_processor_mode: 1
  - .args:
      - .offset:         0
        .size:           4
        .value_kind:     by_value
      - .offset:         4
        .size:           4
        .value_kind:     by_value
      - .offset:         8
        .size:           8
        .value_kind:     by_value
      - .address_space:  global
        .offset:         16
        .size:           8
        .value_kind:     global_buffer
      - .offset:         24
        .size:           4
        .value_kind:     by_value
      - .offset:         32
        .size:           8
        .value_kind:     by_value
      - .address_space:  global
        .offset:         40
        .size:           8
        .value_kind:     global_buffer
      - .offset:         48
        .size:           4
        .value_kind:     by_value
      - .offset:         56
        .size:           8
        .value_kind:     by_value
      - .offset:         64
        .size:           8
        .value_kind:     by_value
      - .address_space:  global
        .offset:         72
        .size:           8
        .value_kind:     global_buffer
      - .offset:         80
        .size:           4
        .value_kind:     by_value
      - .offset:         88
        .size:           8
        .value_kind:     by_value
      - .offset:         96
        .size:           4
        .value_kind:     by_value
    .group_segment_fixed_size: 4096
    .kernarg_segment_align: 8
    .kernarg_segment_size: 100
    .language:       OpenCL C
    .language_version:
      - 2
      - 0
    .max_flat_workgroup_size: 256
    .name:           _ZL37rocblas_syrkx_herkx_restricted_kernelIidLi16ELi32ELi8ELb0ELb0ELc84ELc76EKddEviT_T0_PT8_S1_lS4_S1_lS2_PT9_S1_li
    .private_segment_fixed_size: 0
    .sgpr_count:     27
    .sgpr_spill_count: 0
    .symbol:         _ZL37rocblas_syrkx_herkx_restricted_kernelIidLi16ELi32ELi8ELb0ELb0ELc84ELc76EKddEviT_T0_PT8_S1_lS4_S1_lS2_PT9_S1_li.kd
    .uniform_work_group_size: 1
    .uses_dynamic_stack: false
    .vgpr_count:     38
    .vgpr_spill_count: 0
    .wavefront_size: 32
    .workgroup_processor_mode: 1
  - .args:
      - .offset:         0
        .size:           4
        .value_kind:     by_value
      - .offset:         4
        .size:           4
        .value_kind:     by_value
      - .offset:         8
        .size:           8
        .value_kind:     by_value
      - .address_space:  global
        .offset:         16
        .size:           8
        .value_kind:     global_buffer
      - .offset:         24
        .size:           4
        .value_kind:     by_value
      - .offset:         32
        .size:           8
        .value_kind:     by_value
      - .address_space:  global
        .offset:         40
        .size:           8
        .value_kind:     global_buffer
      - .offset:         48
        .size:           4
        .value_kind:     by_value
      - .offset:         56
        .size:           8
        .value_kind:     by_value
      - .offset:         64
        .size:           8
        .value_kind:     by_value
      - .address_space:  global
        .offset:         72
        .size:           8
        .value_kind:     global_buffer
      - .offset:         80
        .size:           4
        .value_kind:     by_value
      - .offset:         88
        .size:           8
        .value_kind:     by_value
      - .offset:         96
        .size:           4
        .value_kind:     by_value
    .group_segment_fixed_size: 4096
    .kernarg_segment_align: 8
    .kernarg_segment_size: 100
    .language:       OpenCL C
    .language_version:
      - 2
      - 0
    .max_flat_workgroup_size: 256
    .name:           _ZL37rocblas_syrkx_herkx_restricted_kernelIidLi16ELi32ELi8ELb0ELb0ELc67ELc76EKddEviT_T0_PT8_S1_lS4_S1_lS2_PT9_S1_li
    .private_segment_fixed_size: 0
    .sgpr_count:     27
    .sgpr_spill_count: 0
    .symbol:         _ZL37rocblas_syrkx_herkx_restricted_kernelIidLi16ELi32ELi8ELb0ELb0ELc67ELc76EKddEviT_T0_PT8_S1_lS4_S1_lS2_PT9_S1_li.kd
    .uniform_work_group_size: 1
    .uses_dynamic_stack: false
    .vgpr_count:     38
    .vgpr_spill_count: 0
    .wavefront_size: 32
    .workgroup_processor_mode: 1
  - .args:
      - .offset:         0
        .size:           4
        .value_kind:     by_value
      - .offset:         4
        .size:           4
        .value_kind:     by_value
      - .offset:         8
        .size:           8
        .value_kind:     by_value
      - .address_space:  global
        .offset:         16
        .size:           8
        .value_kind:     global_buffer
      - .offset:         24
        .size:           4
        .value_kind:     by_value
      - .offset:         32
        .size:           8
        .value_kind:     by_value
      - .address_space:  global
        .offset:         40
        .size:           8
        .value_kind:     global_buffer
      - .offset:         48
        .size:           4
        .value_kind:     by_value
      - .offset:         56
        .size:           8
        .value_kind:     by_value
      - .offset:         64
        .size:           8
        .value_kind:     by_value
      - .address_space:  global
        .offset:         72
        .size:           8
        .value_kind:     global_buffer
      - .offset:         80
        .size:           4
        .value_kind:     by_value
      - .offset:         88
        .size:           8
        .value_kind:     by_value
      - .offset:         96
        .size:           4
        .value_kind:     by_value
    .group_segment_fixed_size: 4096
    .kernarg_segment_align: 8
    .kernarg_segment_size: 100
    .language:       OpenCL C
    .language_version:
      - 2
      - 0
    .max_flat_workgroup_size: 256
    .name:           _ZL37rocblas_syrkx_herkx_restricted_kernelIidLi16ELi32ELi8ELb0ELb0ELc78ELc76EKddEviT_T0_PT8_S1_lS4_S1_lS2_PT9_S1_li
    .private_segment_fixed_size: 0
    .sgpr_count:     28
    .sgpr_spill_count: 0
    .symbol:         _ZL37rocblas_syrkx_herkx_restricted_kernelIidLi16ELi32ELi8ELb0ELb0ELc78ELc76EKddEviT_T0_PT8_S1_lS4_S1_lS2_PT9_S1_li.kd
    .uniform_work_group_size: 1
    .uses_dynamic_stack: false
    .vgpr_count:     38
    .vgpr_spill_count: 0
    .wavefront_size: 32
    .workgroup_processor_mode: 1
  - .args:
      - .offset:         0
        .size:           4
        .value_kind:     by_value
      - .offset:         4
        .size:           4
        .value_kind:     by_value
      - .offset:         8
        .size:           8
        .value_kind:     by_value
      - .address_space:  global
        .offset:         16
        .size:           8
        .value_kind:     global_buffer
      - .offset:         24
        .size:           4
        .value_kind:     by_value
      - .offset:         32
        .size:           8
        .value_kind:     by_value
      - .address_space:  global
        .offset:         40
        .size:           8
        .value_kind:     global_buffer
      - .offset:         48
        .size:           4
        .value_kind:     by_value
      - .offset:         56
        .size:           8
        .value_kind:     by_value
      - .offset:         64
        .size:           8
        .value_kind:     by_value
      - .address_space:  global
        .offset:         72
        .size:           8
        .value_kind:     global_buffer
      - .offset:         80
        .size:           4
        .value_kind:     by_value
      - .offset:         88
        .size:           8
        .value_kind:     by_value
      - .offset:         96
        .size:           4
        .value_kind:     by_value
    .group_segment_fixed_size: 4096
    .kernarg_segment_align: 8
    .kernarg_segment_size: 100
    .language:       OpenCL C
    .language_version:
      - 2
      - 0
    .max_flat_workgroup_size: 256
    .name:           _ZL37rocblas_syrkx_herkx_restricted_kernelIidLi16ELi32ELi8ELb0ELb0ELc84ELc85EKddEviT_T0_PT8_S1_lS4_S1_lS2_PT9_S1_li
    .private_segment_fixed_size: 0
    .sgpr_count:     27
    .sgpr_spill_count: 0
    .symbol:         _ZL37rocblas_syrkx_herkx_restricted_kernelIidLi16ELi32ELi8ELb0ELb0ELc84ELc85EKddEviT_T0_PT8_S1_lS4_S1_lS2_PT9_S1_li.kd
    .uniform_work_group_size: 1
    .uses_dynamic_stack: false
    .vgpr_count:     38
    .vgpr_spill_count: 0
    .wavefront_size: 32
    .workgroup_processor_mode: 1
  - .args:
      - .offset:         0
        .size:           4
        .value_kind:     by_value
      - .offset:         4
        .size:           4
        .value_kind:     by_value
      - .offset:         8
        .size:           8
        .value_kind:     by_value
      - .address_space:  global
        .offset:         16
        .size:           8
        .value_kind:     global_buffer
      - .offset:         24
        .size:           4
        .value_kind:     by_value
      - .offset:         32
        .size:           8
        .value_kind:     by_value
      - .address_space:  global
        .offset:         40
        .size:           8
        .value_kind:     global_buffer
      - .offset:         48
        .size:           4
        .value_kind:     by_value
      - .offset:         56
        .size:           8
        .value_kind:     by_value
      - .offset:         64
        .size:           8
        .value_kind:     by_value
      - .address_space:  global
        .offset:         72
        .size:           8
        .value_kind:     global_buffer
      - .offset:         80
        .size:           4
        .value_kind:     by_value
      - .offset:         88
        .size:           8
        .value_kind:     by_value
      - .offset:         96
        .size:           4
        .value_kind:     by_value
    .group_segment_fixed_size: 4096
    .kernarg_segment_align: 8
    .kernarg_segment_size: 100
    .language:       OpenCL C
    .language_version:
      - 2
      - 0
    .max_flat_workgroup_size: 256
    .name:           _ZL37rocblas_syrkx_herkx_restricted_kernelIidLi16ELi32ELi8ELb0ELb0ELc67ELc85EKddEviT_T0_PT8_S1_lS4_S1_lS2_PT9_S1_li
    .private_segment_fixed_size: 0
    .sgpr_count:     27
    .sgpr_spill_count: 0
    .symbol:         _ZL37rocblas_syrkx_herkx_restricted_kernelIidLi16ELi32ELi8ELb0ELb0ELc67ELc85EKddEviT_T0_PT8_S1_lS4_S1_lS2_PT9_S1_li.kd
    .uniform_work_group_size: 1
    .uses_dynamic_stack: false
    .vgpr_count:     38
    .vgpr_spill_count: 0
    .wavefront_size: 32
    .workgroup_processor_mode: 1
  - .args:
      - .offset:         0
        .size:           4
        .value_kind:     by_value
      - .offset:         4
        .size:           4
        .value_kind:     by_value
      - .offset:         8
        .size:           8
        .value_kind:     by_value
      - .address_space:  global
        .offset:         16
        .size:           8
        .value_kind:     global_buffer
      - .offset:         24
        .size:           4
        .value_kind:     by_value
      - .offset:         32
        .size:           8
        .value_kind:     by_value
      - .address_space:  global
        .offset:         40
        .size:           8
        .value_kind:     global_buffer
      - .offset:         48
        .size:           4
        .value_kind:     by_value
      - .offset:         56
        .size:           8
        .value_kind:     by_value
      - .offset:         64
        .size:           8
        .value_kind:     by_value
      - .address_space:  global
        .offset:         72
        .size:           8
        .value_kind:     global_buffer
      - .offset:         80
        .size:           4
        .value_kind:     by_value
      - .offset:         88
        .size:           8
        .value_kind:     by_value
      - .offset:         96
        .size:           4
        .value_kind:     by_value
    .group_segment_fixed_size: 4096
    .kernarg_segment_align: 8
    .kernarg_segment_size: 100
    .language:       OpenCL C
    .language_version:
      - 2
      - 0
    .max_flat_workgroup_size: 256
    .name:           _ZL37rocblas_syrkx_herkx_restricted_kernelIidLi16ELi32ELi8ELb0ELb0ELc78ELc85EKddEviT_T0_PT8_S1_lS4_S1_lS2_PT9_S1_li
    .private_segment_fixed_size: 0
    .sgpr_count:     28
    .sgpr_spill_count: 0
    .symbol:         _ZL37rocblas_syrkx_herkx_restricted_kernelIidLi16ELi32ELi8ELb0ELb0ELc78ELc85EKddEviT_T0_PT8_S1_lS4_S1_lS2_PT9_S1_li.kd
    .uniform_work_group_size: 1
    .uses_dynamic_stack: false
    .vgpr_count:     38
    .vgpr_spill_count: 0
    .wavefront_size: 32
    .workgroup_processor_mode: 1
  - .args:
      - .offset:         0
        .size:           4
        .value_kind:     by_value
      - .offset:         4
        .size:           4
        .value_kind:     by_value
      - .offset:         8
        .size:           8
        .value_kind:     by_value
      - .address_space:  global
        .offset:         16
        .size:           8
        .value_kind:     global_buffer
      - .offset:         24
        .size:           4
        .value_kind:     by_value
      - .offset:         32
        .size:           8
        .value_kind:     by_value
      - .address_space:  global
        .offset:         40
        .size:           8
        .value_kind:     global_buffer
      - .offset:         48
        .size:           4
        .value_kind:     by_value
      - .offset:         56
        .size:           8
        .value_kind:     by_value
      - .offset:         64
        .size:           8
        .value_kind:     by_value
      - .address_space:  global
        .offset:         72
        .size:           8
        .value_kind:     global_buffer
      - .offset:         80
        .size:           4
        .value_kind:     by_value
      - .offset:         88
        .size:           8
        .value_kind:     by_value
      - .offset:         96
        .size:           4
        .value_kind:     by_value
    .group_segment_fixed_size: 4096
    .kernarg_segment_align: 8
    .kernarg_segment_size: 100
    .language:       OpenCL C
    .language_version:
      - 2
      - 0
    .max_flat_workgroup_size: 256
    .name:           _ZL41rocblas_syrkx_herkx_small_restrict_kernelIidLi16ELb1ELb0ELc84ELc76EKddEviT_T0_PT6_S1_lS4_S1_lS2_PT7_S1_li
    .private_segment_fixed_size: 0
    .sgpr_count:     19
    .sgpr_spill_count: 0
    .symbol:         _ZL41rocblas_syrkx_herkx_small_restrict_kernelIidLi16ELb1ELb0ELc84ELc76EKddEviT_T0_PT6_S1_lS4_S1_lS2_PT7_S1_li.kd
    .uniform_work_group_size: 1
    .uses_dynamic_stack: false
    .vgpr_count:     24
    .vgpr_spill_count: 0
    .wavefront_size: 32
    .workgroup_processor_mode: 1
  - .args:
      - .offset:         0
        .size:           4
        .value_kind:     by_value
      - .offset:         4
        .size:           4
        .value_kind:     by_value
      - .offset:         8
        .size:           8
        .value_kind:     by_value
      - .address_space:  global
        .offset:         16
        .size:           8
        .value_kind:     global_buffer
      - .offset:         24
        .size:           4
        .value_kind:     by_value
      - .offset:         32
        .size:           8
        .value_kind:     by_value
      - .address_space:  global
        .offset:         40
        .size:           8
        .value_kind:     global_buffer
      - .offset:         48
        .size:           4
        .value_kind:     by_value
      - .offset:         56
        .size:           8
        .value_kind:     by_value
      - .offset:         64
        .size:           8
        .value_kind:     by_value
      - .address_space:  global
        .offset:         72
        .size:           8
        .value_kind:     global_buffer
      - .offset:         80
        .size:           4
        .value_kind:     by_value
      - .offset:         88
        .size:           8
        .value_kind:     by_value
      - .offset:         96
        .size:           4
        .value_kind:     by_value
    .group_segment_fixed_size: 4096
    .kernarg_segment_align: 8
    .kernarg_segment_size: 100
    .language:       OpenCL C
    .language_version:
      - 2
      - 0
    .max_flat_workgroup_size: 256
    .name:           _ZL41rocblas_syrkx_herkx_small_restrict_kernelIidLi16ELb1ELb0ELc67ELc76EKddEviT_T0_PT6_S1_lS4_S1_lS2_PT7_S1_li
    .private_segment_fixed_size: 0
    .sgpr_count:     19
    .sgpr_spill_count: 0
    .symbol:         _ZL41rocblas_syrkx_herkx_small_restrict_kernelIidLi16ELb1ELb0ELc67ELc76EKddEviT_T0_PT6_S1_lS4_S1_lS2_PT7_S1_li.kd
    .uniform_work_group_size: 1
    .uses_dynamic_stack: false
    .vgpr_count:     24
    .vgpr_spill_count: 0
    .wavefront_size: 32
    .workgroup_processor_mode: 1
  - .args:
      - .offset:         0
        .size:           4
        .value_kind:     by_value
      - .offset:         4
        .size:           4
        .value_kind:     by_value
      - .offset:         8
        .size:           8
        .value_kind:     by_value
      - .address_space:  global
        .offset:         16
        .size:           8
        .value_kind:     global_buffer
      - .offset:         24
        .size:           4
        .value_kind:     by_value
      - .offset:         32
        .size:           8
        .value_kind:     by_value
      - .address_space:  global
        .offset:         40
        .size:           8
        .value_kind:     global_buffer
      - .offset:         48
        .size:           4
        .value_kind:     by_value
      - .offset:         56
        .size:           8
        .value_kind:     by_value
      - .offset:         64
        .size:           8
        .value_kind:     by_value
      - .address_space:  global
        .offset:         72
        .size:           8
        .value_kind:     global_buffer
      - .offset:         80
        .size:           4
        .value_kind:     by_value
      - .offset:         88
        .size:           8
        .value_kind:     by_value
      - .offset:         96
        .size:           4
        .value_kind:     by_value
    .group_segment_fixed_size: 4096
    .kernarg_segment_align: 8
    .kernarg_segment_size: 100
    .language:       OpenCL C
    .language_version:
      - 2
      - 0
    .max_flat_workgroup_size: 256
    .name:           _ZL41rocblas_syrkx_herkx_small_restrict_kernelIidLi16ELb1ELb0ELc78ELc76EKddEviT_T0_PT6_S1_lS4_S1_lS2_PT7_S1_li
    .private_segment_fixed_size: 0
    .sgpr_count:     22
    .sgpr_spill_count: 0
    .symbol:         _ZL41rocblas_syrkx_herkx_small_restrict_kernelIidLi16ELb1ELb0ELc78ELc76EKddEviT_T0_PT6_S1_lS4_S1_lS2_PT7_S1_li.kd
    .uniform_work_group_size: 1
    .uses_dynamic_stack: false
    .vgpr_count:     25
    .vgpr_spill_count: 0
    .wavefront_size: 32
    .workgroup_processor_mode: 1
  - .args:
      - .offset:         0
        .size:           4
        .value_kind:     by_value
      - .offset:         4
        .size:           4
        .value_kind:     by_value
      - .offset:         8
        .size:           8
        .value_kind:     by_value
      - .address_space:  global
        .offset:         16
        .size:           8
        .value_kind:     global_buffer
      - .offset:         24
        .size:           4
        .value_kind:     by_value
      - .offset:         32
        .size:           8
        .value_kind:     by_value
      - .address_space:  global
        .offset:         40
        .size:           8
        .value_kind:     global_buffer
      - .offset:         48
        .size:           4
        .value_kind:     by_value
      - .offset:         56
        .size:           8
        .value_kind:     by_value
      - .offset:         64
        .size:           8
        .value_kind:     by_value
      - .address_space:  global
        .offset:         72
        .size:           8
        .value_kind:     global_buffer
      - .offset:         80
        .size:           4
        .value_kind:     by_value
      - .offset:         88
        .size:           8
        .value_kind:     by_value
      - .offset:         96
        .size:           4
        .value_kind:     by_value
    .group_segment_fixed_size: 4096
    .kernarg_segment_align: 8
    .kernarg_segment_size: 100
    .language:       OpenCL C
    .language_version:
      - 2
      - 0
    .max_flat_workgroup_size: 256
    .name:           _ZL41rocblas_syrkx_herkx_small_restrict_kernelIidLi16ELb1ELb0ELc84ELc85EKddEviT_T0_PT6_S1_lS4_S1_lS2_PT7_S1_li
    .private_segment_fixed_size: 0
    .sgpr_count:     19
    .sgpr_spill_count: 0
    .symbol:         _ZL41rocblas_syrkx_herkx_small_restrict_kernelIidLi16ELb1ELb0ELc84ELc85EKddEviT_T0_PT6_S1_lS4_S1_lS2_PT7_S1_li.kd
    .uniform_work_group_size: 1
    .uses_dynamic_stack: false
    .vgpr_count:     24
    .vgpr_spill_count: 0
    .wavefront_size: 32
    .workgroup_processor_mode: 1
  - .args:
      - .offset:         0
        .size:           4
        .value_kind:     by_value
      - .offset:         4
        .size:           4
        .value_kind:     by_value
      - .offset:         8
        .size:           8
        .value_kind:     by_value
      - .address_space:  global
        .offset:         16
        .size:           8
        .value_kind:     global_buffer
      - .offset:         24
        .size:           4
        .value_kind:     by_value
      - .offset:         32
        .size:           8
        .value_kind:     by_value
      - .address_space:  global
        .offset:         40
        .size:           8
        .value_kind:     global_buffer
      - .offset:         48
        .size:           4
        .value_kind:     by_value
      - .offset:         56
        .size:           8
        .value_kind:     by_value
      - .offset:         64
        .size:           8
        .value_kind:     by_value
      - .address_space:  global
        .offset:         72
        .size:           8
        .value_kind:     global_buffer
      - .offset:         80
        .size:           4
        .value_kind:     by_value
      - .offset:         88
        .size:           8
        .value_kind:     by_value
      - .offset:         96
        .size:           4
        .value_kind:     by_value
    .group_segment_fixed_size: 4096
    .kernarg_segment_align: 8
    .kernarg_segment_size: 100
    .language:       OpenCL C
    .language_version:
      - 2
      - 0
    .max_flat_workgroup_size: 256
    .name:           _ZL41rocblas_syrkx_herkx_small_restrict_kernelIidLi16ELb1ELb0ELc67ELc85EKddEviT_T0_PT6_S1_lS4_S1_lS2_PT7_S1_li
    .private_segment_fixed_size: 0
    .sgpr_count:     19
    .sgpr_spill_count: 0
    .symbol:         _ZL41rocblas_syrkx_herkx_small_restrict_kernelIidLi16ELb1ELb0ELc67ELc85EKddEviT_T0_PT6_S1_lS4_S1_lS2_PT7_S1_li.kd
    .uniform_work_group_size: 1
    .uses_dynamic_stack: false
    .vgpr_count:     24
    .vgpr_spill_count: 0
    .wavefront_size: 32
    .workgroup_processor_mode: 1
  - .args:
      - .offset:         0
        .size:           4
        .value_kind:     by_value
      - .offset:         4
        .size:           4
        .value_kind:     by_value
      - .offset:         8
        .size:           8
        .value_kind:     by_value
      - .address_space:  global
        .offset:         16
        .size:           8
        .value_kind:     global_buffer
      - .offset:         24
        .size:           4
        .value_kind:     by_value
      - .offset:         32
        .size:           8
        .value_kind:     by_value
      - .address_space:  global
        .offset:         40
        .size:           8
        .value_kind:     global_buffer
      - .offset:         48
        .size:           4
        .value_kind:     by_value
      - .offset:         56
        .size:           8
        .value_kind:     by_value
      - .offset:         64
        .size:           8
        .value_kind:     by_value
      - .address_space:  global
        .offset:         72
        .size:           8
        .value_kind:     global_buffer
      - .offset:         80
        .size:           4
        .value_kind:     by_value
      - .offset:         88
        .size:           8
        .value_kind:     by_value
      - .offset:         96
        .size:           4
        .value_kind:     by_value
    .group_segment_fixed_size: 4096
    .kernarg_segment_align: 8
    .kernarg_segment_size: 100
    .language:       OpenCL C
    .language_version:
      - 2
      - 0
    .max_flat_workgroup_size: 256
    .name:           _ZL41rocblas_syrkx_herkx_small_restrict_kernelIidLi16ELb1ELb0ELc78ELc85EKddEviT_T0_PT6_S1_lS4_S1_lS2_PT7_S1_li
    .private_segment_fixed_size: 0
    .sgpr_count:     22
    .sgpr_spill_count: 0
    .symbol:         _ZL41rocblas_syrkx_herkx_small_restrict_kernelIidLi16ELb1ELb0ELc78ELc85EKddEviT_T0_PT6_S1_lS4_S1_lS2_PT7_S1_li.kd
    .uniform_work_group_size: 1
    .uses_dynamic_stack: false
    .vgpr_count:     25
    .vgpr_spill_count: 0
    .wavefront_size: 32
    .workgroup_processor_mode: 1
  - .args:
      - .offset:         0
        .size:           4
        .value_kind:     by_value
      - .offset:         4
        .size:           4
        .value_kind:     by_value
      - .offset:         8
        .size:           8
        .value_kind:     by_value
      - .address_space:  global
        .offset:         16
        .size:           8
        .value_kind:     global_buffer
      - .offset:         24
        .size:           4
        .value_kind:     by_value
      - .offset:         32
        .size:           8
        .value_kind:     by_value
      - .address_space:  global
        .offset:         40
        .size:           8
        .value_kind:     global_buffer
      - .offset:         48
        .size:           4
        .value_kind:     by_value
      - .offset:         56
        .size:           8
        .value_kind:     by_value
      - .offset:         64
        .size:           8
        .value_kind:     by_value
      - .address_space:  global
        .offset:         72
        .size:           8
        .value_kind:     global_buffer
      - .offset:         80
        .size:           4
        .value_kind:     by_value
      - .offset:         88
        .size:           8
        .value_kind:     by_value
      - .offset:         96
        .size:           4
        .value_kind:     by_value
    .group_segment_fixed_size: 4096
    .kernarg_segment_align: 8
    .kernarg_segment_size: 100
    .language:       OpenCL C
    .language_version:
      - 2
      - 0
    .max_flat_workgroup_size: 256
    .name:           _ZL41rocblas_syrkx_herkx_small_restrict_kernelIidLi16ELb0ELb0ELc84ELc76EKddEviT_T0_PT6_S1_lS4_S1_lS2_PT7_S1_li
    .private_segment_fixed_size: 0
    .sgpr_count:     24
    .sgpr_spill_count: 0
    .symbol:         _ZL41rocblas_syrkx_herkx_small_restrict_kernelIidLi16ELb0ELb0ELc84ELc76EKddEviT_T0_PT6_S1_lS4_S1_lS2_PT7_S1_li.kd
    .uniform_work_group_size: 1
    .uses_dynamic_stack: false
    .vgpr_count:     24
    .vgpr_spill_count: 0
    .wavefront_size: 32
    .workgroup_processor_mode: 1
  - .args:
      - .offset:         0
        .size:           4
        .value_kind:     by_value
      - .offset:         4
        .size:           4
        .value_kind:     by_value
      - .offset:         8
        .size:           8
        .value_kind:     by_value
      - .address_space:  global
        .offset:         16
        .size:           8
        .value_kind:     global_buffer
      - .offset:         24
        .size:           4
        .value_kind:     by_value
      - .offset:         32
        .size:           8
        .value_kind:     by_value
      - .address_space:  global
        .offset:         40
        .size:           8
        .value_kind:     global_buffer
      - .offset:         48
        .size:           4
        .value_kind:     by_value
      - .offset:         56
        .size:           8
        .value_kind:     by_value
      - .offset:         64
        .size:           8
        .value_kind:     by_value
      - .address_space:  global
        .offset:         72
        .size:           8
        .value_kind:     global_buffer
      - .offset:         80
        .size:           4
        .value_kind:     by_value
      - .offset:         88
        .size:           8
        .value_kind:     by_value
      - .offset:         96
        .size:           4
        .value_kind:     by_value
    .group_segment_fixed_size: 4096
    .kernarg_segment_align: 8
    .kernarg_segment_size: 100
    .language:       OpenCL C
    .language_version:
      - 2
      - 0
    .max_flat_workgroup_size: 256
    .name:           _ZL41rocblas_syrkx_herkx_small_restrict_kernelIidLi16ELb0ELb0ELc67ELc76EKddEviT_T0_PT6_S1_lS4_S1_lS2_PT7_S1_li
    .private_segment_fixed_size: 0
    .sgpr_count:     24
    .sgpr_spill_count: 0
    .symbol:         _ZL41rocblas_syrkx_herkx_small_restrict_kernelIidLi16ELb0ELb0ELc67ELc76EKddEviT_T0_PT6_S1_lS4_S1_lS2_PT7_S1_li.kd
    .uniform_work_group_size: 1
    .uses_dynamic_stack: false
    .vgpr_count:     24
    .vgpr_spill_count: 0
    .wavefront_size: 32
    .workgroup_processor_mode: 1
  - .args:
      - .offset:         0
        .size:           4
        .value_kind:     by_value
      - .offset:         4
        .size:           4
        .value_kind:     by_value
      - .offset:         8
        .size:           8
        .value_kind:     by_value
      - .address_space:  global
        .offset:         16
        .size:           8
        .value_kind:     global_buffer
      - .offset:         24
        .size:           4
        .value_kind:     by_value
      - .offset:         32
        .size:           8
        .value_kind:     by_value
      - .address_space:  global
        .offset:         40
        .size:           8
        .value_kind:     global_buffer
      - .offset:         48
        .size:           4
        .value_kind:     by_value
      - .offset:         56
        .size:           8
        .value_kind:     by_value
      - .offset:         64
        .size:           8
        .value_kind:     by_value
      - .address_space:  global
        .offset:         72
        .size:           8
        .value_kind:     global_buffer
      - .offset:         80
        .size:           4
        .value_kind:     by_value
      - .offset:         88
        .size:           8
        .value_kind:     by_value
      - .offset:         96
        .size:           4
        .value_kind:     by_value
    .group_segment_fixed_size: 4096
    .kernarg_segment_align: 8
    .kernarg_segment_size: 100
    .language:       OpenCL C
    .language_version:
      - 2
      - 0
    .max_flat_workgroup_size: 256
    .name:           _ZL41rocblas_syrkx_herkx_small_restrict_kernelIidLi16ELb0ELb0ELc78ELc76EKddEviT_T0_PT6_S1_lS4_S1_lS2_PT7_S1_li
    .private_segment_fixed_size: 0
    .sgpr_count:     26
    .sgpr_spill_count: 0
    .symbol:         _ZL41rocblas_syrkx_herkx_small_restrict_kernelIidLi16ELb0ELb0ELc78ELc76EKddEviT_T0_PT6_S1_lS4_S1_lS2_PT7_S1_li.kd
    .uniform_work_group_size: 1
    .uses_dynamic_stack: false
    .vgpr_count:     25
    .vgpr_spill_count: 0
    .wavefront_size: 32
    .workgroup_processor_mode: 1
  - .args:
      - .offset:         0
        .size:           4
        .value_kind:     by_value
      - .offset:         4
        .size:           4
        .value_kind:     by_value
      - .offset:         8
        .size:           8
        .value_kind:     by_value
      - .address_space:  global
        .offset:         16
        .size:           8
        .value_kind:     global_buffer
      - .offset:         24
        .size:           4
        .value_kind:     by_value
      - .offset:         32
        .size:           8
        .value_kind:     by_value
      - .address_space:  global
        .offset:         40
        .size:           8
        .value_kind:     global_buffer
      - .offset:         48
        .size:           4
        .value_kind:     by_value
      - .offset:         56
        .size:           8
        .value_kind:     by_value
      - .offset:         64
        .size:           8
        .value_kind:     by_value
      - .address_space:  global
        .offset:         72
        .size:           8
        .value_kind:     global_buffer
      - .offset:         80
        .size:           4
        .value_kind:     by_value
      - .offset:         88
        .size:           8
        .value_kind:     by_value
      - .offset:         96
        .size:           4
        .value_kind:     by_value
    .group_segment_fixed_size: 4096
    .kernarg_segment_align: 8
    .kernarg_segment_size: 100
    .language:       OpenCL C
    .language_version:
      - 2
      - 0
    .max_flat_workgroup_size: 256
    .name:           _ZL41rocblas_syrkx_herkx_small_restrict_kernelIidLi16ELb0ELb0ELc84ELc85EKddEviT_T0_PT6_S1_lS4_S1_lS2_PT7_S1_li
    .private_segment_fixed_size: 0
    .sgpr_count:     24
    .sgpr_spill_count: 0
    .symbol:         _ZL41rocblas_syrkx_herkx_small_restrict_kernelIidLi16ELb0ELb0ELc84ELc85EKddEviT_T0_PT6_S1_lS4_S1_lS2_PT7_S1_li.kd
    .uniform_work_group_size: 1
    .uses_dynamic_stack: false
    .vgpr_count:     24
    .vgpr_spill_count: 0
    .wavefront_size: 32
    .workgroup_processor_mode: 1
  - .args:
      - .offset:         0
        .size:           4
        .value_kind:     by_value
      - .offset:         4
        .size:           4
        .value_kind:     by_value
      - .offset:         8
        .size:           8
        .value_kind:     by_value
      - .address_space:  global
        .offset:         16
        .size:           8
        .value_kind:     global_buffer
      - .offset:         24
        .size:           4
        .value_kind:     by_value
      - .offset:         32
        .size:           8
        .value_kind:     by_value
      - .address_space:  global
        .offset:         40
        .size:           8
        .value_kind:     global_buffer
      - .offset:         48
        .size:           4
        .value_kind:     by_value
      - .offset:         56
        .size:           8
        .value_kind:     by_value
      - .offset:         64
        .size:           8
        .value_kind:     by_value
      - .address_space:  global
        .offset:         72
        .size:           8
        .value_kind:     global_buffer
      - .offset:         80
        .size:           4
        .value_kind:     by_value
      - .offset:         88
        .size:           8
        .value_kind:     by_value
      - .offset:         96
        .size:           4
        .value_kind:     by_value
    .group_segment_fixed_size: 4096
    .kernarg_segment_align: 8
    .kernarg_segment_size: 100
    .language:       OpenCL C
    .language_version:
      - 2
      - 0
    .max_flat_workgroup_size: 256
    .name:           _ZL41rocblas_syrkx_herkx_small_restrict_kernelIidLi16ELb0ELb0ELc67ELc85EKddEviT_T0_PT6_S1_lS4_S1_lS2_PT7_S1_li
    .private_segment_fixed_size: 0
    .sgpr_count:     24
    .sgpr_spill_count: 0
    .symbol:         _ZL41rocblas_syrkx_herkx_small_restrict_kernelIidLi16ELb0ELb0ELc67ELc85EKddEviT_T0_PT6_S1_lS4_S1_lS2_PT7_S1_li.kd
    .uniform_work_group_size: 1
    .uses_dynamic_stack: false
    .vgpr_count:     24
    .vgpr_spill_count: 0
    .wavefront_size: 32
    .workgroup_processor_mode: 1
  - .args:
      - .offset:         0
        .size:           4
        .value_kind:     by_value
      - .offset:         4
        .size:           4
        .value_kind:     by_value
      - .offset:         8
        .size:           8
        .value_kind:     by_value
      - .address_space:  global
        .offset:         16
        .size:           8
        .value_kind:     global_buffer
      - .offset:         24
        .size:           4
        .value_kind:     by_value
      - .offset:         32
        .size:           8
        .value_kind:     by_value
      - .address_space:  global
        .offset:         40
        .size:           8
        .value_kind:     global_buffer
      - .offset:         48
        .size:           4
        .value_kind:     by_value
      - .offset:         56
        .size:           8
        .value_kind:     by_value
      - .offset:         64
        .size:           8
        .value_kind:     by_value
      - .address_space:  global
        .offset:         72
        .size:           8
        .value_kind:     global_buffer
      - .offset:         80
        .size:           4
        .value_kind:     by_value
      - .offset:         88
        .size:           8
        .value_kind:     by_value
      - .offset:         96
        .size:           4
        .value_kind:     by_value
    .group_segment_fixed_size: 4096
    .kernarg_segment_align: 8
    .kernarg_segment_size: 100
    .language:       OpenCL C
    .language_version:
      - 2
      - 0
    .max_flat_workgroup_size: 256
    .name:           _ZL41rocblas_syrkx_herkx_small_restrict_kernelIidLi16ELb0ELb0ELc78ELc85EKddEviT_T0_PT6_S1_lS4_S1_lS2_PT7_S1_li
    .private_segment_fixed_size: 0
    .sgpr_count:     26
    .sgpr_spill_count: 0
    .symbol:         _ZL41rocblas_syrkx_herkx_small_restrict_kernelIidLi16ELb0ELb0ELc78ELc85EKddEviT_T0_PT6_S1_lS4_S1_lS2_PT7_S1_li.kd
    .uniform_work_group_size: 1
    .uses_dynamic_stack: false
    .vgpr_count:     25
    .vgpr_spill_count: 0
    .wavefront_size: 32
    .workgroup_processor_mode: 1
  - .args:
      - .offset:         0
        .size:           4
        .value_kind:     by_value
      - .offset:         4
        .size:           4
        .value_kind:     by_value
      - .offset:         8
        .size:           8
        .value_kind:     by_value
      - .address_space:  global
        .offset:         16
        .size:           8
        .value_kind:     global_buffer
      - .offset:         24
        .size:           4
        .value_kind:     by_value
      - .offset:         32
        .size:           8
        .value_kind:     by_value
      - .address_space:  global
        .offset:         40
        .size:           8
        .value_kind:     global_buffer
      - .offset:         48
        .size:           4
        .value_kind:     by_value
      - .offset:         56
        .size:           8
        .value_kind:     by_value
      - .offset:         64
        .size:           8
        .value_kind:     by_value
      - .address_space:  global
        .offset:         72
        .size:           8
        .value_kind:     global_buffer
      - .offset:         80
        .size:           4
        .value_kind:     by_value
      - .offset:         88
        .size:           8
        .value_kind:     by_value
      - .offset:         96
        .size:           4
        .value_kind:     by_value
    .group_segment_fixed_size: 4096
    .kernarg_segment_align: 8
    .kernarg_segment_size: 100
    .language:       OpenCL C
    .language_version:
      - 2
      - 0
    .max_flat_workgroup_size: 256
    .name:           _ZL32rocblas_syrkx_herkx_small_kernelIidLi16ELb1ELb0ELc84ELc76EKddEviT_T0_PT6_S1_lS4_S1_lS2_PT7_S1_li
    .private_segment_fixed_size: 0
    .sgpr_count:     22
    .sgpr_spill_count: 0
    .symbol:         _ZL32rocblas_syrkx_herkx_small_kernelIidLi16ELb1ELb0ELc84ELc76EKddEviT_T0_PT6_S1_lS4_S1_lS2_PT7_S1_li.kd
    .uniform_work_group_size: 1
    .uses_dynamic_stack: false
    .vgpr_count:     28
    .vgpr_spill_count: 0
    .wavefront_size: 32
    .workgroup_processor_mode: 1
  - .args:
      - .offset:         0
        .size:           4
        .value_kind:     by_value
      - .offset:         4
        .size:           4
        .value_kind:     by_value
      - .offset:         8
        .size:           8
        .value_kind:     by_value
      - .address_space:  global
        .offset:         16
        .size:           8
        .value_kind:     global_buffer
      - .offset:         24
        .size:           4
        .value_kind:     by_value
      - .offset:         32
        .size:           8
        .value_kind:     by_value
      - .address_space:  global
        .offset:         40
        .size:           8
        .value_kind:     global_buffer
      - .offset:         48
        .size:           4
        .value_kind:     by_value
      - .offset:         56
        .size:           8
        .value_kind:     by_value
      - .offset:         64
        .size:           8
        .value_kind:     by_value
      - .address_space:  global
        .offset:         72
        .size:           8
        .value_kind:     global_buffer
      - .offset:         80
        .size:           4
        .value_kind:     by_value
      - .offset:         88
        .size:           8
        .value_kind:     by_value
      - .offset:         96
        .size:           4
        .value_kind:     by_value
    .group_segment_fixed_size: 4096
    .kernarg_segment_align: 8
    .kernarg_segment_size: 100
    .language:       OpenCL C
    .language_version:
      - 2
      - 0
    .max_flat_workgroup_size: 256
    .name:           _ZL32rocblas_syrkx_herkx_small_kernelIidLi16ELb1ELb0ELc67ELc76EKddEviT_T0_PT6_S1_lS4_S1_lS2_PT7_S1_li
    .private_segment_fixed_size: 0
    .sgpr_count:     22
    .sgpr_spill_count: 0
    .symbol:         _ZL32rocblas_syrkx_herkx_small_kernelIidLi16ELb1ELb0ELc67ELc76EKddEviT_T0_PT6_S1_lS4_S1_lS2_PT7_S1_li.kd
    .uniform_work_group_size: 1
    .uses_dynamic_stack: false
    .vgpr_count:     28
    .vgpr_spill_count: 0
    .wavefront_size: 32
    .workgroup_processor_mode: 1
  - .args:
      - .offset:         0
        .size:           4
        .value_kind:     by_value
      - .offset:         4
        .size:           4
        .value_kind:     by_value
      - .offset:         8
        .size:           8
        .value_kind:     by_value
      - .address_space:  global
        .offset:         16
        .size:           8
        .value_kind:     global_buffer
      - .offset:         24
        .size:           4
        .value_kind:     by_value
      - .offset:         32
        .size:           8
        .value_kind:     by_value
      - .address_space:  global
        .offset:         40
        .size:           8
        .value_kind:     global_buffer
      - .offset:         48
        .size:           4
        .value_kind:     by_value
      - .offset:         56
        .size:           8
        .value_kind:     by_value
      - .offset:         64
        .size:           8
        .value_kind:     by_value
      - .address_space:  global
        .offset:         72
        .size:           8
        .value_kind:     global_buffer
      - .offset:         80
        .size:           4
        .value_kind:     by_value
      - .offset:         88
        .size:           8
        .value_kind:     by_value
      - .offset:         96
        .size:           4
        .value_kind:     by_value
    .group_segment_fixed_size: 4096
    .kernarg_segment_align: 8
    .kernarg_segment_size: 100
    .language:       OpenCL C
    .language_version:
      - 2
      - 0
    .max_flat_workgroup_size: 256
    .name:           _ZL32rocblas_syrkx_herkx_small_kernelIidLi16ELb1ELb0ELc78ELc76EKddEviT_T0_PT6_S1_lS4_S1_lS2_PT7_S1_li
    .private_segment_fixed_size: 0
    .sgpr_count:     26
    .sgpr_spill_count: 0
    .symbol:         _ZL32rocblas_syrkx_herkx_small_kernelIidLi16ELb1ELb0ELc78ELc76EKddEviT_T0_PT6_S1_lS4_S1_lS2_PT7_S1_li.kd
    .uniform_work_group_size: 1
    .uses_dynamic_stack: false
    .vgpr_count:     29
    .vgpr_spill_count: 0
    .wavefront_size: 32
    .workgroup_processor_mode: 1
  - .args:
      - .offset:         0
        .size:           4
        .value_kind:     by_value
      - .offset:         4
        .size:           4
        .value_kind:     by_value
      - .offset:         8
        .size:           8
        .value_kind:     by_value
      - .address_space:  global
        .offset:         16
        .size:           8
        .value_kind:     global_buffer
      - .offset:         24
        .size:           4
        .value_kind:     by_value
      - .offset:         32
        .size:           8
        .value_kind:     by_value
      - .address_space:  global
        .offset:         40
        .size:           8
        .value_kind:     global_buffer
      - .offset:         48
        .size:           4
        .value_kind:     by_value
      - .offset:         56
        .size:           8
        .value_kind:     by_value
      - .offset:         64
        .size:           8
        .value_kind:     by_value
      - .address_space:  global
        .offset:         72
        .size:           8
        .value_kind:     global_buffer
      - .offset:         80
        .size:           4
        .value_kind:     by_value
      - .offset:         88
        .size:           8
        .value_kind:     by_value
      - .offset:         96
        .size:           4
        .value_kind:     by_value
    .group_segment_fixed_size: 4096
    .kernarg_segment_align: 8
    .kernarg_segment_size: 100
    .language:       OpenCL C
    .language_version:
      - 2
      - 0
    .max_flat_workgroup_size: 256
    .name:           _ZL32rocblas_syrkx_herkx_small_kernelIidLi16ELb1ELb0ELc84ELc85EKddEviT_T0_PT6_S1_lS4_S1_lS2_PT7_S1_li
    .private_segment_fixed_size: 0
    .sgpr_count:     22
    .sgpr_spill_count: 0
    .symbol:         _ZL32rocblas_syrkx_herkx_small_kernelIidLi16ELb1ELb0ELc84ELc85EKddEviT_T0_PT6_S1_lS4_S1_lS2_PT7_S1_li.kd
    .uniform_work_group_size: 1
    .uses_dynamic_stack: false
    .vgpr_count:     28
    .vgpr_spill_count: 0
    .wavefront_size: 32
    .workgroup_processor_mode: 1
  - .args:
      - .offset:         0
        .size:           4
        .value_kind:     by_value
      - .offset:         4
        .size:           4
        .value_kind:     by_value
      - .offset:         8
        .size:           8
        .value_kind:     by_value
      - .address_space:  global
        .offset:         16
        .size:           8
        .value_kind:     global_buffer
      - .offset:         24
        .size:           4
        .value_kind:     by_value
      - .offset:         32
        .size:           8
        .value_kind:     by_value
      - .address_space:  global
        .offset:         40
        .size:           8
        .value_kind:     global_buffer
      - .offset:         48
        .size:           4
        .value_kind:     by_value
      - .offset:         56
        .size:           8
        .value_kind:     by_value
      - .offset:         64
        .size:           8
        .value_kind:     by_value
      - .address_space:  global
        .offset:         72
        .size:           8
        .value_kind:     global_buffer
      - .offset:         80
        .size:           4
        .value_kind:     by_value
      - .offset:         88
        .size:           8
        .value_kind:     by_value
      - .offset:         96
        .size:           4
        .value_kind:     by_value
    .group_segment_fixed_size: 4096
    .kernarg_segment_align: 8
    .kernarg_segment_size: 100
    .language:       OpenCL C
    .language_version:
      - 2
      - 0
    .max_flat_workgroup_size: 256
    .name:           _ZL32rocblas_syrkx_herkx_small_kernelIidLi16ELb1ELb0ELc67ELc85EKddEviT_T0_PT6_S1_lS4_S1_lS2_PT7_S1_li
    .private_segment_fixed_size: 0
    .sgpr_count:     22
    .sgpr_spill_count: 0
    .symbol:         _ZL32rocblas_syrkx_herkx_small_kernelIidLi16ELb1ELb0ELc67ELc85EKddEviT_T0_PT6_S1_lS4_S1_lS2_PT7_S1_li.kd
    .uniform_work_group_size: 1
    .uses_dynamic_stack: false
    .vgpr_count:     28
    .vgpr_spill_count: 0
    .wavefront_size: 32
    .workgroup_processor_mode: 1
  - .args:
      - .offset:         0
        .size:           4
        .value_kind:     by_value
      - .offset:         4
        .size:           4
        .value_kind:     by_value
      - .offset:         8
        .size:           8
        .value_kind:     by_value
      - .address_space:  global
        .offset:         16
        .size:           8
        .value_kind:     global_buffer
      - .offset:         24
        .size:           4
        .value_kind:     by_value
      - .offset:         32
        .size:           8
        .value_kind:     by_value
      - .address_space:  global
        .offset:         40
        .size:           8
        .value_kind:     global_buffer
      - .offset:         48
        .size:           4
        .value_kind:     by_value
      - .offset:         56
        .size:           8
        .value_kind:     by_value
      - .offset:         64
        .size:           8
        .value_kind:     by_value
      - .address_space:  global
        .offset:         72
        .size:           8
        .value_kind:     global_buffer
      - .offset:         80
        .size:           4
        .value_kind:     by_value
      - .offset:         88
        .size:           8
        .value_kind:     by_value
      - .offset:         96
        .size:           4
        .value_kind:     by_value
    .group_segment_fixed_size: 4096
    .kernarg_segment_align: 8
    .kernarg_segment_size: 100
    .language:       OpenCL C
    .language_version:
      - 2
      - 0
    .max_flat_workgroup_size: 256
    .name:           _ZL32rocblas_syrkx_herkx_small_kernelIidLi16ELb1ELb0ELc78ELc85EKddEviT_T0_PT6_S1_lS4_S1_lS2_PT7_S1_li
    .private_segment_fixed_size: 0
    .sgpr_count:     26
    .sgpr_spill_count: 0
    .symbol:         _ZL32rocblas_syrkx_herkx_small_kernelIidLi16ELb1ELb0ELc78ELc85EKddEviT_T0_PT6_S1_lS4_S1_lS2_PT7_S1_li.kd
    .uniform_work_group_size: 1
    .uses_dynamic_stack: false
    .vgpr_count:     29
    .vgpr_spill_count: 0
    .wavefront_size: 32
    .workgroup_processor_mode: 1
  - .args:
      - .offset:         0
        .size:           4
        .value_kind:     by_value
      - .offset:         4
        .size:           4
        .value_kind:     by_value
      - .offset:         8
        .size:           8
        .value_kind:     by_value
      - .address_space:  global
        .offset:         16
        .size:           8
        .value_kind:     global_buffer
      - .offset:         24
        .size:           4
        .value_kind:     by_value
      - .offset:         32
        .size:           8
        .value_kind:     by_value
      - .address_space:  global
        .offset:         40
        .size:           8
        .value_kind:     global_buffer
      - .offset:         48
        .size:           4
        .value_kind:     by_value
      - .offset:         56
        .size:           8
        .value_kind:     by_value
      - .offset:         64
        .size:           8
        .value_kind:     by_value
      - .address_space:  global
        .offset:         72
        .size:           8
        .value_kind:     global_buffer
      - .offset:         80
        .size:           4
        .value_kind:     by_value
      - .offset:         88
        .size:           8
        .value_kind:     by_value
      - .offset:         96
        .size:           4
        .value_kind:     by_value
    .group_segment_fixed_size: 4096
    .kernarg_segment_align: 8
    .kernarg_segment_size: 100
    .language:       OpenCL C
    .language_version:
      - 2
      - 0
    .max_flat_workgroup_size: 256
    .name:           _ZL32rocblas_syrkx_herkx_small_kernelIidLi16ELb0ELb0ELc84ELc76EKddEviT_T0_PT6_S1_lS4_S1_lS2_PT7_S1_li
    .private_segment_fixed_size: 0
    .sgpr_count:     26
    .sgpr_spill_count: 0
    .symbol:         _ZL32rocblas_syrkx_herkx_small_kernelIidLi16ELb0ELb0ELc84ELc76EKddEviT_T0_PT6_S1_lS4_S1_lS2_PT7_S1_li.kd
    .uniform_work_group_size: 1
    .uses_dynamic_stack: false
    .vgpr_count:     28
    .vgpr_spill_count: 0
    .wavefront_size: 32
    .workgroup_processor_mode: 1
  - .args:
      - .offset:         0
        .size:           4
        .value_kind:     by_value
      - .offset:         4
        .size:           4
        .value_kind:     by_value
      - .offset:         8
        .size:           8
        .value_kind:     by_value
      - .address_space:  global
        .offset:         16
        .size:           8
        .value_kind:     global_buffer
      - .offset:         24
        .size:           4
        .value_kind:     by_value
      - .offset:         32
        .size:           8
        .value_kind:     by_value
      - .address_space:  global
        .offset:         40
        .size:           8
        .value_kind:     global_buffer
      - .offset:         48
        .size:           4
        .value_kind:     by_value
      - .offset:         56
        .size:           8
        .value_kind:     by_value
      - .offset:         64
        .size:           8
        .value_kind:     by_value
      - .address_space:  global
        .offset:         72
        .size:           8
        .value_kind:     global_buffer
      - .offset:         80
        .size:           4
        .value_kind:     by_value
      - .offset:         88
        .size:           8
        .value_kind:     by_value
      - .offset:         96
        .size:           4
        .value_kind:     by_value
    .group_segment_fixed_size: 4096
    .kernarg_segment_align: 8
    .kernarg_segment_size: 100
    .language:       OpenCL C
    .language_version:
      - 2
      - 0
    .max_flat_workgroup_size: 256
    .name:           _ZL32rocblas_syrkx_herkx_small_kernelIidLi16ELb0ELb0ELc67ELc76EKddEviT_T0_PT6_S1_lS4_S1_lS2_PT7_S1_li
    .private_segment_fixed_size: 0
    .sgpr_count:     26
    .sgpr_spill_count: 0
    .symbol:         _ZL32rocblas_syrkx_herkx_small_kernelIidLi16ELb0ELb0ELc67ELc76EKddEviT_T0_PT6_S1_lS4_S1_lS2_PT7_S1_li.kd
    .uniform_work_group_size: 1
    .uses_dynamic_stack: false
    .vgpr_count:     28
    .vgpr_spill_count: 0
    .wavefront_size: 32
    .workgroup_processor_mode: 1
  - .args:
      - .offset:         0
        .size:           4
        .value_kind:     by_value
      - .offset:         4
        .size:           4
        .value_kind:     by_value
      - .offset:         8
        .size:           8
        .value_kind:     by_value
      - .address_space:  global
        .offset:         16
        .size:           8
        .value_kind:     global_buffer
      - .offset:         24
        .size:           4
        .value_kind:     by_value
      - .offset:         32
        .size:           8
        .value_kind:     by_value
      - .address_space:  global
        .offset:         40
        .size:           8
        .value_kind:     global_buffer
      - .offset:         48
        .size:           4
        .value_kind:     by_value
      - .offset:         56
        .size:           8
        .value_kind:     by_value
      - .offset:         64
        .size:           8
        .value_kind:     by_value
      - .address_space:  global
        .offset:         72
        .size:           8
        .value_kind:     global_buffer
      - .offset:         80
        .size:           4
        .value_kind:     by_value
      - .offset:         88
        .size:           8
        .value_kind:     by_value
      - .offset:         96
        .size:           4
        .value_kind:     by_value
    .group_segment_fixed_size: 4096
    .kernarg_segment_align: 8
    .kernarg_segment_size: 100
    .language:       OpenCL C
    .language_version:
      - 2
      - 0
    .max_flat_workgroup_size: 256
    .name:           _ZL32rocblas_syrkx_herkx_small_kernelIidLi16ELb0ELb0ELc78ELc76EKddEviT_T0_PT6_S1_lS4_S1_lS2_PT7_S1_li
    .private_segment_fixed_size: 0
    .sgpr_count:     30
    .sgpr_spill_count: 0
    .symbol:         _ZL32rocblas_syrkx_herkx_small_kernelIidLi16ELb0ELb0ELc78ELc76EKddEviT_T0_PT6_S1_lS4_S1_lS2_PT7_S1_li.kd
    .uniform_work_group_size: 1
    .uses_dynamic_stack: false
    .vgpr_count:     29
    .vgpr_spill_count: 0
    .wavefront_size: 32
    .workgroup_processor_mode: 1
  - .args:
      - .offset:         0
        .size:           4
        .value_kind:     by_value
      - .offset:         4
        .size:           4
        .value_kind:     by_value
      - .offset:         8
        .size:           8
        .value_kind:     by_value
      - .address_space:  global
        .offset:         16
        .size:           8
        .value_kind:     global_buffer
      - .offset:         24
        .size:           4
        .value_kind:     by_value
      - .offset:         32
        .size:           8
        .value_kind:     by_value
      - .address_space:  global
        .offset:         40
        .size:           8
        .value_kind:     global_buffer
      - .offset:         48
        .size:           4
        .value_kind:     by_value
      - .offset:         56
        .size:           8
        .value_kind:     by_value
      - .offset:         64
        .size:           8
        .value_kind:     by_value
      - .address_space:  global
        .offset:         72
        .size:           8
        .value_kind:     global_buffer
      - .offset:         80
        .size:           4
        .value_kind:     by_value
      - .offset:         88
        .size:           8
        .value_kind:     by_value
      - .offset:         96
        .size:           4
        .value_kind:     by_value
    .group_segment_fixed_size: 4096
    .kernarg_segment_align: 8
    .kernarg_segment_size: 100
    .language:       OpenCL C
    .language_version:
      - 2
      - 0
    .max_flat_workgroup_size: 256
    .name:           _ZL32rocblas_syrkx_herkx_small_kernelIidLi16ELb0ELb0ELc84ELc85EKddEviT_T0_PT6_S1_lS4_S1_lS2_PT7_S1_li
    .private_segment_fixed_size: 0
    .sgpr_count:     26
    .sgpr_spill_count: 0
    .symbol:         _ZL32rocblas_syrkx_herkx_small_kernelIidLi16ELb0ELb0ELc84ELc85EKddEviT_T0_PT6_S1_lS4_S1_lS2_PT7_S1_li.kd
    .uniform_work_group_size: 1
    .uses_dynamic_stack: false
    .vgpr_count:     28
    .vgpr_spill_count: 0
    .wavefront_size: 32
    .workgroup_processor_mode: 1
  - .args:
      - .offset:         0
        .size:           4
        .value_kind:     by_value
      - .offset:         4
        .size:           4
        .value_kind:     by_value
      - .offset:         8
        .size:           8
        .value_kind:     by_value
      - .address_space:  global
        .offset:         16
        .size:           8
        .value_kind:     global_buffer
      - .offset:         24
        .size:           4
        .value_kind:     by_value
      - .offset:         32
        .size:           8
        .value_kind:     by_value
      - .address_space:  global
        .offset:         40
        .size:           8
        .value_kind:     global_buffer
      - .offset:         48
        .size:           4
        .value_kind:     by_value
      - .offset:         56
        .size:           8
        .value_kind:     by_value
      - .offset:         64
        .size:           8
        .value_kind:     by_value
      - .address_space:  global
        .offset:         72
        .size:           8
        .value_kind:     global_buffer
      - .offset:         80
        .size:           4
        .value_kind:     by_value
      - .offset:         88
        .size:           8
        .value_kind:     by_value
      - .offset:         96
        .size:           4
        .value_kind:     by_value
    .group_segment_fixed_size: 4096
    .kernarg_segment_align: 8
    .kernarg_segment_size: 100
    .language:       OpenCL C
    .language_version:
      - 2
      - 0
    .max_flat_workgroup_size: 256
    .name:           _ZL32rocblas_syrkx_herkx_small_kernelIidLi16ELb0ELb0ELc67ELc85EKddEviT_T0_PT6_S1_lS4_S1_lS2_PT7_S1_li
    .private_segment_fixed_size: 0
    .sgpr_count:     26
    .sgpr_spill_count: 0
    .symbol:         _ZL32rocblas_syrkx_herkx_small_kernelIidLi16ELb0ELb0ELc67ELc85EKddEviT_T0_PT6_S1_lS4_S1_lS2_PT7_S1_li.kd
    .uniform_work_group_size: 1
    .uses_dynamic_stack: false
    .vgpr_count:     28
    .vgpr_spill_count: 0
    .wavefront_size: 32
    .workgroup_processor_mode: 1
  - .args:
      - .offset:         0
        .size:           4
        .value_kind:     by_value
      - .offset:         4
        .size:           4
        .value_kind:     by_value
      - .offset:         8
        .size:           8
        .value_kind:     by_value
      - .address_space:  global
        .offset:         16
        .size:           8
        .value_kind:     global_buffer
      - .offset:         24
        .size:           4
        .value_kind:     by_value
      - .offset:         32
        .size:           8
        .value_kind:     by_value
      - .address_space:  global
        .offset:         40
        .size:           8
        .value_kind:     global_buffer
      - .offset:         48
        .size:           4
        .value_kind:     by_value
      - .offset:         56
        .size:           8
        .value_kind:     by_value
      - .offset:         64
        .size:           8
        .value_kind:     by_value
      - .address_space:  global
        .offset:         72
        .size:           8
        .value_kind:     global_buffer
      - .offset:         80
        .size:           4
        .value_kind:     by_value
      - .offset:         88
        .size:           8
        .value_kind:     by_value
      - .offset:         96
        .size:           4
        .value_kind:     by_value
    .group_segment_fixed_size: 4096
    .kernarg_segment_align: 8
    .kernarg_segment_size: 100
    .language:       OpenCL C
    .language_version:
      - 2
      - 0
    .max_flat_workgroup_size: 256
    .name:           _ZL32rocblas_syrkx_herkx_small_kernelIidLi16ELb0ELb0ELc78ELc85EKddEviT_T0_PT6_S1_lS4_S1_lS2_PT7_S1_li
    .private_segment_fixed_size: 0
    .sgpr_count:     30
    .sgpr_spill_count: 0
    .symbol:         _ZL32rocblas_syrkx_herkx_small_kernelIidLi16ELb0ELb0ELc78ELc85EKddEviT_T0_PT6_S1_lS4_S1_lS2_PT7_S1_li.kd
    .uniform_work_group_size: 1
    .uses_dynamic_stack: false
    .vgpr_count:     29
    .vgpr_spill_count: 0
    .wavefront_size: 32
    .workgroup_processor_mode: 1
  - .args:
      - .offset:         0
        .size:           4
        .value_kind:     by_value
      - .offset:         4
        .size:           4
        .value_kind:     by_value
      - .offset:         8
        .size:           8
        .value_kind:     by_value
      - .address_space:  global
        .offset:         16
        .size:           8
        .value_kind:     global_buffer
      - .offset:         24
        .size:           4
        .value_kind:     by_value
      - .offset:         32
        .size:           8
        .value_kind:     by_value
      - .address_space:  global
        .offset:         40
        .size:           8
        .value_kind:     global_buffer
      - .offset:         48
        .size:           4
        .value_kind:     by_value
      - .offset:         56
        .size:           8
        .value_kind:     by_value
      - .offset:         64
        .size:           8
        .value_kind:     by_value
      - .address_space:  global
        .offset:         72
        .size:           8
        .value_kind:     global_buffer
      - .offset:         80
        .size:           4
        .value_kind:     by_value
      - .offset:         88
        .size:           8
        .value_kind:     by_value
      - .offset:         96
        .size:           4
        .value_kind:     by_value
    .group_segment_fixed_size: 4096
    .kernarg_segment_align: 8
    .kernarg_segment_size: 100
    .language:       OpenCL C
    .language_version:
      - 2
      - 0
    .max_flat_workgroup_size: 256
    .name:           _ZL34rocblas_syrkx_herkx_general_kernelIidLi16ELi32ELi8ELb1ELb0ELc84ELc76EKddEviT_T0_PT8_S1_lS4_S1_lS2_PT9_S1_li
    .private_segment_fixed_size: 0
    .sgpr_count:     23
    .sgpr_spill_count: 0
    .symbol:         _ZL34rocblas_syrkx_herkx_general_kernelIidLi16ELi32ELi8ELb1ELb0ELc84ELc76EKddEviT_T0_PT8_S1_lS4_S1_lS2_PT9_S1_li.kd
    .uniform_work_group_size: 1
    .uses_dynamic_stack: false
    .vgpr_count:     42
    .vgpr_spill_count: 0
    .wavefront_size: 32
    .workgroup_processor_mode: 1
  - .args:
      - .offset:         0
        .size:           4
        .value_kind:     by_value
      - .offset:         4
        .size:           4
        .value_kind:     by_value
      - .offset:         8
        .size:           8
        .value_kind:     by_value
      - .address_space:  global
        .offset:         16
        .size:           8
        .value_kind:     global_buffer
      - .offset:         24
        .size:           4
        .value_kind:     by_value
      - .offset:         32
        .size:           8
        .value_kind:     by_value
      - .address_space:  global
        .offset:         40
        .size:           8
        .value_kind:     global_buffer
      - .offset:         48
        .size:           4
        .value_kind:     by_value
      - .offset:         56
        .size:           8
        .value_kind:     by_value
      - .offset:         64
        .size:           8
        .value_kind:     by_value
      - .address_space:  global
        .offset:         72
        .size:           8
        .value_kind:     global_buffer
      - .offset:         80
        .size:           4
        .value_kind:     by_value
      - .offset:         88
        .size:           8
        .value_kind:     by_value
      - .offset:         96
        .size:           4
        .value_kind:     by_value
    .group_segment_fixed_size: 4096
    .kernarg_segment_align: 8
    .kernarg_segment_size: 100
    .language:       OpenCL C
    .language_version:
      - 2
      - 0
    .max_flat_workgroup_size: 256
    .name:           _ZL34rocblas_syrkx_herkx_general_kernelIidLi16ELi32ELi8ELb1ELb0ELc67ELc76EKddEviT_T0_PT8_S1_lS4_S1_lS2_PT9_S1_li
    .private_segment_fixed_size: 0
    .sgpr_count:     23
    .sgpr_spill_count: 0
    .symbol:         _ZL34rocblas_syrkx_herkx_general_kernelIidLi16ELi32ELi8ELb1ELb0ELc67ELc76EKddEviT_T0_PT8_S1_lS4_S1_lS2_PT9_S1_li.kd
    .uniform_work_group_size: 1
    .uses_dynamic_stack: false
    .vgpr_count:     42
    .vgpr_spill_count: 0
    .wavefront_size: 32
    .workgroup_processor_mode: 1
  - .args:
      - .offset:         0
        .size:           4
        .value_kind:     by_value
      - .offset:         4
        .size:           4
        .value_kind:     by_value
      - .offset:         8
        .size:           8
        .value_kind:     by_value
      - .address_space:  global
        .offset:         16
        .size:           8
        .value_kind:     global_buffer
      - .offset:         24
        .size:           4
        .value_kind:     by_value
      - .offset:         32
        .size:           8
        .value_kind:     by_value
      - .address_space:  global
        .offset:         40
        .size:           8
        .value_kind:     global_buffer
      - .offset:         48
        .size:           4
        .value_kind:     by_value
      - .offset:         56
        .size:           8
        .value_kind:     by_value
      - .offset:         64
        .size:           8
        .value_kind:     by_value
      - .address_space:  global
        .offset:         72
        .size:           8
        .value_kind:     global_buffer
      - .offset:         80
        .size:           4
        .value_kind:     by_value
      - .offset:         88
        .size:           8
        .value_kind:     by_value
      - .offset:         96
        .size:           4
        .value_kind:     by_value
    .group_segment_fixed_size: 4096
    .kernarg_segment_align: 8
    .kernarg_segment_size: 100
    .language:       OpenCL C
    .language_version:
      - 2
      - 0
    .max_flat_workgroup_size: 256
    .name:           _ZL34rocblas_syrkx_herkx_general_kernelIidLi16ELi32ELi8ELb1ELb0ELc78ELc76EKddEviT_T0_PT8_S1_lS4_S1_lS2_PT9_S1_li
    .private_segment_fixed_size: 0
    .sgpr_count:     26
    .sgpr_spill_count: 0
    .symbol:         _ZL34rocblas_syrkx_herkx_general_kernelIidLi16ELi32ELi8ELb1ELb0ELc78ELc76EKddEviT_T0_PT8_S1_lS4_S1_lS2_PT9_S1_li.kd
    .uniform_work_group_size: 1
    .uses_dynamic_stack: false
    .vgpr_count:     42
    .vgpr_spill_count: 0
    .wavefront_size: 32
    .workgroup_processor_mode: 1
  - .args:
      - .offset:         0
        .size:           4
        .value_kind:     by_value
      - .offset:         4
        .size:           4
        .value_kind:     by_value
      - .offset:         8
        .size:           8
        .value_kind:     by_value
      - .address_space:  global
        .offset:         16
        .size:           8
        .value_kind:     global_buffer
      - .offset:         24
        .size:           4
        .value_kind:     by_value
      - .offset:         32
        .size:           8
        .value_kind:     by_value
      - .address_space:  global
        .offset:         40
        .size:           8
        .value_kind:     global_buffer
      - .offset:         48
        .size:           4
        .value_kind:     by_value
      - .offset:         56
        .size:           8
        .value_kind:     by_value
      - .offset:         64
        .size:           8
        .value_kind:     by_value
      - .address_space:  global
        .offset:         72
        .size:           8
        .value_kind:     global_buffer
      - .offset:         80
        .size:           4
        .value_kind:     by_value
      - .offset:         88
        .size:           8
        .value_kind:     by_value
      - .offset:         96
        .size:           4
        .value_kind:     by_value
    .group_segment_fixed_size: 4096
    .kernarg_segment_align: 8
    .kernarg_segment_size: 100
    .language:       OpenCL C
    .language_version:
      - 2
      - 0
    .max_flat_workgroup_size: 256
    .name:           _ZL34rocblas_syrkx_herkx_general_kernelIidLi16ELi32ELi8ELb1ELb0ELc84ELc85EKddEviT_T0_PT8_S1_lS4_S1_lS2_PT9_S1_li
    .private_segment_fixed_size: 0
    .sgpr_count:     23
    .sgpr_spill_count: 0
    .symbol:         _ZL34rocblas_syrkx_herkx_general_kernelIidLi16ELi32ELi8ELb1ELb0ELc84ELc85EKddEviT_T0_PT8_S1_lS4_S1_lS2_PT9_S1_li.kd
    .uniform_work_group_size: 1
    .uses_dynamic_stack: false
    .vgpr_count:     42
    .vgpr_spill_count: 0
    .wavefront_size: 32
    .workgroup_processor_mode: 1
  - .args:
      - .offset:         0
        .size:           4
        .value_kind:     by_value
      - .offset:         4
        .size:           4
        .value_kind:     by_value
      - .offset:         8
        .size:           8
        .value_kind:     by_value
      - .address_space:  global
        .offset:         16
        .size:           8
        .value_kind:     global_buffer
      - .offset:         24
        .size:           4
        .value_kind:     by_value
      - .offset:         32
        .size:           8
        .value_kind:     by_value
      - .address_space:  global
        .offset:         40
        .size:           8
        .value_kind:     global_buffer
      - .offset:         48
        .size:           4
        .value_kind:     by_value
      - .offset:         56
        .size:           8
        .value_kind:     by_value
      - .offset:         64
        .size:           8
        .value_kind:     by_value
      - .address_space:  global
        .offset:         72
        .size:           8
        .value_kind:     global_buffer
      - .offset:         80
        .size:           4
        .value_kind:     by_value
      - .offset:         88
        .size:           8
        .value_kind:     by_value
      - .offset:         96
        .size:           4
        .value_kind:     by_value
    .group_segment_fixed_size: 4096
    .kernarg_segment_align: 8
    .kernarg_segment_size: 100
    .language:       OpenCL C
    .language_version:
      - 2
      - 0
    .max_flat_workgroup_size: 256
    .name:           _ZL34rocblas_syrkx_herkx_general_kernelIidLi16ELi32ELi8ELb1ELb0ELc67ELc85EKddEviT_T0_PT8_S1_lS4_S1_lS2_PT9_S1_li
    .private_segment_fixed_size: 0
    .sgpr_count:     23
    .sgpr_spill_count: 0
    .symbol:         _ZL34rocblas_syrkx_herkx_general_kernelIidLi16ELi32ELi8ELb1ELb0ELc67ELc85EKddEviT_T0_PT8_S1_lS4_S1_lS2_PT9_S1_li.kd
    .uniform_work_group_size: 1
    .uses_dynamic_stack: false
    .vgpr_count:     42
    .vgpr_spill_count: 0
    .wavefront_size: 32
    .workgroup_processor_mode: 1
  - .args:
      - .offset:         0
        .size:           4
        .value_kind:     by_value
      - .offset:         4
        .size:           4
        .value_kind:     by_value
      - .offset:         8
        .size:           8
        .value_kind:     by_value
      - .address_space:  global
        .offset:         16
        .size:           8
        .value_kind:     global_buffer
      - .offset:         24
        .size:           4
        .value_kind:     by_value
      - .offset:         32
        .size:           8
        .value_kind:     by_value
      - .address_space:  global
        .offset:         40
        .size:           8
        .value_kind:     global_buffer
      - .offset:         48
        .size:           4
        .value_kind:     by_value
      - .offset:         56
        .size:           8
        .value_kind:     by_value
      - .offset:         64
        .size:           8
        .value_kind:     by_value
      - .address_space:  global
        .offset:         72
        .size:           8
        .value_kind:     global_buffer
      - .offset:         80
        .size:           4
        .value_kind:     by_value
      - .offset:         88
        .size:           8
        .value_kind:     by_value
      - .offset:         96
        .size:           4
        .value_kind:     by_value
    .group_segment_fixed_size: 4096
    .kernarg_segment_align: 8
    .kernarg_segment_size: 100
    .language:       OpenCL C
    .language_version:
      - 2
      - 0
    .max_flat_workgroup_size: 256
    .name:           _ZL34rocblas_syrkx_herkx_general_kernelIidLi16ELi32ELi8ELb1ELb0ELc78ELc85EKddEviT_T0_PT8_S1_lS4_S1_lS2_PT9_S1_li
    .private_segment_fixed_size: 0
    .sgpr_count:     26
    .sgpr_spill_count: 0
    .symbol:         _ZL34rocblas_syrkx_herkx_general_kernelIidLi16ELi32ELi8ELb1ELb0ELc78ELc85EKddEviT_T0_PT8_S1_lS4_S1_lS2_PT9_S1_li.kd
    .uniform_work_group_size: 1
    .uses_dynamic_stack: false
    .vgpr_count:     42
    .vgpr_spill_count: 0
    .wavefront_size: 32
    .workgroup_processor_mode: 1
  - .args:
      - .offset:         0
        .size:           4
        .value_kind:     by_value
      - .offset:         4
        .size:           4
        .value_kind:     by_value
      - .offset:         8
        .size:           8
        .value_kind:     by_value
      - .address_space:  global
        .offset:         16
        .size:           8
        .value_kind:     global_buffer
      - .offset:         24
        .size:           4
        .value_kind:     by_value
      - .offset:         32
        .size:           8
        .value_kind:     by_value
      - .address_space:  global
        .offset:         40
        .size:           8
        .value_kind:     global_buffer
      - .offset:         48
        .size:           4
        .value_kind:     by_value
      - .offset:         56
        .size:           8
        .value_kind:     by_value
      - .offset:         64
        .size:           8
        .value_kind:     by_value
      - .address_space:  global
        .offset:         72
        .size:           8
        .value_kind:     global_buffer
      - .offset:         80
        .size:           4
        .value_kind:     by_value
      - .offset:         88
        .size:           8
        .value_kind:     by_value
      - .offset:         96
        .size:           4
        .value_kind:     by_value
    .group_segment_fixed_size: 4096
    .kernarg_segment_align: 8
    .kernarg_segment_size: 100
    .language:       OpenCL C
    .language_version:
      - 2
      - 0
    .max_flat_workgroup_size: 256
    .name:           _ZL34rocblas_syrkx_herkx_general_kernelIidLi16ELi32ELi8ELb0ELb0ELc84ELc76EKddEviT_T0_PT8_S1_lS4_S1_lS2_PT9_S1_li
    .private_segment_fixed_size: 0
    .sgpr_count:     27
    .sgpr_spill_count: 0
    .symbol:         _ZL34rocblas_syrkx_herkx_general_kernelIidLi16ELi32ELi8ELb0ELb0ELc84ELc76EKddEviT_T0_PT8_S1_lS4_S1_lS2_PT9_S1_li.kd
    .uniform_work_group_size: 1
    .uses_dynamic_stack: false
    .vgpr_count:     44
    .vgpr_spill_count: 0
    .wavefront_size: 32
    .workgroup_processor_mode: 1
  - .args:
      - .offset:         0
        .size:           4
        .value_kind:     by_value
      - .offset:         4
        .size:           4
        .value_kind:     by_value
      - .offset:         8
        .size:           8
        .value_kind:     by_value
      - .address_space:  global
        .offset:         16
        .size:           8
        .value_kind:     global_buffer
      - .offset:         24
        .size:           4
        .value_kind:     by_value
      - .offset:         32
        .size:           8
        .value_kind:     by_value
      - .address_space:  global
        .offset:         40
        .size:           8
        .value_kind:     global_buffer
      - .offset:         48
        .size:           4
        .value_kind:     by_value
      - .offset:         56
        .size:           8
        .value_kind:     by_value
      - .offset:         64
        .size:           8
        .value_kind:     by_value
      - .address_space:  global
        .offset:         72
        .size:           8
        .value_kind:     global_buffer
      - .offset:         80
        .size:           4
        .value_kind:     by_value
      - .offset:         88
        .size:           8
        .value_kind:     by_value
      - .offset:         96
        .size:           4
        .value_kind:     by_value
    .group_segment_fixed_size: 4096
    .kernarg_segment_align: 8
    .kernarg_segment_size: 100
    .language:       OpenCL C
    .language_version:
      - 2
      - 0
    .max_flat_workgroup_size: 256
    .name:           _ZL34rocblas_syrkx_herkx_general_kernelIidLi16ELi32ELi8ELb0ELb0ELc67ELc76EKddEviT_T0_PT8_S1_lS4_S1_lS2_PT9_S1_li
    .private_segment_fixed_size: 0
    .sgpr_count:     27
    .sgpr_spill_count: 0
    .symbol:         _ZL34rocblas_syrkx_herkx_general_kernelIidLi16ELi32ELi8ELb0ELb0ELc67ELc76EKddEviT_T0_PT8_S1_lS4_S1_lS2_PT9_S1_li.kd
    .uniform_work_group_size: 1
    .uses_dynamic_stack: false
    .vgpr_count:     44
    .vgpr_spill_count: 0
    .wavefront_size: 32
    .workgroup_processor_mode: 1
  - .args:
      - .offset:         0
        .size:           4
        .value_kind:     by_value
      - .offset:         4
        .size:           4
        .value_kind:     by_value
      - .offset:         8
        .size:           8
        .value_kind:     by_value
      - .address_space:  global
        .offset:         16
        .size:           8
        .value_kind:     global_buffer
      - .offset:         24
        .size:           4
        .value_kind:     by_value
      - .offset:         32
        .size:           8
        .value_kind:     by_value
      - .address_space:  global
        .offset:         40
        .size:           8
        .value_kind:     global_buffer
      - .offset:         48
        .size:           4
        .value_kind:     by_value
      - .offset:         56
        .size:           8
        .value_kind:     by_value
      - .offset:         64
        .size:           8
        .value_kind:     by_value
      - .address_space:  global
        .offset:         72
        .size:           8
        .value_kind:     global_buffer
      - .offset:         80
        .size:           4
        .value_kind:     by_value
      - .offset:         88
        .size:           8
        .value_kind:     by_value
      - .offset:         96
        .size:           4
        .value_kind:     by_value
    .group_segment_fixed_size: 4096
    .kernarg_segment_align: 8
    .kernarg_segment_size: 100
    .language:       OpenCL C
    .language_version:
      - 2
      - 0
    .max_flat_workgroup_size: 256
    .name:           _ZL34rocblas_syrkx_herkx_general_kernelIidLi16ELi32ELi8ELb0ELb0ELc78ELc76EKddEviT_T0_PT8_S1_lS4_S1_lS2_PT9_S1_li
    .private_segment_fixed_size: 0
    .sgpr_count:     30
    .sgpr_spill_count: 0
    .symbol:         _ZL34rocblas_syrkx_herkx_general_kernelIidLi16ELi32ELi8ELb0ELb0ELc78ELc76EKddEviT_T0_PT8_S1_lS4_S1_lS2_PT9_S1_li.kd
    .uniform_work_group_size: 1
    .uses_dynamic_stack: false
    .vgpr_count:     44
    .vgpr_spill_count: 0
    .wavefront_size: 32
    .workgroup_processor_mode: 1
  - .args:
      - .offset:         0
        .size:           4
        .value_kind:     by_value
      - .offset:         4
        .size:           4
        .value_kind:     by_value
      - .offset:         8
        .size:           8
        .value_kind:     by_value
      - .address_space:  global
        .offset:         16
        .size:           8
        .value_kind:     global_buffer
      - .offset:         24
        .size:           4
        .value_kind:     by_value
      - .offset:         32
        .size:           8
        .value_kind:     by_value
      - .address_space:  global
        .offset:         40
        .size:           8
        .value_kind:     global_buffer
      - .offset:         48
        .size:           4
        .value_kind:     by_value
      - .offset:         56
        .size:           8
        .value_kind:     by_value
      - .offset:         64
        .size:           8
        .value_kind:     by_value
      - .address_space:  global
        .offset:         72
        .size:           8
        .value_kind:     global_buffer
      - .offset:         80
        .size:           4
        .value_kind:     by_value
      - .offset:         88
        .size:           8
        .value_kind:     by_value
      - .offset:         96
        .size:           4
        .value_kind:     by_value
    .group_segment_fixed_size: 4096
    .kernarg_segment_align: 8
    .kernarg_segment_size: 100
    .language:       OpenCL C
    .language_version:
      - 2
      - 0
    .max_flat_workgroup_size: 256
    .name:           _ZL34rocblas_syrkx_herkx_general_kernelIidLi16ELi32ELi8ELb0ELb0ELc84ELc85EKddEviT_T0_PT8_S1_lS4_S1_lS2_PT9_S1_li
    .private_segment_fixed_size: 0
    .sgpr_count:     27
    .sgpr_spill_count: 0
    .symbol:         _ZL34rocblas_syrkx_herkx_general_kernelIidLi16ELi32ELi8ELb0ELb0ELc84ELc85EKddEviT_T0_PT8_S1_lS4_S1_lS2_PT9_S1_li.kd
    .uniform_work_group_size: 1
    .uses_dynamic_stack: false
    .vgpr_count:     44
    .vgpr_spill_count: 0
    .wavefront_size: 32
    .workgroup_processor_mode: 1
  - .args:
      - .offset:         0
        .size:           4
        .value_kind:     by_value
      - .offset:         4
        .size:           4
        .value_kind:     by_value
      - .offset:         8
        .size:           8
        .value_kind:     by_value
      - .address_space:  global
        .offset:         16
        .size:           8
        .value_kind:     global_buffer
      - .offset:         24
        .size:           4
        .value_kind:     by_value
      - .offset:         32
        .size:           8
        .value_kind:     by_value
      - .address_space:  global
        .offset:         40
        .size:           8
        .value_kind:     global_buffer
      - .offset:         48
        .size:           4
        .value_kind:     by_value
      - .offset:         56
        .size:           8
        .value_kind:     by_value
      - .offset:         64
        .size:           8
        .value_kind:     by_value
      - .address_space:  global
        .offset:         72
        .size:           8
        .value_kind:     global_buffer
      - .offset:         80
        .size:           4
        .value_kind:     by_value
      - .offset:         88
        .size:           8
        .value_kind:     by_value
      - .offset:         96
        .size:           4
        .value_kind:     by_value
    .group_segment_fixed_size: 4096
    .kernarg_segment_align: 8
    .kernarg_segment_size: 100
    .language:       OpenCL C
    .language_version:
      - 2
      - 0
    .max_flat_workgroup_size: 256
    .name:           _ZL34rocblas_syrkx_herkx_general_kernelIidLi16ELi32ELi8ELb0ELb0ELc67ELc85EKddEviT_T0_PT8_S1_lS4_S1_lS2_PT9_S1_li
    .private_segment_fixed_size: 0
    .sgpr_count:     27
    .sgpr_spill_count: 0
    .symbol:         _ZL34rocblas_syrkx_herkx_general_kernelIidLi16ELi32ELi8ELb0ELb0ELc67ELc85EKddEviT_T0_PT8_S1_lS4_S1_lS2_PT9_S1_li.kd
    .uniform_work_group_size: 1
    .uses_dynamic_stack: false
    .vgpr_count:     44
    .vgpr_spill_count: 0
    .wavefront_size: 32
    .workgroup_processor_mode: 1
  - .args:
      - .offset:         0
        .size:           4
        .value_kind:     by_value
      - .offset:         4
        .size:           4
        .value_kind:     by_value
      - .offset:         8
        .size:           8
        .value_kind:     by_value
      - .address_space:  global
        .offset:         16
        .size:           8
        .value_kind:     global_buffer
      - .offset:         24
        .size:           4
        .value_kind:     by_value
      - .offset:         32
        .size:           8
        .value_kind:     by_value
      - .address_space:  global
        .offset:         40
        .size:           8
        .value_kind:     global_buffer
      - .offset:         48
        .size:           4
        .value_kind:     by_value
      - .offset:         56
        .size:           8
        .value_kind:     by_value
      - .offset:         64
        .size:           8
        .value_kind:     by_value
      - .address_space:  global
        .offset:         72
        .size:           8
        .value_kind:     global_buffer
      - .offset:         80
        .size:           4
        .value_kind:     by_value
      - .offset:         88
        .size:           8
        .value_kind:     by_value
      - .offset:         96
        .size:           4
        .value_kind:     by_value
    .group_segment_fixed_size: 4096
    .kernarg_segment_align: 8
    .kernarg_segment_size: 100
    .language:       OpenCL C
    .language_version:
      - 2
      - 0
    .max_flat_workgroup_size: 256
    .name:           _ZL34rocblas_syrkx_herkx_general_kernelIidLi16ELi32ELi8ELb0ELb0ELc78ELc85EKddEviT_T0_PT8_S1_lS4_S1_lS2_PT9_S1_li
    .private_segment_fixed_size: 0
    .sgpr_count:     30
    .sgpr_spill_count: 0
    .symbol:         _ZL34rocblas_syrkx_herkx_general_kernelIidLi16ELi32ELi8ELb0ELb0ELc78ELc85EKddEviT_T0_PT8_S1_lS4_S1_lS2_PT9_S1_li.kd
    .uniform_work_group_size: 1
    .uses_dynamic_stack: false
    .vgpr_count:     44
    .vgpr_spill_count: 0
    .wavefront_size: 32
    .workgroup_processor_mode: 1
  - .args:
      - .offset:         0
        .size:           1
        .value_kind:     by_value
      - .offset:         4
        .size:           4
        .value_kind:     by_value
      - .offset:         8
        .size:           4
        .value_kind:     by_value
      - .offset:         16
        .size:           8
        .value_kind:     by_value
      - .offset:         24
        .size:           8
        .value_kind:     by_value
      - .address_space:  global
        .offset:         32
        .size:           8
        .value_kind:     global_buffer
      - .offset:         40
        .size:           4
        .value_kind:     by_value
      - .offset:         48
        .size:           8
        .value_kind:     by_value
      - .offset:         56
        .size:           4
        .value_kind:     by_value
      - .offset:         64
        .size:           4
        .value_kind:     hidden_block_count_x
      - .offset:         68
        .size:           4
        .value_kind:     hidden_block_count_y
      - .offset:         72
        .size:           4
        .value_kind:     hidden_block_count_z
      - .offset:         76
        .size:           2
        .value_kind:     hidden_group_size_x
      - .offset:         78
        .size:           2
        .value_kind:     hidden_group_size_y
      - .offset:         80
        .size:           2
        .value_kind:     hidden_group_size_z
      - .offset:         82
        .size:           2
        .value_kind:     hidden_remainder_x
      - .offset:         84
        .size:           2
        .value_kind:     hidden_remainder_y
      - .offset:         86
        .size:           2
        .value_kind:     hidden_remainder_z
      - .offset:         104
        .size:           8
        .value_kind:     hidden_global_offset_x
      - .offset:         112
        .size:           8
        .value_kind:     hidden_global_offset_y
      - .offset:         120
        .size:           8
        .value_kind:     hidden_global_offset_z
      - .offset:         128
        .size:           2
        .value_kind:     hidden_grid_dims
    .group_segment_fixed_size: 0
    .kernarg_segment_align: 8
    .kernarg_segment_size: 320
    .language:       OpenCL C
    .language_version:
      - 2
      - 0
    .max_flat_workgroup_size: 1024
    .name:           _ZL26rocblas_syr2k_scale_kernelIiLi128ELi8ELb0EddPdEvbiT_T3_T4_T5_S1_li
    .private_segment_fixed_size: 0
    .sgpr_count:     18
    .sgpr_spill_count: 0
    .symbol:         _ZL26rocblas_syr2k_scale_kernelIiLi128ELi8ELb0EddPdEvbiT_T3_T4_T5_S1_li.kd
    .uniform_work_group_size: 1
    .uses_dynamic_stack: false
    .vgpr_count:     6
    .vgpr_spill_count: 0
    .wavefront_size: 32
    .workgroup_processor_mode: 1
  - .args:
      - .offset:         0
        .size:           1
        .value_kind:     by_value
      - .offset:         4
        .size:           4
        .value_kind:     by_value
      - .offset:         8
        .size:           4
        .value_kind:     by_value
      - .address_space:  global
        .offset:         16
        .size:           8
        .value_kind:     global_buffer
      - .address_space:  global
        .offset:         24
        .size:           8
        .value_kind:     global_buffer
      - .offset:         32
        .size:           4
        .value_kind:     by_value
      - .offset:         40
        .size:           8
        .value_kind:     by_value
      - .address_space:  global
        .offset:         48
        .size:           8
        .value_kind:     global_buffer
      - .offset:         56
        .size:           4
        .value_kind:     by_value
      - .offset:         64
        .size:           8
        .value_kind:     by_value
      - .address_space:  global
        .offset:         72
        .size:           8
        .value_kind:     global_buffer
      - .offset:         80
        .size:           4
        .value_kind:     by_value
      - .offset:         88
        .size:           8
        .value_kind:     by_value
      - .offset:         96
        .size:           4
        .value_kind:     by_value
    .group_segment_fixed_size: 16384
    .kernarg_segment_align: 8
    .kernarg_segment_size: 100
    .language:       OpenCL C
    .language_version:
      - 2
      - 0
    .max_flat_workgroup_size: 1024
    .name:           _ZL26rocblas_syr2k_her2k_kernelIiLb0ELb0ELb0ELi32EPKdS1_PdEvbiT_T4_T5_S3_lS5_S3_lT6_S3_li
    .private_segment_fixed_size: 0
    .sgpr_count:     26
    .sgpr_spill_count: 0
    .symbol:         _ZL26rocblas_syr2k_her2k_kernelIiLb0ELb0ELb0ELi32EPKdS1_PdEvbiT_T4_T5_S3_lS5_S3_lT6_S3_li.kd
    .uniform_work_group_size: 1
    .uses_dynamic_stack: false
    .vgpr_count:     31
    .vgpr_spill_count: 0
    .wavefront_size: 32
    .workgroup_processor_mode: 1
  - .args:
      - .offset:         0
        .size:           1
        .value_kind:     by_value
      - .offset:         4
        .size:           4
        .value_kind:     by_value
      - .offset:         8
        .size:           4
        .value_kind:     by_value
      - .address_space:  global
        .offset:         16
        .size:           8
        .value_kind:     global_buffer
      - .address_space:  global
        .offset:         24
        .size:           8
        .value_kind:     global_buffer
      - .offset:         32
        .size:           4
        .value_kind:     by_value
      - .offset:         40
        .size:           8
        .value_kind:     by_value
      - .address_space:  global
        .offset:         48
        .size:           8
        .value_kind:     global_buffer
      - .offset:         56
        .size:           4
        .value_kind:     by_value
      - .offset:         64
        .size:           8
        .value_kind:     by_value
      - .address_space:  global
        .offset:         72
        .size:           8
        .value_kind:     global_buffer
      - .offset:         80
        .size:           4
        .value_kind:     by_value
      - .offset:         88
        .size:           8
        .value_kind:     by_value
      - .offset:         96
        .size:           4
        .value_kind:     by_value
    .group_segment_fixed_size: 16384
    .kernarg_segment_align: 8
    .kernarg_segment_size: 100
    .language:       OpenCL C
    .language_version:
      - 2
      - 0
    .max_flat_workgroup_size: 1024
    .name:           _ZL26rocblas_syr2k_her2k_kernelIiLb0ELb0ELb1ELi32EPKdS1_PdEvbiT_T4_T5_S3_lS5_S3_lT6_S3_li
    .private_segment_fixed_size: 0
    .sgpr_count:     26
    .sgpr_spill_count: 0
    .symbol:         _ZL26rocblas_syr2k_her2k_kernelIiLb0ELb0ELb1ELi32EPKdS1_PdEvbiT_T4_T5_S3_lS5_S3_lT6_S3_li.kd
    .uniform_work_group_size: 1
    .uses_dynamic_stack: false
    .vgpr_count:     32
    .vgpr_spill_count: 0
    .wavefront_size: 32
    .workgroup_processor_mode: 1
  - .args:
      - .offset:         0
        .size:           1
        .value_kind:     by_value
      - .offset:         4
        .size:           4
        .value_kind:     by_value
      - .offset:         8
        .size:           4
        .value_kind:     by_value
      - .offset:         12
        .size:           8
        .value_kind:     by_value
      - .address_space:  global
        .offset:         24
        .size:           8
        .value_kind:     global_buffer
      - .offset:         32
        .size:           4
        .value_kind:     by_value
      - .offset:         40
        .size:           8
        .value_kind:     by_value
      - .address_space:  global
        .offset:         48
        .size:           8
        .value_kind:     global_buffer
      - .offset:         56
        .size:           4
        .value_kind:     by_value
      - .offset:         64
        .size:           8
        .value_kind:     by_value
      - .address_space:  global
        .offset:         72
        .size:           8
        .value_kind:     global_buffer
      - .offset:         80
        .size:           4
        .value_kind:     by_value
      - .offset:         88
        .size:           8
        .value_kind:     by_value
      - .offset:         96
        .size:           4
        .value_kind:     by_value
    .group_segment_fixed_size: 16384
    .kernarg_segment_align: 8
    .kernarg_segment_size: 100
    .language:       OpenCL C
    .language_version:
      - 2
      - 0
    .max_flat_workgroup_size: 1024
    .name:           _ZL26rocblas_syr2k_her2k_kernelIiLb0ELb0ELb0ELi32E19rocblas_complex_numIfEPKS1_PS1_EvbiT_T4_T5_S5_lS7_S5_lT6_S5_li
    .private_segment_fixed_size: 0
    .sgpr_count:     26
    .sgpr_spill_count: 0
    .symbol:         _ZL26rocblas_syr2k_her2k_kernelIiLb0ELb0ELb0ELi32E19rocblas_complex_numIfEPKS1_PS1_EvbiT_T4_T5_S5_lS7_S5_lT6_S5_li.kd
    .uniform_work_group_size: 1
    .uses_dynamic_stack: false
    .vgpr_count:     36
    .vgpr_spill_count: 0
    .wavefront_size: 32
    .workgroup_processor_mode: 1
  - .args:
      - .offset:         0
        .size:           1
        .value_kind:     by_value
      - .offset:         4
        .size:           4
        .value_kind:     by_value
      - .offset:         8
        .size:           4
        .value_kind:     by_value
      - .offset:         12
        .size:           8
        .value_kind:     by_value
      - .address_space:  global
        .offset:         24
        .size:           8
        .value_kind:     global_buffer
      - .offset:         32
        .size:           4
        .value_kind:     by_value
      - .offset:         40
        .size:           8
        .value_kind:     by_value
      - .address_space:  global
        .offset:         48
        .size:           8
        .value_kind:     global_buffer
      - .offset:         56
        .size:           4
        .value_kind:     by_value
      - .offset:         64
        .size:           8
        .value_kind:     by_value
      - .address_space:  global
        .offset:         72
        .size:           8
        .value_kind:     global_buffer
      - .offset:         80
        .size:           4
        .value_kind:     by_value
      - .offset:         88
        .size:           8
        .value_kind:     by_value
      - .offset:         96
        .size:           4
        .value_kind:     by_value
    .group_segment_fixed_size: 16384
    .kernarg_segment_align: 8
    .kernarg_segment_size: 100
    .language:       OpenCL C
    .language_version:
      - 2
      - 0
    .max_flat_workgroup_size: 1024
    .name:           _ZL26rocblas_syr2k_her2k_kernelIiLb0ELb0ELb1ELi32E19rocblas_complex_numIfEPKS1_PS1_EvbiT_T4_T5_S5_lS7_S5_lT6_S5_li
    .private_segment_fixed_size: 0
    .sgpr_count:     24
    .sgpr_spill_count: 0
    .symbol:         _ZL26rocblas_syr2k_her2k_kernelIiLb0ELb0ELb1ELi32E19rocblas_complex_numIfEPKS1_PS1_EvbiT_T4_T5_S5_lS7_S5_lT6_S5_li.kd
    .uniform_work_group_size: 1
    .uses_dynamic_stack: false
    .vgpr_count:     37
    .vgpr_spill_count: 0
    .wavefront_size: 32
    .workgroup_processor_mode: 1
  - .args:
      - .offset:         0
        .size:           4
        .value_kind:     by_value
      - .offset:         4
        .size:           4
        .value_kind:     by_value
      - .address_space:  global
        .offset:         8
        .size:           8
        .value_kind:     global_buffer
      - .offset:         16
        .size:           4
        .value_kind:     by_value
      - .offset:         24
        .size:           8
        .value_kind:     by_value
      - .address_space:  global
        .offset:         32
        .size:           8
        .value_kind:     global_buffer
      - .offset:         40
        .size:           4
        .value_kind:     by_value
      - .offset:         48
        .size:           8
        .value_kind:     by_value
      - .address_space:  global
        .offset:         56
        .size:           8
        .value_kind:     global_buffer
      - .offset:         64
        .size:           4
        .value_kind:     by_value
      - .offset:         72
        .size:           8
        .value_kind:     by_value
      - .offset:         80
        .size:           4
        .value_kind:     by_value
    .group_segment_fixed_size: 4096
    .kernarg_segment_align: 8
    .kernarg_segment_size: 84
    .language:       OpenCL C
    .language_version:
      - 2
      - 0
    .max_flat_workgroup_size: 256
    .name:           _ZL37rocblas_syrkx_herkx_restricted_kernelIi19rocblas_complex_numIfELi16ELi32ELi8ELi1ELi1ELb0ELc84ELc76EKS1_S1_EviT_PT9_S3_lS5_S3_lPT10_S3_li
    .private_segment_fixed_size: 0
    .sgpr_count:     22
    .sgpr_spill_count: 0
    .symbol:         _ZL37rocblas_syrkx_herkx_restricted_kernelIi19rocblas_complex_numIfELi16ELi32ELi8ELi1ELi1ELb0ELc84ELc76EKS1_S1_EviT_PT9_S3_lS5_S3_lPT10_S3_li.kd
    .uniform_work_group_size: 1
    .uses_dynamic_stack: false
    .vgpr_count:     91
    .vgpr_spill_count: 0
    .wavefront_size: 32
    .workgroup_processor_mode: 1
  - .args:
      - .offset:         0
        .size:           4
        .value_kind:     by_value
      - .offset:         4
        .size:           4
        .value_kind:     by_value
      - .address_space:  global
        .offset:         8
        .size:           8
        .value_kind:     global_buffer
      - .offset:         16
        .size:           4
        .value_kind:     by_value
      - .offset:         24
        .size:           8
        .value_kind:     by_value
      - .address_space:  global
        .offset:         32
        .size:           8
        .value_kind:     global_buffer
      - .offset:         40
        .size:           4
        .value_kind:     by_value
      - .offset:         48
        .size:           8
        .value_kind:     by_value
      - .address_space:  global
        .offset:         56
        .size:           8
        .value_kind:     global_buffer
      - .offset:         64
        .size:           4
        .value_kind:     by_value
      - .offset:         72
        .size:           8
        .value_kind:     by_value
      - .offset:         80
        .size:           4
        .value_kind:     by_value
    .group_segment_fixed_size: 4096
    .kernarg_segment_align: 8
    .kernarg_segment_size: 84
    .language:       OpenCL C
    .language_version:
      - 2
      - 0
    .max_flat_workgroup_size: 256
    .name:           _ZL37rocblas_syrkx_herkx_restricted_kernelIi19rocblas_complex_numIfELi16ELi32ELi8ELi1ELi1ELb0ELc67ELc76EKS1_S1_EviT_PT9_S3_lS5_S3_lPT10_S3_li
    .private_segment_fixed_size: 0
    .sgpr_count:     22
    .sgpr_spill_count: 0
    .symbol:         _ZL37rocblas_syrkx_herkx_restricted_kernelIi19rocblas_complex_numIfELi16ELi32ELi8ELi1ELi1ELb0ELc67ELc76EKS1_S1_EviT_PT9_S3_lS5_S3_lPT10_S3_li.kd
    .uniform_work_group_size: 1
    .uses_dynamic_stack: false
    .vgpr_count:     91
    .vgpr_spill_count: 0
    .wavefront_size: 32
    .workgroup_processor_mode: 1
  - .args:
      - .offset:         0
        .size:           4
        .value_kind:     by_value
      - .offset:         4
        .size:           4
        .value_kind:     by_value
      - .address_space:  global
        .offset:         8
        .size:           8
        .value_kind:     global_buffer
      - .offset:         16
        .size:           4
        .value_kind:     by_value
      - .offset:         24
        .size:           8
        .value_kind:     by_value
      - .address_space:  global
        .offset:         32
        .size:           8
        .value_kind:     global_buffer
      - .offset:         40
        .size:           4
        .value_kind:     by_value
      - .offset:         48
        .size:           8
        .value_kind:     by_value
      - .address_space:  global
        .offset:         56
        .size:           8
        .value_kind:     global_buffer
      - .offset:         64
        .size:           4
        .value_kind:     by_value
      - .offset:         72
        .size:           8
        .value_kind:     by_value
      - .offset:         80
        .size:           4
        .value_kind:     by_value
    .group_segment_fixed_size: 4096
    .kernarg_segment_align: 8
    .kernarg_segment_size: 84
    .language:       OpenCL C
    .language_version:
      - 2
      - 0
    .max_flat_workgroup_size: 256
    .name:           _ZL37rocblas_syrkx_herkx_restricted_kernelIi19rocblas_complex_numIfELi16ELi32ELi8ELi1ELi1ELb0ELc78ELc76EKS1_S1_EviT_PT9_S3_lS5_S3_lPT10_S3_li
    .private_segment_fixed_size: 0
    .sgpr_count:     25
    .sgpr_spill_count: 0
    .symbol:         _ZL37rocblas_syrkx_herkx_restricted_kernelIi19rocblas_complex_numIfELi16ELi32ELi8ELi1ELi1ELb0ELc78ELc76EKS1_S1_EviT_PT9_S3_lS5_S3_lPT10_S3_li.kd
    .uniform_work_group_size: 1
    .uses_dynamic_stack: false
    .vgpr_count:     92
    .vgpr_spill_count: 0
    .wavefront_size: 32
    .workgroup_processor_mode: 1
  - .args:
      - .offset:         0
        .size:           4
        .value_kind:     by_value
      - .offset:         4
        .size:           4
        .value_kind:     by_value
      - .address_space:  global
        .offset:         8
        .size:           8
        .value_kind:     global_buffer
      - .offset:         16
        .size:           4
        .value_kind:     by_value
      - .offset:         24
        .size:           8
        .value_kind:     by_value
      - .address_space:  global
        .offset:         32
        .size:           8
        .value_kind:     global_buffer
      - .offset:         40
        .size:           4
        .value_kind:     by_value
      - .offset:         48
        .size:           8
        .value_kind:     by_value
      - .address_space:  global
        .offset:         56
        .size:           8
        .value_kind:     global_buffer
      - .offset:         64
        .size:           4
        .value_kind:     by_value
      - .offset:         72
        .size:           8
        .value_kind:     by_value
      - .offset:         80
        .size:           4
        .value_kind:     by_value
    .group_segment_fixed_size: 4096
    .kernarg_segment_align: 8
    .kernarg_segment_size: 84
    .language:       OpenCL C
    .language_version:
      - 2
      - 0
    .max_flat_workgroup_size: 256
    .name:           _ZL37rocblas_syrkx_herkx_restricted_kernelIi19rocblas_complex_numIfELi16ELi32ELi8ELi1ELi1ELb0ELc84ELc85EKS1_S1_EviT_PT9_S3_lS5_S3_lPT10_S3_li
    .private_segment_fixed_size: 0
    .sgpr_count:     22
    .sgpr_spill_count: 0
    .symbol:         _ZL37rocblas_syrkx_herkx_restricted_kernelIi19rocblas_complex_numIfELi16ELi32ELi8ELi1ELi1ELb0ELc84ELc85EKS1_S1_EviT_PT9_S3_lS5_S3_lPT10_S3_li.kd
    .uniform_work_group_size: 1
    .uses_dynamic_stack: false
    .vgpr_count:     91
    .vgpr_spill_count: 0
    .wavefront_size: 32
    .workgroup_processor_mode: 1
  - .args:
      - .offset:         0
        .size:           4
        .value_kind:     by_value
      - .offset:         4
        .size:           4
        .value_kind:     by_value
      - .address_space:  global
        .offset:         8
        .size:           8
        .value_kind:     global_buffer
      - .offset:         16
        .size:           4
        .value_kind:     by_value
      - .offset:         24
        .size:           8
        .value_kind:     by_value
      - .address_space:  global
        .offset:         32
        .size:           8
        .value_kind:     global_buffer
      - .offset:         40
        .size:           4
        .value_kind:     by_value
      - .offset:         48
        .size:           8
        .value_kind:     by_value
      - .address_space:  global
        .offset:         56
        .size:           8
        .value_kind:     global_buffer
      - .offset:         64
        .size:           4
        .value_kind:     by_value
      - .offset:         72
        .size:           8
        .value_kind:     by_value
      - .offset:         80
        .size:           4
        .value_kind:     by_value
    .group_segment_fixed_size: 4096
    .kernarg_segment_align: 8
    .kernarg_segment_size: 84
    .language:       OpenCL C
    .language_version:
      - 2
      - 0
    .max_flat_workgroup_size: 256
    .name:           _ZL37rocblas_syrkx_herkx_restricted_kernelIi19rocblas_complex_numIfELi16ELi32ELi8ELi1ELi1ELb0ELc67ELc85EKS1_S1_EviT_PT9_S3_lS5_S3_lPT10_S3_li
    .private_segment_fixed_size: 0
    .sgpr_count:     22
    .sgpr_spill_count: 0
    .symbol:         _ZL37rocblas_syrkx_herkx_restricted_kernelIi19rocblas_complex_numIfELi16ELi32ELi8ELi1ELi1ELb0ELc67ELc85EKS1_S1_EviT_PT9_S3_lS5_S3_lPT10_S3_li.kd
    .uniform_work_group_size: 1
    .uses_dynamic_stack: false
    .vgpr_count:     91
    .vgpr_spill_count: 0
    .wavefront_size: 32
    .workgroup_processor_mode: 1
  - .args:
      - .offset:         0
        .size:           4
        .value_kind:     by_value
      - .offset:         4
        .size:           4
        .value_kind:     by_value
      - .address_space:  global
        .offset:         8
        .size:           8
        .value_kind:     global_buffer
      - .offset:         16
        .size:           4
        .value_kind:     by_value
      - .offset:         24
        .size:           8
        .value_kind:     by_value
      - .address_space:  global
        .offset:         32
        .size:           8
        .value_kind:     global_buffer
      - .offset:         40
        .size:           4
        .value_kind:     by_value
      - .offset:         48
        .size:           8
        .value_kind:     by_value
      - .address_space:  global
        .offset:         56
        .size:           8
        .value_kind:     global_buffer
      - .offset:         64
        .size:           4
        .value_kind:     by_value
      - .offset:         72
        .size:           8
        .value_kind:     by_value
      - .offset:         80
        .size:           4
        .value_kind:     by_value
    .group_segment_fixed_size: 4096
    .kernarg_segment_align: 8
    .kernarg_segment_size: 84
    .language:       OpenCL C
    .language_version:
      - 2
      - 0
    .max_flat_workgroup_size: 256
    .name:           _ZL37rocblas_syrkx_herkx_restricted_kernelIi19rocblas_complex_numIfELi16ELi32ELi8ELi1ELi1ELb0ELc78ELc85EKS1_S1_EviT_PT9_S3_lS5_S3_lPT10_S3_li
    .private_segment_fixed_size: 0
    .sgpr_count:     25
    .sgpr_spill_count: 0
    .symbol:         _ZL37rocblas_syrkx_herkx_restricted_kernelIi19rocblas_complex_numIfELi16ELi32ELi8ELi1ELi1ELb0ELc78ELc85EKS1_S1_EviT_PT9_S3_lS5_S3_lPT10_S3_li.kd
    .uniform_work_group_size: 1
    .uses_dynamic_stack: false
    .vgpr_count:     92
    .vgpr_spill_count: 0
    .wavefront_size: 32
    .workgroup_processor_mode: 1
  - .args:
      - .offset:         0
        .size:           4
        .value_kind:     by_value
      - .offset:         4
        .size:           4
        .value_kind:     by_value
      - .address_space:  global
        .offset:         8
        .size:           8
        .value_kind:     global_buffer
      - .offset:         16
        .size:           4
        .value_kind:     by_value
      - .offset:         24
        .size:           8
        .value_kind:     by_value
      - .address_space:  global
        .offset:         32
        .size:           8
        .value_kind:     global_buffer
      - .offset:         40
        .size:           4
        .value_kind:     by_value
      - .offset:         48
        .size:           8
        .value_kind:     by_value
      - .address_space:  global
        .offset:         56
        .size:           8
        .value_kind:     global_buffer
      - .offset:         64
        .size:           4
        .value_kind:     by_value
      - .offset:         72
        .size:           8
        .value_kind:     by_value
      - .offset:         80
        .size:           4
        .value_kind:     by_value
    .group_segment_fixed_size: 4096
    .kernarg_segment_align: 8
    .kernarg_segment_size: 84
    .language:       OpenCL C
    .language_version:
      - 2
      - 0
    .max_flat_workgroup_size: 256
    .name:           _ZL37rocblas_syrkx_herkx_restricted_kernelIi19rocblas_complex_numIfELi16ELi32ELi8ELi1ELin1ELb0ELc84ELc76EKS1_S1_EviT_PT9_S3_lS5_S3_lPT10_S3_li
    .private_segment_fixed_size: 0
    .sgpr_count:     22
    .sgpr_spill_count: 0
    .symbol:         _ZL37rocblas_syrkx_herkx_restricted_kernelIi19rocblas_complex_numIfELi16ELi32ELi8ELi1ELin1ELb0ELc84ELc76EKS1_S1_EviT_PT9_S3_lS5_S3_lPT10_S3_li.kd
    .uniform_work_group_size: 1
    .uses_dynamic_stack: false
    .vgpr_count:     91
    .vgpr_spill_count: 0
    .wavefront_size: 32
    .workgroup_processor_mode: 1
  - .args:
      - .offset:         0
        .size:           4
        .value_kind:     by_value
      - .offset:         4
        .size:           4
        .value_kind:     by_value
      - .address_space:  global
        .offset:         8
        .size:           8
        .value_kind:     global_buffer
      - .offset:         16
        .size:           4
        .value_kind:     by_value
      - .offset:         24
        .size:           8
        .value_kind:     by_value
      - .address_space:  global
        .offset:         32
        .size:           8
        .value_kind:     global_buffer
      - .offset:         40
        .size:           4
        .value_kind:     by_value
      - .offset:         48
        .size:           8
        .value_kind:     by_value
      - .address_space:  global
        .offset:         56
        .size:           8
        .value_kind:     global_buffer
      - .offset:         64
        .size:           4
        .value_kind:     by_value
      - .offset:         72
        .size:           8
        .value_kind:     by_value
      - .offset:         80
        .size:           4
        .value_kind:     by_value
    .group_segment_fixed_size: 4096
    .kernarg_segment_align: 8
    .kernarg_segment_size: 84
    .language:       OpenCL C
    .language_version:
      - 2
      - 0
    .max_flat_workgroup_size: 256
    .name:           _ZL37rocblas_syrkx_herkx_restricted_kernelIi19rocblas_complex_numIfELi16ELi32ELi8ELi1ELin1ELb0ELc67ELc76EKS1_S1_EviT_PT9_S3_lS5_S3_lPT10_S3_li
    .private_segment_fixed_size: 0
    .sgpr_count:     22
    .sgpr_spill_count: 0
    .symbol:         _ZL37rocblas_syrkx_herkx_restricted_kernelIi19rocblas_complex_numIfELi16ELi32ELi8ELi1ELin1ELb0ELc67ELc76EKS1_S1_EviT_PT9_S3_lS5_S3_lPT10_S3_li.kd
    .uniform_work_group_size: 1
    .uses_dynamic_stack: false
    .vgpr_count:     91
    .vgpr_spill_count: 0
    .wavefront_size: 32
    .workgroup_processor_mode: 1
  - .args:
      - .offset:         0
        .size:           4
        .value_kind:     by_value
      - .offset:         4
        .size:           4
        .value_kind:     by_value
      - .address_space:  global
        .offset:         8
        .size:           8
        .value_kind:     global_buffer
      - .offset:         16
        .size:           4
        .value_kind:     by_value
      - .offset:         24
        .size:           8
        .value_kind:     by_value
      - .address_space:  global
        .offset:         32
        .size:           8
        .value_kind:     global_buffer
      - .offset:         40
        .size:           4
        .value_kind:     by_value
      - .offset:         48
        .size:           8
        .value_kind:     by_value
      - .address_space:  global
        .offset:         56
        .size:           8
        .value_kind:     global_buffer
      - .offset:         64
        .size:           4
        .value_kind:     by_value
      - .offset:         72
        .size:           8
        .value_kind:     by_value
      - .offset:         80
        .size:           4
        .value_kind:     by_value
    .group_segment_fixed_size: 4096
    .kernarg_segment_align: 8
    .kernarg_segment_size: 84
    .language:       OpenCL C
    .language_version:
      - 2
      - 0
    .max_flat_workgroup_size: 256
    .name:           _ZL37rocblas_syrkx_herkx_restricted_kernelIi19rocblas_complex_numIfELi16ELi32ELi8ELi1ELin1ELb0ELc78ELc76EKS1_S1_EviT_PT9_S3_lS5_S3_lPT10_S3_li
    .private_segment_fixed_size: 0
    .sgpr_count:     25
    .sgpr_spill_count: 0
    .symbol:         _ZL37rocblas_syrkx_herkx_restricted_kernelIi19rocblas_complex_numIfELi16ELi32ELi8ELi1ELin1ELb0ELc78ELc76EKS1_S1_EviT_PT9_S3_lS5_S3_lPT10_S3_li.kd
    .uniform_work_group_size: 1
    .uses_dynamic_stack: false
    .vgpr_count:     92
    .vgpr_spill_count: 0
    .wavefront_size: 32
    .workgroup_processor_mode: 1
  - .args:
      - .offset:         0
        .size:           4
        .value_kind:     by_value
      - .offset:         4
        .size:           4
        .value_kind:     by_value
      - .address_space:  global
        .offset:         8
        .size:           8
        .value_kind:     global_buffer
      - .offset:         16
        .size:           4
        .value_kind:     by_value
      - .offset:         24
        .size:           8
        .value_kind:     by_value
      - .address_space:  global
        .offset:         32
        .size:           8
        .value_kind:     global_buffer
      - .offset:         40
        .size:           4
        .value_kind:     by_value
      - .offset:         48
        .size:           8
        .value_kind:     by_value
      - .address_space:  global
        .offset:         56
        .size:           8
        .value_kind:     global_buffer
      - .offset:         64
        .size:           4
        .value_kind:     by_value
      - .offset:         72
        .size:           8
        .value_kind:     by_value
      - .offset:         80
        .size:           4
        .value_kind:     by_value
    .group_segment_fixed_size: 4096
    .kernarg_segment_align: 8
    .kernarg_segment_size: 84
    .language:       OpenCL C
    .language_version:
      - 2
      - 0
    .max_flat_workgroup_size: 256
    .name:           _ZL37rocblas_syrkx_herkx_restricted_kernelIi19rocblas_complex_numIfELi16ELi32ELi8ELi1ELin1ELb0ELc84ELc85EKS1_S1_EviT_PT9_S3_lS5_S3_lPT10_S3_li
    .private_segment_fixed_size: 0
    .sgpr_count:     22
    .sgpr_spill_count: 0
    .symbol:         _ZL37rocblas_syrkx_herkx_restricted_kernelIi19rocblas_complex_numIfELi16ELi32ELi8ELi1ELin1ELb0ELc84ELc85EKS1_S1_EviT_PT9_S3_lS5_S3_lPT10_S3_li.kd
    .uniform_work_group_size: 1
    .uses_dynamic_stack: false
    .vgpr_count:     91
    .vgpr_spill_count: 0
    .wavefront_size: 32
    .workgroup_processor_mode: 1
  - .args:
      - .offset:         0
        .size:           4
        .value_kind:     by_value
      - .offset:         4
        .size:           4
        .value_kind:     by_value
      - .address_space:  global
        .offset:         8
        .size:           8
        .value_kind:     global_buffer
      - .offset:         16
        .size:           4
        .value_kind:     by_value
      - .offset:         24
        .size:           8
        .value_kind:     by_value
      - .address_space:  global
        .offset:         32
        .size:           8
        .value_kind:     global_buffer
      - .offset:         40
        .size:           4
        .value_kind:     by_value
      - .offset:         48
        .size:           8
        .value_kind:     by_value
      - .address_space:  global
        .offset:         56
        .size:           8
        .value_kind:     global_buffer
      - .offset:         64
        .size:           4
        .value_kind:     by_value
      - .offset:         72
        .size:           8
        .value_kind:     by_value
      - .offset:         80
        .size:           4
        .value_kind:     by_value
    .group_segment_fixed_size: 4096
    .kernarg_segment_align: 8
    .kernarg_segment_size: 84
    .language:       OpenCL C
    .language_version:
      - 2
      - 0
    .max_flat_workgroup_size: 256
    .name:           _ZL37rocblas_syrkx_herkx_restricted_kernelIi19rocblas_complex_numIfELi16ELi32ELi8ELi1ELin1ELb0ELc67ELc85EKS1_S1_EviT_PT9_S3_lS5_S3_lPT10_S3_li
    .private_segment_fixed_size: 0
    .sgpr_count:     22
    .sgpr_spill_count: 0
    .symbol:         _ZL37rocblas_syrkx_herkx_restricted_kernelIi19rocblas_complex_numIfELi16ELi32ELi8ELi1ELin1ELb0ELc67ELc85EKS1_S1_EviT_PT9_S3_lS5_S3_lPT10_S3_li.kd
    .uniform_work_group_size: 1
    .uses_dynamic_stack: false
    .vgpr_count:     91
    .vgpr_spill_count: 0
    .wavefront_size: 32
    .workgroup_processor_mode: 1
  - .args:
      - .offset:         0
        .size:           4
        .value_kind:     by_value
      - .offset:         4
        .size:           4
        .value_kind:     by_value
      - .address_space:  global
        .offset:         8
        .size:           8
        .value_kind:     global_buffer
      - .offset:         16
        .size:           4
        .value_kind:     by_value
      - .offset:         24
        .size:           8
        .value_kind:     by_value
      - .address_space:  global
        .offset:         32
        .size:           8
        .value_kind:     global_buffer
      - .offset:         40
        .size:           4
        .value_kind:     by_value
      - .offset:         48
        .size:           8
        .value_kind:     by_value
      - .address_space:  global
        .offset:         56
        .size:           8
        .value_kind:     global_buffer
      - .offset:         64
        .size:           4
        .value_kind:     by_value
      - .offset:         72
        .size:           8
        .value_kind:     by_value
      - .offset:         80
        .size:           4
        .value_kind:     by_value
    .group_segment_fixed_size: 4096
    .kernarg_segment_align: 8
    .kernarg_segment_size: 84
    .language:       OpenCL C
    .language_version:
      - 2
      - 0
    .max_flat_workgroup_size: 256
    .name:           _ZL37rocblas_syrkx_herkx_restricted_kernelIi19rocblas_complex_numIfELi16ELi32ELi8ELi1ELin1ELb0ELc78ELc85EKS1_S1_EviT_PT9_S3_lS5_S3_lPT10_S3_li
    .private_segment_fixed_size: 0
    .sgpr_count:     25
    .sgpr_spill_count: 0
    .symbol:         _ZL37rocblas_syrkx_herkx_restricted_kernelIi19rocblas_complex_numIfELi16ELi32ELi8ELi1ELin1ELb0ELc78ELc85EKS1_S1_EviT_PT9_S3_lS5_S3_lPT10_S3_li.kd
    .uniform_work_group_size: 1
    .uses_dynamic_stack: false
    .vgpr_count:     92
    .vgpr_spill_count: 0
    .wavefront_size: 32
    .workgroup_processor_mode: 1
  - .args:
      - .offset:         0
        .size:           4
        .value_kind:     by_value
      - .offset:         4
        .size:           4
        .value_kind:     by_value
      - .address_space:  global
        .offset:         8
        .size:           8
        .value_kind:     global_buffer
      - .offset:         16
        .size:           4
        .value_kind:     by_value
      - .offset:         24
        .size:           8
        .value_kind:     by_value
      - .address_space:  global
        .offset:         32
        .size:           8
        .value_kind:     global_buffer
      - .offset:         40
        .size:           4
        .value_kind:     by_value
      - .offset:         48
        .size:           8
        .value_kind:     by_value
      - .address_space:  global
        .offset:         56
        .size:           8
        .value_kind:     global_buffer
      - .offset:         64
        .size:           4
        .value_kind:     by_value
      - .offset:         72
        .size:           8
        .value_kind:     by_value
      - .offset:         80
        .size:           4
        .value_kind:     by_value
    .group_segment_fixed_size: 4096
    .kernarg_segment_align: 8
    .kernarg_segment_size: 84
    .language:       OpenCL C
    .language_version:
      - 2
      - 0
    .max_flat_workgroup_size: 256
    .name:           _ZL37rocblas_syrkx_herkx_restricted_kernelIi19rocblas_complex_numIfELi16ELi32ELi8ELi1ELi0ELb0ELc84ELc76EKS1_S1_EviT_PT9_S3_lS5_S3_lPT10_S3_li
    .private_segment_fixed_size: 0
    .sgpr_count:     22
    .sgpr_spill_count: 0
    .symbol:         _ZL37rocblas_syrkx_herkx_restricted_kernelIi19rocblas_complex_numIfELi16ELi32ELi8ELi1ELi0ELb0ELc84ELc76EKS1_S1_EviT_PT9_S3_lS5_S3_lPT10_S3_li.kd
    .uniform_work_group_size: 1
    .uses_dynamic_stack: false
    .vgpr_count:     92
    .vgpr_spill_count: 0
    .wavefront_size: 32
    .workgroup_processor_mode: 1
  - .args:
      - .offset:         0
        .size:           4
        .value_kind:     by_value
      - .offset:         4
        .size:           4
        .value_kind:     by_value
      - .address_space:  global
        .offset:         8
        .size:           8
        .value_kind:     global_buffer
      - .offset:         16
        .size:           4
        .value_kind:     by_value
      - .offset:         24
        .size:           8
        .value_kind:     by_value
      - .address_space:  global
        .offset:         32
        .size:           8
        .value_kind:     global_buffer
      - .offset:         40
        .size:           4
        .value_kind:     by_value
      - .offset:         48
        .size:           8
        .value_kind:     by_value
      - .address_space:  global
        .offset:         56
        .size:           8
        .value_kind:     global_buffer
      - .offset:         64
        .size:           4
        .value_kind:     by_value
      - .offset:         72
        .size:           8
        .value_kind:     by_value
      - .offset:         80
        .size:           4
        .value_kind:     by_value
    .group_segment_fixed_size: 4096
    .kernarg_segment_align: 8
    .kernarg_segment_size: 84
    .language:       OpenCL C
    .language_version:
      - 2
      - 0
    .max_flat_workgroup_size: 256
    .name:           _ZL37rocblas_syrkx_herkx_restricted_kernelIi19rocblas_complex_numIfELi16ELi32ELi8ELi1ELi0ELb0ELc67ELc76EKS1_S1_EviT_PT9_S3_lS5_S3_lPT10_S3_li
    .private_segment_fixed_size: 0
    .sgpr_count:     22
    .sgpr_spill_count: 0
    .symbol:         _ZL37rocblas_syrkx_herkx_restricted_kernelIi19rocblas_complex_numIfELi16ELi32ELi8ELi1ELi0ELb0ELc67ELc76EKS1_S1_EviT_PT9_S3_lS5_S3_lPT10_S3_li.kd
    .uniform_work_group_size: 1
    .uses_dynamic_stack: false
    .vgpr_count:     92
    .vgpr_spill_count: 0
    .wavefront_size: 32
    .workgroup_processor_mode: 1
  - .args:
      - .offset:         0
        .size:           4
        .value_kind:     by_value
      - .offset:         4
        .size:           4
        .value_kind:     by_value
      - .address_space:  global
        .offset:         8
        .size:           8
        .value_kind:     global_buffer
      - .offset:         16
        .size:           4
        .value_kind:     by_value
      - .offset:         24
        .size:           8
        .value_kind:     by_value
      - .address_space:  global
        .offset:         32
        .size:           8
        .value_kind:     global_buffer
      - .offset:         40
        .size:           4
        .value_kind:     by_value
      - .offset:         48
        .size:           8
        .value_kind:     by_value
      - .address_space:  global
        .offset:         56
        .size:           8
        .value_kind:     global_buffer
      - .offset:         64
        .size:           4
        .value_kind:     by_value
      - .offset:         72
        .size:           8
        .value_kind:     by_value
      - .offset:         80
        .size:           4
        .value_kind:     by_value
    .group_segment_fixed_size: 4096
    .kernarg_segment_align: 8
    .kernarg_segment_size: 84
    .language:       OpenCL C
    .language_version:
      - 2
      - 0
    .max_flat_workgroup_size: 256
    .name:           _ZL37rocblas_syrkx_herkx_restricted_kernelIi19rocblas_complex_numIfELi16ELi32ELi8ELi1ELi0ELb0ELc78ELc76EKS1_S1_EviT_PT9_S3_lS5_S3_lPT10_S3_li
    .private_segment_fixed_size: 0
    .sgpr_count:     25
    .sgpr_spill_count: 0
    .symbol:         _ZL37rocblas_syrkx_herkx_restricted_kernelIi19rocblas_complex_numIfELi16ELi32ELi8ELi1ELi0ELb0ELc78ELc76EKS1_S1_EviT_PT9_S3_lS5_S3_lPT10_S3_li.kd
    .uniform_work_group_size: 1
    .uses_dynamic_stack: false
    .vgpr_count:     92
    .vgpr_spill_count: 0
    .wavefront_size: 32
    .workgroup_processor_mode: 1
  - .args:
      - .offset:         0
        .size:           4
        .value_kind:     by_value
      - .offset:         4
        .size:           4
        .value_kind:     by_value
      - .address_space:  global
        .offset:         8
        .size:           8
        .value_kind:     global_buffer
      - .offset:         16
        .size:           4
        .value_kind:     by_value
      - .offset:         24
        .size:           8
        .value_kind:     by_value
      - .address_space:  global
        .offset:         32
        .size:           8
        .value_kind:     global_buffer
      - .offset:         40
        .size:           4
        .value_kind:     by_value
      - .offset:         48
        .size:           8
        .value_kind:     by_value
      - .address_space:  global
        .offset:         56
        .size:           8
        .value_kind:     global_buffer
      - .offset:         64
        .size:           4
        .value_kind:     by_value
      - .offset:         72
        .size:           8
        .value_kind:     by_value
      - .offset:         80
        .size:           4
        .value_kind:     by_value
    .group_segment_fixed_size: 4096
    .kernarg_segment_align: 8
    .kernarg_segment_size: 84
    .language:       OpenCL C
    .language_version:
      - 2
      - 0
    .max_flat_workgroup_size: 256
    .name:           _ZL37rocblas_syrkx_herkx_restricted_kernelIi19rocblas_complex_numIfELi16ELi32ELi8ELi1ELi0ELb0ELc84ELc85EKS1_S1_EviT_PT9_S3_lS5_S3_lPT10_S3_li
    .private_segment_fixed_size: 0
    .sgpr_count:     22
    .sgpr_spill_count: 0
    .symbol:         _ZL37rocblas_syrkx_herkx_restricted_kernelIi19rocblas_complex_numIfELi16ELi32ELi8ELi1ELi0ELb0ELc84ELc85EKS1_S1_EviT_PT9_S3_lS5_S3_lPT10_S3_li.kd
    .uniform_work_group_size: 1
    .uses_dynamic_stack: false
    .vgpr_count:     92
    .vgpr_spill_count: 0
    .wavefront_size: 32
    .workgroup_processor_mode: 1
  - .args:
      - .offset:         0
        .size:           4
        .value_kind:     by_value
      - .offset:         4
        .size:           4
        .value_kind:     by_value
      - .address_space:  global
        .offset:         8
        .size:           8
        .value_kind:     global_buffer
      - .offset:         16
        .size:           4
        .value_kind:     by_value
      - .offset:         24
        .size:           8
        .value_kind:     by_value
      - .address_space:  global
        .offset:         32
        .size:           8
        .value_kind:     global_buffer
      - .offset:         40
        .size:           4
        .value_kind:     by_value
      - .offset:         48
        .size:           8
        .value_kind:     by_value
      - .address_space:  global
        .offset:         56
        .size:           8
        .value_kind:     global_buffer
      - .offset:         64
        .size:           4
        .value_kind:     by_value
      - .offset:         72
        .size:           8
        .value_kind:     by_value
      - .offset:         80
        .size:           4
        .value_kind:     by_value
    .group_segment_fixed_size: 4096
    .kernarg_segment_align: 8
    .kernarg_segment_size: 84
    .language:       OpenCL C
    .language_version:
      - 2
      - 0
    .max_flat_workgroup_size: 256
    .name:           _ZL37rocblas_syrkx_herkx_restricted_kernelIi19rocblas_complex_numIfELi16ELi32ELi8ELi1ELi0ELb0ELc67ELc85EKS1_S1_EviT_PT9_S3_lS5_S3_lPT10_S3_li
    .private_segment_fixed_size: 0
    .sgpr_count:     22
    .sgpr_spill_count: 0
    .symbol:         _ZL37rocblas_syrkx_herkx_restricted_kernelIi19rocblas_complex_numIfELi16ELi32ELi8ELi1ELi0ELb0ELc67ELc85EKS1_S1_EviT_PT9_S3_lS5_S3_lPT10_S3_li.kd
    .uniform_work_group_size: 1
    .uses_dynamic_stack: false
    .vgpr_count:     92
    .vgpr_spill_count: 0
    .wavefront_size: 32
    .workgroup_processor_mode: 1
  - .args:
      - .offset:         0
        .size:           4
        .value_kind:     by_value
      - .offset:         4
        .size:           4
        .value_kind:     by_value
      - .address_space:  global
        .offset:         8
        .size:           8
        .value_kind:     global_buffer
      - .offset:         16
        .size:           4
        .value_kind:     by_value
      - .offset:         24
        .size:           8
        .value_kind:     by_value
      - .address_space:  global
        .offset:         32
        .size:           8
        .value_kind:     global_buffer
      - .offset:         40
        .size:           4
        .value_kind:     by_value
      - .offset:         48
        .size:           8
        .value_kind:     by_value
      - .address_space:  global
        .offset:         56
        .size:           8
        .value_kind:     global_buffer
      - .offset:         64
        .size:           4
        .value_kind:     by_value
      - .offset:         72
        .size:           8
        .value_kind:     by_value
      - .offset:         80
        .size:           4
        .value_kind:     by_value
    .group_segment_fixed_size: 4096
    .kernarg_segment_align: 8
    .kernarg_segment_size: 84
    .language:       OpenCL C
    .language_version:
      - 2
      - 0
    .max_flat_workgroup_size: 256
    .name:           _ZL37rocblas_syrkx_herkx_restricted_kernelIi19rocblas_complex_numIfELi16ELi32ELi8ELi1ELi0ELb0ELc78ELc85EKS1_S1_EviT_PT9_S3_lS5_S3_lPT10_S3_li
    .private_segment_fixed_size: 0
    .sgpr_count:     25
    .sgpr_spill_count: 0
    .symbol:         _ZL37rocblas_syrkx_herkx_restricted_kernelIi19rocblas_complex_numIfELi16ELi32ELi8ELi1ELi0ELb0ELc78ELc85EKS1_S1_EviT_PT9_S3_lS5_S3_lPT10_S3_li.kd
    .uniform_work_group_size: 1
    .uses_dynamic_stack: false
    .vgpr_count:     92
    .vgpr_spill_count: 0
    .wavefront_size: 32
    .workgroup_processor_mode: 1
  - .args:
      - .offset:         0
        .size:           4
        .value_kind:     by_value
      - .offset:         4
        .size:           4
        .value_kind:     by_value
      - .address_space:  global
        .offset:         8
        .size:           8
        .value_kind:     global_buffer
      - .offset:         16
        .size:           4
        .value_kind:     by_value
      - .offset:         24
        .size:           8
        .value_kind:     by_value
      - .address_space:  global
        .offset:         32
        .size:           8
        .value_kind:     global_buffer
      - .offset:         40
        .size:           4
        .value_kind:     by_value
      - .offset:         48
        .size:           8
        .value_kind:     by_value
      - .address_space:  global
        .offset:         56
        .size:           8
        .value_kind:     global_buffer
      - .offset:         64
        .size:           4
        .value_kind:     by_value
      - .offset:         72
        .size:           8
        .value_kind:     by_value
      - .offset:         80
        .size:           4
        .value_kind:     by_value
    .group_segment_fixed_size: 4096
    .kernarg_segment_align: 8
    .kernarg_segment_size: 84
    .language:       OpenCL C
    .language_version:
      - 2
      - 0
    .max_flat_workgroup_size: 256
    .name:           _ZL37rocblas_syrkx_herkx_restricted_kernelIi19rocblas_complex_numIfELi16ELi32ELi8ELin1ELi0ELb0ELc84ELc76EKS1_S1_EviT_PT9_S3_lS5_S3_lPT10_S3_li
    .private_segment_fixed_size: 0
    .sgpr_count:     22
    .sgpr_spill_count: 0
    .symbol:         _ZL37rocblas_syrkx_herkx_restricted_kernelIi19rocblas_complex_numIfELi16ELi32ELi8ELin1ELi0ELb0ELc84ELc76EKS1_S1_EviT_PT9_S3_lS5_S3_lPT10_S3_li.kd
    .uniform_work_group_size: 1
    .uses_dynamic_stack: false
    .vgpr_count:     91
    .vgpr_spill_count: 0
    .wavefront_size: 32
    .workgroup_processor_mode: 1
  - .args:
      - .offset:         0
        .size:           4
        .value_kind:     by_value
      - .offset:         4
        .size:           4
        .value_kind:     by_value
      - .address_space:  global
        .offset:         8
        .size:           8
        .value_kind:     global_buffer
      - .offset:         16
        .size:           4
        .value_kind:     by_value
      - .offset:         24
        .size:           8
        .value_kind:     by_value
      - .address_space:  global
        .offset:         32
        .size:           8
        .value_kind:     global_buffer
      - .offset:         40
        .size:           4
        .value_kind:     by_value
      - .offset:         48
        .size:           8
        .value_kind:     by_value
      - .address_space:  global
        .offset:         56
        .size:           8
        .value_kind:     global_buffer
      - .offset:         64
        .size:           4
        .value_kind:     by_value
      - .offset:         72
        .size:           8
        .value_kind:     by_value
      - .offset:         80
        .size:           4
        .value_kind:     by_value
    .group_segment_fixed_size: 4096
    .kernarg_segment_align: 8
    .kernarg_segment_size: 84
    .language:       OpenCL C
    .language_version:
      - 2
      - 0
    .max_flat_workgroup_size: 256
    .name:           _ZL37rocblas_syrkx_herkx_restricted_kernelIi19rocblas_complex_numIfELi16ELi32ELi8ELin1ELi0ELb0ELc67ELc76EKS1_S1_EviT_PT9_S3_lS5_S3_lPT10_S3_li
    .private_segment_fixed_size: 0
    .sgpr_count:     22
    .sgpr_spill_count: 0
    .symbol:         _ZL37rocblas_syrkx_herkx_restricted_kernelIi19rocblas_complex_numIfELi16ELi32ELi8ELin1ELi0ELb0ELc67ELc76EKS1_S1_EviT_PT9_S3_lS5_S3_lPT10_S3_li.kd
    .uniform_work_group_size: 1
    .uses_dynamic_stack: false
    .vgpr_count:     91
    .vgpr_spill_count: 0
    .wavefront_size: 32
    .workgroup_processor_mode: 1
  - .args:
      - .offset:         0
        .size:           4
        .value_kind:     by_value
      - .offset:         4
        .size:           4
        .value_kind:     by_value
      - .address_space:  global
        .offset:         8
        .size:           8
        .value_kind:     global_buffer
      - .offset:         16
        .size:           4
        .value_kind:     by_value
      - .offset:         24
        .size:           8
        .value_kind:     by_value
      - .address_space:  global
        .offset:         32
        .size:           8
        .value_kind:     global_buffer
      - .offset:         40
        .size:           4
        .value_kind:     by_value
      - .offset:         48
        .size:           8
        .value_kind:     by_value
      - .address_space:  global
        .offset:         56
        .size:           8
        .value_kind:     global_buffer
      - .offset:         64
        .size:           4
        .value_kind:     by_value
      - .offset:         72
        .size:           8
        .value_kind:     by_value
      - .offset:         80
        .size:           4
        .value_kind:     by_value
    .group_segment_fixed_size: 4096
    .kernarg_segment_align: 8
    .kernarg_segment_size: 84
    .language:       OpenCL C
    .language_version:
      - 2
      - 0
    .max_flat_workgroup_size: 256
    .name:           _ZL37rocblas_syrkx_herkx_restricted_kernelIi19rocblas_complex_numIfELi16ELi32ELi8ELin1ELi0ELb0ELc78ELc76EKS1_S1_EviT_PT9_S3_lS5_S3_lPT10_S3_li
    .private_segment_fixed_size: 0
    .sgpr_count:     25
    .sgpr_spill_count: 0
    .symbol:         _ZL37rocblas_syrkx_herkx_restricted_kernelIi19rocblas_complex_numIfELi16ELi32ELi8ELin1ELi0ELb0ELc78ELc76EKS1_S1_EviT_PT9_S3_lS5_S3_lPT10_S3_li.kd
    .uniform_work_group_size: 1
    .uses_dynamic_stack: false
    .vgpr_count:     92
    .vgpr_spill_count: 0
    .wavefront_size: 32
    .workgroup_processor_mode: 1
  - .args:
      - .offset:         0
        .size:           4
        .value_kind:     by_value
      - .offset:         4
        .size:           4
        .value_kind:     by_value
      - .address_space:  global
        .offset:         8
        .size:           8
        .value_kind:     global_buffer
      - .offset:         16
        .size:           4
        .value_kind:     by_value
      - .offset:         24
        .size:           8
        .value_kind:     by_value
      - .address_space:  global
        .offset:         32
        .size:           8
        .value_kind:     global_buffer
      - .offset:         40
        .size:           4
        .value_kind:     by_value
      - .offset:         48
        .size:           8
        .value_kind:     by_value
      - .address_space:  global
        .offset:         56
        .size:           8
        .value_kind:     global_buffer
      - .offset:         64
        .size:           4
        .value_kind:     by_value
      - .offset:         72
        .size:           8
        .value_kind:     by_value
      - .offset:         80
        .size:           4
        .value_kind:     by_value
    .group_segment_fixed_size: 4096
    .kernarg_segment_align: 8
    .kernarg_segment_size: 84
    .language:       OpenCL C
    .language_version:
      - 2
      - 0
    .max_flat_workgroup_size: 256
    .name:           _ZL37rocblas_syrkx_herkx_restricted_kernelIi19rocblas_complex_numIfELi16ELi32ELi8ELin1ELi0ELb0ELc84ELc85EKS1_S1_EviT_PT9_S3_lS5_S3_lPT10_S3_li
    .private_segment_fixed_size: 0
    .sgpr_count:     22
    .sgpr_spill_count: 0
    .symbol:         _ZL37rocblas_syrkx_herkx_restricted_kernelIi19rocblas_complex_numIfELi16ELi32ELi8ELin1ELi0ELb0ELc84ELc85EKS1_S1_EviT_PT9_S3_lS5_S3_lPT10_S3_li.kd
    .uniform_work_group_size: 1
    .uses_dynamic_stack: false
    .vgpr_count:     91
    .vgpr_spill_count: 0
    .wavefront_size: 32
    .workgroup_processor_mode: 1
  - .args:
      - .offset:         0
        .size:           4
        .value_kind:     by_value
      - .offset:         4
        .size:           4
        .value_kind:     by_value
      - .address_space:  global
        .offset:         8
        .size:           8
        .value_kind:     global_buffer
      - .offset:         16
        .size:           4
        .value_kind:     by_value
      - .offset:         24
        .size:           8
        .value_kind:     by_value
      - .address_space:  global
        .offset:         32
        .size:           8
        .value_kind:     global_buffer
      - .offset:         40
        .size:           4
        .value_kind:     by_value
      - .offset:         48
        .size:           8
        .value_kind:     by_value
      - .address_space:  global
        .offset:         56
        .size:           8
        .value_kind:     global_buffer
      - .offset:         64
        .size:           4
        .value_kind:     by_value
      - .offset:         72
        .size:           8
        .value_kind:     by_value
      - .offset:         80
        .size:           4
        .value_kind:     by_value
    .group_segment_fixed_size: 4096
    .kernarg_segment_align: 8
    .kernarg_segment_size: 84
    .language:       OpenCL C
    .language_version:
      - 2
      - 0
    .max_flat_workgroup_size: 256
    .name:           _ZL37rocblas_syrkx_herkx_restricted_kernelIi19rocblas_complex_numIfELi16ELi32ELi8ELin1ELi0ELb0ELc67ELc85EKS1_S1_EviT_PT9_S3_lS5_S3_lPT10_S3_li
    .private_segment_fixed_size: 0
    .sgpr_count:     22
    .sgpr_spill_count: 0
    .symbol:         _ZL37rocblas_syrkx_herkx_restricted_kernelIi19rocblas_complex_numIfELi16ELi32ELi8ELin1ELi0ELb0ELc67ELc85EKS1_S1_EviT_PT9_S3_lS5_S3_lPT10_S3_li.kd
    .uniform_work_group_size: 1
    .uses_dynamic_stack: false
    .vgpr_count:     91
    .vgpr_spill_count: 0
    .wavefront_size: 32
    .workgroup_processor_mode: 1
  - .args:
      - .offset:         0
        .size:           4
        .value_kind:     by_value
      - .offset:         4
        .size:           4
        .value_kind:     by_value
      - .address_space:  global
        .offset:         8
        .size:           8
        .value_kind:     global_buffer
      - .offset:         16
        .size:           4
        .value_kind:     by_value
      - .offset:         24
        .size:           8
        .value_kind:     by_value
      - .address_space:  global
        .offset:         32
        .size:           8
        .value_kind:     global_buffer
      - .offset:         40
        .size:           4
        .value_kind:     by_value
      - .offset:         48
        .size:           8
        .value_kind:     by_value
      - .address_space:  global
        .offset:         56
        .size:           8
        .value_kind:     global_buffer
      - .offset:         64
        .size:           4
        .value_kind:     by_value
      - .offset:         72
        .size:           8
        .value_kind:     by_value
      - .offset:         80
        .size:           4
        .value_kind:     by_value
    .group_segment_fixed_size: 4096
    .kernarg_segment_align: 8
    .kernarg_segment_size: 84
    .language:       OpenCL C
    .language_version:
      - 2
      - 0
    .max_flat_workgroup_size: 256
    .name:           _ZL37rocblas_syrkx_herkx_restricted_kernelIi19rocblas_complex_numIfELi16ELi32ELi8ELin1ELi0ELb0ELc78ELc85EKS1_S1_EviT_PT9_S3_lS5_S3_lPT10_S3_li
    .private_segment_fixed_size: 0
    .sgpr_count:     25
    .sgpr_spill_count: 0
    .symbol:         _ZL37rocblas_syrkx_herkx_restricted_kernelIi19rocblas_complex_numIfELi16ELi32ELi8ELin1ELi0ELb0ELc78ELc85EKS1_S1_EviT_PT9_S3_lS5_S3_lPT10_S3_li.kd
    .uniform_work_group_size: 1
    .uses_dynamic_stack: false
    .vgpr_count:     92
    .vgpr_spill_count: 0
    .wavefront_size: 32
    .workgroup_processor_mode: 1
  - .args:
      - .offset:         0
        .size:           4
        .value_kind:     by_value
      - .offset:         4
        .size:           4
        .value_kind:     by_value
      - .offset:         8
        .size:           8
        .value_kind:     by_value
      - .address_space:  global
        .offset:         16
        .size:           8
        .value_kind:     global_buffer
      - .offset:         24
        .size:           4
        .value_kind:     by_value
      - .offset:         32
        .size:           8
        .value_kind:     by_value
      - .address_space:  global
        .offset:         40
        .size:           8
        .value_kind:     global_buffer
      - .offset:         48
        .size:           4
        .value_kind:     by_value
      - .offset:         56
        .size:           8
        .value_kind:     by_value
      - .offset:         64
        .size:           8
        .value_kind:     by_value
      - .address_space:  global
        .offset:         72
        .size:           8
        .value_kind:     global_buffer
      - .offset:         80
        .size:           4
        .value_kind:     by_value
      - .offset:         88
        .size:           8
        .value_kind:     by_value
      - .offset:         96
        .size:           4
        .value_kind:     by_value
    .group_segment_fixed_size: 4096
    .kernarg_segment_align: 8
    .kernarg_segment_size: 100
    .language:       OpenCL C
    .language_version:
      - 2
      - 0
    .max_flat_workgroup_size: 256
    .name:           _ZL37rocblas_syrkx_herkx_restricted_kernelIi19rocblas_complex_numIfELi16ELi32ELi8ELb1ELb0ELc84ELc76EKS1_S1_EviT_T0_PT8_S3_lS6_S3_lS4_PT9_S3_li
    .private_segment_fixed_size: 0
    .sgpr_count:     22
    .sgpr_spill_count: 0
    .symbol:         _ZL37rocblas_syrkx_herkx_restricted_kernelIi19rocblas_complex_numIfELi16ELi32ELi8ELb1ELb0ELc84ELc76EKS1_S1_EviT_T0_PT8_S3_lS6_S3_lS4_PT9_S3_li.kd
    .uniform_work_group_size: 1
    .uses_dynamic_stack: false
    .vgpr_count:     91
    .vgpr_spill_count: 0
    .wavefront_size: 32
    .workgroup_processor_mode: 1
  - .args:
      - .offset:         0
        .size:           4
        .value_kind:     by_value
      - .offset:         4
        .size:           4
        .value_kind:     by_value
      - .offset:         8
        .size:           8
        .value_kind:     by_value
      - .address_space:  global
        .offset:         16
        .size:           8
        .value_kind:     global_buffer
      - .offset:         24
        .size:           4
        .value_kind:     by_value
      - .offset:         32
        .size:           8
        .value_kind:     by_value
      - .address_space:  global
        .offset:         40
        .size:           8
        .value_kind:     global_buffer
      - .offset:         48
        .size:           4
        .value_kind:     by_value
      - .offset:         56
        .size:           8
        .value_kind:     by_value
      - .offset:         64
        .size:           8
        .value_kind:     by_value
      - .address_space:  global
        .offset:         72
        .size:           8
        .value_kind:     global_buffer
      - .offset:         80
        .size:           4
        .value_kind:     by_value
      - .offset:         88
        .size:           8
        .value_kind:     by_value
      - .offset:         96
        .size:           4
        .value_kind:     by_value
    .group_segment_fixed_size: 4096
    .kernarg_segment_align: 8
    .kernarg_segment_size: 100
    .language:       OpenCL C
    .language_version:
      - 2
      - 0
    .max_flat_workgroup_size: 256
    .name:           _ZL37rocblas_syrkx_herkx_restricted_kernelIi19rocblas_complex_numIfELi16ELi32ELi8ELb1ELb0ELc67ELc76EKS1_S1_EviT_T0_PT8_S3_lS6_S3_lS4_PT9_S3_li
    .private_segment_fixed_size: 0
    .sgpr_count:     22
    .sgpr_spill_count: 0
    .symbol:         _ZL37rocblas_syrkx_herkx_restricted_kernelIi19rocblas_complex_numIfELi16ELi32ELi8ELb1ELb0ELc67ELc76EKS1_S1_EviT_T0_PT8_S3_lS6_S3_lS4_PT9_S3_li.kd
    .uniform_work_group_size: 1
    .uses_dynamic_stack: false
    .vgpr_count:     91
    .vgpr_spill_count: 0
    .wavefront_size: 32
    .workgroup_processor_mode: 1
  - .args:
      - .offset:         0
        .size:           4
        .value_kind:     by_value
      - .offset:         4
        .size:           4
        .value_kind:     by_value
      - .offset:         8
        .size:           8
        .value_kind:     by_value
      - .address_space:  global
        .offset:         16
        .size:           8
        .value_kind:     global_buffer
      - .offset:         24
        .size:           4
        .value_kind:     by_value
      - .offset:         32
        .size:           8
        .value_kind:     by_value
      - .address_space:  global
        .offset:         40
        .size:           8
        .value_kind:     global_buffer
      - .offset:         48
        .size:           4
        .value_kind:     by_value
      - .offset:         56
        .size:           8
        .value_kind:     by_value
      - .offset:         64
        .size:           8
        .value_kind:     by_value
      - .address_space:  global
        .offset:         72
        .size:           8
        .value_kind:     global_buffer
      - .offset:         80
        .size:           4
        .value_kind:     by_value
      - .offset:         88
        .size:           8
        .value_kind:     by_value
      - .offset:         96
        .size:           4
        .value_kind:     by_value
    .group_segment_fixed_size: 4096
    .kernarg_segment_align: 8
    .kernarg_segment_size: 100
    .language:       OpenCL C
    .language_version:
      - 2
      - 0
    .max_flat_workgroup_size: 256
    .name:           _ZL37rocblas_syrkx_herkx_restricted_kernelIi19rocblas_complex_numIfELi16ELi32ELi8ELb1ELb0ELc78ELc76EKS1_S1_EviT_T0_PT8_S3_lS6_S3_lS4_PT9_S3_li
    .private_segment_fixed_size: 0
    .sgpr_count:     25
    .sgpr_spill_count: 0
    .symbol:         _ZL37rocblas_syrkx_herkx_restricted_kernelIi19rocblas_complex_numIfELi16ELi32ELi8ELb1ELb0ELc78ELc76EKS1_S1_EviT_T0_PT8_S3_lS6_S3_lS4_PT9_S3_li.kd
    .uniform_work_group_size: 1
    .uses_dynamic_stack: false
    .vgpr_count:     92
    .vgpr_spill_count: 0
    .wavefront_size: 32
    .workgroup_processor_mode: 1
  - .args:
      - .offset:         0
        .size:           4
        .value_kind:     by_value
      - .offset:         4
        .size:           4
        .value_kind:     by_value
      - .offset:         8
        .size:           8
        .value_kind:     by_value
      - .address_space:  global
        .offset:         16
        .size:           8
        .value_kind:     global_buffer
      - .offset:         24
        .size:           4
        .value_kind:     by_value
      - .offset:         32
        .size:           8
        .value_kind:     by_value
      - .address_space:  global
        .offset:         40
        .size:           8
        .value_kind:     global_buffer
      - .offset:         48
        .size:           4
        .value_kind:     by_value
      - .offset:         56
        .size:           8
        .value_kind:     by_value
      - .offset:         64
        .size:           8
        .value_kind:     by_value
      - .address_space:  global
        .offset:         72
        .size:           8
        .value_kind:     global_buffer
      - .offset:         80
        .size:           4
        .value_kind:     by_value
      - .offset:         88
        .size:           8
        .value_kind:     by_value
      - .offset:         96
        .size:           4
        .value_kind:     by_value
    .group_segment_fixed_size: 4096
    .kernarg_segment_align: 8
    .kernarg_segment_size: 100
    .language:       OpenCL C
    .language_version:
      - 2
      - 0
    .max_flat_workgroup_size: 256
    .name:           _ZL37rocblas_syrkx_herkx_restricted_kernelIi19rocblas_complex_numIfELi16ELi32ELi8ELb1ELb0ELc84ELc85EKS1_S1_EviT_T0_PT8_S3_lS6_S3_lS4_PT9_S3_li
    .private_segment_fixed_size: 0
    .sgpr_count:     22
    .sgpr_spill_count: 0
    .symbol:         _ZL37rocblas_syrkx_herkx_restricted_kernelIi19rocblas_complex_numIfELi16ELi32ELi8ELb1ELb0ELc84ELc85EKS1_S1_EviT_T0_PT8_S3_lS6_S3_lS4_PT9_S3_li.kd
    .uniform_work_group_size: 1
    .uses_dynamic_stack: false
    .vgpr_count:     91
    .vgpr_spill_count: 0
    .wavefront_size: 32
    .workgroup_processor_mode: 1
  - .args:
      - .offset:         0
        .size:           4
        .value_kind:     by_value
      - .offset:         4
        .size:           4
        .value_kind:     by_value
      - .offset:         8
        .size:           8
        .value_kind:     by_value
      - .address_space:  global
        .offset:         16
        .size:           8
        .value_kind:     global_buffer
      - .offset:         24
        .size:           4
        .value_kind:     by_value
      - .offset:         32
        .size:           8
        .value_kind:     by_value
      - .address_space:  global
        .offset:         40
        .size:           8
        .value_kind:     global_buffer
      - .offset:         48
        .size:           4
        .value_kind:     by_value
      - .offset:         56
        .size:           8
        .value_kind:     by_value
      - .offset:         64
        .size:           8
        .value_kind:     by_value
      - .address_space:  global
        .offset:         72
        .size:           8
        .value_kind:     global_buffer
      - .offset:         80
        .size:           4
        .value_kind:     by_value
      - .offset:         88
        .size:           8
        .value_kind:     by_value
      - .offset:         96
        .size:           4
        .value_kind:     by_value
    .group_segment_fixed_size: 4096
    .kernarg_segment_align: 8
    .kernarg_segment_size: 100
    .language:       OpenCL C
    .language_version:
      - 2
      - 0
    .max_flat_workgroup_size: 256
    .name:           _ZL37rocblas_syrkx_herkx_restricted_kernelIi19rocblas_complex_numIfELi16ELi32ELi8ELb1ELb0ELc67ELc85EKS1_S1_EviT_T0_PT8_S3_lS6_S3_lS4_PT9_S3_li
    .private_segment_fixed_size: 0
    .sgpr_count:     22
    .sgpr_spill_count: 0
    .symbol:         _ZL37rocblas_syrkx_herkx_restricted_kernelIi19rocblas_complex_numIfELi16ELi32ELi8ELb1ELb0ELc67ELc85EKS1_S1_EviT_T0_PT8_S3_lS6_S3_lS4_PT9_S3_li.kd
    .uniform_work_group_size: 1
    .uses_dynamic_stack: false
    .vgpr_count:     91
    .vgpr_spill_count: 0
    .wavefront_size: 32
    .workgroup_processor_mode: 1
  - .args:
      - .offset:         0
        .size:           4
        .value_kind:     by_value
      - .offset:         4
        .size:           4
        .value_kind:     by_value
      - .offset:         8
        .size:           8
        .value_kind:     by_value
      - .address_space:  global
        .offset:         16
        .size:           8
        .value_kind:     global_buffer
      - .offset:         24
        .size:           4
        .value_kind:     by_value
      - .offset:         32
        .size:           8
        .value_kind:     by_value
      - .address_space:  global
        .offset:         40
        .size:           8
        .value_kind:     global_buffer
      - .offset:         48
        .size:           4
        .value_kind:     by_value
      - .offset:         56
        .size:           8
        .value_kind:     by_value
      - .offset:         64
        .size:           8
        .value_kind:     by_value
      - .address_space:  global
        .offset:         72
        .size:           8
        .value_kind:     global_buffer
      - .offset:         80
        .size:           4
        .value_kind:     by_value
      - .offset:         88
        .size:           8
        .value_kind:     by_value
      - .offset:         96
        .size:           4
        .value_kind:     by_value
    .group_segment_fixed_size: 4096
    .kernarg_segment_align: 8
    .kernarg_segment_size: 100
    .language:       OpenCL C
    .language_version:
      - 2
      - 0
    .max_flat_workgroup_size: 256
    .name:           _ZL37rocblas_syrkx_herkx_restricted_kernelIi19rocblas_complex_numIfELi16ELi32ELi8ELb1ELb0ELc78ELc85EKS1_S1_EviT_T0_PT8_S3_lS6_S3_lS4_PT9_S3_li
    .private_segment_fixed_size: 0
    .sgpr_count:     25
    .sgpr_spill_count: 0
    .symbol:         _ZL37rocblas_syrkx_herkx_restricted_kernelIi19rocblas_complex_numIfELi16ELi32ELi8ELb1ELb0ELc78ELc85EKS1_S1_EviT_T0_PT8_S3_lS6_S3_lS4_PT9_S3_li.kd
    .uniform_work_group_size: 1
    .uses_dynamic_stack: false
    .vgpr_count:     92
    .vgpr_spill_count: 0
    .wavefront_size: 32
    .workgroup_processor_mode: 1
  - .args:
      - .offset:         0
        .size:           4
        .value_kind:     by_value
      - .offset:         4
        .size:           4
        .value_kind:     by_value
      - .offset:         8
        .size:           8
        .value_kind:     by_value
      - .address_space:  global
        .offset:         16
        .size:           8
        .value_kind:     global_buffer
      - .offset:         24
        .size:           4
        .value_kind:     by_value
      - .offset:         32
        .size:           8
        .value_kind:     by_value
      - .address_space:  global
        .offset:         40
        .size:           8
        .value_kind:     global_buffer
      - .offset:         48
        .size:           4
        .value_kind:     by_value
      - .offset:         56
        .size:           8
        .value_kind:     by_value
      - .offset:         64
        .size:           8
        .value_kind:     by_value
      - .address_space:  global
        .offset:         72
        .size:           8
        .value_kind:     global_buffer
      - .offset:         80
        .size:           4
        .value_kind:     by_value
      - .offset:         88
        .size:           8
        .value_kind:     by_value
      - .offset:         96
        .size:           4
        .value_kind:     by_value
    .group_segment_fixed_size: 4096
    .kernarg_segment_align: 8
    .kernarg_segment_size: 100
    .language:       OpenCL C
    .language_version:
      - 2
      - 0
    .max_flat_workgroup_size: 256
    .name:           _ZL37rocblas_syrkx_herkx_restricted_kernelIi19rocblas_complex_numIfELi16ELi32ELi8ELb0ELb0ELc84ELc76EKS1_S1_EviT_T0_PT8_S3_lS6_S3_lS4_PT9_S3_li
    .private_segment_fixed_size: 0
    .sgpr_count:     27
    .sgpr_spill_count: 0
    .symbol:         _ZL37rocblas_syrkx_herkx_restricted_kernelIi19rocblas_complex_numIfELi16ELi32ELi8ELb0ELb0ELc84ELc76EKS1_S1_EviT_T0_PT8_S3_lS6_S3_lS4_PT9_S3_li.kd
    .uniform_work_group_size: 1
    .uses_dynamic_stack: false
    .vgpr_count:     91
    .vgpr_spill_count: 0
    .wavefront_size: 32
    .workgroup_processor_mode: 1
  - .args:
      - .offset:         0
        .size:           4
        .value_kind:     by_value
      - .offset:         4
        .size:           4
        .value_kind:     by_value
      - .offset:         8
        .size:           8
        .value_kind:     by_value
      - .address_space:  global
        .offset:         16
        .size:           8
        .value_kind:     global_buffer
      - .offset:         24
        .size:           4
        .value_kind:     by_value
      - .offset:         32
        .size:           8
        .value_kind:     by_value
      - .address_space:  global
        .offset:         40
        .size:           8
        .value_kind:     global_buffer
      - .offset:         48
        .size:           4
        .value_kind:     by_value
      - .offset:         56
        .size:           8
        .value_kind:     by_value
      - .offset:         64
        .size:           8
        .value_kind:     by_value
      - .address_space:  global
        .offset:         72
        .size:           8
        .value_kind:     global_buffer
      - .offset:         80
        .size:           4
        .value_kind:     by_value
      - .offset:         88
        .size:           8
        .value_kind:     by_value
      - .offset:         96
        .size:           4
        .value_kind:     by_value
    .group_segment_fixed_size: 4096
    .kernarg_segment_align: 8
    .kernarg_segment_size: 100
    .language:       OpenCL C
    .language_version:
      - 2
      - 0
    .max_flat_workgroup_size: 256
    .name:           _ZL37rocblas_syrkx_herkx_restricted_kernelIi19rocblas_complex_numIfELi16ELi32ELi8ELb0ELb0ELc67ELc76EKS1_S1_EviT_T0_PT8_S3_lS6_S3_lS4_PT9_S3_li
    .private_segment_fixed_size: 0
    .sgpr_count:     27
    .sgpr_spill_count: 0
    .symbol:         _ZL37rocblas_syrkx_herkx_restricted_kernelIi19rocblas_complex_numIfELi16ELi32ELi8ELb0ELb0ELc67ELc76EKS1_S1_EviT_T0_PT8_S3_lS6_S3_lS4_PT9_S3_li.kd
    .uniform_work_group_size: 1
    .uses_dynamic_stack: false
    .vgpr_count:     91
    .vgpr_spill_count: 0
    .wavefront_size: 32
    .workgroup_processor_mode: 1
  - .args:
      - .offset:         0
        .size:           4
        .value_kind:     by_value
      - .offset:         4
        .size:           4
        .value_kind:     by_value
      - .offset:         8
        .size:           8
        .value_kind:     by_value
      - .address_space:  global
        .offset:         16
        .size:           8
        .value_kind:     global_buffer
      - .offset:         24
        .size:           4
        .value_kind:     by_value
      - .offset:         32
        .size:           8
        .value_kind:     by_value
      - .address_space:  global
        .offset:         40
        .size:           8
        .value_kind:     global_buffer
      - .offset:         48
        .size:           4
        .value_kind:     by_value
      - .offset:         56
        .size:           8
        .value_kind:     by_value
      - .offset:         64
        .size:           8
        .value_kind:     by_value
      - .address_space:  global
        .offset:         72
        .size:           8
        .value_kind:     global_buffer
      - .offset:         80
        .size:           4
        .value_kind:     by_value
      - .offset:         88
        .size:           8
        .value_kind:     by_value
      - .offset:         96
        .size:           4
        .value_kind:     by_value
    .group_segment_fixed_size: 4096
    .kernarg_segment_align: 8
    .kernarg_segment_size: 100
    .language:       OpenCL C
    .language_version:
      - 2
      - 0
    .max_flat_workgroup_size: 256
    .name:           _ZL37rocblas_syrkx_herkx_restricted_kernelIi19rocblas_complex_numIfELi16ELi32ELi8ELb0ELb0ELc78ELc76EKS1_S1_EviT_T0_PT8_S3_lS6_S3_lS4_PT9_S3_li
    .private_segment_fixed_size: 0
    .sgpr_count:     29
    .sgpr_spill_count: 0
    .symbol:         _ZL37rocblas_syrkx_herkx_restricted_kernelIi19rocblas_complex_numIfELi16ELi32ELi8ELb0ELb0ELc78ELc76EKS1_S1_EviT_T0_PT8_S3_lS6_S3_lS4_PT9_S3_li.kd
    .uniform_work_group_size: 1
    .uses_dynamic_stack: false
    .vgpr_count:     92
    .vgpr_spill_count: 0
    .wavefront_size: 32
    .workgroup_processor_mode: 1
  - .args:
      - .offset:         0
        .size:           4
        .value_kind:     by_value
      - .offset:         4
        .size:           4
        .value_kind:     by_value
      - .offset:         8
        .size:           8
        .value_kind:     by_value
      - .address_space:  global
        .offset:         16
        .size:           8
        .value_kind:     global_buffer
      - .offset:         24
        .size:           4
        .value_kind:     by_value
      - .offset:         32
        .size:           8
        .value_kind:     by_value
      - .address_space:  global
        .offset:         40
        .size:           8
        .value_kind:     global_buffer
      - .offset:         48
        .size:           4
        .value_kind:     by_value
      - .offset:         56
        .size:           8
        .value_kind:     by_value
      - .offset:         64
        .size:           8
        .value_kind:     by_value
      - .address_space:  global
        .offset:         72
        .size:           8
        .value_kind:     global_buffer
      - .offset:         80
        .size:           4
        .value_kind:     by_value
      - .offset:         88
        .size:           8
        .value_kind:     by_value
      - .offset:         96
        .size:           4
        .value_kind:     by_value
    .group_segment_fixed_size: 4096
    .kernarg_segment_align: 8
    .kernarg_segment_size: 100
    .language:       OpenCL C
    .language_version:
      - 2
      - 0
    .max_flat_workgroup_size: 256
    .name:           _ZL37rocblas_syrkx_herkx_restricted_kernelIi19rocblas_complex_numIfELi16ELi32ELi8ELb0ELb0ELc84ELc85EKS1_S1_EviT_T0_PT8_S3_lS6_S3_lS4_PT9_S3_li
    .private_segment_fixed_size: 0
    .sgpr_count:     27
    .sgpr_spill_count: 0
    .symbol:         _ZL37rocblas_syrkx_herkx_restricted_kernelIi19rocblas_complex_numIfELi16ELi32ELi8ELb0ELb0ELc84ELc85EKS1_S1_EviT_T0_PT8_S3_lS6_S3_lS4_PT9_S3_li.kd
    .uniform_work_group_size: 1
    .uses_dynamic_stack: false
    .vgpr_count:     91
    .vgpr_spill_count: 0
    .wavefront_size: 32
    .workgroup_processor_mode: 1
  - .args:
      - .offset:         0
        .size:           4
        .value_kind:     by_value
      - .offset:         4
        .size:           4
        .value_kind:     by_value
      - .offset:         8
        .size:           8
        .value_kind:     by_value
      - .address_space:  global
        .offset:         16
        .size:           8
        .value_kind:     global_buffer
      - .offset:         24
        .size:           4
        .value_kind:     by_value
      - .offset:         32
        .size:           8
        .value_kind:     by_value
      - .address_space:  global
        .offset:         40
        .size:           8
        .value_kind:     global_buffer
      - .offset:         48
        .size:           4
        .value_kind:     by_value
      - .offset:         56
        .size:           8
        .value_kind:     by_value
      - .offset:         64
        .size:           8
        .value_kind:     by_value
      - .address_space:  global
        .offset:         72
        .size:           8
        .value_kind:     global_buffer
      - .offset:         80
        .size:           4
        .value_kind:     by_value
      - .offset:         88
        .size:           8
        .value_kind:     by_value
      - .offset:         96
        .size:           4
        .value_kind:     by_value
    .group_segment_fixed_size: 4096
    .kernarg_segment_align: 8
    .kernarg_segment_size: 100
    .language:       OpenCL C
    .language_version:
      - 2
      - 0
    .max_flat_workgroup_size: 256
    .name:           _ZL37rocblas_syrkx_herkx_restricted_kernelIi19rocblas_complex_numIfELi16ELi32ELi8ELb0ELb0ELc67ELc85EKS1_S1_EviT_T0_PT8_S3_lS6_S3_lS4_PT9_S3_li
    .private_segment_fixed_size: 0
    .sgpr_count:     27
    .sgpr_spill_count: 0
    .symbol:         _ZL37rocblas_syrkx_herkx_restricted_kernelIi19rocblas_complex_numIfELi16ELi32ELi8ELb0ELb0ELc67ELc85EKS1_S1_EviT_T0_PT8_S3_lS6_S3_lS4_PT9_S3_li.kd
    .uniform_work_group_size: 1
    .uses_dynamic_stack: false
    .vgpr_count:     91
    .vgpr_spill_count: 0
    .wavefront_size: 32
    .workgroup_processor_mode: 1
  - .args:
      - .offset:         0
        .size:           4
        .value_kind:     by_value
      - .offset:         4
        .size:           4
        .value_kind:     by_value
      - .offset:         8
        .size:           8
        .value_kind:     by_value
      - .address_space:  global
        .offset:         16
        .size:           8
        .value_kind:     global_buffer
      - .offset:         24
        .size:           4
        .value_kind:     by_value
      - .offset:         32
        .size:           8
        .value_kind:     by_value
      - .address_space:  global
        .offset:         40
        .size:           8
        .value_kind:     global_buffer
      - .offset:         48
        .size:           4
        .value_kind:     by_value
      - .offset:         56
        .size:           8
        .value_kind:     by_value
      - .offset:         64
        .size:           8
        .value_kind:     by_value
      - .address_space:  global
        .offset:         72
        .size:           8
        .value_kind:     global_buffer
      - .offset:         80
        .size:           4
        .value_kind:     by_value
      - .offset:         88
        .size:           8
        .value_kind:     by_value
      - .offset:         96
        .size:           4
        .value_kind:     by_value
    .group_segment_fixed_size: 4096
    .kernarg_segment_align: 8
    .kernarg_segment_size: 100
    .language:       OpenCL C
    .language_version:
      - 2
      - 0
    .max_flat_workgroup_size: 256
    .name:           _ZL37rocblas_syrkx_herkx_restricted_kernelIi19rocblas_complex_numIfELi16ELi32ELi8ELb0ELb0ELc78ELc85EKS1_S1_EviT_T0_PT8_S3_lS6_S3_lS4_PT9_S3_li
    .private_segment_fixed_size: 0
    .sgpr_count:     29
    .sgpr_spill_count: 0
    .symbol:         _ZL37rocblas_syrkx_herkx_restricted_kernelIi19rocblas_complex_numIfELi16ELi32ELi8ELb0ELb0ELc78ELc85EKS1_S1_EviT_T0_PT8_S3_lS6_S3_lS4_PT9_S3_li.kd
    .uniform_work_group_size: 1
    .uses_dynamic_stack: false
    .vgpr_count:     92
    .vgpr_spill_count: 0
    .wavefront_size: 32
    .workgroup_processor_mode: 1
  - .args:
      - .offset:         0
        .size:           4
        .value_kind:     by_value
      - .offset:         4
        .size:           4
        .value_kind:     by_value
      - .offset:         8
        .size:           8
        .value_kind:     by_value
      - .address_space:  global
        .offset:         16
        .size:           8
        .value_kind:     global_buffer
      - .offset:         24
        .size:           4
        .value_kind:     by_value
      - .offset:         32
        .size:           8
        .value_kind:     by_value
      - .address_space:  global
        .offset:         40
        .size:           8
        .value_kind:     global_buffer
      - .offset:         48
        .size:           4
        .value_kind:     by_value
      - .offset:         56
        .size:           8
        .value_kind:     by_value
      - .offset:         64
        .size:           8
        .value_kind:     by_value
      - .address_space:  global
        .offset:         72
        .size:           8
        .value_kind:     global_buffer
      - .offset:         80
        .size:           4
        .value_kind:     by_value
      - .offset:         88
        .size:           8
        .value_kind:     by_value
      - .offset:         96
        .size:           4
        .value_kind:     by_value
    .group_segment_fixed_size: 4096
    .kernarg_segment_align: 8
    .kernarg_segment_size: 100
    .language:       OpenCL C
    .language_version:
      - 2
      - 0
    .max_flat_workgroup_size: 256
    .name:           _ZL41rocblas_syrkx_herkx_small_restrict_kernelIi19rocblas_complex_numIfELi16ELb1ELb0ELc84ELc76EKS1_S1_EviT_T0_PT6_S3_lS6_S3_lS4_PT7_S3_li
    .private_segment_fixed_size: 0
    .sgpr_count:     19
    .sgpr_spill_count: 0
    .symbol:         _ZL41rocblas_syrkx_herkx_small_restrict_kernelIi19rocblas_complex_numIfELi16ELb1ELb0ELc84ELc76EKS1_S1_EviT_T0_PT6_S3_lS6_S3_lS4_PT7_S3_li.kd
    .uniform_work_group_size: 1
    .uses_dynamic_stack: false
    .vgpr_count:     85
    .vgpr_spill_count: 0
    .wavefront_size: 32
    .workgroup_processor_mode: 1
  - .args:
      - .offset:         0
        .size:           4
        .value_kind:     by_value
      - .offset:         4
        .size:           4
        .value_kind:     by_value
      - .offset:         8
        .size:           8
        .value_kind:     by_value
      - .address_space:  global
        .offset:         16
        .size:           8
        .value_kind:     global_buffer
      - .offset:         24
        .size:           4
        .value_kind:     by_value
      - .offset:         32
        .size:           8
        .value_kind:     by_value
      - .address_space:  global
        .offset:         40
        .size:           8
        .value_kind:     global_buffer
      - .offset:         48
        .size:           4
        .value_kind:     by_value
      - .offset:         56
        .size:           8
        .value_kind:     by_value
      - .offset:         64
        .size:           8
        .value_kind:     by_value
      - .address_space:  global
        .offset:         72
        .size:           8
        .value_kind:     global_buffer
      - .offset:         80
        .size:           4
        .value_kind:     by_value
      - .offset:         88
        .size:           8
        .value_kind:     by_value
      - .offset:         96
        .size:           4
        .value_kind:     by_value
    .group_segment_fixed_size: 4096
    .kernarg_segment_align: 8
    .kernarg_segment_size: 100
    .language:       OpenCL C
    .language_version:
      - 2
      - 0
    .max_flat_workgroup_size: 256
    .name:           _ZL41rocblas_syrkx_herkx_small_restrict_kernelIi19rocblas_complex_numIfELi16ELb1ELb0ELc67ELc76EKS1_S1_EviT_T0_PT6_S3_lS6_S3_lS4_PT7_S3_li
    .private_segment_fixed_size: 0
    .sgpr_count:     19
    .sgpr_spill_count: 0
    .symbol:         _ZL41rocblas_syrkx_herkx_small_restrict_kernelIi19rocblas_complex_numIfELi16ELb1ELb0ELc67ELc76EKS1_S1_EviT_T0_PT6_S3_lS6_S3_lS4_PT7_S3_li.kd
    .uniform_work_group_size: 1
    .uses_dynamic_stack: false
    .vgpr_count:     85
    .vgpr_spill_count: 0
    .wavefront_size: 32
    .workgroup_processor_mode: 1
  - .args:
      - .offset:         0
        .size:           4
        .value_kind:     by_value
      - .offset:         4
        .size:           4
        .value_kind:     by_value
      - .offset:         8
        .size:           8
        .value_kind:     by_value
      - .address_space:  global
        .offset:         16
        .size:           8
        .value_kind:     global_buffer
      - .offset:         24
        .size:           4
        .value_kind:     by_value
      - .offset:         32
        .size:           8
        .value_kind:     by_value
      - .address_space:  global
        .offset:         40
        .size:           8
        .value_kind:     global_buffer
      - .offset:         48
        .size:           4
        .value_kind:     by_value
      - .offset:         56
        .size:           8
        .value_kind:     by_value
      - .offset:         64
        .size:           8
        .value_kind:     by_value
      - .address_space:  global
        .offset:         72
        .size:           8
        .value_kind:     global_buffer
      - .offset:         80
        .size:           4
        .value_kind:     by_value
      - .offset:         88
        .size:           8
        .value_kind:     by_value
      - .offset:         96
        .size:           4
        .value_kind:     by_value
    .group_segment_fixed_size: 4096
    .kernarg_segment_align: 8
    .kernarg_segment_size: 100
    .language:       OpenCL C
    .language_version:
      - 2
      - 0
    .max_flat_workgroup_size: 256
    .name:           _ZL41rocblas_syrkx_herkx_small_restrict_kernelIi19rocblas_complex_numIfELi16ELb1ELb0ELc78ELc76EKS1_S1_EviT_T0_PT6_S3_lS6_S3_lS4_PT7_S3_li
    .private_segment_fixed_size: 0
    .sgpr_count:     22
    .sgpr_spill_count: 0
    .symbol:         _ZL41rocblas_syrkx_herkx_small_restrict_kernelIi19rocblas_complex_numIfELi16ELb1ELb0ELc78ELc76EKS1_S1_EviT_T0_PT6_S3_lS6_S3_lS4_PT7_S3_li.kd
    .uniform_work_group_size: 1
    .uses_dynamic_stack: false
    .vgpr_count:     86
    .vgpr_spill_count: 0
    .wavefront_size: 32
    .workgroup_processor_mode: 1
  - .args:
      - .offset:         0
        .size:           4
        .value_kind:     by_value
      - .offset:         4
        .size:           4
        .value_kind:     by_value
      - .offset:         8
        .size:           8
        .value_kind:     by_value
      - .address_space:  global
        .offset:         16
        .size:           8
        .value_kind:     global_buffer
      - .offset:         24
        .size:           4
        .value_kind:     by_value
      - .offset:         32
        .size:           8
        .value_kind:     by_value
      - .address_space:  global
        .offset:         40
        .size:           8
        .value_kind:     global_buffer
      - .offset:         48
        .size:           4
        .value_kind:     by_value
      - .offset:         56
        .size:           8
        .value_kind:     by_value
      - .offset:         64
        .size:           8
        .value_kind:     by_value
      - .address_space:  global
        .offset:         72
        .size:           8
        .value_kind:     global_buffer
      - .offset:         80
        .size:           4
        .value_kind:     by_value
      - .offset:         88
        .size:           8
        .value_kind:     by_value
      - .offset:         96
        .size:           4
        .value_kind:     by_value
    .group_segment_fixed_size: 4096
    .kernarg_segment_align: 8
    .kernarg_segment_size: 100
    .language:       OpenCL C
    .language_version:
      - 2
      - 0
    .max_flat_workgroup_size: 256
    .name:           _ZL41rocblas_syrkx_herkx_small_restrict_kernelIi19rocblas_complex_numIfELi16ELb1ELb0ELc84ELc85EKS1_S1_EviT_T0_PT6_S3_lS6_S3_lS4_PT7_S3_li
    .private_segment_fixed_size: 0
    .sgpr_count:     19
    .sgpr_spill_count: 0
    .symbol:         _ZL41rocblas_syrkx_herkx_small_restrict_kernelIi19rocblas_complex_numIfELi16ELb1ELb0ELc84ELc85EKS1_S1_EviT_T0_PT6_S3_lS6_S3_lS4_PT7_S3_li.kd
    .uniform_work_group_size: 1
    .uses_dynamic_stack: false
    .vgpr_count:     85
    .vgpr_spill_count: 0
    .wavefront_size: 32
    .workgroup_processor_mode: 1
  - .args:
      - .offset:         0
        .size:           4
        .value_kind:     by_value
      - .offset:         4
        .size:           4
        .value_kind:     by_value
      - .offset:         8
        .size:           8
        .value_kind:     by_value
      - .address_space:  global
        .offset:         16
        .size:           8
        .value_kind:     global_buffer
      - .offset:         24
        .size:           4
        .value_kind:     by_value
      - .offset:         32
        .size:           8
        .value_kind:     by_value
      - .address_space:  global
        .offset:         40
        .size:           8
        .value_kind:     global_buffer
      - .offset:         48
        .size:           4
        .value_kind:     by_value
      - .offset:         56
        .size:           8
        .value_kind:     by_value
      - .offset:         64
        .size:           8
        .value_kind:     by_value
      - .address_space:  global
        .offset:         72
        .size:           8
        .value_kind:     global_buffer
      - .offset:         80
        .size:           4
        .value_kind:     by_value
      - .offset:         88
        .size:           8
        .value_kind:     by_value
      - .offset:         96
        .size:           4
        .value_kind:     by_value
    .group_segment_fixed_size: 4096
    .kernarg_segment_align: 8
    .kernarg_segment_size: 100
    .language:       OpenCL C
    .language_version:
      - 2
      - 0
    .max_flat_workgroup_size: 256
    .name:           _ZL41rocblas_syrkx_herkx_small_restrict_kernelIi19rocblas_complex_numIfELi16ELb1ELb0ELc67ELc85EKS1_S1_EviT_T0_PT6_S3_lS6_S3_lS4_PT7_S3_li
    .private_segment_fixed_size: 0
    .sgpr_count:     19
    .sgpr_spill_count: 0
    .symbol:         _ZL41rocblas_syrkx_herkx_small_restrict_kernelIi19rocblas_complex_numIfELi16ELb1ELb0ELc67ELc85EKS1_S1_EviT_T0_PT6_S3_lS6_S3_lS4_PT7_S3_li.kd
    .uniform_work_group_size: 1
    .uses_dynamic_stack: false
    .vgpr_count:     85
    .vgpr_spill_count: 0
    .wavefront_size: 32
    .workgroup_processor_mode: 1
  - .args:
      - .offset:         0
        .size:           4
        .value_kind:     by_value
      - .offset:         4
        .size:           4
        .value_kind:     by_value
      - .offset:         8
        .size:           8
        .value_kind:     by_value
      - .address_space:  global
        .offset:         16
        .size:           8
        .value_kind:     global_buffer
      - .offset:         24
        .size:           4
        .value_kind:     by_value
      - .offset:         32
        .size:           8
        .value_kind:     by_value
      - .address_space:  global
        .offset:         40
        .size:           8
        .value_kind:     global_buffer
      - .offset:         48
        .size:           4
        .value_kind:     by_value
      - .offset:         56
        .size:           8
        .value_kind:     by_value
      - .offset:         64
        .size:           8
        .value_kind:     by_value
      - .address_space:  global
        .offset:         72
        .size:           8
        .value_kind:     global_buffer
      - .offset:         80
        .size:           4
        .value_kind:     by_value
      - .offset:         88
        .size:           8
        .value_kind:     by_value
      - .offset:         96
        .size:           4
        .value_kind:     by_value
    .group_segment_fixed_size: 4096
    .kernarg_segment_align: 8
    .kernarg_segment_size: 100
    .language:       OpenCL C
    .language_version:
      - 2
      - 0
    .max_flat_workgroup_size: 256
    .name:           _ZL41rocblas_syrkx_herkx_small_restrict_kernelIi19rocblas_complex_numIfELi16ELb1ELb0ELc78ELc85EKS1_S1_EviT_T0_PT6_S3_lS6_S3_lS4_PT7_S3_li
    .private_segment_fixed_size: 0
    .sgpr_count:     22
    .sgpr_spill_count: 0
    .symbol:         _ZL41rocblas_syrkx_herkx_small_restrict_kernelIi19rocblas_complex_numIfELi16ELb1ELb0ELc78ELc85EKS1_S1_EviT_T0_PT6_S3_lS6_S3_lS4_PT7_S3_li.kd
    .uniform_work_group_size: 1
    .uses_dynamic_stack: false
    .vgpr_count:     86
    .vgpr_spill_count: 0
    .wavefront_size: 32
    .workgroup_processor_mode: 1
  - .args:
      - .offset:         0
        .size:           4
        .value_kind:     by_value
      - .offset:         4
        .size:           4
        .value_kind:     by_value
      - .offset:         8
        .size:           8
        .value_kind:     by_value
      - .address_space:  global
        .offset:         16
        .size:           8
        .value_kind:     global_buffer
      - .offset:         24
        .size:           4
        .value_kind:     by_value
      - .offset:         32
        .size:           8
        .value_kind:     by_value
      - .address_space:  global
        .offset:         40
        .size:           8
        .value_kind:     global_buffer
      - .offset:         48
        .size:           4
        .value_kind:     by_value
      - .offset:         56
        .size:           8
        .value_kind:     by_value
      - .offset:         64
        .size:           8
        .value_kind:     by_value
      - .address_space:  global
        .offset:         72
        .size:           8
        .value_kind:     global_buffer
      - .offset:         80
        .size:           4
        .value_kind:     by_value
      - .offset:         88
        .size:           8
        .value_kind:     by_value
      - .offset:         96
        .size:           4
        .value_kind:     by_value
    .group_segment_fixed_size: 4096
    .kernarg_segment_align: 8
    .kernarg_segment_size: 100
    .language:       OpenCL C
    .language_version:
      - 2
      - 0
    .max_flat_workgroup_size: 256
    .name:           _ZL41rocblas_syrkx_herkx_small_restrict_kernelIi19rocblas_complex_numIfELi16ELb0ELb0ELc84ELc76EKS1_S1_EviT_T0_PT6_S3_lS6_S3_lS4_PT7_S3_li
    .private_segment_fixed_size: 0
    .sgpr_count:     24
    .sgpr_spill_count: 0
    .symbol:         _ZL41rocblas_syrkx_herkx_small_restrict_kernelIi19rocblas_complex_numIfELi16ELb0ELb0ELc84ELc76EKS1_S1_EviT_T0_PT6_S3_lS6_S3_lS4_PT7_S3_li.kd
    .uniform_work_group_size: 1
    .uses_dynamic_stack: false
    .vgpr_count:     85
    .vgpr_spill_count: 0
    .wavefront_size: 32
    .workgroup_processor_mode: 1
  - .args:
      - .offset:         0
        .size:           4
        .value_kind:     by_value
      - .offset:         4
        .size:           4
        .value_kind:     by_value
      - .offset:         8
        .size:           8
        .value_kind:     by_value
      - .address_space:  global
        .offset:         16
        .size:           8
        .value_kind:     global_buffer
      - .offset:         24
        .size:           4
        .value_kind:     by_value
      - .offset:         32
        .size:           8
        .value_kind:     by_value
      - .address_space:  global
        .offset:         40
        .size:           8
        .value_kind:     global_buffer
      - .offset:         48
        .size:           4
        .value_kind:     by_value
      - .offset:         56
        .size:           8
        .value_kind:     by_value
      - .offset:         64
        .size:           8
        .value_kind:     by_value
      - .address_space:  global
        .offset:         72
        .size:           8
        .value_kind:     global_buffer
      - .offset:         80
        .size:           4
        .value_kind:     by_value
      - .offset:         88
        .size:           8
        .value_kind:     by_value
      - .offset:         96
        .size:           4
        .value_kind:     by_value
    .group_segment_fixed_size: 4096
    .kernarg_segment_align: 8
    .kernarg_segment_size: 100
    .language:       OpenCL C
    .language_version:
      - 2
      - 0
    .max_flat_workgroup_size: 256
    .name:           _ZL41rocblas_syrkx_herkx_small_restrict_kernelIi19rocblas_complex_numIfELi16ELb0ELb0ELc67ELc76EKS1_S1_EviT_T0_PT6_S3_lS6_S3_lS4_PT7_S3_li
    .private_segment_fixed_size: 0
    .sgpr_count:     24
    .sgpr_spill_count: 0
    .symbol:         _ZL41rocblas_syrkx_herkx_small_restrict_kernelIi19rocblas_complex_numIfELi16ELb0ELb0ELc67ELc76EKS1_S1_EviT_T0_PT6_S3_lS6_S3_lS4_PT7_S3_li.kd
    .uniform_work_group_size: 1
    .uses_dynamic_stack: false
    .vgpr_count:     85
    .vgpr_spill_count: 0
    .wavefront_size: 32
    .workgroup_processor_mode: 1
  - .args:
      - .offset:         0
        .size:           4
        .value_kind:     by_value
      - .offset:         4
        .size:           4
        .value_kind:     by_value
      - .offset:         8
        .size:           8
        .value_kind:     by_value
      - .address_space:  global
        .offset:         16
        .size:           8
        .value_kind:     global_buffer
      - .offset:         24
        .size:           4
        .value_kind:     by_value
      - .offset:         32
        .size:           8
        .value_kind:     by_value
      - .address_space:  global
        .offset:         40
        .size:           8
        .value_kind:     global_buffer
      - .offset:         48
        .size:           4
        .value_kind:     by_value
      - .offset:         56
        .size:           8
        .value_kind:     by_value
      - .offset:         64
        .size:           8
        .value_kind:     by_value
      - .address_space:  global
        .offset:         72
        .size:           8
        .value_kind:     global_buffer
      - .offset:         80
        .size:           4
        .value_kind:     by_value
      - .offset:         88
        .size:           8
        .value_kind:     by_value
      - .offset:         96
        .size:           4
        .value_kind:     by_value
    .group_segment_fixed_size: 4096
    .kernarg_segment_align: 8
    .kernarg_segment_size: 100
    .language:       OpenCL C
    .language_version:
      - 2
      - 0
    .max_flat_workgroup_size: 256
    .name:           _ZL41rocblas_syrkx_herkx_small_restrict_kernelIi19rocblas_complex_numIfELi16ELb0ELb0ELc78ELc76EKS1_S1_EviT_T0_PT6_S3_lS6_S3_lS4_PT7_S3_li
    .private_segment_fixed_size: 0
    .sgpr_count:     26
    .sgpr_spill_count: 0
    .symbol:         _ZL41rocblas_syrkx_herkx_small_restrict_kernelIi19rocblas_complex_numIfELi16ELb0ELb0ELc78ELc76EKS1_S1_EviT_T0_PT6_S3_lS6_S3_lS4_PT7_S3_li.kd
    .uniform_work_group_size: 1
    .uses_dynamic_stack: false
    .vgpr_count:     86
    .vgpr_spill_count: 0
    .wavefront_size: 32
    .workgroup_processor_mode: 1
  - .args:
      - .offset:         0
        .size:           4
        .value_kind:     by_value
      - .offset:         4
        .size:           4
        .value_kind:     by_value
      - .offset:         8
        .size:           8
        .value_kind:     by_value
      - .address_space:  global
        .offset:         16
        .size:           8
        .value_kind:     global_buffer
      - .offset:         24
        .size:           4
        .value_kind:     by_value
      - .offset:         32
        .size:           8
        .value_kind:     by_value
      - .address_space:  global
        .offset:         40
        .size:           8
        .value_kind:     global_buffer
      - .offset:         48
        .size:           4
        .value_kind:     by_value
      - .offset:         56
        .size:           8
        .value_kind:     by_value
      - .offset:         64
        .size:           8
        .value_kind:     by_value
      - .address_space:  global
        .offset:         72
        .size:           8
        .value_kind:     global_buffer
      - .offset:         80
        .size:           4
        .value_kind:     by_value
      - .offset:         88
        .size:           8
        .value_kind:     by_value
      - .offset:         96
        .size:           4
        .value_kind:     by_value
    .group_segment_fixed_size: 4096
    .kernarg_segment_align: 8
    .kernarg_segment_size: 100
    .language:       OpenCL C
    .language_version:
      - 2
      - 0
    .max_flat_workgroup_size: 256
    .name:           _ZL41rocblas_syrkx_herkx_small_restrict_kernelIi19rocblas_complex_numIfELi16ELb0ELb0ELc84ELc85EKS1_S1_EviT_T0_PT6_S3_lS6_S3_lS4_PT7_S3_li
    .private_segment_fixed_size: 0
    .sgpr_count:     24
    .sgpr_spill_count: 0
    .symbol:         _ZL41rocblas_syrkx_herkx_small_restrict_kernelIi19rocblas_complex_numIfELi16ELb0ELb0ELc84ELc85EKS1_S1_EviT_T0_PT6_S3_lS6_S3_lS4_PT7_S3_li.kd
    .uniform_work_group_size: 1
    .uses_dynamic_stack: false
    .vgpr_count:     85
    .vgpr_spill_count: 0
    .wavefront_size: 32
    .workgroup_processor_mode: 1
  - .args:
      - .offset:         0
        .size:           4
        .value_kind:     by_value
      - .offset:         4
        .size:           4
        .value_kind:     by_value
      - .offset:         8
        .size:           8
        .value_kind:     by_value
      - .address_space:  global
        .offset:         16
        .size:           8
        .value_kind:     global_buffer
      - .offset:         24
        .size:           4
        .value_kind:     by_value
      - .offset:         32
        .size:           8
        .value_kind:     by_value
      - .address_space:  global
        .offset:         40
        .size:           8
        .value_kind:     global_buffer
      - .offset:         48
        .size:           4
        .value_kind:     by_value
      - .offset:         56
        .size:           8
        .value_kind:     by_value
      - .offset:         64
        .size:           8
        .value_kind:     by_value
      - .address_space:  global
        .offset:         72
        .size:           8
        .value_kind:     global_buffer
      - .offset:         80
        .size:           4
        .value_kind:     by_value
      - .offset:         88
        .size:           8
        .value_kind:     by_value
      - .offset:         96
        .size:           4
        .value_kind:     by_value
    .group_segment_fixed_size: 4096
    .kernarg_segment_align: 8
    .kernarg_segment_size: 100
    .language:       OpenCL C
    .language_version:
      - 2
      - 0
    .max_flat_workgroup_size: 256
    .name:           _ZL41rocblas_syrkx_herkx_small_restrict_kernelIi19rocblas_complex_numIfELi16ELb0ELb0ELc67ELc85EKS1_S1_EviT_T0_PT6_S3_lS6_S3_lS4_PT7_S3_li
    .private_segment_fixed_size: 0
    .sgpr_count:     24
    .sgpr_spill_count: 0
    .symbol:         _ZL41rocblas_syrkx_herkx_small_restrict_kernelIi19rocblas_complex_numIfELi16ELb0ELb0ELc67ELc85EKS1_S1_EviT_T0_PT6_S3_lS6_S3_lS4_PT7_S3_li.kd
    .uniform_work_group_size: 1
    .uses_dynamic_stack: false
    .vgpr_count:     85
    .vgpr_spill_count: 0
    .wavefront_size: 32
    .workgroup_processor_mode: 1
  - .args:
      - .offset:         0
        .size:           4
        .value_kind:     by_value
      - .offset:         4
        .size:           4
        .value_kind:     by_value
      - .offset:         8
        .size:           8
        .value_kind:     by_value
      - .address_space:  global
        .offset:         16
        .size:           8
        .value_kind:     global_buffer
      - .offset:         24
        .size:           4
        .value_kind:     by_value
      - .offset:         32
        .size:           8
        .value_kind:     by_value
      - .address_space:  global
        .offset:         40
        .size:           8
        .value_kind:     global_buffer
      - .offset:         48
        .size:           4
        .value_kind:     by_value
      - .offset:         56
        .size:           8
        .value_kind:     by_value
      - .offset:         64
        .size:           8
        .value_kind:     by_value
      - .address_space:  global
        .offset:         72
        .size:           8
        .value_kind:     global_buffer
      - .offset:         80
        .size:           4
        .value_kind:     by_value
      - .offset:         88
        .size:           8
        .value_kind:     by_value
      - .offset:         96
        .size:           4
        .value_kind:     by_value
    .group_segment_fixed_size: 4096
    .kernarg_segment_align: 8
    .kernarg_segment_size: 100
    .language:       OpenCL C
    .language_version:
      - 2
      - 0
    .max_flat_workgroup_size: 256
    .name:           _ZL41rocblas_syrkx_herkx_small_restrict_kernelIi19rocblas_complex_numIfELi16ELb0ELb0ELc78ELc85EKS1_S1_EviT_T0_PT6_S3_lS6_S3_lS4_PT7_S3_li
    .private_segment_fixed_size: 0
    .sgpr_count:     26
    .sgpr_spill_count: 0
    .symbol:         _ZL41rocblas_syrkx_herkx_small_restrict_kernelIi19rocblas_complex_numIfELi16ELb0ELb0ELc78ELc85EKS1_S1_EviT_T0_PT6_S3_lS6_S3_lS4_PT7_S3_li.kd
    .uniform_work_group_size: 1
    .uses_dynamic_stack: false
    .vgpr_count:     86
    .vgpr_spill_count: 0
    .wavefront_size: 32
    .workgroup_processor_mode: 1
  - .args:
      - .offset:         0
        .size:           4
        .value_kind:     by_value
      - .offset:         4
        .size:           4
        .value_kind:     by_value
      - .offset:         8
        .size:           8
        .value_kind:     by_value
      - .address_space:  global
        .offset:         16
        .size:           8
        .value_kind:     global_buffer
      - .offset:         24
        .size:           4
        .value_kind:     by_value
      - .offset:         32
        .size:           8
        .value_kind:     by_value
      - .address_space:  global
        .offset:         40
        .size:           8
        .value_kind:     global_buffer
      - .offset:         48
        .size:           4
        .value_kind:     by_value
      - .offset:         56
        .size:           8
        .value_kind:     by_value
      - .offset:         64
        .size:           8
        .value_kind:     by_value
      - .address_space:  global
        .offset:         72
        .size:           8
        .value_kind:     global_buffer
      - .offset:         80
        .size:           4
        .value_kind:     by_value
      - .offset:         88
        .size:           8
        .value_kind:     by_value
      - .offset:         96
        .size:           4
        .value_kind:     by_value
    .group_segment_fixed_size: 4096
    .kernarg_segment_align: 8
    .kernarg_segment_size: 100
    .language:       OpenCL C
    .language_version:
      - 2
      - 0
    .max_flat_workgroup_size: 256
    .name:           _ZL32rocblas_syrkx_herkx_small_kernelIi19rocblas_complex_numIfELi16ELb1ELb0ELc84ELc76EKS1_S1_EviT_T0_PT6_S3_lS6_S3_lS4_PT7_S3_li
    .private_segment_fixed_size: 0
    .sgpr_count:     22
    .sgpr_spill_count: 0
    .symbol:         _ZL32rocblas_syrkx_herkx_small_kernelIi19rocblas_complex_numIfELi16ELb1ELb0ELc84ELc76EKS1_S1_EviT_T0_PT6_S3_lS6_S3_lS4_PT7_S3_li.kd
    .uniform_work_group_size: 1
    .uses_dynamic_stack: false
    .vgpr_count:     68
    .vgpr_spill_count: 0
    .wavefront_size: 32
    .workgroup_processor_mode: 1
  - .args:
      - .offset:         0
        .size:           4
        .value_kind:     by_value
      - .offset:         4
        .size:           4
        .value_kind:     by_value
      - .offset:         8
        .size:           8
        .value_kind:     by_value
      - .address_space:  global
        .offset:         16
        .size:           8
        .value_kind:     global_buffer
      - .offset:         24
        .size:           4
        .value_kind:     by_value
      - .offset:         32
        .size:           8
        .value_kind:     by_value
      - .address_space:  global
        .offset:         40
        .size:           8
        .value_kind:     global_buffer
      - .offset:         48
        .size:           4
        .value_kind:     by_value
      - .offset:         56
        .size:           8
        .value_kind:     by_value
      - .offset:         64
        .size:           8
        .value_kind:     by_value
      - .address_space:  global
        .offset:         72
        .size:           8
        .value_kind:     global_buffer
      - .offset:         80
        .size:           4
        .value_kind:     by_value
      - .offset:         88
        .size:           8
        .value_kind:     by_value
      - .offset:         96
        .size:           4
        .value_kind:     by_value
    .group_segment_fixed_size: 4096
    .kernarg_segment_align: 8
    .kernarg_segment_size: 100
    .language:       OpenCL C
    .language_version:
      - 2
      - 0
    .max_flat_workgroup_size: 256
    .name:           _ZL32rocblas_syrkx_herkx_small_kernelIi19rocblas_complex_numIfELi16ELb1ELb0ELc67ELc76EKS1_S1_EviT_T0_PT6_S3_lS6_S3_lS4_PT7_S3_li
    .private_segment_fixed_size: 0
    .sgpr_count:     22
    .sgpr_spill_count: 0
    .symbol:         _ZL32rocblas_syrkx_herkx_small_kernelIi19rocblas_complex_numIfELi16ELb1ELb0ELc67ELc76EKS1_S1_EviT_T0_PT6_S3_lS6_S3_lS4_PT7_S3_li.kd
    .uniform_work_group_size: 1
    .uses_dynamic_stack: false
    .vgpr_count:     68
    .vgpr_spill_count: 0
    .wavefront_size: 32
    .workgroup_processor_mode: 1
  - .args:
      - .offset:         0
        .size:           4
        .value_kind:     by_value
      - .offset:         4
        .size:           4
        .value_kind:     by_value
      - .offset:         8
        .size:           8
        .value_kind:     by_value
      - .address_space:  global
        .offset:         16
        .size:           8
        .value_kind:     global_buffer
      - .offset:         24
        .size:           4
        .value_kind:     by_value
      - .offset:         32
        .size:           8
        .value_kind:     by_value
      - .address_space:  global
        .offset:         40
        .size:           8
        .value_kind:     global_buffer
      - .offset:         48
        .size:           4
        .value_kind:     by_value
      - .offset:         56
        .size:           8
        .value_kind:     by_value
      - .offset:         64
        .size:           8
        .value_kind:     by_value
      - .address_space:  global
        .offset:         72
        .size:           8
        .value_kind:     global_buffer
      - .offset:         80
        .size:           4
        .value_kind:     by_value
      - .offset:         88
        .size:           8
        .value_kind:     by_value
      - .offset:         96
        .size:           4
        .value_kind:     by_value
    .group_segment_fixed_size: 4096
    .kernarg_segment_align: 8
    .kernarg_segment_size: 100
    .language:       OpenCL C
    .language_version:
      - 2
      - 0
    .max_flat_workgroup_size: 256
    .name:           _ZL32rocblas_syrkx_herkx_small_kernelIi19rocblas_complex_numIfELi16ELb1ELb0ELc78ELc76EKS1_S1_EviT_T0_PT6_S3_lS6_S3_lS4_PT7_S3_li
    .private_segment_fixed_size: 0
    .sgpr_count:     25
    .sgpr_spill_count: 0
    .symbol:         _ZL32rocblas_syrkx_herkx_small_kernelIi19rocblas_complex_numIfELi16ELb1ELb0ELc78ELc76EKS1_S1_EviT_T0_PT6_S3_lS6_S3_lS4_PT7_S3_li.kd
    .uniform_work_group_size: 1
    .uses_dynamic_stack: false
    .vgpr_count:     69
    .vgpr_spill_count: 0
    .wavefront_size: 32
    .workgroup_processor_mode: 1
  - .args:
      - .offset:         0
        .size:           4
        .value_kind:     by_value
      - .offset:         4
        .size:           4
        .value_kind:     by_value
      - .offset:         8
        .size:           8
        .value_kind:     by_value
      - .address_space:  global
        .offset:         16
        .size:           8
        .value_kind:     global_buffer
      - .offset:         24
        .size:           4
        .value_kind:     by_value
      - .offset:         32
        .size:           8
        .value_kind:     by_value
      - .address_space:  global
        .offset:         40
        .size:           8
        .value_kind:     global_buffer
      - .offset:         48
        .size:           4
        .value_kind:     by_value
      - .offset:         56
        .size:           8
        .value_kind:     by_value
      - .offset:         64
        .size:           8
        .value_kind:     by_value
      - .address_space:  global
        .offset:         72
        .size:           8
        .value_kind:     global_buffer
      - .offset:         80
        .size:           4
        .value_kind:     by_value
      - .offset:         88
        .size:           8
        .value_kind:     by_value
      - .offset:         96
        .size:           4
        .value_kind:     by_value
    .group_segment_fixed_size: 4096
    .kernarg_segment_align: 8
    .kernarg_segment_size: 100
    .language:       OpenCL C
    .language_version:
      - 2
      - 0
    .max_flat_workgroup_size: 256
    .name:           _ZL32rocblas_syrkx_herkx_small_kernelIi19rocblas_complex_numIfELi16ELb1ELb0ELc84ELc85EKS1_S1_EviT_T0_PT6_S3_lS6_S3_lS4_PT7_S3_li
    .private_segment_fixed_size: 0
    .sgpr_count:     22
    .sgpr_spill_count: 0
    .symbol:         _ZL32rocblas_syrkx_herkx_small_kernelIi19rocblas_complex_numIfELi16ELb1ELb0ELc84ELc85EKS1_S1_EviT_T0_PT6_S3_lS6_S3_lS4_PT7_S3_li.kd
    .uniform_work_group_size: 1
    .uses_dynamic_stack: false
    .vgpr_count:     68
    .vgpr_spill_count: 0
    .wavefront_size: 32
    .workgroup_processor_mode: 1
  - .args:
      - .offset:         0
        .size:           4
        .value_kind:     by_value
      - .offset:         4
        .size:           4
        .value_kind:     by_value
      - .offset:         8
        .size:           8
        .value_kind:     by_value
      - .address_space:  global
        .offset:         16
        .size:           8
        .value_kind:     global_buffer
      - .offset:         24
        .size:           4
        .value_kind:     by_value
      - .offset:         32
        .size:           8
        .value_kind:     by_value
      - .address_space:  global
        .offset:         40
        .size:           8
        .value_kind:     global_buffer
      - .offset:         48
        .size:           4
        .value_kind:     by_value
      - .offset:         56
        .size:           8
        .value_kind:     by_value
      - .offset:         64
        .size:           8
        .value_kind:     by_value
      - .address_space:  global
        .offset:         72
        .size:           8
        .value_kind:     global_buffer
      - .offset:         80
        .size:           4
        .value_kind:     by_value
      - .offset:         88
        .size:           8
        .value_kind:     by_value
      - .offset:         96
        .size:           4
        .value_kind:     by_value
    .group_segment_fixed_size: 4096
    .kernarg_segment_align: 8
    .kernarg_segment_size: 100
    .language:       OpenCL C
    .language_version:
      - 2
      - 0
    .max_flat_workgroup_size: 256
    .name:           _ZL32rocblas_syrkx_herkx_small_kernelIi19rocblas_complex_numIfELi16ELb1ELb0ELc67ELc85EKS1_S1_EviT_T0_PT6_S3_lS6_S3_lS4_PT7_S3_li
    .private_segment_fixed_size: 0
    .sgpr_count:     22
    .sgpr_spill_count: 0
    .symbol:         _ZL32rocblas_syrkx_herkx_small_kernelIi19rocblas_complex_numIfELi16ELb1ELb0ELc67ELc85EKS1_S1_EviT_T0_PT6_S3_lS6_S3_lS4_PT7_S3_li.kd
    .uniform_work_group_size: 1
    .uses_dynamic_stack: false
    .vgpr_count:     68
    .vgpr_spill_count: 0
    .wavefront_size: 32
    .workgroup_processor_mode: 1
  - .args:
      - .offset:         0
        .size:           4
        .value_kind:     by_value
      - .offset:         4
        .size:           4
        .value_kind:     by_value
      - .offset:         8
        .size:           8
        .value_kind:     by_value
      - .address_space:  global
        .offset:         16
        .size:           8
        .value_kind:     global_buffer
      - .offset:         24
        .size:           4
        .value_kind:     by_value
      - .offset:         32
        .size:           8
        .value_kind:     by_value
      - .address_space:  global
        .offset:         40
        .size:           8
        .value_kind:     global_buffer
      - .offset:         48
        .size:           4
        .value_kind:     by_value
      - .offset:         56
        .size:           8
        .value_kind:     by_value
      - .offset:         64
        .size:           8
        .value_kind:     by_value
      - .address_space:  global
        .offset:         72
        .size:           8
        .value_kind:     global_buffer
      - .offset:         80
        .size:           4
        .value_kind:     by_value
      - .offset:         88
        .size:           8
        .value_kind:     by_value
      - .offset:         96
        .size:           4
        .value_kind:     by_value
    .group_segment_fixed_size: 4096
    .kernarg_segment_align: 8
    .kernarg_segment_size: 100
    .language:       OpenCL C
    .language_version:
      - 2
      - 0
    .max_flat_workgroup_size: 256
    .name:           _ZL32rocblas_syrkx_herkx_small_kernelIi19rocblas_complex_numIfELi16ELb1ELb0ELc78ELc85EKS1_S1_EviT_T0_PT6_S3_lS6_S3_lS4_PT7_S3_li
    .private_segment_fixed_size: 0
    .sgpr_count:     25
    .sgpr_spill_count: 0
    .symbol:         _ZL32rocblas_syrkx_herkx_small_kernelIi19rocblas_complex_numIfELi16ELb1ELb0ELc78ELc85EKS1_S1_EviT_T0_PT6_S3_lS6_S3_lS4_PT7_S3_li.kd
    .uniform_work_group_size: 1
    .uses_dynamic_stack: false
    .vgpr_count:     69
    .vgpr_spill_count: 0
    .wavefront_size: 32
    .workgroup_processor_mode: 1
  - .args:
      - .offset:         0
        .size:           4
        .value_kind:     by_value
      - .offset:         4
        .size:           4
        .value_kind:     by_value
      - .offset:         8
        .size:           8
        .value_kind:     by_value
      - .address_space:  global
        .offset:         16
        .size:           8
        .value_kind:     global_buffer
      - .offset:         24
        .size:           4
        .value_kind:     by_value
      - .offset:         32
        .size:           8
        .value_kind:     by_value
      - .address_space:  global
        .offset:         40
        .size:           8
        .value_kind:     global_buffer
      - .offset:         48
        .size:           4
        .value_kind:     by_value
      - .offset:         56
        .size:           8
        .value_kind:     by_value
      - .offset:         64
        .size:           8
        .value_kind:     by_value
      - .address_space:  global
        .offset:         72
        .size:           8
        .value_kind:     global_buffer
      - .offset:         80
        .size:           4
        .value_kind:     by_value
      - .offset:         88
        .size:           8
        .value_kind:     by_value
      - .offset:         96
        .size:           4
        .value_kind:     by_value
    .group_segment_fixed_size: 4096
    .kernarg_segment_align: 8
    .kernarg_segment_size: 100
    .language:       OpenCL C
    .language_version:
      - 2
      - 0
    .max_flat_workgroup_size: 256
    .name:           _ZL32rocblas_syrkx_herkx_small_kernelIi19rocblas_complex_numIfELi16ELb0ELb0ELc84ELc76EKS1_S1_EviT_T0_PT6_S3_lS6_S3_lS4_PT7_S3_li
    .private_segment_fixed_size: 0
    .sgpr_count:     26
    .sgpr_spill_count: 0
    .symbol:         _ZL32rocblas_syrkx_herkx_small_kernelIi19rocblas_complex_numIfELi16ELb0ELb0ELc84ELc76EKS1_S1_EviT_T0_PT6_S3_lS6_S3_lS4_PT7_S3_li.kd
    .uniform_work_group_size: 1
    .uses_dynamic_stack: false
    .vgpr_count:     68
    .vgpr_spill_count: 0
    .wavefront_size: 32
    .workgroup_processor_mode: 1
  - .args:
      - .offset:         0
        .size:           4
        .value_kind:     by_value
      - .offset:         4
        .size:           4
        .value_kind:     by_value
      - .offset:         8
        .size:           8
        .value_kind:     by_value
      - .address_space:  global
        .offset:         16
        .size:           8
        .value_kind:     global_buffer
      - .offset:         24
        .size:           4
        .value_kind:     by_value
      - .offset:         32
        .size:           8
        .value_kind:     by_value
      - .address_space:  global
        .offset:         40
        .size:           8
        .value_kind:     global_buffer
      - .offset:         48
        .size:           4
        .value_kind:     by_value
      - .offset:         56
        .size:           8
        .value_kind:     by_value
      - .offset:         64
        .size:           8
        .value_kind:     by_value
      - .address_space:  global
        .offset:         72
        .size:           8
        .value_kind:     global_buffer
      - .offset:         80
        .size:           4
        .value_kind:     by_value
      - .offset:         88
        .size:           8
        .value_kind:     by_value
      - .offset:         96
        .size:           4
        .value_kind:     by_value
    .group_segment_fixed_size: 4096
    .kernarg_segment_align: 8
    .kernarg_segment_size: 100
    .language:       OpenCL C
    .language_version:
      - 2
      - 0
    .max_flat_workgroup_size: 256
    .name:           _ZL32rocblas_syrkx_herkx_small_kernelIi19rocblas_complex_numIfELi16ELb0ELb0ELc67ELc76EKS1_S1_EviT_T0_PT6_S3_lS6_S3_lS4_PT7_S3_li
    .private_segment_fixed_size: 0
    .sgpr_count:     26
    .sgpr_spill_count: 0
    .symbol:         _ZL32rocblas_syrkx_herkx_small_kernelIi19rocblas_complex_numIfELi16ELb0ELb0ELc67ELc76EKS1_S1_EviT_T0_PT6_S3_lS6_S3_lS4_PT7_S3_li.kd
    .uniform_work_group_size: 1
    .uses_dynamic_stack: false
    .vgpr_count:     68
    .vgpr_spill_count: 0
    .wavefront_size: 32
    .workgroup_processor_mode: 1
  - .args:
      - .offset:         0
        .size:           4
        .value_kind:     by_value
      - .offset:         4
        .size:           4
        .value_kind:     by_value
      - .offset:         8
        .size:           8
        .value_kind:     by_value
      - .address_space:  global
        .offset:         16
        .size:           8
        .value_kind:     global_buffer
      - .offset:         24
        .size:           4
        .value_kind:     by_value
      - .offset:         32
        .size:           8
        .value_kind:     by_value
      - .address_space:  global
        .offset:         40
        .size:           8
        .value_kind:     global_buffer
      - .offset:         48
        .size:           4
        .value_kind:     by_value
      - .offset:         56
        .size:           8
        .value_kind:     by_value
      - .offset:         64
        .size:           8
        .value_kind:     by_value
      - .address_space:  global
        .offset:         72
        .size:           8
        .value_kind:     global_buffer
      - .offset:         80
        .size:           4
        .value_kind:     by_value
      - .offset:         88
        .size:           8
        .value_kind:     by_value
      - .offset:         96
        .size:           4
        .value_kind:     by_value
    .group_segment_fixed_size: 4096
    .kernarg_segment_align: 8
    .kernarg_segment_size: 100
    .language:       OpenCL C
    .language_version:
      - 2
      - 0
    .max_flat_workgroup_size: 256
    .name:           _ZL32rocblas_syrkx_herkx_small_kernelIi19rocblas_complex_numIfELi16ELb0ELb0ELc78ELc76EKS1_S1_EviT_T0_PT6_S3_lS6_S3_lS4_PT7_S3_li
    .private_segment_fixed_size: 0
    .sgpr_count:     30
    .sgpr_spill_count: 0
    .symbol:         _ZL32rocblas_syrkx_herkx_small_kernelIi19rocblas_complex_numIfELi16ELb0ELb0ELc78ELc76EKS1_S1_EviT_T0_PT6_S3_lS6_S3_lS4_PT7_S3_li.kd
    .uniform_work_group_size: 1
    .uses_dynamic_stack: false
    .vgpr_count:     69
    .vgpr_spill_count: 0
    .wavefront_size: 32
    .workgroup_processor_mode: 1
  - .args:
      - .offset:         0
        .size:           4
        .value_kind:     by_value
      - .offset:         4
        .size:           4
        .value_kind:     by_value
      - .offset:         8
        .size:           8
        .value_kind:     by_value
      - .address_space:  global
        .offset:         16
        .size:           8
        .value_kind:     global_buffer
      - .offset:         24
        .size:           4
        .value_kind:     by_value
      - .offset:         32
        .size:           8
        .value_kind:     by_value
      - .address_space:  global
        .offset:         40
        .size:           8
        .value_kind:     global_buffer
      - .offset:         48
        .size:           4
        .value_kind:     by_value
      - .offset:         56
        .size:           8
        .value_kind:     by_value
      - .offset:         64
        .size:           8
        .value_kind:     by_value
      - .address_space:  global
        .offset:         72
        .size:           8
        .value_kind:     global_buffer
      - .offset:         80
        .size:           4
        .value_kind:     by_value
      - .offset:         88
        .size:           8
        .value_kind:     by_value
      - .offset:         96
        .size:           4
        .value_kind:     by_value
    .group_segment_fixed_size: 4096
    .kernarg_segment_align: 8
    .kernarg_segment_size: 100
    .language:       OpenCL C
    .language_version:
      - 2
      - 0
    .max_flat_workgroup_size: 256
    .name:           _ZL32rocblas_syrkx_herkx_small_kernelIi19rocblas_complex_numIfELi16ELb0ELb0ELc84ELc85EKS1_S1_EviT_T0_PT6_S3_lS6_S3_lS4_PT7_S3_li
    .private_segment_fixed_size: 0
    .sgpr_count:     26
    .sgpr_spill_count: 0
    .symbol:         _ZL32rocblas_syrkx_herkx_small_kernelIi19rocblas_complex_numIfELi16ELb0ELb0ELc84ELc85EKS1_S1_EviT_T0_PT6_S3_lS6_S3_lS4_PT7_S3_li.kd
    .uniform_work_group_size: 1
    .uses_dynamic_stack: false
    .vgpr_count:     68
    .vgpr_spill_count: 0
    .wavefront_size: 32
    .workgroup_processor_mode: 1
  - .args:
      - .offset:         0
        .size:           4
        .value_kind:     by_value
      - .offset:         4
        .size:           4
        .value_kind:     by_value
      - .offset:         8
        .size:           8
        .value_kind:     by_value
      - .address_space:  global
        .offset:         16
        .size:           8
        .value_kind:     global_buffer
      - .offset:         24
        .size:           4
        .value_kind:     by_value
      - .offset:         32
        .size:           8
        .value_kind:     by_value
      - .address_space:  global
        .offset:         40
        .size:           8
        .value_kind:     global_buffer
      - .offset:         48
        .size:           4
        .value_kind:     by_value
      - .offset:         56
        .size:           8
        .value_kind:     by_value
      - .offset:         64
        .size:           8
        .value_kind:     by_value
      - .address_space:  global
        .offset:         72
        .size:           8
        .value_kind:     global_buffer
      - .offset:         80
        .size:           4
        .value_kind:     by_value
      - .offset:         88
        .size:           8
        .value_kind:     by_value
      - .offset:         96
        .size:           4
        .value_kind:     by_value
    .group_segment_fixed_size: 4096
    .kernarg_segment_align: 8
    .kernarg_segment_size: 100
    .language:       OpenCL C
    .language_version:
      - 2
      - 0
    .max_flat_workgroup_size: 256
    .name:           _ZL32rocblas_syrkx_herkx_small_kernelIi19rocblas_complex_numIfELi16ELb0ELb0ELc67ELc85EKS1_S1_EviT_T0_PT6_S3_lS6_S3_lS4_PT7_S3_li
    .private_segment_fixed_size: 0
    .sgpr_count:     26
    .sgpr_spill_count: 0
    .symbol:         _ZL32rocblas_syrkx_herkx_small_kernelIi19rocblas_complex_numIfELi16ELb0ELb0ELc67ELc85EKS1_S1_EviT_T0_PT6_S3_lS6_S3_lS4_PT7_S3_li.kd
    .uniform_work_group_size: 1
    .uses_dynamic_stack: false
    .vgpr_count:     68
    .vgpr_spill_count: 0
    .wavefront_size: 32
    .workgroup_processor_mode: 1
  - .args:
      - .offset:         0
        .size:           4
        .value_kind:     by_value
      - .offset:         4
        .size:           4
        .value_kind:     by_value
      - .offset:         8
        .size:           8
        .value_kind:     by_value
      - .address_space:  global
        .offset:         16
        .size:           8
        .value_kind:     global_buffer
      - .offset:         24
        .size:           4
        .value_kind:     by_value
      - .offset:         32
        .size:           8
        .value_kind:     by_value
      - .address_space:  global
        .offset:         40
        .size:           8
        .value_kind:     global_buffer
      - .offset:         48
        .size:           4
        .value_kind:     by_value
      - .offset:         56
        .size:           8
        .value_kind:     by_value
      - .offset:         64
        .size:           8
        .value_kind:     by_value
      - .address_space:  global
        .offset:         72
        .size:           8
        .value_kind:     global_buffer
      - .offset:         80
        .size:           4
        .value_kind:     by_value
      - .offset:         88
        .size:           8
        .value_kind:     by_value
      - .offset:         96
        .size:           4
        .value_kind:     by_value
    .group_segment_fixed_size: 4096
    .kernarg_segment_align: 8
    .kernarg_segment_size: 100
    .language:       OpenCL C
    .language_version:
      - 2
      - 0
    .max_flat_workgroup_size: 256
    .name:           _ZL32rocblas_syrkx_herkx_small_kernelIi19rocblas_complex_numIfELi16ELb0ELb0ELc78ELc85EKS1_S1_EviT_T0_PT6_S3_lS6_S3_lS4_PT7_S3_li
    .private_segment_fixed_size: 0
    .sgpr_count:     30
    .sgpr_spill_count: 0
    .symbol:         _ZL32rocblas_syrkx_herkx_small_kernelIi19rocblas_complex_numIfELi16ELb0ELb0ELc78ELc85EKS1_S1_EviT_T0_PT6_S3_lS6_S3_lS4_PT7_S3_li.kd
    .uniform_work_group_size: 1
    .uses_dynamic_stack: false
    .vgpr_count:     69
    .vgpr_spill_count: 0
    .wavefront_size: 32
    .workgroup_processor_mode: 1
  - .args:
      - .offset:         0
        .size:           4
        .value_kind:     by_value
      - .offset:         4
        .size:           4
        .value_kind:     by_value
      - .offset:         8
        .size:           8
        .value_kind:     by_value
      - .address_space:  global
        .offset:         16
        .size:           8
        .value_kind:     global_buffer
      - .offset:         24
        .size:           4
        .value_kind:     by_value
      - .offset:         32
        .size:           8
        .value_kind:     by_value
      - .address_space:  global
        .offset:         40
        .size:           8
        .value_kind:     global_buffer
      - .offset:         48
        .size:           4
        .value_kind:     by_value
      - .offset:         56
        .size:           8
        .value_kind:     by_value
      - .offset:         64
        .size:           8
        .value_kind:     by_value
      - .address_space:  global
        .offset:         72
        .size:           8
        .value_kind:     global_buffer
      - .offset:         80
        .size:           4
        .value_kind:     by_value
      - .offset:         88
        .size:           8
        .value_kind:     by_value
      - .offset:         96
        .size:           4
        .value_kind:     by_value
    .group_segment_fixed_size: 4096
    .kernarg_segment_align: 8
    .kernarg_segment_size: 100
    .language:       OpenCL C
    .language_version:
      - 2
      - 0
    .max_flat_workgroup_size: 256
    .name:           _ZL34rocblas_syrkx_herkx_general_kernelIi19rocblas_complex_numIfELi16ELi32ELi8ELb1ELb0ELc84ELc76EKS1_S1_EviT_T0_PT8_S3_lS6_S3_lS4_PT9_S3_li
    .private_segment_fixed_size: 0
    .sgpr_count:     23
    .sgpr_spill_count: 0
    .symbol:         _ZL34rocblas_syrkx_herkx_general_kernelIi19rocblas_complex_numIfELi16ELi32ELi8ELb1ELb0ELc84ELc76EKS1_S1_EviT_T0_PT8_S3_lS6_S3_lS4_PT9_S3_li.kd
    .uniform_work_group_size: 1
    .uses_dynamic_stack: false
    .vgpr_count:     59
    .vgpr_spill_count: 0
    .wavefront_size: 32
    .workgroup_processor_mode: 1
  - .args:
      - .offset:         0
        .size:           4
        .value_kind:     by_value
      - .offset:         4
        .size:           4
        .value_kind:     by_value
      - .offset:         8
        .size:           8
        .value_kind:     by_value
      - .address_space:  global
        .offset:         16
        .size:           8
        .value_kind:     global_buffer
      - .offset:         24
        .size:           4
        .value_kind:     by_value
      - .offset:         32
        .size:           8
        .value_kind:     by_value
      - .address_space:  global
        .offset:         40
        .size:           8
        .value_kind:     global_buffer
      - .offset:         48
        .size:           4
        .value_kind:     by_value
      - .offset:         56
        .size:           8
        .value_kind:     by_value
      - .offset:         64
        .size:           8
        .value_kind:     by_value
      - .address_space:  global
        .offset:         72
        .size:           8
        .value_kind:     global_buffer
      - .offset:         80
        .size:           4
        .value_kind:     by_value
      - .offset:         88
        .size:           8
        .value_kind:     by_value
      - .offset:         96
        .size:           4
        .value_kind:     by_value
    .group_segment_fixed_size: 4096
    .kernarg_segment_align: 8
    .kernarg_segment_size: 100
    .language:       OpenCL C
    .language_version:
      - 2
      - 0
    .max_flat_workgroup_size: 256
    .name:           _ZL34rocblas_syrkx_herkx_general_kernelIi19rocblas_complex_numIfELi16ELi32ELi8ELb1ELb0ELc67ELc76EKS1_S1_EviT_T0_PT8_S3_lS6_S3_lS4_PT9_S3_li
    .private_segment_fixed_size: 0
    .sgpr_count:     23
    .sgpr_spill_count: 0
    .symbol:         _ZL34rocblas_syrkx_herkx_general_kernelIi19rocblas_complex_numIfELi16ELi32ELi8ELb1ELb0ELc67ELc76EKS1_S1_EviT_T0_PT8_S3_lS6_S3_lS4_PT9_S3_li.kd
    .uniform_work_group_size: 1
    .uses_dynamic_stack: false
    .vgpr_count:     59
    .vgpr_spill_count: 0
    .wavefront_size: 32
    .workgroup_processor_mode: 1
  - .args:
      - .offset:         0
        .size:           4
        .value_kind:     by_value
      - .offset:         4
        .size:           4
        .value_kind:     by_value
      - .offset:         8
        .size:           8
        .value_kind:     by_value
      - .address_space:  global
        .offset:         16
        .size:           8
        .value_kind:     global_buffer
      - .offset:         24
        .size:           4
        .value_kind:     by_value
      - .offset:         32
        .size:           8
        .value_kind:     by_value
      - .address_space:  global
        .offset:         40
        .size:           8
        .value_kind:     global_buffer
      - .offset:         48
        .size:           4
        .value_kind:     by_value
      - .offset:         56
        .size:           8
        .value_kind:     by_value
      - .offset:         64
        .size:           8
        .value_kind:     by_value
      - .address_space:  global
        .offset:         72
        .size:           8
        .value_kind:     global_buffer
      - .offset:         80
        .size:           4
        .value_kind:     by_value
      - .offset:         88
        .size:           8
        .value_kind:     by_value
      - .offset:         96
        .size:           4
        .value_kind:     by_value
    .group_segment_fixed_size: 4096
    .kernarg_segment_align: 8
    .kernarg_segment_size: 100
    .language:       OpenCL C
    .language_version:
      - 2
      - 0
    .max_flat_workgroup_size: 256
    .name:           _ZL34rocblas_syrkx_herkx_general_kernelIi19rocblas_complex_numIfELi16ELi32ELi8ELb1ELb0ELc78ELc76EKS1_S1_EviT_T0_PT8_S3_lS6_S3_lS4_PT9_S3_li
    .private_segment_fixed_size: 0
    .sgpr_count:     27
    .sgpr_spill_count: 0
    .symbol:         _ZL34rocblas_syrkx_herkx_general_kernelIi19rocblas_complex_numIfELi16ELi32ELi8ELb1ELb0ELc78ELc76EKS1_S1_EviT_T0_PT8_S3_lS6_S3_lS4_PT9_S3_li.kd
    .uniform_work_group_size: 1
    .uses_dynamic_stack: false
    .vgpr_count:     59
    .vgpr_spill_count: 0
    .wavefront_size: 32
    .workgroup_processor_mode: 1
  - .args:
      - .offset:         0
        .size:           4
        .value_kind:     by_value
      - .offset:         4
        .size:           4
        .value_kind:     by_value
      - .offset:         8
        .size:           8
        .value_kind:     by_value
      - .address_space:  global
        .offset:         16
        .size:           8
        .value_kind:     global_buffer
      - .offset:         24
        .size:           4
        .value_kind:     by_value
      - .offset:         32
        .size:           8
        .value_kind:     by_value
      - .address_space:  global
        .offset:         40
        .size:           8
        .value_kind:     global_buffer
      - .offset:         48
        .size:           4
        .value_kind:     by_value
      - .offset:         56
        .size:           8
        .value_kind:     by_value
      - .offset:         64
        .size:           8
        .value_kind:     by_value
      - .address_space:  global
        .offset:         72
        .size:           8
        .value_kind:     global_buffer
      - .offset:         80
        .size:           4
        .value_kind:     by_value
      - .offset:         88
        .size:           8
        .value_kind:     by_value
      - .offset:         96
        .size:           4
        .value_kind:     by_value
    .group_segment_fixed_size: 4096
    .kernarg_segment_align: 8
    .kernarg_segment_size: 100
    .language:       OpenCL C
    .language_version:
      - 2
      - 0
    .max_flat_workgroup_size: 256
    .name:           _ZL34rocblas_syrkx_herkx_general_kernelIi19rocblas_complex_numIfELi16ELi32ELi8ELb1ELb0ELc84ELc85EKS1_S1_EviT_T0_PT8_S3_lS6_S3_lS4_PT9_S3_li
    .private_segment_fixed_size: 0
    .sgpr_count:     23
    .sgpr_spill_count: 0
    .symbol:         _ZL34rocblas_syrkx_herkx_general_kernelIi19rocblas_complex_numIfELi16ELi32ELi8ELb1ELb0ELc84ELc85EKS1_S1_EviT_T0_PT8_S3_lS6_S3_lS4_PT9_S3_li.kd
    .uniform_work_group_size: 1
    .uses_dynamic_stack: false
    .vgpr_count:     59
    .vgpr_spill_count: 0
    .wavefront_size: 32
    .workgroup_processor_mode: 1
  - .args:
      - .offset:         0
        .size:           4
        .value_kind:     by_value
      - .offset:         4
        .size:           4
        .value_kind:     by_value
      - .offset:         8
        .size:           8
        .value_kind:     by_value
      - .address_space:  global
        .offset:         16
        .size:           8
        .value_kind:     global_buffer
      - .offset:         24
        .size:           4
        .value_kind:     by_value
      - .offset:         32
        .size:           8
        .value_kind:     by_value
      - .address_space:  global
        .offset:         40
        .size:           8
        .value_kind:     global_buffer
      - .offset:         48
        .size:           4
        .value_kind:     by_value
      - .offset:         56
        .size:           8
        .value_kind:     by_value
      - .offset:         64
        .size:           8
        .value_kind:     by_value
      - .address_space:  global
        .offset:         72
        .size:           8
        .value_kind:     global_buffer
      - .offset:         80
        .size:           4
        .value_kind:     by_value
      - .offset:         88
        .size:           8
        .value_kind:     by_value
      - .offset:         96
        .size:           4
        .value_kind:     by_value
    .group_segment_fixed_size: 4096
    .kernarg_segment_align: 8
    .kernarg_segment_size: 100
    .language:       OpenCL C
    .language_version:
      - 2
      - 0
    .max_flat_workgroup_size: 256
    .name:           _ZL34rocblas_syrkx_herkx_general_kernelIi19rocblas_complex_numIfELi16ELi32ELi8ELb1ELb0ELc67ELc85EKS1_S1_EviT_T0_PT8_S3_lS6_S3_lS4_PT9_S3_li
    .private_segment_fixed_size: 0
    .sgpr_count:     23
    .sgpr_spill_count: 0
    .symbol:         _ZL34rocblas_syrkx_herkx_general_kernelIi19rocblas_complex_numIfELi16ELi32ELi8ELb1ELb0ELc67ELc85EKS1_S1_EviT_T0_PT8_S3_lS6_S3_lS4_PT9_S3_li.kd
    .uniform_work_group_size: 1
    .uses_dynamic_stack: false
    .vgpr_count:     59
    .vgpr_spill_count: 0
    .wavefront_size: 32
    .workgroup_processor_mode: 1
  - .args:
      - .offset:         0
        .size:           4
        .value_kind:     by_value
      - .offset:         4
        .size:           4
        .value_kind:     by_value
      - .offset:         8
        .size:           8
        .value_kind:     by_value
      - .address_space:  global
        .offset:         16
        .size:           8
        .value_kind:     global_buffer
      - .offset:         24
        .size:           4
        .value_kind:     by_value
      - .offset:         32
        .size:           8
        .value_kind:     by_value
      - .address_space:  global
        .offset:         40
        .size:           8
        .value_kind:     global_buffer
      - .offset:         48
        .size:           4
        .value_kind:     by_value
      - .offset:         56
        .size:           8
        .value_kind:     by_value
      - .offset:         64
        .size:           8
        .value_kind:     by_value
      - .address_space:  global
        .offset:         72
        .size:           8
        .value_kind:     global_buffer
      - .offset:         80
        .size:           4
        .value_kind:     by_value
      - .offset:         88
        .size:           8
        .value_kind:     by_value
      - .offset:         96
        .size:           4
        .value_kind:     by_value
    .group_segment_fixed_size: 4096
    .kernarg_segment_align: 8
    .kernarg_segment_size: 100
    .language:       OpenCL C
    .language_version:
      - 2
      - 0
    .max_flat_workgroup_size: 256
    .name:           _ZL34rocblas_syrkx_herkx_general_kernelIi19rocblas_complex_numIfELi16ELi32ELi8ELb1ELb0ELc78ELc85EKS1_S1_EviT_T0_PT8_S3_lS6_S3_lS4_PT9_S3_li
    .private_segment_fixed_size: 0
    .sgpr_count:     27
    .sgpr_spill_count: 0
    .symbol:         _ZL34rocblas_syrkx_herkx_general_kernelIi19rocblas_complex_numIfELi16ELi32ELi8ELb1ELb0ELc78ELc85EKS1_S1_EviT_T0_PT8_S3_lS6_S3_lS4_PT9_S3_li.kd
    .uniform_work_group_size: 1
    .uses_dynamic_stack: false
    .vgpr_count:     59
    .vgpr_spill_count: 0
    .wavefront_size: 32
    .workgroup_processor_mode: 1
  - .args:
      - .offset:         0
        .size:           4
        .value_kind:     by_value
      - .offset:         4
        .size:           4
        .value_kind:     by_value
      - .offset:         8
        .size:           8
        .value_kind:     by_value
      - .address_space:  global
        .offset:         16
        .size:           8
        .value_kind:     global_buffer
      - .offset:         24
        .size:           4
        .value_kind:     by_value
      - .offset:         32
        .size:           8
        .value_kind:     by_value
      - .address_space:  global
        .offset:         40
        .size:           8
        .value_kind:     global_buffer
      - .offset:         48
        .size:           4
        .value_kind:     by_value
      - .offset:         56
        .size:           8
        .value_kind:     by_value
      - .offset:         64
        .size:           8
        .value_kind:     by_value
      - .address_space:  global
        .offset:         72
        .size:           8
        .value_kind:     global_buffer
      - .offset:         80
        .size:           4
        .value_kind:     by_value
      - .offset:         88
        .size:           8
        .value_kind:     by_value
      - .offset:         96
        .size:           4
        .value_kind:     by_value
    .group_segment_fixed_size: 4096
    .kernarg_segment_align: 8
    .kernarg_segment_size: 100
    .language:       OpenCL C
    .language_version:
      - 2
      - 0
    .max_flat_workgroup_size: 256
    .name:           _ZL34rocblas_syrkx_herkx_general_kernelIi19rocblas_complex_numIfELi16ELi32ELi8ELb0ELb0ELc84ELc76EKS1_S1_EviT_T0_PT8_S3_lS6_S3_lS4_PT9_S3_li
    .private_segment_fixed_size: 0
    .sgpr_count:     27
    .sgpr_spill_count: 0
    .symbol:         _ZL34rocblas_syrkx_herkx_general_kernelIi19rocblas_complex_numIfELi16ELi32ELi8ELb0ELb0ELc84ELc76EKS1_S1_EviT_T0_PT8_S3_lS6_S3_lS4_PT9_S3_li.kd
    .uniform_work_group_size: 1
    .uses_dynamic_stack: false
    .vgpr_count:     59
    .vgpr_spill_count: 0
    .wavefront_size: 32
    .workgroup_processor_mode: 1
  - .args:
      - .offset:         0
        .size:           4
        .value_kind:     by_value
      - .offset:         4
        .size:           4
        .value_kind:     by_value
      - .offset:         8
        .size:           8
        .value_kind:     by_value
      - .address_space:  global
        .offset:         16
        .size:           8
        .value_kind:     global_buffer
      - .offset:         24
        .size:           4
        .value_kind:     by_value
      - .offset:         32
        .size:           8
        .value_kind:     by_value
      - .address_space:  global
        .offset:         40
        .size:           8
        .value_kind:     global_buffer
      - .offset:         48
        .size:           4
        .value_kind:     by_value
      - .offset:         56
        .size:           8
        .value_kind:     by_value
      - .offset:         64
        .size:           8
        .value_kind:     by_value
      - .address_space:  global
        .offset:         72
        .size:           8
        .value_kind:     global_buffer
      - .offset:         80
        .size:           4
        .value_kind:     by_value
      - .offset:         88
        .size:           8
        .value_kind:     by_value
      - .offset:         96
        .size:           4
        .value_kind:     by_value
    .group_segment_fixed_size: 4096
    .kernarg_segment_align: 8
    .kernarg_segment_size: 100
    .language:       OpenCL C
    .language_version:
      - 2
      - 0
    .max_flat_workgroup_size: 256
    .name:           _ZL34rocblas_syrkx_herkx_general_kernelIi19rocblas_complex_numIfELi16ELi32ELi8ELb0ELb0ELc67ELc76EKS1_S1_EviT_T0_PT8_S3_lS6_S3_lS4_PT9_S3_li
    .private_segment_fixed_size: 0
    .sgpr_count:     27
    .sgpr_spill_count: 0
    .symbol:         _ZL34rocblas_syrkx_herkx_general_kernelIi19rocblas_complex_numIfELi16ELi32ELi8ELb0ELb0ELc67ELc76EKS1_S1_EviT_T0_PT8_S3_lS6_S3_lS4_PT9_S3_li.kd
    .uniform_work_group_size: 1
    .uses_dynamic_stack: false
    .vgpr_count:     59
    .vgpr_spill_count: 0
    .wavefront_size: 32
    .workgroup_processor_mode: 1
  - .args:
      - .offset:         0
        .size:           4
        .value_kind:     by_value
      - .offset:         4
        .size:           4
        .value_kind:     by_value
      - .offset:         8
        .size:           8
        .value_kind:     by_value
      - .address_space:  global
        .offset:         16
        .size:           8
        .value_kind:     global_buffer
      - .offset:         24
        .size:           4
        .value_kind:     by_value
      - .offset:         32
        .size:           8
        .value_kind:     by_value
      - .address_space:  global
        .offset:         40
        .size:           8
        .value_kind:     global_buffer
      - .offset:         48
        .size:           4
        .value_kind:     by_value
      - .offset:         56
        .size:           8
        .value_kind:     by_value
      - .offset:         64
        .size:           8
        .value_kind:     by_value
      - .address_space:  global
        .offset:         72
        .size:           8
        .value_kind:     global_buffer
      - .offset:         80
        .size:           4
        .value_kind:     by_value
      - .offset:         88
        .size:           8
        .value_kind:     by_value
      - .offset:         96
        .size:           4
        .value_kind:     by_value
    .group_segment_fixed_size: 4096
    .kernarg_segment_align: 8
    .kernarg_segment_size: 100
    .language:       OpenCL C
    .language_version:
      - 2
      - 0
    .max_flat_workgroup_size: 256
    .name:           _ZL34rocblas_syrkx_herkx_general_kernelIi19rocblas_complex_numIfELi16ELi32ELi8ELb0ELb0ELc78ELc76EKS1_S1_EviT_T0_PT8_S3_lS6_S3_lS4_PT9_S3_li
    .private_segment_fixed_size: 0
    .sgpr_count:     31
    .sgpr_spill_count: 0
    .symbol:         _ZL34rocblas_syrkx_herkx_general_kernelIi19rocblas_complex_numIfELi16ELi32ELi8ELb0ELb0ELc78ELc76EKS1_S1_EviT_T0_PT8_S3_lS6_S3_lS4_PT9_S3_li.kd
    .uniform_work_group_size: 1
    .uses_dynamic_stack: false
    .vgpr_count:     59
    .vgpr_spill_count: 0
    .wavefront_size: 32
    .workgroup_processor_mode: 1
  - .args:
      - .offset:         0
        .size:           4
        .value_kind:     by_value
      - .offset:         4
        .size:           4
        .value_kind:     by_value
      - .offset:         8
        .size:           8
        .value_kind:     by_value
      - .address_space:  global
        .offset:         16
        .size:           8
        .value_kind:     global_buffer
      - .offset:         24
        .size:           4
        .value_kind:     by_value
      - .offset:         32
        .size:           8
        .value_kind:     by_value
      - .address_space:  global
        .offset:         40
        .size:           8
        .value_kind:     global_buffer
      - .offset:         48
        .size:           4
        .value_kind:     by_value
      - .offset:         56
        .size:           8
        .value_kind:     by_value
      - .offset:         64
        .size:           8
        .value_kind:     by_value
      - .address_space:  global
        .offset:         72
        .size:           8
        .value_kind:     global_buffer
      - .offset:         80
        .size:           4
        .value_kind:     by_value
      - .offset:         88
        .size:           8
        .value_kind:     by_value
      - .offset:         96
        .size:           4
        .value_kind:     by_value
    .group_segment_fixed_size: 4096
    .kernarg_segment_align: 8
    .kernarg_segment_size: 100
    .language:       OpenCL C
    .language_version:
      - 2
      - 0
    .max_flat_workgroup_size: 256
    .name:           _ZL34rocblas_syrkx_herkx_general_kernelIi19rocblas_complex_numIfELi16ELi32ELi8ELb0ELb0ELc84ELc85EKS1_S1_EviT_T0_PT8_S3_lS6_S3_lS4_PT9_S3_li
    .private_segment_fixed_size: 0
    .sgpr_count:     27
    .sgpr_spill_count: 0
    .symbol:         _ZL34rocblas_syrkx_herkx_general_kernelIi19rocblas_complex_numIfELi16ELi32ELi8ELb0ELb0ELc84ELc85EKS1_S1_EviT_T0_PT8_S3_lS6_S3_lS4_PT9_S3_li.kd
    .uniform_work_group_size: 1
    .uses_dynamic_stack: false
    .vgpr_count:     59
    .vgpr_spill_count: 0
    .wavefront_size: 32
    .workgroup_processor_mode: 1
  - .args:
      - .offset:         0
        .size:           4
        .value_kind:     by_value
      - .offset:         4
        .size:           4
        .value_kind:     by_value
      - .offset:         8
        .size:           8
        .value_kind:     by_value
      - .address_space:  global
        .offset:         16
        .size:           8
        .value_kind:     global_buffer
      - .offset:         24
        .size:           4
        .value_kind:     by_value
      - .offset:         32
        .size:           8
        .value_kind:     by_value
      - .address_space:  global
        .offset:         40
        .size:           8
        .value_kind:     global_buffer
      - .offset:         48
        .size:           4
        .value_kind:     by_value
      - .offset:         56
        .size:           8
        .value_kind:     by_value
      - .offset:         64
        .size:           8
        .value_kind:     by_value
      - .address_space:  global
        .offset:         72
        .size:           8
        .value_kind:     global_buffer
      - .offset:         80
        .size:           4
        .value_kind:     by_value
      - .offset:         88
        .size:           8
        .value_kind:     by_value
      - .offset:         96
        .size:           4
        .value_kind:     by_value
    .group_segment_fixed_size: 4096
    .kernarg_segment_align: 8
    .kernarg_segment_size: 100
    .language:       OpenCL C
    .language_version:
      - 2
      - 0
    .max_flat_workgroup_size: 256
    .name:           _ZL34rocblas_syrkx_herkx_general_kernelIi19rocblas_complex_numIfELi16ELi32ELi8ELb0ELb0ELc67ELc85EKS1_S1_EviT_T0_PT8_S3_lS6_S3_lS4_PT9_S3_li
    .private_segment_fixed_size: 0
    .sgpr_count:     27
    .sgpr_spill_count: 0
    .symbol:         _ZL34rocblas_syrkx_herkx_general_kernelIi19rocblas_complex_numIfELi16ELi32ELi8ELb0ELb0ELc67ELc85EKS1_S1_EviT_T0_PT8_S3_lS6_S3_lS4_PT9_S3_li.kd
    .uniform_work_group_size: 1
    .uses_dynamic_stack: false
    .vgpr_count:     59
    .vgpr_spill_count: 0
    .wavefront_size: 32
    .workgroup_processor_mode: 1
  - .args:
      - .offset:         0
        .size:           4
        .value_kind:     by_value
      - .offset:         4
        .size:           4
        .value_kind:     by_value
      - .offset:         8
        .size:           8
        .value_kind:     by_value
      - .address_space:  global
        .offset:         16
        .size:           8
        .value_kind:     global_buffer
      - .offset:         24
        .size:           4
        .value_kind:     by_value
      - .offset:         32
        .size:           8
        .value_kind:     by_value
      - .address_space:  global
        .offset:         40
        .size:           8
        .value_kind:     global_buffer
      - .offset:         48
        .size:           4
        .value_kind:     by_value
      - .offset:         56
        .size:           8
        .value_kind:     by_value
      - .offset:         64
        .size:           8
        .value_kind:     by_value
      - .address_space:  global
        .offset:         72
        .size:           8
        .value_kind:     global_buffer
      - .offset:         80
        .size:           4
        .value_kind:     by_value
      - .offset:         88
        .size:           8
        .value_kind:     by_value
      - .offset:         96
        .size:           4
        .value_kind:     by_value
    .group_segment_fixed_size: 4096
    .kernarg_segment_align: 8
    .kernarg_segment_size: 100
    .language:       OpenCL C
    .language_version:
      - 2
      - 0
    .max_flat_workgroup_size: 256
    .name:           _ZL34rocblas_syrkx_herkx_general_kernelIi19rocblas_complex_numIfELi16ELi32ELi8ELb0ELb0ELc78ELc85EKS1_S1_EviT_T0_PT8_S3_lS6_S3_lS4_PT9_S3_li
    .private_segment_fixed_size: 0
    .sgpr_count:     31
    .sgpr_spill_count: 0
    .symbol:         _ZL34rocblas_syrkx_herkx_general_kernelIi19rocblas_complex_numIfELi16ELi32ELi8ELb0ELb0ELc78ELc85EKS1_S1_EviT_T0_PT8_S3_lS6_S3_lS4_PT9_S3_li.kd
    .uniform_work_group_size: 1
    .uses_dynamic_stack: false
    .vgpr_count:     59
    .vgpr_spill_count: 0
    .wavefront_size: 32
    .workgroup_processor_mode: 1
  - .args:
      - .offset:         0
        .size:           1
        .value_kind:     by_value
      - .offset:         4
        .size:           4
        .value_kind:     by_value
      - .offset:         8
        .size:           4
        .value_kind:     by_value
      - .offset:         12
        .size:           8
        .value_kind:     by_value
      - .offset:         20
        .size:           8
        .value_kind:     by_value
      - .address_space:  global
        .offset:         32
        .size:           8
        .value_kind:     global_buffer
      - .offset:         40
        .size:           4
        .value_kind:     by_value
      - .offset:         48
        .size:           8
        .value_kind:     by_value
      - .offset:         56
        .size:           4
        .value_kind:     by_value
      - .offset:         64
        .size:           4
        .value_kind:     hidden_block_count_x
      - .offset:         68
        .size:           4
        .value_kind:     hidden_block_count_y
      - .offset:         72
        .size:           4
        .value_kind:     hidden_block_count_z
      - .offset:         76
        .size:           2
        .value_kind:     hidden_group_size_x
      - .offset:         78
        .size:           2
        .value_kind:     hidden_group_size_y
      - .offset:         80
        .size:           2
        .value_kind:     hidden_group_size_z
      - .offset:         82
        .size:           2
        .value_kind:     hidden_remainder_x
      - .offset:         84
        .size:           2
        .value_kind:     hidden_remainder_y
      - .offset:         86
        .size:           2
        .value_kind:     hidden_remainder_z
      - .offset:         104
        .size:           8
        .value_kind:     hidden_global_offset_x
      - .offset:         112
        .size:           8
        .value_kind:     hidden_global_offset_y
      - .offset:         120
        .size:           8
        .value_kind:     hidden_global_offset_z
      - .offset:         128
        .size:           2
        .value_kind:     hidden_grid_dims
    .group_segment_fixed_size: 0
    .kernarg_segment_align: 8
    .kernarg_segment_size: 320
    .language:       OpenCL C
    .language_version:
      - 2
      - 0
    .max_flat_workgroup_size: 1024
    .name:           _ZL26rocblas_syr2k_scale_kernelIiLi128ELi8ELb0E19rocblas_complex_numIfES1_PS1_EvbiT_T3_T4_T5_S3_li
    .private_segment_fixed_size: 0
    .sgpr_count:     18
    .sgpr_spill_count: 0
    .symbol:         _ZL26rocblas_syr2k_scale_kernelIiLi128ELi8ELb0E19rocblas_complex_numIfES1_PS1_EvbiT_T3_T4_T5_S3_li.kd
    .uniform_work_group_size: 1
    .uses_dynamic_stack: false
    .vgpr_count:     6
    .vgpr_spill_count: 0
    .wavefront_size: 32
    .workgroup_processor_mode: 1
  - .args:
      - .offset:         0
        .size:           1
        .value_kind:     by_value
      - .offset:         4
        .size:           4
        .value_kind:     by_value
      - .offset:         8
        .size:           4
        .value_kind:     by_value
      - .address_space:  global
        .offset:         16
        .size:           8
        .value_kind:     global_buffer
      - .address_space:  global
        .offset:         24
        .size:           8
        .value_kind:     global_buffer
      - .offset:         32
        .size:           4
        .value_kind:     by_value
      - .offset:         40
        .size:           8
        .value_kind:     by_value
      - .address_space:  global
        .offset:         48
        .size:           8
        .value_kind:     global_buffer
      - .offset:         56
        .size:           4
        .value_kind:     by_value
      - .offset:         64
        .size:           8
        .value_kind:     by_value
      - .address_space:  global
        .offset:         72
        .size:           8
        .value_kind:     global_buffer
      - .offset:         80
        .size:           4
        .value_kind:     by_value
      - .offset:         88
        .size:           8
        .value_kind:     by_value
      - .offset:         96
        .size:           4
        .value_kind:     by_value
    .group_segment_fixed_size: 16384
    .kernarg_segment_align: 8
    .kernarg_segment_size: 100
    .language:       OpenCL C
    .language_version:
      - 2
      - 0
    .max_flat_workgroup_size: 1024
    .name:           _ZL26rocblas_syr2k_her2k_kernelIiLb0ELb0ELb0ELi32EPK19rocblas_complex_numIfES3_PS1_EvbiT_T4_T5_S5_lS7_S5_lT6_S5_li
    .private_segment_fixed_size: 0
    .sgpr_count:     26
    .sgpr_spill_count: 0
    .symbol:         _ZL26rocblas_syr2k_her2k_kernelIiLb0ELb0ELb0ELi32EPK19rocblas_complex_numIfES3_PS1_EvbiT_T4_T5_S5_lS7_S5_lT6_S5_li.kd
    .uniform_work_group_size: 1
    .uses_dynamic_stack: false
    .vgpr_count:     36
    .vgpr_spill_count: 0
    .wavefront_size: 32
    .workgroup_processor_mode: 1
  - .args:
      - .offset:         0
        .size:           1
        .value_kind:     by_value
      - .offset:         4
        .size:           4
        .value_kind:     by_value
      - .offset:         8
        .size:           4
        .value_kind:     by_value
      - .address_space:  global
        .offset:         16
        .size:           8
        .value_kind:     global_buffer
      - .address_space:  global
        .offset:         24
        .size:           8
        .value_kind:     global_buffer
      - .offset:         32
        .size:           4
        .value_kind:     by_value
      - .offset:         40
        .size:           8
        .value_kind:     by_value
      - .address_space:  global
        .offset:         48
        .size:           8
        .value_kind:     global_buffer
      - .offset:         56
        .size:           4
        .value_kind:     by_value
      - .offset:         64
        .size:           8
        .value_kind:     by_value
      - .address_space:  global
        .offset:         72
        .size:           8
        .value_kind:     global_buffer
      - .offset:         80
        .size:           4
        .value_kind:     by_value
      - .offset:         88
        .size:           8
        .value_kind:     by_value
      - .offset:         96
        .size:           4
        .value_kind:     by_value
    .group_segment_fixed_size: 16384
    .kernarg_segment_align: 8
    .kernarg_segment_size: 100
    .language:       OpenCL C
    .language_version:
      - 2
      - 0
    .max_flat_workgroup_size: 1024
    .name:           _ZL26rocblas_syr2k_her2k_kernelIiLb0ELb0ELb1ELi32EPK19rocblas_complex_numIfES3_PS1_EvbiT_T4_T5_S5_lS7_S5_lT6_S5_li
    .private_segment_fixed_size: 0
    .sgpr_count:     26
    .sgpr_spill_count: 0
    .symbol:         _ZL26rocblas_syr2k_her2k_kernelIiLb0ELb0ELb1ELi32EPK19rocblas_complex_numIfES3_PS1_EvbiT_T4_T5_S5_lS7_S5_lT6_S5_li.kd
    .uniform_work_group_size: 1
    .uses_dynamic_stack: false
    .vgpr_count:     37
    .vgpr_spill_count: 0
    .wavefront_size: 32
    .workgroup_processor_mode: 1
  - .args:
      - .offset:         0
        .size:           1
        .value_kind:     by_value
      - .offset:         4
        .size:           4
        .value_kind:     by_value
      - .offset:         8
        .size:           4
        .value_kind:     by_value
      - .offset:         16
        .size:           16
        .value_kind:     by_value
      - .address_space:  global
        .offset:         32
        .size:           8
        .value_kind:     global_buffer
      - .offset:         40
        .size:           4
        .value_kind:     by_value
      - .offset:         48
        .size:           8
        .value_kind:     by_value
      - .address_space:  global
        .offset:         56
        .size:           8
        .value_kind:     global_buffer
      - .offset:         64
        .size:           4
        .value_kind:     by_value
      - .offset:         72
        .size:           8
        .value_kind:     by_value
      - .address_space:  global
        .offset:         80
        .size:           8
        .value_kind:     global_buffer
      - .offset:         88
        .size:           4
        .value_kind:     by_value
      - .offset:         96
        .size:           8
        .value_kind:     by_value
      - .offset:         104
        .size:           4
        .value_kind:     by_value
    .group_segment_fixed_size: 32768
    .kernarg_segment_align: 8
    .kernarg_segment_size: 108
    .language:       OpenCL C
    .language_version:
      - 2
      - 0
    .max_flat_workgroup_size: 1024
    .name:           _ZL26rocblas_syr2k_her2k_kernelIiLb0ELb0ELb0ELi32E19rocblas_complex_numIdEPKS1_PS1_EvbiT_T4_T5_S5_lS7_S5_lT6_S5_li
    .private_segment_fixed_size: 0
    .sgpr_count:     28
    .sgpr_spill_count: 0
    .symbol:         _ZL26rocblas_syr2k_her2k_kernelIiLb0ELb0ELb0ELi32E19rocblas_complex_numIdEPKS1_PS1_EvbiT_T4_T5_S5_lS7_S5_lT6_S5_li.kd
    .uniform_work_group_size: 1
    .uses_dynamic_stack: false
    .vgpr_count:     52
    .vgpr_spill_count: 0
    .wavefront_size: 32
    .workgroup_processor_mode: 1
  - .args:
      - .offset:         0
        .size:           1
        .value_kind:     by_value
      - .offset:         4
        .size:           4
        .value_kind:     by_value
      - .offset:         8
        .size:           4
        .value_kind:     by_value
      - .offset:         16
        .size:           16
        .value_kind:     by_value
      - .address_space:  global
        .offset:         32
        .size:           8
        .value_kind:     global_buffer
      - .offset:         40
        .size:           4
        .value_kind:     by_value
      - .offset:         48
        .size:           8
        .value_kind:     by_value
      - .address_space:  global
        .offset:         56
        .size:           8
        .value_kind:     global_buffer
      - .offset:         64
        .size:           4
        .value_kind:     by_value
      - .offset:         72
        .size:           8
        .value_kind:     by_value
      - .address_space:  global
        .offset:         80
        .size:           8
        .value_kind:     global_buffer
      - .offset:         88
        .size:           4
        .value_kind:     by_value
      - .offset:         96
        .size:           8
        .value_kind:     by_value
      - .offset:         104
        .size:           4
        .value_kind:     by_value
    .group_segment_fixed_size: 32768
    .kernarg_segment_align: 8
    .kernarg_segment_size: 108
    .language:       OpenCL C
    .language_version:
      - 2
      - 0
    .max_flat_workgroup_size: 1024
    .name:           _ZL26rocblas_syr2k_her2k_kernelIiLb0ELb0ELb1ELi32E19rocblas_complex_numIdEPKS1_PS1_EvbiT_T4_T5_S5_lS7_S5_lT6_S5_li
    .private_segment_fixed_size: 0
    .sgpr_count:     28
    .sgpr_spill_count: 0
    .symbol:         _ZL26rocblas_syr2k_her2k_kernelIiLb0ELb0ELb1ELi32E19rocblas_complex_numIdEPKS1_PS1_EvbiT_T4_T5_S5_lS7_S5_lT6_S5_li.kd
    .uniform_work_group_size: 1
    .uses_dynamic_stack: false
    .vgpr_count:     52
    .vgpr_spill_count: 0
    .wavefront_size: 32
    .workgroup_processor_mode: 1
  - .args:
      - .offset:         0
        .size:           4
        .value_kind:     by_value
      - .offset:         4
        .size:           4
        .value_kind:     by_value
      - .address_space:  global
        .offset:         8
        .size:           8
        .value_kind:     global_buffer
      - .offset:         16
        .size:           4
        .value_kind:     by_value
      - .offset:         24
        .size:           8
        .value_kind:     by_value
      - .address_space:  global
        .offset:         32
        .size:           8
        .value_kind:     global_buffer
      - .offset:         40
        .size:           4
        .value_kind:     by_value
      - .offset:         48
        .size:           8
        .value_kind:     by_value
      - .address_space:  global
        .offset:         56
        .size:           8
        .value_kind:     global_buffer
      - .offset:         64
        .size:           4
        .value_kind:     by_value
      - .offset:         72
        .size:           8
        .value_kind:     by_value
      - .offset:         80
        .size:           4
        .value_kind:     by_value
    .group_segment_fixed_size: 8192
    .kernarg_segment_align: 8
    .kernarg_segment_size: 84
    .language:       OpenCL C
    .language_version:
      - 2
      - 0
    .max_flat_workgroup_size: 256
    .name:           _ZL37rocblas_syrkx_herkx_restricted_kernelIi19rocblas_complex_numIdELi16ELi32ELi8ELi1ELi1ELb0ELc84ELc76EKS1_S1_EviT_PT9_S3_lS5_S3_lPT10_S3_li
    .private_segment_fixed_size: 0
    .sgpr_count:     22
    .sgpr_spill_count: 0
    .symbol:         _ZL37rocblas_syrkx_herkx_restricted_kernelIi19rocblas_complex_numIdELi16ELi32ELi8ELi1ELi1ELb0ELc84ELc76EKS1_S1_EviT_PT9_S3_lS5_S3_lPT10_S3_li.kd
    .uniform_work_group_size: 1
    .uses_dynamic_stack: false
    .vgpr_count:     52
    .vgpr_spill_count: 0
    .wavefront_size: 32
    .workgroup_processor_mode: 1
  - .args:
      - .offset:         0
        .size:           4
        .value_kind:     by_value
      - .offset:         4
        .size:           4
        .value_kind:     by_value
      - .address_space:  global
        .offset:         8
        .size:           8
        .value_kind:     global_buffer
      - .offset:         16
        .size:           4
        .value_kind:     by_value
      - .offset:         24
        .size:           8
        .value_kind:     by_value
      - .address_space:  global
        .offset:         32
        .size:           8
        .value_kind:     global_buffer
      - .offset:         40
        .size:           4
        .value_kind:     by_value
      - .offset:         48
        .size:           8
        .value_kind:     by_value
      - .address_space:  global
        .offset:         56
        .size:           8
        .value_kind:     global_buffer
      - .offset:         64
        .size:           4
        .value_kind:     by_value
      - .offset:         72
        .size:           8
        .value_kind:     by_value
      - .offset:         80
        .size:           4
        .value_kind:     by_value
    .group_segment_fixed_size: 8192
    .kernarg_segment_align: 8
    .kernarg_segment_size: 84
    .language:       OpenCL C
    .language_version:
      - 2
      - 0
    .max_flat_workgroup_size: 256
    .name:           _ZL37rocblas_syrkx_herkx_restricted_kernelIi19rocblas_complex_numIdELi16ELi32ELi8ELi1ELi1ELb0ELc67ELc76EKS1_S1_EviT_PT9_S3_lS5_S3_lPT10_S3_li
    .private_segment_fixed_size: 0
    .sgpr_count:     22
    .sgpr_spill_count: 0
    .symbol:         _ZL37rocblas_syrkx_herkx_restricted_kernelIi19rocblas_complex_numIdELi16ELi32ELi8ELi1ELi1ELb0ELc67ELc76EKS1_S1_EviT_PT9_S3_lS5_S3_lPT10_S3_li.kd
    .uniform_work_group_size: 1
    .uses_dynamic_stack: false
    .vgpr_count:     52
    .vgpr_spill_count: 0
    .wavefront_size: 32
    .workgroup_processor_mode: 1
  - .args:
      - .offset:         0
        .size:           4
        .value_kind:     by_value
      - .offset:         4
        .size:           4
        .value_kind:     by_value
      - .address_space:  global
        .offset:         8
        .size:           8
        .value_kind:     global_buffer
      - .offset:         16
        .size:           4
        .value_kind:     by_value
      - .offset:         24
        .size:           8
        .value_kind:     by_value
      - .address_space:  global
        .offset:         32
        .size:           8
        .value_kind:     global_buffer
      - .offset:         40
        .size:           4
        .value_kind:     by_value
      - .offset:         48
        .size:           8
        .value_kind:     by_value
      - .address_space:  global
        .offset:         56
        .size:           8
        .value_kind:     global_buffer
      - .offset:         64
        .size:           4
        .value_kind:     by_value
      - .offset:         72
        .size:           8
        .value_kind:     by_value
      - .offset:         80
        .size:           4
        .value_kind:     by_value
    .group_segment_fixed_size: 8192
    .kernarg_segment_align: 8
    .kernarg_segment_size: 84
    .language:       OpenCL C
    .language_version:
      - 2
      - 0
    .max_flat_workgroup_size: 256
    .name:           _ZL37rocblas_syrkx_herkx_restricted_kernelIi19rocblas_complex_numIdELi16ELi32ELi8ELi1ELi1ELb0ELc78ELc76EKS1_S1_EviT_PT9_S3_lS5_S3_lPT10_S3_li
    .private_segment_fixed_size: 0
    .sgpr_count:     25
    .sgpr_spill_count: 0
    .symbol:         _ZL37rocblas_syrkx_herkx_restricted_kernelIi19rocblas_complex_numIdELi16ELi32ELi8ELi1ELi1ELb0ELc78ELc76EKS1_S1_EviT_PT9_S3_lS5_S3_lPT10_S3_li.kd
    .uniform_work_group_size: 1
    .uses_dynamic_stack: false
    .vgpr_count:     52
    .vgpr_spill_count: 0
    .wavefront_size: 32
    .workgroup_processor_mode: 1
  - .args:
      - .offset:         0
        .size:           4
        .value_kind:     by_value
      - .offset:         4
        .size:           4
        .value_kind:     by_value
      - .address_space:  global
        .offset:         8
        .size:           8
        .value_kind:     global_buffer
      - .offset:         16
        .size:           4
        .value_kind:     by_value
      - .offset:         24
        .size:           8
        .value_kind:     by_value
      - .address_space:  global
        .offset:         32
        .size:           8
        .value_kind:     global_buffer
      - .offset:         40
        .size:           4
        .value_kind:     by_value
      - .offset:         48
        .size:           8
        .value_kind:     by_value
      - .address_space:  global
        .offset:         56
        .size:           8
        .value_kind:     global_buffer
      - .offset:         64
        .size:           4
        .value_kind:     by_value
      - .offset:         72
        .size:           8
        .value_kind:     by_value
      - .offset:         80
        .size:           4
        .value_kind:     by_value
    .group_segment_fixed_size: 8192
    .kernarg_segment_align: 8
    .kernarg_segment_size: 84
    .language:       OpenCL C
    .language_version:
      - 2
      - 0
    .max_flat_workgroup_size: 256
    .name:           _ZL37rocblas_syrkx_herkx_restricted_kernelIi19rocblas_complex_numIdELi16ELi32ELi8ELi1ELi1ELb0ELc84ELc85EKS1_S1_EviT_PT9_S3_lS5_S3_lPT10_S3_li
    .private_segment_fixed_size: 0
    .sgpr_count:     22
    .sgpr_spill_count: 0
    .symbol:         _ZL37rocblas_syrkx_herkx_restricted_kernelIi19rocblas_complex_numIdELi16ELi32ELi8ELi1ELi1ELb0ELc84ELc85EKS1_S1_EviT_PT9_S3_lS5_S3_lPT10_S3_li.kd
    .uniform_work_group_size: 1
    .uses_dynamic_stack: false
    .vgpr_count:     52
    .vgpr_spill_count: 0
    .wavefront_size: 32
    .workgroup_processor_mode: 1
  - .args:
      - .offset:         0
        .size:           4
        .value_kind:     by_value
      - .offset:         4
        .size:           4
        .value_kind:     by_value
      - .address_space:  global
        .offset:         8
        .size:           8
        .value_kind:     global_buffer
      - .offset:         16
        .size:           4
        .value_kind:     by_value
      - .offset:         24
        .size:           8
        .value_kind:     by_value
      - .address_space:  global
        .offset:         32
        .size:           8
        .value_kind:     global_buffer
      - .offset:         40
        .size:           4
        .value_kind:     by_value
      - .offset:         48
        .size:           8
        .value_kind:     by_value
      - .address_space:  global
        .offset:         56
        .size:           8
        .value_kind:     global_buffer
      - .offset:         64
        .size:           4
        .value_kind:     by_value
      - .offset:         72
        .size:           8
        .value_kind:     by_value
      - .offset:         80
        .size:           4
        .value_kind:     by_value
    .group_segment_fixed_size: 8192
    .kernarg_segment_align: 8
    .kernarg_segment_size: 84
    .language:       OpenCL C
    .language_version:
      - 2
      - 0
    .max_flat_workgroup_size: 256
    .name:           _ZL37rocblas_syrkx_herkx_restricted_kernelIi19rocblas_complex_numIdELi16ELi32ELi8ELi1ELi1ELb0ELc67ELc85EKS1_S1_EviT_PT9_S3_lS5_S3_lPT10_S3_li
    .private_segment_fixed_size: 0
    .sgpr_count:     22
    .sgpr_spill_count: 0
    .symbol:         _ZL37rocblas_syrkx_herkx_restricted_kernelIi19rocblas_complex_numIdELi16ELi32ELi8ELi1ELi1ELb0ELc67ELc85EKS1_S1_EviT_PT9_S3_lS5_S3_lPT10_S3_li.kd
    .uniform_work_group_size: 1
    .uses_dynamic_stack: false
    .vgpr_count:     52
    .vgpr_spill_count: 0
    .wavefront_size: 32
    .workgroup_processor_mode: 1
  - .args:
      - .offset:         0
        .size:           4
        .value_kind:     by_value
      - .offset:         4
        .size:           4
        .value_kind:     by_value
      - .address_space:  global
        .offset:         8
        .size:           8
        .value_kind:     global_buffer
      - .offset:         16
        .size:           4
        .value_kind:     by_value
      - .offset:         24
        .size:           8
        .value_kind:     by_value
      - .address_space:  global
        .offset:         32
        .size:           8
        .value_kind:     global_buffer
      - .offset:         40
        .size:           4
        .value_kind:     by_value
      - .offset:         48
        .size:           8
        .value_kind:     by_value
      - .address_space:  global
        .offset:         56
        .size:           8
        .value_kind:     global_buffer
      - .offset:         64
        .size:           4
        .value_kind:     by_value
      - .offset:         72
        .size:           8
        .value_kind:     by_value
      - .offset:         80
        .size:           4
        .value_kind:     by_value
    .group_segment_fixed_size: 8192
    .kernarg_segment_align: 8
    .kernarg_segment_size: 84
    .language:       OpenCL C
    .language_version:
      - 2
      - 0
    .max_flat_workgroup_size: 256
    .name:           _ZL37rocblas_syrkx_herkx_restricted_kernelIi19rocblas_complex_numIdELi16ELi32ELi8ELi1ELi1ELb0ELc78ELc85EKS1_S1_EviT_PT9_S3_lS5_S3_lPT10_S3_li
    .private_segment_fixed_size: 0
    .sgpr_count:     25
    .sgpr_spill_count: 0
    .symbol:         _ZL37rocblas_syrkx_herkx_restricted_kernelIi19rocblas_complex_numIdELi16ELi32ELi8ELi1ELi1ELb0ELc78ELc85EKS1_S1_EviT_PT9_S3_lS5_S3_lPT10_S3_li.kd
    .uniform_work_group_size: 1
    .uses_dynamic_stack: false
    .vgpr_count:     52
    .vgpr_spill_count: 0
    .wavefront_size: 32
    .workgroup_processor_mode: 1
  - .args:
      - .offset:         0
        .size:           4
        .value_kind:     by_value
      - .offset:         4
        .size:           4
        .value_kind:     by_value
      - .address_space:  global
        .offset:         8
        .size:           8
        .value_kind:     global_buffer
      - .offset:         16
        .size:           4
        .value_kind:     by_value
      - .offset:         24
        .size:           8
        .value_kind:     by_value
      - .address_space:  global
        .offset:         32
        .size:           8
        .value_kind:     global_buffer
      - .offset:         40
        .size:           4
        .value_kind:     by_value
      - .offset:         48
        .size:           8
        .value_kind:     by_value
      - .address_space:  global
        .offset:         56
        .size:           8
        .value_kind:     global_buffer
      - .offset:         64
        .size:           4
        .value_kind:     by_value
      - .offset:         72
        .size:           8
        .value_kind:     by_value
      - .offset:         80
        .size:           4
        .value_kind:     by_value
    .group_segment_fixed_size: 8192
    .kernarg_segment_align: 8
    .kernarg_segment_size: 84
    .language:       OpenCL C
    .language_version:
      - 2
      - 0
    .max_flat_workgroup_size: 256
    .name:           _ZL37rocblas_syrkx_herkx_restricted_kernelIi19rocblas_complex_numIdELi16ELi32ELi8ELi1ELin1ELb0ELc84ELc76EKS1_S1_EviT_PT9_S3_lS5_S3_lPT10_S3_li
    .private_segment_fixed_size: 0
    .sgpr_count:     22
    .sgpr_spill_count: 0
    .symbol:         _ZL37rocblas_syrkx_herkx_restricted_kernelIi19rocblas_complex_numIdELi16ELi32ELi8ELi1ELin1ELb0ELc84ELc76EKS1_S1_EviT_PT9_S3_lS5_S3_lPT10_S3_li.kd
    .uniform_work_group_size: 1
    .uses_dynamic_stack: false
    .vgpr_count:     52
    .vgpr_spill_count: 0
    .wavefront_size: 32
    .workgroup_processor_mode: 1
  - .args:
      - .offset:         0
        .size:           4
        .value_kind:     by_value
      - .offset:         4
        .size:           4
        .value_kind:     by_value
      - .address_space:  global
        .offset:         8
        .size:           8
        .value_kind:     global_buffer
      - .offset:         16
        .size:           4
        .value_kind:     by_value
      - .offset:         24
        .size:           8
        .value_kind:     by_value
      - .address_space:  global
        .offset:         32
        .size:           8
        .value_kind:     global_buffer
      - .offset:         40
        .size:           4
        .value_kind:     by_value
      - .offset:         48
        .size:           8
        .value_kind:     by_value
      - .address_space:  global
        .offset:         56
        .size:           8
        .value_kind:     global_buffer
      - .offset:         64
        .size:           4
        .value_kind:     by_value
      - .offset:         72
        .size:           8
        .value_kind:     by_value
      - .offset:         80
        .size:           4
        .value_kind:     by_value
    .group_segment_fixed_size: 8192
    .kernarg_segment_align: 8
    .kernarg_segment_size: 84
    .language:       OpenCL C
    .language_version:
      - 2
      - 0
    .max_flat_workgroup_size: 256
    .name:           _ZL37rocblas_syrkx_herkx_restricted_kernelIi19rocblas_complex_numIdELi16ELi32ELi8ELi1ELin1ELb0ELc67ELc76EKS1_S1_EviT_PT9_S3_lS5_S3_lPT10_S3_li
    .private_segment_fixed_size: 0
    .sgpr_count:     22
    .sgpr_spill_count: 0
    .symbol:         _ZL37rocblas_syrkx_herkx_restricted_kernelIi19rocblas_complex_numIdELi16ELi32ELi8ELi1ELin1ELb0ELc67ELc76EKS1_S1_EviT_PT9_S3_lS5_S3_lPT10_S3_li.kd
    .uniform_work_group_size: 1
    .uses_dynamic_stack: false
    .vgpr_count:     52
    .vgpr_spill_count: 0
    .wavefront_size: 32
    .workgroup_processor_mode: 1
  - .args:
      - .offset:         0
        .size:           4
        .value_kind:     by_value
      - .offset:         4
        .size:           4
        .value_kind:     by_value
      - .address_space:  global
        .offset:         8
        .size:           8
        .value_kind:     global_buffer
      - .offset:         16
        .size:           4
        .value_kind:     by_value
      - .offset:         24
        .size:           8
        .value_kind:     by_value
      - .address_space:  global
        .offset:         32
        .size:           8
        .value_kind:     global_buffer
      - .offset:         40
        .size:           4
        .value_kind:     by_value
      - .offset:         48
        .size:           8
        .value_kind:     by_value
      - .address_space:  global
        .offset:         56
        .size:           8
        .value_kind:     global_buffer
      - .offset:         64
        .size:           4
        .value_kind:     by_value
      - .offset:         72
        .size:           8
        .value_kind:     by_value
      - .offset:         80
        .size:           4
        .value_kind:     by_value
    .group_segment_fixed_size: 8192
    .kernarg_segment_align: 8
    .kernarg_segment_size: 84
    .language:       OpenCL C
    .language_version:
      - 2
      - 0
    .max_flat_workgroup_size: 256
    .name:           _ZL37rocblas_syrkx_herkx_restricted_kernelIi19rocblas_complex_numIdELi16ELi32ELi8ELi1ELin1ELb0ELc78ELc76EKS1_S1_EviT_PT9_S3_lS5_S3_lPT10_S3_li
    .private_segment_fixed_size: 0
    .sgpr_count:     25
    .sgpr_spill_count: 0
    .symbol:         _ZL37rocblas_syrkx_herkx_restricted_kernelIi19rocblas_complex_numIdELi16ELi32ELi8ELi1ELin1ELb0ELc78ELc76EKS1_S1_EviT_PT9_S3_lS5_S3_lPT10_S3_li.kd
    .uniform_work_group_size: 1
    .uses_dynamic_stack: false
    .vgpr_count:     52
    .vgpr_spill_count: 0
    .wavefront_size: 32
    .workgroup_processor_mode: 1
  - .args:
      - .offset:         0
        .size:           4
        .value_kind:     by_value
      - .offset:         4
        .size:           4
        .value_kind:     by_value
      - .address_space:  global
        .offset:         8
        .size:           8
        .value_kind:     global_buffer
      - .offset:         16
        .size:           4
        .value_kind:     by_value
      - .offset:         24
        .size:           8
        .value_kind:     by_value
      - .address_space:  global
        .offset:         32
        .size:           8
        .value_kind:     global_buffer
      - .offset:         40
        .size:           4
        .value_kind:     by_value
      - .offset:         48
        .size:           8
        .value_kind:     by_value
      - .address_space:  global
        .offset:         56
        .size:           8
        .value_kind:     global_buffer
      - .offset:         64
        .size:           4
        .value_kind:     by_value
      - .offset:         72
        .size:           8
        .value_kind:     by_value
      - .offset:         80
        .size:           4
        .value_kind:     by_value
    .group_segment_fixed_size: 8192
    .kernarg_segment_align: 8
    .kernarg_segment_size: 84
    .language:       OpenCL C
    .language_version:
      - 2
      - 0
    .max_flat_workgroup_size: 256
    .name:           _ZL37rocblas_syrkx_herkx_restricted_kernelIi19rocblas_complex_numIdELi16ELi32ELi8ELi1ELin1ELb0ELc84ELc85EKS1_S1_EviT_PT9_S3_lS5_S3_lPT10_S3_li
    .private_segment_fixed_size: 0
    .sgpr_count:     22
    .sgpr_spill_count: 0
    .symbol:         _ZL37rocblas_syrkx_herkx_restricted_kernelIi19rocblas_complex_numIdELi16ELi32ELi8ELi1ELin1ELb0ELc84ELc85EKS1_S1_EviT_PT9_S3_lS5_S3_lPT10_S3_li.kd
    .uniform_work_group_size: 1
    .uses_dynamic_stack: false
    .vgpr_count:     52
    .vgpr_spill_count: 0
    .wavefront_size: 32
    .workgroup_processor_mode: 1
  - .args:
      - .offset:         0
        .size:           4
        .value_kind:     by_value
      - .offset:         4
        .size:           4
        .value_kind:     by_value
      - .address_space:  global
        .offset:         8
        .size:           8
        .value_kind:     global_buffer
      - .offset:         16
        .size:           4
        .value_kind:     by_value
      - .offset:         24
        .size:           8
        .value_kind:     by_value
      - .address_space:  global
        .offset:         32
        .size:           8
        .value_kind:     global_buffer
      - .offset:         40
        .size:           4
        .value_kind:     by_value
      - .offset:         48
        .size:           8
        .value_kind:     by_value
      - .address_space:  global
        .offset:         56
        .size:           8
        .value_kind:     global_buffer
      - .offset:         64
        .size:           4
        .value_kind:     by_value
      - .offset:         72
        .size:           8
        .value_kind:     by_value
      - .offset:         80
        .size:           4
        .value_kind:     by_value
    .group_segment_fixed_size: 8192
    .kernarg_segment_align: 8
    .kernarg_segment_size: 84
    .language:       OpenCL C
    .language_version:
      - 2
      - 0
    .max_flat_workgroup_size: 256
    .name:           _ZL37rocblas_syrkx_herkx_restricted_kernelIi19rocblas_complex_numIdELi16ELi32ELi8ELi1ELin1ELb0ELc67ELc85EKS1_S1_EviT_PT9_S3_lS5_S3_lPT10_S3_li
    .private_segment_fixed_size: 0
    .sgpr_count:     22
    .sgpr_spill_count: 0
    .symbol:         _ZL37rocblas_syrkx_herkx_restricted_kernelIi19rocblas_complex_numIdELi16ELi32ELi8ELi1ELin1ELb0ELc67ELc85EKS1_S1_EviT_PT9_S3_lS5_S3_lPT10_S3_li.kd
    .uniform_work_group_size: 1
    .uses_dynamic_stack: false
    .vgpr_count:     52
    .vgpr_spill_count: 0
    .wavefront_size: 32
    .workgroup_processor_mode: 1
  - .args:
      - .offset:         0
        .size:           4
        .value_kind:     by_value
      - .offset:         4
        .size:           4
        .value_kind:     by_value
      - .address_space:  global
        .offset:         8
        .size:           8
        .value_kind:     global_buffer
      - .offset:         16
        .size:           4
        .value_kind:     by_value
      - .offset:         24
        .size:           8
        .value_kind:     by_value
      - .address_space:  global
        .offset:         32
        .size:           8
        .value_kind:     global_buffer
      - .offset:         40
        .size:           4
        .value_kind:     by_value
      - .offset:         48
        .size:           8
        .value_kind:     by_value
      - .address_space:  global
        .offset:         56
        .size:           8
        .value_kind:     global_buffer
      - .offset:         64
        .size:           4
        .value_kind:     by_value
      - .offset:         72
        .size:           8
        .value_kind:     by_value
      - .offset:         80
        .size:           4
        .value_kind:     by_value
    .group_segment_fixed_size: 8192
    .kernarg_segment_align: 8
    .kernarg_segment_size: 84
    .language:       OpenCL C
    .language_version:
      - 2
      - 0
    .max_flat_workgroup_size: 256
    .name:           _ZL37rocblas_syrkx_herkx_restricted_kernelIi19rocblas_complex_numIdELi16ELi32ELi8ELi1ELin1ELb0ELc78ELc85EKS1_S1_EviT_PT9_S3_lS5_S3_lPT10_S3_li
    .private_segment_fixed_size: 0
    .sgpr_count:     25
    .sgpr_spill_count: 0
    .symbol:         _ZL37rocblas_syrkx_herkx_restricted_kernelIi19rocblas_complex_numIdELi16ELi32ELi8ELi1ELin1ELb0ELc78ELc85EKS1_S1_EviT_PT9_S3_lS5_S3_lPT10_S3_li.kd
    .uniform_work_group_size: 1
    .uses_dynamic_stack: false
    .vgpr_count:     52
    .vgpr_spill_count: 0
    .wavefront_size: 32
    .workgroup_processor_mode: 1
  - .args:
      - .offset:         0
        .size:           4
        .value_kind:     by_value
      - .offset:         4
        .size:           4
        .value_kind:     by_value
      - .address_space:  global
        .offset:         8
        .size:           8
        .value_kind:     global_buffer
      - .offset:         16
        .size:           4
        .value_kind:     by_value
      - .offset:         24
        .size:           8
        .value_kind:     by_value
      - .address_space:  global
        .offset:         32
        .size:           8
        .value_kind:     global_buffer
      - .offset:         40
        .size:           4
        .value_kind:     by_value
      - .offset:         48
        .size:           8
        .value_kind:     by_value
      - .address_space:  global
        .offset:         56
        .size:           8
        .value_kind:     global_buffer
      - .offset:         64
        .size:           4
        .value_kind:     by_value
      - .offset:         72
        .size:           8
        .value_kind:     by_value
      - .offset:         80
        .size:           4
        .value_kind:     by_value
    .group_segment_fixed_size: 8192
    .kernarg_segment_align: 8
    .kernarg_segment_size: 84
    .language:       OpenCL C
    .language_version:
      - 2
      - 0
    .max_flat_workgroup_size: 256
    .name:           _ZL37rocblas_syrkx_herkx_restricted_kernelIi19rocblas_complex_numIdELi16ELi32ELi8ELi1ELi0ELb0ELc84ELc76EKS1_S1_EviT_PT9_S3_lS5_S3_lPT10_S3_li
    .private_segment_fixed_size: 0
    .sgpr_count:     22
    .sgpr_spill_count: 0
    .symbol:         _ZL37rocblas_syrkx_herkx_restricted_kernelIi19rocblas_complex_numIdELi16ELi32ELi8ELi1ELi0ELb0ELc84ELc76EKS1_S1_EviT_PT9_S3_lS5_S3_lPT10_S3_li.kd
    .uniform_work_group_size: 1
    .uses_dynamic_stack: false
    .vgpr_count:     52
    .vgpr_spill_count: 0
    .wavefront_size: 32
    .workgroup_processor_mode: 1
  - .args:
      - .offset:         0
        .size:           4
        .value_kind:     by_value
      - .offset:         4
        .size:           4
        .value_kind:     by_value
      - .address_space:  global
        .offset:         8
        .size:           8
        .value_kind:     global_buffer
      - .offset:         16
        .size:           4
        .value_kind:     by_value
      - .offset:         24
        .size:           8
        .value_kind:     by_value
      - .address_space:  global
        .offset:         32
        .size:           8
        .value_kind:     global_buffer
      - .offset:         40
        .size:           4
        .value_kind:     by_value
      - .offset:         48
        .size:           8
        .value_kind:     by_value
      - .address_space:  global
        .offset:         56
        .size:           8
        .value_kind:     global_buffer
      - .offset:         64
        .size:           4
        .value_kind:     by_value
      - .offset:         72
        .size:           8
        .value_kind:     by_value
      - .offset:         80
        .size:           4
        .value_kind:     by_value
    .group_segment_fixed_size: 8192
    .kernarg_segment_align: 8
    .kernarg_segment_size: 84
    .language:       OpenCL C
    .language_version:
      - 2
      - 0
    .max_flat_workgroup_size: 256
    .name:           _ZL37rocblas_syrkx_herkx_restricted_kernelIi19rocblas_complex_numIdELi16ELi32ELi8ELi1ELi0ELb0ELc67ELc76EKS1_S1_EviT_PT9_S3_lS5_S3_lPT10_S3_li
    .private_segment_fixed_size: 0
    .sgpr_count:     22
    .sgpr_spill_count: 0
    .symbol:         _ZL37rocblas_syrkx_herkx_restricted_kernelIi19rocblas_complex_numIdELi16ELi32ELi8ELi1ELi0ELb0ELc67ELc76EKS1_S1_EviT_PT9_S3_lS5_S3_lPT10_S3_li.kd
    .uniform_work_group_size: 1
    .uses_dynamic_stack: false
    .vgpr_count:     52
    .vgpr_spill_count: 0
    .wavefront_size: 32
    .workgroup_processor_mode: 1
  - .args:
      - .offset:         0
        .size:           4
        .value_kind:     by_value
      - .offset:         4
        .size:           4
        .value_kind:     by_value
      - .address_space:  global
        .offset:         8
        .size:           8
        .value_kind:     global_buffer
      - .offset:         16
        .size:           4
        .value_kind:     by_value
      - .offset:         24
        .size:           8
        .value_kind:     by_value
      - .address_space:  global
        .offset:         32
        .size:           8
        .value_kind:     global_buffer
      - .offset:         40
        .size:           4
        .value_kind:     by_value
      - .offset:         48
        .size:           8
        .value_kind:     by_value
      - .address_space:  global
        .offset:         56
        .size:           8
        .value_kind:     global_buffer
      - .offset:         64
        .size:           4
        .value_kind:     by_value
      - .offset:         72
        .size:           8
        .value_kind:     by_value
      - .offset:         80
        .size:           4
        .value_kind:     by_value
    .group_segment_fixed_size: 8192
    .kernarg_segment_align: 8
    .kernarg_segment_size: 84
    .language:       OpenCL C
    .language_version:
      - 2
      - 0
    .max_flat_workgroup_size: 256
    .name:           _ZL37rocblas_syrkx_herkx_restricted_kernelIi19rocblas_complex_numIdELi16ELi32ELi8ELi1ELi0ELb0ELc78ELc76EKS1_S1_EviT_PT9_S3_lS5_S3_lPT10_S3_li
    .private_segment_fixed_size: 0
    .sgpr_count:     25
    .sgpr_spill_count: 0
    .symbol:         _ZL37rocblas_syrkx_herkx_restricted_kernelIi19rocblas_complex_numIdELi16ELi32ELi8ELi1ELi0ELb0ELc78ELc76EKS1_S1_EviT_PT9_S3_lS5_S3_lPT10_S3_li.kd
    .uniform_work_group_size: 1
    .uses_dynamic_stack: false
    .vgpr_count:     52
    .vgpr_spill_count: 0
    .wavefront_size: 32
    .workgroup_processor_mode: 1
  - .args:
      - .offset:         0
        .size:           4
        .value_kind:     by_value
      - .offset:         4
        .size:           4
        .value_kind:     by_value
      - .address_space:  global
        .offset:         8
        .size:           8
        .value_kind:     global_buffer
      - .offset:         16
        .size:           4
        .value_kind:     by_value
      - .offset:         24
        .size:           8
        .value_kind:     by_value
      - .address_space:  global
        .offset:         32
        .size:           8
        .value_kind:     global_buffer
      - .offset:         40
        .size:           4
        .value_kind:     by_value
      - .offset:         48
        .size:           8
        .value_kind:     by_value
      - .address_space:  global
        .offset:         56
        .size:           8
        .value_kind:     global_buffer
      - .offset:         64
        .size:           4
        .value_kind:     by_value
      - .offset:         72
        .size:           8
        .value_kind:     by_value
      - .offset:         80
        .size:           4
        .value_kind:     by_value
    .group_segment_fixed_size: 8192
    .kernarg_segment_align: 8
    .kernarg_segment_size: 84
    .language:       OpenCL C
    .language_version:
      - 2
      - 0
    .max_flat_workgroup_size: 256
    .name:           _ZL37rocblas_syrkx_herkx_restricted_kernelIi19rocblas_complex_numIdELi16ELi32ELi8ELi1ELi0ELb0ELc84ELc85EKS1_S1_EviT_PT9_S3_lS5_S3_lPT10_S3_li
    .private_segment_fixed_size: 0
    .sgpr_count:     22
    .sgpr_spill_count: 0
    .symbol:         _ZL37rocblas_syrkx_herkx_restricted_kernelIi19rocblas_complex_numIdELi16ELi32ELi8ELi1ELi0ELb0ELc84ELc85EKS1_S1_EviT_PT9_S3_lS5_S3_lPT10_S3_li.kd
    .uniform_work_group_size: 1
    .uses_dynamic_stack: false
    .vgpr_count:     52
    .vgpr_spill_count: 0
    .wavefront_size: 32
    .workgroup_processor_mode: 1
  - .args:
      - .offset:         0
        .size:           4
        .value_kind:     by_value
      - .offset:         4
        .size:           4
        .value_kind:     by_value
      - .address_space:  global
        .offset:         8
        .size:           8
        .value_kind:     global_buffer
      - .offset:         16
        .size:           4
        .value_kind:     by_value
      - .offset:         24
        .size:           8
        .value_kind:     by_value
      - .address_space:  global
        .offset:         32
        .size:           8
        .value_kind:     global_buffer
      - .offset:         40
        .size:           4
        .value_kind:     by_value
      - .offset:         48
        .size:           8
        .value_kind:     by_value
      - .address_space:  global
        .offset:         56
        .size:           8
        .value_kind:     global_buffer
      - .offset:         64
        .size:           4
        .value_kind:     by_value
      - .offset:         72
        .size:           8
        .value_kind:     by_value
      - .offset:         80
        .size:           4
        .value_kind:     by_value
    .group_segment_fixed_size: 8192
    .kernarg_segment_align: 8
    .kernarg_segment_size: 84
    .language:       OpenCL C
    .language_version:
      - 2
      - 0
    .max_flat_workgroup_size: 256
    .name:           _ZL37rocblas_syrkx_herkx_restricted_kernelIi19rocblas_complex_numIdELi16ELi32ELi8ELi1ELi0ELb0ELc67ELc85EKS1_S1_EviT_PT9_S3_lS5_S3_lPT10_S3_li
    .private_segment_fixed_size: 0
    .sgpr_count:     22
    .sgpr_spill_count: 0
    .symbol:         _ZL37rocblas_syrkx_herkx_restricted_kernelIi19rocblas_complex_numIdELi16ELi32ELi8ELi1ELi0ELb0ELc67ELc85EKS1_S1_EviT_PT9_S3_lS5_S3_lPT10_S3_li.kd
    .uniform_work_group_size: 1
    .uses_dynamic_stack: false
    .vgpr_count:     52
    .vgpr_spill_count: 0
    .wavefront_size: 32
    .workgroup_processor_mode: 1
  - .args:
      - .offset:         0
        .size:           4
        .value_kind:     by_value
      - .offset:         4
        .size:           4
        .value_kind:     by_value
      - .address_space:  global
        .offset:         8
        .size:           8
        .value_kind:     global_buffer
      - .offset:         16
        .size:           4
        .value_kind:     by_value
      - .offset:         24
        .size:           8
        .value_kind:     by_value
      - .address_space:  global
        .offset:         32
        .size:           8
        .value_kind:     global_buffer
      - .offset:         40
        .size:           4
        .value_kind:     by_value
      - .offset:         48
        .size:           8
        .value_kind:     by_value
      - .address_space:  global
        .offset:         56
        .size:           8
        .value_kind:     global_buffer
      - .offset:         64
        .size:           4
        .value_kind:     by_value
      - .offset:         72
        .size:           8
        .value_kind:     by_value
      - .offset:         80
        .size:           4
        .value_kind:     by_value
    .group_segment_fixed_size: 8192
    .kernarg_segment_align: 8
    .kernarg_segment_size: 84
    .language:       OpenCL C
    .language_version:
      - 2
      - 0
    .max_flat_workgroup_size: 256
    .name:           _ZL37rocblas_syrkx_herkx_restricted_kernelIi19rocblas_complex_numIdELi16ELi32ELi8ELi1ELi0ELb0ELc78ELc85EKS1_S1_EviT_PT9_S3_lS5_S3_lPT10_S3_li
    .private_segment_fixed_size: 0
    .sgpr_count:     25
    .sgpr_spill_count: 0
    .symbol:         _ZL37rocblas_syrkx_herkx_restricted_kernelIi19rocblas_complex_numIdELi16ELi32ELi8ELi1ELi0ELb0ELc78ELc85EKS1_S1_EviT_PT9_S3_lS5_S3_lPT10_S3_li.kd
    .uniform_work_group_size: 1
    .uses_dynamic_stack: false
    .vgpr_count:     52
    .vgpr_spill_count: 0
    .wavefront_size: 32
    .workgroup_processor_mode: 1
  - .args:
      - .offset:         0
        .size:           4
        .value_kind:     by_value
      - .offset:         4
        .size:           4
        .value_kind:     by_value
      - .address_space:  global
        .offset:         8
        .size:           8
        .value_kind:     global_buffer
      - .offset:         16
        .size:           4
        .value_kind:     by_value
      - .offset:         24
        .size:           8
        .value_kind:     by_value
      - .address_space:  global
        .offset:         32
        .size:           8
        .value_kind:     global_buffer
      - .offset:         40
        .size:           4
        .value_kind:     by_value
      - .offset:         48
        .size:           8
        .value_kind:     by_value
      - .address_space:  global
        .offset:         56
        .size:           8
        .value_kind:     global_buffer
      - .offset:         64
        .size:           4
        .value_kind:     by_value
      - .offset:         72
        .size:           8
        .value_kind:     by_value
      - .offset:         80
        .size:           4
        .value_kind:     by_value
    .group_segment_fixed_size: 8192
    .kernarg_segment_align: 8
    .kernarg_segment_size: 84
    .language:       OpenCL C
    .language_version:
      - 2
      - 0
    .max_flat_workgroup_size: 256
    .name:           _ZL37rocblas_syrkx_herkx_restricted_kernelIi19rocblas_complex_numIdELi16ELi32ELi8ELin1ELi0ELb0ELc84ELc76EKS1_S1_EviT_PT9_S3_lS5_S3_lPT10_S3_li
    .private_segment_fixed_size: 0
    .sgpr_count:     22
    .sgpr_spill_count: 0
    .symbol:         _ZL37rocblas_syrkx_herkx_restricted_kernelIi19rocblas_complex_numIdELi16ELi32ELi8ELin1ELi0ELb0ELc84ELc76EKS1_S1_EviT_PT9_S3_lS5_S3_lPT10_S3_li.kd
    .uniform_work_group_size: 1
    .uses_dynamic_stack: false
    .vgpr_count:     52
    .vgpr_spill_count: 0
    .wavefront_size: 32
    .workgroup_processor_mode: 1
  - .args:
      - .offset:         0
        .size:           4
        .value_kind:     by_value
      - .offset:         4
        .size:           4
        .value_kind:     by_value
      - .address_space:  global
        .offset:         8
        .size:           8
        .value_kind:     global_buffer
      - .offset:         16
        .size:           4
        .value_kind:     by_value
      - .offset:         24
        .size:           8
        .value_kind:     by_value
      - .address_space:  global
        .offset:         32
        .size:           8
        .value_kind:     global_buffer
      - .offset:         40
        .size:           4
        .value_kind:     by_value
      - .offset:         48
        .size:           8
        .value_kind:     by_value
      - .address_space:  global
        .offset:         56
        .size:           8
        .value_kind:     global_buffer
      - .offset:         64
        .size:           4
        .value_kind:     by_value
      - .offset:         72
        .size:           8
        .value_kind:     by_value
      - .offset:         80
        .size:           4
        .value_kind:     by_value
    .group_segment_fixed_size: 8192
    .kernarg_segment_align: 8
    .kernarg_segment_size: 84
    .language:       OpenCL C
    .language_version:
      - 2
      - 0
    .max_flat_workgroup_size: 256
    .name:           _ZL37rocblas_syrkx_herkx_restricted_kernelIi19rocblas_complex_numIdELi16ELi32ELi8ELin1ELi0ELb0ELc67ELc76EKS1_S1_EviT_PT9_S3_lS5_S3_lPT10_S3_li
    .private_segment_fixed_size: 0
    .sgpr_count:     22
    .sgpr_spill_count: 0
    .symbol:         _ZL37rocblas_syrkx_herkx_restricted_kernelIi19rocblas_complex_numIdELi16ELi32ELi8ELin1ELi0ELb0ELc67ELc76EKS1_S1_EviT_PT9_S3_lS5_S3_lPT10_S3_li.kd
    .uniform_work_group_size: 1
    .uses_dynamic_stack: false
    .vgpr_count:     52
    .vgpr_spill_count: 0
    .wavefront_size: 32
    .workgroup_processor_mode: 1
  - .args:
      - .offset:         0
        .size:           4
        .value_kind:     by_value
      - .offset:         4
        .size:           4
        .value_kind:     by_value
      - .address_space:  global
        .offset:         8
        .size:           8
        .value_kind:     global_buffer
      - .offset:         16
        .size:           4
        .value_kind:     by_value
      - .offset:         24
        .size:           8
        .value_kind:     by_value
      - .address_space:  global
        .offset:         32
        .size:           8
        .value_kind:     global_buffer
      - .offset:         40
        .size:           4
        .value_kind:     by_value
      - .offset:         48
        .size:           8
        .value_kind:     by_value
      - .address_space:  global
        .offset:         56
        .size:           8
        .value_kind:     global_buffer
      - .offset:         64
        .size:           4
        .value_kind:     by_value
      - .offset:         72
        .size:           8
        .value_kind:     by_value
      - .offset:         80
        .size:           4
        .value_kind:     by_value
    .group_segment_fixed_size: 8192
    .kernarg_segment_align: 8
    .kernarg_segment_size: 84
    .language:       OpenCL C
    .language_version:
      - 2
      - 0
    .max_flat_workgroup_size: 256
    .name:           _ZL37rocblas_syrkx_herkx_restricted_kernelIi19rocblas_complex_numIdELi16ELi32ELi8ELin1ELi0ELb0ELc78ELc76EKS1_S1_EviT_PT9_S3_lS5_S3_lPT10_S3_li
    .private_segment_fixed_size: 0
    .sgpr_count:     25
    .sgpr_spill_count: 0
    .symbol:         _ZL37rocblas_syrkx_herkx_restricted_kernelIi19rocblas_complex_numIdELi16ELi32ELi8ELin1ELi0ELb0ELc78ELc76EKS1_S1_EviT_PT9_S3_lS5_S3_lPT10_S3_li.kd
    .uniform_work_group_size: 1
    .uses_dynamic_stack: false
    .vgpr_count:     52
    .vgpr_spill_count: 0
    .wavefront_size: 32
    .workgroup_processor_mode: 1
  - .args:
      - .offset:         0
        .size:           4
        .value_kind:     by_value
      - .offset:         4
        .size:           4
        .value_kind:     by_value
      - .address_space:  global
        .offset:         8
        .size:           8
        .value_kind:     global_buffer
      - .offset:         16
        .size:           4
        .value_kind:     by_value
      - .offset:         24
        .size:           8
        .value_kind:     by_value
      - .address_space:  global
        .offset:         32
        .size:           8
        .value_kind:     global_buffer
      - .offset:         40
        .size:           4
        .value_kind:     by_value
      - .offset:         48
        .size:           8
        .value_kind:     by_value
      - .address_space:  global
        .offset:         56
        .size:           8
        .value_kind:     global_buffer
      - .offset:         64
        .size:           4
        .value_kind:     by_value
      - .offset:         72
        .size:           8
        .value_kind:     by_value
      - .offset:         80
        .size:           4
        .value_kind:     by_value
    .group_segment_fixed_size: 8192
    .kernarg_segment_align: 8
    .kernarg_segment_size: 84
    .language:       OpenCL C
    .language_version:
      - 2
      - 0
    .max_flat_workgroup_size: 256
    .name:           _ZL37rocblas_syrkx_herkx_restricted_kernelIi19rocblas_complex_numIdELi16ELi32ELi8ELin1ELi0ELb0ELc84ELc85EKS1_S1_EviT_PT9_S3_lS5_S3_lPT10_S3_li
    .private_segment_fixed_size: 0
    .sgpr_count:     22
    .sgpr_spill_count: 0
    .symbol:         _ZL37rocblas_syrkx_herkx_restricted_kernelIi19rocblas_complex_numIdELi16ELi32ELi8ELin1ELi0ELb0ELc84ELc85EKS1_S1_EviT_PT9_S3_lS5_S3_lPT10_S3_li.kd
    .uniform_work_group_size: 1
    .uses_dynamic_stack: false
    .vgpr_count:     52
    .vgpr_spill_count: 0
    .wavefront_size: 32
    .workgroup_processor_mode: 1
  - .args:
      - .offset:         0
        .size:           4
        .value_kind:     by_value
      - .offset:         4
        .size:           4
        .value_kind:     by_value
      - .address_space:  global
        .offset:         8
        .size:           8
        .value_kind:     global_buffer
      - .offset:         16
        .size:           4
        .value_kind:     by_value
      - .offset:         24
        .size:           8
        .value_kind:     by_value
      - .address_space:  global
        .offset:         32
        .size:           8
        .value_kind:     global_buffer
      - .offset:         40
        .size:           4
        .value_kind:     by_value
      - .offset:         48
        .size:           8
        .value_kind:     by_value
      - .address_space:  global
        .offset:         56
        .size:           8
        .value_kind:     global_buffer
      - .offset:         64
        .size:           4
        .value_kind:     by_value
      - .offset:         72
        .size:           8
        .value_kind:     by_value
      - .offset:         80
        .size:           4
        .value_kind:     by_value
    .group_segment_fixed_size: 8192
    .kernarg_segment_align: 8
    .kernarg_segment_size: 84
    .language:       OpenCL C
    .language_version:
      - 2
      - 0
    .max_flat_workgroup_size: 256
    .name:           _ZL37rocblas_syrkx_herkx_restricted_kernelIi19rocblas_complex_numIdELi16ELi32ELi8ELin1ELi0ELb0ELc67ELc85EKS1_S1_EviT_PT9_S3_lS5_S3_lPT10_S3_li
    .private_segment_fixed_size: 0
    .sgpr_count:     22
    .sgpr_spill_count: 0
    .symbol:         _ZL37rocblas_syrkx_herkx_restricted_kernelIi19rocblas_complex_numIdELi16ELi32ELi8ELin1ELi0ELb0ELc67ELc85EKS1_S1_EviT_PT9_S3_lS5_S3_lPT10_S3_li.kd
    .uniform_work_group_size: 1
    .uses_dynamic_stack: false
    .vgpr_count:     52
    .vgpr_spill_count: 0
    .wavefront_size: 32
    .workgroup_processor_mode: 1
  - .args:
      - .offset:         0
        .size:           4
        .value_kind:     by_value
      - .offset:         4
        .size:           4
        .value_kind:     by_value
      - .address_space:  global
        .offset:         8
        .size:           8
        .value_kind:     global_buffer
      - .offset:         16
        .size:           4
        .value_kind:     by_value
      - .offset:         24
        .size:           8
        .value_kind:     by_value
      - .address_space:  global
        .offset:         32
        .size:           8
        .value_kind:     global_buffer
      - .offset:         40
        .size:           4
        .value_kind:     by_value
      - .offset:         48
        .size:           8
        .value_kind:     by_value
      - .address_space:  global
        .offset:         56
        .size:           8
        .value_kind:     global_buffer
      - .offset:         64
        .size:           4
        .value_kind:     by_value
      - .offset:         72
        .size:           8
        .value_kind:     by_value
      - .offset:         80
        .size:           4
        .value_kind:     by_value
    .group_segment_fixed_size: 8192
    .kernarg_segment_align: 8
    .kernarg_segment_size: 84
    .language:       OpenCL C
    .language_version:
      - 2
      - 0
    .max_flat_workgroup_size: 256
    .name:           _ZL37rocblas_syrkx_herkx_restricted_kernelIi19rocblas_complex_numIdELi16ELi32ELi8ELin1ELi0ELb0ELc78ELc85EKS1_S1_EviT_PT9_S3_lS5_S3_lPT10_S3_li
    .private_segment_fixed_size: 0
    .sgpr_count:     25
    .sgpr_spill_count: 0
    .symbol:         _ZL37rocblas_syrkx_herkx_restricted_kernelIi19rocblas_complex_numIdELi16ELi32ELi8ELin1ELi0ELb0ELc78ELc85EKS1_S1_EviT_PT9_S3_lS5_S3_lPT10_S3_li.kd
    .uniform_work_group_size: 1
    .uses_dynamic_stack: false
    .vgpr_count:     52
    .vgpr_spill_count: 0
    .wavefront_size: 32
    .workgroup_processor_mode: 1
  - .args:
      - .offset:         0
        .size:           4
        .value_kind:     by_value
      - .offset:         4
        .size:           4
        .value_kind:     by_value
      - .offset:         8
        .size:           16
        .value_kind:     by_value
      - .address_space:  global
        .offset:         24
        .size:           8
        .value_kind:     global_buffer
      - .offset:         32
        .size:           4
        .value_kind:     by_value
      - .offset:         40
        .size:           8
        .value_kind:     by_value
      - .address_space:  global
        .offset:         48
        .size:           8
        .value_kind:     global_buffer
      - .offset:         56
        .size:           4
        .value_kind:     by_value
      - .offset:         64
        .size:           8
        .value_kind:     by_value
      - .offset:         72
        .size:           16
        .value_kind:     by_value
      - .address_space:  global
        .offset:         88
        .size:           8
        .value_kind:     global_buffer
      - .offset:         96
        .size:           4
        .value_kind:     by_value
      - .offset:         104
        .size:           8
        .value_kind:     by_value
      - .offset:         112
        .size:           4
        .value_kind:     by_value
    .group_segment_fixed_size: 8192
    .kernarg_segment_align: 8
    .kernarg_segment_size: 116
    .language:       OpenCL C
    .language_version:
      - 2
      - 0
    .max_flat_workgroup_size: 256
    .name:           _ZL37rocblas_syrkx_herkx_restricted_kernelIi19rocblas_complex_numIdELi16ELi32ELi8ELb1ELb0ELc84ELc76EKS1_S1_EviT_T0_PT8_S3_lS6_S3_lS4_PT9_S3_li
    .private_segment_fixed_size: 0
    .sgpr_count:     24
    .sgpr_spill_count: 0
    .symbol:         _ZL37rocblas_syrkx_herkx_restricted_kernelIi19rocblas_complex_numIdELi16ELi32ELi8ELb1ELb0ELc84ELc76EKS1_S1_EviT_T0_PT8_S3_lS6_S3_lS4_PT9_S3_li.kd
    .uniform_work_group_size: 1
    .uses_dynamic_stack: false
    .vgpr_count:     52
    .vgpr_spill_count: 0
    .wavefront_size: 32
    .workgroup_processor_mode: 1
  - .args:
      - .offset:         0
        .size:           4
        .value_kind:     by_value
      - .offset:         4
        .size:           4
        .value_kind:     by_value
      - .offset:         8
        .size:           16
        .value_kind:     by_value
      - .address_space:  global
        .offset:         24
        .size:           8
        .value_kind:     global_buffer
      - .offset:         32
        .size:           4
        .value_kind:     by_value
      - .offset:         40
        .size:           8
        .value_kind:     by_value
      - .address_space:  global
        .offset:         48
        .size:           8
        .value_kind:     global_buffer
      - .offset:         56
        .size:           4
        .value_kind:     by_value
      - .offset:         64
        .size:           8
        .value_kind:     by_value
      - .offset:         72
        .size:           16
        .value_kind:     by_value
      - .address_space:  global
        .offset:         88
        .size:           8
        .value_kind:     global_buffer
      - .offset:         96
        .size:           4
        .value_kind:     by_value
      - .offset:         104
        .size:           8
        .value_kind:     by_value
      - .offset:         112
        .size:           4
        .value_kind:     by_value
    .group_segment_fixed_size: 8192
    .kernarg_segment_align: 8
    .kernarg_segment_size: 116
    .language:       OpenCL C
    .language_version:
      - 2
      - 0
    .max_flat_workgroup_size: 256
    .name:           _ZL37rocblas_syrkx_herkx_restricted_kernelIi19rocblas_complex_numIdELi16ELi32ELi8ELb1ELb0ELc67ELc76EKS1_S1_EviT_T0_PT8_S3_lS6_S3_lS4_PT9_S3_li
    .private_segment_fixed_size: 0
    .sgpr_count:     24
    .sgpr_spill_count: 0
    .symbol:         _ZL37rocblas_syrkx_herkx_restricted_kernelIi19rocblas_complex_numIdELi16ELi32ELi8ELb1ELb0ELc67ELc76EKS1_S1_EviT_T0_PT8_S3_lS6_S3_lS4_PT9_S3_li.kd
    .uniform_work_group_size: 1
    .uses_dynamic_stack: false
    .vgpr_count:     52
    .vgpr_spill_count: 0
    .wavefront_size: 32
    .workgroup_processor_mode: 1
  - .args:
      - .offset:         0
        .size:           4
        .value_kind:     by_value
      - .offset:         4
        .size:           4
        .value_kind:     by_value
      - .offset:         8
        .size:           16
        .value_kind:     by_value
      - .address_space:  global
        .offset:         24
        .size:           8
        .value_kind:     global_buffer
      - .offset:         32
        .size:           4
        .value_kind:     by_value
      - .offset:         40
        .size:           8
        .value_kind:     by_value
      - .address_space:  global
        .offset:         48
        .size:           8
        .value_kind:     global_buffer
      - .offset:         56
        .size:           4
        .value_kind:     by_value
      - .offset:         64
        .size:           8
        .value_kind:     by_value
      - .offset:         72
        .size:           16
        .value_kind:     by_value
      - .address_space:  global
        .offset:         88
        .size:           8
        .value_kind:     global_buffer
      - .offset:         96
        .size:           4
        .value_kind:     by_value
      - .offset:         104
        .size:           8
        .value_kind:     by_value
      - .offset:         112
        .size:           4
        .value_kind:     by_value
    .group_segment_fixed_size: 8192
    .kernarg_segment_align: 8
    .kernarg_segment_size: 116
    .language:       OpenCL C
    .language_version:
      - 2
      - 0
    .max_flat_workgroup_size: 256
    .name:           _ZL37rocblas_syrkx_herkx_restricted_kernelIi19rocblas_complex_numIdELi16ELi32ELi8ELb1ELb0ELc78ELc76EKS1_S1_EviT_T0_PT8_S3_lS6_S3_lS4_PT9_S3_li
    .private_segment_fixed_size: 0
    .sgpr_count:     27
    .sgpr_spill_count: 0
    .symbol:         _ZL37rocblas_syrkx_herkx_restricted_kernelIi19rocblas_complex_numIdELi16ELi32ELi8ELb1ELb0ELc78ELc76EKS1_S1_EviT_T0_PT8_S3_lS6_S3_lS4_PT9_S3_li.kd
    .uniform_work_group_size: 1
    .uses_dynamic_stack: false
    .vgpr_count:     52
    .vgpr_spill_count: 0
    .wavefront_size: 32
    .workgroup_processor_mode: 1
  - .args:
      - .offset:         0
        .size:           4
        .value_kind:     by_value
      - .offset:         4
        .size:           4
        .value_kind:     by_value
      - .offset:         8
        .size:           16
        .value_kind:     by_value
      - .address_space:  global
        .offset:         24
        .size:           8
        .value_kind:     global_buffer
      - .offset:         32
        .size:           4
        .value_kind:     by_value
      - .offset:         40
        .size:           8
        .value_kind:     by_value
      - .address_space:  global
        .offset:         48
        .size:           8
        .value_kind:     global_buffer
      - .offset:         56
        .size:           4
        .value_kind:     by_value
      - .offset:         64
        .size:           8
        .value_kind:     by_value
      - .offset:         72
        .size:           16
        .value_kind:     by_value
      - .address_space:  global
        .offset:         88
        .size:           8
        .value_kind:     global_buffer
      - .offset:         96
        .size:           4
        .value_kind:     by_value
      - .offset:         104
        .size:           8
        .value_kind:     by_value
      - .offset:         112
        .size:           4
        .value_kind:     by_value
    .group_segment_fixed_size: 8192
    .kernarg_segment_align: 8
    .kernarg_segment_size: 116
    .language:       OpenCL C
    .language_version:
      - 2
      - 0
    .max_flat_workgroup_size: 256
    .name:           _ZL37rocblas_syrkx_herkx_restricted_kernelIi19rocblas_complex_numIdELi16ELi32ELi8ELb1ELb0ELc84ELc85EKS1_S1_EviT_T0_PT8_S3_lS6_S3_lS4_PT9_S3_li
    .private_segment_fixed_size: 0
    .sgpr_count:     24
    .sgpr_spill_count: 0
    .symbol:         _ZL37rocblas_syrkx_herkx_restricted_kernelIi19rocblas_complex_numIdELi16ELi32ELi8ELb1ELb0ELc84ELc85EKS1_S1_EviT_T0_PT8_S3_lS6_S3_lS4_PT9_S3_li.kd
    .uniform_work_group_size: 1
    .uses_dynamic_stack: false
    .vgpr_count:     52
    .vgpr_spill_count: 0
    .wavefront_size: 32
    .workgroup_processor_mode: 1
  - .args:
      - .offset:         0
        .size:           4
        .value_kind:     by_value
      - .offset:         4
        .size:           4
        .value_kind:     by_value
      - .offset:         8
        .size:           16
        .value_kind:     by_value
      - .address_space:  global
        .offset:         24
        .size:           8
        .value_kind:     global_buffer
      - .offset:         32
        .size:           4
        .value_kind:     by_value
      - .offset:         40
        .size:           8
        .value_kind:     by_value
      - .address_space:  global
        .offset:         48
        .size:           8
        .value_kind:     global_buffer
      - .offset:         56
        .size:           4
        .value_kind:     by_value
      - .offset:         64
        .size:           8
        .value_kind:     by_value
      - .offset:         72
        .size:           16
        .value_kind:     by_value
      - .address_space:  global
        .offset:         88
        .size:           8
        .value_kind:     global_buffer
      - .offset:         96
        .size:           4
        .value_kind:     by_value
      - .offset:         104
        .size:           8
        .value_kind:     by_value
      - .offset:         112
        .size:           4
        .value_kind:     by_value
    .group_segment_fixed_size: 8192
    .kernarg_segment_align: 8
    .kernarg_segment_size: 116
    .language:       OpenCL C
    .language_version:
      - 2
      - 0
    .max_flat_workgroup_size: 256
    .name:           _ZL37rocblas_syrkx_herkx_restricted_kernelIi19rocblas_complex_numIdELi16ELi32ELi8ELb1ELb0ELc67ELc85EKS1_S1_EviT_T0_PT8_S3_lS6_S3_lS4_PT9_S3_li
    .private_segment_fixed_size: 0
    .sgpr_count:     24
    .sgpr_spill_count: 0
    .symbol:         _ZL37rocblas_syrkx_herkx_restricted_kernelIi19rocblas_complex_numIdELi16ELi32ELi8ELb1ELb0ELc67ELc85EKS1_S1_EviT_T0_PT8_S3_lS6_S3_lS4_PT9_S3_li.kd
    .uniform_work_group_size: 1
    .uses_dynamic_stack: false
    .vgpr_count:     52
    .vgpr_spill_count: 0
    .wavefront_size: 32
    .workgroup_processor_mode: 1
  - .args:
      - .offset:         0
        .size:           4
        .value_kind:     by_value
      - .offset:         4
        .size:           4
        .value_kind:     by_value
      - .offset:         8
        .size:           16
        .value_kind:     by_value
      - .address_space:  global
        .offset:         24
        .size:           8
        .value_kind:     global_buffer
      - .offset:         32
        .size:           4
        .value_kind:     by_value
      - .offset:         40
        .size:           8
        .value_kind:     by_value
      - .address_space:  global
        .offset:         48
        .size:           8
        .value_kind:     global_buffer
      - .offset:         56
        .size:           4
        .value_kind:     by_value
      - .offset:         64
        .size:           8
        .value_kind:     by_value
      - .offset:         72
        .size:           16
        .value_kind:     by_value
      - .address_space:  global
        .offset:         88
        .size:           8
        .value_kind:     global_buffer
      - .offset:         96
        .size:           4
        .value_kind:     by_value
      - .offset:         104
        .size:           8
        .value_kind:     by_value
      - .offset:         112
        .size:           4
        .value_kind:     by_value
    .group_segment_fixed_size: 8192
    .kernarg_segment_align: 8
    .kernarg_segment_size: 116
    .language:       OpenCL C
    .language_version:
      - 2
      - 0
    .max_flat_workgroup_size: 256
    .name:           _ZL37rocblas_syrkx_herkx_restricted_kernelIi19rocblas_complex_numIdELi16ELi32ELi8ELb1ELb0ELc78ELc85EKS1_S1_EviT_T0_PT8_S3_lS6_S3_lS4_PT9_S3_li
    .private_segment_fixed_size: 0
    .sgpr_count:     27
    .sgpr_spill_count: 0
    .symbol:         _ZL37rocblas_syrkx_herkx_restricted_kernelIi19rocblas_complex_numIdELi16ELi32ELi8ELb1ELb0ELc78ELc85EKS1_S1_EviT_T0_PT8_S3_lS6_S3_lS4_PT9_S3_li.kd
    .uniform_work_group_size: 1
    .uses_dynamic_stack: false
    .vgpr_count:     52
    .vgpr_spill_count: 0
    .wavefront_size: 32
    .workgroup_processor_mode: 1
  - .args:
      - .offset:         0
        .size:           4
        .value_kind:     by_value
      - .offset:         4
        .size:           4
        .value_kind:     by_value
      - .offset:         8
        .size:           16
        .value_kind:     by_value
      - .address_space:  global
        .offset:         24
        .size:           8
        .value_kind:     global_buffer
      - .offset:         32
        .size:           4
        .value_kind:     by_value
      - .offset:         40
        .size:           8
        .value_kind:     by_value
      - .address_space:  global
        .offset:         48
        .size:           8
        .value_kind:     global_buffer
      - .offset:         56
        .size:           4
        .value_kind:     by_value
      - .offset:         64
        .size:           8
        .value_kind:     by_value
      - .offset:         72
        .size:           16
        .value_kind:     by_value
      - .address_space:  global
        .offset:         88
        .size:           8
        .value_kind:     global_buffer
      - .offset:         96
        .size:           4
        .value_kind:     by_value
      - .offset:         104
        .size:           8
        .value_kind:     by_value
      - .offset:         112
        .size:           4
        .value_kind:     by_value
    .group_segment_fixed_size: 8192
    .kernarg_segment_align: 8
    .kernarg_segment_size: 116
    .language:       OpenCL C
    .language_version:
      - 2
      - 0
    .max_flat_workgroup_size: 256
    .name:           _ZL37rocblas_syrkx_herkx_restricted_kernelIi19rocblas_complex_numIdELi16ELi32ELi8ELb0ELb0ELc84ELc76EKS1_S1_EviT_T0_PT8_S3_lS6_S3_lS4_PT9_S3_li
    .private_segment_fixed_size: 0
    .sgpr_count:     31
    .sgpr_spill_count: 0
    .symbol:         _ZL37rocblas_syrkx_herkx_restricted_kernelIi19rocblas_complex_numIdELi16ELi32ELi8ELb0ELb0ELc84ELc76EKS1_S1_EviT_T0_PT8_S3_lS6_S3_lS4_PT9_S3_li.kd
    .uniform_work_group_size: 1
    .uses_dynamic_stack: false
    .vgpr_count:     54
    .vgpr_spill_count: 0
    .wavefront_size: 32
    .workgroup_processor_mode: 1
  - .args:
      - .offset:         0
        .size:           4
        .value_kind:     by_value
      - .offset:         4
        .size:           4
        .value_kind:     by_value
      - .offset:         8
        .size:           16
        .value_kind:     by_value
      - .address_space:  global
        .offset:         24
        .size:           8
        .value_kind:     global_buffer
      - .offset:         32
        .size:           4
        .value_kind:     by_value
      - .offset:         40
        .size:           8
        .value_kind:     by_value
      - .address_space:  global
        .offset:         48
        .size:           8
        .value_kind:     global_buffer
      - .offset:         56
        .size:           4
        .value_kind:     by_value
      - .offset:         64
        .size:           8
        .value_kind:     by_value
      - .offset:         72
        .size:           16
        .value_kind:     by_value
      - .address_space:  global
        .offset:         88
        .size:           8
        .value_kind:     global_buffer
      - .offset:         96
        .size:           4
        .value_kind:     by_value
      - .offset:         104
        .size:           8
        .value_kind:     by_value
      - .offset:         112
        .size:           4
        .value_kind:     by_value
    .group_segment_fixed_size: 8192
    .kernarg_segment_align: 8
    .kernarg_segment_size: 116
    .language:       OpenCL C
    .language_version:
      - 2
      - 0
    .max_flat_workgroup_size: 256
    .name:           _ZL37rocblas_syrkx_herkx_restricted_kernelIi19rocblas_complex_numIdELi16ELi32ELi8ELb0ELb0ELc67ELc76EKS1_S1_EviT_T0_PT8_S3_lS6_S3_lS4_PT9_S3_li
    .private_segment_fixed_size: 0
    .sgpr_count:     31
    .sgpr_spill_count: 0
    .symbol:         _ZL37rocblas_syrkx_herkx_restricted_kernelIi19rocblas_complex_numIdELi16ELi32ELi8ELb0ELb0ELc67ELc76EKS1_S1_EviT_T0_PT8_S3_lS6_S3_lS4_PT9_S3_li.kd
    .uniform_work_group_size: 1
    .uses_dynamic_stack: false
    .vgpr_count:     54
    .vgpr_spill_count: 0
    .wavefront_size: 32
    .workgroup_processor_mode: 1
  - .args:
      - .offset:         0
        .size:           4
        .value_kind:     by_value
      - .offset:         4
        .size:           4
        .value_kind:     by_value
      - .offset:         8
        .size:           16
        .value_kind:     by_value
      - .address_space:  global
        .offset:         24
        .size:           8
        .value_kind:     global_buffer
      - .offset:         32
        .size:           4
        .value_kind:     by_value
      - .offset:         40
        .size:           8
        .value_kind:     by_value
      - .address_space:  global
        .offset:         48
        .size:           8
        .value_kind:     global_buffer
      - .offset:         56
        .size:           4
        .value_kind:     by_value
      - .offset:         64
        .size:           8
        .value_kind:     by_value
      - .offset:         72
        .size:           16
        .value_kind:     by_value
      - .address_space:  global
        .offset:         88
        .size:           8
        .value_kind:     global_buffer
      - .offset:         96
        .size:           4
        .value_kind:     by_value
      - .offset:         104
        .size:           8
        .value_kind:     by_value
      - .offset:         112
        .size:           4
        .value_kind:     by_value
    .group_segment_fixed_size: 8192
    .kernarg_segment_align: 8
    .kernarg_segment_size: 116
    .language:       OpenCL C
    .language_version:
      - 2
      - 0
    .max_flat_workgroup_size: 256
    .name:           _ZL37rocblas_syrkx_herkx_restricted_kernelIi19rocblas_complex_numIdELi16ELi32ELi8ELb0ELb0ELc78ELc76EKS1_S1_EviT_T0_PT8_S3_lS6_S3_lS4_PT9_S3_li
    .private_segment_fixed_size: 0
    .sgpr_count:     33
    .sgpr_spill_count: 0
    .symbol:         _ZL37rocblas_syrkx_herkx_restricted_kernelIi19rocblas_complex_numIdELi16ELi32ELi8ELb0ELb0ELc78ELc76EKS1_S1_EviT_T0_PT8_S3_lS6_S3_lS4_PT9_S3_li.kd
    .uniform_work_group_size: 1
    .uses_dynamic_stack: false
    .vgpr_count:     54
    .vgpr_spill_count: 0
    .wavefront_size: 32
    .workgroup_processor_mode: 1
  - .args:
      - .offset:         0
        .size:           4
        .value_kind:     by_value
      - .offset:         4
        .size:           4
        .value_kind:     by_value
      - .offset:         8
        .size:           16
        .value_kind:     by_value
      - .address_space:  global
        .offset:         24
        .size:           8
        .value_kind:     global_buffer
      - .offset:         32
        .size:           4
        .value_kind:     by_value
      - .offset:         40
        .size:           8
        .value_kind:     by_value
      - .address_space:  global
        .offset:         48
        .size:           8
        .value_kind:     global_buffer
      - .offset:         56
        .size:           4
        .value_kind:     by_value
      - .offset:         64
        .size:           8
        .value_kind:     by_value
      - .offset:         72
        .size:           16
        .value_kind:     by_value
      - .address_space:  global
        .offset:         88
        .size:           8
        .value_kind:     global_buffer
      - .offset:         96
        .size:           4
        .value_kind:     by_value
      - .offset:         104
        .size:           8
        .value_kind:     by_value
      - .offset:         112
        .size:           4
        .value_kind:     by_value
    .group_segment_fixed_size: 8192
    .kernarg_segment_align: 8
    .kernarg_segment_size: 116
    .language:       OpenCL C
    .language_version:
      - 2
      - 0
    .max_flat_workgroup_size: 256
    .name:           _ZL37rocblas_syrkx_herkx_restricted_kernelIi19rocblas_complex_numIdELi16ELi32ELi8ELb0ELb0ELc84ELc85EKS1_S1_EviT_T0_PT8_S3_lS6_S3_lS4_PT9_S3_li
    .private_segment_fixed_size: 0
    .sgpr_count:     31
    .sgpr_spill_count: 0
    .symbol:         _ZL37rocblas_syrkx_herkx_restricted_kernelIi19rocblas_complex_numIdELi16ELi32ELi8ELb0ELb0ELc84ELc85EKS1_S1_EviT_T0_PT8_S3_lS6_S3_lS4_PT9_S3_li.kd
    .uniform_work_group_size: 1
    .uses_dynamic_stack: false
    .vgpr_count:     54
    .vgpr_spill_count: 0
    .wavefront_size: 32
    .workgroup_processor_mode: 1
  - .args:
      - .offset:         0
        .size:           4
        .value_kind:     by_value
      - .offset:         4
        .size:           4
        .value_kind:     by_value
      - .offset:         8
        .size:           16
        .value_kind:     by_value
      - .address_space:  global
        .offset:         24
        .size:           8
        .value_kind:     global_buffer
      - .offset:         32
        .size:           4
        .value_kind:     by_value
      - .offset:         40
        .size:           8
        .value_kind:     by_value
      - .address_space:  global
        .offset:         48
        .size:           8
        .value_kind:     global_buffer
      - .offset:         56
        .size:           4
        .value_kind:     by_value
      - .offset:         64
        .size:           8
        .value_kind:     by_value
      - .offset:         72
        .size:           16
        .value_kind:     by_value
      - .address_space:  global
        .offset:         88
        .size:           8
        .value_kind:     global_buffer
      - .offset:         96
        .size:           4
        .value_kind:     by_value
      - .offset:         104
        .size:           8
        .value_kind:     by_value
      - .offset:         112
        .size:           4
        .value_kind:     by_value
    .group_segment_fixed_size: 8192
    .kernarg_segment_align: 8
    .kernarg_segment_size: 116
    .language:       OpenCL C
    .language_version:
      - 2
      - 0
    .max_flat_workgroup_size: 256
    .name:           _ZL37rocblas_syrkx_herkx_restricted_kernelIi19rocblas_complex_numIdELi16ELi32ELi8ELb0ELb0ELc67ELc85EKS1_S1_EviT_T0_PT8_S3_lS6_S3_lS4_PT9_S3_li
    .private_segment_fixed_size: 0
    .sgpr_count:     31
    .sgpr_spill_count: 0
    .symbol:         _ZL37rocblas_syrkx_herkx_restricted_kernelIi19rocblas_complex_numIdELi16ELi32ELi8ELb0ELb0ELc67ELc85EKS1_S1_EviT_T0_PT8_S3_lS6_S3_lS4_PT9_S3_li.kd
    .uniform_work_group_size: 1
    .uses_dynamic_stack: false
    .vgpr_count:     54
    .vgpr_spill_count: 0
    .wavefront_size: 32
    .workgroup_processor_mode: 1
  - .args:
      - .offset:         0
        .size:           4
        .value_kind:     by_value
      - .offset:         4
        .size:           4
        .value_kind:     by_value
      - .offset:         8
        .size:           16
        .value_kind:     by_value
      - .address_space:  global
        .offset:         24
        .size:           8
        .value_kind:     global_buffer
      - .offset:         32
        .size:           4
        .value_kind:     by_value
      - .offset:         40
        .size:           8
        .value_kind:     by_value
      - .address_space:  global
        .offset:         48
        .size:           8
        .value_kind:     global_buffer
      - .offset:         56
        .size:           4
        .value_kind:     by_value
      - .offset:         64
        .size:           8
        .value_kind:     by_value
      - .offset:         72
        .size:           16
        .value_kind:     by_value
      - .address_space:  global
        .offset:         88
        .size:           8
        .value_kind:     global_buffer
      - .offset:         96
        .size:           4
        .value_kind:     by_value
      - .offset:         104
        .size:           8
        .value_kind:     by_value
      - .offset:         112
        .size:           4
        .value_kind:     by_value
    .group_segment_fixed_size: 8192
    .kernarg_segment_align: 8
    .kernarg_segment_size: 116
    .language:       OpenCL C
    .language_version:
      - 2
      - 0
    .max_flat_workgroup_size: 256
    .name:           _ZL37rocblas_syrkx_herkx_restricted_kernelIi19rocblas_complex_numIdELi16ELi32ELi8ELb0ELb0ELc78ELc85EKS1_S1_EviT_T0_PT8_S3_lS6_S3_lS4_PT9_S3_li
    .private_segment_fixed_size: 0
    .sgpr_count:     33
    .sgpr_spill_count: 0
    .symbol:         _ZL37rocblas_syrkx_herkx_restricted_kernelIi19rocblas_complex_numIdELi16ELi32ELi8ELb0ELb0ELc78ELc85EKS1_S1_EviT_T0_PT8_S3_lS6_S3_lS4_PT9_S3_li.kd
    .uniform_work_group_size: 1
    .uses_dynamic_stack: false
    .vgpr_count:     54
    .vgpr_spill_count: 0
    .wavefront_size: 32
    .workgroup_processor_mode: 1
  - .args:
      - .offset:         0
        .size:           4
        .value_kind:     by_value
      - .offset:         4
        .size:           4
        .value_kind:     by_value
      - .offset:         8
        .size:           16
        .value_kind:     by_value
      - .address_space:  global
        .offset:         24
        .size:           8
        .value_kind:     global_buffer
      - .offset:         32
        .size:           4
        .value_kind:     by_value
      - .offset:         40
        .size:           8
        .value_kind:     by_value
      - .address_space:  global
        .offset:         48
        .size:           8
        .value_kind:     global_buffer
      - .offset:         56
        .size:           4
        .value_kind:     by_value
      - .offset:         64
        .size:           8
        .value_kind:     by_value
      - .offset:         72
        .size:           16
        .value_kind:     by_value
      - .address_space:  global
        .offset:         88
        .size:           8
        .value_kind:     global_buffer
      - .offset:         96
        .size:           4
        .value_kind:     by_value
      - .offset:         104
        .size:           8
        .value_kind:     by_value
      - .offset:         112
        .size:           4
        .value_kind:     by_value
    .group_segment_fixed_size: 8192
    .kernarg_segment_align: 8
    .kernarg_segment_size: 116
    .language:       OpenCL C
    .language_version:
      - 2
      - 0
    .max_flat_workgroup_size: 256
    .name:           _ZL41rocblas_syrkx_herkx_small_restrict_kernelIi19rocblas_complex_numIdELi16ELb1ELb0ELc84ELc76EKS1_S1_EviT_T0_PT6_S3_lS6_S3_lS4_PT7_S3_li
    .private_segment_fixed_size: 0
    .sgpr_count:     21
    .sgpr_spill_count: 0
    .symbol:         _ZL41rocblas_syrkx_herkx_small_restrict_kernelIi19rocblas_complex_numIdELi16ELb1ELb0ELc84ELc76EKS1_S1_EviT_T0_PT6_S3_lS6_S3_lS4_PT7_S3_li.kd
    .uniform_work_group_size: 1
    .uses_dynamic_stack: false
    .vgpr_count:     46
    .vgpr_spill_count: 0
    .wavefront_size: 32
    .workgroup_processor_mode: 1
  - .args:
      - .offset:         0
        .size:           4
        .value_kind:     by_value
      - .offset:         4
        .size:           4
        .value_kind:     by_value
      - .offset:         8
        .size:           16
        .value_kind:     by_value
      - .address_space:  global
        .offset:         24
        .size:           8
        .value_kind:     global_buffer
      - .offset:         32
        .size:           4
        .value_kind:     by_value
      - .offset:         40
        .size:           8
        .value_kind:     by_value
      - .address_space:  global
        .offset:         48
        .size:           8
        .value_kind:     global_buffer
      - .offset:         56
        .size:           4
        .value_kind:     by_value
      - .offset:         64
        .size:           8
        .value_kind:     by_value
      - .offset:         72
        .size:           16
        .value_kind:     by_value
      - .address_space:  global
        .offset:         88
        .size:           8
        .value_kind:     global_buffer
      - .offset:         96
        .size:           4
        .value_kind:     by_value
      - .offset:         104
        .size:           8
        .value_kind:     by_value
      - .offset:         112
        .size:           4
        .value_kind:     by_value
    .group_segment_fixed_size: 8192
    .kernarg_segment_align: 8
    .kernarg_segment_size: 116
    .language:       OpenCL C
    .language_version:
      - 2
      - 0
    .max_flat_workgroup_size: 256
    .name:           _ZL41rocblas_syrkx_herkx_small_restrict_kernelIi19rocblas_complex_numIdELi16ELb1ELb0ELc67ELc76EKS1_S1_EviT_T0_PT6_S3_lS6_S3_lS4_PT7_S3_li
    .private_segment_fixed_size: 0
    .sgpr_count:     21
    .sgpr_spill_count: 0
    .symbol:         _ZL41rocblas_syrkx_herkx_small_restrict_kernelIi19rocblas_complex_numIdELi16ELb1ELb0ELc67ELc76EKS1_S1_EviT_T0_PT6_S3_lS6_S3_lS4_PT7_S3_li.kd
    .uniform_work_group_size: 1
    .uses_dynamic_stack: false
    .vgpr_count:     46
    .vgpr_spill_count: 0
    .wavefront_size: 32
    .workgroup_processor_mode: 1
  - .args:
      - .offset:         0
        .size:           4
        .value_kind:     by_value
      - .offset:         4
        .size:           4
        .value_kind:     by_value
      - .offset:         8
        .size:           16
        .value_kind:     by_value
      - .address_space:  global
        .offset:         24
        .size:           8
        .value_kind:     global_buffer
      - .offset:         32
        .size:           4
        .value_kind:     by_value
      - .offset:         40
        .size:           8
        .value_kind:     by_value
      - .address_space:  global
        .offset:         48
        .size:           8
        .value_kind:     global_buffer
      - .offset:         56
        .size:           4
        .value_kind:     by_value
      - .offset:         64
        .size:           8
        .value_kind:     by_value
      - .offset:         72
        .size:           16
        .value_kind:     by_value
      - .address_space:  global
        .offset:         88
        .size:           8
        .value_kind:     global_buffer
      - .offset:         96
        .size:           4
        .value_kind:     by_value
      - .offset:         104
        .size:           8
        .value_kind:     by_value
      - .offset:         112
        .size:           4
        .value_kind:     by_value
    .group_segment_fixed_size: 8192
    .kernarg_segment_align: 8
    .kernarg_segment_size: 116
    .language:       OpenCL C
    .language_version:
      - 2
      - 0
    .max_flat_workgroup_size: 256
    .name:           _ZL41rocblas_syrkx_herkx_small_restrict_kernelIi19rocblas_complex_numIdELi16ELb1ELb0ELc78ELc76EKS1_S1_EviT_T0_PT6_S3_lS6_S3_lS4_PT7_S3_li
    .private_segment_fixed_size: 0
    .sgpr_count:     24
    .sgpr_spill_count: 0
    .symbol:         _ZL41rocblas_syrkx_herkx_small_restrict_kernelIi19rocblas_complex_numIdELi16ELb1ELb0ELc78ELc76EKS1_S1_EviT_T0_PT6_S3_lS6_S3_lS4_PT7_S3_li.kd
    .uniform_work_group_size: 1
    .uses_dynamic_stack: false
    .vgpr_count:     47
    .vgpr_spill_count: 0
    .wavefront_size: 32
    .workgroup_processor_mode: 1
  - .args:
      - .offset:         0
        .size:           4
        .value_kind:     by_value
      - .offset:         4
        .size:           4
        .value_kind:     by_value
      - .offset:         8
        .size:           16
        .value_kind:     by_value
      - .address_space:  global
        .offset:         24
        .size:           8
        .value_kind:     global_buffer
      - .offset:         32
        .size:           4
        .value_kind:     by_value
      - .offset:         40
        .size:           8
        .value_kind:     by_value
      - .address_space:  global
        .offset:         48
        .size:           8
        .value_kind:     global_buffer
      - .offset:         56
        .size:           4
        .value_kind:     by_value
      - .offset:         64
        .size:           8
        .value_kind:     by_value
      - .offset:         72
        .size:           16
        .value_kind:     by_value
      - .address_space:  global
        .offset:         88
        .size:           8
        .value_kind:     global_buffer
      - .offset:         96
        .size:           4
        .value_kind:     by_value
      - .offset:         104
        .size:           8
        .value_kind:     by_value
      - .offset:         112
        .size:           4
        .value_kind:     by_value
    .group_segment_fixed_size: 8192
    .kernarg_segment_align: 8
    .kernarg_segment_size: 116
    .language:       OpenCL C
    .language_version:
      - 2
      - 0
    .max_flat_workgroup_size: 256
    .name:           _ZL41rocblas_syrkx_herkx_small_restrict_kernelIi19rocblas_complex_numIdELi16ELb1ELb0ELc84ELc85EKS1_S1_EviT_T0_PT6_S3_lS6_S3_lS4_PT7_S3_li
    .private_segment_fixed_size: 0
    .sgpr_count:     21
    .sgpr_spill_count: 0
    .symbol:         _ZL41rocblas_syrkx_herkx_small_restrict_kernelIi19rocblas_complex_numIdELi16ELb1ELb0ELc84ELc85EKS1_S1_EviT_T0_PT6_S3_lS6_S3_lS4_PT7_S3_li.kd
    .uniform_work_group_size: 1
    .uses_dynamic_stack: false
    .vgpr_count:     46
    .vgpr_spill_count: 0
    .wavefront_size: 32
    .workgroup_processor_mode: 1
  - .args:
      - .offset:         0
        .size:           4
        .value_kind:     by_value
      - .offset:         4
        .size:           4
        .value_kind:     by_value
      - .offset:         8
        .size:           16
        .value_kind:     by_value
      - .address_space:  global
        .offset:         24
        .size:           8
        .value_kind:     global_buffer
      - .offset:         32
        .size:           4
        .value_kind:     by_value
      - .offset:         40
        .size:           8
        .value_kind:     by_value
      - .address_space:  global
        .offset:         48
        .size:           8
        .value_kind:     global_buffer
      - .offset:         56
        .size:           4
        .value_kind:     by_value
      - .offset:         64
        .size:           8
        .value_kind:     by_value
      - .offset:         72
        .size:           16
        .value_kind:     by_value
      - .address_space:  global
        .offset:         88
        .size:           8
        .value_kind:     global_buffer
      - .offset:         96
        .size:           4
        .value_kind:     by_value
      - .offset:         104
        .size:           8
        .value_kind:     by_value
      - .offset:         112
        .size:           4
        .value_kind:     by_value
    .group_segment_fixed_size: 8192
    .kernarg_segment_align: 8
    .kernarg_segment_size: 116
    .language:       OpenCL C
    .language_version:
      - 2
      - 0
    .max_flat_workgroup_size: 256
    .name:           _ZL41rocblas_syrkx_herkx_small_restrict_kernelIi19rocblas_complex_numIdELi16ELb1ELb0ELc67ELc85EKS1_S1_EviT_T0_PT6_S3_lS6_S3_lS4_PT7_S3_li
    .private_segment_fixed_size: 0
    .sgpr_count:     21
    .sgpr_spill_count: 0
    .symbol:         _ZL41rocblas_syrkx_herkx_small_restrict_kernelIi19rocblas_complex_numIdELi16ELb1ELb0ELc67ELc85EKS1_S1_EviT_T0_PT6_S3_lS6_S3_lS4_PT7_S3_li.kd
    .uniform_work_group_size: 1
    .uses_dynamic_stack: false
    .vgpr_count:     46
    .vgpr_spill_count: 0
    .wavefront_size: 32
    .workgroup_processor_mode: 1
  - .args:
      - .offset:         0
        .size:           4
        .value_kind:     by_value
      - .offset:         4
        .size:           4
        .value_kind:     by_value
      - .offset:         8
        .size:           16
        .value_kind:     by_value
      - .address_space:  global
        .offset:         24
        .size:           8
        .value_kind:     global_buffer
      - .offset:         32
        .size:           4
        .value_kind:     by_value
      - .offset:         40
        .size:           8
        .value_kind:     by_value
      - .address_space:  global
        .offset:         48
        .size:           8
        .value_kind:     global_buffer
      - .offset:         56
        .size:           4
        .value_kind:     by_value
      - .offset:         64
        .size:           8
        .value_kind:     by_value
      - .offset:         72
        .size:           16
        .value_kind:     by_value
      - .address_space:  global
        .offset:         88
        .size:           8
        .value_kind:     global_buffer
      - .offset:         96
        .size:           4
        .value_kind:     by_value
      - .offset:         104
        .size:           8
        .value_kind:     by_value
      - .offset:         112
        .size:           4
        .value_kind:     by_value
    .group_segment_fixed_size: 8192
    .kernarg_segment_align: 8
    .kernarg_segment_size: 116
    .language:       OpenCL C
    .language_version:
      - 2
      - 0
    .max_flat_workgroup_size: 256
    .name:           _ZL41rocblas_syrkx_herkx_small_restrict_kernelIi19rocblas_complex_numIdELi16ELb1ELb0ELc78ELc85EKS1_S1_EviT_T0_PT6_S3_lS6_S3_lS4_PT7_S3_li
    .private_segment_fixed_size: 0
    .sgpr_count:     24
    .sgpr_spill_count: 0
    .symbol:         _ZL41rocblas_syrkx_herkx_small_restrict_kernelIi19rocblas_complex_numIdELi16ELb1ELb0ELc78ELc85EKS1_S1_EviT_T0_PT6_S3_lS6_S3_lS4_PT7_S3_li.kd
    .uniform_work_group_size: 1
    .uses_dynamic_stack: false
    .vgpr_count:     47
    .vgpr_spill_count: 0
    .wavefront_size: 32
    .workgroup_processor_mode: 1
  - .args:
      - .offset:         0
        .size:           4
        .value_kind:     by_value
      - .offset:         4
        .size:           4
        .value_kind:     by_value
      - .offset:         8
        .size:           16
        .value_kind:     by_value
      - .address_space:  global
        .offset:         24
        .size:           8
        .value_kind:     global_buffer
      - .offset:         32
        .size:           4
        .value_kind:     by_value
      - .offset:         40
        .size:           8
        .value_kind:     by_value
      - .address_space:  global
        .offset:         48
        .size:           8
        .value_kind:     global_buffer
      - .offset:         56
        .size:           4
        .value_kind:     by_value
      - .offset:         64
        .size:           8
        .value_kind:     by_value
      - .offset:         72
        .size:           16
        .value_kind:     by_value
      - .address_space:  global
        .offset:         88
        .size:           8
        .value_kind:     global_buffer
      - .offset:         96
        .size:           4
        .value_kind:     by_value
      - .offset:         104
        .size:           8
        .value_kind:     by_value
      - .offset:         112
        .size:           4
        .value_kind:     by_value
    .group_segment_fixed_size: 8192
    .kernarg_segment_align: 8
    .kernarg_segment_size: 116
    .language:       OpenCL C
    .language_version:
      - 2
      - 0
    .max_flat_workgroup_size: 256
    .name:           _ZL41rocblas_syrkx_herkx_small_restrict_kernelIi19rocblas_complex_numIdELi16ELb0ELb0ELc84ELc76EKS1_S1_EviT_T0_PT6_S3_lS6_S3_lS4_PT7_S3_li
    .private_segment_fixed_size: 0
    .sgpr_count:     28
    .sgpr_spill_count: 0
    .symbol:         _ZL41rocblas_syrkx_herkx_small_restrict_kernelIi19rocblas_complex_numIdELi16ELb0ELb0ELc84ELc76EKS1_S1_EviT_T0_PT6_S3_lS6_S3_lS4_PT7_S3_li.kd
    .uniform_work_group_size: 1
    .uses_dynamic_stack: false
    .vgpr_count:     46
    .vgpr_spill_count: 0
    .wavefront_size: 32
    .workgroup_processor_mode: 1
  - .args:
      - .offset:         0
        .size:           4
        .value_kind:     by_value
      - .offset:         4
        .size:           4
        .value_kind:     by_value
      - .offset:         8
        .size:           16
        .value_kind:     by_value
      - .address_space:  global
        .offset:         24
        .size:           8
        .value_kind:     global_buffer
      - .offset:         32
        .size:           4
        .value_kind:     by_value
      - .offset:         40
        .size:           8
        .value_kind:     by_value
      - .address_space:  global
        .offset:         48
        .size:           8
        .value_kind:     global_buffer
      - .offset:         56
        .size:           4
        .value_kind:     by_value
      - .offset:         64
        .size:           8
        .value_kind:     by_value
      - .offset:         72
        .size:           16
        .value_kind:     by_value
      - .address_space:  global
        .offset:         88
        .size:           8
        .value_kind:     global_buffer
      - .offset:         96
        .size:           4
        .value_kind:     by_value
      - .offset:         104
        .size:           8
        .value_kind:     by_value
      - .offset:         112
        .size:           4
        .value_kind:     by_value
    .group_segment_fixed_size: 8192
    .kernarg_segment_align: 8
    .kernarg_segment_size: 116
    .language:       OpenCL C
    .language_version:
      - 2
      - 0
    .max_flat_workgroup_size: 256
    .name:           _ZL41rocblas_syrkx_herkx_small_restrict_kernelIi19rocblas_complex_numIdELi16ELb0ELb0ELc67ELc76EKS1_S1_EviT_T0_PT6_S3_lS6_S3_lS4_PT7_S3_li
    .private_segment_fixed_size: 0
    .sgpr_count:     28
    .sgpr_spill_count: 0
    .symbol:         _ZL41rocblas_syrkx_herkx_small_restrict_kernelIi19rocblas_complex_numIdELi16ELb0ELb0ELc67ELc76EKS1_S1_EviT_T0_PT6_S3_lS6_S3_lS4_PT7_S3_li.kd
    .uniform_work_group_size: 1
    .uses_dynamic_stack: false
    .vgpr_count:     46
    .vgpr_spill_count: 0
    .wavefront_size: 32
    .workgroup_processor_mode: 1
  - .args:
      - .offset:         0
        .size:           4
        .value_kind:     by_value
      - .offset:         4
        .size:           4
        .value_kind:     by_value
      - .offset:         8
        .size:           16
        .value_kind:     by_value
      - .address_space:  global
        .offset:         24
        .size:           8
        .value_kind:     global_buffer
      - .offset:         32
        .size:           4
        .value_kind:     by_value
      - .offset:         40
        .size:           8
        .value_kind:     by_value
      - .address_space:  global
        .offset:         48
        .size:           8
        .value_kind:     global_buffer
      - .offset:         56
        .size:           4
        .value_kind:     by_value
      - .offset:         64
        .size:           8
        .value_kind:     by_value
      - .offset:         72
        .size:           16
        .value_kind:     by_value
      - .address_space:  global
        .offset:         88
        .size:           8
        .value_kind:     global_buffer
      - .offset:         96
        .size:           4
        .value_kind:     by_value
      - .offset:         104
        .size:           8
        .value_kind:     by_value
      - .offset:         112
        .size:           4
        .value_kind:     by_value
    .group_segment_fixed_size: 8192
    .kernarg_segment_align: 8
    .kernarg_segment_size: 116
    .language:       OpenCL C
    .language_version:
      - 2
      - 0
    .max_flat_workgroup_size: 256
    .name:           _ZL41rocblas_syrkx_herkx_small_restrict_kernelIi19rocblas_complex_numIdELi16ELb0ELb0ELc78ELc76EKS1_S1_EviT_T0_PT6_S3_lS6_S3_lS4_PT7_S3_li
    .private_segment_fixed_size: 0
    .sgpr_count:     30
    .sgpr_spill_count: 0
    .symbol:         _ZL41rocblas_syrkx_herkx_small_restrict_kernelIi19rocblas_complex_numIdELi16ELb0ELb0ELc78ELc76EKS1_S1_EviT_T0_PT6_S3_lS6_S3_lS4_PT7_S3_li.kd
    .uniform_work_group_size: 1
    .uses_dynamic_stack: false
    .vgpr_count:     47
    .vgpr_spill_count: 0
    .wavefront_size: 32
    .workgroup_processor_mode: 1
  - .args:
      - .offset:         0
        .size:           4
        .value_kind:     by_value
      - .offset:         4
        .size:           4
        .value_kind:     by_value
      - .offset:         8
        .size:           16
        .value_kind:     by_value
      - .address_space:  global
        .offset:         24
        .size:           8
        .value_kind:     global_buffer
      - .offset:         32
        .size:           4
        .value_kind:     by_value
      - .offset:         40
        .size:           8
        .value_kind:     by_value
      - .address_space:  global
        .offset:         48
        .size:           8
        .value_kind:     global_buffer
      - .offset:         56
        .size:           4
        .value_kind:     by_value
      - .offset:         64
        .size:           8
        .value_kind:     by_value
      - .offset:         72
        .size:           16
        .value_kind:     by_value
      - .address_space:  global
        .offset:         88
        .size:           8
        .value_kind:     global_buffer
      - .offset:         96
        .size:           4
        .value_kind:     by_value
      - .offset:         104
        .size:           8
        .value_kind:     by_value
      - .offset:         112
        .size:           4
        .value_kind:     by_value
    .group_segment_fixed_size: 8192
    .kernarg_segment_align: 8
    .kernarg_segment_size: 116
    .language:       OpenCL C
    .language_version:
      - 2
      - 0
    .max_flat_workgroup_size: 256
    .name:           _ZL41rocblas_syrkx_herkx_small_restrict_kernelIi19rocblas_complex_numIdELi16ELb0ELb0ELc84ELc85EKS1_S1_EviT_T0_PT6_S3_lS6_S3_lS4_PT7_S3_li
    .private_segment_fixed_size: 0
    .sgpr_count:     28
    .sgpr_spill_count: 0
    .symbol:         _ZL41rocblas_syrkx_herkx_small_restrict_kernelIi19rocblas_complex_numIdELi16ELb0ELb0ELc84ELc85EKS1_S1_EviT_T0_PT6_S3_lS6_S3_lS4_PT7_S3_li.kd
    .uniform_work_group_size: 1
    .uses_dynamic_stack: false
    .vgpr_count:     46
    .vgpr_spill_count: 0
    .wavefront_size: 32
    .workgroup_processor_mode: 1
  - .args:
      - .offset:         0
        .size:           4
        .value_kind:     by_value
      - .offset:         4
        .size:           4
        .value_kind:     by_value
      - .offset:         8
        .size:           16
        .value_kind:     by_value
      - .address_space:  global
        .offset:         24
        .size:           8
        .value_kind:     global_buffer
      - .offset:         32
        .size:           4
        .value_kind:     by_value
      - .offset:         40
        .size:           8
        .value_kind:     by_value
      - .address_space:  global
        .offset:         48
        .size:           8
        .value_kind:     global_buffer
      - .offset:         56
        .size:           4
        .value_kind:     by_value
      - .offset:         64
        .size:           8
        .value_kind:     by_value
      - .offset:         72
        .size:           16
        .value_kind:     by_value
      - .address_space:  global
        .offset:         88
        .size:           8
        .value_kind:     global_buffer
      - .offset:         96
        .size:           4
        .value_kind:     by_value
      - .offset:         104
        .size:           8
        .value_kind:     by_value
      - .offset:         112
        .size:           4
        .value_kind:     by_value
    .group_segment_fixed_size: 8192
    .kernarg_segment_align: 8
    .kernarg_segment_size: 116
    .language:       OpenCL C
    .language_version:
      - 2
      - 0
    .max_flat_workgroup_size: 256
    .name:           _ZL41rocblas_syrkx_herkx_small_restrict_kernelIi19rocblas_complex_numIdELi16ELb0ELb0ELc67ELc85EKS1_S1_EviT_T0_PT6_S3_lS6_S3_lS4_PT7_S3_li
    .private_segment_fixed_size: 0
    .sgpr_count:     28
    .sgpr_spill_count: 0
    .symbol:         _ZL41rocblas_syrkx_herkx_small_restrict_kernelIi19rocblas_complex_numIdELi16ELb0ELb0ELc67ELc85EKS1_S1_EviT_T0_PT6_S3_lS6_S3_lS4_PT7_S3_li.kd
    .uniform_work_group_size: 1
    .uses_dynamic_stack: false
    .vgpr_count:     46
    .vgpr_spill_count: 0
    .wavefront_size: 32
    .workgroup_processor_mode: 1
  - .args:
      - .offset:         0
        .size:           4
        .value_kind:     by_value
      - .offset:         4
        .size:           4
        .value_kind:     by_value
      - .offset:         8
        .size:           16
        .value_kind:     by_value
      - .address_space:  global
        .offset:         24
        .size:           8
        .value_kind:     global_buffer
      - .offset:         32
        .size:           4
        .value_kind:     by_value
      - .offset:         40
        .size:           8
        .value_kind:     by_value
      - .address_space:  global
        .offset:         48
        .size:           8
        .value_kind:     global_buffer
      - .offset:         56
        .size:           4
        .value_kind:     by_value
      - .offset:         64
        .size:           8
        .value_kind:     by_value
      - .offset:         72
        .size:           16
        .value_kind:     by_value
      - .address_space:  global
        .offset:         88
        .size:           8
        .value_kind:     global_buffer
      - .offset:         96
        .size:           4
        .value_kind:     by_value
      - .offset:         104
        .size:           8
        .value_kind:     by_value
      - .offset:         112
        .size:           4
        .value_kind:     by_value
    .group_segment_fixed_size: 8192
    .kernarg_segment_align: 8
    .kernarg_segment_size: 116
    .language:       OpenCL C
    .language_version:
      - 2
      - 0
    .max_flat_workgroup_size: 256
    .name:           _ZL41rocblas_syrkx_herkx_small_restrict_kernelIi19rocblas_complex_numIdELi16ELb0ELb0ELc78ELc85EKS1_S1_EviT_T0_PT6_S3_lS6_S3_lS4_PT7_S3_li
    .private_segment_fixed_size: 0
    .sgpr_count:     30
    .sgpr_spill_count: 0
    .symbol:         _ZL41rocblas_syrkx_herkx_small_restrict_kernelIi19rocblas_complex_numIdELi16ELb0ELb0ELc78ELc85EKS1_S1_EviT_T0_PT6_S3_lS6_S3_lS4_PT7_S3_li.kd
    .uniform_work_group_size: 1
    .uses_dynamic_stack: false
    .vgpr_count:     47
    .vgpr_spill_count: 0
    .wavefront_size: 32
    .workgroup_processor_mode: 1
  - .args:
      - .offset:         0
        .size:           4
        .value_kind:     by_value
      - .offset:         4
        .size:           4
        .value_kind:     by_value
      - .offset:         8
        .size:           16
        .value_kind:     by_value
      - .address_space:  global
        .offset:         24
        .size:           8
        .value_kind:     global_buffer
      - .offset:         32
        .size:           4
        .value_kind:     by_value
      - .offset:         40
        .size:           8
        .value_kind:     by_value
      - .address_space:  global
        .offset:         48
        .size:           8
        .value_kind:     global_buffer
      - .offset:         56
        .size:           4
        .value_kind:     by_value
      - .offset:         64
        .size:           8
        .value_kind:     by_value
      - .offset:         72
        .size:           16
        .value_kind:     by_value
      - .address_space:  global
        .offset:         88
        .size:           8
        .value_kind:     global_buffer
      - .offset:         96
        .size:           4
        .value_kind:     by_value
      - .offset:         104
        .size:           8
        .value_kind:     by_value
      - .offset:         112
        .size:           4
        .value_kind:     by_value
    .group_segment_fixed_size: 8192
    .kernarg_segment_align: 8
    .kernarg_segment_size: 116
    .language:       OpenCL C
    .language_version:
      - 2
      - 0
    .max_flat_workgroup_size: 256
    .name:           _ZL32rocblas_syrkx_herkx_small_kernelIi19rocblas_complex_numIdELi16ELb1ELb0ELc84ELc76EKS1_S1_EviT_T0_PT6_S3_lS6_S3_lS4_PT7_S3_li
    .private_segment_fixed_size: 0
    .sgpr_count:     24
    .sgpr_spill_count: 0
    .symbol:         _ZL32rocblas_syrkx_herkx_small_kernelIi19rocblas_complex_numIdELi16ELb1ELb0ELc84ELc76EKS1_S1_EviT_T0_PT6_S3_lS6_S3_lS4_PT7_S3_li.kd
    .uniform_work_group_size: 1
    .uses_dynamic_stack: false
    .vgpr_count:     50
    .vgpr_spill_count: 0
    .wavefront_size: 32
    .workgroup_processor_mode: 1
  - .args:
      - .offset:         0
        .size:           4
        .value_kind:     by_value
      - .offset:         4
        .size:           4
        .value_kind:     by_value
      - .offset:         8
        .size:           16
        .value_kind:     by_value
      - .address_space:  global
        .offset:         24
        .size:           8
        .value_kind:     global_buffer
      - .offset:         32
        .size:           4
        .value_kind:     by_value
      - .offset:         40
        .size:           8
        .value_kind:     by_value
      - .address_space:  global
        .offset:         48
        .size:           8
        .value_kind:     global_buffer
      - .offset:         56
        .size:           4
        .value_kind:     by_value
      - .offset:         64
        .size:           8
        .value_kind:     by_value
      - .offset:         72
        .size:           16
        .value_kind:     by_value
      - .address_space:  global
        .offset:         88
        .size:           8
        .value_kind:     global_buffer
      - .offset:         96
        .size:           4
        .value_kind:     by_value
      - .offset:         104
        .size:           8
        .value_kind:     by_value
      - .offset:         112
        .size:           4
        .value_kind:     by_value
    .group_segment_fixed_size: 8192
    .kernarg_segment_align: 8
    .kernarg_segment_size: 116
    .language:       OpenCL C
    .language_version:
      - 2
      - 0
    .max_flat_workgroup_size: 256
    .name:           _ZL32rocblas_syrkx_herkx_small_kernelIi19rocblas_complex_numIdELi16ELb1ELb0ELc67ELc76EKS1_S1_EviT_T0_PT6_S3_lS6_S3_lS4_PT7_S3_li
    .private_segment_fixed_size: 0
    .sgpr_count:     24
    .sgpr_spill_count: 0
    .symbol:         _ZL32rocblas_syrkx_herkx_small_kernelIi19rocblas_complex_numIdELi16ELb1ELb0ELc67ELc76EKS1_S1_EviT_T0_PT6_S3_lS6_S3_lS4_PT7_S3_li.kd
    .uniform_work_group_size: 1
    .uses_dynamic_stack: false
    .vgpr_count:     51
    .vgpr_spill_count: 0
    .wavefront_size: 32
    .workgroup_processor_mode: 1
  - .args:
      - .offset:         0
        .size:           4
        .value_kind:     by_value
      - .offset:         4
        .size:           4
        .value_kind:     by_value
      - .offset:         8
        .size:           16
        .value_kind:     by_value
      - .address_space:  global
        .offset:         24
        .size:           8
        .value_kind:     global_buffer
      - .offset:         32
        .size:           4
        .value_kind:     by_value
      - .offset:         40
        .size:           8
        .value_kind:     by_value
      - .address_space:  global
        .offset:         48
        .size:           8
        .value_kind:     global_buffer
      - .offset:         56
        .size:           4
        .value_kind:     by_value
      - .offset:         64
        .size:           8
        .value_kind:     by_value
      - .offset:         72
        .size:           16
        .value_kind:     by_value
      - .address_space:  global
        .offset:         88
        .size:           8
        .value_kind:     global_buffer
      - .offset:         96
        .size:           4
        .value_kind:     by_value
      - .offset:         104
        .size:           8
        .value_kind:     by_value
      - .offset:         112
        .size:           4
        .value_kind:     by_value
    .group_segment_fixed_size: 8192
    .kernarg_segment_align: 8
    .kernarg_segment_size: 116
    .language:       OpenCL C
    .language_version:
      - 2
      - 0
    .max_flat_workgroup_size: 256
    .name:           _ZL32rocblas_syrkx_herkx_small_kernelIi19rocblas_complex_numIdELi16ELb1ELb0ELc78ELc76EKS1_S1_EviT_T0_PT6_S3_lS6_S3_lS4_PT7_S3_li
    .private_segment_fixed_size: 0
    .sgpr_count:     27
    .sgpr_spill_count: 0
    .symbol:         _ZL32rocblas_syrkx_herkx_small_kernelIi19rocblas_complex_numIdELi16ELb1ELb0ELc78ELc76EKS1_S1_EviT_T0_PT6_S3_lS6_S3_lS4_PT7_S3_li.kd
    .uniform_work_group_size: 1
    .uses_dynamic_stack: false
    .vgpr_count:     50
    .vgpr_spill_count: 0
    .wavefront_size: 32
    .workgroup_processor_mode: 1
  - .args:
      - .offset:         0
        .size:           4
        .value_kind:     by_value
      - .offset:         4
        .size:           4
        .value_kind:     by_value
      - .offset:         8
        .size:           16
        .value_kind:     by_value
      - .address_space:  global
        .offset:         24
        .size:           8
        .value_kind:     global_buffer
      - .offset:         32
        .size:           4
        .value_kind:     by_value
      - .offset:         40
        .size:           8
        .value_kind:     by_value
      - .address_space:  global
        .offset:         48
        .size:           8
        .value_kind:     global_buffer
      - .offset:         56
        .size:           4
        .value_kind:     by_value
      - .offset:         64
        .size:           8
        .value_kind:     by_value
      - .offset:         72
        .size:           16
        .value_kind:     by_value
      - .address_space:  global
        .offset:         88
        .size:           8
        .value_kind:     global_buffer
      - .offset:         96
        .size:           4
        .value_kind:     by_value
      - .offset:         104
        .size:           8
        .value_kind:     by_value
      - .offset:         112
        .size:           4
        .value_kind:     by_value
    .group_segment_fixed_size: 8192
    .kernarg_segment_align: 8
    .kernarg_segment_size: 116
    .language:       OpenCL C
    .language_version:
      - 2
      - 0
    .max_flat_workgroup_size: 256
    .name:           _ZL32rocblas_syrkx_herkx_small_kernelIi19rocblas_complex_numIdELi16ELb1ELb0ELc84ELc85EKS1_S1_EviT_T0_PT6_S3_lS6_S3_lS4_PT7_S3_li
    .private_segment_fixed_size: 0
    .sgpr_count:     24
    .sgpr_spill_count: 0
    .symbol:         _ZL32rocblas_syrkx_herkx_small_kernelIi19rocblas_complex_numIdELi16ELb1ELb0ELc84ELc85EKS1_S1_EviT_T0_PT6_S3_lS6_S3_lS4_PT7_S3_li.kd
    .uniform_work_group_size: 1
    .uses_dynamic_stack: false
    .vgpr_count:     50
    .vgpr_spill_count: 0
    .wavefront_size: 32
    .workgroup_processor_mode: 1
  - .args:
      - .offset:         0
        .size:           4
        .value_kind:     by_value
      - .offset:         4
        .size:           4
        .value_kind:     by_value
      - .offset:         8
        .size:           16
        .value_kind:     by_value
      - .address_space:  global
        .offset:         24
        .size:           8
        .value_kind:     global_buffer
      - .offset:         32
        .size:           4
        .value_kind:     by_value
      - .offset:         40
        .size:           8
        .value_kind:     by_value
      - .address_space:  global
        .offset:         48
        .size:           8
        .value_kind:     global_buffer
      - .offset:         56
        .size:           4
        .value_kind:     by_value
      - .offset:         64
        .size:           8
        .value_kind:     by_value
      - .offset:         72
        .size:           16
        .value_kind:     by_value
      - .address_space:  global
        .offset:         88
        .size:           8
        .value_kind:     global_buffer
      - .offset:         96
        .size:           4
        .value_kind:     by_value
      - .offset:         104
        .size:           8
        .value_kind:     by_value
      - .offset:         112
        .size:           4
        .value_kind:     by_value
    .group_segment_fixed_size: 8192
    .kernarg_segment_align: 8
    .kernarg_segment_size: 116
    .language:       OpenCL C
    .language_version:
      - 2
      - 0
    .max_flat_workgroup_size: 256
    .name:           _ZL32rocblas_syrkx_herkx_small_kernelIi19rocblas_complex_numIdELi16ELb1ELb0ELc67ELc85EKS1_S1_EviT_T0_PT6_S3_lS6_S3_lS4_PT7_S3_li
    .private_segment_fixed_size: 0
    .sgpr_count:     24
    .sgpr_spill_count: 0
    .symbol:         _ZL32rocblas_syrkx_herkx_small_kernelIi19rocblas_complex_numIdELi16ELb1ELb0ELc67ELc85EKS1_S1_EviT_T0_PT6_S3_lS6_S3_lS4_PT7_S3_li.kd
    .uniform_work_group_size: 1
    .uses_dynamic_stack: false
    .vgpr_count:     51
    .vgpr_spill_count: 0
    .wavefront_size: 32
    .workgroup_processor_mode: 1
  - .args:
      - .offset:         0
        .size:           4
        .value_kind:     by_value
      - .offset:         4
        .size:           4
        .value_kind:     by_value
      - .offset:         8
        .size:           16
        .value_kind:     by_value
      - .address_space:  global
        .offset:         24
        .size:           8
        .value_kind:     global_buffer
      - .offset:         32
        .size:           4
        .value_kind:     by_value
      - .offset:         40
        .size:           8
        .value_kind:     by_value
      - .address_space:  global
        .offset:         48
        .size:           8
        .value_kind:     global_buffer
      - .offset:         56
        .size:           4
        .value_kind:     by_value
      - .offset:         64
        .size:           8
        .value_kind:     by_value
      - .offset:         72
        .size:           16
        .value_kind:     by_value
      - .address_space:  global
        .offset:         88
        .size:           8
        .value_kind:     global_buffer
      - .offset:         96
        .size:           4
        .value_kind:     by_value
      - .offset:         104
        .size:           8
        .value_kind:     by_value
      - .offset:         112
        .size:           4
        .value_kind:     by_value
    .group_segment_fixed_size: 8192
    .kernarg_segment_align: 8
    .kernarg_segment_size: 116
    .language:       OpenCL C
    .language_version:
      - 2
      - 0
    .max_flat_workgroup_size: 256
    .name:           _ZL32rocblas_syrkx_herkx_small_kernelIi19rocblas_complex_numIdELi16ELb1ELb0ELc78ELc85EKS1_S1_EviT_T0_PT6_S3_lS6_S3_lS4_PT7_S3_li
    .private_segment_fixed_size: 0
    .sgpr_count:     27
    .sgpr_spill_count: 0
    .symbol:         _ZL32rocblas_syrkx_herkx_small_kernelIi19rocblas_complex_numIdELi16ELb1ELb0ELc78ELc85EKS1_S1_EviT_T0_PT6_S3_lS6_S3_lS4_PT7_S3_li.kd
    .uniform_work_group_size: 1
    .uses_dynamic_stack: false
    .vgpr_count:     50
    .vgpr_spill_count: 0
    .wavefront_size: 32
    .workgroup_processor_mode: 1
  - .args:
      - .offset:         0
        .size:           4
        .value_kind:     by_value
      - .offset:         4
        .size:           4
        .value_kind:     by_value
      - .offset:         8
        .size:           16
        .value_kind:     by_value
      - .address_space:  global
        .offset:         24
        .size:           8
        .value_kind:     global_buffer
      - .offset:         32
        .size:           4
        .value_kind:     by_value
      - .offset:         40
        .size:           8
        .value_kind:     by_value
      - .address_space:  global
        .offset:         48
        .size:           8
        .value_kind:     global_buffer
      - .offset:         56
        .size:           4
        .value_kind:     by_value
      - .offset:         64
        .size:           8
        .value_kind:     by_value
      - .offset:         72
        .size:           16
        .value_kind:     by_value
      - .address_space:  global
        .offset:         88
        .size:           8
        .value_kind:     global_buffer
      - .offset:         96
        .size:           4
        .value_kind:     by_value
      - .offset:         104
        .size:           8
        .value_kind:     by_value
      - .offset:         112
        .size:           4
        .value_kind:     by_value
    .group_segment_fixed_size: 8192
    .kernarg_segment_align: 8
    .kernarg_segment_size: 116
    .language:       OpenCL C
    .language_version:
      - 2
      - 0
    .max_flat_workgroup_size: 256
    .name:           _ZL32rocblas_syrkx_herkx_small_kernelIi19rocblas_complex_numIdELi16ELb0ELb0ELc84ELc76EKS1_S1_EviT_T0_PT6_S3_lS6_S3_lS4_PT7_S3_li
    .private_segment_fixed_size: 0
    .sgpr_count:     30
    .sgpr_spill_count: 0
    .symbol:         _ZL32rocblas_syrkx_herkx_small_kernelIi19rocblas_complex_numIdELi16ELb0ELb0ELc84ELc76EKS1_S1_EviT_T0_PT6_S3_lS6_S3_lS4_PT7_S3_li.kd
    .uniform_work_group_size: 1
    .uses_dynamic_stack: false
    .vgpr_count:     50
    .vgpr_spill_count: 0
    .wavefront_size: 32
    .workgroup_processor_mode: 1
  - .args:
      - .offset:         0
        .size:           4
        .value_kind:     by_value
      - .offset:         4
        .size:           4
        .value_kind:     by_value
      - .offset:         8
        .size:           16
        .value_kind:     by_value
      - .address_space:  global
        .offset:         24
        .size:           8
        .value_kind:     global_buffer
      - .offset:         32
        .size:           4
        .value_kind:     by_value
      - .offset:         40
        .size:           8
        .value_kind:     by_value
      - .address_space:  global
        .offset:         48
        .size:           8
        .value_kind:     global_buffer
      - .offset:         56
        .size:           4
        .value_kind:     by_value
      - .offset:         64
        .size:           8
        .value_kind:     by_value
      - .offset:         72
        .size:           16
        .value_kind:     by_value
      - .address_space:  global
        .offset:         88
        .size:           8
        .value_kind:     global_buffer
      - .offset:         96
        .size:           4
        .value_kind:     by_value
      - .offset:         104
        .size:           8
        .value_kind:     by_value
      - .offset:         112
        .size:           4
        .value_kind:     by_value
    .group_segment_fixed_size: 8192
    .kernarg_segment_align: 8
    .kernarg_segment_size: 116
    .language:       OpenCL C
    .language_version:
      - 2
      - 0
    .max_flat_workgroup_size: 256
    .name:           _ZL32rocblas_syrkx_herkx_small_kernelIi19rocblas_complex_numIdELi16ELb0ELb0ELc67ELc76EKS1_S1_EviT_T0_PT6_S3_lS6_S3_lS4_PT7_S3_li
    .private_segment_fixed_size: 0
    .sgpr_count:     30
    .sgpr_spill_count: 0
    .symbol:         _ZL32rocblas_syrkx_herkx_small_kernelIi19rocblas_complex_numIdELi16ELb0ELb0ELc67ELc76EKS1_S1_EviT_T0_PT6_S3_lS6_S3_lS4_PT7_S3_li.kd
    .uniform_work_group_size: 1
    .uses_dynamic_stack: false
    .vgpr_count:     51
    .vgpr_spill_count: 0
    .wavefront_size: 32
    .workgroup_processor_mode: 1
  - .args:
      - .offset:         0
        .size:           4
        .value_kind:     by_value
      - .offset:         4
        .size:           4
        .value_kind:     by_value
      - .offset:         8
        .size:           16
        .value_kind:     by_value
      - .address_space:  global
        .offset:         24
        .size:           8
        .value_kind:     global_buffer
      - .offset:         32
        .size:           4
        .value_kind:     by_value
      - .offset:         40
        .size:           8
        .value_kind:     by_value
      - .address_space:  global
        .offset:         48
        .size:           8
        .value_kind:     global_buffer
      - .offset:         56
        .size:           4
        .value_kind:     by_value
      - .offset:         64
        .size:           8
        .value_kind:     by_value
      - .offset:         72
        .size:           16
        .value_kind:     by_value
      - .address_space:  global
        .offset:         88
        .size:           8
        .value_kind:     global_buffer
      - .offset:         96
        .size:           4
        .value_kind:     by_value
      - .offset:         104
        .size:           8
        .value_kind:     by_value
      - .offset:         112
        .size:           4
        .value_kind:     by_value
    .group_segment_fixed_size: 8192
    .kernarg_segment_align: 8
    .kernarg_segment_size: 116
    .language:       OpenCL C
    .language_version:
      - 2
      - 0
    .max_flat_workgroup_size: 256
    .name:           _ZL32rocblas_syrkx_herkx_small_kernelIi19rocblas_complex_numIdELi16ELb0ELb0ELc78ELc76EKS1_S1_EviT_T0_PT6_S3_lS6_S3_lS4_PT7_S3_li
    .private_segment_fixed_size: 0
    .sgpr_count:     32
    .sgpr_spill_count: 0
    .symbol:         _ZL32rocblas_syrkx_herkx_small_kernelIi19rocblas_complex_numIdELi16ELb0ELb0ELc78ELc76EKS1_S1_EviT_T0_PT6_S3_lS6_S3_lS4_PT7_S3_li.kd
    .uniform_work_group_size: 1
    .uses_dynamic_stack: false
    .vgpr_count:     50
    .vgpr_spill_count: 0
    .wavefront_size: 32
    .workgroup_processor_mode: 1
  - .args:
      - .offset:         0
        .size:           4
        .value_kind:     by_value
      - .offset:         4
        .size:           4
        .value_kind:     by_value
      - .offset:         8
        .size:           16
        .value_kind:     by_value
      - .address_space:  global
        .offset:         24
        .size:           8
        .value_kind:     global_buffer
      - .offset:         32
        .size:           4
        .value_kind:     by_value
      - .offset:         40
        .size:           8
        .value_kind:     by_value
      - .address_space:  global
        .offset:         48
        .size:           8
        .value_kind:     global_buffer
      - .offset:         56
        .size:           4
        .value_kind:     by_value
      - .offset:         64
        .size:           8
        .value_kind:     by_value
      - .offset:         72
        .size:           16
        .value_kind:     by_value
      - .address_space:  global
        .offset:         88
        .size:           8
        .value_kind:     global_buffer
      - .offset:         96
        .size:           4
        .value_kind:     by_value
      - .offset:         104
        .size:           8
        .value_kind:     by_value
      - .offset:         112
        .size:           4
        .value_kind:     by_value
    .group_segment_fixed_size: 8192
    .kernarg_segment_align: 8
    .kernarg_segment_size: 116
    .language:       OpenCL C
    .language_version:
      - 2
      - 0
    .max_flat_workgroup_size: 256
    .name:           _ZL32rocblas_syrkx_herkx_small_kernelIi19rocblas_complex_numIdELi16ELb0ELb0ELc84ELc85EKS1_S1_EviT_T0_PT6_S3_lS6_S3_lS4_PT7_S3_li
    .private_segment_fixed_size: 0
    .sgpr_count:     30
    .sgpr_spill_count: 0
    .symbol:         _ZL32rocblas_syrkx_herkx_small_kernelIi19rocblas_complex_numIdELi16ELb0ELb0ELc84ELc85EKS1_S1_EviT_T0_PT6_S3_lS6_S3_lS4_PT7_S3_li.kd
    .uniform_work_group_size: 1
    .uses_dynamic_stack: false
    .vgpr_count:     50
    .vgpr_spill_count: 0
    .wavefront_size: 32
    .workgroup_processor_mode: 1
  - .args:
      - .offset:         0
        .size:           4
        .value_kind:     by_value
      - .offset:         4
        .size:           4
        .value_kind:     by_value
      - .offset:         8
        .size:           16
        .value_kind:     by_value
      - .address_space:  global
        .offset:         24
        .size:           8
        .value_kind:     global_buffer
      - .offset:         32
        .size:           4
        .value_kind:     by_value
      - .offset:         40
        .size:           8
        .value_kind:     by_value
      - .address_space:  global
        .offset:         48
        .size:           8
        .value_kind:     global_buffer
      - .offset:         56
        .size:           4
        .value_kind:     by_value
      - .offset:         64
        .size:           8
        .value_kind:     by_value
      - .offset:         72
        .size:           16
        .value_kind:     by_value
      - .address_space:  global
        .offset:         88
        .size:           8
        .value_kind:     global_buffer
      - .offset:         96
        .size:           4
        .value_kind:     by_value
      - .offset:         104
        .size:           8
        .value_kind:     by_value
      - .offset:         112
        .size:           4
        .value_kind:     by_value
    .group_segment_fixed_size: 8192
    .kernarg_segment_align: 8
    .kernarg_segment_size: 116
    .language:       OpenCL C
    .language_version:
      - 2
      - 0
    .max_flat_workgroup_size: 256
    .name:           _ZL32rocblas_syrkx_herkx_small_kernelIi19rocblas_complex_numIdELi16ELb0ELb0ELc67ELc85EKS1_S1_EviT_T0_PT6_S3_lS6_S3_lS4_PT7_S3_li
    .private_segment_fixed_size: 0
    .sgpr_count:     30
    .sgpr_spill_count: 0
    .symbol:         _ZL32rocblas_syrkx_herkx_small_kernelIi19rocblas_complex_numIdELi16ELb0ELb0ELc67ELc85EKS1_S1_EviT_T0_PT6_S3_lS6_S3_lS4_PT7_S3_li.kd
    .uniform_work_group_size: 1
    .uses_dynamic_stack: false
    .vgpr_count:     51
    .vgpr_spill_count: 0
    .wavefront_size: 32
    .workgroup_processor_mode: 1
  - .args:
      - .offset:         0
        .size:           4
        .value_kind:     by_value
      - .offset:         4
        .size:           4
        .value_kind:     by_value
      - .offset:         8
        .size:           16
        .value_kind:     by_value
      - .address_space:  global
        .offset:         24
        .size:           8
        .value_kind:     global_buffer
      - .offset:         32
        .size:           4
        .value_kind:     by_value
      - .offset:         40
        .size:           8
        .value_kind:     by_value
      - .address_space:  global
        .offset:         48
        .size:           8
        .value_kind:     global_buffer
      - .offset:         56
        .size:           4
        .value_kind:     by_value
      - .offset:         64
        .size:           8
        .value_kind:     by_value
      - .offset:         72
        .size:           16
        .value_kind:     by_value
      - .address_space:  global
        .offset:         88
        .size:           8
        .value_kind:     global_buffer
      - .offset:         96
        .size:           4
        .value_kind:     by_value
      - .offset:         104
        .size:           8
        .value_kind:     by_value
      - .offset:         112
        .size:           4
        .value_kind:     by_value
    .group_segment_fixed_size: 8192
    .kernarg_segment_align: 8
    .kernarg_segment_size: 116
    .language:       OpenCL C
    .language_version:
      - 2
      - 0
    .max_flat_workgroup_size: 256
    .name:           _ZL32rocblas_syrkx_herkx_small_kernelIi19rocblas_complex_numIdELi16ELb0ELb0ELc78ELc85EKS1_S1_EviT_T0_PT6_S3_lS6_S3_lS4_PT7_S3_li
    .private_segment_fixed_size: 0
    .sgpr_count:     32
    .sgpr_spill_count: 0
    .symbol:         _ZL32rocblas_syrkx_herkx_small_kernelIi19rocblas_complex_numIdELi16ELb0ELb0ELc78ELc85EKS1_S1_EviT_T0_PT6_S3_lS6_S3_lS4_PT7_S3_li.kd
    .uniform_work_group_size: 1
    .uses_dynamic_stack: false
    .vgpr_count:     50
    .vgpr_spill_count: 0
    .wavefront_size: 32
    .workgroup_processor_mode: 1
  - .args:
      - .offset:         0
        .size:           4
        .value_kind:     by_value
      - .offset:         4
        .size:           4
        .value_kind:     by_value
      - .offset:         8
        .size:           16
        .value_kind:     by_value
      - .address_space:  global
        .offset:         24
        .size:           8
        .value_kind:     global_buffer
      - .offset:         32
        .size:           4
        .value_kind:     by_value
      - .offset:         40
        .size:           8
        .value_kind:     by_value
      - .address_space:  global
        .offset:         48
        .size:           8
        .value_kind:     global_buffer
      - .offset:         56
        .size:           4
        .value_kind:     by_value
      - .offset:         64
        .size:           8
        .value_kind:     by_value
      - .offset:         72
        .size:           16
        .value_kind:     by_value
      - .address_space:  global
        .offset:         88
        .size:           8
        .value_kind:     global_buffer
      - .offset:         96
        .size:           4
        .value_kind:     by_value
      - .offset:         104
        .size:           8
        .value_kind:     by_value
      - .offset:         112
        .size:           4
        .value_kind:     by_value
    .group_segment_fixed_size: 8192
    .kernarg_segment_align: 8
    .kernarg_segment_size: 116
    .language:       OpenCL C
    .language_version:
      - 2
      - 0
    .max_flat_workgroup_size: 256
    .name:           _ZL34rocblas_syrkx_herkx_general_kernelIi19rocblas_complex_numIdELi16ELi32ELi8ELb1ELb0ELc84ELc76EKS1_S1_EviT_T0_PT8_S3_lS6_S3_lS4_PT9_S3_li
    .private_segment_fixed_size: 0
    .sgpr_count:     25
    .sgpr_spill_count: 0
    .symbol:         _ZL34rocblas_syrkx_herkx_general_kernelIi19rocblas_complex_numIdELi16ELi32ELi8ELb1ELb0ELc84ELc76EKS1_S1_EviT_T0_PT8_S3_lS6_S3_lS4_PT9_S3_li.kd
    .uniform_work_group_size: 1
    .uses_dynamic_stack: false
    .vgpr_count:     56
    .vgpr_spill_count: 0
    .wavefront_size: 32
    .workgroup_processor_mode: 1
  - .args:
      - .offset:         0
        .size:           4
        .value_kind:     by_value
      - .offset:         4
        .size:           4
        .value_kind:     by_value
      - .offset:         8
        .size:           16
        .value_kind:     by_value
      - .address_space:  global
        .offset:         24
        .size:           8
        .value_kind:     global_buffer
      - .offset:         32
        .size:           4
        .value_kind:     by_value
      - .offset:         40
        .size:           8
        .value_kind:     by_value
      - .address_space:  global
        .offset:         48
        .size:           8
        .value_kind:     global_buffer
      - .offset:         56
        .size:           4
        .value_kind:     by_value
      - .offset:         64
        .size:           8
        .value_kind:     by_value
      - .offset:         72
        .size:           16
        .value_kind:     by_value
      - .address_space:  global
        .offset:         88
        .size:           8
        .value_kind:     global_buffer
      - .offset:         96
        .size:           4
        .value_kind:     by_value
      - .offset:         104
        .size:           8
        .value_kind:     by_value
      - .offset:         112
        .size:           4
        .value_kind:     by_value
    .group_segment_fixed_size: 8192
    .kernarg_segment_align: 8
    .kernarg_segment_size: 116
    .language:       OpenCL C
    .language_version:
      - 2
      - 0
    .max_flat_workgroup_size: 256
    .name:           _ZL34rocblas_syrkx_herkx_general_kernelIi19rocblas_complex_numIdELi16ELi32ELi8ELb1ELb0ELc67ELc76EKS1_S1_EviT_T0_PT8_S3_lS6_S3_lS4_PT9_S3_li
    .private_segment_fixed_size: 0
    .sgpr_count:     25
    .sgpr_spill_count: 0
    .symbol:         _ZL34rocblas_syrkx_herkx_general_kernelIi19rocblas_complex_numIdELi16ELi32ELi8ELb1ELb0ELc67ELc76EKS1_S1_EviT_T0_PT8_S3_lS6_S3_lS4_PT9_S3_li.kd
    .uniform_work_group_size: 1
    .uses_dynamic_stack: false
    .vgpr_count:     121
    .vgpr_spill_count: 0
    .wavefront_size: 32
    .workgroup_processor_mode: 1
  - .args:
      - .offset:         0
        .size:           4
        .value_kind:     by_value
      - .offset:         4
        .size:           4
        .value_kind:     by_value
      - .offset:         8
        .size:           16
        .value_kind:     by_value
      - .address_space:  global
        .offset:         24
        .size:           8
        .value_kind:     global_buffer
      - .offset:         32
        .size:           4
        .value_kind:     by_value
      - .offset:         40
        .size:           8
        .value_kind:     by_value
      - .address_space:  global
        .offset:         48
        .size:           8
        .value_kind:     global_buffer
      - .offset:         56
        .size:           4
        .value_kind:     by_value
      - .offset:         64
        .size:           8
        .value_kind:     by_value
      - .offset:         72
        .size:           16
        .value_kind:     by_value
      - .address_space:  global
        .offset:         88
        .size:           8
        .value_kind:     global_buffer
      - .offset:         96
        .size:           4
        .value_kind:     by_value
      - .offset:         104
        .size:           8
        .value_kind:     by_value
      - .offset:         112
        .size:           4
        .value_kind:     by_value
    .group_segment_fixed_size: 8192
    .kernarg_segment_align: 8
    .kernarg_segment_size: 116
    .language:       OpenCL C
    .language_version:
      - 2
      - 0
    .max_flat_workgroup_size: 256
    .name:           _ZL34rocblas_syrkx_herkx_general_kernelIi19rocblas_complex_numIdELi16ELi32ELi8ELb1ELb0ELc78ELc76EKS1_S1_EviT_T0_PT8_S3_lS6_S3_lS4_PT9_S3_li
    .private_segment_fixed_size: 0
    .sgpr_count:     28
    .sgpr_spill_count: 0
    .symbol:         _ZL34rocblas_syrkx_herkx_general_kernelIi19rocblas_complex_numIdELi16ELi32ELi8ELb1ELb0ELc78ELc76EKS1_S1_EviT_T0_PT8_S3_lS6_S3_lS4_PT9_S3_li.kd
    .uniform_work_group_size: 1
    .uses_dynamic_stack: false
    .vgpr_count:     119
    .vgpr_spill_count: 0
    .wavefront_size: 32
    .workgroup_processor_mode: 1
  - .args:
      - .offset:         0
        .size:           4
        .value_kind:     by_value
      - .offset:         4
        .size:           4
        .value_kind:     by_value
      - .offset:         8
        .size:           16
        .value_kind:     by_value
      - .address_space:  global
        .offset:         24
        .size:           8
        .value_kind:     global_buffer
      - .offset:         32
        .size:           4
        .value_kind:     by_value
      - .offset:         40
        .size:           8
        .value_kind:     by_value
      - .address_space:  global
        .offset:         48
        .size:           8
        .value_kind:     global_buffer
      - .offset:         56
        .size:           4
        .value_kind:     by_value
      - .offset:         64
        .size:           8
        .value_kind:     by_value
      - .offset:         72
        .size:           16
        .value_kind:     by_value
      - .address_space:  global
        .offset:         88
        .size:           8
        .value_kind:     global_buffer
      - .offset:         96
        .size:           4
        .value_kind:     by_value
      - .offset:         104
        .size:           8
        .value_kind:     by_value
      - .offset:         112
        .size:           4
        .value_kind:     by_value
    .group_segment_fixed_size: 8192
    .kernarg_segment_align: 8
    .kernarg_segment_size: 116
    .language:       OpenCL C
    .language_version:
      - 2
      - 0
    .max_flat_workgroup_size: 256
    .name:           _ZL34rocblas_syrkx_herkx_general_kernelIi19rocblas_complex_numIdELi16ELi32ELi8ELb1ELb0ELc84ELc85EKS1_S1_EviT_T0_PT8_S3_lS6_S3_lS4_PT9_S3_li
    .private_segment_fixed_size: 0
    .sgpr_count:     25
    .sgpr_spill_count: 0
    .symbol:         _ZL34rocblas_syrkx_herkx_general_kernelIi19rocblas_complex_numIdELi16ELi32ELi8ELb1ELb0ELc84ELc85EKS1_S1_EviT_T0_PT8_S3_lS6_S3_lS4_PT9_S3_li.kd
    .uniform_work_group_size: 1
    .uses_dynamic_stack: false
    .vgpr_count:     56
    .vgpr_spill_count: 0
    .wavefront_size: 32
    .workgroup_processor_mode: 1
  - .args:
      - .offset:         0
        .size:           4
        .value_kind:     by_value
      - .offset:         4
        .size:           4
        .value_kind:     by_value
      - .offset:         8
        .size:           16
        .value_kind:     by_value
      - .address_space:  global
        .offset:         24
        .size:           8
        .value_kind:     global_buffer
      - .offset:         32
        .size:           4
        .value_kind:     by_value
      - .offset:         40
        .size:           8
        .value_kind:     by_value
      - .address_space:  global
        .offset:         48
        .size:           8
        .value_kind:     global_buffer
      - .offset:         56
        .size:           4
        .value_kind:     by_value
      - .offset:         64
        .size:           8
        .value_kind:     by_value
      - .offset:         72
        .size:           16
        .value_kind:     by_value
      - .address_space:  global
        .offset:         88
        .size:           8
        .value_kind:     global_buffer
      - .offset:         96
        .size:           4
        .value_kind:     by_value
      - .offset:         104
        .size:           8
        .value_kind:     by_value
      - .offset:         112
        .size:           4
        .value_kind:     by_value
    .group_segment_fixed_size: 8192
    .kernarg_segment_align: 8
    .kernarg_segment_size: 116
    .language:       OpenCL C
    .language_version:
      - 2
      - 0
    .max_flat_workgroup_size: 256
    .name:           _ZL34rocblas_syrkx_herkx_general_kernelIi19rocblas_complex_numIdELi16ELi32ELi8ELb1ELb0ELc67ELc85EKS1_S1_EviT_T0_PT8_S3_lS6_S3_lS4_PT9_S3_li
    .private_segment_fixed_size: 0
    .sgpr_count:     25
    .sgpr_spill_count: 0
    .symbol:         _ZL34rocblas_syrkx_herkx_general_kernelIi19rocblas_complex_numIdELi16ELi32ELi8ELb1ELb0ELc67ELc85EKS1_S1_EviT_T0_PT8_S3_lS6_S3_lS4_PT9_S3_li.kd
    .uniform_work_group_size: 1
    .uses_dynamic_stack: false
    .vgpr_count:     121
    .vgpr_spill_count: 0
    .wavefront_size: 32
    .workgroup_processor_mode: 1
  - .args:
      - .offset:         0
        .size:           4
        .value_kind:     by_value
      - .offset:         4
        .size:           4
        .value_kind:     by_value
      - .offset:         8
        .size:           16
        .value_kind:     by_value
      - .address_space:  global
        .offset:         24
        .size:           8
        .value_kind:     global_buffer
      - .offset:         32
        .size:           4
        .value_kind:     by_value
      - .offset:         40
        .size:           8
        .value_kind:     by_value
      - .address_space:  global
        .offset:         48
        .size:           8
        .value_kind:     global_buffer
      - .offset:         56
        .size:           4
        .value_kind:     by_value
      - .offset:         64
        .size:           8
        .value_kind:     by_value
      - .offset:         72
        .size:           16
        .value_kind:     by_value
      - .address_space:  global
        .offset:         88
        .size:           8
        .value_kind:     global_buffer
      - .offset:         96
        .size:           4
        .value_kind:     by_value
      - .offset:         104
        .size:           8
        .value_kind:     by_value
      - .offset:         112
        .size:           4
        .value_kind:     by_value
    .group_segment_fixed_size: 8192
    .kernarg_segment_align: 8
    .kernarg_segment_size: 116
    .language:       OpenCL C
    .language_version:
      - 2
      - 0
    .max_flat_workgroup_size: 256
    .name:           _ZL34rocblas_syrkx_herkx_general_kernelIi19rocblas_complex_numIdELi16ELi32ELi8ELb1ELb0ELc78ELc85EKS1_S1_EviT_T0_PT8_S3_lS6_S3_lS4_PT9_S3_li
    .private_segment_fixed_size: 0
    .sgpr_count:     28
    .sgpr_spill_count: 0
    .symbol:         _ZL34rocblas_syrkx_herkx_general_kernelIi19rocblas_complex_numIdELi16ELi32ELi8ELb1ELb0ELc78ELc85EKS1_S1_EviT_T0_PT8_S3_lS6_S3_lS4_PT9_S3_li.kd
    .uniform_work_group_size: 1
    .uses_dynamic_stack: false
    .vgpr_count:     119
    .vgpr_spill_count: 0
    .wavefront_size: 32
    .workgroup_processor_mode: 1
  - .args:
      - .offset:         0
        .size:           4
        .value_kind:     by_value
      - .offset:         4
        .size:           4
        .value_kind:     by_value
      - .offset:         8
        .size:           16
        .value_kind:     by_value
      - .address_space:  global
        .offset:         24
        .size:           8
        .value_kind:     global_buffer
      - .offset:         32
        .size:           4
        .value_kind:     by_value
      - .offset:         40
        .size:           8
        .value_kind:     by_value
      - .address_space:  global
        .offset:         48
        .size:           8
        .value_kind:     global_buffer
      - .offset:         56
        .size:           4
        .value_kind:     by_value
      - .offset:         64
        .size:           8
        .value_kind:     by_value
      - .offset:         72
        .size:           16
        .value_kind:     by_value
      - .address_space:  global
        .offset:         88
        .size:           8
        .value_kind:     global_buffer
      - .offset:         96
        .size:           4
        .value_kind:     by_value
      - .offset:         104
        .size:           8
        .value_kind:     by_value
      - .offset:         112
        .size:           4
        .value_kind:     by_value
    .group_segment_fixed_size: 8192
    .kernarg_segment_align: 8
    .kernarg_segment_size: 116
    .language:       OpenCL C
    .language_version:
      - 2
      - 0
    .max_flat_workgroup_size: 256
    .name:           _ZL34rocblas_syrkx_herkx_general_kernelIi19rocblas_complex_numIdELi16ELi32ELi8ELb0ELb0ELc84ELc76EKS1_S1_EviT_T0_PT8_S3_lS6_S3_lS4_PT9_S3_li
    .private_segment_fixed_size: 0
    .sgpr_count:     31
    .sgpr_spill_count: 0
    .symbol:         _ZL34rocblas_syrkx_herkx_general_kernelIi19rocblas_complex_numIdELi16ELi32ELi8ELb0ELb0ELc84ELc76EKS1_S1_EviT_T0_PT8_S3_lS6_S3_lS4_PT9_S3_li.kd
    .uniform_work_group_size: 1
    .uses_dynamic_stack: false
    .vgpr_count:     56
    .vgpr_spill_count: 0
    .wavefront_size: 32
    .workgroup_processor_mode: 1
  - .args:
      - .offset:         0
        .size:           4
        .value_kind:     by_value
      - .offset:         4
        .size:           4
        .value_kind:     by_value
      - .offset:         8
        .size:           16
        .value_kind:     by_value
      - .address_space:  global
        .offset:         24
        .size:           8
        .value_kind:     global_buffer
      - .offset:         32
        .size:           4
        .value_kind:     by_value
      - .offset:         40
        .size:           8
        .value_kind:     by_value
      - .address_space:  global
        .offset:         48
        .size:           8
        .value_kind:     global_buffer
      - .offset:         56
        .size:           4
        .value_kind:     by_value
      - .offset:         64
        .size:           8
        .value_kind:     by_value
      - .offset:         72
        .size:           16
        .value_kind:     by_value
      - .address_space:  global
        .offset:         88
        .size:           8
        .value_kind:     global_buffer
      - .offset:         96
        .size:           4
        .value_kind:     by_value
      - .offset:         104
        .size:           8
        .value_kind:     by_value
      - .offset:         112
        .size:           4
        .value_kind:     by_value
    .group_segment_fixed_size: 8192
    .kernarg_segment_align: 8
    .kernarg_segment_size: 116
    .language:       OpenCL C
    .language_version:
      - 2
      - 0
    .max_flat_workgroup_size: 256
    .name:           _ZL34rocblas_syrkx_herkx_general_kernelIi19rocblas_complex_numIdELi16ELi32ELi8ELb0ELb0ELc67ELc76EKS1_S1_EviT_T0_PT8_S3_lS6_S3_lS4_PT9_S3_li
    .private_segment_fixed_size: 0
    .sgpr_count:     31
    .sgpr_spill_count: 0
    .symbol:         _ZL34rocblas_syrkx_herkx_general_kernelIi19rocblas_complex_numIdELi16ELi32ELi8ELb0ELb0ELc67ELc76EKS1_S1_EviT_T0_PT8_S3_lS6_S3_lS4_PT9_S3_li.kd
    .uniform_work_group_size: 1
    .uses_dynamic_stack: false
    .vgpr_count:     121
    .vgpr_spill_count: 0
    .wavefront_size: 32
    .workgroup_processor_mode: 1
  - .args:
      - .offset:         0
        .size:           4
        .value_kind:     by_value
      - .offset:         4
        .size:           4
        .value_kind:     by_value
      - .offset:         8
        .size:           16
        .value_kind:     by_value
      - .address_space:  global
        .offset:         24
        .size:           8
        .value_kind:     global_buffer
      - .offset:         32
        .size:           4
        .value_kind:     by_value
      - .offset:         40
        .size:           8
        .value_kind:     by_value
      - .address_space:  global
        .offset:         48
        .size:           8
        .value_kind:     global_buffer
      - .offset:         56
        .size:           4
        .value_kind:     by_value
      - .offset:         64
        .size:           8
        .value_kind:     by_value
      - .offset:         72
        .size:           16
        .value_kind:     by_value
      - .address_space:  global
        .offset:         88
        .size:           8
        .value_kind:     global_buffer
      - .offset:         96
        .size:           4
        .value_kind:     by_value
      - .offset:         104
        .size:           8
        .value_kind:     by_value
      - .offset:         112
        .size:           4
        .value_kind:     by_value
    .group_segment_fixed_size: 8192
    .kernarg_segment_align: 8
    .kernarg_segment_size: 116
    .language:       OpenCL C
    .language_version:
      - 2
      - 0
    .max_flat_workgroup_size: 256
    .name:           _ZL34rocblas_syrkx_herkx_general_kernelIi19rocblas_complex_numIdELi16ELi32ELi8ELb0ELb0ELc78ELc76EKS1_S1_EviT_T0_PT8_S3_lS6_S3_lS4_PT9_S3_li
    .private_segment_fixed_size: 0
    .sgpr_count:     34
    .sgpr_spill_count: 0
    .symbol:         _ZL34rocblas_syrkx_herkx_general_kernelIi19rocblas_complex_numIdELi16ELi32ELi8ELb0ELb0ELc78ELc76EKS1_S1_EviT_T0_PT8_S3_lS6_S3_lS4_PT9_S3_li.kd
    .uniform_work_group_size: 1
    .uses_dynamic_stack: false
    .vgpr_count:     119
    .vgpr_spill_count: 0
    .wavefront_size: 32
    .workgroup_processor_mode: 1
  - .args:
      - .offset:         0
        .size:           4
        .value_kind:     by_value
      - .offset:         4
        .size:           4
        .value_kind:     by_value
      - .offset:         8
        .size:           16
        .value_kind:     by_value
      - .address_space:  global
        .offset:         24
        .size:           8
        .value_kind:     global_buffer
      - .offset:         32
        .size:           4
        .value_kind:     by_value
      - .offset:         40
        .size:           8
        .value_kind:     by_value
      - .address_space:  global
        .offset:         48
        .size:           8
        .value_kind:     global_buffer
      - .offset:         56
        .size:           4
        .value_kind:     by_value
      - .offset:         64
        .size:           8
        .value_kind:     by_value
      - .offset:         72
        .size:           16
        .value_kind:     by_value
      - .address_space:  global
        .offset:         88
        .size:           8
        .value_kind:     global_buffer
      - .offset:         96
        .size:           4
        .value_kind:     by_value
      - .offset:         104
        .size:           8
        .value_kind:     by_value
      - .offset:         112
        .size:           4
        .value_kind:     by_value
    .group_segment_fixed_size: 8192
    .kernarg_segment_align: 8
    .kernarg_segment_size: 116
    .language:       OpenCL C
    .language_version:
      - 2
      - 0
    .max_flat_workgroup_size: 256
    .name:           _ZL34rocblas_syrkx_herkx_general_kernelIi19rocblas_complex_numIdELi16ELi32ELi8ELb0ELb0ELc84ELc85EKS1_S1_EviT_T0_PT8_S3_lS6_S3_lS4_PT9_S3_li
    .private_segment_fixed_size: 0
    .sgpr_count:     31
    .sgpr_spill_count: 0
    .symbol:         _ZL34rocblas_syrkx_herkx_general_kernelIi19rocblas_complex_numIdELi16ELi32ELi8ELb0ELb0ELc84ELc85EKS1_S1_EviT_T0_PT8_S3_lS6_S3_lS4_PT9_S3_li.kd
    .uniform_work_group_size: 1
    .uses_dynamic_stack: false
    .vgpr_count:     56
    .vgpr_spill_count: 0
    .wavefront_size: 32
    .workgroup_processor_mode: 1
  - .args:
      - .offset:         0
        .size:           4
        .value_kind:     by_value
      - .offset:         4
        .size:           4
        .value_kind:     by_value
      - .offset:         8
        .size:           16
        .value_kind:     by_value
      - .address_space:  global
        .offset:         24
        .size:           8
        .value_kind:     global_buffer
      - .offset:         32
        .size:           4
        .value_kind:     by_value
      - .offset:         40
        .size:           8
        .value_kind:     by_value
      - .address_space:  global
        .offset:         48
        .size:           8
        .value_kind:     global_buffer
      - .offset:         56
        .size:           4
        .value_kind:     by_value
      - .offset:         64
        .size:           8
        .value_kind:     by_value
      - .offset:         72
        .size:           16
        .value_kind:     by_value
      - .address_space:  global
        .offset:         88
        .size:           8
        .value_kind:     global_buffer
      - .offset:         96
        .size:           4
        .value_kind:     by_value
      - .offset:         104
        .size:           8
        .value_kind:     by_value
      - .offset:         112
        .size:           4
        .value_kind:     by_value
    .group_segment_fixed_size: 8192
    .kernarg_segment_align: 8
    .kernarg_segment_size: 116
    .language:       OpenCL C
    .language_version:
      - 2
      - 0
    .max_flat_workgroup_size: 256
    .name:           _ZL34rocblas_syrkx_herkx_general_kernelIi19rocblas_complex_numIdELi16ELi32ELi8ELb0ELb0ELc67ELc85EKS1_S1_EviT_T0_PT8_S3_lS6_S3_lS4_PT9_S3_li
    .private_segment_fixed_size: 0
    .sgpr_count:     31
    .sgpr_spill_count: 0
    .symbol:         _ZL34rocblas_syrkx_herkx_general_kernelIi19rocblas_complex_numIdELi16ELi32ELi8ELb0ELb0ELc67ELc85EKS1_S1_EviT_T0_PT8_S3_lS6_S3_lS4_PT9_S3_li.kd
    .uniform_work_group_size: 1
    .uses_dynamic_stack: false
    .vgpr_count:     121
    .vgpr_spill_count: 0
    .wavefront_size: 32
    .workgroup_processor_mode: 1
  - .args:
      - .offset:         0
        .size:           4
        .value_kind:     by_value
      - .offset:         4
        .size:           4
        .value_kind:     by_value
      - .offset:         8
        .size:           16
        .value_kind:     by_value
      - .address_space:  global
        .offset:         24
        .size:           8
        .value_kind:     global_buffer
      - .offset:         32
        .size:           4
        .value_kind:     by_value
      - .offset:         40
        .size:           8
        .value_kind:     by_value
      - .address_space:  global
        .offset:         48
        .size:           8
        .value_kind:     global_buffer
      - .offset:         56
        .size:           4
        .value_kind:     by_value
      - .offset:         64
        .size:           8
        .value_kind:     by_value
      - .offset:         72
        .size:           16
        .value_kind:     by_value
      - .address_space:  global
        .offset:         88
        .size:           8
        .value_kind:     global_buffer
      - .offset:         96
        .size:           4
        .value_kind:     by_value
      - .offset:         104
        .size:           8
        .value_kind:     by_value
      - .offset:         112
        .size:           4
        .value_kind:     by_value
    .group_segment_fixed_size: 8192
    .kernarg_segment_align: 8
    .kernarg_segment_size: 116
    .language:       OpenCL C
    .language_version:
      - 2
      - 0
    .max_flat_workgroup_size: 256
    .name:           _ZL34rocblas_syrkx_herkx_general_kernelIi19rocblas_complex_numIdELi16ELi32ELi8ELb0ELb0ELc78ELc85EKS1_S1_EviT_T0_PT8_S3_lS6_S3_lS4_PT9_S3_li
    .private_segment_fixed_size: 0
    .sgpr_count:     34
    .sgpr_spill_count: 0
    .symbol:         _ZL34rocblas_syrkx_herkx_general_kernelIi19rocblas_complex_numIdELi16ELi32ELi8ELb0ELb0ELc78ELc85EKS1_S1_EviT_T0_PT8_S3_lS6_S3_lS4_PT9_S3_li.kd
    .uniform_work_group_size: 1
    .uses_dynamic_stack: false
    .vgpr_count:     119
    .vgpr_spill_count: 0
    .wavefront_size: 32
    .workgroup_processor_mode: 1
  - .args:
      - .offset:         0
        .size:           1
        .value_kind:     by_value
      - .offset:         4
        .size:           4
        .value_kind:     by_value
      - .offset:         8
        .size:           4
        .value_kind:     by_value
      - .offset:         16
        .size:           16
        .value_kind:     by_value
      - .offset:         32
        .size:           16
        .value_kind:     by_value
      - .address_space:  global
        .offset:         48
        .size:           8
        .value_kind:     global_buffer
      - .offset:         56
        .size:           4
        .value_kind:     by_value
      - .offset:         64
        .size:           8
        .value_kind:     by_value
      - .offset:         72
        .size:           4
        .value_kind:     by_value
      - .offset:         80
        .size:           4
        .value_kind:     hidden_block_count_x
      - .offset:         84
        .size:           4
        .value_kind:     hidden_block_count_y
      - .offset:         88
        .size:           4
        .value_kind:     hidden_block_count_z
      - .offset:         92
        .size:           2
        .value_kind:     hidden_group_size_x
      - .offset:         94
        .size:           2
        .value_kind:     hidden_group_size_y
      - .offset:         96
        .size:           2
        .value_kind:     hidden_group_size_z
      - .offset:         98
        .size:           2
        .value_kind:     hidden_remainder_x
      - .offset:         100
        .size:           2
        .value_kind:     hidden_remainder_y
      - .offset:         102
        .size:           2
        .value_kind:     hidden_remainder_z
      - .offset:         120
        .size:           8
        .value_kind:     hidden_global_offset_x
      - .offset:         128
        .size:           8
        .value_kind:     hidden_global_offset_y
      - .offset:         136
        .size:           8
        .value_kind:     hidden_global_offset_z
      - .offset:         144
        .size:           2
        .value_kind:     hidden_grid_dims
    .group_segment_fixed_size: 0
    .kernarg_segment_align: 8
    .kernarg_segment_size: 336
    .language:       OpenCL C
    .language_version:
      - 2
      - 0
    .max_flat_workgroup_size: 1024
    .name:           _ZL26rocblas_syr2k_scale_kernelIiLi128ELi8ELb0E19rocblas_complex_numIdES1_PS1_EvbiT_T3_T4_T5_S3_li
    .private_segment_fixed_size: 0
    .sgpr_count:     18
    .sgpr_spill_count: 0
    .symbol:         _ZL26rocblas_syr2k_scale_kernelIiLi128ELi8ELb0E19rocblas_complex_numIdES1_PS1_EvbiT_T3_T4_T5_S3_li.kd
    .uniform_work_group_size: 1
    .uses_dynamic_stack: false
    .vgpr_count:     10
    .vgpr_spill_count: 0
    .wavefront_size: 32
    .workgroup_processor_mode: 1
  - .args:
      - .offset:         0
        .size:           1
        .value_kind:     by_value
      - .offset:         4
        .size:           4
        .value_kind:     by_value
      - .offset:         8
        .size:           4
        .value_kind:     by_value
      - .address_space:  global
        .offset:         16
        .size:           8
        .value_kind:     global_buffer
      - .address_space:  global
        .offset:         24
        .size:           8
        .value_kind:     global_buffer
      - .offset:         32
        .size:           4
        .value_kind:     by_value
      - .offset:         40
        .size:           8
        .value_kind:     by_value
      - .address_space:  global
        .offset:         48
        .size:           8
        .value_kind:     global_buffer
      - .offset:         56
        .size:           4
        .value_kind:     by_value
      - .offset:         64
        .size:           8
        .value_kind:     by_value
      - .address_space:  global
        .offset:         72
        .size:           8
        .value_kind:     global_buffer
      - .offset:         80
        .size:           4
        .value_kind:     by_value
      - .offset:         88
        .size:           8
        .value_kind:     by_value
      - .offset:         96
        .size:           4
        .value_kind:     by_value
    .group_segment_fixed_size: 32768
    .kernarg_segment_align: 8
    .kernarg_segment_size: 100
    .language:       OpenCL C
    .language_version:
      - 2
      - 0
    .max_flat_workgroup_size: 1024
    .name:           _ZL26rocblas_syr2k_her2k_kernelIiLb0ELb0ELb0ELi32EPK19rocblas_complex_numIdES3_PS1_EvbiT_T4_T5_S5_lS7_S5_lT6_S5_li
    .private_segment_fixed_size: 0
    .sgpr_count:     30
    .sgpr_spill_count: 0
    .symbol:         _ZL26rocblas_syr2k_her2k_kernelIiLb0ELb0ELb0ELi32EPK19rocblas_complex_numIdES3_PS1_EvbiT_T4_T5_S5_lS7_S5_lT6_S5_li.kd
    .uniform_work_group_size: 1
    .uses_dynamic_stack: false
    .vgpr_count:     52
    .vgpr_spill_count: 0
    .wavefront_size: 32
    .workgroup_processor_mode: 1
  - .args:
      - .offset:         0
        .size:           1
        .value_kind:     by_value
      - .offset:         4
        .size:           4
        .value_kind:     by_value
      - .offset:         8
        .size:           4
        .value_kind:     by_value
      - .address_space:  global
        .offset:         16
        .size:           8
        .value_kind:     global_buffer
      - .address_space:  global
        .offset:         24
        .size:           8
        .value_kind:     global_buffer
      - .offset:         32
        .size:           4
        .value_kind:     by_value
      - .offset:         40
        .size:           8
        .value_kind:     by_value
      - .address_space:  global
        .offset:         48
        .size:           8
        .value_kind:     global_buffer
      - .offset:         56
        .size:           4
        .value_kind:     by_value
      - .offset:         64
        .size:           8
        .value_kind:     by_value
      - .address_space:  global
        .offset:         72
        .size:           8
        .value_kind:     global_buffer
      - .offset:         80
        .size:           4
        .value_kind:     by_value
      - .offset:         88
        .size:           8
        .value_kind:     by_value
      - .offset:         96
        .size:           4
        .value_kind:     by_value
    .group_segment_fixed_size: 32768
    .kernarg_segment_align: 8
    .kernarg_segment_size: 100
    .language:       OpenCL C
    .language_version:
      - 2
      - 0
    .max_flat_workgroup_size: 1024
    .name:           _ZL26rocblas_syr2k_her2k_kernelIiLb0ELb0ELb1ELi32EPK19rocblas_complex_numIdES3_PS1_EvbiT_T4_T5_S5_lS7_S5_lT6_S5_li
    .private_segment_fixed_size: 0
    .sgpr_count:     30
    .sgpr_spill_count: 0
    .symbol:         _ZL26rocblas_syr2k_her2k_kernelIiLb0ELb0ELb1ELi32EPK19rocblas_complex_numIdES3_PS1_EvbiT_T4_T5_S5_lS7_S5_lT6_S5_li.kd
    .uniform_work_group_size: 1
    .uses_dynamic_stack: false
    .vgpr_count:     52
    .vgpr_spill_count: 0
    .wavefront_size: 32
    .workgroup_processor_mode: 1
  - .args:
      - .offset:         0
        .size:           1
        .value_kind:     by_value
      - .offset:         4
        .size:           4
        .value_kind:     by_value
      - .offset:         8
        .size:           4
        .value_kind:     by_value
      - .offset:         12
        .size:           8
        .value_kind:     by_value
      - .address_space:  global
        .offset:         24
        .size:           8
        .value_kind:     global_buffer
      - .offset:         32
        .size:           4
        .value_kind:     by_value
      - .offset:         40
        .size:           8
        .value_kind:     by_value
      - .address_space:  global
        .offset:         48
        .size:           8
        .value_kind:     global_buffer
      - .offset:         56
        .size:           4
        .value_kind:     by_value
      - .offset:         64
        .size:           8
        .value_kind:     by_value
      - .address_space:  global
        .offset:         72
        .size:           8
        .value_kind:     global_buffer
      - .offset:         80
        .size:           4
        .value_kind:     by_value
      - .offset:         88
        .size:           8
        .value_kind:     by_value
      - .offset:         96
        .size:           4
        .value_kind:     by_value
    .group_segment_fixed_size: 16384
    .kernarg_segment_align: 8
    .kernarg_segment_size: 100
    .language:       OpenCL C
    .language_version:
      - 2
      - 0
    .max_flat_workgroup_size: 1024
    .name:           _ZL26rocblas_syr2k_her2k_kernelIiLb0ELb1ELb0ELi32E19rocblas_complex_numIfEPKS1_PS1_EvbiT_T4_T5_S5_lS7_S5_lT6_S5_li
    .private_segment_fixed_size: 0
    .sgpr_count:     24
    .sgpr_spill_count: 0
    .symbol:         _ZL26rocblas_syr2k_her2k_kernelIiLb0ELb1ELb0ELi32E19rocblas_complex_numIfEPKS1_PS1_EvbiT_T4_T5_S5_lS7_S5_lT6_S5_li.kd
    .uniform_work_group_size: 1
    .uses_dynamic_stack: false
    .vgpr_count:     39
    .vgpr_spill_count: 0
    .wavefront_size: 32
    .workgroup_processor_mode: 1
  - .args:
      - .offset:         0
        .size:           1
        .value_kind:     by_value
      - .offset:         4
        .size:           4
        .value_kind:     by_value
      - .offset:         8
        .size:           4
        .value_kind:     by_value
      - .offset:         12
        .size:           8
        .value_kind:     by_value
      - .address_space:  global
        .offset:         24
        .size:           8
        .value_kind:     global_buffer
      - .offset:         32
        .size:           4
        .value_kind:     by_value
      - .offset:         40
        .size:           8
        .value_kind:     by_value
      - .address_space:  global
        .offset:         48
        .size:           8
        .value_kind:     global_buffer
      - .offset:         56
        .size:           4
        .value_kind:     by_value
      - .offset:         64
        .size:           8
        .value_kind:     by_value
      - .address_space:  global
        .offset:         72
        .size:           8
        .value_kind:     global_buffer
      - .offset:         80
        .size:           4
        .value_kind:     by_value
      - .offset:         88
        .size:           8
        .value_kind:     by_value
      - .offset:         96
        .size:           4
        .value_kind:     by_value
    .group_segment_fixed_size: 16384
    .kernarg_segment_align: 8
    .kernarg_segment_size: 100
    .language:       OpenCL C
    .language_version:
      - 2
      - 0
    .max_flat_workgroup_size: 1024
    .name:           _ZL26rocblas_syr2k_her2k_kernelIiLb0ELb1ELb1ELi32E19rocblas_complex_numIfEPKS1_PS1_EvbiT_T4_T5_S5_lS7_S5_lT6_S5_li
    .private_segment_fixed_size: 0
    .sgpr_count:     23
    .sgpr_spill_count: 0
    .symbol:         _ZL26rocblas_syr2k_her2k_kernelIiLb0ELb1ELb1ELi32E19rocblas_complex_numIfEPKS1_PS1_EvbiT_T4_T5_S5_lS7_S5_lT6_S5_li.kd
    .uniform_work_group_size: 1
    .uses_dynamic_stack: false
    .vgpr_count:     40
    .vgpr_spill_count: 0
    .wavefront_size: 32
    .workgroup_processor_mode: 1
  - .args:
      - .offset:         0
        .size:           4
        .value_kind:     by_value
      - .offset:         4
        .size:           4
        .value_kind:     by_value
      - .address_space:  global
        .offset:         8
        .size:           8
        .value_kind:     global_buffer
      - .offset:         16
        .size:           4
        .value_kind:     by_value
      - .offset:         24
        .size:           8
        .value_kind:     by_value
      - .address_space:  global
        .offset:         32
        .size:           8
        .value_kind:     global_buffer
      - .offset:         40
        .size:           4
        .value_kind:     by_value
      - .offset:         48
        .size:           8
        .value_kind:     by_value
      - .address_space:  global
        .offset:         56
        .size:           8
        .value_kind:     global_buffer
      - .offset:         64
        .size:           4
        .value_kind:     by_value
      - .offset:         72
        .size:           8
        .value_kind:     by_value
      - .offset:         80
        .size:           4
        .value_kind:     by_value
    .group_segment_fixed_size: 4096
    .kernarg_segment_align: 8
    .kernarg_segment_size: 84
    .language:       OpenCL C
    .language_version:
      - 2
      - 0
    .max_flat_workgroup_size: 256
    .name:           _ZL37rocblas_syrkx_herkx_restricted_kernelIi19rocblas_complex_numIfELi16ELi32ELi8ELi1ELi1ELb1ELc84ELc76EKS1_S1_EviT_PT9_S3_lS5_S3_lPT10_S3_li
    .private_segment_fixed_size: 0
    .sgpr_count:     22
    .sgpr_spill_count: 0
    .symbol:         _ZL37rocblas_syrkx_herkx_restricted_kernelIi19rocblas_complex_numIfELi16ELi32ELi8ELi1ELi1ELb1ELc84ELc76EKS1_S1_EviT_PT9_S3_lS5_S3_lPT10_S3_li.kd
    .uniform_work_group_size: 1
    .uses_dynamic_stack: false
    .vgpr_count:     91
    .vgpr_spill_count: 0
    .wavefront_size: 32
    .workgroup_processor_mode: 1
  - .args:
      - .offset:         0
        .size:           4
        .value_kind:     by_value
      - .offset:         4
        .size:           4
        .value_kind:     by_value
      - .address_space:  global
        .offset:         8
        .size:           8
        .value_kind:     global_buffer
      - .offset:         16
        .size:           4
        .value_kind:     by_value
      - .offset:         24
        .size:           8
        .value_kind:     by_value
      - .address_space:  global
        .offset:         32
        .size:           8
        .value_kind:     global_buffer
      - .offset:         40
        .size:           4
        .value_kind:     by_value
      - .offset:         48
        .size:           8
        .value_kind:     by_value
      - .address_space:  global
        .offset:         56
        .size:           8
        .value_kind:     global_buffer
      - .offset:         64
        .size:           4
        .value_kind:     by_value
      - .offset:         72
        .size:           8
        .value_kind:     by_value
      - .offset:         80
        .size:           4
        .value_kind:     by_value
    .group_segment_fixed_size: 4096
    .kernarg_segment_align: 8
    .kernarg_segment_size: 84
    .language:       OpenCL C
    .language_version:
      - 2
      - 0
    .max_flat_workgroup_size: 256
    .name:           _ZL37rocblas_syrkx_herkx_restricted_kernelIi19rocblas_complex_numIfELi16ELi32ELi8ELi1ELi1ELb1ELc67ELc76EKS1_S1_EviT_PT9_S3_lS5_S3_lPT10_S3_li
    .private_segment_fixed_size: 0
    .sgpr_count:     22
    .sgpr_spill_count: 0
    .symbol:         _ZL37rocblas_syrkx_herkx_restricted_kernelIi19rocblas_complex_numIfELi16ELi32ELi8ELi1ELi1ELb1ELc67ELc76EKS1_S1_EviT_PT9_S3_lS5_S3_lPT10_S3_li.kd
    .uniform_work_group_size: 1
    .uses_dynamic_stack: false
    .vgpr_count:     91
    .vgpr_spill_count: 0
    .wavefront_size: 32
    .workgroup_processor_mode: 1
  - .args:
      - .offset:         0
        .size:           4
        .value_kind:     by_value
      - .offset:         4
        .size:           4
        .value_kind:     by_value
      - .address_space:  global
        .offset:         8
        .size:           8
        .value_kind:     global_buffer
      - .offset:         16
        .size:           4
        .value_kind:     by_value
      - .offset:         24
        .size:           8
        .value_kind:     by_value
      - .address_space:  global
        .offset:         32
        .size:           8
        .value_kind:     global_buffer
      - .offset:         40
        .size:           4
        .value_kind:     by_value
      - .offset:         48
        .size:           8
        .value_kind:     by_value
      - .address_space:  global
        .offset:         56
        .size:           8
        .value_kind:     global_buffer
      - .offset:         64
        .size:           4
        .value_kind:     by_value
      - .offset:         72
        .size:           8
        .value_kind:     by_value
      - .offset:         80
        .size:           4
        .value_kind:     by_value
    .group_segment_fixed_size: 4096
    .kernarg_segment_align: 8
    .kernarg_segment_size: 84
    .language:       OpenCL C
    .language_version:
      - 2
      - 0
    .max_flat_workgroup_size: 256
    .name:           _ZL37rocblas_syrkx_herkx_restricted_kernelIi19rocblas_complex_numIfELi16ELi32ELi8ELi1ELi1ELb1ELc78ELc76EKS1_S1_EviT_PT9_S3_lS5_S3_lPT10_S3_li
    .private_segment_fixed_size: 0
    .sgpr_count:     25
    .sgpr_spill_count: 0
    .symbol:         _ZL37rocblas_syrkx_herkx_restricted_kernelIi19rocblas_complex_numIfELi16ELi32ELi8ELi1ELi1ELb1ELc78ELc76EKS1_S1_EviT_PT9_S3_lS5_S3_lPT10_S3_li.kd
    .uniform_work_group_size: 1
    .uses_dynamic_stack: false
    .vgpr_count:     92
    .vgpr_spill_count: 0
    .wavefront_size: 32
    .workgroup_processor_mode: 1
  - .args:
      - .offset:         0
        .size:           4
        .value_kind:     by_value
      - .offset:         4
        .size:           4
        .value_kind:     by_value
      - .address_space:  global
        .offset:         8
        .size:           8
        .value_kind:     global_buffer
      - .offset:         16
        .size:           4
        .value_kind:     by_value
      - .offset:         24
        .size:           8
        .value_kind:     by_value
      - .address_space:  global
        .offset:         32
        .size:           8
        .value_kind:     global_buffer
      - .offset:         40
        .size:           4
        .value_kind:     by_value
      - .offset:         48
        .size:           8
        .value_kind:     by_value
      - .address_space:  global
        .offset:         56
        .size:           8
        .value_kind:     global_buffer
      - .offset:         64
        .size:           4
        .value_kind:     by_value
      - .offset:         72
        .size:           8
        .value_kind:     by_value
      - .offset:         80
        .size:           4
        .value_kind:     by_value
    .group_segment_fixed_size: 4096
    .kernarg_segment_align: 8
    .kernarg_segment_size: 84
    .language:       OpenCL C
    .language_version:
      - 2
      - 0
    .max_flat_workgroup_size: 256
    .name:           _ZL37rocblas_syrkx_herkx_restricted_kernelIi19rocblas_complex_numIfELi16ELi32ELi8ELi1ELi1ELb1ELc84ELc85EKS1_S1_EviT_PT9_S3_lS5_S3_lPT10_S3_li
    .private_segment_fixed_size: 0
    .sgpr_count:     22
    .sgpr_spill_count: 0
    .symbol:         _ZL37rocblas_syrkx_herkx_restricted_kernelIi19rocblas_complex_numIfELi16ELi32ELi8ELi1ELi1ELb1ELc84ELc85EKS1_S1_EviT_PT9_S3_lS5_S3_lPT10_S3_li.kd
    .uniform_work_group_size: 1
    .uses_dynamic_stack: false
    .vgpr_count:     91
    .vgpr_spill_count: 0
    .wavefront_size: 32
    .workgroup_processor_mode: 1
  - .args:
      - .offset:         0
        .size:           4
        .value_kind:     by_value
      - .offset:         4
        .size:           4
        .value_kind:     by_value
      - .address_space:  global
        .offset:         8
        .size:           8
        .value_kind:     global_buffer
      - .offset:         16
        .size:           4
        .value_kind:     by_value
      - .offset:         24
        .size:           8
        .value_kind:     by_value
      - .address_space:  global
        .offset:         32
        .size:           8
        .value_kind:     global_buffer
      - .offset:         40
        .size:           4
        .value_kind:     by_value
      - .offset:         48
        .size:           8
        .value_kind:     by_value
      - .address_space:  global
        .offset:         56
        .size:           8
        .value_kind:     global_buffer
      - .offset:         64
        .size:           4
        .value_kind:     by_value
      - .offset:         72
        .size:           8
        .value_kind:     by_value
      - .offset:         80
        .size:           4
        .value_kind:     by_value
    .group_segment_fixed_size: 4096
    .kernarg_segment_align: 8
    .kernarg_segment_size: 84
    .language:       OpenCL C
    .language_version:
      - 2
      - 0
    .max_flat_workgroup_size: 256
    .name:           _ZL37rocblas_syrkx_herkx_restricted_kernelIi19rocblas_complex_numIfELi16ELi32ELi8ELi1ELi1ELb1ELc67ELc85EKS1_S1_EviT_PT9_S3_lS5_S3_lPT10_S3_li
    .private_segment_fixed_size: 0
    .sgpr_count:     22
    .sgpr_spill_count: 0
    .symbol:         _ZL37rocblas_syrkx_herkx_restricted_kernelIi19rocblas_complex_numIfELi16ELi32ELi8ELi1ELi1ELb1ELc67ELc85EKS1_S1_EviT_PT9_S3_lS5_S3_lPT10_S3_li.kd
    .uniform_work_group_size: 1
    .uses_dynamic_stack: false
    .vgpr_count:     91
    .vgpr_spill_count: 0
    .wavefront_size: 32
    .workgroup_processor_mode: 1
  - .args:
      - .offset:         0
        .size:           4
        .value_kind:     by_value
      - .offset:         4
        .size:           4
        .value_kind:     by_value
      - .address_space:  global
        .offset:         8
        .size:           8
        .value_kind:     global_buffer
      - .offset:         16
        .size:           4
        .value_kind:     by_value
      - .offset:         24
        .size:           8
        .value_kind:     by_value
      - .address_space:  global
        .offset:         32
        .size:           8
        .value_kind:     global_buffer
      - .offset:         40
        .size:           4
        .value_kind:     by_value
      - .offset:         48
        .size:           8
        .value_kind:     by_value
      - .address_space:  global
        .offset:         56
        .size:           8
        .value_kind:     global_buffer
      - .offset:         64
        .size:           4
        .value_kind:     by_value
      - .offset:         72
        .size:           8
        .value_kind:     by_value
      - .offset:         80
        .size:           4
        .value_kind:     by_value
    .group_segment_fixed_size: 4096
    .kernarg_segment_align: 8
    .kernarg_segment_size: 84
    .language:       OpenCL C
    .language_version:
      - 2
      - 0
    .max_flat_workgroup_size: 256
    .name:           _ZL37rocblas_syrkx_herkx_restricted_kernelIi19rocblas_complex_numIfELi16ELi32ELi8ELi1ELi1ELb1ELc78ELc85EKS1_S1_EviT_PT9_S3_lS5_S3_lPT10_S3_li
    .private_segment_fixed_size: 0
    .sgpr_count:     25
    .sgpr_spill_count: 0
    .symbol:         _ZL37rocblas_syrkx_herkx_restricted_kernelIi19rocblas_complex_numIfELi16ELi32ELi8ELi1ELi1ELb1ELc78ELc85EKS1_S1_EviT_PT9_S3_lS5_S3_lPT10_S3_li.kd
    .uniform_work_group_size: 1
    .uses_dynamic_stack: false
    .vgpr_count:     92
    .vgpr_spill_count: 0
    .wavefront_size: 32
    .workgroup_processor_mode: 1
  - .args:
      - .offset:         0
        .size:           4
        .value_kind:     by_value
      - .offset:         4
        .size:           4
        .value_kind:     by_value
      - .address_space:  global
        .offset:         8
        .size:           8
        .value_kind:     global_buffer
      - .offset:         16
        .size:           4
        .value_kind:     by_value
      - .offset:         24
        .size:           8
        .value_kind:     by_value
      - .address_space:  global
        .offset:         32
        .size:           8
        .value_kind:     global_buffer
      - .offset:         40
        .size:           4
        .value_kind:     by_value
      - .offset:         48
        .size:           8
        .value_kind:     by_value
      - .address_space:  global
        .offset:         56
        .size:           8
        .value_kind:     global_buffer
      - .offset:         64
        .size:           4
        .value_kind:     by_value
      - .offset:         72
        .size:           8
        .value_kind:     by_value
      - .offset:         80
        .size:           4
        .value_kind:     by_value
    .group_segment_fixed_size: 4096
    .kernarg_segment_align: 8
    .kernarg_segment_size: 84
    .language:       OpenCL C
    .language_version:
      - 2
      - 0
    .max_flat_workgroup_size: 256
    .name:           _ZL37rocblas_syrkx_herkx_restricted_kernelIi19rocblas_complex_numIfELi16ELi32ELi8ELi1ELin1ELb1ELc84ELc76EKS1_S1_EviT_PT9_S3_lS5_S3_lPT10_S3_li
    .private_segment_fixed_size: 0
    .sgpr_count:     22
    .sgpr_spill_count: 0
    .symbol:         _ZL37rocblas_syrkx_herkx_restricted_kernelIi19rocblas_complex_numIfELi16ELi32ELi8ELi1ELin1ELb1ELc84ELc76EKS1_S1_EviT_PT9_S3_lS5_S3_lPT10_S3_li.kd
    .uniform_work_group_size: 1
    .uses_dynamic_stack: false
    .vgpr_count:     91
    .vgpr_spill_count: 0
    .wavefront_size: 32
    .workgroup_processor_mode: 1
  - .args:
      - .offset:         0
        .size:           4
        .value_kind:     by_value
      - .offset:         4
        .size:           4
        .value_kind:     by_value
      - .address_space:  global
        .offset:         8
        .size:           8
        .value_kind:     global_buffer
      - .offset:         16
        .size:           4
        .value_kind:     by_value
      - .offset:         24
        .size:           8
        .value_kind:     by_value
      - .address_space:  global
        .offset:         32
        .size:           8
        .value_kind:     global_buffer
      - .offset:         40
        .size:           4
        .value_kind:     by_value
      - .offset:         48
        .size:           8
        .value_kind:     by_value
      - .address_space:  global
        .offset:         56
        .size:           8
        .value_kind:     global_buffer
      - .offset:         64
        .size:           4
        .value_kind:     by_value
      - .offset:         72
        .size:           8
        .value_kind:     by_value
      - .offset:         80
        .size:           4
        .value_kind:     by_value
    .group_segment_fixed_size: 4096
    .kernarg_segment_align: 8
    .kernarg_segment_size: 84
    .language:       OpenCL C
    .language_version:
      - 2
      - 0
    .max_flat_workgroup_size: 256
    .name:           _ZL37rocblas_syrkx_herkx_restricted_kernelIi19rocblas_complex_numIfELi16ELi32ELi8ELi1ELin1ELb1ELc67ELc76EKS1_S1_EviT_PT9_S3_lS5_S3_lPT10_S3_li
    .private_segment_fixed_size: 0
    .sgpr_count:     22
    .sgpr_spill_count: 0
    .symbol:         _ZL37rocblas_syrkx_herkx_restricted_kernelIi19rocblas_complex_numIfELi16ELi32ELi8ELi1ELin1ELb1ELc67ELc76EKS1_S1_EviT_PT9_S3_lS5_S3_lPT10_S3_li.kd
    .uniform_work_group_size: 1
    .uses_dynamic_stack: false
    .vgpr_count:     91
    .vgpr_spill_count: 0
    .wavefront_size: 32
    .workgroup_processor_mode: 1
  - .args:
      - .offset:         0
        .size:           4
        .value_kind:     by_value
      - .offset:         4
        .size:           4
        .value_kind:     by_value
      - .address_space:  global
        .offset:         8
        .size:           8
        .value_kind:     global_buffer
      - .offset:         16
        .size:           4
        .value_kind:     by_value
      - .offset:         24
        .size:           8
        .value_kind:     by_value
      - .address_space:  global
        .offset:         32
        .size:           8
        .value_kind:     global_buffer
      - .offset:         40
        .size:           4
        .value_kind:     by_value
      - .offset:         48
        .size:           8
        .value_kind:     by_value
      - .address_space:  global
        .offset:         56
        .size:           8
        .value_kind:     global_buffer
      - .offset:         64
        .size:           4
        .value_kind:     by_value
      - .offset:         72
        .size:           8
        .value_kind:     by_value
      - .offset:         80
        .size:           4
        .value_kind:     by_value
    .group_segment_fixed_size: 4096
    .kernarg_segment_align: 8
    .kernarg_segment_size: 84
    .language:       OpenCL C
    .language_version:
      - 2
      - 0
    .max_flat_workgroup_size: 256
    .name:           _ZL37rocblas_syrkx_herkx_restricted_kernelIi19rocblas_complex_numIfELi16ELi32ELi8ELi1ELin1ELb1ELc78ELc76EKS1_S1_EviT_PT9_S3_lS5_S3_lPT10_S3_li
    .private_segment_fixed_size: 0
    .sgpr_count:     25
    .sgpr_spill_count: 0
    .symbol:         _ZL37rocblas_syrkx_herkx_restricted_kernelIi19rocblas_complex_numIfELi16ELi32ELi8ELi1ELin1ELb1ELc78ELc76EKS1_S1_EviT_PT9_S3_lS5_S3_lPT10_S3_li.kd
    .uniform_work_group_size: 1
    .uses_dynamic_stack: false
    .vgpr_count:     92
    .vgpr_spill_count: 0
    .wavefront_size: 32
    .workgroup_processor_mode: 1
  - .args:
      - .offset:         0
        .size:           4
        .value_kind:     by_value
      - .offset:         4
        .size:           4
        .value_kind:     by_value
      - .address_space:  global
        .offset:         8
        .size:           8
        .value_kind:     global_buffer
      - .offset:         16
        .size:           4
        .value_kind:     by_value
      - .offset:         24
        .size:           8
        .value_kind:     by_value
      - .address_space:  global
        .offset:         32
        .size:           8
        .value_kind:     global_buffer
      - .offset:         40
        .size:           4
        .value_kind:     by_value
      - .offset:         48
        .size:           8
        .value_kind:     by_value
      - .address_space:  global
        .offset:         56
        .size:           8
        .value_kind:     global_buffer
      - .offset:         64
        .size:           4
        .value_kind:     by_value
      - .offset:         72
        .size:           8
        .value_kind:     by_value
      - .offset:         80
        .size:           4
        .value_kind:     by_value
    .group_segment_fixed_size: 4096
    .kernarg_segment_align: 8
    .kernarg_segment_size: 84
    .language:       OpenCL C
    .language_version:
      - 2
      - 0
    .max_flat_workgroup_size: 256
    .name:           _ZL37rocblas_syrkx_herkx_restricted_kernelIi19rocblas_complex_numIfELi16ELi32ELi8ELi1ELin1ELb1ELc84ELc85EKS1_S1_EviT_PT9_S3_lS5_S3_lPT10_S3_li
    .private_segment_fixed_size: 0
    .sgpr_count:     22
    .sgpr_spill_count: 0
    .symbol:         _ZL37rocblas_syrkx_herkx_restricted_kernelIi19rocblas_complex_numIfELi16ELi32ELi8ELi1ELin1ELb1ELc84ELc85EKS1_S1_EviT_PT9_S3_lS5_S3_lPT10_S3_li.kd
    .uniform_work_group_size: 1
    .uses_dynamic_stack: false
    .vgpr_count:     91
    .vgpr_spill_count: 0
    .wavefront_size: 32
    .workgroup_processor_mode: 1
  - .args:
      - .offset:         0
        .size:           4
        .value_kind:     by_value
      - .offset:         4
        .size:           4
        .value_kind:     by_value
      - .address_space:  global
        .offset:         8
        .size:           8
        .value_kind:     global_buffer
      - .offset:         16
        .size:           4
        .value_kind:     by_value
      - .offset:         24
        .size:           8
        .value_kind:     by_value
      - .address_space:  global
        .offset:         32
        .size:           8
        .value_kind:     global_buffer
      - .offset:         40
        .size:           4
        .value_kind:     by_value
      - .offset:         48
        .size:           8
        .value_kind:     by_value
      - .address_space:  global
        .offset:         56
        .size:           8
        .value_kind:     global_buffer
      - .offset:         64
        .size:           4
        .value_kind:     by_value
      - .offset:         72
        .size:           8
        .value_kind:     by_value
      - .offset:         80
        .size:           4
        .value_kind:     by_value
    .group_segment_fixed_size: 4096
    .kernarg_segment_align: 8
    .kernarg_segment_size: 84
    .language:       OpenCL C
    .language_version:
      - 2
      - 0
    .max_flat_workgroup_size: 256
    .name:           _ZL37rocblas_syrkx_herkx_restricted_kernelIi19rocblas_complex_numIfELi16ELi32ELi8ELi1ELin1ELb1ELc67ELc85EKS1_S1_EviT_PT9_S3_lS5_S3_lPT10_S3_li
    .private_segment_fixed_size: 0
    .sgpr_count:     22
    .sgpr_spill_count: 0
    .symbol:         _ZL37rocblas_syrkx_herkx_restricted_kernelIi19rocblas_complex_numIfELi16ELi32ELi8ELi1ELin1ELb1ELc67ELc85EKS1_S1_EviT_PT9_S3_lS5_S3_lPT10_S3_li.kd
    .uniform_work_group_size: 1
    .uses_dynamic_stack: false
    .vgpr_count:     91
    .vgpr_spill_count: 0
    .wavefront_size: 32
    .workgroup_processor_mode: 1
  - .args:
      - .offset:         0
        .size:           4
        .value_kind:     by_value
      - .offset:         4
        .size:           4
        .value_kind:     by_value
      - .address_space:  global
        .offset:         8
        .size:           8
        .value_kind:     global_buffer
      - .offset:         16
        .size:           4
        .value_kind:     by_value
      - .offset:         24
        .size:           8
        .value_kind:     by_value
      - .address_space:  global
        .offset:         32
        .size:           8
        .value_kind:     global_buffer
      - .offset:         40
        .size:           4
        .value_kind:     by_value
      - .offset:         48
        .size:           8
        .value_kind:     by_value
      - .address_space:  global
        .offset:         56
        .size:           8
        .value_kind:     global_buffer
      - .offset:         64
        .size:           4
        .value_kind:     by_value
      - .offset:         72
        .size:           8
        .value_kind:     by_value
      - .offset:         80
        .size:           4
        .value_kind:     by_value
    .group_segment_fixed_size: 4096
    .kernarg_segment_align: 8
    .kernarg_segment_size: 84
    .language:       OpenCL C
    .language_version:
      - 2
      - 0
    .max_flat_workgroup_size: 256
    .name:           _ZL37rocblas_syrkx_herkx_restricted_kernelIi19rocblas_complex_numIfELi16ELi32ELi8ELi1ELin1ELb1ELc78ELc85EKS1_S1_EviT_PT9_S3_lS5_S3_lPT10_S3_li
    .private_segment_fixed_size: 0
    .sgpr_count:     25
    .sgpr_spill_count: 0
    .symbol:         _ZL37rocblas_syrkx_herkx_restricted_kernelIi19rocblas_complex_numIfELi16ELi32ELi8ELi1ELin1ELb1ELc78ELc85EKS1_S1_EviT_PT9_S3_lS5_S3_lPT10_S3_li.kd
    .uniform_work_group_size: 1
    .uses_dynamic_stack: false
    .vgpr_count:     92
    .vgpr_spill_count: 0
    .wavefront_size: 32
    .workgroup_processor_mode: 1
  - .args:
      - .offset:         0
        .size:           4
        .value_kind:     by_value
      - .offset:         4
        .size:           4
        .value_kind:     by_value
      - .address_space:  global
        .offset:         8
        .size:           8
        .value_kind:     global_buffer
      - .offset:         16
        .size:           4
        .value_kind:     by_value
      - .offset:         24
        .size:           8
        .value_kind:     by_value
      - .address_space:  global
        .offset:         32
        .size:           8
        .value_kind:     global_buffer
      - .offset:         40
        .size:           4
        .value_kind:     by_value
      - .offset:         48
        .size:           8
        .value_kind:     by_value
      - .address_space:  global
        .offset:         56
        .size:           8
        .value_kind:     global_buffer
      - .offset:         64
        .size:           4
        .value_kind:     by_value
      - .offset:         72
        .size:           8
        .value_kind:     by_value
      - .offset:         80
        .size:           4
        .value_kind:     by_value
    .group_segment_fixed_size: 4096
    .kernarg_segment_align: 8
    .kernarg_segment_size: 84
    .language:       OpenCL C
    .language_version:
      - 2
      - 0
    .max_flat_workgroup_size: 256
    .name:           _ZL37rocblas_syrkx_herkx_restricted_kernelIi19rocblas_complex_numIfELi16ELi32ELi8ELi1ELi0ELb1ELc84ELc76EKS1_S1_EviT_PT9_S3_lS5_S3_lPT10_S3_li
    .private_segment_fixed_size: 0
    .sgpr_count:     22
    .sgpr_spill_count: 0
    .symbol:         _ZL37rocblas_syrkx_herkx_restricted_kernelIi19rocblas_complex_numIfELi16ELi32ELi8ELi1ELi0ELb1ELc84ELc76EKS1_S1_EviT_PT9_S3_lS5_S3_lPT10_S3_li.kd
    .uniform_work_group_size: 1
    .uses_dynamic_stack: false
    .vgpr_count:     88
    .vgpr_spill_count: 0
    .wavefront_size: 32
    .workgroup_processor_mode: 1
  - .args:
      - .offset:         0
        .size:           4
        .value_kind:     by_value
      - .offset:         4
        .size:           4
        .value_kind:     by_value
      - .address_space:  global
        .offset:         8
        .size:           8
        .value_kind:     global_buffer
      - .offset:         16
        .size:           4
        .value_kind:     by_value
      - .offset:         24
        .size:           8
        .value_kind:     by_value
      - .address_space:  global
        .offset:         32
        .size:           8
        .value_kind:     global_buffer
      - .offset:         40
        .size:           4
        .value_kind:     by_value
      - .offset:         48
        .size:           8
        .value_kind:     by_value
      - .address_space:  global
        .offset:         56
        .size:           8
        .value_kind:     global_buffer
      - .offset:         64
        .size:           4
        .value_kind:     by_value
      - .offset:         72
        .size:           8
        .value_kind:     by_value
      - .offset:         80
        .size:           4
        .value_kind:     by_value
    .group_segment_fixed_size: 4096
    .kernarg_segment_align: 8
    .kernarg_segment_size: 84
    .language:       OpenCL C
    .language_version:
      - 2
      - 0
    .max_flat_workgroup_size: 256
    .name:           _ZL37rocblas_syrkx_herkx_restricted_kernelIi19rocblas_complex_numIfELi16ELi32ELi8ELi1ELi0ELb1ELc67ELc76EKS1_S1_EviT_PT9_S3_lS5_S3_lPT10_S3_li
    .private_segment_fixed_size: 0
    .sgpr_count:     22
    .sgpr_spill_count: 0
    .symbol:         _ZL37rocblas_syrkx_herkx_restricted_kernelIi19rocblas_complex_numIfELi16ELi32ELi8ELi1ELi0ELb1ELc67ELc76EKS1_S1_EviT_PT9_S3_lS5_S3_lPT10_S3_li.kd
    .uniform_work_group_size: 1
    .uses_dynamic_stack: false
    .vgpr_count:     88
    .vgpr_spill_count: 0
    .wavefront_size: 32
    .workgroup_processor_mode: 1
  - .args:
      - .offset:         0
        .size:           4
        .value_kind:     by_value
      - .offset:         4
        .size:           4
        .value_kind:     by_value
      - .address_space:  global
        .offset:         8
        .size:           8
        .value_kind:     global_buffer
      - .offset:         16
        .size:           4
        .value_kind:     by_value
      - .offset:         24
        .size:           8
        .value_kind:     by_value
      - .address_space:  global
        .offset:         32
        .size:           8
        .value_kind:     global_buffer
      - .offset:         40
        .size:           4
        .value_kind:     by_value
      - .offset:         48
        .size:           8
        .value_kind:     by_value
      - .address_space:  global
        .offset:         56
        .size:           8
        .value_kind:     global_buffer
      - .offset:         64
        .size:           4
        .value_kind:     by_value
      - .offset:         72
        .size:           8
        .value_kind:     by_value
      - .offset:         80
        .size:           4
        .value_kind:     by_value
    .group_segment_fixed_size: 4096
    .kernarg_segment_align: 8
    .kernarg_segment_size: 84
    .language:       OpenCL C
    .language_version:
      - 2
      - 0
    .max_flat_workgroup_size: 256
    .name:           _ZL37rocblas_syrkx_herkx_restricted_kernelIi19rocblas_complex_numIfELi16ELi32ELi8ELi1ELi0ELb1ELc78ELc76EKS1_S1_EviT_PT9_S3_lS5_S3_lPT10_S3_li
    .private_segment_fixed_size: 0
    .sgpr_count:     25
    .sgpr_spill_count: 0
    .symbol:         _ZL37rocblas_syrkx_herkx_restricted_kernelIi19rocblas_complex_numIfELi16ELi32ELi8ELi1ELi0ELb1ELc78ELc76EKS1_S1_EviT_PT9_S3_lS5_S3_lPT10_S3_li.kd
    .uniform_work_group_size: 1
    .uses_dynamic_stack: false
    .vgpr_count:     88
    .vgpr_spill_count: 0
    .wavefront_size: 32
    .workgroup_processor_mode: 1
  - .args:
      - .offset:         0
        .size:           4
        .value_kind:     by_value
      - .offset:         4
        .size:           4
        .value_kind:     by_value
      - .address_space:  global
        .offset:         8
        .size:           8
        .value_kind:     global_buffer
      - .offset:         16
        .size:           4
        .value_kind:     by_value
      - .offset:         24
        .size:           8
        .value_kind:     by_value
      - .address_space:  global
        .offset:         32
        .size:           8
        .value_kind:     global_buffer
      - .offset:         40
        .size:           4
        .value_kind:     by_value
      - .offset:         48
        .size:           8
        .value_kind:     by_value
      - .address_space:  global
        .offset:         56
        .size:           8
        .value_kind:     global_buffer
      - .offset:         64
        .size:           4
        .value_kind:     by_value
      - .offset:         72
        .size:           8
        .value_kind:     by_value
      - .offset:         80
        .size:           4
        .value_kind:     by_value
    .group_segment_fixed_size: 4096
    .kernarg_segment_align: 8
    .kernarg_segment_size: 84
    .language:       OpenCL C
    .language_version:
      - 2
      - 0
    .max_flat_workgroup_size: 256
    .name:           _ZL37rocblas_syrkx_herkx_restricted_kernelIi19rocblas_complex_numIfELi16ELi32ELi8ELi1ELi0ELb1ELc84ELc85EKS1_S1_EviT_PT9_S3_lS5_S3_lPT10_S3_li
    .private_segment_fixed_size: 0
    .sgpr_count:     22
    .sgpr_spill_count: 0
    .symbol:         _ZL37rocblas_syrkx_herkx_restricted_kernelIi19rocblas_complex_numIfELi16ELi32ELi8ELi1ELi0ELb1ELc84ELc85EKS1_S1_EviT_PT9_S3_lS5_S3_lPT10_S3_li.kd
    .uniform_work_group_size: 1
    .uses_dynamic_stack: false
    .vgpr_count:     88
    .vgpr_spill_count: 0
    .wavefront_size: 32
    .workgroup_processor_mode: 1
  - .args:
      - .offset:         0
        .size:           4
        .value_kind:     by_value
      - .offset:         4
        .size:           4
        .value_kind:     by_value
      - .address_space:  global
        .offset:         8
        .size:           8
        .value_kind:     global_buffer
      - .offset:         16
        .size:           4
        .value_kind:     by_value
      - .offset:         24
        .size:           8
        .value_kind:     by_value
      - .address_space:  global
        .offset:         32
        .size:           8
        .value_kind:     global_buffer
      - .offset:         40
        .size:           4
        .value_kind:     by_value
      - .offset:         48
        .size:           8
        .value_kind:     by_value
      - .address_space:  global
        .offset:         56
        .size:           8
        .value_kind:     global_buffer
      - .offset:         64
        .size:           4
        .value_kind:     by_value
      - .offset:         72
        .size:           8
        .value_kind:     by_value
      - .offset:         80
        .size:           4
        .value_kind:     by_value
    .group_segment_fixed_size: 4096
    .kernarg_segment_align: 8
    .kernarg_segment_size: 84
    .language:       OpenCL C
    .language_version:
      - 2
      - 0
    .max_flat_workgroup_size: 256
    .name:           _ZL37rocblas_syrkx_herkx_restricted_kernelIi19rocblas_complex_numIfELi16ELi32ELi8ELi1ELi0ELb1ELc67ELc85EKS1_S1_EviT_PT9_S3_lS5_S3_lPT10_S3_li
    .private_segment_fixed_size: 0
    .sgpr_count:     22
    .sgpr_spill_count: 0
    .symbol:         _ZL37rocblas_syrkx_herkx_restricted_kernelIi19rocblas_complex_numIfELi16ELi32ELi8ELi1ELi0ELb1ELc67ELc85EKS1_S1_EviT_PT9_S3_lS5_S3_lPT10_S3_li.kd
    .uniform_work_group_size: 1
    .uses_dynamic_stack: false
    .vgpr_count:     88
    .vgpr_spill_count: 0
    .wavefront_size: 32
    .workgroup_processor_mode: 1
  - .args:
      - .offset:         0
        .size:           4
        .value_kind:     by_value
      - .offset:         4
        .size:           4
        .value_kind:     by_value
      - .address_space:  global
        .offset:         8
        .size:           8
        .value_kind:     global_buffer
      - .offset:         16
        .size:           4
        .value_kind:     by_value
      - .offset:         24
        .size:           8
        .value_kind:     by_value
      - .address_space:  global
        .offset:         32
        .size:           8
        .value_kind:     global_buffer
      - .offset:         40
        .size:           4
        .value_kind:     by_value
      - .offset:         48
        .size:           8
        .value_kind:     by_value
      - .address_space:  global
        .offset:         56
        .size:           8
        .value_kind:     global_buffer
      - .offset:         64
        .size:           4
        .value_kind:     by_value
      - .offset:         72
        .size:           8
        .value_kind:     by_value
      - .offset:         80
        .size:           4
        .value_kind:     by_value
    .group_segment_fixed_size: 4096
    .kernarg_segment_align: 8
    .kernarg_segment_size: 84
    .language:       OpenCL C
    .language_version:
      - 2
      - 0
    .max_flat_workgroup_size: 256
    .name:           _ZL37rocblas_syrkx_herkx_restricted_kernelIi19rocblas_complex_numIfELi16ELi32ELi8ELi1ELi0ELb1ELc78ELc85EKS1_S1_EviT_PT9_S3_lS5_S3_lPT10_S3_li
    .private_segment_fixed_size: 0
    .sgpr_count:     25
    .sgpr_spill_count: 0
    .symbol:         _ZL37rocblas_syrkx_herkx_restricted_kernelIi19rocblas_complex_numIfELi16ELi32ELi8ELi1ELi0ELb1ELc78ELc85EKS1_S1_EviT_PT9_S3_lS5_S3_lPT10_S3_li.kd
    .uniform_work_group_size: 1
    .uses_dynamic_stack: false
    .vgpr_count:     88
    .vgpr_spill_count: 0
    .wavefront_size: 32
    .workgroup_processor_mode: 1
  - .args:
      - .offset:         0
        .size:           4
        .value_kind:     by_value
      - .offset:         4
        .size:           4
        .value_kind:     by_value
      - .address_space:  global
        .offset:         8
        .size:           8
        .value_kind:     global_buffer
      - .offset:         16
        .size:           4
        .value_kind:     by_value
      - .offset:         24
        .size:           8
        .value_kind:     by_value
      - .address_space:  global
        .offset:         32
        .size:           8
        .value_kind:     global_buffer
      - .offset:         40
        .size:           4
        .value_kind:     by_value
      - .offset:         48
        .size:           8
        .value_kind:     by_value
      - .address_space:  global
        .offset:         56
        .size:           8
        .value_kind:     global_buffer
      - .offset:         64
        .size:           4
        .value_kind:     by_value
      - .offset:         72
        .size:           8
        .value_kind:     by_value
      - .offset:         80
        .size:           4
        .value_kind:     by_value
    .group_segment_fixed_size: 4096
    .kernarg_segment_align: 8
    .kernarg_segment_size: 84
    .language:       OpenCL C
    .language_version:
      - 2
      - 0
    .max_flat_workgroup_size: 256
    .name:           _ZL37rocblas_syrkx_herkx_restricted_kernelIi19rocblas_complex_numIfELi16ELi32ELi8ELin1ELi0ELb1ELc84ELc76EKS1_S1_EviT_PT9_S3_lS5_S3_lPT10_S3_li
    .private_segment_fixed_size: 0
    .sgpr_count:     22
    .sgpr_spill_count: 0
    .symbol:         _ZL37rocblas_syrkx_herkx_restricted_kernelIi19rocblas_complex_numIfELi16ELi32ELi8ELin1ELi0ELb1ELc84ELc76EKS1_S1_EviT_PT9_S3_lS5_S3_lPT10_S3_li.kd
    .uniform_work_group_size: 1
    .uses_dynamic_stack: false
    .vgpr_count:     91
    .vgpr_spill_count: 0
    .wavefront_size: 32
    .workgroup_processor_mode: 1
  - .args:
      - .offset:         0
        .size:           4
        .value_kind:     by_value
      - .offset:         4
        .size:           4
        .value_kind:     by_value
      - .address_space:  global
        .offset:         8
        .size:           8
        .value_kind:     global_buffer
      - .offset:         16
        .size:           4
        .value_kind:     by_value
      - .offset:         24
        .size:           8
        .value_kind:     by_value
      - .address_space:  global
        .offset:         32
        .size:           8
        .value_kind:     global_buffer
      - .offset:         40
        .size:           4
        .value_kind:     by_value
      - .offset:         48
        .size:           8
        .value_kind:     by_value
      - .address_space:  global
        .offset:         56
        .size:           8
        .value_kind:     global_buffer
      - .offset:         64
        .size:           4
        .value_kind:     by_value
      - .offset:         72
        .size:           8
        .value_kind:     by_value
      - .offset:         80
        .size:           4
        .value_kind:     by_value
    .group_segment_fixed_size: 4096
    .kernarg_segment_align: 8
    .kernarg_segment_size: 84
    .language:       OpenCL C
    .language_version:
      - 2
      - 0
    .max_flat_workgroup_size: 256
    .name:           _ZL37rocblas_syrkx_herkx_restricted_kernelIi19rocblas_complex_numIfELi16ELi32ELi8ELin1ELi0ELb1ELc67ELc76EKS1_S1_EviT_PT9_S3_lS5_S3_lPT10_S3_li
    .private_segment_fixed_size: 0
    .sgpr_count:     22
    .sgpr_spill_count: 0
    .symbol:         _ZL37rocblas_syrkx_herkx_restricted_kernelIi19rocblas_complex_numIfELi16ELi32ELi8ELin1ELi0ELb1ELc67ELc76EKS1_S1_EviT_PT9_S3_lS5_S3_lPT10_S3_li.kd
    .uniform_work_group_size: 1
    .uses_dynamic_stack: false
    .vgpr_count:     91
    .vgpr_spill_count: 0
    .wavefront_size: 32
    .workgroup_processor_mode: 1
  - .args:
      - .offset:         0
        .size:           4
        .value_kind:     by_value
      - .offset:         4
        .size:           4
        .value_kind:     by_value
      - .address_space:  global
        .offset:         8
        .size:           8
        .value_kind:     global_buffer
      - .offset:         16
        .size:           4
        .value_kind:     by_value
      - .offset:         24
        .size:           8
        .value_kind:     by_value
      - .address_space:  global
        .offset:         32
        .size:           8
        .value_kind:     global_buffer
      - .offset:         40
        .size:           4
        .value_kind:     by_value
      - .offset:         48
        .size:           8
        .value_kind:     by_value
      - .address_space:  global
        .offset:         56
        .size:           8
        .value_kind:     global_buffer
      - .offset:         64
        .size:           4
        .value_kind:     by_value
      - .offset:         72
        .size:           8
        .value_kind:     by_value
      - .offset:         80
        .size:           4
        .value_kind:     by_value
    .group_segment_fixed_size: 4096
    .kernarg_segment_align: 8
    .kernarg_segment_size: 84
    .language:       OpenCL C
    .language_version:
      - 2
      - 0
    .max_flat_workgroup_size: 256
    .name:           _ZL37rocblas_syrkx_herkx_restricted_kernelIi19rocblas_complex_numIfELi16ELi32ELi8ELin1ELi0ELb1ELc78ELc76EKS1_S1_EviT_PT9_S3_lS5_S3_lPT10_S3_li
    .private_segment_fixed_size: 0
    .sgpr_count:     25
    .sgpr_spill_count: 0
    .symbol:         _ZL37rocblas_syrkx_herkx_restricted_kernelIi19rocblas_complex_numIfELi16ELi32ELi8ELin1ELi0ELb1ELc78ELc76EKS1_S1_EviT_PT9_S3_lS5_S3_lPT10_S3_li.kd
    .uniform_work_group_size: 1
    .uses_dynamic_stack: false
    .vgpr_count:     92
    .vgpr_spill_count: 0
    .wavefront_size: 32
    .workgroup_processor_mode: 1
  - .args:
      - .offset:         0
        .size:           4
        .value_kind:     by_value
      - .offset:         4
        .size:           4
        .value_kind:     by_value
      - .address_space:  global
        .offset:         8
        .size:           8
        .value_kind:     global_buffer
      - .offset:         16
        .size:           4
        .value_kind:     by_value
      - .offset:         24
        .size:           8
        .value_kind:     by_value
      - .address_space:  global
        .offset:         32
        .size:           8
        .value_kind:     global_buffer
      - .offset:         40
        .size:           4
        .value_kind:     by_value
      - .offset:         48
        .size:           8
        .value_kind:     by_value
      - .address_space:  global
        .offset:         56
        .size:           8
        .value_kind:     global_buffer
      - .offset:         64
        .size:           4
        .value_kind:     by_value
      - .offset:         72
        .size:           8
        .value_kind:     by_value
      - .offset:         80
        .size:           4
        .value_kind:     by_value
    .group_segment_fixed_size: 4096
    .kernarg_segment_align: 8
    .kernarg_segment_size: 84
    .language:       OpenCL C
    .language_version:
      - 2
      - 0
    .max_flat_workgroup_size: 256
    .name:           _ZL37rocblas_syrkx_herkx_restricted_kernelIi19rocblas_complex_numIfELi16ELi32ELi8ELin1ELi0ELb1ELc84ELc85EKS1_S1_EviT_PT9_S3_lS5_S3_lPT10_S3_li
    .private_segment_fixed_size: 0
    .sgpr_count:     22
    .sgpr_spill_count: 0
    .symbol:         _ZL37rocblas_syrkx_herkx_restricted_kernelIi19rocblas_complex_numIfELi16ELi32ELi8ELin1ELi0ELb1ELc84ELc85EKS1_S1_EviT_PT9_S3_lS5_S3_lPT10_S3_li.kd
    .uniform_work_group_size: 1
    .uses_dynamic_stack: false
    .vgpr_count:     91
    .vgpr_spill_count: 0
    .wavefront_size: 32
    .workgroup_processor_mode: 1
  - .args:
      - .offset:         0
        .size:           4
        .value_kind:     by_value
      - .offset:         4
        .size:           4
        .value_kind:     by_value
      - .address_space:  global
        .offset:         8
        .size:           8
        .value_kind:     global_buffer
      - .offset:         16
        .size:           4
        .value_kind:     by_value
      - .offset:         24
        .size:           8
        .value_kind:     by_value
      - .address_space:  global
        .offset:         32
        .size:           8
        .value_kind:     global_buffer
      - .offset:         40
        .size:           4
        .value_kind:     by_value
      - .offset:         48
        .size:           8
        .value_kind:     by_value
      - .address_space:  global
        .offset:         56
        .size:           8
        .value_kind:     global_buffer
      - .offset:         64
        .size:           4
        .value_kind:     by_value
      - .offset:         72
        .size:           8
        .value_kind:     by_value
      - .offset:         80
        .size:           4
        .value_kind:     by_value
    .group_segment_fixed_size: 4096
    .kernarg_segment_align: 8
    .kernarg_segment_size: 84
    .language:       OpenCL C
    .language_version:
      - 2
      - 0
    .max_flat_workgroup_size: 256
    .name:           _ZL37rocblas_syrkx_herkx_restricted_kernelIi19rocblas_complex_numIfELi16ELi32ELi8ELin1ELi0ELb1ELc67ELc85EKS1_S1_EviT_PT9_S3_lS5_S3_lPT10_S3_li
    .private_segment_fixed_size: 0
    .sgpr_count:     22
    .sgpr_spill_count: 0
    .symbol:         _ZL37rocblas_syrkx_herkx_restricted_kernelIi19rocblas_complex_numIfELi16ELi32ELi8ELin1ELi0ELb1ELc67ELc85EKS1_S1_EviT_PT9_S3_lS5_S3_lPT10_S3_li.kd
    .uniform_work_group_size: 1
    .uses_dynamic_stack: false
    .vgpr_count:     91
    .vgpr_spill_count: 0
    .wavefront_size: 32
    .workgroup_processor_mode: 1
  - .args:
      - .offset:         0
        .size:           4
        .value_kind:     by_value
      - .offset:         4
        .size:           4
        .value_kind:     by_value
      - .address_space:  global
        .offset:         8
        .size:           8
        .value_kind:     global_buffer
      - .offset:         16
        .size:           4
        .value_kind:     by_value
      - .offset:         24
        .size:           8
        .value_kind:     by_value
      - .address_space:  global
        .offset:         32
        .size:           8
        .value_kind:     global_buffer
      - .offset:         40
        .size:           4
        .value_kind:     by_value
      - .offset:         48
        .size:           8
        .value_kind:     by_value
      - .address_space:  global
        .offset:         56
        .size:           8
        .value_kind:     global_buffer
      - .offset:         64
        .size:           4
        .value_kind:     by_value
      - .offset:         72
        .size:           8
        .value_kind:     by_value
      - .offset:         80
        .size:           4
        .value_kind:     by_value
    .group_segment_fixed_size: 4096
    .kernarg_segment_align: 8
    .kernarg_segment_size: 84
    .language:       OpenCL C
    .language_version:
      - 2
      - 0
    .max_flat_workgroup_size: 256
    .name:           _ZL37rocblas_syrkx_herkx_restricted_kernelIi19rocblas_complex_numIfELi16ELi32ELi8ELin1ELi0ELb1ELc78ELc85EKS1_S1_EviT_PT9_S3_lS5_S3_lPT10_S3_li
    .private_segment_fixed_size: 0
    .sgpr_count:     25
    .sgpr_spill_count: 0
    .symbol:         _ZL37rocblas_syrkx_herkx_restricted_kernelIi19rocblas_complex_numIfELi16ELi32ELi8ELin1ELi0ELb1ELc78ELc85EKS1_S1_EviT_PT9_S3_lS5_S3_lPT10_S3_li.kd
    .uniform_work_group_size: 1
    .uses_dynamic_stack: false
    .vgpr_count:     92
    .vgpr_spill_count: 0
    .wavefront_size: 32
    .workgroup_processor_mode: 1
  - .args:
      - .offset:         0
        .size:           4
        .value_kind:     by_value
      - .offset:         4
        .size:           4
        .value_kind:     by_value
      - .offset:         8
        .size:           8
        .value_kind:     by_value
      - .address_space:  global
        .offset:         16
        .size:           8
        .value_kind:     global_buffer
      - .offset:         24
        .size:           4
        .value_kind:     by_value
      - .offset:         32
        .size:           8
        .value_kind:     by_value
      - .address_space:  global
        .offset:         40
        .size:           8
        .value_kind:     global_buffer
      - .offset:         48
        .size:           4
        .value_kind:     by_value
      - .offset:         56
        .size:           8
        .value_kind:     by_value
      - .offset:         64
        .size:           8
        .value_kind:     by_value
      - .address_space:  global
        .offset:         72
        .size:           8
        .value_kind:     global_buffer
      - .offset:         80
        .size:           4
        .value_kind:     by_value
      - .offset:         88
        .size:           8
        .value_kind:     by_value
      - .offset:         96
        .size:           4
        .value_kind:     by_value
    .group_segment_fixed_size: 4096
    .kernarg_segment_align: 8
    .kernarg_segment_size: 100
    .language:       OpenCL C
    .language_version:
      - 2
      - 0
    .max_flat_workgroup_size: 256
    .name:           _ZL37rocblas_syrkx_herkx_restricted_kernelIi19rocblas_complex_numIfELi16ELi32ELi8ELb1ELb1ELc84ELc76EKS1_S1_EviT_T0_PT8_S3_lS6_S3_lS4_PT9_S3_li
    .private_segment_fixed_size: 0
    .sgpr_count:     22
    .sgpr_spill_count: 0
    .symbol:         _ZL37rocblas_syrkx_herkx_restricted_kernelIi19rocblas_complex_numIfELi16ELi32ELi8ELb1ELb1ELc84ELc76EKS1_S1_EviT_T0_PT8_S3_lS6_S3_lS4_PT9_S3_li.kd
    .uniform_work_group_size: 1
    .uses_dynamic_stack: false
    .vgpr_count:     91
    .vgpr_spill_count: 0
    .wavefront_size: 32
    .workgroup_processor_mode: 1
  - .args:
      - .offset:         0
        .size:           4
        .value_kind:     by_value
      - .offset:         4
        .size:           4
        .value_kind:     by_value
      - .offset:         8
        .size:           8
        .value_kind:     by_value
      - .address_space:  global
        .offset:         16
        .size:           8
        .value_kind:     global_buffer
      - .offset:         24
        .size:           4
        .value_kind:     by_value
      - .offset:         32
        .size:           8
        .value_kind:     by_value
      - .address_space:  global
        .offset:         40
        .size:           8
        .value_kind:     global_buffer
      - .offset:         48
        .size:           4
        .value_kind:     by_value
      - .offset:         56
        .size:           8
        .value_kind:     by_value
      - .offset:         64
        .size:           8
        .value_kind:     by_value
      - .address_space:  global
        .offset:         72
        .size:           8
        .value_kind:     global_buffer
      - .offset:         80
        .size:           4
        .value_kind:     by_value
      - .offset:         88
        .size:           8
        .value_kind:     by_value
      - .offset:         96
        .size:           4
        .value_kind:     by_value
    .group_segment_fixed_size: 4096
    .kernarg_segment_align: 8
    .kernarg_segment_size: 100
    .language:       OpenCL C
    .language_version:
      - 2
      - 0
    .max_flat_workgroup_size: 256
    .name:           _ZL37rocblas_syrkx_herkx_restricted_kernelIi19rocblas_complex_numIfELi16ELi32ELi8ELb1ELb1ELc67ELc76EKS1_S1_EviT_T0_PT8_S3_lS6_S3_lS4_PT9_S3_li
    .private_segment_fixed_size: 0
    .sgpr_count:     22
    .sgpr_spill_count: 0
    .symbol:         _ZL37rocblas_syrkx_herkx_restricted_kernelIi19rocblas_complex_numIfELi16ELi32ELi8ELb1ELb1ELc67ELc76EKS1_S1_EviT_T0_PT8_S3_lS6_S3_lS4_PT9_S3_li.kd
    .uniform_work_group_size: 1
    .uses_dynamic_stack: false
    .vgpr_count:     91
    .vgpr_spill_count: 0
    .wavefront_size: 32
    .workgroup_processor_mode: 1
  - .args:
      - .offset:         0
        .size:           4
        .value_kind:     by_value
      - .offset:         4
        .size:           4
        .value_kind:     by_value
      - .offset:         8
        .size:           8
        .value_kind:     by_value
      - .address_space:  global
        .offset:         16
        .size:           8
        .value_kind:     global_buffer
      - .offset:         24
        .size:           4
        .value_kind:     by_value
      - .offset:         32
        .size:           8
        .value_kind:     by_value
      - .address_space:  global
        .offset:         40
        .size:           8
        .value_kind:     global_buffer
      - .offset:         48
        .size:           4
        .value_kind:     by_value
      - .offset:         56
        .size:           8
        .value_kind:     by_value
      - .offset:         64
        .size:           8
        .value_kind:     by_value
      - .address_space:  global
        .offset:         72
        .size:           8
        .value_kind:     global_buffer
      - .offset:         80
        .size:           4
        .value_kind:     by_value
      - .offset:         88
        .size:           8
        .value_kind:     by_value
      - .offset:         96
        .size:           4
        .value_kind:     by_value
    .group_segment_fixed_size: 4096
    .kernarg_segment_align: 8
    .kernarg_segment_size: 100
    .language:       OpenCL C
    .language_version:
      - 2
      - 0
    .max_flat_workgroup_size: 256
    .name:           _ZL37rocblas_syrkx_herkx_restricted_kernelIi19rocblas_complex_numIfELi16ELi32ELi8ELb1ELb1ELc78ELc76EKS1_S1_EviT_T0_PT8_S3_lS6_S3_lS4_PT9_S3_li
    .private_segment_fixed_size: 0
    .sgpr_count:     25
    .sgpr_spill_count: 0
    .symbol:         _ZL37rocblas_syrkx_herkx_restricted_kernelIi19rocblas_complex_numIfELi16ELi32ELi8ELb1ELb1ELc78ELc76EKS1_S1_EviT_T0_PT8_S3_lS6_S3_lS4_PT9_S3_li.kd
    .uniform_work_group_size: 1
    .uses_dynamic_stack: false
    .vgpr_count:     92
    .vgpr_spill_count: 0
    .wavefront_size: 32
    .workgroup_processor_mode: 1
  - .args:
      - .offset:         0
        .size:           4
        .value_kind:     by_value
      - .offset:         4
        .size:           4
        .value_kind:     by_value
      - .offset:         8
        .size:           8
        .value_kind:     by_value
      - .address_space:  global
        .offset:         16
        .size:           8
        .value_kind:     global_buffer
      - .offset:         24
        .size:           4
        .value_kind:     by_value
      - .offset:         32
        .size:           8
        .value_kind:     by_value
      - .address_space:  global
        .offset:         40
        .size:           8
        .value_kind:     global_buffer
      - .offset:         48
        .size:           4
        .value_kind:     by_value
      - .offset:         56
        .size:           8
        .value_kind:     by_value
      - .offset:         64
        .size:           8
        .value_kind:     by_value
      - .address_space:  global
        .offset:         72
        .size:           8
        .value_kind:     global_buffer
      - .offset:         80
        .size:           4
        .value_kind:     by_value
      - .offset:         88
        .size:           8
        .value_kind:     by_value
      - .offset:         96
        .size:           4
        .value_kind:     by_value
    .group_segment_fixed_size: 4096
    .kernarg_segment_align: 8
    .kernarg_segment_size: 100
    .language:       OpenCL C
    .language_version:
      - 2
      - 0
    .max_flat_workgroup_size: 256
    .name:           _ZL37rocblas_syrkx_herkx_restricted_kernelIi19rocblas_complex_numIfELi16ELi32ELi8ELb1ELb1ELc84ELc85EKS1_S1_EviT_T0_PT8_S3_lS6_S3_lS4_PT9_S3_li
    .private_segment_fixed_size: 0
    .sgpr_count:     22
    .sgpr_spill_count: 0
    .symbol:         _ZL37rocblas_syrkx_herkx_restricted_kernelIi19rocblas_complex_numIfELi16ELi32ELi8ELb1ELb1ELc84ELc85EKS1_S1_EviT_T0_PT8_S3_lS6_S3_lS4_PT9_S3_li.kd
    .uniform_work_group_size: 1
    .uses_dynamic_stack: false
    .vgpr_count:     91
    .vgpr_spill_count: 0
    .wavefront_size: 32
    .workgroup_processor_mode: 1
  - .args:
      - .offset:         0
        .size:           4
        .value_kind:     by_value
      - .offset:         4
        .size:           4
        .value_kind:     by_value
      - .offset:         8
        .size:           8
        .value_kind:     by_value
      - .address_space:  global
        .offset:         16
        .size:           8
        .value_kind:     global_buffer
      - .offset:         24
        .size:           4
        .value_kind:     by_value
      - .offset:         32
        .size:           8
        .value_kind:     by_value
      - .address_space:  global
        .offset:         40
        .size:           8
        .value_kind:     global_buffer
      - .offset:         48
        .size:           4
        .value_kind:     by_value
      - .offset:         56
        .size:           8
        .value_kind:     by_value
      - .offset:         64
        .size:           8
        .value_kind:     by_value
      - .address_space:  global
        .offset:         72
        .size:           8
        .value_kind:     global_buffer
      - .offset:         80
        .size:           4
        .value_kind:     by_value
      - .offset:         88
        .size:           8
        .value_kind:     by_value
      - .offset:         96
        .size:           4
        .value_kind:     by_value
    .group_segment_fixed_size: 4096
    .kernarg_segment_align: 8
    .kernarg_segment_size: 100
    .language:       OpenCL C
    .language_version:
      - 2
      - 0
    .max_flat_workgroup_size: 256
    .name:           _ZL37rocblas_syrkx_herkx_restricted_kernelIi19rocblas_complex_numIfELi16ELi32ELi8ELb1ELb1ELc67ELc85EKS1_S1_EviT_T0_PT8_S3_lS6_S3_lS4_PT9_S3_li
    .private_segment_fixed_size: 0
    .sgpr_count:     22
    .sgpr_spill_count: 0
    .symbol:         _ZL37rocblas_syrkx_herkx_restricted_kernelIi19rocblas_complex_numIfELi16ELi32ELi8ELb1ELb1ELc67ELc85EKS1_S1_EviT_T0_PT8_S3_lS6_S3_lS4_PT9_S3_li.kd
    .uniform_work_group_size: 1
    .uses_dynamic_stack: false
    .vgpr_count:     91
    .vgpr_spill_count: 0
    .wavefront_size: 32
    .workgroup_processor_mode: 1
  - .args:
      - .offset:         0
        .size:           4
        .value_kind:     by_value
      - .offset:         4
        .size:           4
        .value_kind:     by_value
      - .offset:         8
        .size:           8
        .value_kind:     by_value
      - .address_space:  global
        .offset:         16
        .size:           8
        .value_kind:     global_buffer
      - .offset:         24
        .size:           4
        .value_kind:     by_value
      - .offset:         32
        .size:           8
        .value_kind:     by_value
      - .address_space:  global
        .offset:         40
        .size:           8
        .value_kind:     global_buffer
      - .offset:         48
        .size:           4
        .value_kind:     by_value
      - .offset:         56
        .size:           8
        .value_kind:     by_value
      - .offset:         64
        .size:           8
        .value_kind:     by_value
      - .address_space:  global
        .offset:         72
        .size:           8
        .value_kind:     global_buffer
      - .offset:         80
        .size:           4
        .value_kind:     by_value
      - .offset:         88
        .size:           8
        .value_kind:     by_value
      - .offset:         96
        .size:           4
        .value_kind:     by_value
    .group_segment_fixed_size: 4096
    .kernarg_segment_align: 8
    .kernarg_segment_size: 100
    .language:       OpenCL C
    .language_version:
      - 2
      - 0
    .max_flat_workgroup_size: 256
    .name:           _ZL37rocblas_syrkx_herkx_restricted_kernelIi19rocblas_complex_numIfELi16ELi32ELi8ELb1ELb1ELc78ELc85EKS1_S1_EviT_T0_PT8_S3_lS6_S3_lS4_PT9_S3_li
    .private_segment_fixed_size: 0
    .sgpr_count:     25
    .sgpr_spill_count: 0
    .symbol:         _ZL37rocblas_syrkx_herkx_restricted_kernelIi19rocblas_complex_numIfELi16ELi32ELi8ELb1ELb1ELc78ELc85EKS1_S1_EviT_T0_PT8_S3_lS6_S3_lS4_PT9_S3_li.kd
    .uniform_work_group_size: 1
    .uses_dynamic_stack: false
    .vgpr_count:     92
    .vgpr_spill_count: 0
    .wavefront_size: 32
    .workgroup_processor_mode: 1
  - .args:
      - .offset:         0
        .size:           4
        .value_kind:     by_value
      - .offset:         4
        .size:           4
        .value_kind:     by_value
      - .offset:         8
        .size:           8
        .value_kind:     by_value
      - .address_space:  global
        .offset:         16
        .size:           8
        .value_kind:     global_buffer
      - .offset:         24
        .size:           4
        .value_kind:     by_value
      - .offset:         32
        .size:           8
        .value_kind:     by_value
      - .address_space:  global
        .offset:         40
        .size:           8
        .value_kind:     global_buffer
      - .offset:         48
        .size:           4
        .value_kind:     by_value
      - .offset:         56
        .size:           8
        .value_kind:     by_value
      - .offset:         64
        .size:           8
        .value_kind:     by_value
      - .address_space:  global
        .offset:         72
        .size:           8
        .value_kind:     global_buffer
      - .offset:         80
        .size:           4
        .value_kind:     by_value
      - .offset:         88
        .size:           8
        .value_kind:     by_value
      - .offset:         96
        .size:           4
        .value_kind:     by_value
    .group_segment_fixed_size: 4096
    .kernarg_segment_align: 8
    .kernarg_segment_size: 100
    .language:       OpenCL C
    .language_version:
      - 2
      - 0
    .max_flat_workgroup_size: 256
    .name:           _ZL37rocblas_syrkx_herkx_restricted_kernelIi19rocblas_complex_numIfELi16ELi32ELi8ELb0ELb1ELc84ELc76EKS1_S1_EviT_T0_PT8_S3_lS6_S3_lS4_PT9_S3_li
    .private_segment_fixed_size: 0
    .sgpr_count:     27
    .sgpr_spill_count: 0
    .symbol:         _ZL37rocblas_syrkx_herkx_restricted_kernelIi19rocblas_complex_numIfELi16ELi32ELi8ELb0ELb1ELc84ELc76EKS1_S1_EviT_T0_PT8_S3_lS6_S3_lS4_PT9_S3_li.kd
    .uniform_work_group_size: 1
    .uses_dynamic_stack: false
    .vgpr_count:     91
    .vgpr_spill_count: 0
    .wavefront_size: 32
    .workgroup_processor_mode: 1
  - .args:
      - .offset:         0
        .size:           4
        .value_kind:     by_value
      - .offset:         4
        .size:           4
        .value_kind:     by_value
      - .offset:         8
        .size:           8
        .value_kind:     by_value
      - .address_space:  global
        .offset:         16
        .size:           8
        .value_kind:     global_buffer
      - .offset:         24
        .size:           4
        .value_kind:     by_value
      - .offset:         32
        .size:           8
        .value_kind:     by_value
      - .address_space:  global
        .offset:         40
        .size:           8
        .value_kind:     global_buffer
      - .offset:         48
        .size:           4
        .value_kind:     by_value
      - .offset:         56
        .size:           8
        .value_kind:     by_value
      - .offset:         64
        .size:           8
        .value_kind:     by_value
      - .address_space:  global
        .offset:         72
        .size:           8
        .value_kind:     global_buffer
      - .offset:         80
        .size:           4
        .value_kind:     by_value
      - .offset:         88
        .size:           8
        .value_kind:     by_value
      - .offset:         96
        .size:           4
        .value_kind:     by_value
    .group_segment_fixed_size: 4096
    .kernarg_segment_align: 8
    .kernarg_segment_size: 100
    .language:       OpenCL C
    .language_version:
      - 2
      - 0
    .max_flat_workgroup_size: 256
    .name:           _ZL37rocblas_syrkx_herkx_restricted_kernelIi19rocblas_complex_numIfELi16ELi32ELi8ELb0ELb1ELc67ELc76EKS1_S1_EviT_T0_PT8_S3_lS6_S3_lS4_PT9_S3_li
    .private_segment_fixed_size: 0
    .sgpr_count:     27
    .sgpr_spill_count: 0
    .symbol:         _ZL37rocblas_syrkx_herkx_restricted_kernelIi19rocblas_complex_numIfELi16ELi32ELi8ELb0ELb1ELc67ELc76EKS1_S1_EviT_T0_PT8_S3_lS6_S3_lS4_PT9_S3_li.kd
    .uniform_work_group_size: 1
    .uses_dynamic_stack: false
    .vgpr_count:     91
    .vgpr_spill_count: 0
    .wavefront_size: 32
    .workgroup_processor_mode: 1
  - .args:
      - .offset:         0
        .size:           4
        .value_kind:     by_value
      - .offset:         4
        .size:           4
        .value_kind:     by_value
      - .offset:         8
        .size:           8
        .value_kind:     by_value
      - .address_space:  global
        .offset:         16
        .size:           8
        .value_kind:     global_buffer
      - .offset:         24
        .size:           4
        .value_kind:     by_value
      - .offset:         32
        .size:           8
        .value_kind:     by_value
      - .address_space:  global
        .offset:         40
        .size:           8
        .value_kind:     global_buffer
      - .offset:         48
        .size:           4
        .value_kind:     by_value
      - .offset:         56
        .size:           8
        .value_kind:     by_value
      - .offset:         64
        .size:           8
        .value_kind:     by_value
      - .address_space:  global
        .offset:         72
        .size:           8
        .value_kind:     global_buffer
      - .offset:         80
        .size:           4
        .value_kind:     by_value
      - .offset:         88
        .size:           8
        .value_kind:     by_value
      - .offset:         96
        .size:           4
        .value_kind:     by_value
    .group_segment_fixed_size: 4096
    .kernarg_segment_align: 8
    .kernarg_segment_size: 100
    .language:       OpenCL C
    .language_version:
      - 2
      - 0
    .max_flat_workgroup_size: 256
    .name:           _ZL37rocblas_syrkx_herkx_restricted_kernelIi19rocblas_complex_numIfELi16ELi32ELi8ELb0ELb1ELc78ELc76EKS1_S1_EviT_T0_PT8_S3_lS6_S3_lS4_PT9_S3_li
    .private_segment_fixed_size: 0
    .sgpr_count:     29
    .sgpr_spill_count: 0
    .symbol:         _ZL37rocblas_syrkx_herkx_restricted_kernelIi19rocblas_complex_numIfELi16ELi32ELi8ELb0ELb1ELc78ELc76EKS1_S1_EviT_T0_PT8_S3_lS6_S3_lS4_PT9_S3_li.kd
    .uniform_work_group_size: 1
    .uses_dynamic_stack: false
    .vgpr_count:     92
    .vgpr_spill_count: 0
    .wavefront_size: 32
    .workgroup_processor_mode: 1
  - .args:
      - .offset:         0
        .size:           4
        .value_kind:     by_value
      - .offset:         4
        .size:           4
        .value_kind:     by_value
      - .offset:         8
        .size:           8
        .value_kind:     by_value
      - .address_space:  global
        .offset:         16
        .size:           8
        .value_kind:     global_buffer
      - .offset:         24
        .size:           4
        .value_kind:     by_value
      - .offset:         32
        .size:           8
        .value_kind:     by_value
      - .address_space:  global
        .offset:         40
        .size:           8
        .value_kind:     global_buffer
      - .offset:         48
        .size:           4
        .value_kind:     by_value
      - .offset:         56
        .size:           8
        .value_kind:     by_value
      - .offset:         64
        .size:           8
        .value_kind:     by_value
      - .address_space:  global
        .offset:         72
        .size:           8
        .value_kind:     global_buffer
      - .offset:         80
        .size:           4
        .value_kind:     by_value
      - .offset:         88
        .size:           8
        .value_kind:     by_value
      - .offset:         96
        .size:           4
        .value_kind:     by_value
    .group_segment_fixed_size: 4096
    .kernarg_segment_align: 8
    .kernarg_segment_size: 100
    .language:       OpenCL C
    .language_version:
      - 2
      - 0
    .max_flat_workgroup_size: 256
    .name:           _ZL37rocblas_syrkx_herkx_restricted_kernelIi19rocblas_complex_numIfELi16ELi32ELi8ELb0ELb1ELc84ELc85EKS1_S1_EviT_T0_PT8_S3_lS6_S3_lS4_PT9_S3_li
    .private_segment_fixed_size: 0
    .sgpr_count:     27
    .sgpr_spill_count: 0
    .symbol:         _ZL37rocblas_syrkx_herkx_restricted_kernelIi19rocblas_complex_numIfELi16ELi32ELi8ELb0ELb1ELc84ELc85EKS1_S1_EviT_T0_PT8_S3_lS6_S3_lS4_PT9_S3_li.kd
    .uniform_work_group_size: 1
    .uses_dynamic_stack: false
    .vgpr_count:     91
    .vgpr_spill_count: 0
    .wavefront_size: 32
    .workgroup_processor_mode: 1
  - .args:
      - .offset:         0
        .size:           4
        .value_kind:     by_value
      - .offset:         4
        .size:           4
        .value_kind:     by_value
      - .offset:         8
        .size:           8
        .value_kind:     by_value
      - .address_space:  global
        .offset:         16
        .size:           8
        .value_kind:     global_buffer
      - .offset:         24
        .size:           4
        .value_kind:     by_value
      - .offset:         32
        .size:           8
        .value_kind:     by_value
      - .address_space:  global
        .offset:         40
        .size:           8
        .value_kind:     global_buffer
      - .offset:         48
        .size:           4
        .value_kind:     by_value
      - .offset:         56
        .size:           8
        .value_kind:     by_value
      - .offset:         64
        .size:           8
        .value_kind:     by_value
      - .address_space:  global
        .offset:         72
        .size:           8
        .value_kind:     global_buffer
      - .offset:         80
        .size:           4
        .value_kind:     by_value
      - .offset:         88
        .size:           8
        .value_kind:     by_value
      - .offset:         96
        .size:           4
        .value_kind:     by_value
    .group_segment_fixed_size: 4096
    .kernarg_segment_align: 8
    .kernarg_segment_size: 100
    .language:       OpenCL C
    .language_version:
      - 2
      - 0
    .max_flat_workgroup_size: 256
    .name:           _ZL37rocblas_syrkx_herkx_restricted_kernelIi19rocblas_complex_numIfELi16ELi32ELi8ELb0ELb1ELc67ELc85EKS1_S1_EviT_T0_PT8_S3_lS6_S3_lS4_PT9_S3_li
    .private_segment_fixed_size: 0
    .sgpr_count:     27
    .sgpr_spill_count: 0
    .symbol:         _ZL37rocblas_syrkx_herkx_restricted_kernelIi19rocblas_complex_numIfELi16ELi32ELi8ELb0ELb1ELc67ELc85EKS1_S1_EviT_T0_PT8_S3_lS6_S3_lS4_PT9_S3_li.kd
    .uniform_work_group_size: 1
    .uses_dynamic_stack: false
    .vgpr_count:     91
    .vgpr_spill_count: 0
    .wavefront_size: 32
    .workgroup_processor_mode: 1
  - .args:
      - .offset:         0
        .size:           4
        .value_kind:     by_value
      - .offset:         4
        .size:           4
        .value_kind:     by_value
      - .offset:         8
        .size:           8
        .value_kind:     by_value
      - .address_space:  global
        .offset:         16
        .size:           8
        .value_kind:     global_buffer
      - .offset:         24
        .size:           4
        .value_kind:     by_value
      - .offset:         32
        .size:           8
        .value_kind:     by_value
      - .address_space:  global
        .offset:         40
        .size:           8
        .value_kind:     global_buffer
      - .offset:         48
        .size:           4
        .value_kind:     by_value
      - .offset:         56
        .size:           8
        .value_kind:     by_value
      - .offset:         64
        .size:           8
        .value_kind:     by_value
      - .address_space:  global
        .offset:         72
        .size:           8
        .value_kind:     global_buffer
      - .offset:         80
        .size:           4
        .value_kind:     by_value
      - .offset:         88
        .size:           8
        .value_kind:     by_value
      - .offset:         96
        .size:           4
        .value_kind:     by_value
    .group_segment_fixed_size: 4096
    .kernarg_segment_align: 8
    .kernarg_segment_size: 100
    .language:       OpenCL C
    .language_version:
      - 2
      - 0
    .max_flat_workgroup_size: 256
    .name:           _ZL37rocblas_syrkx_herkx_restricted_kernelIi19rocblas_complex_numIfELi16ELi32ELi8ELb0ELb1ELc78ELc85EKS1_S1_EviT_T0_PT8_S3_lS6_S3_lS4_PT9_S3_li
    .private_segment_fixed_size: 0
    .sgpr_count:     29
    .sgpr_spill_count: 0
    .symbol:         _ZL37rocblas_syrkx_herkx_restricted_kernelIi19rocblas_complex_numIfELi16ELi32ELi8ELb0ELb1ELc78ELc85EKS1_S1_EviT_T0_PT8_S3_lS6_S3_lS4_PT9_S3_li.kd
    .uniform_work_group_size: 1
    .uses_dynamic_stack: false
    .vgpr_count:     92
    .vgpr_spill_count: 0
    .wavefront_size: 32
    .workgroup_processor_mode: 1
  - .args:
      - .offset:         0
        .size:           4
        .value_kind:     by_value
      - .offset:         4
        .size:           4
        .value_kind:     by_value
      - .offset:         8
        .size:           8
        .value_kind:     by_value
      - .address_space:  global
        .offset:         16
        .size:           8
        .value_kind:     global_buffer
      - .offset:         24
        .size:           4
        .value_kind:     by_value
      - .offset:         32
        .size:           8
        .value_kind:     by_value
      - .address_space:  global
        .offset:         40
        .size:           8
        .value_kind:     global_buffer
      - .offset:         48
        .size:           4
        .value_kind:     by_value
      - .offset:         56
        .size:           8
        .value_kind:     by_value
      - .offset:         64
        .size:           8
        .value_kind:     by_value
      - .address_space:  global
        .offset:         72
        .size:           8
        .value_kind:     global_buffer
      - .offset:         80
        .size:           4
        .value_kind:     by_value
      - .offset:         88
        .size:           8
        .value_kind:     by_value
      - .offset:         96
        .size:           4
        .value_kind:     by_value
    .group_segment_fixed_size: 4096
    .kernarg_segment_align: 8
    .kernarg_segment_size: 100
    .language:       OpenCL C
    .language_version:
      - 2
      - 0
    .max_flat_workgroup_size: 256
    .name:           _ZL41rocblas_syrkx_herkx_small_restrict_kernelIi19rocblas_complex_numIfELi16ELb1ELb1ELc84ELc76EKS1_S1_EviT_T0_PT6_S3_lS6_S3_lS4_PT7_S3_li
    .private_segment_fixed_size: 0
    .sgpr_count:     19
    .sgpr_spill_count: 0
    .symbol:         _ZL41rocblas_syrkx_herkx_small_restrict_kernelIi19rocblas_complex_numIfELi16ELb1ELb1ELc84ELc76EKS1_S1_EviT_T0_PT6_S3_lS6_S3_lS4_PT7_S3_li.kd
    .uniform_work_group_size: 1
    .uses_dynamic_stack: false
    .vgpr_count:     85
    .vgpr_spill_count: 0
    .wavefront_size: 32
    .workgroup_processor_mode: 1
  - .args:
      - .offset:         0
        .size:           4
        .value_kind:     by_value
      - .offset:         4
        .size:           4
        .value_kind:     by_value
      - .offset:         8
        .size:           8
        .value_kind:     by_value
      - .address_space:  global
        .offset:         16
        .size:           8
        .value_kind:     global_buffer
      - .offset:         24
        .size:           4
        .value_kind:     by_value
      - .offset:         32
        .size:           8
        .value_kind:     by_value
      - .address_space:  global
        .offset:         40
        .size:           8
        .value_kind:     global_buffer
      - .offset:         48
        .size:           4
        .value_kind:     by_value
      - .offset:         56
        .size:           8
        .value_kind:     by_value
      - .offset:         64
        .size:           8
        .value_kind:     by_value
      - .address_space:  global
        .offset:         72
        .size:           8
        .value_kind:     global_buffer
      - .offset:         80
        .size:           4
        .value_kind:     by_value
      - .offset:         88
        .size:           8
        .value_kind:     by_value
      - .offset:         96
        .size:           4
        .value_kind:     by_value
    .group_segment_fixed_size: 4096
    .kernarg_segment_align: 8
    .kernarg_segment_size: 100
    .language:       OpenCL C
    .language_version:
      - 2
      - 0
    .max_flat_workgroup_size: 256
    .name:           _ZL41rocblas_syrkx_herkx_small_restrict_kernelIi19rocblas_complex_numIfELi16ELb1ELb1ELc67ELc76EKS1_S1_EviT_T0_PT6_S3_lS6_S3_lS4_PT7_S3_li
    .private_segment_fixed_size: 0
    .sgpr_count:     19
    .sgpr_spill_count: 0
    .symbol:         _ZL41rocblas_syrkx_herkx_small_restrict_kernelIi19rocblas_complex_numIfELi16ELb1ELb1ELc67ELc76EKS1_S1_EviT_T0_PT6_S3_lS6_S3_lS4_PT7_S3_li.kd
    .uniform_work_group_size: 1
    .uses_dynamic_stack: false
    .vgpr_count:     85
    .vgpr_spill_count: 0
    .wavefront_size: 32
    .workgroup_processor_mode: 1
  - .args:
      - .offset:         0
        .size:           4
        .value_kind:     by_value
      - .offset:         4
        .size:           4
        .value_kind:     by_value
      - .offset:         8
        .size:           8
        .value_kind:     by_value
      - .address_space:  global
        .offset:         16
        .size:           8
        .value_kind:     global_buffer
      - .offset:         24
        .size:           4
        .value_kind:     by_value
      - .offset:         32
        .size:           8
        .value_kind:     by_value
      - .address_space:  global
        .offset:         40
        .size:           8
        .value_kind:     global_buffer
      - .offset:         48
        .size:           4
        .value_kind:     by_value
      - .offset:         56
        .size:           8
        .value_kind:     by_value
      - .offset:         64
        .size:           8
        .value_kind:     by_value
      - .address_space:  global
        .offset:         72
        .size:           8
        .value_kind:     global_buffer
      - .offset:         80
        .size:           4
        .value_kind:     by_value
      - .offset:         88
        .size:           8
        .value_kind:     by_value
      - .offset:         96
        .size:           4
        .value_kind:     by_value
    .group_segment_fixed_size: 4096
    .kernarg_segment_align: 8
    .kernarg_segment_size: 100
    .language:       OpenCL C
    .language_version:
      - 2
      - 0
    .max_flat_workgroup_size: 256
    .name:           _ZL41rocblas_syrkx_herkx_small_restrict_kernelIi19rocblas_complex_numIfELi16ELb1ELb1ELc78ELc76EKS1_S1_EviT_T0_PT6_S3_lS6_S3_lS4_PT7_S3_li
    .private_segment_fixed_size: 0
    .sgpr_count:     22
    .sgpr_spill_count: 0
    .symbol:         _ZL41rocblas_syrkx_herkx_small_restrict_kernelIi19rocblas_complex_numIfELi16ELb1ELb1ELc78ELc76EKS1_S1_EviT_T0_PT6_S3_lS6_S3_lS4_PT7_S3_li.kd
    .uniform_work_group_size: 1
    .uses_dynamic_stack: false
    .vgpr_count:     86
    .vgpr_spill_count: 0
    .wavefront_size: 32
    .workgroup_processor_mode: 1
  - .args:
      - .offset:         0
        .size:           4
        .value_kind:     by_value
      - .offset:         4
        .size:           4
        .value_kind:     by_value
      - .offset:         8
        .size:           8
        .value_kind:     by_value
      - .address_space:  global
        .offset:         16
        .size:           8
        .value_kind:     global_buffer
      - .offset:         24
        .size:           4
        .value_kind:     by_value
      - .offset:         32
        .size:           8
        .value_kind:     by_value
      - .address_space:  global
        .offset:         40
        .size:           8
        .value_kind:     global_buffer
      - .offset:         48
        .size:           4
        .value_kind:     by_value
      - .offset:         56
        .size:           8
        .value_kind:     by_value
      - .offset:         64
        .size:           8
        .value_kind:     by_value
      - .address_space:  global
        .offset:         72
        .size:           8
        .value_kind:     global_buffer
      - .offset:         80
        .size:           4
        .value_kind:     by_value
      - .offset:         88
        .size:           8
        .value_kind:     by_value
      - .offset:         96
        .size:           4
        .value_kind:     by_value
    .group_segment_fixed_size: 4096
    .kernarg_segment_align: 8
    .kernarg_segment_size: 100
    .language:       OpenCL C
    .language_version:
      - 2
      - 0
    .max_flat_workgroup_size: 256
    .name:           _ZL41rocblas_syrkx_herkx_small_restrict_kernelIi19rocblas_complex_numIfELi16ELb1ELb1ELc84ELc85EKS1_S1_EviT_T0_PT6_S3_lS6_S3_lS4_PT7_S3_li
    .private_segment_fixed_size: 0
    .sgpr_count:     19
    .sgpr_spill_count: 0
    .symbol:         _ZL41rocblas_syrkx_herkx_small_restrict_kernelIi19rocblas_complex_numIfELi16ELb1ELb1ELc84ELc85EKS1_S1_EviT_T0_PT6_S3_lS6_S3_lS4_PT7_S3_li.kd
    .uniform_work_group_size: 1
    .uses_dynamic_stack: false
    .vgpr_count:     85
    .vgpr_spill_count: 0
    .wavefront_size: 32
    .workgroup_processor_mode: 1
  - .args:
      - .offset:         0
        .size:           4
        .value_kind:     by_value
      - .offset:         4
        .size:           4
        .value_kind:     by_value
      - .offset:         8
        .size:           8
        .value_kind:     by_value
      - .address_space:  global
        .offset:         16
        .size:           8
        .value_kind:     global_buffer
      - .offset:         24
        .size:           4
        .value_kind:     by_value
      - .offset:         32
        .size:           8
        .value_kind:     by_value
      - .address_space:  global
        .offset:         40
        .size:           8
        .value_kind:     global_buffer
      - .offset:         48
        .size:           4
        .value_kind:     by_value
      - .offset:         56
        .size:           8
        .value_kind:     by_value
      - .offset:         64
        .size:           8
        .value_kind:     by_value
      - .address_space:  global
        .offset:         72
        .size:           8
        .value_kind:     global_buffer
      - .offset:         80
        .size:           4
        .value_kind:     by_value
      - .offset:         88
        .size:           8
        .value_kind:     by_value
      - .offset:         96
        .size:           4
        .value_kind:     by_value
    .group_segment_fixed_size: 4096
    .kernarg_segment_align: 8
    .kernarg_segment_size: 100
    .language:       OpenCL C
    .language_version:
      - 2
      - 0
    .max_flat_workgroup_size: 256
    .name:           _ZL41rocblas_syrkx_herkx_small_restrict_kernelIi19rocblas_complex_numIfELi16ELb1ELb1ELc67ELc85EKS1_S1_EviT_T0_PT6_S3_lS6_S3_lS4_PT7_S3_li
    .private_segment_fixed_size: 0
    .sgpr_count:     19
    .sgpr_spill_count: 0
    .symbol:         _ZL41rocblas_syrkx_herkx_small_restrict_kernelIi19rocblas_complex_numIfELi16ELb1ELb1ELc67ELc85EKS1_S1_EviT_T0_PT6_S3_lS6_S3_lS4_PT7_S3_li.kd
    .uniform_work_group_size: 1
    .uses_dynamic_stack: false
    .vgpr_count:     85
    .vgpr_spill_count: 0
    .wavefront_size: 32
    .workgroup_processor_mode: 1
  - .args:
      - .offset:         0
        .size:           4
        .value_kind:     by_value
      - .offset:         4
        .size:           4
        .value_kind:     by_value
      - .offset:         8
        .size:           8
        .value_kind:     by_value
      - .address_space:  global
        .offset:         16
        .size:           8
        .value_kind:     global_buffer
      - .offset:         24
        .size:           4
        .value_kind:     by_value
      - .offset:         32
        .size:           8
        .value_kind:     by_value
      - .address_space:  global
        .offset:         40
        .size:           8
        .value_kind:     global_buffer
      - .offset:         48
        .size:           4
        .value_kind:     by_value
      - .offset:         56
        .size:           8
        .value_kind:     by_value
      - .offset:         64
        .size:           8
        .value_kind:     by_value
      - .address_space:  global
        .offset:         72
        .size:           8
        .value_kind:     global_buffer
      - .offset:         80
        .size:           4
        .value_kind:     by_value
      - .offset:         88
        .size:           8
        .value_kind:     by_value
      - .offset:         96
        .size:           4
        .value_kind:     by_value
    .group_segment_fixed_size: 4096
    .kernarg_segment_align: 8
    .kernarg_segment_size: 100
    .language:       OpenCL C
    .language_version:
      - 2
      - 0
    .max_flat_workgroup_size: 256
    .name:           _ZL41rocblas_syrkx_herkx_small_restrict_kernelIi19rocblas_complex_numIfELi16ELb1ELb1ELc78ELc85EKS1_S1_EviT_T0_PT6_S3_lS6_S3_lS4_PT7_S3_li
    .private_segment_fixed_size: 0
    .sgpr_count:     22
    .sgpr_spill_count: 0
    .symbol:         _ZL41rocblas_syrkx_herkx_small_restrict_kernelIi19rocblas_complex_numIfELi16ELb1ELb1ELc78ELc85EKS1_S1_EviT_T0_PT6_S3_lS6_S3_lS4_PT7_S3_li.kd
    .uniform_work_group_size: 1
    .uses_dynamic_stack: false
    .vgpr_count:     86
    .vgpr_spill_count: 0
    .wavefront_size: 32
    .workgroup_processor_mode: 1
  - .args:
      - .offset:         0
        .size:           4
        .value_kind:     by_value
      - .offset:         4
        .size:           4
        .value_kind:     by_value
      - .offset:         8
        .size:           8
        .value_kind:     by_value
      - .address_space:  global
        .offset:         16
        .size:           8
        .value_kind:     global_buffer
      - .offset:         24
        .size:           4
        .value_kind:     by_value
      - .offset:         32
        .size:           8
        .value_kind:     by_value
      - .address_space:  global
        .offset:         40
        .size:           8
        .value_kind:     global_buffer
      - .offset:         48
        .size:           4
        .value_kind:     by_value
      - .offset:         56
        .size:           8
        .value_kind:     by_value
      - .offset:         64
        .size:           8
        .value_kind:     by_value
      - .address_space:  global
        .offset:         72
        .size:           8
        .value_kind:     global_buffer
      - .offset:         80
        .size:           4
        .value_kind:     by_value
      - .offset:         88
        .size:           8
        .value_kind:     by_value
      - .offset:         96
        .size:           4
        .value_kind:     by_value
    .group_segment_fixed_size: 4096
    .kernarg_segment_align: 8
    .kernarg_segment_size: 100
    .language:       OpenCL C
    .language_version:
      - 2
      - 0
    .max_flat_workgroup_size: 256
    .name:           _ZL41rocblas_syrkx_herkx_small_restrict_kernelIi19rocblas_complex_numIfELi16ELb0ELb1ELc84ELc76EKS1_S1_EviT_T0_PT6_S3_lS6_S3_lS4_PT7_S3_li
    .private_segment_fixed_size: 0
    .sgpr_count:     24
    .sgpr_spill_count: 0
    .symbol:         _ZL41rocblas_syrkx_herkx_small_restrict_kernelIi19rocblas_complex_numIfELi16ELb0ELb1ELc84ELc76EKS1_S1_EviT_T0_PT6_S3_lS6_S3_lS4_PT7_S3_li.kd
    .uniform_work_group_size: 1
    .uses_dynamic_stack: false
    .vgpr_count:     85
    .vgpr_spill_count: 0
    .wavefront_size: 32
    .workgroup_processor_mode: 1
  - .args:
      - .offset:         0
        .size:           4
        .value_kind:     by_value
      - .offset:         4
        .size:           4
        .value_kind:     by_value
      - .offset:         8
        .size:           8
        .value_kind:     by_value
      - .address_space:  global
        .offset:         16
        .size:           8
        .value_kind:     global_buffer
      - .offset:         24
        .size:           4
        .value_kind:     by_value
      - .offset:         32
        .size:           8
        .value_kind:     by_value
      - .address_space:  global
        .offset:         40
        .size:           8
        .value_kind:     global_buffer
      - .offset:         48
        .size:           4
        .value_kind:     by_value
      - .offset:         56
        .size:           8
        .value_kind:     by_value
      - .offset:         64
        .size:           8
        .value_kind:     by_value
      - .address_space:  global
        .offset:         72
        .size:           8
        .value_kind:     global_buffer
      - .offset:         80
        .size:           4
        .value_kind:     by_value
      - .offset:         88
        .size:           8
        .value_kind:     by_value
      - .offset:         96
        .size:           4
        .value_kind:     by_value
    .group_segment_fixed_size: 4096
    .kernarg_segment_align: 8
    .kernarg_segment_size: 100
    .language:       OpenCL C
    .language_version:
      - 2
      - 0
    .max_flat_workgroup_size: 256
    .name:           _ZL41rocblas_syrkx_herkx_small_restrict_kernelIi19rocblas_complex_numIfELi16ELb0ELb1ELc67ELc76EKS1_S1_EviT_T0_PT6_S3_lS6_S3_lS4_PT7_S3_li
    .private_segment_fixed_size: 0
    .sgpr_count:     24
    .sgpr_spill_count: 0
    .symbol:         _ZL41rocblas_syrkx_herkx_small_restrict_kernelIi19rocblas_complex_numIfELi16ELb0ELb1ELc67ELc76EKS1_S1_EviT_T0_PT6_S3_lS6_S3_lS4_PT7_S3_li.kd
    .uniform_work_group_size: 1
    .uses_dynamic_stack: false
    .vgpr_count:     85
    .vgpr_spill_count: 0
    .wavefront_size: 32
    .workgroup_processor_mode: 1
  - .args:
      - .offset:         0
        .size:           4
        .value_kind:     by_value
      - .offset:         4
        .size:           4
        .value_kind:     by_value
      - .offset:         8
        .size:           8
        .value_kind:     by_value
      - .address_space:  global
        .offset:         16
        .size:           8
        .value_kind:     global_buffer
      - .offset:         24
        .size:           4
        .value_kind:     by_value
      - .offset:         32
        .size:           8
        .value_kind:     by_value
      - .address_space:  global
        .offset:         40
        .size:           8
        .value_kind:     global_buffer
      - .offset:         48
        .size:           4
        .value_kind:     by_value
      - .offset:         56
        .size:           8
        .value_kind:     by_value
      - .offset:         64
        .size:           8
        .value_kind:     by_value
      - .address_space:  global
        .offset:         72
        .size:           8
        .value_kind:     global_buffer
      - .offset:         80
        .size:           4
        .value_kind:     by_value
      - .offset:         88
        .size:           8
        .value_kind:     by_value
      - .offset:         96
        .size:           4
        .value_kind:     by_value
    .group_segment_fixed_size: 4096
    .kernarg_segment_align: 8
    .kernarg_segment_size: 100
    .language:       OpenCL C
    .language_version:
      - 2
      - 0
    .max_flat_workgroup_size: 256
    .name:           _ZL41rocblas_syrkx_herkx_small_restrict_kernelIi19rocblas_complex_numIfELi16ELb0ELb1ELc78ELc76EKS1_S1_EviT_T0_PT6_S3_lS6_S3_lS4_PT7_S3_li
    .private_segment_fixed_size: 0
    .sgpr_count:     26
    .sgpr_spill_count: 0
    .symbol:         _ZL41rocblas_syrkx_herkx_small_restrict_kernelIi19rocblas_complex_numIfELi16ELb0ELb1ELc78ELc76EKS1_S1_EviT_T0_PT6_S3_lS6_S3_lS4_PT7_S3_li.kd
    .uniform_work_group_size: 1
    .uses_dynamic_stack: false
    .vgpr_count:     86
    .vgpr_spill_count: 0
    .wavefront_size: 32
    .workgroup_processor_mode: 1
  - .args:
      - .offset:         0
        .size:           4
        .value_kind:     by_value
      - .offset:         4
        .size:           4
        .value_kind:     by_value
      - .offset:         8
        .size:           8
        .value_kind:     by_value
      - .address_space:  global
        .offset:         16
        .size:           8
        .value_kind:     global_buffer
      - .offset:         24
        .size:           4
        .value_kind:     by_value
      - .offset:         32
        .size:           8
        .value_kind:     by_value
      - .address_space:  global
        .offset:         40
        .size:           8
        .value_kind:     global_buffer
      - .offset:         48
        .size:           4
        .value_kind:     by_value
      - .offset:         56
        .size:           8
        .value_kind:     by_value
      - .offset:         64
        .size:           8
        .value_kind:     by_value
      - .address_space:  global
        .offset:         72
        .size:           8
        .value_kind:     global_buffer
      - .offset:         80
        .size:           4
        .value_kind:     by_value
      - .offset:         88
        .size:           8
        .value_kind:     by_value
      - .offset:         96
        .size:           4
        .value_kind:     by_value
    .group_segment_fixed_size: 4096
    .kernarg_segment_align: 8
    .kernarg_segment_size: 100
    .language:       OpenCL C
    .language_version:
      - 2
      - 0
    .max_flat_workgroup_size: 256
    .name:           _ZL41rocblas_syrkx_herkx_small_restrict_kernelIi19rocblas_complex_numIfELi16ELb0ELb1ELc84ELc85EKS1_S1_EviT_T0_PT6_S3_lS6_S3_lS4_PT7_S3_li
    .private_segment_fixed_size: 0
    .sgpr_count:     24
    .sgpr_spill_count: 0
    .symbol:         _ZL41rocblas_syrkx_herkx_small_restrict_kernelIi19rocblas_complex_numIfELi16ELb0ELb1ELc84ELc85EKS1_S1_EviT_T0_PT6_S3_lS6_S3_lS4_PT7_S3_li.kd
    .uniform_work_group_size: 1
    .uses_dynamic_stack: false
    .vgpr_count:     85
    .vgpr_spill_count: 0
    .wavefront_size: 32
    .workgroup_processor_mode: 1
  - .args:
      - .offset:         0
        .size:           4
        .value_kind:     by_value
      - .offset:         4
        .size:           4
        .value_kind:     by_value
      - .offset:         8
        .size:           8
        .value_kind:     by_value
      - .address_space:  global
        .offset:         16
        .size:           8
        .value_kind:     global_buffer
      - .offset:         24
        .size:           4
        .value_kind:     by_value
      - .offset:         32
        .size:           8
        .value_kind:     by_value
      - .address_space:  global
        .offset:         40
        .size:           8
        .value_kind:     global_buffer
      - .offset:         48
        .size:           4
        .value_kind:     by_value
      - .offset:         56
        .size:           8
        .value_kind:     by_value
      - .offset:         64
        .size:           8
        .value_kind:     by_value
      - .address_space:  global
        .offset:         72
        .size:           8
        .value_kind:     global_buffer
      - .offset:         80
        .size:           4
        .value_kind:     by_value
      - .offset:         88
        .size:           8
        .value_kind:     by_value
      - .offset:         96
        .size:           4
        .value_kind:     by_value
    .group_segment_fixed_size: 4096
    .kernarg_segment_align: 8
    .kernarg_segment_size: 100
    .language:       OpenCL C
    .language_version:
      - 2
      - 0
    .max_flat_workgroup_size: 256
    .name:           _ZL41rocblas_syrkx_herkx_small_restrict_kernelIi19rocblas_complex_numIfELi16ELb0ELb1ELc67ELc85EKS1_S1_EviT_T0_PT6_S3_lS6_S3_lS4_PT7_S3_li
    .private_segment_fixed_size: 0
    .sgpr_count:     24
    .sgpr_spill_count: 0
    .symbol:         _ZL41rocblas_syrkx_herkx_small_restrict_kernelIi19rocblas_complex_numIfELi16ELb0ELb1ELc67ELc85EKS1_S1_EviT_T0_PT6_S3_lS6_S3_lS4_PT7_S3_li.kd
    .uniform_work_group_size: 1
    .uses_dynamic_stack: false
    .vgpr_count:     85
    .vgpr_spill_count: 0
    .wavefront_size: 32
    .workgroup_processor_mode: 1
  - .args:
      - .offset:         0
        .size:           4
        .value_kind:     by_value
      - .offset:         4
        .size:           4
        .value_kind:     by_value
      - .offset:         8
        .size:           8
        .value_kind:     by_value
      - .address_space:  global
        .offset:         16
        .size:           8
        .value_kind:     global_buffer
      - .offset:         24
        .size:           4
        .value_kind:     by_value
      - .offset:         32
        .size:           8
        .value_kind:     by_value
      - .address_space:  global
        .offset:         40
        .size:           8
        .value_kind:     global_buffer
      - .offset:         48
        .size:           4
        .value_kind:     by_value
      - .offset:         56
        .size:           8
        .value_kind:     by_value
      - .offset:         64
        .size:           8
        .value_kind:     by_value
      - .address_space:  global
        .offset:         72
        .size:           8
        .value_kind:     global_buffer
      - .offset:         80
        .size:           4
        .value_kind:     by_value
      - .offset:         88
        .size:           8
        .value_kind:     by_value
      - .offset:         96
        .size:           4
        .value_kind:     by_value
    .group_segment_fixed_size: 4096
    .kernarg_segment_align: 8
    .kernarg_segment_size: 100
    .language:       OpenCL C
    .language_version:
      - 2
      - 0
    .max_flat_workgroup_size: 256
    .name:           _ZL41rocblas_syrkx_herkx_small_restrict_kernelIi19rocblas_complex_numIfELi16ELb0ELb1ELc78ELc85EKS1_S1_EviT_T0_PT6_S3_lS6_S3_lS4_PT7_S3_li
    .private_segment_fixed_size: 0
    .sgpr_count:     26
    .sgpr_spill_count: 0
    .symbol:         _ZL41rocblas_syrkx_herkx_small_restrict_kernelIi19rocblas_complex_numIfELi16ELb0ELb1ELc78ELc85EKS1_S1_EviT_T0_PT6_S3_lS6_S3_lS4_PT7_S3_li.kd
    .uniform_work_group_size: 1
    .uses_dynamic_stack: false
    .vgpr_count:     86
    .vgpr_spill_count: 0
    .wavefront_size: 32
    .workgroup_processor_mode: 1
  - .args:
      - .offset:         0
        .size:           4
        .value_kind:     by_value
      - .offset:         4
        .size:           4
        .value_kind:     by_value
      - .offset:         8
        .size:           8
        .value_kind:     by_value
      - .address_space:  global
        .offset:         16
        .size:           8
        .value_kind:     global_buffer
      - .offset:         24
        .size:           4
        .value_kind:     by_value
      - .offset:         32
        .size:           8
        .value_kind:     by_value
      - .address_space:  global
        .offset:         40
        .size:           8
        .value_kind:     global_buffer
      - .offset:         48
        .size:           4
        .value_kind:     by_value
      - .offset:         56
        .size:           8
        .value_kind:     by_value
      - .offset:         64
        .size:           8
        .value_kind:     by_value
      - .address_space:  global
        .offset:         72
        .size:           8
        .value_kind:     global_buffer
      - .offset:         80
        .size:           4
        .value_kind:     by_value
      - .offset:         88
        .size:           8
        .value_kind:     by_value
      - .offset:         96
        .size:           4
        .value_kind:     by_value
    .group_segment_fixed_size: 4096
    .kernarg_segment_align: 8
    .kernarg_segment_size: 100
    .language:       OpenCL C
    .language_version:
      - 2
      - 0
    .max_flat_workgroup_size: 256
    .name:           _ZL32rocblas_syrkx_herkx_small_kernelIi19rocblas_complex_numIfELi16ELb1ELb1ELc84ELc76EKS1_S1_EviT_T0_PT6_S3_lS6_S3_lS4_PT7_S3_li
    .private_segment_fixed_size: 0
    .sgpr_count:     22
    .sgpr_spill_count: 0
    .symbol:         _ZL32rocblas_syrkx_herkx_small_kernelIi19rocblas_complex_numIfELi16ELb1ELb1ELc84ELc76EKS1_S1_EviT_T0_PT6_S3_lS6_S3_lS4_PT7_S3_li.kd
    .uniform_work_group_size: 1
    .uses_dynamic_stack: false
    .vgpr_count:     68
    .vgpr_spill_count: 0
    .wavefront_size: 32
    .workgroup_processor_mode: 1
  - .args:
      - .offset:         0
        .size:           4
        .value_kind:     by_value
      - .offset:         4
        .size:           4
        .value_kind:     by_value
      - .offset:         8
        .size:           8
        .value_kind:     by_value
      - .address_space:  global
        .offset:         16
        .size:           8
        .value_kind:     global_buffer
      - .offset:         24
        .size:           4
        .value_kind:     by_value
      - .offset:         32
        .size:           8
        .value_kind:     by_value
      - .address_space:  global
        .offset:         40
        .size:           8
        .value_kind:     global_buffer
      - .offset:         48
        .size:           4
        .value_kind:     by_value
      - .offset:         56
        .size:           8
        .value_kind:     by_value
      - .offset:         64
        .size:           8
        .value_kind:     by_value
      - .address_space:  global
        .offset:         72
        .size:           8
        .value_kind:     global_buffer
      - .offset:         80
        .size:           4
        .value_kind:     by_value
      - .offset:         88
        .size:           8
        .value_kind:     by_value
      - .offset:         96
        .size:           4
        .value_kind:     by_value
    .group_segment_fixed_size: 4096
    .kernarg_segment_align: 8
    .kernarg_segment_size: 100
    .language:       OpenCL C
    .language_version:
      - 2
      - 0
    .max_flat_workgroup_size: 256
    .name:           _ZL32rocblas_syrkx_herkx_small_kernelIi19rocblas_complex_numIfELi16ELb1ELb1ELc67ELc76EKS1_S1_EviT_T0_PT6_S3_lS6_S3_lS4_PT7_S3_li
    .private_segment_fixed_size: 0
    .sgpr_count:     22
    .sgpr_spill_count: 0
    .symbol:         _ZL32rocblas_syrkx_herkx_small_kernelIi19rocblas_complex_numIfELi16ELb1ELb1ELc67ELc76EKS1_S1_EviT_T0_PT6_S3_lS6_S3_lS4_PT7_S3_li.kd
    .uniform_work_group_size: 1
    .uses_dynamic_stack: false
    .vgpr_count:     69
    .vgpr_spill_count: 0
    .wavefront_size: 32
    .workgroup_processor_mode: 1
  - .args:
      - .offset:         0
        .size:           4
        .value_kind:     by_value
      - .offset:         4
        .size:           4
        .value_kind:     by_value
      - .offset:         8
        .size:           8
        .value_kind:     by_value
      - .address_space:  global
        .offset:         16
        .size:           8
        .value_kind:     global_buffer
      - .offset:         24
        .size:           4
        .value_kind:     by_value
      - .offset:         32
        .size:           8
        .value_kind:     by_value
      - .address_space:  global
        .offset:         40
        .size:           8
        .value_kind:     global_buffer
      - .offset:         48
        .size:           4
        .value_kind:     by_value
      - .offset:         56
        .size:           8
        .value_kind:     by_value
      - .offset:         64
        .size:           8
        .value_kind:     by_value
      - .address_space:  global
        .offset:         72
        .size:           8
        .value_kind:     global_buffer
      - .offset:         80
        .size:           4
        .value_kind:     by_value
      - .offset:         88
        .size:           8
        .value_kind:     by_value
      - .offset:         96
        .size:           4
        .value_kind:     by_value
    .group_segment_fixed_size: 4096
    .kernarg_segment_align: 8
    .kernarg_segment_size: 100
    .language:       OpenCL C
    .language_version:
      - 2
      - 0
    .max_flat_workgroup_size: 256
    .name:           _ZL32rocblas_syrkx_herkx_small_kernelIi19rocblas_complex_numIfELi16ELb1ELb1ELc78ELc76EKS1_S1_EviT_T0_PT6_S3_lS6_S3_lS4_PT7_S3_li
    .private_segment_fixed_size: 0
    .sgpr_count:     25
    .sgpr_spill_count: 0
    .symbol:         _ZL32rocblas_syrkx_herkx_small_kernelIi19rocblas_complex_numIfELi16ELb1ELb1ELc78ELc76EKS1_S1_EviT_T0_PT6_S3_lS6_S3_lS4_PT7_S3_li.kd
    .uniform_work_group_size: 1
    .uses_dynamic_stack: false
    .vgpr_count:     70
    .vgpr_spill_count: 0
    .wavefront_size: 32
    .workgroup_processor_mode: 1
  - .args:
      - .offset:         0
        .size:           4
        .value_kind:     by_value
      - .offset:         4
        .size:           4
        .value_kind:     by_value
      - .offset:         8
        .size:           8
        .value_kind:     by_value
      - .address_space:  global
        .offset:         16
        .size:           8
        .value_kind:     global_buffer
      - .offset:         24
        .size:           4
        .value_kind:     by_value
      - .offset:         32
        .size:           8
        .value_kind:     by_value
      - .address_space:  global
        .offset:         40
        .size:           8
        .value_kind:     global_buffer
      - .offset:         48
        .size:           4
        .value_kind:     by_value
      - .offset:         56
        .size:           8
        .value_kind:     by_value
      - .offset:         64
        .size:           8
        .value_kind:     by_value
      - .address_space:  global
        .offset:         72
        .size:           8
        .value_kind:     global_buffer
      - .offset:         80
        .size:           4
        .value_kind:     by_value
      - .offset:         88
        .size:           8
        .value_kind:     by_value
      - .offset:         96
        .size:           4
        .value_kind:     by_value
    .group_segment_fixed_size: 4096
    .kernarg_segment_align: 8
    .kernarg_segment_size: 100
    .language:       OpenCL C
    .language_version:
      - 2
      - 0
    .max_flat_workgroup_size: 256
    .name:           _ZL32rocblas_syrkx_herkx_small_kernelIi19rocblas_complex_numIfELi16ELb1ELb1ELc84ELc85EKS1_S1_EviT_T0_PT6_S3_lS6_S3_lS4_PT7_S3_li
    .private_segment_fixed_size: 0
    .sgpr_count:     22
    .sgpr_spill_count: 0
    .symbol:         _ZL32rocblas_syrkx_herkx_small_kernelIi19rocblas_complex_numIfELi16ELb1ELb1ELc84ELc85EKS1_S1_EviT_T0_PT6_S3_lS6_S3_lS4_PT7_S3_li.kd
    .uniform_work_group_size: 1
    .uses_dynamic_stack: false
    .vgpr_count:     68
    .vgpr_spill_count: 0
    .wavefront_size: 32
    .workgroup_processor_mode: 1
  - .args:
      - .offset:         0
        .size:           4
        .value_kind:     by_value
      - .offset:         4
        .size:           4
        .value_kind:     by_value
      - .offset:         8
        .size:           8
        .value_kind:     by_value
      - .address_space:  global
        .offset:         16
        .size:           8
        .value_kind:     global_buffer
      - .offset:         24
        .size:           4
        .value_kind:     by_value
      - .offset:         32
        .size:           8
        .value_kind:     by_value
      - .address_space:  global
        .offset:         40
        .size:           8
        .value_kind:     global_buffer
      - .offset:         48
        .size:           4
        .value_kind:     by_value
      - .offset:         56
        .size:           8
        .value_kind:     by_value
      - .offset:         64
        .size:           8
        .value_kind:     by_value
      - .address_space:  global
        .offset:         72
        .size:           8
        .value_kind:     global_buffer
      - .offset:         80
        .size:           4
        .value_kind:     by_value
      - .offset:         88
        .size:           8
        .value_kind:     by_value
      - .offset:         96
        .size:           4
        .value_kind:     by_value
    .group_segment_fixed_size: 4096
    .kernarg_segment_align: 8
    .kernarg_segment_size: 100
    .language:       OpenCL C
    .language_version:
      - 2
      - 0
    .max_flat_workgroup_size: 256
    .name:           _ZL32rocblas_syrkx_herkx_small_kernelIi19rocblas_complex_numIfELi16ELb1ELb1ELc67ELc85EKS1_S1_EviT_T0_PT6_S3_lS6_S3_lS4_PT7_S3_li
    .private_segment_fixed_size: 0
    .sgpr_count:     22
    .sgpr_spill_count: 0
    .symbol:         _ZL32rocblas_syrkx_herkx_small_kernelIi19rocblas_complex_numIfELi16ELb1ELb1ELc67ELc85EKS1_S1_EviT_T0_PT6_S3_lS6_S3_lS4_PT7_S3_li.kd
    .uniform_work_group_size: 1
    .uses_dynamic_stack: false
    .vgpr_count:     69
    .vgpr_spill_count: 0
    .wavefront_size: 32
    .workgroup_processor_mode: 1
  - .args:
      - .offset:         0
        .size:           4
        .value_kind:     by_value
      - .offset:         4
        .size:           4
        .value_kind:     by_value
      - .offset:         8
        .size:           8
        .value_kind:     by_value
      - .address_space:  global
        .offset:         16
        .size:           8
        .value_kind:     global_buffer
      - .offset:         24
        .size:           4
        .value_kind:     by_value
      - .offset:         32
        .size:           8
        .value_kind:     by_value
      - .address_space:  global
        .offset:         40
        .size:           8
        .value_kind:     global_buffer
      - .offset:         48
        .size:           4
        .value_kind:     by_value
      - .offset:         56
        .size:           8
        .value_kind:     by_value
      - .offset:         64
        .size:           8
        .value_kind:     by_value
      - .address_space:  global
        .offset:         72
        .size:           8
        .value_kind:     global_buffer
      - .offset:         80
        .size:           4
        .value_kind:     by_value
      - .offset:         88
        .size:           8
        .value_kind:     by_value
      - .offset:         96
        .size:           4
        .value_kind:     by_value
    .group_segment_fixed_size: 4096
    .kernarg_segment_align: 8
    .kernarg_segment_size: 100
    .language:       OpenCL C
    .language_version:
      - 2
      - 0
    .max_flat_workgroup_size: 256
    .name:           _ZL32rocblas_syrkx_herkx_small_kernelIi19rocblas_complex_numIfELi16ELb1ELb1ELc78ELc85EKS1_S1_EviT_T0_PT6_S3_lS6_S3_lS4_PT7_S3_li
    .private_segment_fixed_size: 0
    .sgpr_count:     25
    .sgpr_spill_count: 0
    .symbol:         _ZL32rocblas_syrkx_herkx_small_kernelIi19rocblas_complex_numIfELi16ELb1ELb1ELc78ELc85EKS1_S1_EviT_T0_PT6_S3_lS6_S3_lS4_PT7_S3_li.kd
    .uniform_work_group_size: 1
    .uses_dynamic_stack: false
    .vgpr_count:     70
    .vgpr_spill_count: 0
    .wavefront_size: 32
    .workgroup_processor_mode: 1
  - .args:
      - .offset:         0
        .size:           4
        .value_kind:     by_value
      - .offset:         4
        .size:           4
        .value_kind:     by_value
      - .offset:         8
        .size:           8
        .value_kind:     by_value
      - .address_space:  global
        .offset:         16
        .size:           8
        .value_kind:     global_buffer
      - .offset:         24
        .size:           4
        .value_kind:     by_value
      - .offset:         32
        .size:           8
        .value_kind:     by_value
      - .address_space:  global
        .offset:         40
        .size:           8
        .value_kind:     global_buffer
      - .offset:         48
        .size:           4
        .value_kind:     by_value
      - .offset:         56
        .size:           8
        .value_kind:     by_value
      - .offset:         64
        .size:           8
        .value_kind:     by_value
      - .address_space:  global
        .offset:         72
        .size:           8
        .value_kind:     global_buffer
      - .offset:         80
        .size:           4
        .value_kind:     by_value
      - .offset:         88
        .size:           8
        .value_kind:     by_value
      - .offset:         96
        .size:           4
        .value_kind:     by_value
    .group_segment_fixed_size: 4096
    .kernarg_segment_align: 8
    .kernarg_segment_size: 100
    .language:       OpenCL C
    .language_version:
      - 2
      - 0
    .max_flat_workgroup_size: 256
    .name:           _ZL32rocblas_syrkx_herkx_small_kernelIi19rocblas_complex_numIfELi16ELb0ELb1ELc84ELc76EKS1_S1_EviT_T0_PT6_S3_lS6_S3_lS4_PT7_S3_li
    .private_segment_fixed_size: 0
    .sgpr_count:     26
    .sgpr_spill_count: 0
    .symbol:         _ZL32rocblas_syrkx_herkx_small_kernelIi19rocblas_complex_numIfELi16ELb0ELb1ELc84ELc76EKS1_S1_EviT_T0_PT6_S3_lS6_S3_lS4_PT7_S3_li.kd
    .uniform_work_group_size: 1
    .uses_dynamic_stack: false
    .vgpr_count:     68
    .vgpr_spill_count: 0
    .wavefront_size: 32
    .workgroup_processor_mode: 1
  - .args:
      - .offset:         0
        .size:           4
        .value_kind:     by_value
      - .offset:         4
        .size:           4
        .value_kind:     by_value
      - .offset:         8
        .size:           8
        .value_kind:     by_value
      - .address_space:  global
        .offset:         16
        .size:           8
        .value_kind:     global_buffer
      - .offset:         24
        .size:           4
        .value_kind:     by_value
      - .offset:         32
        .size:           8
        .value_kind:     by_value
      - .address_space:  global
        .offset:         40
        .size:           8
        .value_kind:     global_buffer
      - .offset:         48
        .size:           4
        .value_kind:     by_value
      - .offset:         56
        .size:           8
        .value_kind:     by_value
      - .offset:         64
        .size:           8
        .value_kind:     by_value
      - .address_space:  global
        .offset:         72
        .size:           8
        .value_kind:     global_buffer
      - .offset:         80
        .size:           4
        .value_kind:     by_value
      - .offset:         88
        .size:           8
        .value_kind:     by_value
      - .offset:         96
        .size:           4
        .value_kind:     by_value
    .group_segment_fixed_size: 4096
    .kernarg_segment_align: 8
    .kernarg_segment_size: 100
    .language:       OpenCL C
    .language_version:
      - 2
      - 0
    .max_flat_workgroup_size: 256
    .name:           _ZL32rocblas_syrkx_herkx_small_kernelIi19rocblas_complex_numIfELi16ELb0ELb1ELc67ELc76EKS1_S1_EviT_T0_PT6_S3_lS6_S3_lS4_PT7_S3_li
    .private_segment_fixed_size: 0
    .sgpr_count:     26
    .sgpr_spill_count: 0
    .symbol:         _ZL32rocblas_syrkx_herkx_small_kernelIi19rocblas_complex_numIfELi16ELb0ELb1ELc67ELc76EKS1_S1_EviT_T0_PT6_S3_lS6_S3_lS4_PT7_S3_li.kd
    .uniform_work_group_size: 1
    .uses_dynamic_stack: false
    .vgpr_count:     69
    .vgpr_spill_count: 0
    .wavefront_size: 32
    .workgroup_processor_mode: 1
  - .args:
      - .offset:         0
        .size:           4
        .value_kind:     by_value
      - .offset:         4
        .size:           4
        .value_kind:     by_value
      - .offset:         8
        .size:           8
        .value_kind:     by_value
      - .address_space:  global
        .offset:         16
        .size:           8
        .value_kind:     global_buffer
      - .offset:         24
        .size:           4
        .value_kind:     by_value
      - .offset:         32
        .size:           8
        .value_kind:     by_value
      - .address_space:  global
        .offset:         40
        .size:           8
        .value_kind:     global_buffer
      - .offset:         48
        .size:           4
        .value_kind:     by_value
      - .offset:         56
        .size:           8
        .value_kind:     by_value
      - .offset:         64
        .size:           8
        .value_kind:     by_value
      - .address_space:  global
        .offset:         72
        .size:           8
        .value_kind:     global_buffer
      - .offset:         80
        .size:           4
        .value_kind:     by_value
      - .offset:         88
        .size:           8
        .value_kind:     by_value
      - .offset:         96
        .size:           4
        .value_kind:     by_value
    .group_segment_fixed_size: 4096
    .kernarg_segment_align: 8
    .kernarg_segment_size: 100
    .language:       OpenCL C
    .language_version:
      - 2
      - 0
    .max_flat_workgroup_size: 256
    .name:           _ZL32rocblas_syrkx_herkx_small_kernelIi19rocblas_complex_numIfELi16ELb0ELb1ELc78ELc76EKS1_S1_EviT_T0_PT6_S3_lS6_S3_lS4_PT7_S3_li
    .private_segment_fixed_size: 0
    .sgpr_count:     30
    .sgpr_spill_count: 0
    .symbol:         _ZL32rocblas_syrkx_herkx_small_kernelIi19rocblas_complex_numIfELi16ELb0ELb1ELc78ELc76EKS1_S1_EviT_T0_PT6_S3_lS6_S3_lS4_PT7_S3_li.kd
    .uniform_work_group_size: 1
    .uses_dynamic_stack: false
    .vgpr_count:     70
    .vgpr_spill_count: 0
    .wavefront_size: 32
    .workgroup_processor_mode: 1
  - .args:
      - .offset:         0
        .size:           4
        .value_kind:     by_value
      - .offset:         4
        .size:           4
        .value_kind:     by_value
      - .offset:         8
        .size:           8
        .value_kind:     by_value
      - .address_space:  global
        .offset:         16
        .size:           8
        .value_kind:     global_buffer
      - .offset:         24
        .size:           4
        .value_kind:     by_value
      - .offset:         32
        .size:           8
        .value_kind:     by_value
      - .address_space:  global
        .offset:         40
        .size:           8
        .value_kind:     global_buffer
      - .offset:         48
        .size:           4
        .value_kind:     by_value
      - .offset:         56
        .size:           8
        .value_kind:     by_value
      - .offset:         64
        .size:           8
        .value_kind:     by_value
      - .address_space:  global
        .offset:         72
        .size:           8
        .value_kind:     global_buffer
      - .offset:         80
        .size:           4
        .value_kind:     by_value
      - .offset:         88
        .size:           8
        .value_kind:     by_value
      - .offset:         96
        .size:           4
        .value_kind:     by_value
    .group_segment_fixed_size: 4096
    .kernarg_segment_align: 8
    .kernarg_segment_size: 100
    .language:       OpenCL C
    .language_version:
      - 2
      - 0
    .max_flat_workgroup_size: 256
    .name:           _ZL32rocblas_syrkx_herkx_small_kernelIi19rocblas_complex_numIfELi16ELb0ELb1ELc84ELc85EKS1_S1_EviT_T0_PT6_S3_lS6_S3_lS4_PT7_S3_li
    .private_segment_fixed_size: 0
    .sgpr_count:     26
    .sgpr_spill_count: 0
    .symbol:         _ZL32rocblas_syrkx_herkx_small_kernelIi19rocblas_complex_numIfELi16ELb0ELb1ELc84ELc85EKS1_S1_EviT_T0_PT6_S3_lS6_S3_lS4_PT7_S3_li.kd
    .uniform_work_group_size: 1
    .uses_dynamic_stack: false
    .vgpr_count:     68
    .vgpr_spill_count: 0
    .wavefront_size: 32
    .workgroup_processor_mode: 1
  - .args:
      - .offset:         0
        .size:           4
        .value_kind:     by_value
      - .offset:         4
        .size:           4
        .value_kind:     by_value
      - .offset:         8
        .size:           8
        .value_kind:     by_value
      - .address_space:  global
        .offset:         16
        .size:           8
        .value_kind:     global_buffer
      - .offset:         24
        .size:           4
        .value_kind:     by_value
      - .offset:         32
        .size:           8
        .value_kind:     by_value
      - .address_space:  global
        .offset:         40
        .size:           8
        .value_kind:     global_buffer
      - .offset:         48
        .size:           4
        .value_kind:     by_value
      - .offset:         56
        .size:           8
        .value_kind:     by_value
      - .offset:         64
        .size:           8
        .value_kind:     by_value
      - .address_space:  global
        .offset:         72
        .size:           8
        .value_kind:     global_buffer
      - .offset:         80
        .size:           4
        .value_kind:     by_value
      - .offset:         88
        .size:           8
        .value_kind:     by_value
      - .offset:         96
        .size:           4
        .value_kind:     by_value
    .group_segment_fixed_size: 4096
    .kernarg_segment_align: 8
    .kernarg_segment_size: 100
    .language:       OpenCL C
    .language_version:
      - 2
      - 0
    .max_flat_workgroup_size: 256
    .name:           _ZL32rocblas_syrkx_herkx_small_kernelIi19rocblas_complex_numIfELi16ELb0ELb1ELc67ELc85EKS1_S1_EviT_T0_PT6_S3_lS6_S3_lS4_PT7_S3_li
    .private_segment_fixed_size: 0
    .sgpr_count:     26
    .sgpr_spill_count: 0
    .symbol:         _ZL32rocblas_syrkx_herkx_small_kernelIi19rocblas_complex_numIfELi16ELb0ELb1ELc67ELc85EKS1_S1_EviT_T0_PT6_S3_lS6_S3_lS4_PT7_S3_li.kd
    .uniform_work_group_size: 1
    .uses_dynamic_stack: false
    .vgpr_count:     69
    .vgpr_spill_count: 0
    .wavefront_size: 32
    .workgroup_processor_mode: 1
  - .args:
      - .offset:         0
        .size:           4
        .value_kind:     by_value
      - .offset:         4
        .size:           4
        .value_kind:     by_value
      - .offset:         8
        .size:           8
        .value_kind:     by_value
      - .address_space:  global
        .offset:         16
        .size:           8
        .value_kind:     global_buffer
      - .offset:         24
        .size:           4
        .value_kind:     by_value
      - .offset:         32
        .size:           8
        .value_kind:     by_value
      - .address_space:  global
        .offset:         40
        .size:           8
        .value_kind:     global_buffer
      - .offset:         48
        .size:           4
        .value_kind:     by_value
      - .offset:         56
        .size:           8
        .value_kind:     by_value
      - .offset:         64
        .size:           8
        .value_kind:     by_value
      - .address_space:  global
        .offset:         72
        .size:           8
        .value_kind:     global_buffer
      - .offset:         80
        .size:           4
        .value_kind:     by_value
      - .offset:         88
        .size:           8
        .value_kind:     by_value
      - .offset:         96
        .size:           4
        .value_kind:     by_value
    .group_segment_fixed_size: 4096
    .kernarg_segment_align: 8
    .kernarg_segment_size: 100
    .language:       OpenCL C
    .language_version:
      - 2
      - 0
    .max_flat_workgroup_size: 256
    .name:           _ZL32rocblas_syrkx_herkx_small_kernelIi19rocblas_complex_numIfELi16ELb0ELb1ELc78ELc85EKS1_S1_EviT_T0_PT6_S3_lS6_S3_lS4_PT7_S3_li
    .private_segment_fixed_size: 0
    .sgpr_count:     30
    .sgpr_spill_count: 0
    .symbol:         _ZL32rocblas_syrkx_herkx_small_kernelIi19rocblas_complex_numIfELi16ELb0ELb1ELc78ELc85EKS1_S1_EviT_T0_PT6_S3_lS6_S3_lS4_PT7_S3_li.kd
    .uniform_work_group_size: 1
    .uses_dynamic_stack: false
    .vgpr_count:     70
    .vgpr_spill_count: 0
    .wavefront_size: 32
    .workgroup_processor_mode: 1
  - .args:
      - .offset:         0
        .size:           4
        .value_kind:     by_value
      - .offset:         4
        .size:           4
        .value_kind:     by_value
      - .offset:         8
        .size:           8
        .value_kind:     by_value
      - .address_space:  global
        .offset:         16
        .size:           8
        .value_kind:     global_buffer
      - .offset:         24
        .size:           4
        .value_kind:     by_value
      - .offset:         32
        .size:           8
        .value_kind:     by_value
      - .address_space:  global
        .offset:         40
        .size:           8
        .value_kind:     global_buffer
      - .offset:         48
        .size:           4
        .value_kind:     by_value
      - .offset:         56
        .size:           8
        .value_kind:     by_value
      - .offset:         64
        .size:           8
        .value_kind:     by_value
      - .address_space:  global
        .offset:         72
        .size:           8
        .value_kind:     global_buffer
      - .offset:         80
        .size:           4
        .value_kind:     by_value
      - .offset:         88
        .size:           8
        .value_kind:     by_value
      - .offset:         96
        .size:           4
        .value_kind:     by_value
    .group_segment_fixed_size: 4096
    .kernarg_segment_align: 8
    .kernarg_segment_size: 100
    .language:       OpenCL C
    .language_version:
      - 2
      - 0
    .max_flat_workgroup_size: 256
    .name:           _ZL34rocblas_syrkx_herkx_general_kernelIi19rocblas_complex_numIfELi16ELi32ELi8ELb1ELb1ELc84ELc76EKS1_S1_EviT_T0_PT8_S3_lS6_S3_lS4_PT9_S3_li
    .private_segment_fixed_size: 0
    .sgpr_count:     23
    .sgpr_spill_count: 0
    .symbol:         _ZL34rocblas_syrkx_herkx_general_kernelIi19rocblas_complex_numIfELi16ELi32ELi8ELb1ELb1ELc84ELc76EKS1_S1_EviT_T0_PT8_S3_lS6_S3_lS4_PT9_S3_li.kd
    .uniform_work_group_size: 1
    .uses_dynamic_stack: false
    .vgpr_count:     59
    .vgpr_spill_count: 0
    .wavefront_size: 32
    .workgroup_processor_mode: 1
  - .args:
      - .offset:         0
        .size:           4
        .value_kind:     by_value
      - .offset:         4
        .size:           4
        .value_kind:     by_value
      - .offset:         8
        .size:           8
        .value_kind:     by_value
      - .address_space:  global
        .offset:         16
        .size:           8
        .value_kind:     global_buffer
      - .offset:         24
        .size:           4
        .value_kind:     by_value
      - .offset:         32
        .size:           8
        .value_kind:     by_value
      - .address_space:  global
        .offset:         40
        .size:           8
        .value_kind:     global_buffer
      - .offset:         48
        .size:           4
        .value_kind:     by_value
      - .offset:         56
        .size:           8
        .value_kind:     by_value
      - .offset:         64
        .size:           8
        .value_kind:     by_value
      - .address_space:  global
        .offset:         72
        .size:           8
        .value_kind:     global_buffer
      - .offset:         80
        .size:           4
        .value_kind:     by_value
      - .offset:         88
        .size:           8
        .value_kind:     by_value
      - .offset:         96
        .size:           4
        .value_kind:     by_value
    .group_segment_fixed_size: 4096
    .kernarg_segment_align: 8
    .kernarg_segment_size: 100
    .language:       OpenCL C
    .language_version:
      - 2
      - 0
    .max_flat_workgroup_size: 256
    .name:           _ZL34rocblas_syrkx_herkx_general_kernelIi19rocblas_complex_numIfELi16ELi32ELi8ELb1ELb1ELc67ELc76EKS1_S1_EviT_T0_PT8_S3_lS6_S3_lS4_PT9_S3_li
    .private_segment_fixed_size: 0
    .sgpr_count:     23
    .sgpr_spill_count: 0
    .symbol:         _ZL34rocblas_syrkx_herkx_general_kernelIi19rocblas_complex_numIfELi16ELi32ELi8ELb1ELb1ELc67ELc76EKS1_S1_EviT_T0_PT8_S3_lS6_S3_lS4_PT9_S3_li.kd
    .uniform_work_group_size: 1
    .uses_dynamic_stack: false
    .vgpr_count:     60
    .vgpr_spill_count: 0
    .wavefront_size: 32
    .workgroup_processor_mode: 1
  - .args:
      - .offset:         0
        .size:           4
        .value_kind:     by_value
      - .offset:         4
        .size:           4
        .value_kind:     by_value
      - .offset:         8
        .size:           8
        .value_kind:     by_value
      - .address_space:  global
        .offset:         16
        .size:           8
        .value_kind:     global_buffer
      - .offset:         24
        .size:           4
        .value_kind:     by_value
      - .offset:         32
        .size:           8
        .value_kind:     by_value
      - .address_space:  global
        .offset:         40
        .size:           8
        .value_kind:     global_buffer
      - .offset:         48
        .size:           4
        .value_kind:     by_value
      - .offset:         56
        .size:           8
        .value_kind:     by_value
      - .offset:         64
        .size:           8
        .value_kind:     by_value
      - .address_space:  global
        .offset:         72
        .size:           8
        .value_kind:     global_buffer
      - .offset:         80
        .size:           4
        .value_kind:     by_value
      - .offset:         88
        .size:           8
        .value_kind:     by_value
      - .offset:         96
        .size:           4
        .value_kind:     by_value
    .group_segment_fixed_size: 4096
    .kernarg_segment_align: 8
    .kernarg_segment_size: 100
    .language:       OpenCL C
    .language_version:
      - 2
      - 0
    .max_flat_workgroup_size: 256
    .name:           _ZL34rocblas_syrkx_herkx_general_kernelIi19rocblas_complex_numIfELi16ELi32ELi8ELb1ELb1ELc78ELc76EKS1_S1_EviT_T0_PT8_S3_lS6_S3_lS4_PT9_S3_li
    .private_segment_fixed_size: 0
    .sgpr_count:     26
    .sgpr_spill_count: 0
    .symbol:         _ZL34rocblas_syrkx_herkx_general_kernelIi19rocblas_complex_numIfELi16ELi32ELi8ELb1ELb1ELc78ELc76EKS1_S1_EviT_T0_PT8_S3_lS6_S3_lS4_PT9_S3_li.kd
    .uniform_work_group_size: 1
    .uses_dynamic_stack: false
    .vgpr_count:     60
    .vgpr_spill_count: 0
    .wavefront_size: 32
    .workgroup_processor_mode: 1
  - .args:
      - .offset:         0
        .size:           4
        .value_kind:     by_value
      - .offset:         4
        .size:           4
        .value_kind:     by_value
      - .offset:         8
        .size:           8
        .value_kind:     by_value
      - .address_space:  global
        .offset:         16
        .size:           8
        .value_kind:     global_buffer
      - .offset:         24
        .size:           4
        .value_kind:     by_value
      - .offset:         32
        .size:           8
        .value_kind:     by_value
      - .address_space:  global
        .offset:         40
        .size:           8
        .value_kind:     global_buffer
      - .offset:         48
        .size:           4
        .value_kind:     by_value
      - .offset:         56
        .size:           8
        .value_kind:     by_value
      - .offset:         64
        .size:           8
        .value_kind:     by_value
      - .address_space:  global
        .offset:         72
        .size:           8
        .value_kind:     global_buffer
      - .offset:         80
        .size:           4
        .value_kind:     by_value
      - .offset:         88
        .size:           8
        .value_kind:     by_value
      - .offset:         96
        .size:           4
        .value_kind:     by_value
    .group_segment_fixed_size: 4096
    .kernarg_segment_align: 8
    .kernarg_segment_size: 100
    .language:       OpenCL C
    .language_version:
      - 2
      - 0
    .max_flat_workgroup_size: 256
    .name:           _ZL34rocblas_syrkx_herkx_general_kernelIi19rocblas_complex_numIfELi16ELi32ELi8ELb1ELb1ELc84ELc85EKS1_S1_EviT_T0_PT8_S3_lS6_S3_lS4_PT9_S3_li
    .private_segment_fixed_size: 0
    .sgpr_count:     23
    .sgpr_spill_count: 0
    .symbol:         _ZL34rocblas_syrkx_herkx_general_kernelIi19rocblas_complex_numIfELi16ELi32ELi8ELb1ELb1ELc84ELc85EKS1_S1_EviT_T0_PT8_S3_lS6_S3_lS4_PT9_S3_li.kd
    .uniform_work_group_size: 1
    .uses_dynamic_stack: false
    .vgpr_count:     59
    .vgpr_spill_count: 0
    .wavefront_size: 32
    .workgroup_processor_mode: 1
  - .args:
      - .offset:         0
        .size:           4
        .value_kind:     by_value
      - .offset:         4
        .size:           4
        .value_kind:     by_value
      - .offset:         8
        .size:           8
        .value_kind:     by_value
      - .address_space:  global
        .offset:         16
        .size:           8
        .value_kind:     global_buffer
      - .offset:         24
        .size:           4
        .value_kind:     by_value
      - .offset:         32
        .size:           8
        .value_kind:     by_value
      - .address_space:  global
        .offset:         40
        .size:           8
        .value_kind:     global_buffer
      - .offset:         48
        .size:           4
        .value_kind:     by_value
      - .offset:         56
        .size:           8
        .value_kind:     by_value
      - .offset:         64
        .size:           8
        .value_kind:     by_value
      - .address_space:  global
        .offset:         72
        .size:           8
        .value_kind:     global_buffer
      - .offset:         80
        .size:           4
        .value_kind:     by_value
      - .offset:         88
        .size:           8
        .value_kind:     by_value
      - .offset:         96
        .size:           4
        .value_kind:     by_value
    .group_segment_fixed_size: 4096
    .kernarg_segment_align: 8
    .kernarg_segment_size: 100
    .language:       OpenCL C
    .language_version:
      - 2
      - 0
    .max_flat_workgroup_size: 256
    .name:           _ZL34rocblas_syrkx_herkx_general_kernelIi19rocblas_complex_numIfELi16ELi32ELi8ELb1ELb1ELc67ELc85EKS1_S1_EviT_T0_PT8_S3_lS6_S3_lS4_PT9_S3_li
    .private_segment_fixed_size: 0
    .sgpr_count:     23
    .sgpr_spill_count: 0
    .symbol:         _ZL34rocblas_syrkx_herkx_general_kernelIi19rocblas_complex_numIfELi16ELi32ELi8ELb1ELb1ELc67ELc85EKS1_S1_EviT_T0_PT8_S3_lS6_S3_lS4_PT9_S3_li.kd
    .uniform_work_group_size: 1
    .uses_dynamic_stack: false
    .vgpr_count:     60
    .vgpr_spill_count: 0
    .wavefront_size: 32
    .workgroup_processor_mode: 1
  - .args:
      - .offset:         0
        .size:           4
        .value_kind:     by_value
      - .offset:         4
        .size:           4
        .value_kind:     by_value
      - .offset:         8
        .size:           8
        .value_kind:     by_value
      - .address_space:  global
        .offset:         16
        .size:           8
        .value_kind:     global_buffer
      - .offset:         24
        .size:           4
        .value_kind:     by_value
      - .offset:         32
        .size:           8
        .value_kind:     by_value
      - .address_space:  global
        .offset:         40
        .size:           8
        .value_kind:     global_buffer
      - .offset:         48
        .size:           4
        .value_kind:     by_value
      - .offset:         56
        .size:           8
        .value_kind:     by_value
      - .offset:         64
        .size:           8
        .value_kind:     by_value
      - .address_space:  global
        .offset:         72
        .size:           8
        .value_kind:     global_buffer
      - .offset:         80
        .size:           4
        .value_kind:     by_value
      - .offset:         88
        .size:           8
        .value_kind:     by_value
      - .offset:         96
        .size:           4
        .value_kind:     by_value
    .group_segment_fixed_size: 4096
    .kernarg_segment_align: 8
    .kernarg_segment_size: 100
    .language:       OpenCL C
    .language_version:
      - 2
      - 0
    .max_flat_workgroup_size: 256
    .name:           _ZL34rocblas_syrkx_herkx_general_kernelIi19rocblas_complex_numIfELi16ELi32ELi8ELb1ELb1ELc78ELc85EKS1_S1_EviT_T0_PT8_S3_lS6_S3_lS4_PT9_S3_li
    .private_segment_fixed_size: 0
    .sgpr_count:     26
    .sgpr_spill_count: 0
    .symbol:         _ZL34rocblas_syrkx_herkx_general_kernelIi19rocblas_complex_numIfELi16ELi32ELi8ELb1ELb1ELc78ELc85EKS1_S1_EviT_T0_PT8_S3_lS6_S3_lS4_PT9_S3_li.kd
    .uniform_work_group_size: 1
    .uses_dynamic_stack: false
    .vgpr_count:     60
    .vgpr_spill_count: 0
    .wavefront_size: 32
    .workgroup_processor_mode: 1
  - .args:
      - .offset:         0
        .size:           4
        .value_kind:     by_value
      - .offset:         4
        .size:           4
        .value_kind:     by_value
      - .offset:         8
        .size:           8
        .value_kind:     by_value
      - .address_space:  global
        .offset:         16
        .size:           8
        .value_kind:     global_buffer
      - .offset:         24
        .size:           4
        .value_kind:     by_value
      - .offset:         32
        .size:           8
        .value_kind:     by_value
      - .address_space:  global
        .offset:         40
        .size:           8
        .value_kind:     global_buffer
      - .offset:         48
        .size:           4
        .value_kind:     by_value
      - .offset:         56
        .size:           8
        .value_kind:     by_value
      - .offset:         64
        .size:           8
        .value_kind:     by_value
      - .address_space:  global
        .offset:         72
        .size:           8
        .value_kind:     global_buffer
      - .offset:         80
        .size:           4
        .value_kind:     by_value
      - .offset:         88
        .size:           8
        .value_kind:     by_value
      - .offset:         96
        .size:           4
        .value_kind:     by_value
    .group_segment_fixed_size: 4096
    .kernarg_segment_align: 8
    .kernarg_segment_size: 100
    .language:       OpenCL C
    .language_version:
      - 2
      - 0
    .max_flat_workgroup_size: 256
    .name:           _ZL34rocblas_syrkx_herkx_general_kernelIi19rocblas_complex_numIfELi16ELi32ELi8ELb0ELb1ELc84ELc76EKS1_S1_EviT_T0_PT8_S3_lS6_S3_lS4_PT9_S3_li
    .private_segment_fixed_size: 0
    .sgpr_count:     27
    .sgpr_spill_count: 0
    .symbol:         _ZL34rocblas_syrkx_herkx_general_kernelIi19rocblas_complex_numIfELi16ELi32ELi8ELb0ELb1ELc84ELc76EKS1_S1_EviT_T0_PT8_S3_lS6_S3_lS4_PT9_S3_li.kd
    .uniform_work_group_size: 1
    .uses_dynamic_stack: false
    .vgpr_count:     59
    .vgpr_spill_count: 0
    .wavefront_size: 32
    .workgroup_processor_mode: 1
  - .args:
      - .offset:         0
        .size:           4
        .value_kind:     by_value
      - .offset:         4
        .size:           4
        .value_kind:     by_value
      - .offset:         8
        .size:           8
        .value_kind:     by_value
      - .address_space:  global
        .offset:         16
        .size:           8
        .value_kind:     global_buffer
      - .offset:         24
        .size:           4
        .value_kind:     by_value
      - .offset:         32
        .size:           8
        .value_kind:     by_value
      - .address_space:  global
        .offset:         40
        .size:           8
        .value_kind:     global_buffer
      - .offset:         48
        .size:           4
        .value_kind:     by_value
      - .offset:         56
        .size:           8
        .value_kind:     by_value
      - .offset:         64
        .size:           8
        .value_kind:     by_value
      - .address_space:  global
        .offset:         72
        .size:           8
        .value_kind:     global_buffer
      - .offset:         80
        .size:           4
        .value_kind:     by_value
      - .offset:         88
        .size:           8
        .value_kind:     by_value
      - .offset:         96
        .size:           4
        .value_kind:     by_value
    .group_segment_fixed_size: 4096
    .kernarg_segment_align: 8
    .kernarg_segment_size: 100
    .language:       OpenCL C
    .language_version:
      - 2
      - 0
    .max_flat_workgroup_size: 256
    .name:           _ZL34rocblas_syrkx_herkx_general_kernelIi19rocblas_complex_numIfELi16ELi32ELi8ELb0ELb1ELc67ELc76EKS1_S1_EviT_T0_PT8_S3_lS6_S3_lS4_PT9_S3_li
    .private_segment_fixed_size: 0
    .sgpr_count:     27
    .sgpr_spill_count: 0
    .symbol:         _ZL34rocblas_syrkx_herkx_general_kernelIi19rocblas_complex_numIfELi16ELi32ELi8ELb0ELb1ELc67ELc76EKS1_S1_EviT_T0_PT8_S3_lS6_S3_lS4_PT9_S3_li.kd
    .uniform_work_group_size: 1
    .uses_dynamic_stack: false
    .vgpr_count:     60
    .vgpr_spill_count: 0
    .wavefront_size: 32
    .workgroup_processor_mode: 1
  - .args:
      - .offset:         0
        .size:           4
        .value_kind:     by_value
      - .offset:         4
        .size:           4
        .value_kind:     by_value
      - .offset:         8
        .size:           8
        .value_kind:     by_value
      - .address_space:  global
        .offset:         16
        .size:           8
        .value_kind:     global_buffer
      - .offset:         24
        .size:           4
        .value_kind:     by_value
      - .offset:         32
        .size:           8
        .value_kind:     by_value
      - .address_space:  global
        .offset:         40
        .size:           8
        .value_kind:     global_buffer
      - .offset:         48
        .size:           4
        .value_kind:     by_value
      - .offset:         56
        .size:           8
        .value_kind:     by_value
      - .offset:         64
        .size:           8
        .value_kind:     by_value
      - .address_space:  global
        .offset:         72
        .size:           8
        .value_kind:     global_buffer
      - .offset:         80
        .size:           4
        .value_kind:     by_value
      - .offset:         88
        .size:           8
        .value_kind:     by_value
      - .offset:         96
        .size:           4
        .value_kind:     by_value
    .group_segment_fixed_size: 4096
    .kernarg_segment_align: 8
    .kernarg_segment_size: 100
    .language:       OpenCL C
    .language_version:
      - 2
      - 0
    .max_flat_workgroup_size: 256
    .name:           _ZL34rocblas_syrkx_herkx_general_kernelIi19rocblas_complex_numIfELi16ELi32ELi8ELb0ELb1ELc78ELc76EKS1_S1_EviT_T0_PT8_S3_lS6_S3_lS4_PT9_S3_li
    .private_segment_fixed_size: 0
    .sgpr_count:     30
    .sgpr_spill_count: 0
    .symbol:         _ZL34rocblas_syrkx_herkx_general_kernelIi19rocblas_complex_numIfELi16ELi32ELi8ELb0ELb1ELc78ELc76EKS1_S1_EviT_T0_PT8_S3_lS6_S3_lS4_PT9_S3_li.kd
    .uniform_work_group_size: 1
    .uses_dynamic_stack: false
    .vgpr_count:     60
    .vgpr_spill_count: 0
    .wavefront_size: 32
    .workgroup_processor_mode: 1
  - .args:
      - .offset:         0
        .size:           4
        .value_kind:     by_value
      - .offset:         4
        .size:           4
        .value_kind:     by_value
      - .offset:         8
        .size:           8
        .value_kind:     by_value
      - .address_space:  global
        .offset:         16
        .size:           8
        .value_kind:     global_buffer
      - .offset:         24
        .size:           4
        .value_kind:     by_value
      - .offset:         32
        .size:           8
        .value_kind:     by_value
      - .address_space:  global
        .offset:         40
        .size:           8
        .value_kind:     global_buffer
      - .offset:         48
        .size:           4
        .value_kind:     by_value
      - .offset:         56
        .size:           8
        .value_kind:     by_value
      - .offset:         64
        .size:           8
        .value_kind:     by_value
      - .address_space:  global
        .offset:         72
        .size:           8
        .value_kind:     global_buffer
      - .offset:         80
        .size:           4
        .value_kind:     by_value
      - .offset:         88
        .size:           8
        .value_kind:     by_value
      - .offset:         96
        .size:           4
        .value_kind:     by_value
    .group_segment_fixed_size: 4096
    .kernarg_segment_align: 8
    .kernarg_segment_size: 100
    .language:       OpenCL C
    .language_version:
      - 2
      - 0
    .max_flat_workgroup_size: 256
    .name:           _ZL34rocblas_syrkx_herkx_general_kernelIi19rocblas_complex_numIfELi16ELi32ELi8ELb0ELb1ELc84ELc85EKS1_S1_EviT_T0_PT8_S3_lS6_S3_lS4_PT9_S3_li
    .private_segment_fixed_size: 0
    .sgpr_count:     27
    .sgpr_spill_count: 0
    .symbol:         _ZL34rocblas_syrkx_herkx_general_kernelIi19rocblas_complex_numIfELi16ELi32ELi8ELb0ELb1ELc84ELc85EKS1_S1_EviT_T0_PT8_S3_lS6_S3_lS4_PT9_S3_li.kd
    .uniform_work_group_size: 1
    .uses_dynamic_stack: false
    .vgpr_count:     59
    .vgpr_spill_count: 0
    .wavefront_size: 32
    .workgroup_processor_mode: 1
  - .args:
      - .offset:         0
        .size:           4
        .value_kind:     by_value
      - .offset:         4
        .size:           4
        .value_kind:     by_value
      - .offset:         8
        .size:           8
        .value_kind:     by_value
      - .address_space:  global
        .offset:         16
        .size:           8
        .value_kind:     global_buffer
      - .offset:         24
        .size:           4
        .value_kind:     by_value
      - .offset:         32
        .size:           8
        .value_kind:     by_value
      - .address_space:  global
        .offset:         40
        .size:           8
        .value_kind:     global_buffer
      - .offset:         48
        .size:           4
        .value_kind:     by_value
      - .offset:         56
        .size:           8
        .value_kind:     by_value
      - .offset:         64
        .size:           8
        .value_kind:     by_value
      - .address_space:  global
        .offset:         72
        .size:           8
        .value_kind:     global_buffer
      - .offset:         80
        .size:           4
        .value_kind:     by_value
      - .offset:         88
        .size:           8
        .value_kind:     by_value
      - .offset:         96
        .size:           4
        .value_kind:     by_value
    .group_segment_fixed_size: 4096
    .kernarg_segment_align: 8
    .kernarg_segment_size: 100
    .language:       OpenCL C
    .language_version:
      - 2
      - 0
    .max_flat_workgroup_size: 256
    .name:           _ZL34rocblas_syrkx_herkx_general_kernelIi19rocblas_complex_numIfELi16ELi32ELi8ELb0ELb1ELc67ELc85EKS1_S1_EviT_T0_PT8_S3_lS6_S3_lS4_PT9_S3_li
    .private_segment_fixed_size: 0
    .sgpr_count:     27
    .sgpr_spill_count: 0
    .symbol:         _ZL34rocblas_syrkx_herkx_general_kernelIi19rocblas_complex_numIfELi16ELi32ELi8ELb0ELb1ELc67ELc85EKS1_S1_EviT_T0_PT8_S3_lS6_S3_lS4_PT9_S3_li.kd
    .uniform_work_group_size: 1
    .uses_dynamic_stack: false
    .vgpr_count:     60
    .vgpr_spill_count: 0
    .wavefront_size: 32
    .workgroup_processor_mode: 1
  - .args:
      - .offset:         0
        .size:           4
        .value_kind:     by_value
      - .offset:         4
        .size:           4
        .value_kind:     by_value
      - .offset:         8
        .size:           8
        .value_kind:     by_value
      - .address_space:  global
        .offset:         16
        .size:           8
        .value_kind:     global_buffer
      - .offset:         24
        .size:           4
        .value_kind:     by_value
      - .offset:         32
        .size:           8
        .value_kind:     by_value
      - .address_space:  global
        .offset:         40
        .size:           8
        .value_kind:     global_buffer
      - .offset:         48
        .size:           4
        .value_kind:     by_value
      - .offset:         56
        .size:           8
        .value_kind:     by_value
      - .offset:         64
        .size:           8
        .value_kind:     by_value
      - .address_space:  global
        .offset:         72
        .size:           8
        .value_kind:     global_buffer
      - .offset:         80
        .size:           4
        .value_kind:     by_value
      - .offset:         88
        .size:           8
        .value_kind:     by_value
      - .offset:         96
        .size:           4
        .value_kind:     by_value
    .group_segment_fixed_size: 4096
    .kernarg_segment_align: 8
    .kernarg_segment_size: 100
    .language:       OpenCL C
    .language_version:
      - 2
      - 0
    .max_flat_workgroup_size: 256
    .name:           _ZL34rocblas_syrkx_herkx_general_kernelIi19rocblas_complex_numIfELi16ELi32ELi8ELb0ELb1ELc78ELc85EKS1_S1_EviT_T0_PT8_S3_lS6_S3_lS4_PT9_S3_li
    .private_segment_fixed_size: 0
    .sgpr_count:     30
    .sgpr_spill_count: 0
    .symbol:         _ZL34rocblas_syrkx_herkx_general_kernelIi19rocblas_complex_numIfELi16ELi32ELi8ELb0ELb1ELc78ELc85EKS1_S1_EviT_T0_PT8_S3_lS6_S3_lS4_PT9_S3_li.kd
    .uniform_work_group_size: 1
    .uses_dynamic_stack: false
    .vgpr_count:     60
    .vgpr_spill_count: 0
    .wavefront_size: 32
    .workgroup_processor_mode: 1
  - .args:
      - .offset:         0
        .size:           1
        .value_kind:     by_value
      - .offset:         4
        .size:           4
        .value_kind:     by_value
      - .offset:         8
        .size:           4
        .value_kind:     by_value
      - .offset:         12
        .size:           8
        .value_kind:     by_value
      - .offset:         20
        .size:           8
        .value_kind:     by_value
      - .address_space:  global
        .offset:         32
        .size:           8
        .value_kind:     global_buffer
      - .offset:         40
        .size:           4
        .value_kind:     by_value
      - .offset:         48
        .size:           8
        .value_kind:     by_value
      - .offset:         56
        .size:           4
        .value_kind:     by_value
      - .offset:         64
        .size:           4
        .value_kind:     hidden_block_count_x
      - .offset:         68
        .size:           4
        .value_kind:     hidden_block_count_y
      - .offset:         72
        .size:           4
        .value_kind:     hidden_block_count_z
      - .offset:         76
        .size:           2
        .value_kind:     hidden_group_size_x
      - .offset:         78
        .size:           2
        .value_kind:     hidden_group_size_y
      - .offset:         80
        .size:           2
        .value_kind:     hidden_group_size_z
      - .offset:         82
        .size:           2
        .value_kind:     hidden_remainder_x
      - .offset:         84
        .size:           2
        .value_kind:     hidden_remainder_y
      - .offset:         86
        .size:           2
        .value_kind:     hidden_remainder_z
      - .offset:         104
        .size:           8
        .value_kind:     hidden_global_offset_x
      - .offset:         112
        .size:           8
        .value_kind:     hidden_global_offset_y
      - .offset:         120
        .size:           8
        .value_kind:     hidden_global_offset_z
      - .offset:         128
        .size:           2
        .value_kind:     hidden_grid_dims
    .group_segment_fixed_size: 0
    .kernarg_segment_align: 8
    .kernarg_segment_size: 320
    .language:       OpenCL C
    .language_version:
      - 2
      - 0
    .max_flat_workgroup_size: 1024
    .name:           _ZL26rocblas_syr2k_scale_kernelIiLi128ELi8ELb1E19rocblas_complex_numIfES1_PS1_EvbiT_T3_T4_T5_S3_li
    .private_segment_fixed_size: 0
    .sgpr_count:     18
    .sgpr_spill_count: 0
    .symbol:         _ZL26rocblas_syr2k_scale_kernelIiLi128ELi8ELb1E19rocblas_complex_numIfES1_PS1_EvbiT_T3_T4_T5_S3_li.kd
    .uniform_work_group_size: 1
    .uses_dynamic_stack: false
    .vgpr_count:     8
    .vgpr_spill_count: 0
    .wavefront_size: 32
    .workgroup_processor_mode: 1
  - .args:
      - .offset:         0
        .size:           1
        .value_kind:     by_value
      - .offset:         4
        .size:           4
        .value_kind:     by_value
      - .offset:         8
        .size:           4
        .value_kind:     by_value
      - .address_space:  global
        .offset:         16
        .size:           8
        .value_kind:     global_buffer
      - .address_space:  global
        .offset:         24
        .size:           8
        .value_kind:     global_buffer
      - .offset:         32
        .size:           4
        .value_kind:     by_value
      - .offset:         40
        .size:           8
        .value_kind:     by_value
      - .address_space:  global
        .offset:         48
        .size:           8
        .value_kind:     global_buffer
      - .offset:         56
        .size:           4
        .value_kind:     by_value
      - .offset:         64
        .size:           8
        .value_kind:     by_value
      - .address_space:  global
        .offset:         72
        .size:           8
        .value_kind:     global_buffer
      - .offset:         80
        .size:           4
        .value_kind:     by_value
      - .offset:         88
        .size:           8
        .value_kind:     by_value
      - .offset:         96
        .size:           4
        .value_kind:     by_value
    .group_segment_fixed_size: 16384
    .kernarg_segment_align: 8
    .kernarg_segment_size: 100
    .language:       OpenCL C
    .language_version:
      - 2
      - 0
    .max_flat_workgroup_size: 1024
    .name:           _ZL26rocblas_syr2k_her2k_kernelIiLb0ELb1ELb0ELi32EPK19rocblas_complex_numIfES3_PS1_EvbiT_T4_T5_S5_lS7_S5_lT6_S5_li
    .private_segment_fixed_size: 0
    .sgpr_count:     26
    .sgpr_spill_count: 0
    .symbol:         _ZL26rocblas_syr2k_her2k_kernelIiLb0ELb1ELb0ELi32EPK19rocblas_complex_numIfES3_PS1_EvbiT_T4_T5_S5_lS7_S5_lT6_S5_li.kd
    .uniform_work_group_size: 1
    .uses_dynamic_stack: false
    .vgpr_count:     39
    .vgpr_spill_count: 0
    .wavefront_size: 32
    .workgroup_processor_mode: 1
  - .args:
      - .offset:         0
        .size:           1
        .value_kind:     by_value
      - .offset:         4
        .size:           4
        .value_kind:     by_value
      - .offset:         8
        .size:           4
        .value_kind:     by_value
      - .address_space:  global
        .offset:         16
        .size:           8
        .value_kind:     global_buffer
      - .address_space:  global
        .offset:         24
        .size:           8
        .value_kind:     global_buffer
      - .offset:         32
        .size:           4
        .value_kind:     by_value
      - .offset:         40
        .size:           8
        .value_kind:     by_value
      - .address_space:  global
        .offset:         48
        .size:           8
        .value_kind:     global_buffer
      - .offset:         56
        .size:           4
        .value_kind:     by_value
      - .offset:         64
        .size:           8
        .value_kind:     by_value
      - .address_space:  global
        .offset:         72
        .size:           8
        .value_kind:     global_buffer
      - .offset:         80
        .size:           4
        .value_kind:     by_value
      - .offset:         88
        .size:           8
        .value_kind:     by_value
      - .offset:         96
        .size:           4
        .value_kind:     by_value
    .group_segment_fixed_size: 16384
    .kernarg_segment_align: 8
    .kernarg_segment_size: 100
    .language:       OpenCL C
    .language_version:
      - 2
      - 0
    .max_flat_workgroup_size: 1024
    .name:           _ZL26rocblas_syr2k_her2k_kernelIiLb0ELb1ELb1ELi32EPK19rocblas_complex_numIfES3_PS1_EvbiT_T4_T5_S5_lS7_S5_lT6_S5_li
    .private_segment_fixed_size: 0
    .sgpr_count:     26
    .sgpr_spill_count: 0
    .symbol:         _ZL26rocblas_syr2k_her2k_kernelIiLb0ELb1ELb1ELi32EPK19rocblas_complex_numIfES3_PS1_EvbiT_T4_T5_S5_lS7_S5_lT6_S5_li.kd
    .uniform_work_group_size: 1
    .uses_dynamic_stack: false
    .vgpr_count:     40
    .vgpr_spill_count: 0
    .wavefront_size: 32
    .workgroup_processor_mode: 1
  - .args:
      - .offset:         0
        .size:           1
        .value_kind:     by_value
      - .offset:         4
        .size:           4
        .value_kind:     by_value
      - .offset:         8
        .size:           4
        .value_kind:     by_value
      - .offset:         16
        .size:           16
        .value_kind:     by_value
      - .address_space:  global
        .offset:         32
        .size:           8
        .value_kind:     global_buffer
      - .offset:         40
        .size:           4
        .value_kind:     by_value
      - .offset:         48
        .size:           8
        .value_kind:     by_value
      - .address_space:  global
        .offset:         56
        .size:           8
        .value_kind:     global_buffer
      - .offset:         64
        .size:           4
        .value_kind:     by_value
      - .offset:         72
        .size:           8
        .value_kind:     by_value
      - .address_space:  global
        .offset:         80
        .size:           8
        .value_kind:     global_buffer
      - .offset:         88
        .size:           4
        .value_kind:     by_value
      - .offset:         96
        .size:           8
        .value_kind:     by_value
      - .offset:         104
        .size:           4
        .value_kind:     by_value
    .group_segment_fixed_size: 32768
    .kernarg_segment_align: 8
    .kernarg_segment_size: 108
    .language:       OpenCL C
    .language_version:
      - 2
      - 0
    .max_flat_workgroup_size: 1024
    .name:           _ZL26rocblas_syr2k_her2k_kernelIiLb0ELb1ELb0ELi32E19rocblas_complex_numIdEPKS1_PS1_EvbiT_T4_T5_S5_lS7_S5_lT6_S5_li
    .private_segment_fixed_size: 0
    .sgpr_count:     26
    .sgpr_spill_count: 0
    .symbol:         _ZL26rocblas_syr2k_her2k_kernelIiLb0ELb1ELb0ELi32E19rocblas_complex_numIdEPKS1_PS1_EvbiT_T4_T5_S5_lS7_S5_lT6_S5_li.kd
    .uniform_work_group_size: 1
    .uses_dynamic_stack: false
    .vgpr_count:     61
    .vgpr_spill_count: 0
    .wavefront_size: 32
    .workgroup_processor_mode: 1
  - .args:
      - .offset:         0
        .size:           1
        .value_kind:     by_value
      - .offset:         4
        .size:           4
        .value_kind:     by_value
      - .offset:         8
        .size:           4
        .value_kind:     by_value
      - .offset:         16
        .size:           16
        .value_kind:     by_value
      - .address_space:  global
        .offset:         32
        .size:           8
        .value_kind:     global_buffer
      - .offset:         40
        .size:           4
        .value_kind:     by_value
      - .offset:         48
        .size:           8
        .value_kind:     by_value
      - .address_space:  global
        .offset:         56
        .size:           8
        .value_kind:     global_buffer
      - .offset:         64
        .size:           4
        .value_kind:     by_value
      - .offset:         72
        .size:           8
        .value_kind:     by_value
      - .address_space:  global
        .offset:         80
        .size:           8
        .value_kind:     global_buffer
      - .offset:         88
        .size:           4
        .value_kind:     by_value
      - .offset:         96
        .size:           8
        .value_kind:     by_value
      - .offset:         104
        .size:           4
        .value_kind:     by_value
    .group_segment_fixed_size: 32768
    .kernarg_segment_align: 8
    .kernarg_segment_size: 108
    .language:       OpenCL C
    .language_version:
      - 2
      - 0
    .max_flat_workgroup_size: 1024
    .name:           _ZL26rocblas_syr2k_her2k_kernelIiLb0ELb1ELb1ELi32E19rocblas_complex_numIdEPKS1_PS1_EvbiT_T4_T5_S5_lS7_S5_lT6_S5_li
    .private_segment_fixed_size: 0
    .sgpr_count:     26
    .sgpr_spill_count: 0
    .symbol:         _ZL26rocblas_syr2k_her2k_kernelIiLb0ELb1ELb1ELi32E19rocblas_complex_numIdEPKS1_PS1_EvbiT_T4_T5_S5_lS7_S5_lT6_S5_li.kd
    .uniform_work_group_size: 1
    .uses_dynamic_stack: false
    .vgpr_count:     61
    .vgpr_spill_count: 0
    .wavefront_size: 32
    .workgroup_processor_mode: 1
  - .args:
      - .offset:         0
        .size:           4
        .value_kind:     by_value
      - .offset:         4
        .size:           4
        .value_kind:     by_value
      - .address_space:  global
        .offset:         8
        .size:           8
        .value_kind:     global_buffer
      - .offset:         16
        .size:           4
        .value_kind:     by_value
      - .offset:         24
        .size:           8
        .value_kind:     by_value
      - .address_space:  global
        .offset:         32
        .size:           8
        .value_kind:     global_buffer
      - .offset:         40
        .size:           4
        .value_kind:     by_value
      - .offset:         48
        .size:           8
        .value_kind:     by_value
      - .address_space:  global
        .offset:         56
        .size:           8
        .value_kind:     global_buffer
      - .offset:         64
        .size:           4
        .value_kind:     by_value
      - .offset:         72
        .size:           8
        .value_kind:     by_value
      - .offset:         80
        .size:           4
        .value_kind:     by_value
    .group_segment_fixed_size: 8192
    .kernarg_segment_align: 8
    .kernarg_segment_size: 84
    .language:       OpenCL C
    .language_version:
      - 2
      - 0
    .max_flat_workgroup_size: 256
    .name:           _ZL37rocblas_syrkx_herkx_restricted_kernelIi19rocblas_complex_numIdELi16ELi32ELi8ELi1ELi1ELb1ELc84ELc76EKS1_S1_EviT_PT9_S3_lS5_S3_lPT10_S3_li
    .private_segment_fixed_size: 0
    .sgpr_count:     22
    .sgpr_spill_count: 0
    .symbol:         _ZL37rocblas_syrkx_herkx_restricted_kernelIi19rocblas_complex_numIdELi16ELi32ELi8ELi1ELi1ELb1ELc84ELc76EKS1_S1_EviT_PT9_S3_lS5_S3_lPT10_S3_li.kd
    .uniform_work_group_size: 1
    .uses_dynamic_stack: false
    .vgpr_count:     52
    .vgpr_spill_count: 0
    .wavefront_size: 32
    .workgroup_processor_mode: 1
  - .args:
      - .offset:         0
        .size:           4
        .value_kind:     by_value
      - .offset:         4
        .size:           4
        .value_kind:     by_value
      - .address_space:  global
        .offset:         8
        .size:           8
        .value_kind:     global_buffer
      - .offset:         16
        .size:           4
        .value_kind:     by_value
      - .offset:         24
        .size:           8
        .value_kind:     by_value
      - .address_space:  global
        .offset:         32
        .size:           8
        .value_kind:     global_buffer
      - .offset:         40
        .size:           4
        .value_kind:     by_value
      - .offset:         48
        .size:           8
        .value_kind:     by_value
      - .address_space:  global
        .offset:         56
        .size:           8
        .value_kind:     global_buffer
      - .offset:         64
        .size:           4
        .value_kind:     by_value
      - .offset:         72
        .size:           8
        .value_kind:     by_value
      - .offset:         80
        .size:           4
        .value_kind:     by_value
    .group_segment_fixed_size: 8192
    .kernarg_segment_align: 8
    .kernarg_segment_size: 84
    .language:       OpenCL C
    .language_version:
      - 2
      - 0
    .max_flat_workgroup_size: 256
    .name:           _ZL37rocblas_syrkx_herkx_restricted_kernelIi19rocblas_complex_numIdELi16ELi32ELi8ELi1ELi1ELb1ELc67ELc76EKS1_S1_EviT_PT9_S3_lS5_S3_lPT10_S3_li
    .private_segment_fixed_size: 0
    .sgpr_count:     22
    .sgpr_spill_count: 0
    .symbol:         _ZL37rocblas_syrkx_herkx_restricted_kernelIi19rocblas_complex_numIdELi16ELi32ELi8ELi1ELi1ELb1ELc67ELc76EKS1_S1_EviT_PT9_S3_lS5_S3_lPT10_S3_li.kd
    .uniform_work_group_size: 1
    .uses_dynamic_stack: false
    .vgpr_count:     52
    .vgpr_spill_count: 0
    .wavefront_size: 32
    .workgroup_processor_mode: 1
  - .args:
      - .offset:         0
        .size:           4
        .value_kind:     by_value
      - .offset:         4
        .size:           4
        .value_kind:     by_value
      - .address_space:  global
        .offset:         8
        .size:           8
        .value_kind:     global_buffer
      - .offset:         16
        .size:           4
        .value_kind:     by_value
      - .offset:         24
        .size:           8
        .value_kind:     by_value
      - .address_space:  global
        .offset:         32
        .size:           8
        .value_kind:     global_buffer
      - .offset:         40
        .size:           4
        .value_kind:     by_value
      - .offset:         48
        .size:           8
        .value_kind:     by_value
      - .address_space:  global
        .offset:         56
        .size:           8
        .value_kind:     global_buffer
      - .offset:         64
        .size:           4
        .value_kind:     by_value
      - .offset:         72
        .size:           8
        .value_kind:     by_value
      - .offset:         80
        .size:           4
        .value_kind:     by_value
    .group_segment_fixed_size: 8192
    .kernarg_segment_align: 8
    .kernarg_segment_size: 84
    .language:       OpenCL C
    .language_version:
      - 2
      - 0
    .max_flat_workgroup_size: 256
    .name:           _ZL37rocblas_syrkx_herkx_restricted_kernelIi19rocblas_complex_numIdELi16ELi32ELi8ELi1ELi1ELb1ELc78ELc76EKS1_S1_EviT_PT9_S3_lS5_S3_lPT10_S3_li
    .private_segment_fixed_size: 0
    .sgpr_count:     25
    .sgpr_spill_count: 0
    .symbol:         _ZL37rocblas_syrkx_herkx_restricted_kernelIi19rocblas_complex_numIdELi16ELi32ELi8ELi1ELi1ELb1ELc78ELc76EKS1_S1_EviT_PT9_S3_lS5_S3_lPT10_S3_li.kd
    .uniform_work_group_size: 1
    .uses_dynamic_stack: false
    .vgpr_count:     52
    .vgpr_spill_count: 0
    .wavefront_size: 32
    .workgroup_processor_mode: 1
  - .args:
      - .offset:         0
        .size:           4
        .value_kind:     by_value
      - .offset:         4
        .size:           4
        .value_kind:     by_value
      - .address_space:  global
        .offset:         8
        .size:           8
        .value_kind:     global_buffer
      - .offset:         16
        .size:           4
        .value_kind:     by_value
      - .offset:         24
        .size:           8
        .value_kind:     by_value
      - .address_space:  global
        .offset:         32
        .size:           8
        .value_kind:     global_buffer
      - .offset:         40
        .size:           4
        .value_kind:     by_value
      - .offset:         48
        .size:           8
        .value_kind:     by_value
      - .address_space:  global
        .offset:         56
        .size:           8
        .value_kind:     global_buffer
      - .offset:         64
        .size:           4
        .value_kind:     by_value
      - .offset:         72
        .size:           8
        .value_kind:     by_value
      - .offset:         80
        .size:           4
        .value_kind:     by_value
    .group_segment_fixed_size: 8192
    .kernarg_segment_align: 8
    .kernarg_segment_size: 84
    .language:       OpenCL C
    .language_version:
      - 2
      - 0
    .max_flat_workgroup_size: 256
    .name:           _ZL37rocblas_syrkx_herkx_restricted_kernelIi19rocblas_complex_numIdELi16ELi32ELi8ELi1ELi1ELb1ELc84ELc85EKS1_S1_EviT_PT9_S3_lS5_S3_lPT10_S3_li
    .private_segment_fixed_size: 0
    .sgpr_count:     22
    .sgpr_spill_count: 0
    .symbol:         _ZL37rocblas_syrkx_herkx_restricted_kernelIi19rocblas_complex_numIdELi16ELi32ELi8ELi1ELi1ELb1ELc84ELc85EKS1_S1_EviT_PT9_S3_lS5_S3_lPT10_S3_li.kd
    .uniform_work_group_size: 1
    .uses_dynamic_stack: false
    .vgpr_count:     52
    .vgpr_spill_count: 0
    .wavefront_size: 32
    .workgroup_processor_mode: 1
  - .args:
      - .offset:         0
        .size:           4
        .value_kind:     by_value
      - .offset:         4
        .size:           4
        .value_kind:     by_value
      - .address_space:  global
        .offset:         8
        .size:           8
        .value_kind:     global_buffer
      - .offset:         16
        .size:           4
        .value_kind:     by_value
      - .offset:         24
        .size:           8
        .value_kind:     by_value
      - .address_space:  global
        .offset:         32
        .size:           8
        .value_kind:     global_buffer
      - .offset:         40
        .size:           4
        .value_kind:     by_value
      - .offset:         48
        .size:           8
        .value_kind:     by_value
      - .address_space:  global
        .offset:         56
        .size:           8
        .value_kind:     global_buffer
      - .offset:         64
        .size:           4
        .value_kind:     by_value
      - .offset:         72
        .size:           8
        .value_kind:     by_value
      - .offset:         80
        .size:           4
        .value_kind:     by_value
    .group_segment_fixed_size: 8192
    .kernarg_segment_align: 8
    .kernarg_segment_size: 84
    .language:       OpenCL C
    .language_version:
      - 2
      - 0
    .max_flat_workgroup_size: 256
    .name:           _ZL37rocblas_syrkx_herkx_restricted_kernelIi19rocblas_complex_numIdELi16ELi32ELi8ELi1ELi1ELb1ELc67ELc85EKS1_S1_EviT_PT9_S3_lS5_S3_lPT10_S3_li
    .private_segment_fixed_size: 0
    .sgpr_count:     22
    .sgpr_spill_count: 0
    .symbol:         _ZL37rocblas_syrkx_herkx_restricted_kernelIi19rocblas_complex_numIdELi16ELi32ELi8ELi1ELi1ELb1ELc67ELc85EKS1_S1_EviT_PT9_S3_lS5_S3_lPT10_S3_li.kd
    .uniform_work_group_size: 1
    .uses_dynamic_stack: false
    .vgpr_count:     52
    .vgpr_spill_count: 0
    .wavefront_size: 32
    .workgroup_processor_mode: 1
  - .args:
      - .offset:         0
        .size:           4
        .value_kind:     by_value
      - .offset:         4
        .size:           4
        .value_kind:     by_value
      - .address_space:  global
        .offset:         8
        .size:           8
        .value_kind:     global_buffer
      - .offset:         16
        .size:           4
        .value_kind:     by_value
      - .offset:         24
        .size:           8
        .value_kind:     by_value
      - .address_space:  global
        .offset:         32
        .size:           8
        .value_kind:     global_buffer
      - .offset:         40
        .size:           4
        .value_kind:     by_value
      - .offset:         48
        .size:           8
        .value_kind:     by_value
      - .address_space:  global
        .offset:         56
        .size:           8
        .value_kind:     global_buffer
      - .offset:         64
        .size:           4
        .value_kind:     by_value
      - .offset:         72
        .size:           8
        .value_kind:     by_value
      - .offset:         80
        .size:           4
        .value_kind:     by_value
    .group_segment_fixed_size: 8192
    .kernarg_segment_align: 8
    .kernarg_segment_size: 84
    .language:       OpenCL C
    .language_version:
      - 2
      - 0
    .max_flat_workgroup_size: 256
    .name:           _ZL37rocblas_syrkx_herkx_restricted_kernelIi19rocblas_complex_numIdELi16ELi32ELi8ELi1ELi1ELb1ELc78ELc85EKS1_S1_EviT_PT9_S3_lS5_S3_lPT10_S3_li
    .private_segment_fixed_size: 0
    .sgpr_count:     25
    .sgpr_spill_count: 0
    .symbol:         _ZL37rocblas_syrkx_herkx_restricted_kernelIi19rocblas_complex_numIdELi16ELi32ELi8ELi1ELi1ELb1ELc78ELc85EKS1_S1_EviT_PT9_S3_lS5_S3_lPT10_S3_li.kd
    .uniform_work_group_size: 1
    .uses_dynamic_stack: false
    .vgpr_count:     52
    .vgpr_spill_count: 0
    .wavefront_size: 32
    .workgroup_processor_mode: 1
  - .args:
      - .offset:         0
        .size:           4
        .value_kind:     by_value
      - .offset:         4
        .size:           4
        .value_kind:     by_value
      - .address_space:  global
        .offset:         8
        .size:           8
        .value_kind:     global_buffer
      - .offset:         16
        .size:           4
        .value_kind:     by_value
      - .offset:         24
        .size:           8
        .value_kind:     by_value
      - .address_space:  global
        .offset:         32
        .size:           8
        .value_kind:     global_buffer
      - .offset:         40
        .size:           4
        .value_kind:     by_value
      - .offset:         48
        .size:           8
        .value_kind:     by_value
      - .address_space:  global
        .offset:         56
        .size:           8
        .value_kind:     global_buffer
      - .offset:         64
        .size:           4
        .value_kind:     by_value
      - .offset:         72
        .size:           8
        .value_kind:     by_value
      - .offset:         80
        .size:           4
        .value_kind:     by_value
    .group_segment_fixed_size: 8192
    .kernarg_segment_align: 8
    .kernarg_segment_size: 84
    .language:       OpenCL C
    .language_version:
      - 2
      - 0
    .max_flat_workgroup_size: 256
    .name:           _ZL37rocblas_syrkx_herkx_restricted_kernelIi19rocblas_complex_numIdELi16ELi32ELi8ELi1ELin1ELb1ELc84ELc76EKS1_S1_EviT_PT9_S3_lS5_S3_lPT10_S3_li
    .private_segment_fixed_size: 0
    .sgpr_count:     22
    .sgpr_spill_count: 0
    .symbol:         _ZL37rocblas_syrkx_herkx_restricted_kernelIi19rocblas_complex_numIdELi16ELi32ELi8ELi1ELin1ELb1ELc84ELc76EKS1_S1_EviT_PT9_S3_lS5_S3_lPT10_S3_li.kd
    .uniform_work_group_size: 1
    .uses_dynamic_stack: false
    .vgpr_count:     52
    .vgpr_spill_count: 0
    .wavefront_size: 32
    .workgroup_processor_mode: 1
  - .args:
      - .offset:         0
        .size:           4
        .value_kind:     by_value
      - .offset:         4
        .size:           4
        .value_kind:     by_value
      - .address_space:  global
        .offset:         8
        .size:           8
        .value_kind:     global_buffer
      - .offset:         16
        .size:           4
        .value_kind:     by_value
      - .offset:         24
        .size:           8
        .value_kind:     by_value
      - .address_space:  global
        .offset:         32
        .size:           8
        .value_kind:     global_buffer
      - .offset:         40
        .size:           4
        .value_kind:     by_value
      - .offset:         48
        .size:           8
        .value_kind:     by_value
      - .address_space:  global
        .offset:         56
        .size:           8
        .value_kind:     global_buffer
      - .offset:         64
        .size:           4
        .value_kind:     by_value
      - .offset:         72
        .size:           8
        .value_kind:     by_value
      - .offset:         80
        .size:           4
        .value_kind:     by_value
    .group_segment_fixed_size: 8192
    .kernarg_segment_align: 8
    .kernarg_segment_size: 84
    .language:       OpenCL C
    .language_version:
      - 2
      - 0
    .max_flat_workgroup_size: 256
    .name:           _ZL37rocblas_syrkx_herkx_restricted_kernelIi19rocblas_complex_numIdELi16ELi32ELi8ELi1ELin1ELb1ELc67ELc76EKS1_S1_EviT_PT9_S3_lS5_S3_lPT10_S3_li
    .private_segment_fixed_size: 0
    .sgpr_count:     22
    .sgpr_spill_count: 0
    .symbol:         _ZL37rocblas_syrkx_herkx_restricted_kernelIi19rocblas_complex_numIdELi16ELi32ELi8ELi1ELin1ELb1ELc67ELc76EKS1_S1_EviT_PT9_S3_lS5_S3_lPT10_S3_li.kd
    .uniform_work_group_size: 1
    .uses_dynamic_stack: false
    .vgpr_count:     52
    .vgpr_spill_count: 0
    .wavefront_size: 32
    .workgroup_processor_mode: 1
  - .args:
      - .offset:         0
        .size:           4
        .value_kind:     by_value
      - .offset:         4
        .size:           4
        .value_kind:     by_value
      - .address_space:  global
        .offset:         8
        .size:           8
        .value_kind:     global_buffer
      - .offset:         16
        .size:           4
        .value_kind:     by_value
      - .offset:         24
        .size:           8
        .value_kind:     by_value
      - .address_space:  global
        .offset:         32
        .size:           8
        .value_kind:     global_buffer
      - .offset:         40
        .size:           4
        .value_kind:     by_value
      - .offset:         48
        .size:           8
        .value_kind:     by_value
      - .address_space:  global
        .offset:         56
        .size:           8
        .value_kind:     global_buffer
      - .offset:         64
        .size:           4
        .value_kind:     by_value
      - .offset:         72
        .size:           8
        .value_kind:     by_value
      - .offset:         80
        .size:           4
        .value_kind:     by_value
    .group_segment_fixed_size: 8192
    .kernarg_segment_align: 8
    .kernarg_segment_size: 84
    .language:       OpenCL C
    .language_version:
      - 2
      - 0
    .max_flat_workgroup_size: 256
    .name:           _ZL37rocblas_syrkx_herkx_restricted_kernelIi19rocblas_complex_numIdELi16ELi32ELi8ELi1ELin1ELb1ELc78ELc76EKS1_S1_EviT_PT9_S3_lS5_S3_lPT10_S3_li
    .private_segment_fixed_size: 0
    .sgpr_count:     25
    .sgpr_spill_count: 0
    .symbol:         _ZL37rocblas_syrkx_herkx_restricted_kernelIi19rocblas_complex_numIdELi16ELi32ELi8ELi1ELin1ELb1ELc78ELc76EKS1_S1_EviT_PT9_S3_lS5_S3_lPT10_S3_li.kd
    .uniform_work_group_size: 1
    .uses_dynamic_stack: false
    .vgpr_count:     52
    .vgpr_spill_count: 0
    .wavefront_size: 32
    .workgroup_processor_mode: 1
  - .args:
      - .offset:         0
        .size:           4
        .value_kind:     by_value
      - .offset:         4
        .size:           4
        .value_kind:     by_value
      - .address_space:  global
        .offset:         8
        .size:           8
        .value_kind:     global_buffer
      - .offset:         16
        .size:           4
        .value_kind:     by_value
      - .offset:         24
        .size:           8
        .value_kind:     by_value
      - .address_space:  global
        .offset:         32
        .size:           8
        .value_kind:     global_buffer
      - .offset:         40
        .size:           4
        .value_kind:     by_value
      - .offset:         48
        .size:           8
        .value_kind:     by_value
      - .address_space:  global
        .offset:         56
        .size:           8
        .value_kind:     global_buffer
      - .offset:         64
        .size:           4
        .value_kind:     by_value
      - .offset:         72
        .size:           8
        .value_kind:     by_value
      - .offset:         80
        .size:           4
        .value_kind:     by_value
    .group_segment_fixed_size: 8192
    .kernarg_segment_align: 8
    .kernarg_segment_size: 84
    .language:       OpenCL C
    .language_version:
      - 2
      - 0
    .max_flat_workgroup_size: 256
    .name:           _ZL37rocblas_syrkx_herkx_restricted_kernelIi19rocblas_complex_numIdELi16ELi32ELi8ELi1ELin1ELb1ELc84ELc85EKS1_S1_EviT_PT9_S3_lS5_S3_lPT10_S3_li
    .private_segment_fixed_size: 0
    .sgpr_count:     22
    .sgpr_spill_count: 0
    .symbol:         _ZL37rocblas_syrkx_herkx_restricted_kernelIi19rocblas_complex_numIdELi16ELi32ELi8ELi1ELin1ELb1ELc84ELc85EKS1_S1_EviT_PT9_S3_lS5_S3_lPT10_S3_li.kd
    .uniform_work_group_size: 1
    .uses_dynamic_stack: false
    .vgpr_count:     52
    .vgpr_spill_count: 0
    .wavefront_size: 32
    .workgroup_processor_mode: 1
  - .args:
      - .offset:         0
        .size:           4
        .value_kind:     by_value
      - .offset:         4
        .size:           4
        .value_kind:     by_value
      - .address_space:  global
        .offset:         8
        .size:           8
        .value_kind:     global_buffer
      - .offset:         16
        .size:           4
        .value_kind:     by_value
      - .offset:         24
        .size:           8
        .value_kind:     by_value
      - .address_space:  global
        .offset:         32
        .size:           8
        .value_kind:     global_buffer
      - .offset:         40
        .size:           4
        .value_kind:     by_value
      - .offset:         48
        .size:           8
        .value_kind:     by_value
      - .address_space:  global
        .offset:         56
        .size:           8
        .value_kind:     global_buffer
      - .offset:         64
        .size:           4
        .value_kind:     by_value
      - .offset:         72
        .size:           8
        .value_kind:     by_value
      - .offset:         80
        .size:           4
        .value_kind:     by_value
    .group_segment_fixed_size: 8192
    .kernarg_segment_align: 8
    .kernarg_segment_size: 84
    .language:       OpenCL C
    .language_version:
      - 2
      - 0
    .max_flat_workgroup_size: 256
    .name:           _ZL37rocblas_syrkx_herkx_restricted_kernelIi19rocblas_complex_numIdELi16ELi32ELi8ELi1ELin1ELb1ELc67ELc85EKS1_S1_EviT_PT9_S3_lS5_S3_lPT10_S3_li
    .private_segment_fixed_size: 0
    .sgpr_count:     22
    .sgpr_spill_count: 0
    .symbol:         _ZL37rocblas_syrkx_herkx_restricted_kernelIi19rocblas_complex_numIdELi16ELi32ELi8ELi1ELin1ELb1ELc67ELc85EKS1_S1_EviT_PT9_S3_lS5_S3_lPT10_S3_li.kd
    .uniform_work_group_size: 1
    .uses_dynamic_stack: false
    .vgpr_count:     52
    .vgpr_spill_count: 0
    .wavefront_size: 32
    .workgroup_processor_mode: 1
  - .args:
      - .offset:         0
        .size:           4
        .value_kind:     by_value
      - .offset:         4
        .size:           4
        .value_kind:     by_value
      - .address_space:  global
        .offset:         8
        .size:           8
        .value_kind:     global_buffer
      - .offset:         16
        .size:           4
        .value_kind:     by_value
      - .offset:         24
        .size:           8
        .value_kind:     by_value
      - .address_space:  global
        .offset:         32
        .size:           8
        .value_kind:     global_buffer
      - .offset:         40
        .size:           4
        .value_kind:     by_value
      - .offset:         48
        .size:           8
        .value_kind:     by_value
      - .address_space:  global
        .offset:         56
        .size:           8
        .value_kind:     global_buffer
      - .offset:         64
        .size:           4
        .value_kind:     by_value
      - .offset:         72
        .size:           8
        .value_kind:     by_value
      - .offset:         80
        .size:           4
        .value_kind:     by_value
    .group_segment_fixed_size: 8192
    .kernarg_segment_align: 8
    .kernarg_segment_size: 84
    .language:       OpenCL C
    .language_version:
      - 2
      - 0
    .max_flat_workgroup_size: 256
    .name:           _ZL37rocblas_syrkx_herkx_restricted_kernelIi19rocblas_complex_numIdELi16ELi32ELi8ELi1ELin1ELb1ELc78ELc85EKS1_S1_EviT_PT9_S3_lS5_S3_lPT10_S3_li
    .private_segment_fixed_size: 0
    .sgpr_count:     25
    .sgpr_spill_count: 0
    .symbol:         _ZL37rocblas_syrkx_herkx_restricted_kernelIi19rocblas_complex_numIdELi16ELi32ELi8ELi1ELin1ELb1ELc78ELc85EKS1_S1_EviT_PT9_S3_lS5_S3_lPT10_S3_li.kd
    .uniform_work_group_size: 1
    .uses_dynamic_stack: false
    .vgpr_count:     52
    .vgpr_spill_count: 0
    .wavefront_size: 32
    .workgroup_processor_mode: 1
  - .args:
      - .offset:         0
        .size:           4
        .value_kind:     by_value
      - .offset:         4
        .size:           4
        .value_kind:     by_value
      - .address_space:  global
        .offset:         8
        .size:           8
        .value_kind:     global_buffer
      - .offset:         16
        .size:           4
        .value_kind:     by_value
      - .offset:         24
        .size:           8
        .value_kind:     by_value
      - .address_space:  global
        .offset:         32
        .size:           8
        .value_kind:     global_buffer
      - .offset:         40
        .size:           4
        .value_kind:     by_value
      - .offset:         48
        .size:           8
        .value_kind:     by_value
      - .address_space:  global
        .offset:         56
        .size:           8
        .value_kind:     global_buffer
      - .offset:         64
        .size:           4
        .value_kind:     by_value
      - .offset:         72
        .size:           8
        .value_kind:     by_value
      - .offset:         80
        .size:           4
        .value_kind:     by_value
    .group_segment_fixed_size: 8192
    .kernarg_segment_align: 8
    .kernarg_segment_size: 84
    .language:       OpenCL C
    .language_version:
      - 2
      - 0
    .max_flat_workgroup_size: 256
    .name:           _ZL37rocblas_syrkx_herkx_restricted_kernelIi19rocblas_complex_numIdELi16ELi32ELi8ELi1ELi0ELb1ELc84ELc76EKS1_S1_EviT_PT9_S3_lS5_S3_lPT10_S3_li
    .private_segment_fixed_size: 0
    .sgpr_count:     22
    .sgpr_spill_count: 0
    .symbol:         _ZL37rocblas_syrkx_herkx_restricted_kernelIi19rocblas_complex_numIdELi16ELi32ELi8ELi1ELi0ELb1ELc84ELc76EKS1_S1_EviT_PT9_S3_lS5_S3_lPT10_S3_li.kd
    .uniform_work_group_size: 1
    .uses_dynamic_stack: false
    .vgpr_count:     52
    .vgpr_spill_count: 0
    .wavefront_size: 32
    .workgroup_processor_mode: 1
  - .args:
      - .offset:         0
        .size:           4
        .value_kind:     by_value
      - .offset:         4
        .size:           4
        .value_kind:     by_value
      - .address_space:  global
        .offset:         8
        .size:           8
        .value_kind:     global_buffer
      - .offset:         16
        .size:           4
        .value_kind:     by_value
      - .offset:         24
        .size:           8
        .value_kind:     by_value
      - .address_space:  global
        .offset:         32
        .size:           8
        .value_kind:     global_buffer
      - .offset:         40
        .size:           4
        .value_kind:     by_value
      - .offset:         48
        .size:           8
        .value_kind:     by_value
      - .address_space:  global
        .offset:         56
        .size:           8
        .value_kind:     global_buffer
      - .offset:         64
        .size:           4
        .value_kind:     by_value
      - .offset:         72
        .size:           8
        .value_kind:     by_value
      - .offset:         80
        .size:           4
        .value_kind:     by_value
    .group_segment_fixed_size: 8192
    .kernarg_segment_align: 8
    .kernarg_segment_size: 84
    .language:       OpenCL C
    .language_version:
      - 2
      - 0
    .max_flat_workgroup_size: 256
    .name:           _ZL37rocblas_syrkx_herkx_restricted_kernelIi19rocblas_complex_numIdELi16ELi32ELi8ELi1ELi0ELb1ELc67ELc76EKS1_S1_EviT_PT9_S3_lS5_S3_lPT10_S3_li
    .private_segment_fixed_size: 0
    .sgpr_count:     22
    .sgpr_spill_count: 0
    .symbol:         _ZL37rocblas_syrkx_herkx_restricted_kernelIi19rocblas_complex_numIdELi16ELi32ELi8ELi1ELi0ELb1ELc67ELc76EKS1_S1_EviT_PT9_S3_lS5_S3_lPT10_S3_li.kd
    .uniform_work_group_size: 1
    .uses_dynamic_stack: false
    .vgpr_count:     52
    .vgpr_spill_count: 0
    .wavefront_size: 32
    .workgroup_processor_mode: 1
  - .args:
      - .offset:         0
        .size:           4
        .value_kind:     by_value
      - .offset:         4
        .size:           4
        .value_kind:     by_value
      - .address_space:  global
        .offset:         8
        .size:           8
        .value_kind:     global_buffer
      - .offset:         16
        .size:           4
        .value_kind:     by_value
      - .offset:         24
        .size:           8
        .value_kind:     by_value
      - .address_space:  global
        .offset:         32
        .size:           8
        .value_kind:     global_buffer
      - .offset:         40
        .size:           4
        .value_kind:     by_value
      - .offset:         48
        .size:           8
        .value_kind:     by_value
      - .address_space:  global
        .offset:         56
        .size:           8
        .value_kind:     global_buffer
      - .offset:         64
        .size:           4
        .value_kind:     by_value
      - .offset:         72
        .size:           8
        .value_kind:     by_value
      - .offset:         80
        .size:           4
        .value_kind:     by_value
    .group_segment_fixed_size: 8192
    .kernarg_segment_align: 8
    .kernarg_segment_size: 84
    .language:       OpenCL C
    .language_version:
      - 2
      - 0
    .max_flat_workgroup_size: 256
    .name:           _ZL37rocblas_syrkx_herkx_restricted_kernelIi19rocblas_complex_numIdELi16ELi32ELi8ELi1ELi0ELb1ELc78ELc76EKS1_S1_EviT_PT9_S3_lS5_S3_lPT10_S3_li
    .private_segment_fixed_size: 0
    .sgpr_count:     25
    .sgpr_spill_count: 0
    .symbol:         _ZL37rocblas_syrkx_herkx_restricted_kernelIi19rocblas_complex_numIdELi16ELi32ELi8ELi1ELi0ELb1ELc78ELc76EKS1_S1_EviT_PT9_S3_lS5_S3_lPT10_S3_li.kd
    .uniform_work_group_size: 1
    .uses_dynamic_stack: false
    .vgpr_count:     52
    .vgpr_spill_count: 0
    .wavefront_size: 32
    .workgroup_processor_mode: 1
  - .args:
      - .offset:         0
        .size:           4
        .value_kind:     by_value
      - .offset:         4
        .size:           4
        .value_kind:     by_value
      - .address_space:  global
        .offset:         8
        .size:           8
        .value_kind:     global_buffer
      - .offset:         16
        .size:           4
        .value_kind:     by_value
      - .offset:         24
        .size:           8
        .value_kind:     by_value
      - .address_space:  global
        .offset:         32
        .size:           8
        .value_kind:     global_buffer
      - .offset:         40
        .size:           4
        .value_kind:     by_value
      - .offset:         48
        .size:           8
        .value_kind:     by_value
      - .address_space:  global
        .offset:         56
        .size:           8
        .value_kind:     global_buffer
      - .offset:         64
        .size:           4
        .value_kind:     by_value
      - .offset:         72
        .size:           8
        .value_kind:     by_value
      - .offset:         80
        .size:           4
        .value_kind:     by_value
    .group_segment_fixed_size: 8192
    .kernarg_segment_align: 8
    .kernarg_segment_size: 84
    .language:       OpenCL C
    .language_version:
      - 2
      - 0
    .max_flat_workgroup_size: 256
    .name:           _ZL37rocblas_syrkx_herkx_restricted_kernelIi19rocblas_complex_numIdELi16ELi32ELi8ELi1ELi0ELb1ELc84ELc85EKS1_S1_EviT_PT9_S3_lS5_S3_lPT10_S3_li
    .private_segment_fixed_size: 0
    .sgpr_count:     22
    .sgpr_spill_count: 0
    .symbol:         _ZL37rocblas_syrkx_herkx_restricted_kernelIi19rocblas_complex_numIdELi16ELi32ELi8ELi1ELi0ELb1ELc84ELc85EKS1_S1_EviT_PT9_S3_lS5_S3_lPT10_S3_li.kd
    .uniform_work_group_size: 1
    .uses_dynamic_stack: false
    .vgpr_count:     52
    .vgpr_spill_count: 0
    .wavefront_size: 32
    .workgroup_processor_mode: 1
  - .args:
      - .offset:         0
        .size:           4
        .value_kind:     by_value
      - .offset:         4
        .size:           4
        .value_kind:     by_value
      - .address_space:  global
        .offset:         8
        .size:           8
        .value_kind:     global_buffer
      - .offset:         16
        .size:           4
        .value_kind:     by_value
      - .offset:         24
        .size:           8
        .value_kind:     by_value
      - .address_space:  global
        .offset:         32
        .size:           8
        .value_kind:     global_buffer
      - .offset:         40
        .size:           4
        .value_kind:     by_value
      - .offset:         48
        .size:           8
        .value_kind:     by_value
      - .address_space:  global
        .offset:         56
        .size:           8
        .value_kind:     global_buffer
      - .offset:         64
        .size:           4
        .value_kind:     by_value
      - .offset:         72
        .size:           8
        .value_kind:     by_value
      - .offset:         80
        .size:           4
        .value_kind:     by_value
    .group_segment_fixed_size: 8192
    .kernarg_segment_align: 8
    .kernarg_segment_size: 84
    .language:       OpenCL C
    .language_version:
      - 2
      - 0
    .max_flat_workgroup_size: 256
    .name:           _ZL37rocblas_syrkx_herkx_restricted_kernelIi19rocblas_complex_numIdELi16ELi32ELi8ELi1ELi0ELb1ELc67ELc85EKS1_S1_EviT_PT9_S3_lS5_S3_lPT10_S3_li
    .private_segment_fixed_size: 0
    .sgpr_count:     22
    .sgpr_spill_count: 0
    .symbol:         _ZL37rocblas_syrkx_herkx_restricted_kernelIi19rocblas_complex_numIdELi16ELi32ELi8ELi1ELi0ELb1ELc67ELc85EKS1_S1_EviT_PT9_S3_lS5_S3_lPT10_S3_li.kd
    .uniform_work_group_size: 1
    .uses_dynamic_stack: false
    .vgpr_count:     52
    .vgpr_spill_count: 0
    .wavefront_size: 32
    .workgroup_processor_mode: 1
  - .args:
      - .offset:         0
        .size:           4
        .value_kind:     by_value
      - .offset:         4
        .size:           4
        .value_kind:     by_value
      - .address_space:  global
        .offset:         8
        .size:           8
        .value_kind:     global_buffer
      - .offset:         16
        .size:           4
        .value_kind:     by_value
      - .offset:         24
        .size:           8
        .value_kind:     by_value
      - .address_space:  global
        .offset:         32
        .size:           8
        .value_kind:     global_buffer
      - .offset:         40
        .size:           4
        .value_kind:     by_value
      - .offset:         48
        .size:           8
        .value_kind:     by_value
      - .address_space:  global
        .offset:         56
        .size:           8
        .value_kind:     global_buffer
      - .offset:         64
        .size:           4
        .value_kind:     by_value
      - .offset:         72
        .size:           8
        .value_kind:     by_value
      - .offset:         80
        .size:           4
        .value_kind:     by_value
    .group_segment_fixed_size: 8192
    .kernarg_segment_align: 8
    .kernarg_segment_size: 84
    .language:       OpenCL C
    .language_version:
      - 2
      - 0
    .max_flat_workgroup_size: 256
    .name:           _ZL37rocblas_syrkx_herkx_restricted_kernelIi19rocblas_complex_numIdELi16ELi32ELi8ELi1ELi0ELb1ELc78ELc85EKS1_S1_EviT_PT9_S3_lS5_S3_lPT10_S3_li
    .private_segment_fixed_size: 0
    .sgpr_count:     25
    .sgpr_spill_count: 0
    .symbol:         _ZL37rocblas_syrkx_herkx_restricted_kernelIi19rocblas_complex_numIdELi16ELi32ELi8ELi1ELi0ELb1ELc78ELc85EKS1_S1_EviT_PT9_S3_lS5_S3_lPT10_S3_li.kd
    .uniform_work_group_size: 1
    .uses_dynamic_stack: false
    .vgpr_count:     52
    .vgpr_spill_count: 0
    .wavefront_size: 32
    .workgroup_processor_mode: 1
  - .args:
      - .offset:         0
        .size:           4
        .value_kind:     by_value
      - .offset:         4
        .size:           4
        .value_kind:     by_value
      - .address_space:  global
        .offset:         8
        .size:           8
        .value_kind:     global_buffer
      - .offset:         16
        .size:           4
        .value_kind:     by_value
      - .offset:         24
        .size:           8
        .value_kind:     by_value
      - .address_space:  global
        .offset:         32
        .size:           8
        .value_kind:     global_buffer
      - .offset:         40
        .size:           4
        .value_kind:     by_value
      - .offset:         48
        .size:           8
        .value_kind:     by_value
      - .address_space:  global
        .offset:         56
        .size:           8
        .value_kind:     global_buffer
      - .offset:         64
        .size:           4
        .value_kind:     by_value
      - .offset:         72
        .size:           8
        .value_kind:     by_value
      - .offset:         80
        .size:           4
        .value_kind:     by_value
    .group_segment_fixed_size: 8192
    .kernarg_segment_align: 8
    .kernarg_segment_size: 84
    .language:       OpenCL C
    .language_version:
      - 2
      - 0
    .max_flat_workgroup_size: 256
    .name:           _ZL37rocblas_syrkx_herkx_restricted_kernelIi19rocblas_complex_numIdELi16ELi32ELi8ELin1ELi0ELb1ELc84ELc76EKS1_S1_EviT_PT9_S3_lS5_S3_lPT10_S3_li
    .private_segment_fixed_size: 0
    .sgpr_count:     22
    .sgpr_spill_count: 0
    .symbol:         _ZL37rocblas_syrkx_herkx_restricted_kernelIi19rocblas_complex_numIdELi16ELi32ELi8ELin1ELi0ELb1ELc84ELc76EKS1_S1_EviT_PT9_S3_lS5_S3_lPT10_S3_li.kd
    .uniform_work_group_size: 1
    .uses_dynamic_stack: false
    .vgpr_count:     54
    .vgpr_spill_count: 0
    .wavefront_size: 32
    .workgroup_processor_mode: 1
  - .args:
      - .offset:         0
        .size:           4
        .value_kind:     by_value
      - .offset:         4
        .size:           4
        .value_kind:     by_value
      - .address_space:  global
        .offset:         8
        .size:           8
        .value_kind:     global_buffer
      - .offset:         16
        .size:           4
        .value_kind:     by_value
      - .offset:         24
        .size:           8
        .value_kind:     by_value
      - .address_space:  global
        .offset:         32
        .size:           8
        .value_kind:     global_buffer
      - .offset:         40
        .size:           4
        .value_kind:     by_value
      - .offset:         48
        .size:           8
        .value_kind:     by_value
      - .address_space:  global
        .offset:         56
        .size:           8
        .value_kind:     global_buffer
      - .offset:         64
        .size:           4
        .value_kind:     by_value
      - .offset:         72
        .size:           8
        .value_kind:     by_value
      - .offset:         80
        .size:           4
        .value_kind:     by_value
    .group_segment_fixed_size: 8192
    .kernarg_segment_align: 8
    .kernarg_segment_size: 84
    .language:       OpenCL C
    .language_version:
      - 2
      - 0
    .max_flat_workgroup_size: 256
    .name:           _ZL37rocblas_syrkx_herkx_restricted_kernelIi19rocblas_complex_numIdELi16ELi32ELi8ELin1ELi0ELb1ELc67ELc76EKS1_S1_EviT_PT9_S3_lS5_S3_lPT10_S3_li
    .private_segment_fixed_size: 0
    .sgpr_count:     22
    .sgpr_spill_count: 0
    .symbol:         _ZL37rocblas_syrkx_herkx_restricted_kernelIi19rocblas_complex_numIdELi16ELi32ELi8ELin1ELi0ELb1ELc67ELc76EKS1_S1_EviT_PT9_S3_lS5_S3_lPT10_S3_li.kd
    .uniform_work_group_size: 1
    .uses_dynamic_stack: false
    .vgpr_count:     54
    .vgpr_spill_count: 0
    .wavefront_size: 32
    .workgroup_processor_mode: 1
  - .args:
      - .offset:         0
        .size:           4
        .value_kind:     by_value
      - .offset:         4
        .size:           4
        .value_kind:     by_value
      - .address_space:  global
        .offset:         8
        .size:           8
        .value_kind:     global_buffer
      - .offset:         16
        .size:           4
        .value_kind:     by_value
      - .offset:         24
        .size:           8
        .value_kind:     by_value
      - .address_space:  global
        .offset:         32
        .size:           8
        .value_kind:     global_buffer
      - .offset:         40
        .size:           4
        .value_kind:     by_value
      - .offset:         48
        .size:           8
        .value_kind:     by_value
      - .address_space:  global
        .offset:         56
        .size:           8
        .value_kind:     global_buffer
      - .offset:         64
        .size:           4
        .value_kind:     by_value
      - .offset:         72
        .size:           8
        .value_kind:     by_value
      - .offset:         80
        .size:           4
        .value_kind:     by_value
    .group_segment_fixed_size: 8192
    .kernarg_segment_align: 8
    .kernarg_segment_size: 84
    .language:       OpenCL C
    .language_version:
      - 2
      - 0
    .max_flat_workgroup_size: 256
    .name:           _ZL37rocblas_syrkx_herkx_restricted_kernelIi19rocblas_complex_numIdELi16ELi32ELi8ELin1ELi0ELb1ELc78ELc76EKS1_S1_EviT_PT9_S3_lS5_S3_lPT10_S3_li
    .private_segment_fixed_size: 0
    .sgpr_count:     25
    .sgpr_spill_count: 0
    .symbol:         _ZL37rocblas_syrkx_herkx_restricted_kernelIi19rocblas_complex_numIdELi16ELi32ELi8ELin1ELi0ELb1ELc78ELc76EKS1_S1_EviT_PT9_S3_lS5_S3_lPT10_S3_li.kd
    .uniform_work_group_size: 1
    .uses_dynamic_stack: false
    .vgpr_count:     54
    .vgpr_spill_count: 0
    .wavefront_size: 32
    .workgroup_processor_mode: 1
  - .args:
      - .offset:         0
        .size:           4
        .value_kind:     by_value
      - .offset:         4
        .size:           4
        .value_kind:     by_value
      - .address_space:  global
        .offset:         8
        .size:           8
        .value_kind:     global_buffer
      - .offset:         16
        .size:           4
        .value_kind:     by_value
      - .offset:         24
        .size:           8
        .value_kind:     by_value
      - .address_space:  global
        .offset:         32
        .size:           8
        .value_kind:     global_buffer
      - .offset:         40
        .size:           4
        .value_kind:     by_value
      - .offset:         48
        .size:           8
        .value_kind:     by_value
      - .address_space:  global
        .offset:         56
        .size:           8
        .value_kind:     global_buffer
      - .offset:         64
        .size:           4
        .value_kind:     by_value
      - .offset:         72
        .size:           8
        .value_kind:     by_value
      - .offset:         80
        .size:           4
        .value_kind:     by_value
    .group_segment_fixed_size: 8192
    .kernarg_segment_align: 8
    .kernarg_segment_size: 84
    .language:       OpenCL C
    .language_version:
      - 2
      - 0
    .max_flat_workgroup_size: 256
    .name:           _ZL37rocblas_syrkx_herkx_restricted_kernelIi19rocblas_complex_numIdELi16ELi32ELi8ELin1ELi0ELb1ELc84ELc85EKS1_S1_EviT_PT9_S3_lS5_S3_lPT10_S3_li
    .private_segment_fixed_size: 0
    .sgpr_count:     22
    .sgpr_spill_count: 0
    .symbol:         _ZL37rocblas_syrkx_herkx_restricted_kernelIi19rocblas_complex_numIdELi16ELi32ELi8ELin1ELi0ELb1ELc84ELc85EKS1_S1_EviT_PT9_S3_lS5_S3_lPT10_S3_li.kd
    .uniform_work_group_size: 1
    .uses_dynamic_stack: false
    .vgpr_count:     52
    .vgpr_spill_count: 0
    .wavefront_size: 32
    .workgroup_processor_mode: 1
  - .args:
      - .offset:         0
        .size:           4
        .value_kind:     by_value
      - .offset:         4
        .size:           4
        .value_kind:     by_value
      - .address_space:  global
        .offset:         8
        .size:           8
        .value_kind:     global_buffer
      - .offset:         16
        .size:           4
        .value_kind:     by_value
      - .offset:         24
        .size:           8
        .value_kind:     by_value
      - .address_space:  global
        .offset:         32
        .size:           8
        .value_kind:     global_buffer
      - .offset:         40
        .size:           4
        .value_kind:     by_value
      - .offset:         48
        .size:           8
        .value_kind:     by_value
      - .address_space:  global
        .offset:         56
        .size:           8
        .value_kind:     global_buffer
      - .offset:         64
        .size:           4
        .value_kind:     by_value
      - .offset:         72
        .size:           8
        .value_kind:     by_value
      - .offset:         80
        .size:           4
        .value_kind:     by_value
    .group_segment_fixed_size: 8192
    .kernarg_segment_align: 8
    .kernarg_segment_size: 84
    .language:       OpenCL C
    .language_version:
      - 2
      - 0
    .max_flat_workgroup_size: 256
    .name:           _ZL37rocblas_syrkx_herkx_restricted_kernelIi19rocblas_complex_numIdELi16ELi32ELi8ELin1ELi0ELb1ELc67ELc85EKS1_S1_EviT_PT9_S3_lS5_S3_lPT10_S3_li
    .private_segment_fixed_size: 0
    .sgpr_count:     22
    .sgpr_spill_count: 0
    .symbol:         _ZL37rocblas_syrkx_herkx_restricted_kernelIi19rocblas_complex_numIdELi16ELi32ELi8ELin1ELi0ELb1ELc67ELc85EKS1_S1_EviT_PT9_S3_lS5_S3_lPT10_S3_li.kd
    .uniform_work_group_size: 1
    .uses_dynamic_stack: false
    .vgpr_count:     52
    .vgpr_spill_count: 0
    .wavefront_size: 32
    .workgroup_processor_mode: 1
  - .args:
      - .offset:         0
        .size:           4
        .value_kind:     by_value
      - .offset:         4
        .size:           4
        .value_kind:     by_value
      - .address_space:  global
        .offset:         8
        .size:           8
        .value_kind:     global_buffer
      - .offset:         16
        .size:           4
        .value_kind:     by_value
      - .offset:         24
        .size:           8
        .value_kind:     by_value
      - .address_space:  global
        .offset:         32
        .size:           8
        .value_kind:     global_buffer
      - .offset:         40
        .size:           4
        .value_kind:     by_value
      - .offset:         48
        .size:           8
        .value_kind:     by_value
      - .address_space:  global
        .offset:         56
        .size:           8
        .value_kind:     global_buffer
      - .offset:         64
        .size:           4
        .value_kind:     by_value
      - .offset:         72
        .size:           8
        .value_kind:     by_value
      - .offset:         80
        .size:           4
        .value_kind:     by_value
    .group_segment_fixed_size: 8192
    .kernarg_segment_align: 8
    .kernarg_segment_size: 84
    .language:       OpenCL C
    .language_version:
      - 2
      - 0
    .max_flat_workgroup_size: 256
    .name:           _ZL37rocblas_syrkx_herkx_restricted_kernelIi19rocblas_complex_numIdELi16ELi32ELi8ELin1ELi0ELb1ELc78ELc85EKS1_S1_EviT_PT9_S3_lS5_S3_lPT10_S3_li
    .private_segment_fixed_size: 0
    .sgpr_count:     25
    .sgpr_spill_count: 0
    .symbol:         _ZL37rocblas_syrkx_herkx_restricted_kernelIi19rocblas_complex_numIdELi16ELi32ELi8ELin1ELi0ELb1ELc78ELc85EKS1_S1_EviT_PT9_S3_lS5_S3_lPT10_S3_li.kd
    .uniform_work_group_size: 1
    .uses_dynamic_stack: false
    .vgpr_count:     52
    .vgpr_spill_count: 0
    .wavefront_size: 32
    .workgroup_processor_mode: 1
  - .args:
      - .offset:         0
        .size:           4
        .value_kind:     by_value
      - .offset:         4
        .size:           4
        .value_kind:     by_value
      - .offset:         8
        .size:           16
        .value_kind:     by_value
      - .address_space:  global
        .offset:         24
        .size:           8
        .value_kind:     global_buffer
      - .offset:         32
        .size:           4
        .value_kind:     by_value
      - .offset:         40
        .size:           8
        .value_kind:     by_value
      - .address_space:  global
        .offset:         48
        .size:           8
        .value_kind:     global_buffer
      - .offset:         56
        .size:           4
        .value_kind:     by_value
      - .offset:         64
        .size:           8
        .value_kind:     by_value
      - .offset:         72
        .size:           16
        .value_kind:     by_value
      - .address_space:  global
        .offset:         88
        .size:           8
        .value_kind:     global_buffer
      - .offset:         96
        .size:           4
        .value_kind:     by_value
      - .offset:         104
        .size:           8
        .value_kind:     by_value
      - .offset:         112
        .size:           4
        .value_kind:     by_value
    .group_segment_fixed_size: 8192
    .kernarg_segment_align: 8
    .kernarg_segment_size: 116
    .language:       OpenCL C
    .language_version:
      - 2
      - 0
    .max_flat_workgroup_size: 256
    .name:           _ZL37rocblas_syrkx_herkx_restricted_kernelIi19rocblas_complex_numIdELi16ELi32ELi8ELb1ELb1ELc84ELc76EKS1_S1_EviT_T0_PT8_S3_lS6_S3_lS4_PT9_S3_li
    .private_segment_fixed_size: 0
    .sgpr_count:     24
    .sgpr_spill_count: 0
    .symbol:         _ZL37rocblas_syrkx_herkx_restricted_kernelIi19rocblas_complex_numIdELi16ELi32ELi8ELb1ELb1ELc84ELc76EKS1_S1_EviT_T0_PT8_S3_lS6_S3_lS4_PT9_S3_li.kd
    .uniform_work_group_size: 1
    .uses_dynamic_stack: false
    .vgpr_count:     52
    .vgpr_spill_count: 0
    .wavefront_size: 32
    .workgroup_processor_mode: 1
  - .args:
      - .offset:         0
        .size:           4
        .value_kind:     by_value
      - .offset:         4
        .size:           4
        .value_kind:     by_value
      - .offset:         8
        .size:           16
        .value_kind:     by_value
      - .address_space:  global
        .offset:         24
        .size:           8
        .value_kind:     global_buffer
      - .offset:         32
        .size:           4
        .value_kind:     by_value
      - .offset:         40
        .size:           8
        .value_kind:     by_value
      - .address_space:  global
        .offset:         48
        .size:           8
        .value_kind:     global_buffer
      - .offset:         56
        .size:           4
        .value_kind:     by_value
      - .offset:         64
        .size:           8
        .value_kind:     by_value
      - .offset:         72
        .size:           16
        .value_kind:     by_value
      - .address_space:  global
        .offset:         88
        .size:           8
        .value_kind:     global_buffer
      - .offset:         96
        .size:           4
        .value_kind:     by_value
      - .offset:         104
        .size:           8
        .value_kind:     by_value
      - .offset:         112
        .size:           4
        .value_kind:     by_value
    .group_segment_fixed_size: 8192
    .kernarg_segment_align: 8
    .kernarg_segment_size: 116
    .language:       OpenCL C
    .language_version:
      - 2
      - 0
    .max_flat_workgroup_size: 256
    .name:           _ZL37rocblas_syrkx_herkx_restricted_kernelIi19rocblas_complex_numIdELi16ELi32ELi8ELb1ELb1ELc67ELc76EKS1_S1_EviT_T0_PT8_S3_lS6_S3_lS4_PT9_S3_li
    .private_segment_fixed_size: 0
    .sgpr_count:     24
    .sgpr_spill_count: 0
    .symbol:         _ZL37rocblas_syrkx_herkx_restricted_kernelIi19rocblas_complex_numIdELi16ELi32ELi8ELb1ELb1ELc67ELc76EKS1_S1_EviT_T0_PT8_S3_lS6_S3_lS4_PT9_S3_li.kd
    .uniform_work_group_size: 1
    .uses_dynamic_stack: false
    .vgpr_count:     52
    .vgpr_spill_count: 0
    .wavefront_size: 32
    .workgroup_processor_mode: 1
  - .args:
      - .offset:         0
        .size:           4
        .value_kind:     by_value
      - .offset:         4
        .size:           4
        .value_kind:     by_value
      - .offset:         8
        .size:           16
        .value_kind:     by_value
      - .address_space:  global
        .offset:         24
        .size:           8
        .value_kind:     global_buffer
      - .offset:         32
        .size:           4
        .value_kind:     by_value
      - .offset:         40
        .size:           8
        .value_kind:     by_value
      - .address_space:  global
        .offset:         48
        .size:           8
        .value_kind:     global_buffer
      - .offset:         56
        .size:           4
        .value_kind:     by_value
      - .offset:         64
        .size:           8
        .value_kind:     by_value
      - .offset:         72
        .size:           16
        .value_kind:     by_value
      - .address_space:  global
        .offset:         88
        .size:           8
        .value_kind:     global_buffer
      - .offset:         96
        .size:           4
        .value_kind:     by_value
      - .offset:         104
        .size:           8
        .value_kind:     by_value
      - .offset:         112
        .size:           4
        .value_kind:     by_value
    .group_segment_fixed_size: 8192
    .kernarg_segment_align: 8
    .kernarg_segment_size: 116
    .language:       OpenCL C
    .language_version:
      - 2
      - 0
    .max_flat_workgroup_size: 256
    .name:           _ZL37rocblas_syrkx_herkx_restricted_kernelIi19rocblas_complex_numIdELi16ELi32ELi8ELb1ELb1ELc78ELc76EKS1_S1_EviT_T0_PT8_S3_lS6_S3_lS4_PT9_S3_li
    .private_segment_fixed_size: 0
    .sgpr_count:     27
    .sgpr_spill_count: 0
    .symbol:         _ZL37rocblas_syrkx_herkx_restricted_kernelIi19rocblas_complex_numIdELi16ELi32ELi8ELb1ELb1ELc78ELc76EKS1_S1_EviT_T0_PT8_S3_lS6_S3_lS4_PT9_S3_li.kd
    .uniform_work_group_size: 1
    .uses_dynamic_stack: false
    .vgpr_count:     52
    .vgpr_spill_count: 0
    .wavefront_size: 32
    .workgroup_processor_mode: 1
  - .args:
      - .offset:         0
        .size:           4
        .value_kind:     by_value
      - .offset:         4
        .size:           4
        .value_kind:     by_value
      - .offset:         8
        .size:           16
        .value_kind:     by_value
      - .address_space:  global
        .offset:         24
        .size:           8
        .value_kind:     global_buffer
      - .offset:         32
        .size:           4
        .value_kind:     by_value
      - .offset:         40
        .size:           8
        .value_kind:     by_value
      - .address_space:  global
        .offset:         48
        .size:           8
        .value_kind:     global_buffer
      - .offset:         56
        .size:           4
        .value_kind:     by_value
      - .offset:         64
        .size:           8
        .value_kind:     by_value
      - .offset:         72
        .size:           16
        .value_kind:     by_value
      - .address_space:  global
        .offset:         88
        .size:           8
        .value_kind:     global_buffer
      - .offset:         96
        .size:           4
        .value_kind:     by_value
      - .offset:         104
        .size:           8
        .value_kind:     by_value
      - .offset:         112
        .size:           4
        .value_kind:     by_value
    .group_segment_fixed_size: 8192
    .kernarg_segment_align: 8
    .kernarg_segment_size: 116
    .language:       OpenCL C
    .language_version:
      - 2
      - 0
    .max_flat_workgroup_size: 256
    .name:           _ZL37rocblas_syrkx_herkx_restricted_kernelIi19rocblas_complex_numIdELi16ELi32ELi8ELb1ELb1ELc84ELc85EKS1_S1_EviT_T0_PT8_S3_lS6_S3_lS4_PT9_S3_li
    .private_segment_fixed_size: 0
    .sgpr_count:     24
    .sgpr_spill_count: 0
    .symbol:         _ZL37rocblas_syrkx_herkx_restricted_kernelIi19rocblas_complex_numIdELi16ELi32ELi8ELb1ELb1ELc84ELc85EKS1_S1_EviT_T0_PT8_S3_lS6_S3_lS4_PT9_S3_li.kd
    .uniform_work_group_size: 1
    .uses_dynamic_stack: false
    .vgpr_count:     52
    .vgpr_spill_count: 0
    .wavefront_size: 32
    .workgroup_processor_mode: 1
  - .args:
      - .offset:         0
        .size:           4
        .value_kind:     by_value
      - .offset:         4
        .size:           4
        .value_kind:     by_value
      - .offset:         8
        .size:           16
        .value_kind:     by_value
      - .address_space:  global
        .offset:         24
        .size:           8
        .value_kind:     global_buffer
      - .offset:         32
        .size:           4
        .value_kind:     by_value
      - .offset:         40
        .size:           8
        .value_kind:     by_value
      - .address_space:  global
        .offset:         48
        .size:           8
        .value_kind:     global_buffer
      - .offset:         56
        .size:           4
        .value_kind:     by_value
      - .offset:         64
        .size:           8
        .value_kind:     by_value
      - .offset:         72
        .size:           16
        .value_kind:     by_value
      - .address_space:  global
        .offset:         88
        .size:           8
        .value_kind:     global_buffer
      - .offset:         96
        .size:           4
        .value_kind:     by_value
      - .offset:         104
        .size:           8
        .value_kind:     by_value
      - .offset:         112
        .size:           4
        .value_kind:     by_value
    .group_segment_fixed_size: 8192
    .kernarg_segment_align: 8
    .kernarg_segment_size: 116
    .language:       OpenCL C
    .language_version:
      - 2
      - 0
    .max_flat_workgroup_size: 256
    .name:           _ZL37rocblas_syrkx_herkx_restricted_kernelIi19rocblas_complex_numIdELi16ELi32ELi8ELb1ELb1ELc67ELc85EKS1_S1_EviT_T0_PT8_S3_lS6_S3_lS4_PT9_S3_li
    .private_segment_fixed_size: 0
    .sgpr_count:     24
    .sgpr_spill_count: 0
    .symbol:         _ZL37rocblas_syrkx_herkx_restricted_kernelIi19rocblas_complex_numIdELi16ELi32ELi8ELb1ELb1ELc67ELc85EKS1_S1_EviT_T0_PT8_S3_lS6_S3_lS4_PT9_S3_li.kd
    .uniform_work_group_size: 1
    .uses_dynamic_stack: false
    .vgpr_count:     52
    .vgpr_spill_count: 0
    .wavefront_size: 32
    .workgroup_processor_mode: 1
  - .args:
      - .offset:         0
        .size:           4
        .value_kind:     by_value
      - .offset:         4
        .size:           4
        .value_kind:     by_value
      - .offset:         8
        .size:           16
        .value_kind:     by_value
      - .address_space:  global
        .offset:         24
        .size:           8
        .value_kind:     global_buffer
      - .offset:         32
        .size:           4
        .value_kind:     by_value
      - .offset:         40
        .size:           8
        .value_kind:     by_value
      - .address_space:  global
        .offset:         48
        .size:           8
        .value_kind:     global_buffer
      - .offset:         56
        .size:           4
        .value_kind:     by_value
      - .offset:         64
        .size:           8
        .value_kind:     by_value
      - .offset:         72
        .size:           16
        .value_kind:     by_value
      - .address_space:  global
        .offset:         88
        .size:           8
        .value_kind:     global_buffer
      - .offset:         96
        .size:           4
        .value_kind:     by_value
      - .offset:         104
        .size:           8
        .value_kind:     by_value
      - .offset:         112
        .size:           4
        .value_kind:     by_value
    .group_segment_fixed_size: 8192
    .kernarg_segment_align: 8
    .kernarg_segment_size: 116
    .language:       OpenCL C
    .language_version:
      - 2
      - 0
    .max_flat_workgroup_size: 256
    .name:           _ZL37rocblas_syrkx_herkx_restricted_kernelIi19rocblas_complex_numIdELi16ELi32ELi8ELb1ELb1ELc78ELc85EKS1_S1_EviT_T0_PT8_S3_lS6_S3_lS4_PT9_S3_li
    .private_segment_fixed_size: 0
    .sgpr_count:     27
    .sgpr_spill_count: 0
    .symbol:         _ZL37rocblas_syrkx_herkx_restricted_kernelIi19rocblas_complex_numIdELi16ELi32ELi8ELb1ELb1ELc78ELc85EKS1_S1_EviT_T0_PT8_S3_lS6_S3_lS4_PT9_S3_li.kd
    .uniform_work_group_size: 1
    .uses_dynamic_stack: false
    .vgpr_count:     52
    .vgpr_spill_count: 0
    .wavefront_size: 32
    .workgroup_processor_mode: 1
  - .args:
      - .offset:         0
        .size:           4
        .value_kind:     by_value
      - .offset:         4
        .size:           4
        .value_kind:     by_value
      - .offset:         8
        .size:           16
        .value_kind:     by_value
      - .address_space:  global
        .offset:         24
        .size:           8
        .value_kind:     global_buffer
      - .offset:         32
        .size:           4
        .value_kind:     by_value
      - .offset:         40
        .size:           8
        .value_kind:     by_value
      - .address_space:  global
        .offset:         48
        .size:           8
        .value_kind:     global_buffer
      - .offset:         56
        .size:           4
        .value_kind:     by_value
      - .offset:         64
        .size:           8
        .value_kind:     by_value
      - .offset:         72
        .size:           16
        .value_kind:     by_value
      - .address_space:  global
        .offset:         88
        .size:           8
        .value_kind:     global_buffer
      - .offset:         96
        .size:           4
        .value_kind:     by_value
      - .offset:         104
        .size:           8
        .value_kind:     by_value
      - .offset:         112
        .size:           4
        .value_kind:     by_value
    .group_segment_fixed_size: 8192
    .kernarg_segment_align: 8
    .kernarg_segment_size: 116
    .language:       OpenCL C
    .language_version:
      - 2
      - 0
    .max_flat_workgroup_size: 256
    .name:           _ZL37rocblas_syrkx_herkx_restricted_kernelIi19rocblas_complex_numIdELi16ELi32ELi8ELb0ELb1ELc84ELc76EKS1_S1_EviT_T0_PT8_S3_lS6_S3_lS4_PT9_S3_li
    .private_segment_fixed_size: 0
    .sgpr_count:     31
    .sgpr_spill_count: 0
    .symbol:         _ZL37rocblas_syrkx_herkx_restricted_kernelIi19rocblas_complex_numIdELi16ELi32ELi8ELb0ELb1ELc84ELc76EKS1_S1_EviT_T0_PT8_S3_lS6_S3_lS4_PT9_S3_li.kd
    .uniform_work_group_size: 1
    .uses_dynamic_stack: false
    .vgpr_count:     54
    .vgpr_spill_count: 0
    .wavefront_size: 32
    .workgroup_processor_mode: 1
  - .args:
      - .offset:         0
        .size:           4
        .value_kind:     by_value
      - .offset:         4
        .size:           4
        .value_kind:     by_value
      - .offset:         8
        .size:           16
        .value_kind:     by_value
      - .address_space:  global
        .offset:         24
        .size:           8
        .value_kind:     global_buffer
      - .offset:         32
        .size:           4
        .value_kind:     by_value
      - .offset:         40
        .size:           8
        .value_kind:     by_value
      - .address_space:  global
        .offset:         48
        .size:           8
        .value_kind:     global_buffer
      - .offset:         56
        .size:           4
        .value_kind:     by_value
      - .offset:         64
        .size:           8
        .value_kind:     by_value
      - .offset:         72
        .size:           16
        .value_kind:     by_value
      - .address_space:  global
        .offset:         88
        .size:           8
        .value_kind:     global_buffer
      - .offset:         96
        .size:           4
        .value_kind:     by_value
      - .offset:         104
        .size:           8
        .value_kind:     by_value
      - .offset:         112
        .size:           4
        .value_kind:     by_value
    .group_segment_fixed_size: 8192
    .kernarg_segment_align: 8
    .kernarg_segment_size: 116
    .language:       OpenCL C
    .language_version:
      - 2
      - 0
    .max_flat_workgroup_size: 256
    .name:           _ZL37rocblas_syrkx_herkx_restricted_kernelIi19rocblas_complex_numIdELi16ELi32ELi8ELb0ELb1ELc67ELc76EKS1_S1_EviT_T0_PT8_S3_lS6_S3_lS4_PT9_S3_li
    .private_segment_fixed_size: 0
    .sgpr_count:     31
    .sgpr_spill_count: 0
    .symbol:         _ZL37rocblas_syrkx_herkx_restricted_kernelIi19rocblas_complex_numIdELi16ELi32ELi8ELb0ELb1ELc67ELc76EKS1_S1_EviT_T0_PT8_S3_lS6_S3_lS4_PT9_S3_li.kd
    .uniform_work_group_size: 1
    .uses_dynamic_stack: false
    .vgpr_count:     54
    .vgpr_spill_count: 0
    .wavefront_size: 32
    .workgroup_processor_mode: 1
  - .args:
      - .offset:         0
        .size:           4
        .value_kind:     by_value
      - .offset:         4
        .size:           4
        .value_kind:     by_value
      - .offset:         8
        .size:           16
        .value_kind:     by_value
      - .address_space:  global
        .offset:         24
        .size:           8
        .value_kind:     global_buffer
      - .offset:         32
        .size:           4
        .value_kind:     by_value
      - .offset:         40
        .size:           8
        .value_kind:     by_value
      - .address_space:  global
        .offset:         48
        .size:           8
        .value_kind:     global_buffer
      - .offset:         56
        .size:           4
        .value_kind:     by_value
      - .offset:         64
        .size:           8
        .value_kind:     by_value
      - .offset:         72
        .size:           16
        .value_kind:     by_value
      - .address_space:  global
        .offset:         88
        .size:           8
        .value_kind:     global_buffer
      - .offset:         96
        .size:           4
        .value_kind:     by_value
      - .offset:         104
        .size:           8
        .value_kind:     by_value
      - .offset:         112
        .size:           4
        .value_kind:     by_value
    .group_segment_fixed_size: 8192
    .kernarg_segment_align: 8
    .kernarg_segment_size: 116
    .language:       OpenCL C
    .language_version:
      - 2
      - 0
    .max_flat_workgroup_size: 256
    .name:           _ZL37rocblas_syrkx_herkx_restricted_kernelIi19rocblas_complex_numIdELi16ELi32ELi8ELb0ELb1ELc78ELc76EKS1_S1_EviT_T0_PT8_S3_lS6_S3_lS4_PT9_S3_li
    .private_segment_fixed_size: 0
    .sgpr_count:     33
    .sgpr_spill_count: 0
    .symbol:         _ZL37rocblas_syrkx_herkx_restricted_kernelIi19rocblas_complex_numIdELi16ELi32ELi8ELb0ELb1ELc78ELc76EKS1_S1_EviT_T0_PT8_S3_lS6_S3_lS4_PT9_S3_li.kd
    .uniform_work_group_size: 1
    .uses_dynamic_stack: false
    .vgpr_count:     54
    .vgpr_spill_count: 0
    .wavefront_size: 32
    .workgroup_processor_mode: 1
  - .args:
      - .offset:         0
        .size:           4
        .value_kind:     by_value
      - .offset:         4
        .size:           4
        .value_kind:     by_value
      - .offset:         8
        .size:           16
        .value_kind:     by_value
      - .address_space:  global
        .offset:         24
        .size:           8
        .value_kind:     global_buffer
      - .offset:         32
        .size:           4
        .value_kind:     by_value
      - .offset:         40
        .size:           8
        .value_kind:     by_value
      - .address_space:  global
        .offset:         48
        .size:           8
        .value_kind:     global_buffer
      - .offset:         56
        .size:           4
        .value_kind:     by_value
      - .offset:         64
        .size:           8
        .value_kind:     by_value
      - .offset:         72
        .size:           16
        .value_kind:     by_value
      - .address_space:  global
        .offset:         88
        .size:           8
        .value_kind:     global_buffer
      - .offset:         96
        .size:           4
        .value_kind:     by_value
      - .offset:         104
        .size:           8
        .value_kind:     by_value
      - .offset:         112
        .size:           4
        .value_kind:     by_value
    .group_segment_fixed_size: 8192
    .kernarg_segment_align: 8
    .kernarg_segment_size: 116
    .language:       OpenCL C
    .language_version:
      - 2
      - 0
    .max_flat_workgroup_size: 256
    .name:           _ZL37rocblas_syrkx_herkx_restricted_kernelIi19rocblas_complex_numIdELi16ELi32ELi8ELb0ELb1ELc84ELc85EKS1_S1_EviT_T0_PT8_S3_lS6_S3_lS4_PT9_S3_li
    .private_segment_fixed_size: 0
    .sgpr_count:     31
    .sgpr_spill_count: 0
    .symbol:         _ZL37rocblas_syrkx_herkx_restricted_kernelIi19rocblas_complex_numIdELi16ELi32ELi8ELb0ELb1ELc84ELc85EKS1_S1_EviT_T0_PT8_S3_lS6_S3_lS4_PT9_S3_li.kd
    .uniform_work_group_size: 1
    .uses_dynamic_stack: false
    .vgpr_count:     52
    .vgpr_spill_count: 0
    .wavefront_size: 32
    .workgroup_processor_mode: 1
  - .args:
      - .offset:         0
        .size:           4
        .value_kind:     by_value
      - .offset:         4
        .size:           4
        .value_kind:     by_value
      - .offset:         8
        .size:           16
        .value_kind:     by_value
      - .address_space:  global
        .offset:         24
        .size:           8
        .value_kind:     global_buffer
      - .offset:         32
        .size:           4
        .value_kind:     by_value
      - .offset:         40
        .size:           8
        .value_kind:     by_value
      - .address_space:  global
        .offset:         48
        .size:           8
        .value_kind:     global_buffer
      - .offset:         56
        .size:           4
        .value_kind:     by_value
      - .offset:         64
        .size:           8
        .value_kind:     by_value
      - .offset:         72
        .size:           16
        .value_kind:     by_value
      - .address_space:  global
        .offset:         88
        .size:           8
        .value_kind:     global_buffer
      - .offset:         96
        .size:           4
        .value_kind:     by_value
      - .offset:         104
        .size:           8
        .value_kind:     by_value
      - .offset:         112
        .size:           4
        .value_kind:     by_value
    .group_segment_fixed_size: 8192
    .kernarg_segment_align: 8
    .kernarg_segment_size: 116
    .language:       OpenCL C
    .language_version:
      - 2
      - 0
    .max_flat_workgroup_size: 256
    .name:           _ZL37rocblas_syrkx_herkx_restricted_kernelIi19rocblas_complex_numIdELi16ELi32ELi8ELb0ELb1ELc67ELc85EKS1_S1_EviT_T0_PT8_S3_lS6_S3_lS4_PT9_S3_li
    .private_segment_fixed_size: 0
    .sgpr_count:     31
    .sgpr_spill_count: 0
    .symbol:         _ZL37rocblas_syrkx_herkx_restricted_kernelIi19rocblas_complex_numIdELi16ELi32ELi8ELb0ELb1ELc67ELc85EKS1_S1_EviT_T0_PT8_S3_lS6_S3_lS4_PT9_S3_li.kd
    .uniform_work_group_size: 1
    .uses_dynamic_stack: false
    .vgpr_count:     52
    .vgpr_spill_count: 0
    .wavefront_size: 32
    .workgroup_processor_mode: 1
  - .args:
      - .offset:         0
        .size:           4
        .value_kind:     by_value
      - .offset:         4
        .size:           4
        .value_kind:     by_value
      - .offset:         8
        .size:           16
        .value_kind:     by_value
      - .address_space:  global
        .offset:         24
        .size:           8
        .value_kind:     global_buffer
      - .offset:         32
        .size:           4
        .value_kind:     by_value
      - .offset:         40
        .size:           8
        .value_kind:     by_value
      - .address_space:  global
        .offset:         48
        .size:           8
        .value_kind:     global_buffer
      - .offset:         56
        .size:           4
        .value_kind:     by_value
      - .offset:         64
        .size:           8
        .value_kind:     by_value
      - .offset:         72
        .size:           16
        .value_kind:     by_value
      - .address_space:  global
        .offset:         88
        .size:           8
        .value_kind:     global_buffer
      - .offset:         96
        .size:           4
        .value_kind:     by_value
      - .offset:         104
        .size:           8
        .value_kind:     by_value
      - .offset:         112
        .size:           4
        .value_kind:     by_value
    .group_segment_fixed_size: 8192
    .kernarg_segment_align: 8
    .kernarg_segment_size: 116
    .language:       OpenCL C
    .language_version:
      - 2
      - 0
    .max_flat_workgroup_size: 256
    .name:           _ZL37rocblas_syrkx_herkx_restricted_kernelIi19rocblas_complex_numIdELi16ELi32ELi8ELb0ELb1ELc78ELc85EKS1_S1_EviT_T0_PT8_S3_lS6_S3_lS4_PT9_S3_li
    .private_segment_fixed_size: 0
    .sgpr_count:     33
    .sgpr_spill_count: 0
    .symbol:         _ZL37rocblas_syrkx_herkx_restricted_kernelIi19rocblas_complex_numIdELi16ELi32ELi8ELb0ELb1ELc78ELc85EKS1_S1_EviT_T0_PT8_S3_lS6_S3_lS4_PT9_S3_li.kd
    .uniform_work_group_size: 1
    .uses_dynamic_stack: false
    .vgpr_count:     52
    .vgpr_spill_count: 0
    .wavefront_size: 32
    .workgroup_processor_mode: 1
  - .args:
      - .offset:         0
        .size:           4
        .value_kind:     by_value
      - .offset:         4
        .size:           4
        .value_kind:     by_value
      - .offset:         8
        .size:           16
        .value_kind:     by_value
      - .address_space:  global
        .offset:         24
        .size:           8
        .value_kind:     global_buffer
      - .offset:         32
        .size:           4
        .value_kind:     by_value
      - .offset:         40
        .size:           8
        .value_kind:     by_value
      - .address_space:  global
        .offset:         48
        .size:           8
        .value_kind:     global_buffer
      - .offset:         56
        .size:           4
        .value_kind:     by_value
      - .offset:         64
        .size:           8
        .value_kind:     by_value
      - .offset:         72
        .size:           16
        .value_kind:     by_value
      - .address_space:  global
        .offset:         88
        .size:           8
        .value_kind:     global_buffer
      - .offset:         96
        .size:           4
        .value_kind:     by_value
      - .offset:         104
        .size:           8
        .value_kind:     by_value
      - .offset:         112
        .size:           4
        .value_kind:     by_value
    .group_segment_fixed_size: 8192
    .kernarg_segment_align: 8
    .kernarg_segment_size: 116
    .language:       OpenCL C
    .language_version:
      - 2
      - 0
    .max_flat_workgroup_size: 256
    .name:           _ZL41rocblas_syrkx_herkx_small_restrict_kernelIi19rocblas_complex_numIdELi16ELb1ELb1ELc84ELc76EKS1_S1_EviT_T0_PT6_S3_lS6_S3_lS4_PT7_S3_li
    .private_segment_fixed_size: 0
    .sgpr_count:     21
    .sgpr_spill_count: 0
    .symbol:         _ZL41rocblas_syrkx_herkx_small_restrict_kernelIi19rocblas_complex_numIdELi16ELb1ELb1ELc84ELc76EKS1_S1_EviT_T0_PT6_S3_lS6_S3_lS4_PT7_S3_li.kd
    .uniform_work_group_size: 1
    .uses_dynamic_stack: false
    .vgpr_count:     46
    .vgpr_spill_count: 0
    .wavefront_size: 32
    .workgroup_processor_mode: 1
  - .args:
      - .offset:         0
        .size:           4
        .value_kind:     by_value
      - .offset:         4
        .size:           4
        .value_kind:     by_value
      - .offset:         8
        .size:           16
        .value_kind:     by_value
      - .address_space:  global
        .offset:         24
        .size:           8
        .value_kind:     global_buffer
      - .offset:         32
        .size:           4
        .value_kind:     by_value
      - .offset:         40
        .size:           8
        .value_kind:     by_value
      - .address_space:  global
        .offset:         48
        .size:           8
        .value_kind:     global_buffer
      - .offset:         56
        .size:           4
        .value_kind:     by_value
      - .offset:         64
        .size:           8
        .value_kind:     by_value
      - .offset:         72
        .size:           16
        .value_kind:     by_value
      - .address_space:  global
        .offset:         88
        .size:           8
        .value_kind:     global_buffer
      - .offset:         96
        .size:           4
        .value_kind:     by_value
      - .offset:         104
        .size:           8
        .value_kind:     by_value
      - .offset:         112
        .size:           4
        .value_kind:     by_value
    .group_segment_fixed_size: 8192
    .kernarg_segment_align: 8
    .kernarg_segment_size: 116
    .language:       OpenCL C
    .language_version:
      - 2
      - 0
    .max_flat_workgroup_size: 256
    .name:           _ZL41rocblas_syrkx_herkx_small_restrict_kernelIi19rocblas_complex_numIdELi16ELb1ELb1ELc67ELc76EKS1_S1_EviT_T0_PT6_S3_lS6_S3_lS4_PT7_S3_li
    .private_segment_fixed_size: 0
    .sgpr_count:     21
    .sgpr_spill_count: 0
    .symbol:         _ZL41rocblas_syrkx_herkx_small_restrict_kernelIi19rocblas_complex_numIdELi16ELb1ELb1ELc67ELc76EKS1_S1_EviT_T0_PT6_S3_lS6_S3_lS4_PT7_S3_li.kd
    .uniform_work_group_size: 1
    .uses_dynamic_stack: false
    .vgpr_count:     46
    .vgpr_spill_count: 0
    .wavefront_size: 32
    .workgroup_processor_mode: 1
  - .args:
      - .offset:         0
        .size:           4
        .value_kind:     by_value
      - .offset:         4
        .size:           4
        .value_kind:     by_value
      - .offset:         8
        .size:           16
        .value_kind:     by_value
      - .address_space:  global
        .offset:         24
        .size:           8
        .value_kind:     global_buffer
      - .offset:         32
        .size:           4
        .value_kind:     by_value
      - .offset:         40
        .size:           8
        .value_kind:     by_value
      - .address_space:  global
        .offset:         48
        .size:           8
        .value_kind:     global_buffer
      - .offset:         56
        .size:           4
        .value_kind:     by_value
      - .offset:         64
        .size:           8
        .value_kind:     by_value
      - .offset:         72
        .size:           16
        .value_kind:     by_value
      - .address_space:  global
        .offset:         88
        .size:           8
        .value_kind:     global_buffer
      - .offset:         96
        .size:           4
        .value_kind:     by_value
      - .offset:         104
        .size:           8
        .value_kind:     by_value
      - .offset:         112
        .size:           4
        .value_kind:     by_value
    .group_segment_fixed_size: 8192
    .kernarg_segment_align: 8
    .kernarg_segment_size: 116
    .language:       OpenCL C
    .language_version:
      - 2
      - 0
    .max_flat_workgroup_size: 256
    .name:           _ZL41rocblas_syrkx_herkx_small_restrict_kernelIi19rocblas_complex_numIdELi16ELb1ELb1ELc78ELc76EKS1_S1_EviT_T0_PT6_S3_lS6_S3_lS4_PT7_S3_li
    .private_segment_fixed_size: 0
    .sgpr_count:     24
    .sgpr_spill_count: 0
    .symbol:         _ZL41rocblas_syrkx_herkx_small_restrict_kernelIi19rocblas_complex_numIdELi16ELb1ELb1ELc78ELc76EKS1_S1_EviT_T0_PT6_S3_lS6_S3_lS4_PT7_S3_li.kd
    .uniform_work_group_size: 1
    .uses_dynamic_stack: false
    .vgpr_count:     47
    .vgpr_spill_count: 0
    .wavefront_size: 32
    .workgroup_processor_mode: 1
  - .args:
      - .offset:         0
        .size:           4
        .value_kind:     by_value
      - .offset:         4
        .size:           4
        .value_kind:     by_value
      - .offset:         8
        .size:           16
        .value_kind:     by_value
      - .address_space:  global
        .offset:         24
        .size:           8
        .value_kind:     global_buffer
      - .offset:         32
        .size:           4
        .value_kind:     by_value
      - .offset:         40
        .size:           8
        .value_kind:     by_value
      - .address_space:  global
        .offset:         48
        .size:           8
        .value_kind:     global_buffer
      - .offset:         56
        .size:           4
        .value_kind:     by_value
      - .offset:         64
        .size:           8
        .value_kind:     by_value
      - .offset:         72
        .size:           16
        .value_kind:     by_value
      - .address_space:  global
        .offset:         88
        .size:           8
        .value_kind:     global_buffer
      - .offset:         96
        .size:           4
        .value_kind:     by_value
      - .offset:         104
        .size:           8
        .value_kind:     by_value
      - .offset:         112
        .size:           4
        .value_kind:     by_value
    .group_segment_fixed_size: 8192
    .kernarg_segment_align: 8
    .kernarg_segment_size: 116
    .language:       OpenCL C
    .language_version:
      - 2
      - 0
    .max_flat_workgroup_size: 256
    .name:           _ZL41rocblas_syrkx_herkx_small_restrict_kernelIi19rocblas_complex_numIdELi16ELb1ELb1ELc84ELc85EKS1_S1_EviT_T0_PT6_S3_lS6_S3_lS4_PT7_S3_li
    .private_segment_fixed_size: 0
    .sgpr_count:     21
    .sgpr_spill_count: 0
    .symbol:         _ZL41rocblas_syrkx_herkx_small_restrict_kernelIi19rocblas_complex_numIdELi16ELb1ELb1ELc84ELc85EKS1_S1_EviT_T0_PT6_S3_lS6_S3_lS4_PT7_S3_li.kd
    .uniform_work_group_size: 1
    .uses_dynamic_stack: false
    .vgpr_count:     46
    .vgpr_spill_count: 0
    .wavefront_size: 32
    .workgroup_processor_mode: 1
  - .args:
      - .offset:         0
        .size:           4
        .value_kind:     by_value
      - .offset:         4
        .size:           4
        .value_kind:     by_value
      - .offset:         8
        .size:           16
        .value_kind:     by_value
      - .address_space:  global
        .offset:         24
        .size:           8
        .value_kind:     global_buffer
      - .offset:         32
        .size:           4
        .value_kind:     by_value
      - .offset:         40
        .size:           8
        .value_kind:     by_value
      - .address_space:  global
        .offset:         48
        .size:           8
        .value_kind:     global_buffer
      - .offset:         56
        .size:           4
        .value_kind:     by_value
      - .offset:         64
        .size:           8
        .value_kind:     by_value
      - .offset:         72
        .size:           16
        .value_kind:     by_value
      - .address_space:  global
        .offset:         88
        .size:           8
        .value_kind:     global_buffer
      - .offset:         96
        .size:           4
        .value_kind:     by_value
      - .offset:         104
        .size:           8
        .value_kind:     by_value
      - .offset:         112
        .size:           4
        .value_kind:     by_value
    .group_segment_fixed_size: 8192
    .kernarg_segment_align: 8
    .kernarg_segment_size: 116
    .language:       OpenCL C
    .language_version:
      - 2
      - 0
    .max_flat_workgroup_size: 256
    .name:           _ZL41rocblas_syrkx_herkx_small_restrict_kernelIi19rocblas_complex_numIdELi16ELb1ELb1ELc67ELc85EKS1_S1_EviT_T0_PT6_S3_lS6_S3_lS4_PT7_S3_li
    .private_segment_fixed_size: 0
    .sgpr_count:     21
    .sgpr_spill_count: 0
    .symbol:         _ZL41rocblas_syrkx_herkx_small_restrict_kernelIi19rocblas_complex_numIdELi16ELb1ELb1ELc67ELc85EKS1_S1_EviT_T0_PT6_S3_lS6_S3_lS4_PT7_S3_li.kd
    .uniform_work_group_size: 1
    .uses_dynamic_stack: false
    .vgpr_count:     46
    .vgpr_spill_count: 0
    .wavefront_size: 32
    .workgroup_processor_mode: 1
  - .args:
      - .offset:         0
        .size:           4
        .value_kind:     by_value
      - .offset:         4
        .size:           4
        .value_kind:     by_value
      - .offset:         8
        .size:           16
        .value_kind:     by_value
      - .address_space:  global
        .offset:         24
        .size:           8
        .value_kind:     global_buffer
      - .offset:         32
        .size:           4
        .value_kind:     by_value
      - .offset:         40
        .size:           8
        .value_kind:     by_value
      - .address_space:  global
        .offset:         48
        .size:           8
        .value_kind:     global_buffer
      - .offset:         56
        .size:           4
        .value_kind:     by_value
      - .offset:         64
        .size:           8
        .value_kind:     by_value
      - .offset:         72
        .size:           16
        .value_kind:     by_value
      - .address_space:  global
        .offset:         88
        .size:           8
        .value_kind:     global_buffer
      - .offset:         96
        .size:           4
        .value_kind:     by_value
      - .offset:         104
        .size:           8
        .value_kind:     by_value
      - .offset:         112
        .size:           4
        .value_kind:     by_value
    .group_segment_fixed_size: 8192
    .kernarg_segment_align: 8
    .kernarg_segment_size: 116
    .language:       OpenCL C
    .language_version:
      - 2
      - 0
    .max_flat_workgroup_size: 256
    .name:           _ZL41rocblas_syrkx_herkx_small_restrict_kernelIi19rocblas_complex_numIdELi16ELb1ELb1ELc78ELc85EKS1_S1_EviT_T0_PT6_S3_lS6_S3_lS4_PT7_S3_li
    .private_segment_fixed_size: 0
    .sgpr_count:     24
    .sgpr_spill_count: 0
    .symbol:         _ZL41rocblas_syrkx_herkx_small_restrict_kernelIi19rocblas_complex_numIdELi16ELb1ELb1ELc78ELc85EKS1_S1_EviT_T0_PT6_S3_lS6_S3_lS4_PT7_S3_li.kd
    .uniform_work_group_size: 1
    .uses_dynamic_stack: false
    .vgpr_count:     47
    .vgpr_spill_count: 0
    .wavefront_size: 32
    .workgroup_processor_mode: 1
  - .args:
      - .offset:         0
        .size:           4
        .value_kind:     by_value
      - .offset:         4
        .size:           4
        .value_kind:     by_value
      - .offset:         8
        .size:           16
        .value_kind:     by_value
      - .address_space:  global
        .offset:         24
        .size:           8
        .value_kind:     global_buffer
      - .offset:         32
        .size:           4
        .value_kind:     by_value
      - .offset:         40
        .size:           8
        .value_kind:     by_value
      - .address_space:  global
        .offset:         48
        .size:           8
        .value_kind:     global_buffer
      - .offset:         56
        .size:           4
        .value_kind:     by_value
      - .offset:         64
        .size:           8
        .value_kind:     by_value
      - .offset:         72
        .size:           16
        .value_kind:     by_value
      - .address_space:  global
        .offset:         88
        .size:           8
        .value_kind:     global_buffer
      - .offset:         96
        .size:           4
        .value_kind:     by_value
      - .offset:         104
        .size:           8
        .value_kind:     by_value
      - .offset:         112
        .size:           4
        .value_kind:     by_value
    .group_segment_fixed_size: 8192
    .kernarg_segment_align: 8
    .kernarg_segment_size: 116
    .language:       OpenCL C
    .language_version:
      - 2
      - 0
    .max_flat_workgroup_size: 256
    .name:           _ZL41rocblas_syrkx_herkx_small_restrict_kernelIi19rocblas_complex_numIdELi16ELb0ELb1ELc84ELc76EKS1_S1_EviT_T0_PT6_S3_lS6_S3_lS4_PT7_S3_li
    .private_segment_fixed_size: 0
    .sgpr_count:     28
    .sgpr_spill_count: 0
    .symbol:         _ZL41rocblas_syrkx_herkx_small_restrict_kernelIi19rocblas_complex_numIdELi16ELb0ELb1ELc84ELc76EKS1_S1_EviT_T0_PT6_S3_lS6_S3_lS4_PT7_S3_li.kd
    .uniform_work_group_size: 1
    .uses_dynamic_stack: false
    .vgpr_count:     46
    .vgpr_spill_count: 0
    .wavefront_size: 32
    .workgroup_processor_mode: 1
  - .args:
      - .offset:         0
        .size:           4
        .value_kind:     by_value
      - .offset:         4
        .size:           4
        .value_kind:     by_value
      - .offset:         8
        .size:           16
        .value_kind:     by_value
      - .address_space:  global
        .offset:         24
        .size:           8
        .value_kind:     global_buffer
      - .offset:         32
        .size:           4
        .value_kind:     by_value
      - .offset:         40
        .size:           8
        .value_kind:     by_value
      - .address_space:  global
        .offset:         48
        .size:           8
        .value_kind:     global_buffer
      - .offset:         56
        .size:           4
        .value_kind:     by_value
      - .offset:         64
        .size:           8
        .value_kind:     by_value
      - .offset:         72
        .size:           16
        .value_kind:     by_value
      - .address_space:  global
        .offset:         88
        .size:           8
        .value_kind:     global_buffer
      - .offset:         96
        .size:           4
        .value_kind:     by_value
      - .offset:         104
        .size:           8
        .value_kind:     by_value
      - .offset:         112
        .size:           4
        .value_kind:     by_value
    .group_segment_fixed_size: 8192
    .kernarg_segment_align: 8
    .kernarg_segment_size: 116
    .language:       OpenCL C
    .language_version:
      - 2
      - 0
    .max_flat_workgroup_size: 256
    .name:           _ZL41rocblas_syrkx_herkx_small_restrict_kernelIi19rocblas_complex_numIdELi16ELb0ELb1ELc67ELc76EKS1_S1_EviT_T0_PT6_S3_lS6_S3_lS4_PT7_S3_li
    .private_segment_fixed_size: 0
    .sgpr_count:     28
    .sgpr_spill_count: 0
    .symbol:         _ZL41rocblas_syrkx_herkx_small_restrict_kernelIi19rocblas_complex_numIdELi16ELb0ELb1ELc67ELc76EKS1_S1_EviT_T0_PT6_S3_lS6_S3_lS4_PT7_S3_li.kd
    .uniform_work_group_size: 1
    .uses_dynamic_stack: false
    .vgpr_count:     46
    .vgpr_spill_count: 0
    .wavefront_size: 32
    .workgroup_processor_mode: 1
  - .args:
      - .offset:         0
        .size:           4
        .value_kind:     by_value
      - .offset:         4
        .size:           4
        .value_kind:     by_value
      - .offset:         8
        .size:           16
        .value_kind:     by_value
      - .address_space:  global
        .offset:         24
        .size:           8
        .value_kind:     global_buffer
      - .offset:         32
        .size:           4
        .value_kind:     by_value
      - .offset:         40
        .size:           8
        .value_kind:     by_value
      - .address_space:  global
        .offset:         48
        .size:           8
        .value_kind:     global_buffer
      - .offset:         56
        .size:           4
        .value_kind:     by_value
      - .offset:         64
        .size:           8
        .value_kind:     by_value
      - .offset:         72
        .size:           16
        .value_kind:     by_value
      - .address_space:  global
        .offset:         88
        .size:           8
        .value_kind:     global_buffer
      - .offset:         96
        .size:           4
        .value_kind:     by_value
      - .offset:         104
        .size:           8
        .value_kind:     by_value
      - .offset:         112
        .size:           4
        .value_kind:     by_value
    .group_segment_fixed_size: 8192
    .kernarg_segment_align: 8
    .kernarg_segment_size: 116
    .language:       OpenCL C
    .language_version:
      - 2
      - 0
    .max_flat_workgroup_size: 256
    .name:           _ZL41rocblas_syrkx_herkx_small_restrict_kernelIi19rocblas_complex_numIdELi16ELb0ELb1ELc78ELc76EKS1_S1_EviT_T0_PT6_S3_lS6_S3_lS4_PT7_S3_li
    .private_segment_fixed_size: 0
    .sgpr_count:     30
    .sgpr_spill_count: 0
    .symbol:         _ZL41rocblas_syrkx_herkx_small_restrict_kernelIi19rocblas_complex_numIdELi16ELb0ELb1ELc78ELc76EKS1_S1_EviT_T0_PT6_S3_lS6_S3_lS4_PT7_S3_li.kd
    .uniform_work_group_size: 1
    .uses_dynamic_stack: false
    .vgpr_count:     47
    .vgpr_spill_count: 0
    .wavefront_size: 32
    .workgroup_processor_mode: 1
  - .args:
      - .offset:         0
        .size:           4
        .value_kind:     by_value
      - .offset:         4
        .size:           4
        .value_kind:     by_value
      - .offset:         8
        .size:           16
        .value_kind:     by_value
      - .address_space:  global
        .offset:         24
        .size:           8
        .value_kind:     global_buffer
      - .offset:         32
        .size:           4
        .value_kind:     by_value
      - .offset:         40
        .size:           8
        .value_kind:     by_value
      - .address_space:  global
        .offset:         48
        .size:           8
        .value_kind:     global_buffer
      - .offset:         56
        .size:           4
        .value_kind:     by_value
      - .offset:         64
        .size:           8
        .value_kind:     by_value
      - .offset:         72
        .size:           16
        .value_kind:     by_value
      - .address_space:  global
        .offset:         88
        .size:           8
        .value_kind:     global_buffer
      - .offset:         96
        .size:           4
        .value_kind:     by_value
      - .offset:         104
        .size:           8
        .value_kind:     by_value
      - .offset:         112
        .size:           4
        .value_kind:     by_value
    .group_segment_fixed_size: 8192
    .kernarg_segment_align: 8
    .kernarg_segment_size: 116
    .language:       OpenCL C
    .language_version:
      - 2
      - 0
    .max_flat_workgroup_size: 256
    .name:           _ZL41rocblas_syrkx_herkx_small_restrict_kernelIi19rocblas_complex_numIdELi16ELb0ELb1ELc84ELc85EKS1_S1_EviT_T0_PT6_S3_lS6_S3_lS4_PT7_S3_li
    .private_segment_fixed_size: 0
    .sgpr_count:     28
    .sgpr_spill_count: 0
    .symbol:         _ZL41rocblas_syrkx_herkx_small_restrict_kernelIi19rocblas_complex_numIdELi16ELb0ELb1ELc84ELc85EKS1_S1_EviT_T0_PT6_S3_lS6_S3_lS4_PT7_S3_li.kd
    .uniform_work_group_size: 1
    .uses_dynamic_stack: false
    .vgpr_count:     46
    .vgpr_spill_count: 0
    .wavefront_size: 32
    .workgroup_processor_mode: 1
  - .args:
      - .offset:         0
        .size:           4
        .value_kind:     by_value
      - .offset:         4
        .size:           4
        .value_kind:     by_value
      - .offset:         8
        .size:           16
        .value_kind:     by_value
      - .address_space:  global
        .offset:         24
        .size:           8
        .value_kind:     global_buffer
      - .offset:         32
        .size:           4
        .value_kind:     by_value
      - .offset:         40
        .size:           8
        .value_kind:     by_value
      - .address_space:  global
        .offset:         48
        .size:           8
        .value_kind:     global_buffer
      - .offset:         56
        .size:           4
        .value_kind:     by_value
      - .offset:         64
        .size:           8
        .value_kind:     by_value
      - .offset:         72
        .size:           16
        .value_kind:     by_value
      - .address_space:  global
        .offset:         88
        .size:           8
        .value_kind:     global_buffer
      - .offset:         96
        .size:           4
        .value_kind:     by_value
      - .offset:         104
        .size:           8
        .value_kind:     by_value
      - .offset:         112
        .size:           4
        .value_kind:     by_value
    .group_segment_fixed_size: 8192
    .kernarg_segment_align: 8
    .kernarg_segment_size: 116
    .language:       OpenCL C
    .language_version:
      - 2
      - 0
    .max_flat_workgroup_size: 256
    .name:           _ZL41rocblas_syrkx_herkx_small_restrict_kernelIi19rocblas_complex_numIdELi16ELb0ELb1ELc67ELc85EKS1_S1_EviT_T0_PT6_S3_lS6_S3_lS4_PT7_S3_li
    .private_segment_fixed_size: 0
    .sgpr_count:     28
    .sgpr_spill_count: 0
    .symbol:         _ZL41rocblas_syrkx_herkx_small_restrict_kernelIi19rocblas_complex_numIdELi16ELb0ELb1ELc67ELc85EKS1_S1_EviT_T0_PT6_S3_lS6_S3_lS4_PT7_S3_li.kd
    .uniform_work_group_size: 1
    .uses_dynamic_stack: false
    .vgpr_count:     46
    .vgpr_spill_count: 0
    .wavefront_size: 32
    .workgroup_processor_mode: 1
  - .args:
      - .offset:         0
        .size:           4
        .value_kind:     by_value
      - .offset:         4
        .size:           4
        .value_kind:     by_value
      - .offset:         8
        .size:           16
        .value_kind:     by_value
      - .address_space:  global
        .offset:         24
        .size:           8
        .value_kind:     global_buffer
      - .offset:         32
        .size:           4
        .value_kind:     by_value
      - .offset:         40
        .size:           8
        .value_kind:     by_value
      - .address_space:  global
        .offset:         48
        .size:           8
        .value_kind:     global_buffer
      - .offset:         56
        .size:           4
        .value_kind:     by_value
      - .offset:         64
        .size:           8
        .value_kind:     by_value
      - .offset:         72
        .size:           16
        .value_kind:     by_value
      - .address_space:  global
        .offset:         88
        .size:           8
        .value_kind:     global_buffer
      - .offset:         96
        .size:           4
        .value_kind:     by_value
      - .offset:         104
        .size:           8
        .value_kind:     by_value
      - .offset:         112
        .size:           4
        .value_kind:     by_value
    .group_segment_fixed_size: 8192
    .kernarg_segment_align: 8
    .kernarg_segment_size: 116
    .language:       OpenCL C
    .language_version:
      - 2
      - 0
    .max_flat_workgroup_size: 256
    .name:           _ZL41rocblas_syrkx_herkx_small_restrict_kernelIi19rocblas_complex_numIdELi16ELb0ELb1ELc78ELc85EKS1_S1_EviT_T0_PT6_S3_lS6_S3_lS4_PT7_S3_li
    .private_segment_fixed_size: 0
    .sgpr_count:     30
    .sgpr_spill_count: 0
    .symbol:         _ZL41rocblas_syrkx_herkx_small_restrict_kernelIi19rocblas_complex_numIdELi16ELb0ELb1ELc78ELc85EKS1_S1_EviT_T0_PT6_S3_lS6_S3_lS4_PT7_S3_li.kd
    .uniform_work_group_size: 1
    .uses_dynamic_stack: false
    .vgpr_count:     47
    .vgpr_spill_count: 0
    .wavefront_size: 32
    .workgroup_processor_mode: 1
  - .args:
      - .offset:         0
        .size:           4
        .value_kind:     by_value
      - .offset:         4
        .size:           4
        .value_kind:     by_value
      - .offset:         8
        .size:           16
        .value_kind:     by_value
      - .address_space:  global
        .offset:         24
        .size:           8
        .value_kind:     global_buffer
      - .offset:         32
        .size:           4
        .value_kind:     by_value
      - .offset:         40
        .size:           8
        .value_kind:     by_value
      - .address_space:  global
        .offset:         48
        .size:           8
        .value_kind:     global_buffer
      - .offset:         56
        .size:           4
        .value_kind:     by_value
      - .offset:         64
        .size:           8
        .value_kind:     by_value
      - .offset:         72
        .size:           16
        .value_kind:     by_value
      - .address_space:  global
        .offset:         88
        .size:           8
        .value_kind:     global_buffer
      - .offset:         96
        .size:           4
        .value_kind:     by_value
      - .offset:         104
        .size:           8
        .value_kind:     by_value
      - .offset:         112
        .size:           4
        .value_kind:     by_value
    .group_segment_fixed_size: 8192
    .kernarg_segment_align: 8
    .kernarg_segment_size: 116
    .language:       OpenCL C
    .language_version:
      - 2
      - 0
    .max_flat_workgroup_size: 256
    .name:           _ZL32rocblas_syrkx_herkx_small_kernelIi19rocblas_complex_numIdELi16ELb1ELb1ELc84ELc76EKS1_S1_EviT_T0_PT6_S3_lS6_S3_lS4_PT7_S3_li
    .private_segment_fixed_size: 0
    .sgpr_count:     24
    .sgpr_spill_count: 0
    .symbol:         _ZL32rocblas_syrkx_herkx_small_kernelIi19rocblas_complex_numIdELi16ELb1ELb1ELc84ELc76EKS1_S1_EviT_T0_PT6_S3_lS6_S3_lS4_PT7_S3_li.kd
    .uniform_work_group_size: 1
    .uses_dynamic_stack: false
    .vgpr_count:     50
    .vgpr_spill_count: 0
    .wavefront_size: 32
    .workgroup_processor_mode: 1
  - .args:
      - .offset:         0
        .size:           4
        .value_kind:     by_value
      - .offset:         4
        .size:           4
        .value_kind:     by_value
      - .offset:         8
        .size:           16
        .value_kind:     by_value
      - .address_space:  global
        .offset:         24
        .size:           8
        .value_kind:     global_buffer
      - .offset:         32
        .size:           4
        .value_kind:     by_value
      - .offset:         40
        .size:           8
        .value_kind:     by_value
      - .address_space:  global
        .offset:         48
        .size:           8
        .value_kind:     global_buffer
      - .offset:         56
        .size:           4
        .value_kind:     by_value
      - .offset:         64
        .size:           8
        .value_kind:     by_value
      - .offset:         72
        .size:           16
        .value_kind:     by_value
      - .address_space:  global
        .offset:         88
        .size:           8
        .value_kind:     global_buffer
      - .offset:         96
        .size:           4
        .value_kind:     by_value
      - .offset:         104
        .size:           8
        .value_kind:     by_value
      - .offset:         112
        .size:           4
        .value_kind:     by_value
    .group_segment_fixed_size: 8192
    .kernarg_segment_align: 8
    .kernarg_segment_size: 116
    .language:       OpenCL C
    .language_version:
      - 2
      - 0
    .max_flat_workgroup_size: 256
    .name:           _ZL32rocblas_syrkx_herkx_small_kernelIi19rocblas_complex_numIdELi16ELb1ELb1ELc67ELc76EKS1_S1_EviT_T0_PT6_S3_lS6_S3_lS4_PT7_S3_li
    .private_segment_fixed_size: 0
    .sgpr_count:     24
    .sgpr_spill_count: 0
    .symbol:         _ZL32rocblas_syrkx_herkx_small_kernelIi19rocblas_complex_numIdELi16ELb1ELb1ELc67ELc76EKS1_S1_EviT_T0_PT6_S3_lS6_S3_lS4_PT7_S3_li.kd
    .uniform_work_group_size: 1
    .uses_dynamic_stack: false
    .vgpr_count:     51
    .vgpr_spill_count: 0
    .wavefront_size: 32
    .workgroup_processor_mode: 1
  - .args:
      - .offset:         0
        .size:           4
        .value_kind:     by_value
      - .offset:         4
        .size:           4
        .value_kind:     by_value
      - .offset:         8
        .size:           16
        .value_kind:     by_value
      - .address_space:  global
        .offset:         24
        .size:           8
        .value_kind:     global_buffer
      - .offset:         32
        .size:           4
        .value_kind:     by_value
      - .offset:         40
        .size:           8
        .value_kind:     by_value
      - .address_space:  global
        .offset:         48
        .size:           8
        .value_kind:     global_buffer
      - .offset:         56
        .size:           4
        .value_kind:     by_value
      - .offset:         64
        .size:           8
        .value_kind:     by_value
      - .offset:         72
        .size:           16
        .value_kind:     by_value
      - .address_space:  global
        .offset:         88
        .size:           8
        .value_kind:     global_buffer
      - .offset:         96
        .size:           4
        .value_kind:     by_value
      - .offset:         104
        .size:           8
        .value_kind:     by_value
      - .offset:         112
        .size:           4
        .value_kind:     by_value
    .group_segment_fixed_size: 8192
    .kernarg_segment_align: 8
    .kernarg_segment_size: 116
    .language:       OpenCL C
    .language_version:
      - 2
      - 0
    .max_flat_workgroup_size: 256
    .name:           _ZL32rocblas_syrkx_herkx_small_kernelIi19rocblas_complex_numIdELi16ELb1ELb1ELc78ELc76EKS1_S1_EviT_T0_PT6_S3_lS6_S3_lS4_PT7_S3_li
    .private_segment_fixed_size: 0
    .sgpr_count:     27
    .sgpr_spill_count: 0
    .symbol:         _ZL32rocblas_syrkx_herkx_small_kernelIi19rocblas_complex_numIdELi16ELb1ELb1ELc78ELc76EKS1_S1_EviT_T0_PT6_S3_lS6_S3_lS4_PT7_S3_li.kd
    .uniform_work_group_size: 1
    .uses_dynamic_stack: false
    .vgpr_count:     50
    .vgpr_spill_count: 0
    .wavefront_size: 32
    .workgroup_processor_mode: 1
  - .args:
      - .offset:         0
        .size:           4
        .value_kind:     by_value
      - .offset:         4
        .size:           4
        .value_kind:     by_value
      - .offset:         8
        .size:           16
        .value_kind:     by_value
      - .address_space:  global
        .offset:         24
        .size:           8
        .value_kind:     global_buffer
      - .offset:         32
        .size:           4
        .value_kind:     by_value
      - .offset:         40
        .size:           8
        .value_kind:     by_value
      - .address_space:  global
        .offset:         48
        .size:           8
        .value_kind:     global_buffer
      - .offset:         56
        .size:           4
        .value_kind:     by_value
      - .offset:         64
        .size:           8
        .value_kind:     by_value
      - .offset:         72
        .size:           16
        .value_kind:     by_value
      - .address_space:  global
        .offset:         88
        .size:           8
        .value_kind:     global_buffer
      - .offset:         96
        .size:           4
        .value_kind:     by_value
      - .offset:         104
        .size:           8
        .value_kind:     by_value
      - .offset:         112
        .size:           4
        .value_kind:     by_value
    .group_segment_fixed_size: 8192
    .kernarg_segment_align: 8
    .kernarg_segment_size: 116
    .language:       OpenCL C
    .language_version:
      - 2
      - 0
    .max_flat_workgroup_size: 256
    .name:           _ZL32rocblas_syrkx_herkx_small_kernelIi19rocblas_complex_numIdELi16ELb1ELb1ELc84ELc85EKS1_S1_EviT_T0_PT6_S3_lS6_S3_lS4_PT7_S3_li
    .private_segment_fixed_size: 0
    .sgpr_count:     24
    .sgpr_spill_count: 0
    .symbol:         _ZL32rocblas_syrkx_herkx_small_kernelIi19rocblas_complex_numIdELi16ELb1ELb1ELc84ELc85EKS1_S1_EviT_T0_PT6_S3_lS6_S3_lS4_PT7_S3_li.kd
    .uniform_work_group_size: 1
    .uses_dynamic_stack: false
    .vgpr_count:     50
    .vgpr_spill_count: 0
    .wavefront_size: 32
    .workgroup_processor_mode: 1
  - .args:
      - .offset:         0
        .size:           4
        .value_kind:     by_value
      - .offset:         4
        .size:           4
        .value_kind:     by_value
      - .offset:         8
        .size:           16
        .value_kind:     by_value
      - .address_space:  global
        .offset:         24
        .size:           8
        .value_kind:     global_buffer
      - .offset:         32
        .size:           4
        .value_kind:     by_value
      - .offset:         40
        .size:           8
        .value_kind:     by_value
      - .address_space:  global
        .offset:         48
        .size:           8
        .value_kind:     global_buffer
      - .offset:         56
        .size:           4
        .value_kind:     by_value
      - .offset:         64
        .size:           8
        .value_kind:     by_value
      - .offset:         72
        .size:           16
        .value_kind:     by_value
      - .address_space:  global
        .offset:         88
        .size:           8
        .value_kind:     global_buffer
      - .offset:         96
        .size:           4
        .value_kind:     by_value
      - .offset:         104
        .size:           8
        .value_kind:     by_value
      - .offset:         112
        .size:           4
        .value_kind:     by_value
    .group_segment_fixed_size: 8192
    .kernarg_segment_align: 8
    .kernarg_segment_size: 116
    .language:       OpenCL C
    .language_version:
      - 2
      - 0
    .max_flat_workgroup_size: 256
    .name:           _ZL32rocblas_syrkx_herkx_small_kernelIi19rocblas_complex_numIdELi16ELb1ELb1ELc67ELc85EKS1_S1_EviT_T0_PT6_S3_lS6_S3_lS4_PT7_S3_li
    .private_segment_fixed_size: 0
    .sgpr_count:     24
    .sgpr_spill_count: 0
    .symbol:         _ZL32rocblas_syrkx_herkx_small_kernelIi19rocblas_complex_numIdELi16ELb1ELb1ELc67ELc85EKS1_S1_EviT_T0_PT6_S3_lS6_S3_lS4_PT7_S3_li.kd
    .uniform_work_group_size: 1
    .uses_dynamic_stack: false
    .vgpr_count:     51
    .vgpr_spill_count: 0
    .wavefront_size: 32
    .workgroup_processor_mode: 1
  - .args:
      - .offset:         0
        .size:           4
        .value_kind:     by_value
      - .offset:         4
        .size:           4
        .value_kind:     by_value
      - .offset:         8
        .size:           16
        .value_kind:     by_value
      - .address_space:  global
        .offset:         24
        .size:           8
        .value_kind:     global_buffer
      - .offset:         32
        .size:           4
        .value_kind:     by_value
      - .offset:         40
        .size:           8
        .value_kind:     by_value
      - .address_space:  global
        .offset:         48
        .size:           8
        .value_kind:     global_buffer
      - .offset:         56
        .size:           4
        .value_kind:     by_value
      - .offset:         64
        .size:           8
        .value_kind:     by_value
      - .offset:         72
        .size:           16
        .value_kind:     by_value
      - .address_space:  global
        .offset:         88
        .size:           8
        .value_kind:     global_buffer
      - .offset:         96
        .size:           4
        .value_kind:     by_value
      - .offset:         104
        .size:           8
        .value_kind:     by_value
      - .offset:         112
        .size:           4
        .value_kind:     by_value
    .group_segment_fixed_size: 8192
    .kernarg_segment_align: 8
    .kernarg_segment_size: 116
    .language:       OpenCL C
    .language_version:
      - 2
      - 0
    .max_flat_workgroup_size: 256
    .name:           _ZL32rocblas_syrkx_herkx_small_kernelIi19rocblas_complex_numIdELi16ELb1ELb1ELc78ELc85EKS1_S1_EviT_T0_PT6_S3_lS6_S3_lS4_PT7_S3_li
    .private_segment_fixed_size: 0
    .sgpr_count:     27
    .sgpr_spill_count: 0
    .symbol:         _ZL32rocblas_syrkx_herkx_small_kernelIi19rocblas_complex_numIdELi16ELb1ELb1ELc78ELc85EKS1_S1_EviT_T0_PT6_S3_lS6_S3_lS4_PT7_S3_li.kd
    .uniform_work_group_size: 1
    .uses_dynamic_stack: false
    .vgpr_count:     50
    .vgpr_spill_count: 0
    .wavefront_size: 32
    .workgroup_processor_mode: 1
  - .args:
      - .offset:         0
        .size:           4
        .value_kind:     by_value
      - .offset:         4
        .size:           4
        .value_kind:     by_value
      - .offset:         8
        .size:           16
        .value_kind:     by_value
      - .address_space:  global
        .offset:         24
        .size:           8
        .value_kind:     global_buffer
      - .offset:         32
        .size:           4
        .value_kind:     by_value
      - .offset:         40
        .size:           8
        .value_kind:     by_value
      - .address_space:  global
        .offset:         48
        .size:           8
        .value_kind:     global_buffer
      - .offset:         56
        .size:           4
        .value_kind:     by_value
      - .offset:         64
        .size:           8
        .value_kind:     by_value
      - .offset:         72
        .size:           16
        .value_kind:     by_value
      - .address_space:  global
        .offset:         88
        .size:           8
        .value_kind:     global_buffer
      - .offset:         96
        .size:           4
        .value_kind:     by_value
      - .offset:         104
        .size:           8
        .value_kind:     by_value
      - .offset:         112
        .size:           4
        .value_kind:     by_value
    .group_segment_fixed_size: 8192
    .kernarg_segment_align: 8
    .kernarg_segment_size: 116
    .language:       OpenCL C
    .language_version:
      - 2
      - 0
    .max_flat_workgroup_size: 256
    .name:           _ZL32rocblas_syrkx_herkx_small_kernelIi19rocblas_complex_numIdELi16ELb0ELb1ELc84ELc76EKS1_S1_EviT_T0_PT6_S3_lS6_S3_lS4_PT7_S3_li
    .private_segment_fixed_size: 0
    .sgpr_count:     30
    .sgpr_spill_count: 0
    .symbol:         _ZL32rocblas_syrkx_herkx_small_kernelIi19rocblas_complex_numIdELi16ELb0ELb1ELc84ELc76EKS1_S1_EviT_T0_PT6_S3_lS6_S3_lS4_PT7_S3_li.kd
    .uniform_work_group_size: 1
    .uses_dynamic_stack: false
    .vgpr_count:     50
    .vgpr_spill_count: 0
    .wavefront_size: 32
    .workgroup_processor_mode: 1
  - .args:
      - .offset:         0
        .size:           4
        .value_kind:     by_value
      - .offset:         4
        .size:           4
        .value_kind:     by_value
      - .offset:         8
        .size:           16
        .value_kind:     by_value
      - .address_space:  global
        .offset:         24
        .size:           8
        .value_kind:     global_buffer
      - .offset:         32
        .size:           4
        .value_kind:     by_value
      - .offset:         40
        .size:           8
        .value_kind:     by_value
      - .address_space:  global
        .offset:         48
        .size:           8
        .value_kind:     global_buffer
      - .offset:         56
        .size:           4
        .value_kind:     by_value
      - .offset:         64
        .size:           8
        .value_kind:     by_value
      - .offset:         72
        .size:           16
        .value_kind:     by_value
      - .address_space:  global
        .offset:         88
        .size:           8
        .value_kind:     global_buffer
      - .offset:         96
        .size:           4
        .value_kind:     by_value
      - .offset:         104
        .size:           8
        .value_kind:     by_value
      - .offset:         112
        .size:           4
        .value_kind:     by_value
    .group_segment_fixed_size: 8192
    .kernarg_segment_align: 8
    .kernarg_segment_size: 116
    .language:       OpenCL C
    .language_version:
      - 2
      - 0
    .max_flat_workgroup_size: 256
    .name:           _ZL32rocblas_syrkx_herkx_small_kernelIi19rocblas_complex_numIdELi16ELb0ELb1ELc67ELc76EKS1_S1_EviT_T0_PT6_S3_lS6_S3_lS4_PT7_S3_li
    .private_segment_fixed_size: 0
    .sgpr_count:     30
    .sgpr_spill_count: 0
    .symbol:         _ZL32rocblas_syrkx_herkx_small_kernelIi19rocblas_complex_numIdELi16ELb0ELb1ELc67ELc76EKS1_S1_EviT_T0_PT6_S3_lS6_S3_lS4_PT7_S3_li.kd
    .uniform_work_group_size: 1
    .uses_dynamic_stack: false
    .vgpr_count:     51
    .vgpr_spill_count: 0
    .wavefront_size: 32
    .workgroup_processor_mode: 1
  - .args:
      - .offset:         0
        .size:           4
        .value_kind:     by_value
      - .offset:         4
        .size:           4
        .value_kind:     by_value
      - .offset:         8
        .size:           16
        .value_kind:     by_value
      - .address_space:  global
        .offset:         24
        .size:           8
        .value_kind:     global_buffer
      - .offset:         32
        .size:           4
        .value_kind:     by_value
      - .offset:         40
        .size:           8
        .value_kind:     by_value
      - .address_space:  global
        .offset:         48
        .size:           8
        .value_kind:     global_buffer
      - .offset:         56
        .size:           4
        .value_kind:     by_value
      - .offset:         64
        .size:           8
        .value_kind:     by_value
      - .offset:         72
        .size:           16
        .value_kind:     by_value
      - .address_space:  global
        .offset:         88
        .size:           8
        .value_kind:     global_buffer
      - .offset:         96
        .size:           4
        .value_kind:     by_value
      - .offset:         104
        .size:           8
        .value_kind:     by_value
      - .offset:         112
        .size:           4
        .value_kind:     by_value
    .group_segment_fixed_size: 8192
    .kernarg_segment_align: 8
    .kernarg_segment_size: 116
    .language:       OpenCL C
    .language_version:
      - 2
      - 0
    .max_flat_workgroup_size: 256
    .name:           _ZL32rocblas_syrkx_herkx_small_kernelIi19rocblas_complex_numIdELi16ELb0ELb1ELc78ELc76EKS1_S1_EviT_T0_PT6_S3_lS6_S3_lS4_PT7_S3_li
    .private_segment_fixed_size: 0
    .sgpr_count:     32
    .sgpr_spill_count: 0
    .symbol:         _ZL32rocblas_syrkx_herkx_small_kernelIi19rocblas_complex_numIdELi16ELb0ELb1ELc78ELc76EKS1_S1_EviT_T0_PT6_S3_lS6_S3_lS4_PT7_S3_li.kd
    .uniform_work_group_size: 1
    .uses_dynamic_stack: false
    .vgpr_count:     50
    .vgpr_spill_count: 0
    .wavefront_size: 32
    .workgroup_processor_mode: 1
  - .args:
      - .offset:         0
        .size:           4
        .value_kind:     by_value
      - .offset:         4
        .size:           4
        .value_kind:     by_value
      - .offset:         8
        .size:           16
        .value_kind:     by_value
      - .address_space:  global
        .offset:         24
        .size:           8
        .value_kind:     global_buffer
      - .offset:         32
        .size:           4
        .value_kind:     by_value
      - .offset:         40
        .size:           8
        .value_kind:     by_value
      - .address_space:  global
        .offset:         48
        .size:           8
        .value_kind:     global_buffer
      - .offset:         56
        .size:           4
        .value_kind:     by_value
      - .offset:         64
        .size:           8
        .value_kind:     by_value
      - .offset:         72
        .size:           16
        .value_kind:     by_value
      - .address_space:  global
        .offset:         88
        .size:           8
        .value_kind:     global_buffer
      - .offset:         96
        .size:           4
        .value_kind:     by_value
      - .offset:         104
        .size:           8
        .value_kind:     by_value
      - .offset:         112
        .size:           4
        .value_kind:     by_value
    .group_segment_fixed_size: 8192
    .kernarg_segment_align: 8
    .kernarg_segment_size: 116
    .language:       OpenCL C
    .language_version:
      - 2
      - 0
    .max_flat_workgroup_size: 256
    .name:           _ZL32rocblas_syrkx_herkx_small_kernelIi19rocblas_complex_numIdELi16ELb0ELb1ELc84ELc85EKS1_S1_EviT_T0_PT6_S3_lS6_S3_lS4_PT7_S3_li
    .private_segment_fixed_size: 0
    .sgpr_count:     30
    .sgpr_spill_count: 0
    .symbol:         _ZL32rocblas_syrkx_herkx_small_kernelIi19rocblas_complex_numIdELi16ELb0ELb1ELc84ELc85EKS1_S1_EviT_T0_PT6_S3_lS6_S3_lS4_PT7_S3_li.kd
    .uniform_work_group_size: 1
    .uses_dynamic_stack: false
    .vgpr_count:     50
    .vgpr_spill_count: 0
    .wavefront_size: 32
    .workgroup_processor_mode: 1
  - .args:
      - .offset:         0
        .size:           4
        .value_kind:     by_value
      - .offset:         4
        .size:           4
        .value_kind:     by_value
      - .offset:         8
        .size:           16
        .value_kind:     by_value
      - .address_space:  global
        .offset:         24
        .size:           8
        .value_kind:     global_buffer
      - .offset:         32
        .size:           4
        .value_kind:     by_value
      - .offset:         40
        .size:           8
        .value_kind:     by_value
      - .address_space:  global
        .offset:         48
        .size:           8
        .value_kind:     global_buffer
      - .offset:         56
        .size:           4
        .value_kind:     by_value
      - .offset:         64
        .size:           8
        .value_kind:     by_value
      - .offset:         72
        .size:           16
        .value_kind:     by_value
      - .address_space:  global
        .offset:         88
        .size:           8
        .value_kind:     global_buffer
      - .offset:         96
        .size:           4
        .value_kind:     by_value
      - .offset:         104
        .size:           8
        .value_kind:     by_value
      - .offset:         112
        .size:           4
        .value_kind:     by_value
    .group_segment_fixed_size: 8192
    .kernarg_segment_align: 8
    .kernarg_segment_size: 116
    .language:       OpenCL C
    .language_version:
      - 2
      - 0
    .max_flat_workgroup_size: 256
    .name:           _ZL32rocblas_syrkx_herkx_small_kernelIi19rocblas_complex_numIdELi16ELb0ELb1ELc67ELc85EKS1_S1_EviT_T0_PT6_S3_lS6_S3_lS4_PT7_S3_li
    .private_segment_fixed_size: 0
    .sgpr_count:     30
    .sgpr_spill_count: 0
    .symbol:         _ZL32rocblas_syrkx_herkx_small_kernelIi19rocblas_complex_numIdELi16ELb0ELb1ELc67ELc85EKS1_S1_EviT_T0_PT6_S3_lS6_S3_lS4_PT7_S3_li.kd
    .uniform_work_group_size: 1
    .uses_dynamic_stack: false
    .vgpr_count:     51
    .vgpr_spill_count: 0
    .wavefront_size: 32
    .workgroup_processor_mode: 1
  - .args:
      - .offset:         0
        .size:           4
        .value_kind:     by_value
      - .offset:         4
        .size:           4
        .value_kind:     by_value
      - .offset:         8
        .size:           16
        .value_kind:     by_value
      - .address_space:  global
        .offset:         24
        .size:           8
        .value_kind:     global_buffer
      - .offset:         32
        .size:           4
        .value_kind:     by_value
      - .offset:         40
        .size:           8
        .value_kind:     by_value
      - .address_space:  global
        .offset:         48
        .size:           8
        .value_kind:     global_buffer
      - .offset:         56
        .size:           4
        .value_kind:     by_value
      - .offset:         64
        .size:           8
        .value_kind:     by_value
      - .offset:         72
        .size:           16
        .value_kind:     by_value
      - .address_space:  global
        .offset:         88
        .size:           8
        .value_kind:     global_buffer
      - .offset:         96
        .size:           4
        .value_kind:     by_value
      - .offset:         104
        .size:           8
        .value_kind:     by_value
      - .offset:         112
        .size:           4
        .value_kind:     by_value
    .group_segment_fixed_size: 8192
    .kernarg_segment_align: 8
    .kernarg_segment_size: 116
    .language:       OpenCL C
    .language_version:
      - 2
      - 0
    .max_flat_workgroup_size: 256
    .name:           _ZL32rocblas_syrkx_herkx_small_kernelIi19rocblas_complex_numIdELi16ELb0ELb1ELc78ELc85EKS1_S1_EviT_T0_PT6_S3_lS6_S3_lS4_PT7_S3_li
    .private_segment_fixed_size: 0
    .sgpr_count:     32
    .sgpr_spill_count: 0
    .symbol:         _ZL32rocblas_syrkx_herkx_small_kernelIi19rocblas_complex_numIdELi16ELb0ELb1ELc78ELc85EKS1_S1_EviT_T0_PT6_S3_lS6_S3_lS4_PT7_S3_li.kd
    .uniform_work_group_size: 1
    .uses_dynamic_stack: false
    .vgpr_count:     50
    .vgpr_spill_count: 0
    .wavefront_size: 32
    .workgroup_processor_mode: 1
  - .args:
      - .offset:         0
        .size:           4
        .value_kind:     by_value
      - .offset:         4
        .size:           4
        .value_kind:     by_value
      - .offset:         8
        .size:           16
        .value_kind:     by_value
      - .address_space:  global
        .offset:         24
        .size:           8
        .value_kind:     global_buffer
      - .offset:         32
        .size:           4
        .value_kind:     by_value
      - .offset:         40
        .size:           8
        .value_kind:     by_value
      - .address_space:  global
        .offset:         48
        .size:           8
        .value_kind:     global_buffer
      - .offset:         56
        .size:           4
        .value_kind:     by_value
      - .offset:         64
        .size:           8
        .value_kind:     by_value
      - .offset:         72
        .size:           16
        .value_kind:     by_value
      - .address_space:  global
        .offset:         88
        .size:           8
        .value_kind:     global_buffer
      - .offset:         96
        .size:           4
        .value_kind:     by_value
      - .offset:         104
        .size:           8
        .value_kind:     by_value
      - .offset:         112
        .size:           4
        .value_kind:     by_value
    .group_segment_fixed_size: 8192
    .kernarg_segment_align: 8
    .kernarg_segment_size: 116
    .language:       OpenCL C
    .language_version:
      - 2
      - 0
    .max_flat_workgroup_size: 256
    .name:           _ZL34rocblas_syrkx_herkx_general_kernelIi19rocblas_complex_numIdELi16ELi32ELi8ELb1ELb1ELc84ELc76EKS1_S1_EviT_T0_PT8_S3_lS6_S3_lS4_PT9_S3_li
    .private_segment_fixed_size: 0
    .sgpr_count:     25
    .sgpr_spill_count: 0
    .symbol:         _ZL34rocblas_syrkx_herkx_general_kernelIi19rocblas_complex_numIdELi16ELi32ELi8ELb1ELb1ELc84ELc76EKS1_S1_EviT_T0_PT8_S3_lS6_S3_lS4_PT9_S3_li.kd
    .uniform_work_group_size: 1
    .uses_dynamic_stack: false
    .vgpr_count:     56
    .vgpr_spill_count: 0
    .wavefront_size: 32
    .workgroup_processor_mode: 1
  - .args:
      - .offset:         0
        .size:           4
        .value_kind:     by_value
      - .offset:         4
        .size:           4
        .value_kind:     by_value
      - .offset:         8
        .size:           16
        .value_kind:     by_value
      - .address_space:  global
        .offset:         24
        .size:           8
        .value_kind:     global_buffer
      - .offset:         32
        .size:           4
        .value_kind:     by_value
      - .offset:         40
        .size:           8
        .value_kind:     by_value
      - .address_space:  global
        .offset:         48
        .size:           8
        .value_kind:     global_buffer
      - .offset:         56
        .size:           4
        .value_kind:     by_value
      - .offset:         64
        .size:           8
        .value_kind:     by_value
      - .offset:         72
        .size:           16
        .value_kind:     by_value
      - .address_space:  global
        .offset:         88
        .size:           8
        .value_kind:     global_buffer
      - .offset:         96
        .size:           4
        .value_kind:     by_value
      - .offset:         104
        .size:           8
        .value_kind:     by_value
      - .offset:         112
        .size:           4
        .value_kind:     by_value
    .group_segment_fixed_size: 8192
    .kernarg_segment_align: 8
    .kernarg_segment_size: 116
    .language:       OpenCL C
    .language_version:
      - 2
      - 0
    .max_flat_workgroup_size: 256
    .name:           _ZL34rocblas_syrkx_herkx_general_kernelIi19rocblas_complex_numIdELi16ELi32ELi8ELb1ELb1ELc67ELc76EKS1_S1_EviT_T0_PT8_S3_lS6_S3_lS4_PT9_S3_li
    .private_segment_fixed_size: 0
    .sgpr_count:     25
    .sgpr_spill_count: 0
    .symbol:         _ZL34rocblas_syrkx_herkx_general_kernelIi19rocblas_complex_numIdELi16ELi32ELi8ELb1ELb1ELc67ELc76EKS1_S1_EviT_T0_PT8_S3_lS6_S3_lS4_PT9_S3_li.kd
    .uniform_work_group_size: 1
    .uses_dynamic_stack: false
    .vgpr_count:     121
    .vgpr_spill_count: 0
    .wavefront_size: 32
    .workgroup_processor_mode: 1
  - .args:
      - .offset:         0
        .size:           4
        .value_kind:     by_value
      - .offset:         4
        .size:           4
        .value_kind:     by_value
      - .offset:         8
        .size:           16
        .value_kind:     by_value
      - .address_space:  global
        .offset:         24
        .size:           8
        .value_kind:     global_buffer
      - .offset:         32
        .size:           4
        .value_kind:     by_value
      - .offset:         40
        .size:           8
        .value_kind:     by_value
      - .address_space:  global
        .offset:         48
        .size:           8
        .value_kind:     global_buffer
      - .offset:         56
        .size:           4
        .value_kind:     by_value
      - .offset:         64
        .size:           8
        .value_kind:     by_value
      - .offset:         72
        .size:           16
        .value_kind:     by_value
      - .address_space:  global
        .offset:         88
        .size:           8
        .value_kind:     global_buffer
      - .offset:         96
        .size:           4
        .value_kind:     by_value
      - .offset:         104
        .size:           8
        .value_kind:     by_value
      - .offset:         112
        .size:           4
        .value_kind:     by_value
    .group_segment_fixed_size: 8192
    .kernarg_segment_align: 8
    .kernarg_segment_size: 116
    .language:       OpenCL C
    .language_version:
      - 2
      - 0
    .max_flat_workgroup_size: 256
    .name:           _ZL34rocblas_syrkx_herkx_general_kernelIi19rocblas_complex_numIdELi16ELi32ELi8ELb1ELb1ELc78ELc76EKS1_S1_EviT_T0_PT8_S3_lS6_S3_lS4_PT9_S3_li
    .private_segment_fixed_size: 0
    .sgpr_count:     28
    .sgpr_spill_count: 0
    .symbol:         _ZL34rocblas_syrkx_herkx_general_kernelIi19rocblas_complex_numIdELi16ELi32ELi8ELb1ELb1ELc78ELc76EKS1_S1_EviT_T0_PT8_S3_lS6_S3_lS4_PT9_S3_li.kd
    .uniform_work_group_size: 1
    .uses_dynamic_stack: false
    .vgpr_count:     119
    .vgpr_spill_count: 0
    .wavefront_size: 32
    .workgroup_processor_mode: 1
  - .args:
      - .offset:         0
        .size:           4
        .value_kind:     by_value
      - .offset:         4
        .size:           4
        .value_kind:     by_value
      - .offset:         8
        .size:           16
        .value_kind:     by_value
      - .address_space:  global
        .offset:         24
        .size:           8
        .value_kind:     global_buffer
      - .offset:         32
        .size:           4
        .value_kind:     by_value
      - .offset:         40
        .size:           8
        .value_kind:     by_value
      - .address_space:  global
        .offset:         48
        .size:           8
        .value_kind:     global_buffer
      - .offset:         56
        .size:           4
        .value_kind:     by_value
      - .offset:         64
        .size:           8
        .value_kind:     by_value
      - .offset:         72
        .size:           16
        .value_kind:     by_value
      - .address_space:  global
        .offset:         88
        .size:           8
        .value_kind:     global_buffer
      - .offset:         96
        .size:           4
        .value_kind:     by_value
      - .offset:         104
        .size:           8
        .value_kind:     by_value
      - .offset:         112
        .size:           4
        .value_kind:     by_value
    .group_segment_fixed_size: 8192
    .kernarg_segment_align: 8
    .kernarg_segment_size: 116
    .language:       OpenCL C
    .language_version:
      - 2
      - 0
    .max_flat_workgroup_size: 256
    .name:           _ZL34rocblas_syrkx_herkx_general_kernelIi19rocblas_complex_numIdELi16ELi32ELi8ELb1ELb1ELc84ELc85EKS1_S1_EviT_T0_PT8_S3_lS6_S3_lS4_PT9_S3_li
    .private_segment_fixed_size: 0
    .sgpr_count:     25
    .sgpr_spill_count: 0
    .symbol:         _ZL34rocblas_syrkx_herkx_general_kernelIi19rocblas_complex_numIdELi16ELi32ELi8ELb1ELb1ELc84ELc85EKS1_S1_EviT_T0_PT8_S3_lS6_S3_lS4_PT9_S3_li.kd
    .uniform_work_group_size: 1
    .uses_dynamic_stack: false
    .vgpr_count:     56
    .vgpr_spill_count: 0
    .wavefront_size: 32
    .workgroup_processor_mode: 1
  - .args:
      - .offset:         0
        .size:           4
        .value_kind:     by_value
      - .offset:         4
        .size:           4
        .value_kind:     by_value
      - .offset:         8
        .size:           16
        .value_kind:     by_value
      - .address_space:  global
        .offset:         24
        .size:           8
        .value_kind:     global_buffer
      - .offset:         32
        .size:           4
        .value_kind:     by_value
      - .offset:         40
        .size:           8
        .value_kind:     by_value
      - .address_space:  global
        .offset:         48
        .size:           8
        .value_kind:     global_buffer
      - .offset:         56
        .size:           4
        .value_kind:     by_value
      - .offset:         64
        .size:           8
        .value_kind:     by_value
      - .offset:         72
        .size:           16
        .value_kind:     by_value
      - .address_space:  global
        .offset:         88
        .size:           8
        .value_kind:     global_buffer
      - .offset:         96
        .size:           4
        .value_kind:     by_value
      - .offset:         104
        .size:           8
        .value_kind:     by_value
      - .offset:         112
        .size:           4
        .value_kind:     by_value
    .group_segment_fixed_size: 8192
    .kernarg_segment_align: 8
    .kernarg_segment_size: 116
    .language:       OpenCL C
    .language_version:
      - 2
      - 0
    .max_flat_workgroup_size: 256
    .name:           _ZL34rocblas_syrkx_herkx_general_kernelIi19rocblas_complex_numIdELi16ELi32ELi8ELb1ELb1ELc67ELc85EKS1_S1_EviT_T0_PT8_S3_lS6_S3_lS4_PT9_S3_li
    .private_segment_fixed_size: 0
    .sgpr_count:     25
    .sgpr_spill_count: 0
    .symbol:         _ZL34rocblas_syrkx_herkx_general_kernelIi19rocblas_complex_numIdELi16ELi32ELi8ELb1ELb1ELc67ELc85EKS1_S1_EviT_T0_PT8_S3_lS6_S3_lS4_PT9_S3_li.kd
    .uniform_work_group_size: 1
    .uses_dynamic_stack: false
    .vgpr_count:     121
    .vgpr_spill_count: 0
    .wavefront_size: 32
    .workgroup_processor_mode: 1
  - .args:
      - .offset:         0
        .size:           4
        .value_kind:     by_value
      - .offset:         4
        .size:           4
        .value_kind:     by_value
      - .offset:         8
        .size:           16
        .value_kind:     by_value
      - .address_space:  global
        .offset:         24
        .size:           8
        .value_kind:     global_buffer
      - .offset:         32
        .size:           4
        .value_kind:     by_value
      - .offset:         40
        .size:           8
        .value_kind:     by_value
      - .address_space:  global
        .offset:         48
        .size:           8
        .value_kind:     global_buffer
      - .offset:         56
        .size:           4
        .value_kind:     by_value
      - .offset:         64
        .size:           8
        .value_kind:     by_value
      - .offset:         72
        .size:           16
        .value_kind:     by_value
      - .address_space:  global
        .offset:         88
        .size:           8
        .value_kind:     global_buffer
      - .offset:         96
        .size:           4
        .value_kind:     by_value
      - .offset:         104
        .size:           8
        .value_kind:     by_value
      - .offset:         112
        .size:           4
        .value_kind:     by_value
    .group_segment_fixed_size: 8192
    .kernarg_segment_align: 8
    .kernarg_segment_size: 116
    .language:       OpenCL C
    .language_version:
      - 2
      - 0
    .max_flat_workgroup_size: 256
    .name:           _ZL34rocblas_syrkx_herkx_general_kernelIi19rocblas_complex_numIdELi16ELi32ELi8ELb1ELb1ELc78ELc85EKS1_S1_EviT_T0_PT8_S3_lS6_S3_lS4_PT9_S3_li
    .private_segment_fixed_size: 0
    .sgpr_count:     28
    .sgpr_spill_count: 0
    .symbol:         _ZL34rocblas_syrkx_herkx_general_kernelIi19rocblas_complex_numIdELi16ELi32ELi8ELb1ELb1ELc78ELc85EKS1_S1_EviT_T0_PT8_S3_lS6_S3_lS4_PT9_S3_li.kd
    .uniform_work_group_size: 1
    .uses_dynamic_stack: false
    .vgpr_count:     119
    .vgpr_spill_count: 0
    .wavefront_size: 32
    .workgroup_processor_mode: 1
  - .args:
      - .offset:         0
        .size:           4
        .value_kind:     by_value
      - .offset:         4
        .size:           4
        .value_kind:     by_value
      - .offset:         8
        .size:           16
        .value_kind:     by_value
      - .address_space:  global
        .offset:         24
        .size:           8
        .value_kind:     global_buffer
      - .offset:         32
        .size:           4
        .value_kind:     by_value
      - .offset:         40
        .size:           8
        .value_kind:     by_value
      - .address_space:  global
        .offset:         48
        .size:           8
        .value_kind:     global_buffer
      - .offset:         56
        .size:           4
        .value_kind:     by_value
      - .offset:         64
        .size:           8
        .value_kind:     by_value
      - .offset:         72
        .size:           16
        .value_kind:     by_value
      - .address_space:  global
        .offset:         88
        .size:           8
        .value_kind:     global_buffer
      - .offset:         96
        .size:           4
        .value_kind:     by_value
      - .offset:         104
        .size:           8
        .value_kind:     by_value
      - .offset:         112
        .size:           4
        .value_kind:     by_value
    .group_segment_fixed_size: 8192
    .kernarg_segment_align: 8
    .kernarg_segment_size: 116
    .language:       OpenCL C
    .language_version:
      - 2
      - 0
    .max_flat_workgroup_size: 256
    .name:           _ZL34rocblas_syrkx_herkx_general_kernelIi19rocblas_complex_numIdELi16ELi32ELi8ELb0ELb1ELc84ELc76EKS1_S1_EviT_T0_PT8_S3_lS6_S3_lS4_PT9_S3_li
    .private_segment_fixed_size: 0
    .sgpr_count:     31
    .sgpr_spill_count: 0
    .symbol:         _ZL34rocblas_syrkx_herkx_general_kernelIi19rocblas_complex_numIdELi16ELi32ELi8ELb0ELb1ELc84ELc76EKS1_S1_EviT_T0_PT8_S3_lS6_S3_lS4_PT9_S3_li.kd
    .uniform_work_group_size: 1
    .uses_dynamic_stack: false
    .vgpr_count:     56
    .vgpr_spill_count: 0
    .wavefront_size: 32
    .workgroup_processor_mode: 1
  - .args:
      - .offset:         0
        .size:           4
        .value_kind:     by_value
      - .offset:         4
        .size:           4
        .value_kind:     by_value
      - .offset:         8
        .size:           16
        .value_kind:     by_value
      - .address_space:  global
        .offset:         24
        .size:           8
        .value_kind:     global_buffer
      - .offset:         32
        .size:           4
        .value_kind:     by_value
      - .offset:         40
        .size:           8
        .value_kind:     by_value
      - .address_space:  global
        .offset:         48
        .size:           8
        .value_kind:     global_buffer
      - .offset:         56
        .size:           4
        .value_kind:     by_value
      - .offset:         64
        .size:           8
        .value_kind:     by_value
      - .offset:         72
        .size:           16
        .value_kind:     by_value
      - .address_space:  global
        .offset:         88
        .size:           8
        .value_kind:     global_buffer
      - .offset:         96
        .size:           4
        .value_kind:     by_value
      - .offset:         104
        .size:           8
        .value_kind:     by_value
      - .offset:         112
        .size:           4
        .value_kind:     by_value
    .group_segment_fixed_size: 8192
    .kernarg_segment_align: 8
    .kernarg_segment_size: 116
    .language:       OpenCL C
    .language_version:
      - 2
      - 0
    .max_flat_workgroup_size: 256
    .name:           _ZL34rocblas_syrkx_herkx_general_kernelIi19rocblas_complex_numIdELi16ELi32ELi8ELb0ELb1ELc67ELc76EKS1_S1_EviT_T0_PT8_S3_lS6_S3_lS4_PT9_S3_li
    .private_segment_fixed_size: 0
    .sgpr_count:     31
    .sgpr_spill_count: 0
    .symbol:         _ZL34rocblas_syrkx_herkx_general_kernelIi19rocblas_complex_numIdELi16ELi32ELi8ELb0ELb1ELc67ELc76EKS1_S1_EviT_T0_PT8_S3_lS6_S3_lS4_PT9_S3_li.kd
    .uniform_work_group_size: 1
    .uses_dynamic_stack: false
    .vgpr_count:     121
    .vgpr_spill_count: 0
    .wavefront_size: 32
    .workgroup_processor_mode: 1
  - .args:
      - .offset:         0
        .size:           4
        .value_kind:     by_value
      - .offset:         4
        .size:           4
        .value_kind:     by_value
      - .offset:         8
        .size:           16
        .value_kind:     by_value
      - .address_space:  global
        .offset:         24
        .size:           8
        .value_kind:     global_buffer
      - .offset:         32
        .size:           4
        .value_kind:     by_value
      - .offset:         40
        .size:           8
        .value_kind:     by_value
      - .address_space:  global
        .offset:         48
        .size:           8
        .value_kind:     global_buffer
      - .offset:         56
        .size:           4
        .value_kind:     by_value
      - .offset:         64
        .size:           8
        .value_kind:     by_value
      - .offset:         72
        .size:           16
        .value_kind:     by_value
      - .address_space:  global
        .offset:         88
        .size:           8
        .value_kind:     global_buffer
      - .offset:         96
        .size:           4
        .value_kind:     by_value
      - .offset:         104
        .size:           8
        .value_kind:     by_value
      - .offset:         112
        .size:           4
        .value_kind:     by_value
    .group_segment_fixed_size: 8192
    .kernarg_segment_align: 8
    .kernarg_segment_size: 116
    .language:       OpenCL C
    .language_version:
      - 2
      - 0
    .max_flat_workgroup_size: 256
    .name:           _ZL34rocblas_syrkx_herkx_general_kernelIi19rocblas_complex_numIdELi16ELi32ELi8ELb0ELb1ELc78ELc76EKS1_S1_EviT_T0_PT8_S3_lS6_S3_lS4_PT9_S3_li
    .private_segment_fixed_size: 0
    .sgpr_count:     34
    .sgpr_spill_count: 0
    .symbol:         _ZL34rocblas_syrkx_herkx_general_kernelIi19rocblas_complex_numIdELi16ELi32ELi8ELb0ELb1ELc78ELc76EKS1_S1_EviT_T0_PT8_S3_lS6_S3_lS4_PT9_S3_li.kd
    .uniform_work_group_size: 1
    .uses_dynamic_stack: false
    .vgpr_count:     119
    .vgpr_spill_count: 0
    .wavefront_size: 32
    .workgroup_processor_mode: 1
  - .args:
      - .offset:         0
        .size:           4
        .value_kind:     by_value
      - .offset:         4
        .size:           4
        .value_kind:     by_value
      - .offset:         8
        .size:           16
        .value_kind:     by_value
      - .address_space:  global
        .offset:         24
        .size:           8
        .value_kind:     global_buffer
      - .offset:         32
        .size:           4
        .value_kind:     by_value
      - .offset:         40
        .size:           8
        .value_kind:     by_value
      - .address_space:  global
        .offset:         48
        .size:           8
        .value_kind:     global_buffer
      - .offset:         56
        .size:           4
        .value_kind:     by_value
      - .offset:         64
        .size:           8
        .value_kind:     by_value
      - .offset:         72
        .size:           16
        .value_kind:     by_value
      - .address_space:  global
        .offset:         88
        .size:           8
        .value_kind:     global_buffer
      - .offset:         96
        .size:           4
        .value_kind:     by_value
      - .offset:         104
        .size:           8
        .value_kind:     by_value
      - .offset:         112
        .size:           4
        .value_kind:     by_value
    .group_segment_fixed_size: 8192
    .kernarg_segment_align: 8
    .kernarg_segment_size: 116
    .language:       OpenCL C
    .language_version:
      - 2
      - 0
    .max_flat_workgroup_size: 256
    .name:           _ZL34rocblas_syrkx_herkx_general_kernelIi19rocblas_complex_numIdELi16ELi32ELi8ELb0ELb1ELc84ELc85EKS1_S1_EviT_T0_PT8_S3_lS6_S3_lS4_PT9_S3_li
    .private_segment_fixed_size: 0
    .sgpr_count:     31
    .sgpr_spill_count: 0
    .symbol:         _ZL34rocblas_syrkx_herkx_general_kernelIi19rocblas_complex_numIdELi16ELi32ELi8ELb0ELb1ELc84ELc85EKS1_S1_EviT_T0_PT8_S3_lS6_S3_lS4_PT9_S3_li.kd
    .uniform_work_group_size: 1
    .uses_dynamic_stack: false
    .vgpr_count:     56
    .vgpr_spill_count: 0
    .wavefront_size: 32
    .workgroup_processor_mode: 1
  - .args:
      - .offset:         0
        .size:           4
        .value_kind:     by_value
      - .offset:         4
        .size:           4
        .value_kind:     by_value
      - .offset:         8
        .size:           16
        .value_kind:     by_value
      - .address_space:  global
        .offset:         24
        .size:           8
        .value_kind:     global_buffer
      - .offset:         32
        .size:           4
        .value_kind:     by_value
      - .offset:         40
        .size:           8
        .value_kind:     by_value
      - .address_space:  global
        .offset:         48
        .size:           8
        .value_kind:     global_buffer
      - .offset:         56
        .size:           4
        .value_kind:     by_value
      - .offset:         64
        .size:           8
        .value_kind:     by_value
      - .offset:         72
        .size:           16
        .value_kind:     by_value
      - .address_space:  global
        .offset:         88
        .size:           8
        .value_kind:     global_buffer
      - .offset:         96
        .size:           4
        .value_kind:     by_value
      - .offset:         104
        .size:           8
        .value_kind:     by_value
      - .offset:         112
        .size:           4
        .value_kind:     by_value
    .group_segment_fixed_size: 8192
    .kernarg_segment_align: 8
    .kernarg_segment_size: 116
    .language:       OpenCL C
    .language_version:
      - 2
      - 0
    .max_flat_workgroup_size: 256
    .name:           _ZL34rocblas_syrkx_herkx_general_kernelIi19rocblas_complex_numIdELi16ELi32ELi8ELb0ELb1ELc67ELc85EKS1_S1_EviT_T0_PT8_S3_lS6_S3_lS4_PT9_S3_li
    .private_segment_fixed_size: 0
    .sgpr_count:     31
    .sgpr_spill_count: 0
    .symbol:         _ZL34rocblas_syrkx_herkx_general_kernelIi19rocblas_complex_numIdELi16ELi32ELi8ELb0ELb1ELc67ELc85EKS1_S1_EviT_T0_PT8_S3_lS6_S3_lS4_PT9_S3_li.kd
    .uniform_work_group_size: 1
    .uses_dynamic_stack: false
    .vgpr_count:     121
    .vgpr_spill_count: 0
    .wavefront_size: 32
    .workgroup_processor_mode: 1
  - .args:
      - .offset:         0
        .size:           4
        .value_kind:     by_value
      - .offset:         4
        .size:           4
        .value_kind:     by_value
      - .offset:         8
        .size:           16
        .value_kind:     by_value
      - .address_space:  global
        .offset:         24
        .size:           8
        .value_kind:     global_buffer
      - .offset:         32
        .size:           4
        .value_kind:     by_value
      - .offset:         40
        .size:           8
        .value_kind:     by_value
      - .address_space:  global
        .offset:         48
        .size:           8
        .value_kind:     global_buffer
      - .offset:         56
        .size:           4
        .value_kind:     by_value
      - .offset:         64
        .size:           8
        .value_kind:     by_value
      - .offset:         72
        .size:           16
        .value_kind:     by_value
      - .address_space:  global
        .offset:         88
        .size:           8
        .value_kind:     global_buffer
      - .offset:         96
        .size:           4
        .value_kind:     by_value
      - .offset:         104
        .size:           8
        .value_kind:     by_value
      - .offset:         112
        .size:           4
        .value_kind:     by_value
    .group_segment_fixed_size: 8192
    .kernarg_segment_align: 8
    .kernarg_segment_size: 116
    .language:       OpenCL C
    .language_version:
      - 2
      - 0
    .max_flat_workgroup_size: 256
    .name:           _ZL34rocblas_syrkx_herkx_general_kernelIi19rocblas_complex_numIdELi16ELi32ELi8ELb0ELb1ELc78ELc85EKS1_S1_EviT_T0_PT8_S3_lS6_S3_lS4_PT9_S3_li
    .private_segment_fixed_size: 0
    .sgpr_count:     34
    .sgpr_spill_count: 0
    .symbol:         _ZL34rocblas_syrkx_herkx_general_kernelIi19rocblas_complex_numIdELi16ELi32ELi8ELb0ELb1ELc78ELc85EKS1_S1_EviT_T0_PT8_S3_lS6_S3_lS4_PT9_S3_li.kd
    .uniform_work_group_size: 1
    .uses_dynamic_stack: false
    .vgpr_count:     119
    .vgpr_spill_count: 0
    .wavefront_size: 32
    .workgroup_processor_mode: 1
  - .args:
      - .offset:         0
        .size:           1
        .value_kind:     by_value
      - .offset:         4
        .size:           4
        .value_kind:     by_value
      - .offset:         8
        .size:           4
        .value_kind:     by_value
      - .offset:         16
        .size:           16
        .value_kind:     by_value
      - .offset:         32
        .size:           16
        .value_kind:     by_value
      - .address_space:  global
        .offset:         48
        .size:           8
        .value_kind:     global_buffer
      - .offset:         56
        .size:           4
        .value_kind:     by_value
      - .offset:         64
        .size:           8
        .value_kind:     by_value
      - .offset:         72
        .size:           4
        .value_kind:     by_value
      - .offset:         80
        .size:           4
        .value_kind:     hidden_block_count_x
      - .offset:         84
        .size:           4
        .value_kind:     hidden_block_count_y
      - .offset:         88
        .size:           4
        .value_kind:     hidden_block_count_z
      - .offset:         92
        .size:           2
        .value_kind:     hidden_group_size_x
      - .offset:         94
        .size:           2
        .value_kind:     hidden_group_size_y
      - .offset:         96
        .size:           2
        .value_kind:     hidden_group_size_z
      - .offset:         98
        .size:           2
        .value_kind:     hidden_remainder_x
      - .offset:         100
        .size:           2
        .value_kind:     hidden_remainder_y
      - .offset:         102
        .size:           2
        .value_kind:     hidden_remainder_z
      - .offset:         120
        .size:           8
        .value_kind:     hidden_global_offset_x
      - .offset:         128
        .size:           8
        .value_kind:     hidden_global_offset_y
      - .offset:         136
        .size:           8
        .value_kind:     hidden_global_offset_z
      - .offset:         144
        .size:           2
        .value_kind:     hidden_grid_dims
    .group_segment_fixed_size: 0
    .kernarg_segment_align: 8
    .kernarg_segment_size: 336
    .language:       OpenCL C
    .language_version:
      - 2
      - 0
    .max_flat_workgroup_size: 1024
    .name:           _ZL26rocblas_syr2k_scale_kernelIiLi128ELi8ELb1E19rocblas_complex_numIdES1_PS1_EvbiT_T3_T4_T5_S3_li
    .private_segment_fixed_size: 0
    .sgpr_count:     24
    .sgpr_spill_count: 0
    .symbol:         _ZL26rocblas_syr2k_scale_kernelIiLi128ELi8ELb1E19rocblas_complex_numIdES1_PS1_EvbiT_T3_T4_T5_S3_li.kd
    .uniform_work_group_size: 1
    .uses_dynamic_stack: false
    .vgpr_count:     11
    .vgpr_spill_count: 0
    .wavefront_size: 32
    .workgroup_processor_mode: 1
  - .args:
      - .offset:         0
        .size:           1
        .value_kind:     by_value
      - .offset:         4
        .size:           4
        .value_kind:     by_value
      - .offset:         8
        .size:           4
        .value_kind:     by_value
      - .address_space:  global
        .offset:         16
        .size:           8
        .value_kind:     global_buffer
      - .address_space:  global
        .offset:         24
        .size:           8
        .value_kind:     global_buffer
      - .offset:         32
        .size:           4
        .value_kind:     by_value
      - .offset:         40
        .size:           8
        .value_kind:     by_value
      - .address_space:  global
        .offset:         48
        .size:           8
        .value_kind:     global_buffer
      - .offset:         56
        .size:           4
        .value_kind:     by_value
      - .offset:         64
        .size:           8
        .value_kind:     by_value
      - .address_space:  global
        .offset:         72
        .size:           8
        .value_kind:     global_buffer
      - .offset:         80
        .size:           4
        .value_kind:     by_value
      - .offset:         88
        .size:           8
        .value_kind:     by_value
      - .offset:         96
        .size:           4
        .value_kind:     by_value
    .group_segment_fixed_size: 32768
    .kernarg_segment_align: 8
    .kernarg_segment_size: 100
    .language:       OpenCL C
    .language_version:
      - 2
      - 0
    .max_flat_workgroup_size: 1024
    .name:           _ZL26rocblas_syr2k_her2k_kernelIiLb0ELb1ELb0ELi32EPK19rocblas_complex_numIdES3_PS1_EvbiT_T4_T5_S5_lS7_S5_lT6_S5_li
    .private_segment_fixed_size: 0
    .sgpr_count:     30
    .sgpr_spill_count: 0
    .symbol:         _ZL26rocblas_syr2k_her2k_kernelIiLb0ELb1ELb0ELi32EPK19rocblas_complex_numIdES3_PS1_EvbiT_T4_T5_S5_lS7_S5_lT6_S5_li.kd
    .uniform_work_group_size: 1
    .uses_dynamic_stack: false
    .vgpr_count:     61
    .vgpr_spill_count: 0
    .wavefront_size: 32
    .workgroup_processor_mode: 1
  - .args:
      - .offset:         0
        .size:           1
        .value_kind:     by_value
      - .offset:         4
        .size:           4
        .value_kind:     by_value
      - .offset:         8
        .size:           4
        .value_kind:     by_value
      - .address_space:  global
        .offset:         16
        .size:           8
        .value_kind:     global_buffer
      - .address_space:  global
        .offset:         24
        .size:           8
        .value_kind:     global_buffer
      - .offset:         32
        .size:           4
        .value_kind:     by_value
      - .offset:         40
        .size:           8
        .value_kind:     by_value
      - .address_space:  global
        .offset:         48
        .size:           8
        .value_kind:     global_buffer
      - .offset:         56
        .size:           4
        .value_kind:     by_value
      - .offset:         64
        .size:           8
        .value_kind:     by_value
      - .address_space:  global
        .offset:         72
        .size:           8
        .value_kind:     global_buffer
      - .offset:         80
        .size:           4
        .value_kind:     by_value
      - .offset:         88
        .size:           8
        .value_kind:     by_value
      - .offset:         96
        .size:           4
        .value_kind:     by_value
    .group_segment_fixed_size: 32768
    .kernarg_segment_align: 8
    .kernarg_segment_size: 100
    .language:       OpenCL C
    .language_version:
      - 2
      - 0
    .max_flat_workgroup_size: 1024
    .name:           _ZL26rocblas_syr2k_her2k_kernelIiLb0ELb1ELb1ELi32EPK19rocblas_complex_numIdES3_PS1_EvbiT_T4_T5_S5_lS7_S5_lT6_S5_li
    .private_segment_fixed_size: 0
    .sgpr_count:     30
    .sgpr_spill_count: 0
    .symbol:         _ZL26rocblas_syr2k_her2k_kernelIiLb0ELb1ELb1ELi32EPK19rocblas_complex_numIdES3_PS1_EvbiT_T4_T5_S5_lS7_S5_lT6_S5_li.kd
    .uniform_work_group_size: 1
    .uses_dynamic_stack: false
    .vgpr_count:     61
    .vgpr_spill_count: 0
    .wavefront_size: 32
    .workgroup_processor_mode: 1
  - .args:
      - .offset:         0
        .size:           1
        .value_kind:     by_value
      - .offset:         4
        .size:           4
        .value_kind:     by_value
      - .offset:         8
        .size:           4
        .value_kind:     by_value
      - .offset:         12
        .size:           4
        .value_kind:     by_value
      - .address_space:  global
        .offset:         16
        .size:           8
        .value_kind:     global_buffer
      - .offset:         24
        .size:           4
        .value_kind:     by_value
      - .offset:         32
        .size:           8
        .value_kind:     by_value
      - .address_space:  global
        .offset:         40
        .size:           8
        .value_kind:     global_buffer
      - .offset:         48
        .size:           4
        .value_kind:     by_value
      - .offset:         56
        .size:           8
        .value_kind:     by_value
      - .address_space:  global
        .offset:         64
        .size:           8
        .value_kind:     global_buffer
      - .offset:         72
        .size:           4
        .value_kind:     by_value
      - .offset:         80
        .size:           8
        .value_kind:     by_value
      - .offset:         88
        .size:           4
        .value_kind:     by_value
    .group_segment_fixed_size: 8192
    .kernarg_segment_align: 8
    .kernarg_segment_size: 92
    .language:       OpenCL C
    .language_version:
      - 2
      - 0
    .max_flat_workgroup_size: 1024
    .name:           _ZL26rocblas_syr2k_her2k_kernelIiLb0ELb0ELb0ELi32EfPKPKfPKPfEvbiT_T4_T5_S7_lS9_S7_lT6_S7_li
    .private_segment_fixed_size: 0
    .sgpr_count:     27
    .sgpr_spill_count: 0
    .symbol:         _ZL26rocblas_syr2k_her2k_kernelIiLb0ELb0ELb0ELi32EfPKPKfPKPfEvbiT_T4_T5_S7_lS9_S7_lT6_S7_li.kd
    .uniform_work_group_size: 1
    .uses_dynamic_stack: false
    .vgpr_count:     31
    .vgpr_spill_count: 0
    .wavefront_size: 32
    .workgroup_processor_mode: 1
  - .args:
      - .offset:         0
        .size:           1
        .value_kind:     by_value
      - .offset:         4
        .size:           4
        .value_kind:     by_value
      - .offset:         8
        .size:           4
        .value_kind:     by_value
      - .offset:         12
        .size:           4
        .value_kind:     by_value
      - .address_space:  global
        .offset:         16
        .size:           8
        .value_kind:     global_buffer
      - .offset:         24
        .size:           4
        .value_kind:     by_value
      - .offset:         32
        .size:           8
        .value_kind:     by_value
      - .address_space:  global
        .offset:         40
        .size:           8
        .value_kind:     global_buffer
      - .offset:         48
        .size:           4
        .value_kind:     by_value
      - .offset:         56
        .size:           8
        .value_kind:     by_value
      - .address_space:  global
        .offset:         64
        .size:           8
        .value_kind:     global_buffer
      - .offset:         72
        .size:           4
        .value_kind:     by_value
      - .offset:         80
        .size:           8
        .value_kind:     by_value
      - .offset:         88
        .size:           4
        .value_kind:     by_value
    .group_segment_fixed_size: 8192
    .kernarg_segment_align: 8
    .kernarg_segment_size: 92
    .language:       OpenCL C
    .language_version:
      - 2
      - 0
    .max_flat_workgroup_size: 1024
    .name:           _ZL26rocblas_syr2k_her2k_kernelIiLb0ELb0ELb1ELi32EfPKPKfPKPfEvbiT_T4_T5_S7_lS9_S7_lT6_S7_li
    .private_segment_fixed_size: 0
    .sgpr_count:     27
    .sgpr_spill_count: 0
    .symbol:         _ZL26rocblas_syr2k_her2k_kernelIiLb0ELb0ELb1ELi32EfPKPKfPKPfEvbiT_T4_T5_S7_lS9_S7_lT6_S7_li.kd
    .uniform_work_group_size: 1
    .uses_dynamic_stack: false
    .vgpr_count:     31
    .vgpr_spill_count: 0
    .wavefront_size: 32
    .workgroup_processor_mode: 1
  - .args:
      - .offset:         0
        .size:           4
        .value_kind:     by_value
      - .offset:         4
        .size:           4
        .value_kind:     by_value
      - .address_space:  global
        .offset:         8
        .size:           8
        .value_kind:     global_buffer
      - .offset:         16
        .size:           4
        .value_kind:     by_value
      - .offset:         24
        .size:           8
        .value_kind:     by_value
      - .address_space:  global
        .offset:         32
        .size:           8
        .value_kind:     global_buffer
      - .offset:         40
        .size:           4
        .value_kind:     by_value
      - .offset:         48
        .size:           8
        .value_kind:     by_value
      - .address_space:  global
        .offset:         56
        .size:           8
        .value_kind:     global_buffer
      - .offset:         64
        .size:           4
        .value_kind:     by_value
      - .offset:         72
        .size:           8
        .value_kind:     by_value
      - .offset:         80
        .size:           4
        .value_kind:     by_value
    .group_segment_fixed_size: 2048
    .kernarg_segment_align: 8
    .kernarg_segment_size: 84
    .language:       OpenCL C
    .language_version:
      - 2
      - 0
    .max_flat_workgroup_size: 256
    .name:           _ZL37rocblas_syrkx_herkx_restricted_kernelIifLi16ELi32ELi8ELi1ELi1ELb0ELc84ELc76EKPKfKPfEviT_PT9_S5_lS7_S5_lPT10_S5_li
    .private_segment_fixed_size: 0
    .sgpr_count:     19
    .sgpr_spill_count: 0
    .symbol:         _ZL37rocblas_syrkx_herkx_restricted_kernelIifLi16ELi32ELi8ELi1ELi1ELb0ELc84ELc76EKPKfKPfEviT_PT9_S5_lS7_S5_lPT10_S5_li.kd
    .uniform_work_group_size: 1
    .uses_dynamic_stack: false
    .vgpr_count:     46
    .vgpr_spill_count: 0
    .wavefront_size: 32
    .workgroup_processor_mode: 1
  - .args:
      - .offset:         0
        .size:           4
        .value_kind:     by_value
      - .offset:         4
        .size:           4
        .value_kind:     by_value
      - .address_space:  global
        .offset:         8
        .size:           8
        .value_kind:     global_buffer
      - .offset:         16
        .size:           4
        .value_kind:     by_value
      - .offset:         24
        .size:           8
        .value_kind:     by_value
      - .address_space:  global
        .offset:         32
        .size:           8
        .value_kind:     global_buffer
      - .offset:         40
        .size:           4
        .value_kind:     by_value
      - .offset:         48
        .size:           8
        .value_kind:     by_value
      - .address_space:  global
        .offset:         56
        .size:           8
        .value_kind:     global_buffer
      - .offset:         64
        .size:           4
        .value_kind:     by_value
      - .offset:         72
        .size:           8
        .value_kind:     by_value
      - .offset:         80
        .size:           4
        .value_kind:     by_value
    .group_segment_fixed_size: 2048
    .kernarg_segment_align: 8
    .kernarg_segment_size: 84
    .language:       OpenCL C
    .language_version:
      - 2
      - 0
    .max_flat_workgroup_size: 256
    .name:           _ZL37rocblas_syrkx_herkx_restricted_kernelIifLi16ELi32ELi8ELi1ELi1ELb0ELc67ELc76EKPKfKPfEviT_PT9_S5_lS7_S5_lPT10_S5_li
    .private_segment_fixed_size: 0
    .sgpr_count:     19
    .sgpr_spill_count: 0
    .symbol:         _ZL37rocblas_syrkx_herkx_restricted_kernelIifLi16ELi32ELi8ELi1ELi1ELb0ELc67ELc76EKPKfKPfEviT_PT9_S5_lS7_S5_lPT10_S5_li.kd
    .uniform_work_group_size: 1
    .uses_dynamic_stack: false
    .vgpr_count:     46
    .vgpr_spill_count: 0
    .wavefront_size: 32
    .workgroup_processor_mode: 1
  - .args:
      - .offset:         0
        .size:           4
        .value_kind:     by_value
      - .offset:         4
        .size:           4
        .value_kind:     by_value
      - .address_space:  global
        .offset:         8
        .size:           8
        .value_kind:     global_buffer
      - .offset:         16
        .size:           4
        .value_kind:     by_value
      - .offset:         24
        .size:           8
        .value_kind:     by_value
      - .address_space:  global
        .offset:         32
        .size:           8
        .value_kind:     global_buffer
      - .offset:         40
        .size:           4
        .value_kind:     by_value
      - .offset:         48
        .size:           8
        .value_kind:     by_value
      - .address_space:  global
        .offset:         56
        .size:           8
        .value_kind:     global_buffer
      - .offset:         64
        .size:           4
        .value_kind:     by_value
      - .offset:         72
        .size:           8
        .value_kind:     by_value
      - .offset:         80
        .size:           4
        .value_kind:     by_value
    .group_segment_fixed_size: 2048
    .kernarg_segment_align: 8
    .kernarg_segment_size: 84
    .language:       OpenCL C
    .language_version:
      - 2
      - 0
    .max_flat_workgroup_size: 256
    .name:           _ZL37rocblas_syrkx_herkx_restricted_kernelIifLi16ELi32ELi8ELi1ELi1ELb0ELc78ELc76EKPKfKPfEviT_PT9_S5_lS7_S5_lPT10_S5_li
    .private_segment_fixed_size: 0
    .sgpr_count:     22
    .sgpr_spill_count: 0
    .symbol:         _ZL37rocblas_syrkx_herkx_restricted_kernelIifLi16ELi32ELi8ELi1ELi1ELb0ELc78ELc76EKPKfKPfEviT_PT9_S5_lS7_S5_lPT10_S5_li.kd
    .uniform_work_group_size: 1
    .uses_dynamic_stack: false
    .vgpr_count:     46
    .vgpr_spill_count: 0
    .wavefront_size: 32
    .workgroup_processor_mode: 1
  - .args:
      - .offset:         0
        .size:           4
        .value_kind:     by_value
      - .offset:         4
        .size:           4
        .value_kind:     by_value
      - .address_space:  global
        .offset:         8
        .size:           8
        .value_kind:     global_buffer
      - .offset:         16
        .size:           4
        .value_kind:     by_value
      - .offset:         24
        .size:           8
        .value_kind:     by_value
      - .address_space:  global
        .offset:         32
        .size:           8
        .value_kind:     global_buffer
      - .offset:         40
        .size:           4
        .value_kind:     by_value
      - .offset:         48
        .size:           8
        .value_kind:     by_value
      - .address_space:  global
        .offset:         56
        .size:           8
        .value_kind:     global_buffer
      - .offset:         64
        .size:           4
        .value_kind:     by_value
      - .offset:         72
        .size:           8
        .value_kind:     by_value
      - .offset:         80
        .size:           4
        .value_kind:     by_value
    .group_segment_fixed_size: 2048
    .kernarg_segment_align: 8
    .kernarg_segment_size: 84
    .language:       OpenCL C
    .language_version:
      - 2
      - 0
    .max_flat_workgroup_size: 256
    .name:           _ZL37rocblas_syrkx_herkx_restricted_kernelIifLi16ELi32ELi8ELi1ELi1ELb0ELc84ELc85EKPKfKPfEviT_PT9_S5_lS7_S5_lPT10_S5_li
    .private_segment_fixed_size: 0
    .sgpr_count:     19
    .sgpr_spill_count: 0
    .symbol:         _ZL37rocblas_syrkx_herkx_restricted_kernelIifLi16ELi32ELi8ELi1ELi1ELb0ELc84ELc85EKPKfKPfEviT_PT9_S5_lS7_S5_lPT10_S5_li.kd
    .uniform_work_group_size: 1
    .uses_dynamic_stack: false
    .vgpr_count:     46
    .vgpr_spill_count: 0
    .wavefront_size: 32
    .workgroup_processor_mode: 1
  - .args:
      - .offset:         0
        .size:           4
        .value_kind:     by_value
      - .offset:         4
        .size:           4
        .value_kind:     by_value
      - .address_space:  global
        .offset:         8
        .size:           8
        .value_kind:     global_buffer
      - .offset:         16
        .size:           4
        .value_kind:     by_value
      - .offset:         24
        .size:           8
        .value_kind:     by_value
      - .address_space:  global
        .offset:         32
        .size:           8
        .value_kind:     global_buffer
      - .offset:         40
        .size:           4
        .value_kind:     by_value
      - .offset:         48
        .size:           8
        .value_kind:     by_value
      - .address_space:  global
        .offset:         56
        .size:           8
        .value_kind:     global_buffer
      - .offset:         64
        .size:           4
        .value_kind:     by_value
      - .offset:         72
        .size:           8
        .value_kind:     by_value
      - .offset:         80
        .size:           4
        .value_kind:     by_value
    .group_segment_fixed_size: 2048
    .kernarg_segment_align: 8
    .kernarg_segment_size: 84
    .language:       OpenCL C
    .language_version:
      - 2
      - 0
    .max_flat_workgroup_size: 256
    .name:           _ZL37rocblas_syrkx_herkx_restricted_kernelIifLi16ELi32ELi8ELi1ELi1ELb0ELc67ELc85EKPKfKPfEviT_PT9_S5_lS7_S5_lPT10_S5_li
    .private_segment_fixed_size: 0
    .sgpr_count:     19
    .sgpr_spill_count: 0
    .symbol:         _ZL37rocblas_syrkx_herkx_restricted_kernelIifLi16ELi32ELi8ELi1ELi1ELb0ELc67ELc85EKPKfKPfEviT_PT9_S5_lS7_S5_lPT10_S5_li.kd
    .uniform_work_group_size: 1
    .uses_dynamic_stack: false
    .vgpr_count:     46
    .vgpr_spill_count: 0
    .wavefront_size: 32
    .workgroup_processor_mode: 1
  - .args:
      - .offset:         0
        .size:           4
        .value_kind:     by_value
      - .offset:         4
        .size:           4
        .value_kind:     by_value
      - .address_space:  global
        .offset:         8
        .size:           8
        .value_kind:     global_buffer
      - .offset:         16
        .size:           4
        .value_kind:     by_value
      - .offset:         24
        .size:           8
        .value_kind:     by_value
      - .address_space:  global
        .offset:         32
        .size:           8
        .value_kind:     global_buffer
      - .offset:         40
        .size:           4
        .value_kind:     by_value
      - .offset:         48
        .size:           8
        .value_kind:     by_value
      - .address_space:  global
        .offset:         56
        .size:           8
        .value_kind:     global_buffer
      - .offset:         64
        .size:           4
        .value_kind:     by_value
      - .offset:         72
        .size:           8
        .value_kind:     by_value
      - .offset:         80
        .size:           4
        .value_kind:     by_value
    .group_segment_fixed_size: 2048
    .kernarg_segment_align: 8
    .kernarg_segment_size: 84
    .language:       OpenCL C
    .language_version:
      - 2
      - 0
    .max_flat_workgroup_size: 256
    .name:           _ZL37rocblas_syrkx_herkx_restricted_kernelIifLi16ELi32ELi8ELi1ELi1ELb0ELc78ELc85EKPKfKPfEviT_PT9_S5_lS7_S5_lPT10_S5_li
    .private_segment_fixed_size: 0
    .sgpr_count:     22
    .sgpr_spill_count: 0
    .symbol:         _ZL37rocblas_syrkx_herkx_restricted_kernelIifLi16ELi32ELi8ELi1ELi1ELb0ELc78ELc85EKPKfKPfEviT_PT9_S5_lS7_S5_lPT10_S5_li.kd
    .uniform_work_group_size: 1
    .uses_dynamic_stack: false
    .vgpr_count:     46
    .vgpr_spill_count: 0
    .wavefront_size: 32
    .workgroup_processor_mode: 1
  - .args:
      - .offset:         0
        .size:           4
        .value_kind:     by_value
      - .offset:         4
        .size:           4
        .value_kind:     by_value
      - .address_space:  global
        .offset:         8
        .size:           8
        .value_kind:     global_buffer
      - .offset:         16
        .size:           4
        .value_kind:     by_value
      - .offset:         24
        .size:           8
        .value_kind:     by_value
      - .address_space:  global
        .offset:         32
        .size:           8
        .value_kind:     global_buffer
      - .offset:         40
        .size:           4
        .value_kind:     by_value
      - .offset:         48
        .size:           8
        .value_kind:     by_value
      - .address_space:  global
        .offset:         56
        .size:           8
        .value_kind:     global_buffer
      - .offset:         64
        .size:           4
        .value_kind:     by_value
      - .offset:         72
        .size:           8
        .value_kind:     by_value
      - .offset:         80
        .size:           4
        .value_kind:     by_value
    .group_segment_fixed_size: 2048
    .kernarg_segment_align: 8
    .kernarg_segment_size: 84
    .language:       OpenCL C
    .language_version:
      - 2
      - 0
    .max_flat_workgroup_size: 256
    .name:           _ZL37rocblas_syrkx_herkx_restricted_kernelIifLi16ELi32ELi8ELi1ELin1ELb0ELc84ELc76EKPKfKPfEviT_PT9_S5_lS7_S5_lPT10_S5_li
    .private_segment_fixed_size: 0
    .sgpr_count:     19
    .sgpr_spill_count: 0
    .symbol:         _ZL37rocblas_syrkx_herkx_restricted_kernelIifLi16ELi32ELi8ELi1ELin1ELb0ELc84ELc76EKPKfKPfEviT_PT9_S5_lS7_S5_lPT10_S5_li.kd
    .uniform_work_group_size: 1
    .uses_dynamic_stack: false
    .vgpr_count:     46
    .vgpr_spill_count: 0
    .wavefront_size: 32
    .workgroup_processor_mode: 1
  - .args:
      - .offset:         0
        .size:           4
        .value_kind:     by_value
      - .offset:         4
        .size:           4
        .value_kind:     by_value
      - .address_space:  global
        .offset:         8
        .size:           8
        .value_kind:     global_buffer
      - .offset:         16
        .size:           4
        .value_kind:     by_value
      - .offset:         24
        .size:           8
        .value_kind:     by_value
      - .address_space:  global
        .offset:         32
        .size:           8
        .value_kind:     global_buffer
      - .offset:         40
        .size:           4
        .value_kind:     by_value
      - .offset:         48
        .size:           8
        .value_kind:     by_value
      - .address_space:  global
        .offset:         56
        .size:           8
        .value_kind:     global_buffer
      - .offset:         64
        .size:           4
        .value_kind:     by_value
      - .offset:         72
        .size:           8
        .value_kind:     by_value
      - .offset:         80
        .size:           4
        .value_kind:     by_value
    .group_segment_fixed_size: 2048
    .kernarg_segment_align: 8
    .kernarg_segment_size: 84
    .language:       OpenCL C
    .language_version:
      - 2
      - 0
    .max_flat_workgroup_size: 256
    .name:           _ZL37rocblas_syrkx_herkx_restricted_kernelIifLi16ELi32ELi8ELi1ELin1ELb0ELc67ELc76EKPKfKPfEviT_PT9_S5_lS7_S5_lPT10_S5_li
    .private_segment_fixed_size: 0
    .sgpr_count:     19
    .sgpr_spill_count: 0
    .symbol:         _ZL37rocblas_syrkx_herkx_restricted_kernelIifLi16ELi32ELi8ELi1ELin1ELb0ELc67ELc76EKPKfKPfEviT_PT9_S5_lS7_S5_lPT10_S5_li.kd
    .uniform_work_group_size: 1
    .uses_dynamic_stack: false
    .vgpr_count:     46
    .vgpr_spill_count: 0
    .wavefront_size: 32
    .workgroup_processor_mode: 1
  - .args:
      - .offset:         0
        .size:           4
        .value_kind:     by_value
      - .offset:         4
        .size:           4
        .value_kind:     by_value
      - .address_space:  global
        .offset:         8
        .size:           8
        .value_kind:     global_buffer
      - .offset:         16
        .size:           4
        .value_kind:     by_value
      - .offset:         24
        .size:           8
        .value_kind:     by_value
      - .address_space:  global
        .offset:         32
        .size:           8
        .value_kind:     global_buffer
      - .offset:         40
        .size:           4
        .value_kind:     by_value
      - .offset:         48
        .size:           8
        .value_kind:     by_value
      - .address_space:  global
        .offset:         56
        .size:           8
        .value_kind:     global_buffer
      - .offset:         64
        .size:           4
        .value_kind:     by_value
      - .offset:         72
        .size:           8
        .value_kind:     by_value
      - .offset:         80
        .size:           4
        .value_kind:     by_value
    .group_segment_fixed_size: 2048
    .kernarg_segment_align: 8
    .kernarg_segment_size: 84
    .language:       OpenCL C
    .language_version:
      - 2
      - 0
    .max_flat_workgroup_size: 256
    .name:           _ZL37rocblas_syrkx_herkx_restricted_kernelIifLi16ELi32ELi8ELi1ELin1ELb0ELc78ELc76EKPKfKPfEviT_PT9_S5_lS7_S5_lPT10_S5_li
    .private_segment_fixed_size: 0
    .sgpr_count:     22
    .sgpr_spill_count: 0
    .symbol:         _ZL37rocblas_syrkx_herkx_restricted_kernelIifLi16ELi32ELi8ELi1ELin1ELb0ELc78ELc76EKPKfKPfEviT_PT9_S5_lS7_S5_lPT10_S5_li.kd
    .uniform_work_group_size: 1
    .uses_dynamic_stack: false
    .vgpr_count:     46
    .vgpr_spill_count: 0
    .wavefront_size: 32
    .workgroup_processor_mode: 1
  - .args:
      - .offset:         0
        .size:           4
        .value_kind:     by_value
      - .offset:         4
        .size:           4
        .value_kind:     by_value
      - .address_space:  global
        .offset:         8
        .size:           8
        .value_kind:     global_buffer
      - .offset:         16
        .size:           4
        .value_kind:     by_value
      - .offset:         24
        .size:           8
        .value_kind:     by_value
      - .address_space:  global
        .offset:         32
        .size:           8
        .value_kind:     global_buffer
      - .offset:         40
        .size:           4
        .value_kind:     by_value
      - .offset:         48
        .size:           8
        .value_kind:     by_value
      - .address_space:  global
        .offset:         56
        .size:           8
        .value_kind:     global_buffer
      - .offset:         64
        .size:           4
        .value_kind:     by_value
      - .offset:         72
        .size:           8
        .value_kind:     by_value
      - .offset:         80
        .size:           4
        .value_kind:     by_value
    .group_segment_fixed_size: 2048
    .kernarg_segment_align: 8
    .kernarg_segment_size: 84
    .language:       OpenCL C
    .language_version:
      - 2
      - 0
    .max_flat_workgroup_size: 256
    .name:           _ZL37rocblas_syrkx_herkx_restricted_kernelIifLi16ELi32ELi8ELi1ELin1ELb0ELc84ELc85EKPKfKPfEviT_PT9_S5_lS7_S5_lPT10_S5_li
    .private_segment_fixed_size: 0
    .sgpr_count:     19
    .sgpr_spill_count: 0
    .symbol:         _ZL37rocblas_syrkx_herkx_restricted_kernelIifLi16ELi32ELi8ELi1ELin1ELb0ELc84ELc85EKPKfKPfEviT_PT9_S5_lS7_S5_lPT10_S5_li.kd
    .uniform_work_group_size: 1
    .uses_dynamic_stack: false
    .vgpr_count:     46
    .vgpr_spill_count: 0
    .wavefront_size: 32
    .workgroup_processor_mode: 1
  - .args:
      - .offset:         0
        .size:           4
        .value_kind:     by_value
      - .offset:         4
        .size:           4
        .value_kind:     by_value
      - .address_space:  global
        .offset:         8
        .size:           8
        .value_kind:     global_buffer
      - .offset:         16
        .size:           4
        .value_kind:     by_value
      - .offset:         24
        .size:           8
        .value_kind:     by_value
      - .address_space:  global
        .offset:         32
        .size:           8
        .value_kind:     global_buffer
      - .offset:         40
        .size:           4
        .value_kind:     by_value
      - .offset:         48
        .size:           8
        .value_kind:     by_value
      - .address_space:  global
        .offset:         56
        .size:           8
        .value_kind:     global_buffer
      - .offset:         64
        .size:           4
        .value_kind:     by_value
      - .offset:         72
        .size:           8
        .value_kind:     by_value
      - .offset:         80
        .size:           4
        .value_kind:     by_value
    .group_segment_fixed_size: 2048
    .kernarg_segment_align: 8
    .kernarg_segment_size: 84
    .language:       OpenCL C
    .language_version:
      - 2
      - 0
    .max_flat_workgroup_size: 256
    .name:           _ZL37rocblas_syrkx_herkx_restricted_kernelIifLi16ELi32ELi8ELi1ELin1ELb0ELc67ELc85EKPKfKPfEviT_PT9_S5_lS7_S5_lPT10_S5_li
    .private_segment_fixed_size: 0
    .sgpr_count:     19
    .sgpr_spill_count: 0
    .symbol:         _ZL37rocblas_syrkx_herkx_restricted_kernelIifLi16ELi32ELi8ELi1ELin1ELb0ELc67ELc85EKPKfKPfEviT_PT9_S5_lS7_S5_lPT10_S5_li.kd
    .uniform_work_group_size: 1
    .uses_dynamic_stack: false
    .vgpr_count:     46
    .vgpr_spill_count: 0
    .wavefront_size: 32
    .workgroup_processor_mode: 1
  - .args:
      - .offset:         0
        .size:           4
        .value_kind:     by_value
      - .offset:         4
        .size:           4
        .value_kind:     by_value
      - .address_space:  global
        .offset:         8
        .size:           8
        .value_kind:     global_buffer
      - .offset:         16
        .size:           4
        .value_kind:     by_value
      - .offset:         24
        .size:           8
        .value_kind:     by_value
      - .address_space:  global
        .offset:         32
        .size:           8
        .value_kind:     global_buffer
      - .offset:         40
        .size:           4
        .value_kind:     by_value
      - .offset:         48
        .size:           8
        .value_kind:     by_value
      - .address_space:  global
        .offset:         56
        .size:           8
        .value_kind:     global_buffer
      - .offset:         64
        .size:           4
        .value_kind:     by_value
      - .offset:         72
        .size:           8
        .value_kind:     by_value
      - .offset:         80
        .size:           4
        .value_kind:     by_value
    .group_segment_fixed_size: 2048
    .kernarg_segment_align: 8
    .kernarg_segment_size: 84
    .language:       OpenCL C
    .language_version:
      - 2
      - 0
    .max_flat_workgroup_size: 256
    .name:           _ZL37rocblas_syrkx_herkx_restricted_kernelIifLi16ELi32ELi8ELi1ELin1ELb0ELc78ELc85EKPKfKPfEviT_PT9_S5_lS7_S5_lPT10_S5_li
    .private_segment_fixed_size: 0
    .sgpr_count:     22
    .sgpr_spill_count: 0
    .symbol:         _ZL37rocblas_syrkx_herkx_restricted_kernelIifLi16ELi32ELi8ELi1ELin1ELb0ELc78ELc85EKPKfKPfEviT_PT9_S5_lS7_S5_lPT10_S5_li.kd
    .uniform_work_group_size: 1
    .uses_dynamic_stack: false
    .vgpr_count:     46
    .vgpr_spill_count: 0
    .wavefront_size: 32
    .workgroup_processor_mode: 1
  - .args:
      - .offset:         0
        .size:           4
        .value_kind:     by_value
      - .offset:         4
        .size:           4
        .value_kind:     by_value
      - .address_space:  global
        .offset:         8
        .size:           8
        .value_kind:     global_buffer
      - .offset:         16
        .size:           4
        .value_kind:     by_value
      - .offset:         24
        .size:           8
        .value_kind:     by_value
      - .address_space:  global
        .offset:         32
        .size:           8
        .value_kind:     global_buffer
      - .offset:         40
        .size:           4
        .value_kind:     by_value
      - .offset:         48
        .size:           8
        .value_kind:     by_value
      - .address_space:  global
        .offset:         56
        .size:           8
        .value_kind:     global_buffer
      - .offset:         64
        .size:           4
        .value_kind:     by_value
      - .offset:         72
        .size:           8
        .value_kind:     by_value
      - .offset:         80
        .size:           4
        .value_kind:     by_value
    .group_segment_fixed_size: 2048
    .kernarg_segment_align: 8
    .kernarg_segment_size: 84
    .language:       OpenCL C
    .language_version:
      - 2
      - 0
    .max_flat_workgroup_size: 256
    .name:           _ZL37rocblas_syrkx_herkx_restricted_kernelIifLi16ELi32ELi8ELi1ELi0ELb0ELc84ELc76EKPKfKPfEviT_PT9_S5_lS7_S5_lPT10_S5_li
    .private_segment_fixed_size: 0
    .sgpr_count:     19
    .sgpr_spill_count: 0
    .symbol:         _ZL37rocblas_syrkx_herkx_restricted_kernelIifLi16ELi32ELi8ELi1ELi0ELb0ELc84ELc76EKPKfKPfEviT_PT9_S5_lS7_S5_lPT10_S5_li.kd
    .uniform_work_group_size: 1
    .uses_dynamic_stack: false
    .vgpr_count:     46
    .vgpr_spill_count: 0
    .wavefront_size: 32
    .workgroup_processor_mode: 1
  - .args:
      - .offset:         0
        .size:           4
        .value_kind:     by_value
      - .offset:         4
        .size:           4
        .value_kind:     by_value
      - .address_space:  global
        .offset:         8
        .size:           8
        .value_kind:     global_buffer
      - .offset:         16
        .size:           4
        .value_kind:     by_value
      - .offset:         24
        .size:           8
        .value_kind:     by_value
      - .address_space:  global
        .offset:         32
        .size:           8
        .value_kind:     global_buffer
      - .offset:         40
        .size:           4
        .value_kind:     by_value
      - .offset:         48
        .size:           8
        .value_kind:     by_value
      - .address_space:  global
        .offset:         56
        .size:           8
        .value_kind:     global_buffer
      - .offset:         64
        .size:           4
        .value_kind:     by_value
      - .offset:         72
        .size:           8
        .value_kind:     by_value
      - .offset:         80
        .size:           4
        .value_kind:     by_value
    .group_segment_fixed_size: 2048
    .kernarg_segment_align: 8
    .kernarg_segment_size: 84
    .language:       OpenCL C
    .language_version:
      - 2
      - 0
    .max_flat_workgroup_size: 256
    .name:           _ZL37rocblas_syrkx_herkx_restricted_kernelIifLi16ELi32ELi8ELi1ELi0ELb0ELc67ELc76EKPKfKPfEviT_PT9_S5_lS7_S5_lPT10_S5_li
    .private_segment_fixed_size: 0
    .sgpr_count:     19
    .sgpr_spill_count: 0
    .symbol:         _ZL37rocblas_syrkx_herkx_restricted_kernelIifLi16ELi32ELi8ELi1ELi0ELb0ELc67ELc76EKPKfKPfEviT_PT9_S5_lS7_S5_lPT10_S5_li.kd
    .uniform_work_group_size: 1
    .uses_dynamic_stack: false
    .vgpr_count:     46
    .vgpr_spill_count: 0
    .wavefront_size: 32
    .workgroup_processor_mode: 1
  - .args:
      - .offset:         0
        .size:           4
        .value_kind:     by_value
      - .offset:         4
        .size:           4
        .value_kind:     by_value
      - .address_space:  global
        .offset:         8
        .size:           8
        .value_kind:     global_buffer
      - .offset:         16
        .size:           4
        .value_kind:     by_value
      - .offset:         24
        .size:           8
        .value_kind:     by_value
      - .address_space:  global
        .offset:         32
        .size:           8
        .value_kind:     global_buffer
      - .offset:         40
        .size:           4
        .value_kind:     by_value
      - .offset:         48
        .size:           8
        .value_kind:     by_value
      - .address_space:  global
        .offset:         56
        .size:           8
        .value_kind:     global_buffer
      - .offset:         64
        .size:           4
        .value_kind:     by_value
      - .offset:         72
        .size:           8
        .value_kind:     by_value
      - .offset:         80
        .size:           4
        .value_kind:     by_value
    .group_segment_fixed_size: 2048
    .kernarg_segment_align: 8
    .kernarg_segment_size: 84
    .language:       OpenCL C
    .language_version:
      - 2
      - 0
    .max_flat_workgroup_size: 256
    .name:           _ZL37rocblas_syrkx_herkx_restricted_kernelIifLi16ELi32ELi8ELi1ELi0ELb0ELc78ELc76EKPKfKPfEviT_PT9_S5_lS7_S5_lPT10_S5_li
    .private_segment_fixed_size: 0
    .sgpr_count:     22
    .sgpr_spill_count: 0
    .symbol:         _ZL37rocblas_syrkx_herkx_restricted_kernelIifLi16ELi32ELi8ELi1ELi0ELb0ELc78ELc76EKPKfKPfEviT_PT9_S5_lS7_S5_lPT10_S5_li.kd
    .uniform_work_group_size: 1
    .uses_dynamic_stack: false
    .vgpr_count:     46
    .vgpr_spill_count: 0
    .wavefront_size: 32
    .workgroup_processor_mode: 1
  - .args:
      - .offset:         0
        .size:           4
        .value_kind:     by_value
      - .offset:         4
        .size:           4
        .value_kind:     by_value
      - .address_space:  global
        .offset:         8
        .size:           8
        .value_kind:     global_buffer
      - .offset:         16
        .size:           4
        .value_kind:     by_value
      - .offset:         24
        .size:           8
        .value_kind:     by_value
      - .address_space:  global
        .offset:         32
        .size:           8
        .value_kind:     global_buffer
      - .offset:         40
        .size:           4
        .value_kind:     by_value
      - .offset:         48
        .size:           8
        .value_kind:     by_value
      - .address_space:  global
        .offset:         56
        .size:           8
        .value_kind:     global_buffer
      - .offset:         64
        .size:           4
        .value_kind:     by_value
      - .offset:         72
        .size:           8
        .value_kind:     by_value
      - .offset:         80
        .size:           4
        .value_kind:     by_value
    .group_segment_fixed_size: 2048
    .kernarg_segment_align: 8
    .kernarg_segment_size: 84
    .language:       OpenCL C
    .language_version:
      - 2
      - 0
    .max_flat_workgroup_size: 256
    .name:           _ZL37rocblas_syrkx_herkx_restricted_kernelIifLi16ELi32ELi8ELi1ELi0ELb0ELc84ELc85EKPKfKPfEviT_PT9_S5_lS7_S5_lPT10_S5_li
    .private_segment_fixed_size: 0
    .sgpr_count:     19
    .sgpr_spill_count: 0
    .symbol:         _ZL37rocblas_syrkx_herkx_restricted_kernelIifLi16ELi32ELi8ELi1ELi0ELb0ELc84ELc85EKPKfKPfEviT_PT9_S5_lS7_S5_lPT10_S5_li.kd
    .uniform_work_group_size: 1
    .uses_dynamic_stack: false
    .vgpr_count:     46
    .vgpr_spill_count: 0
    .wavefront_size: 32
    .workgroup_processor_mode: 1
  - .args:
      - .offset:         0
        .size:           4
        .value_kind:     by_value
      - .offset:         4
        .size:           4
        .value_kind:     by_value
      - .address_space:  global
        .offset:         8
        .size:           8
        .value_kind:     global_buffer
      - .offset:         16
        .size:           4
        .value_kind:     by_value
      - .offset:         24
        .size:           8
        .value_kind:     by_value
      - .address_space:  global
        .offset:         32
        .size:           8
        .value_kind:     global_buffer
      - .offset:         40
        .size:           4
        .value_kind:     by_value
      - .offset:         48
        .size:           8
        .value_kind:     by_value
      - .address_space:  global
        .offset:         56
        .size:           8
        .value_kind:     global_buffer
      - .offset:         64
        .size:           4
        .value_kind:     by_value
      - .offset:         72
        .size:           8
        .value_kind:     by_value
      - .offset:         80
        .size:           4
        .value_kind:     by_value
    .group_segment_fixed_size: 2048
    .kernarg_segment_align: 8
    .kernarg_segment_size: 84
    .language:       OpenCL C
    .language_version:
      - 2
      - 0
    .max_flat_workgroup_size: 256
    .name:           _ZL37rocblas_syrkx_herkx_restricted_kernelIifLi16ELi32ELi8ELi1ELi0ELb0ELc67ELc85EKPKfKPfEviT_PT9_S5_lS7_S5_lPT10_S5_li
    .private_segment_fixed_size: 0
    .sgpr_count:     19
    .sgpr_spill_count: 0
    .symbol:         _ZL37rocblas_syrkx_herkx_restricted_kernelIifLi16ELi32ELi8ELi1ELi0ELb0ELc67ELc85EKPKfKPfEviT_PT9_S5_lS7_S5_lPT10_S5_li.kd
    .uniform_work_group_size: 1
    .uses_dynamic_stack: false
    .vgpr_count:     46
    .vgpr_spill_count: 0
    .wavefront_size: 32
    .workgroup_processor_mode: 1
  - .args:
      - .offset:         0
        .size:           4
        .value_kind:     by_value
      - .offset:         4
        .size:           4
        .value_kind:     by_value
      - .address_space:  global
        .offset:         8
        .size:           8
        .value_kind:     global_buffer
      - .offset:         16
        .size:           4
        .value_kind:     by_value
      - .offset:         24
        .size:           8
        .value_kind:     by_value
      - .address_space:  global
        .offset:         32
        .size:           8
        .value_kind:     global_buffer
      - .offset:         40
        .size:           4
        .value_kind:     by_value
      - .offset:         48
        .size:           8
        .value_kind:     by_value
      - .address_space:  global
        .offset:         56
        .size:           8
        .value_kind:     global_buffer
      - .offset:         64
        .size:           4
        .value_kind:     by_value
      - .offset:         72
        .size:           8
        .value_kind:     by_value
      - .offset:         80
        .size:           4
        .value_kind:     by_value
    .group_segment_fixed_size: 2048
    .kernarg_segment_align: 8
    .kernarg_segment_size: 84
    .language:       OpenCL C
    .language_version:
      - 2
      - 0
    .max_flat_workgroup_size: 256
    .name:           _ZL37rocblas_syrkx_herkx_restricted_kernelIifLi16ELi32ELi8ELi1ELi0ELb0ELc78ELc85EKPKfKPfEviT_PT9_S5_lS7_S5_lPT10_S5_li
    .private_segment_fixed_size: 0
    .sgpr_count:     22
    .sgpr_spill_count: 0
    .symbol:         _ZL37rocblas_syrkx_herkx_restricted_kernelIifLi16ELi32ELi8ELi1ELi0ELb0ELc78ELc85EKPKfKPfEviT_PT9_S5_lS7_S5_lPT10_S5_li.kd
    .uniform_work_group_size: 1
    .uses_dynamic_stack: false
    .vgpr_count:     46
    .vgpr_spill_count: 0
    .wavefront_size: 32
    .workgroup_processor_mode: 1
  - .args:
      - .offset:         0
        .size:           4
        .value_kind:     by_value
      - .offset:         4
        .size:           4
        .value_kind:     by_value
      - .address_space:  global
        .offset:         8
        .size:           8
        .value_kind:     global_buffer
      - .offset:         16
        .size:           4
        .value_kind:     by_value
      - .offset:         24
        .size:           8
        .value_kind:     by_value
      - .address_space:  global
        .offset:         32
        .size:           8
        .value_kind:     global_buffer
      - .offset:         40
        .size:           4
        .value_kind:     by_value
      - .offset:         48
        .size:           8
        .value_kind:     by_value
      - .address_space:  global
        .offset:         56
        .size:           8
        .value_kind:     global_buffer
      - .offset:         64
        .size:           4
        .value_kind:     by_value
      - .offset:         72
        .size:           8
        .value_kind:     by_value
      - .offset:         80
        .size:           4
        .value_kind:     by_value
    .group_segment_fixed_size: 2048
    .kernarg_segment_align: 8
    .kernarg_segment_size: 84
    .language:       OpenCL C
    .language_version:
      - 2
      - 0
    .max_flat_workgroup_size: 256
    .name:           _ZL37rocblas_syrkx_herkx_restricted_kernelIifLi16ELi32ELi8ELin1ELi0ELb0ELc84ELc76EKPKfKPfEviT_PT9_S5_lS7_S5_lPT10_S5_li
    .private_segment_fixed_size: 0
    .sgpr_count:     19
    .sgpr_spill_count: 0
    .symbol:         _ZL37rocblas_syrkx_herkx_restricted_kernelIifLi16ELi32ELi8ELin1ELi0ELb0ELc84ELc76EKPKfKPfEviT_PT9_S5_lS7_S5_lPT10_S5_li.kd
    .uniform_work_group_size: 1
    .uses_dynamic_stack: false
    .vgpr_count:     46
    .vgpr_spill_count: 0
    .wavefront_size: 32
    .workgroup_processor_mode: 1
  - .args:
      - .offset:         0
        .size:           4
        .value_kind:     by_value
      - .offset:         4
        .size:           4
        .value_kind:     by_value
      - .address_space:  global
        .offset:         8
        .size:           8
        .value_kind:     global_buffer
      - .offset:         16
        .size:           4
        .value_kind:     by_value
      - .offset:         24
        .size:           8
        .value_kind:     by_value
      - .address_space:  global
        .offset:         32
        .size:           8
        .value_kind:     global_buffer
      - .offset:         40
        .size:           4
        .value_kind:     by_value
      - .offset:         48
        .size:           8
        .value_kind:     by_value
      - .address_space:  global
        .offset:         56
        .size:           8
        .value_kind:     global_buffer
      - .offset:         64
        .size:           4
        .value_kind:     by_value
      - .offset:         72
        .size:           8
        .value_kind:     by_value
      - .offset:         80
        .size:           4
        .value_kind:     by_value
    .group_segment_fixed_size: 2048
    .kernarg_segment_align: 8
    .kernarg_segment_size: 84
    .language:       OpenCL C
    .language_version:
      - 2
      - 0
    .max_flat_workgroup_size: 256
    .name:           _ZL37rocblas_syrkx_herkx_restricted_kernelIifLi16ELi32ELi8ELin1ELi0ELb0ELc67ELc76EKPKfKPfEviT_PT9_S5_lS7_S5_lPT10_S5_li
    .private_segment_fixed_size: 0
    .sgpr_count:     19
    .sgpr_spill_count: 0
    .symbol:         _ZL37rocblas_syrkx_herkx_restricted_kernelIifLi16ELi32ELi8ELin1ELi0ELb0ELc67ELc76EKPKfKPfEviT_PT9_S5_lS7_S5_lPT10_S5_li.kd
    .uniform_work_group_size: 1
    .uses_dynamic_stack: false
    .vgpr_count:     46
    .vgpr_spill_count: 0
    .wavefront_size: 32
    .workgroup_processor_mode: 1
  - .args:
      - .offset:         0
        .size:           4
        .value_kind:     by_value
      - .offset:         4
        .size:           4
        .value_kind:     by_value
      - .address_space:  global
        .offset:         8
        .size:           8
        .value_kind:     global_buffer
      - .offset:         16
        .size:           4
        .value_kind:     by_value
      - .offset:         24
        .size:           8
        .value_kind:     by_value
      - .address_space:  global
        .offset:         32
        .size:           8
        .value_kind:     global_buffer
      - .offset:         40
        .size:           4
        .value_kind:     by_value
      - .offset:         48
        .size:           8
        .value_kind:     by_value
      - .address_space:  global
        .offset:         56
        .size:           8
        .value_kind:     global_buffer
      - .offset:         64
        .size:           4
        .value_kind:     by_value
      - .offset:         72
        .size:           8
        .value_kind:     by_value
      - .offset:         80
        .size:           4
        .value_kind:     by_value
    .group_segment_fixed_size: 2048
    .kernarg_segment_align: 8
    .kernarg_segment_size: 84
    .language:       OpenCL C
    .language_version:
      - 2
      - 0
    .max_flat_workgroup_size: 256
    .name:           _ZL37rocblas_syrkx_herkx_restricted_kernelIifLi16ELi32ELi8ELin1ELi0ELb0ELc78ELc76EKPKfKPfEviT_PT9_S5_lS7_S5_lPT10_S5_li
    .private_segment_fixed_size: 0
    .sgpr_count:     22
    .sgpr_spill_count: 0
    .symbol:         _ZL37rocblas_syrkx_herkx_restricted_kernelIifLi16ELi32ELi8ELin1ELi0ELb0ELc78ELc76EKPKfKPfEviT_PT9_S5_lS7_S5_lPT10_S5_li.kd
    .uniform_work_group_size: 1
    .uses_dynamic_stack: false
    .vgpr_count:     46
    .vgpr_spill_count: 0
    .wavefront_size: 32
    .workgroup_processor_mode: 1
  - .args:
      - .offset:         0
        .size:           4
        .value_kind:     by_value
      - .offset:         4
        .size:           4
        .value_kind:     by_value
      - .address_space:  global
        .offset:         8
        .size:           8
        .value_kind:     global_buffer
      - .offset:         16
        .size:           4
        .value_kind:     by_value
      - .offset:         24
        .size:           8
        .value_kind:     by_value
      - .address_space:  global
        .offset:         32
        .size:           8
        .value_kind:     global_buffer
      - .offset:         40
        .size:           4
        .value_kind:     by_value
      - .offset:         48
        .size:           8
        .value_kind:     by_value
      - .address_space:  global
        .offset:         56
        .size:           8
        .value_kind:     global_buffer
      - .offset:         64
        .size:           4
        .value_kind:     by_value
      - .offset:         72
        .size:           8
        .value_kind:     by_value
      - .offset:         80
        .size:           4
        .value_kind:     by_value
    .group_segment_fixed_size: 2048
    .kernarg_segment_align: 8
    .kernarg_segment_size: 84
    .language:       OpenCL C
    .language_version:
      - 2
      - 0
    .max_flat_workgroup_size: 256
    .name:           _ZL37rocblas_syrkx_herkx_restricted_kernelIifLi16ELi32ELi8ELin1ELi0ELb0ELc84ELc85EKPKfKPfEviT_PT9_S5_lS7_S5_lPT10_S5_li
    .private_segment_fixed_size: 0
    .sgpr_count:     19
    .sgpr_spill_count: 0
    .symbol:         _ZL37rocblas_syrkx_herkx_restricted_kernelIifLi16ELi32ELi8ELin1ELi0ELb0ELc84ELc85EKPKfKPfEviT_PT9_S5_lS7_S5_lPT10_S5_li.kd
    .uniform_work_group_size: 1
    .uses_dynamic_stack: false
    .vgpr_count:     46
    .vgpr_spill_count: 0
    .wavefront_size: 32
    .workgroup_processor_mode: 1
  - .args:
      - .offset:         0
        .size:           4
        .value_kind:     by_value
      - .offset:         4
        .size:           4
        .value_kind:     by_value
      - .address_space:  global
        .offset:         8
        .size:           8
        .value_kind:     global_buffer
      - .offset:         16
        .size:           4
        .value_kind:     by_value
      - .offset:         24
        .size:           8
        .value_kind:     by_value
      - .address_space:  global
        .offset:         32
        .size:           8
        .value_kind:     global_buffer
      - .offset:         40
        .size:           4
        .value_kind:     by_value
      - .offset:         48
        .size:           8
        .value_kind:     by_value
      - .address_space:  global
        .offset:         56
        .size:           8
        .value_kind:     global_buffer
      - .offset:         64
        .size:           4
        .value_kind:     by_value
      - .offset:         72
        .size:           8
        .value_kind:     by_value
      - .offset:         80
        .size:           4
        .value_kind:     by_value
    .group_segment_fixed_size: 2048
    .kernarg_segment_align: 8
    .kernarg_segment_size: 84
    .language:       OpenCL C
    .language_version:
      - 2
      - 0
    .max_flat_workgroup_size: 256
    .name:           _ZL37rocblas_syrkx_herkx_restricted_kernelIifLi16ELi32ELi8ELin1ELi0ELb0ELc67ELc85EKPKfKPfEviT_PT9_S5_lS7_S5_lPT10_S5_li
    .private_segment_fixed_size: 0
    .sgpr_count:     19
    .sgpr_spill_count: 0
    .symbol:         _ZL37rocblas_syrkx_herkx_restricted_kernelIifLi16ELi32ELi8ELin1ELi0ELb0ELc67ELc85EKPKfKPfEviT_PT9_S5_lS7_S5_lPT10_S5_li.kd
    .uniform_work_group_size: 1
    .uses_dynamic_stack: false
    .vgpr_count:     46
    .vgpr_spill_count: 0
    .wavefront_size: 32
    .workgroup_processor_mode: 1
  - .args:
      - .offset:         0
        .size:           4
        .value_kind:     by_value
      - .offset:         4
        .size:           4
        .value_kind:     by_value
      - .address_space:  global
        .offset:         8
        .size:           8
        .value_kind:     global_buffer
      - .offset:         16
        .size:           4
        .value_kind:     by_value
      - .offset:         24
        .size:           8
        .value_kind:     by_value
      - .address_space:  global
        .offset:         32
        .size:           8
        .value_kind:     global_buffer
      - .offset:         40
        .size:           4
        .value_kind:     by_value
      - .offset:         48
        .size:           8
        .value_kind:     by_value
      - .address_space:  global
        .offset:         56
        .size:           8
        .value_kind:     global_buffer
      - .offset:         64
        .size:           4
        .value_kind:     by_value
      - .offset:         72
        .size:           8
        .value_kind:     by_value
      - .offset:         80
        .size:           4
        .value_kind:     by_value
    .group_segment_fixed_size: 2048
    .kernarg_segment_align: 8
    .kernarg_segment_size: 84
    .language:       OpenCL C
    .language_version:
      - 2
      - 0
    .max_flat_workgroup_size: 256
    .name:           _ZL37rocblas_syrkx_herkx_restricted_kernelIifLi16ELi32ELi8ELin1ELi0ELb0ELc78ELc85EKPKfKPfEviT_PT9_S5_lS7_S5_lPT10_S5_li
    .private_segment_fixed_size: 0
    .sgpr_count:     22
    .sgpr_spill_count: 0
    .symbol:         _ZL37rocblas_syrkx_herkx_restricted_kernelIifLi16ELi32ELi8ELin1ELi0ELb0ELc78ELc85EKPKfKPfEviT_PT9_S5_lS7_S5_lPT10_S5_li.kd
    .uniform_work_group_size: 1
    .uses_dynamic_stack: false
    .vgpr_count:     46
    .vgpr_spill_count: 0
    .wavefront_size: 32
    .workgroup_processor_mode: 1
  - .args:
      - .offset:         0
        .size:           4
        .value_kind:     by_value
      - .offset:         4
        .size:           4
        .value_kind:     by_value
      - .offset:         8
        .size:           4
        .value_kind:     by_value
      - .address_space:  global
        .offset:         16
        .size:           8
        .value_kind:     global_buffer
      - .offset:         24
        .size:           4
        .value_kind:     by_value
      - .offset:         32
        .size:           8
        .value_kind:     by_value
      - .address_space:  global
        .offset:         40
        .size:           8
        .value_kind:     global_buffer
      - .offset:         48
        .size:           4
        .value_kind:     by_value
      - .offset:         56
        .size:           8
        .value_kind:     by_value
      - .offset:         64
        .size:           4
        .value_kind:     by_value
      - .address_space:  global
        .offset:         72
        .size:           8
        .value_kind:     global_buffer
      - .offset:         80
        .size:           4
        .value_kind:     by_value
      - .offset:         88
        .size:           8
        .value_kind:     by_value
      - .offset:         96
        .size:           4
        .value_kind:     by_value
    .group_segment_fixed_size: 2048
    .kernarg_segment_align: 8
    .kernarg_segment_size: 100
    .language:       OpenCL C
    .language_version:
      - 2
      - 0
    .max_flat_workgroup_size: 256
    .name:           _ZL37rocblas_syrkx_herkx_restricted_kernelIifLi16ELi32ELi8ELb1ELb0ELc84ELc76EKPKfKPfEviT_T0_PT8_S5_lS8_S5_lS6_PT9_S5_li
    .private_segment_fixed_size: 0
    .sgpr_count:     20
    .sgpr_spill_count: 0
    .symbol:         _ZL37rocblas_syrkx_herkx_restricted_kernelIifLi16ELi32ELi8ELb1ELb0ELc84ELc76EKPKfKPfEviT_T0_PT8_S5_lS8_S5_lS6_PT9_S5_li.kd
    .uniform_work_group_size: 1
    .uses_dynamic_stack: false
    .vgpr_count:     46
    .vgpr_spill_count: 0
    .wavefront_size: 32
    .workgroup_processor_mode: 1
  - .args:
      - .offset:         0
        .size:           4
        .value_kind:     by_value
      - .offset:         4
        .size:           4
        .value_kind:     by_value
      - .offset:         8
        .size:           4
        .value_kind:     by_value
      - .address_space:  global
        .offset:         16
        .size:           8
        .value_kind:     global_buffer
      - .offset:         24
        .size:           4
        .value_kind:     by_value
      - .offset:         32
        .size:           8
        .value_kind:     by_value
      - .address_space:  global
        .offset:         40
        .size:           8
        .value_kind:     global_buffer
      - .offset:         48
        .size:           4
        .value_kind:     by_value
      - .offset:         56
        .size:           8
        .value_kind:     by_value
      - .offset:         64
        .size:           4
        .value_kind:     by_value
      - .address_space:  global
        .offset:         72
        .size:           8
        .value_kind:     global_buffer
      - .offset:         80
        .size:           4
        .value_kind:     by_value
      - .offset:         88
        .size:           8
        .value_kind:     by_value
      - .offset:         96
        .size:           4
        .value_kind:     by_value
    .group_segment_fixed_size: 2048
    .kernarg_segment_align: 8
    .kernarg_segment_size: 100
    .language:       OpenCL C
    .language_version:
      - 2
      - 0
    .max_flat_workgroup_size: 256
    .name:           _ZL37rocblas_syrkx_herkx_restricted_kernelIifLi16ELi32ELi8ELb1ELb0ELc67ELc76EKPKfKPfEviT_T0_PT8_S5_lS8_S5_lS6_PT9_S5_li
    .private_segment_fixed_size: 0
    .sgpr_count:     20
    .sgpr_spill_count: 0
    .symbol:         _ZL37rocblas_syrkx_herkx_restricted_kernelIifLi16ELi32ELi8ELb1ELb0ELc67ELc76EKPKfKPfEviT_T0_PT8_S5_lS8_S5_lS6_PT9_S5_li.kd
    .uniform_work_group_size: 1
    .uses_dynamic_stack: false
    .vgpr_count:     46
    .vgpr_spill_count: 0
    .wavefront_size: 32
    .workgroup_processor_mode: 1
  - .args:
      - .offset:         0
        .size:           4
        .value_kind:     by_value
      - .offset:         4
        .size:           4
        .value_kind:     by_value
      - .offset:         8
        .size:           4
        .value_kind:     by_value
      - .address_space:  global
        .offset:         16
        .size:           8
        .value_kind:     global_buffer
      - .offset:         24
        .size:           4
        .value_kind:     by_value
      - .offset:         32
        .size:           8
        .value_kind:     by_value
      - .address_space:  global
        .offset:         40
        .size:           8
        .value_kind:     global_buffer
      - .offset:         48
        .size:           4
        .value_kind:     by_value
      - .offset:         56
        .size:           8
        .value_kind:     by_value
      - .offset:         64
        .size:           4
        .value_kind:     by_value
      - .address_space:  global
        .offset:         72
        .size:           8
        .value_kind:     global_buffer
      - .offset:         80
        .size:           4
        .value_kind:     by_value
      - .offset:         88
        .size:           8
        .value_kind:     by_value
      - .offset:         96
        .size:           4
        .value_kind:     by_value
    .group_segment_fixed_size: 2048
    .kernarg_segment_align: 8
    .kernarg_segment_size: 100
    .language:       OpenCL C
    .language_version:
      - 2
      - 0
    .max_flat_workgroup_size: 256
    .name:           _ZL37rocblas_syrkx_herkx_restricted_kernelIifLi16ELi32ELi8ELb1ELb0ELc78ELc76EKPKfKPfEviT_T0_PT8_S5_lS8_S5_lS6_PT9_S5_li
    .private_segment_fixed_size: 0
    .sgpr_count:     22
    .sgpr_spill_count: 0
    .symbol:         _ZL37rocblas_syrkx_herkx_restricted_kernelIifLi16ELi32ELi8ELb1ELb0ELc78ELc76EKPKfKPfEviT_T0_PT8_S5_lS8_S5_lS6_PT9_S5_li.kd
    .uniform_work_group_size: 1
    .uses_dynamic_stack: false
    .vgpr_count:     46
    .vgpr_spill_count: 0
    .wavefront_size: 32
    .workgroup_processor_mode: 1
  - .args:
      - .offset:         0
        .size:           4
        .value_kind:     by_value
      - .offset:         4
        .size:           4
        .value_kind:     by_value
      - .offset:         8
        .size:           4
        .value_kind:     by_value
      - .address_space:  global
        .offset:         16
        .size:           8
        .value_kind:     global_buffer
      - .offset:         24
        .size:           4
        .value_kind:     by_value
      - .offset:         32
        .size:           8
        .value_kind:     by_value
      - .address_space:  global
        .offset:         40
        .size:           8
        .value_kind:     global_buffer
      - .offset:         48
        .size:           4
        .value_kind:     by_value
      - .offset:         56
        .size:           8
        .value_kind:     by_value
      - .offset:         64
        .size:           4
        .value_kind:     by_value
      - .address_space:  global
        .offset:         72
        .size:           8
        .value_kind:     global_buffer
      - .offset:         80
        .size:           4
        .value_kind:     by_value
      - .offset:         88
        .size:           8
        .value_kind:     by_value
      - .offset:         96
        .size:           4
        .value_kind:     by_value
    .group_segment_fixed_size: 2048
    .kernarg_segment_align: 8
    .kernarg_segment_size: 100
    .language:       OpenCL C
    .language_version:
      - 2
      - 0
    .max_flat_workgroup_size: 256
    .name:           _ZL37rocblas_syrkx_herkx_restricted_kernelIifLi16ELi32ELi8ELb1ELb0ELc84ELc85EKPKfKPfEviT_T0_PT8_S5_lS8_S5_lS6_PT9_S5_li
    .private_segment_fixed_size: 0
    .sgpr_count:     20
    .sgpr_spill_count: 0
    .symbol:         _ZL37rocblas_syrkx_herkx_restricted_kernelIifLi16ELi32ELi8ELb1ELb0ELc84ELc85EKPKfKPfEviT_T0_PT8_S5_lS8_S5_lS6_PT9_S5_li.kd
    .uniform_work_group_size: 1
    .uses_dynamic_stack: false
    .vgpr_count:     46
    .vgpr_spill_count: 0
    .wavefront_size: 32
    .workgroup_processor_mode: 1
  - .args:
      - .offset:         0
        .size:           4
        .value_kind:     by_value
      - .offset:         4
        .size:           4
        .value_kind:     by_value
      - .offset:         8
        .size:           4
        .value_kind:     by_value
      - .address_space:  global
        .offset:         16
        .size:           8
        .value_kind:     global_buffer
      - .offset:         24
        .size:           4
        .value_kind:     by_value
      - .offset:         32
        .size:           8
        .value_kind:     by_value
      - .address_space:  global
        .offset:         40
        .size:           8
        .value_kind:     global_buffer
      - .offset:         48
        .size:           4
        .value_kind:     by_value
      - .offset:         56
        .size:           8
        .value_kind:     by_value
      - .offset:         64
        .size:           4
        .value_kind:     by_value
      - .address_space:  global
        .offset:         72
        .size:           8
        .value_kind:     global_buffer
      - .offset:         80
        .size:           4
        .value_kind:     by_value
      - .offset:         88
        .size:           8
        .value_kind:     by_value
      - .offset:         96
        .size:           4
        .value_kind:     by_value
    .group_segment_fixed_size: 2048
    .kernarg_segment_align: 8
    .kernarg_segment_size: 100
    .language:       OpenCL C
    .language_version:
      - 2
      - 0
    .max_flat_workgroup_size: 256
    .name:           _ZL37rocblas_syrkx_herkx_restricted_kernelIifLi16ELi32ELi8ELb1ELb0ELc67ELc85EKPKfKPfEviT_T0_PT8_S5_lS8_S5_lS6_PT9_S5_li
    .private_segment_fixed_size: 0
    .sgpr_count:     20
    .sgpr_spill_count: 0
    .symbol:         _ZL37rocblas_syrkx_herkx_restricted_kernelIifLi16ELi32ELi8ELb1ELb0ELc67ELc85EKPKfKPfEviT_T0_PT8_S5_lS8_S5_lS6_PT9_S5_li.kd
    .uniform_work_group_size: 1
    .uses_dynamic_stack: false
    .vgpr_count:     46
    .vgpr_spill_count: 0
    .wavefront_size: 32
    .workgroup_processor_mode: 1
  - .args:
      - .offset:         0
        .size:           4
        .value_kind:     by_value
      - .offset:         4
        .size:           4
        .value_kind:     by_value
      - .offset:         8
        .size:           4
        .value_kind:     by_value
      - .address_space:  global
        .offset:         16
        .size:           8
        .value_kind:     global_buffer
      - .offset:         24
        .size:           4
        .value_kind:     by_value
      - .offset:         32
        .size:           8
        .value_kind:     by_value
      - .address_space:  global
        .offset:         40
        .size:           8
        .value_kind:     global_buffer
      - .offset:         48
        .size:           4
        .value_kind:     by_value
      - .offset:         56
        .size:           8
        .value_kind:     by_value
      - .offset:         64
        .size:           4
        .value_kind:     by_value
      - .address_space:  global
        .offset:         72
        .size:           8
        .value_kind:     global_buffer
      - .offset:         80
        .size:           4
        .value_kind:     by_value
      - .offset:         88
        .size:           8
        .value_kind:     by_value
      - .offset:         96
        .size:           4
        .value_kind:     by_value
    .group_segment_fixed_size: 2048
    .kernarg_segment_align: 8
    .kernarg_segment_size: 100
    .language:       OpenCL C
    .language_version:
      - 2
      - 0
    .max_flat_workgroup_size: 256
    .name:           _ZL37rocblas_syrkx_herkx_restricted_kernelIifLi16ELi32ELi8ELb1ELb0ELc78ELc85EKPKfKPfEviT_T0_PT8_S5_lS8_S5_lS6_PT9_S5_li
    .private_segment_fixed_size: 0
    .sgpr_count:     22
    .sgpr_spill_count: 0
    .symbol:         _ZL37rocblas_syrkx_herkx_restricted_kernelIifLi16ELi32ELi8ELb1ELb0ELc78ELc85EKPKfKPfEviT_T0_PT8_S5_lS8_S5_lS6_PT9_S5_li.kd
    .uniform_work_group_size: 1
    .uses_dynamic_stack: false
    .vgpr_count:     46
    .vgpr_spill_count: 0
    .wavefront_size: 32
    .workgroup_processor_mode: 1
  - .args:
      - .offset:         0
        .size:           4
        .value_kind:     by_value
      - .offset:         4
        .size:           4
        .value_kind:     by_value
      - .offset:         8
        .size:           4
        .value_kind:     by_value
      - .address_space:  global
        .offset:         16
        .size:           8
        .value_kind:     global_buffer
      - .offset:         24
        .size:           4
        .value_kind:     by_value
      - .offset:         32
        .size:           8
        .value_kind:     by_value
      - .address_space:  global
        .offset:         40
        .size:           8
        .value_kind:     global_buffer
      - .offset:         48
        .size:           4
        .value_kind:     by_value
      - .offset:         56
        .size:           8
        .value_kind:     by_value
      - .offset:         64
        .size:           4
        .value_kind:     by_value
      - .address_space:  global
        .offset:         72
        .size:           8
        .value_kind:     global_buffer
      - .offset:         80
        .size:           4
        .value_kind:     by_value
      - .offset:         88
        .size:           8
        .value_kind:     by_value
      - .offset:         96
        .size:           4
        .value_kind:     by_value
    .group_segment_fixed_size: 2048
    .kernarg_segment_align: 8
    .kernarg_segment_size: 100
    .language:       OpenCL C
    .language_version:
      - 2
      - 0
    .max_flat_workgroup_size: 256
    .name:           _ZL37rocblas_syrkx_herkx_restricted_kernelIifLi16ELi32ELi8ELb0ELb0ELc84ELc76EKPKfKPfEviT_T0_PT8_S5_lS8_S5_lS6_PT9_S5_li
    .private_segment_fixed_size: 0
    .sgpr_count:     20
    .sgpr_spill_count: 0
    .symbol:         _ZL37rocblas_syrkx_herkx_restricted_kernelIifLi16ELi32ELi8ELb0ELb0ELc84ELc76EKPKfKPfEviT_T0_PT8_S5_lS8_S5_lS6_PT9_S5_li.kd
    .uniform_work_group_size: 1
    .uses_dynamic_stack: false
    .vgpr_count:     46
    .vgpr_spill_count: 0
    .wavefront_size: 32
    .workgroup_processor_mode: 1
  - .args:
      - .offset:         0
        .size:           4
        .value_kind:     by_value
      - .offset:         4
        .size:           4
        .value_kind:     by_value
      - .offset:         8
        .size:           4
        .value_kind:     by_value
      - .address_space:  global
        .offset:         16
        .size:           8
        .value_kind:     global_buffer
      - .offset:         24
        .size:           4
        .value_kind:     by_value
      - .offset:         32
        .size:           8
        .value_kind:     by_value
      - .address_space:  global
        .offset:         40
        .size:           8
        .value_kind:     global_buffer
      - .offset:         48
        .size:           4
        .value_kind:     by_value
      - .offset:         56
        .size:           8
        .value_kind:     by_value
      - .offset:         64
        .size:           4
        .value_kind:     by_value
      - .address_space:  global
        .offset:         72
        .size:           8
        .value_kind:     global_buffer
      - .offset:         80
        .size:           4
        .value_kind:     by_value
      - .offset:         88
        .size:           8
        .value_kind:     by_value
      - .offset:         96
        .size:           4
        .value_kind:     by_value
    .group_segment_fixed_size: 2048
    .kernarg_segment_align: 8
    .kernarg_segment_size: 100
    .language:       OpenCL C
    .language_version:
      - 2
      - 0
    .max_flat_workgroup_size: 256
    .name:           _ZL37rocblas_syrkx_herkx_restricted_kernelIifLi16ELi32ELi8ELb0ELb0ELc67ELc76EKPKfKPfEviT_T0_PT8_S5_lS8_S5_lS6_PT9_S5_li
    .private_segment_fixed_size: 0
    .sgpr_count:     20
    .sgpr_spill_count: 0
    .symbol:         _ZL37rocblas_syrkx_herkx_restricted_kernelIifLi16ELi32ELi8ELb0ELb0ELc67ELc76EKPKfKPfEviT_T0_PT8_S5_lS8_S5_lS6_PT9_S5_li.kd
    .uniform_work_group_size: 1
    .uses_dynamic_stack: false
    .vgpr_count:     46
    .vgpr_spill_count: 0
    .wavefront_size: 32
    .workgroup_processor_mode: 1
  - .args:
      - .offset:         0
        .size:           4
        .value_kind:     by_value
      - .offset:         4
        .size:           4
        .value_kind:     by_value
      - .offset:         8
        .size:           4
        .value_kind:     by_value
      - .address_space:  global
        .offset:         16
        .size:           8
        .value_kind:     global_buffer
      - .offset:         24
        .size:           4
        .value_kind:     by_value
      - .offset:         32
        .size:           8
        .value_kind:     by_value
      - .address_space:  global
        .offset:         40
        .size:           8
        .value_kind:     global_buffer
      - .offset:         48
        .size:           4
        .value_kind:     by_value
      - .offset:         56
        .size:           8
        .value_kind:     by_value
      - .offset:         64
        .size:           4
        .value_kind:     by_value
      - .address_space:  global
        .offset:         72
        .size:           8
        .value_kind:     global_buffer
      - .offset:         80
        .size:           4
        .value_kind:     by_value
      - .offset:         88
        .size:           8
        .value_kind:     by_value
      - .offset:         96
        .size:           4
        .value_kind:     by_value
    .group_segment_fixed_size: 2048
    .kernarg_segment_align: 8
    .kernarg_segment_size: 100
    .language:       OpenCL C
    .language_version:
      - 2
      - 0
    .max_flat_workgroup_size: 256
    .name:           _ZL37rocblas_syrkx_herkx_restricted_kernelIifLi16ELi32ELi8ELb0ELb0ELc78ELc76EKPKfKPfEviT_T0_PT8_S5_lS8_S5_lS6_PT9_S5_li
    .private_segment_fixed_size: 0
    .sgpr_count:     22
    .sgpr_spill_count: 0
    .symbol:         _ZL37rocblas_syrkx_herkx_restricted_kernelIifLi16ELi32ELi8ELb0ELb0ELc78ELc76EKPKfKPfEviT_T0_PT8_S5_lS8_S5_lS6_PT9_S5_li.kd
    .uniform_work_group_size: 1
    .uses_dynamic_stack: false
    .vgpr_count:     46
    .vgpr_spill_count: 0
    .wavefront_size: 32
    .workgroup_processor_mode: 1
  - .args:
      - .offset:         0
        .size:           4
        .value_kind:     by_value
      - .offset:         4
        .size:           4
        .value_kind:     by_value
      - .offset:         8
        .size:           4
        .value_kind:     by_value
      - .address_space:  global
        .offset:         16
        .size:           8
        .value_kind:     global_buffer
      - .offset:         24
        .size:           4
        .value_kind:     by_value
      - .offset:         32
        .size:           8
        .value_kind:     by_value
      - .address_space:  global
        .offset:         40
        .size:           8
        .value_kind:     global_buffer
      - .offset:         48
        .size:           4
        .value_kind:     by_value
      - .offset:         56
        .size:           8
        .value_kind:     by_value
      - .offset:         64
        .size:           4
        .value_kind:     by_value
      - .address_space:  global
        .offset:         72
        .size:           8
        .value_kind:     global_buffer
      - .offset:         80
        .size:           4
        .value_kind:     by_value
      - .offset:         88
        .size:           8
        .value_kind:     by_value
      - .offset:         96
        .size:           4
        .value_kind:     by_value
    .group_segment_fixed_size: 2048
    .kernarg_segment_align: 8
    .kernarg_segment_size: 100
    .language:       OpenCL C
    .language_version:
      - 2
      - 0
    .max_flat_workgroup_size: 256
    .name:           _ZL37rocblas_syrkx_herkx_restricted_kernelIifLi16ELi32ELi8ELb0ELb0ELc84ELc85EKPKfKPfEviT_T0_PT8_S5_lS8_S5_lS6_PT9_S5_li
    .private_segment_fixed_size: 0
    .sgpr_count:     20
    .sgpr_spill_count: 0
    .symbol:         _ZL37rocblas_syrkx_herkx_restricted_kernelIifLi16ELi32ELi8ELb0ELb0ELc84ELc85EKPKfKPfEviT_T0_PT8_S5_lS8_S5_lS6_PT9_S5_li.kd
    .uniform_work_group_size: 1
    .uses_dynamic_stack: false
    .vgpr_count:     46
    .vgpr_spill_count: 0
    .wavefront_size: 32
    .workgroup_processor_mode: 1
  - .args:
      - .offset:         0
        .size:           4
        .value_kind:     by_value
      - .offset:         4
        .size:           4
        .value_kind:     by_value
      - .offset:         8
        .size:           4
        .value_kind:     by_value
      - .address_space:  global
        .offset:         16
        .size:           8
        .value_kind:     global_buffer
      - .offset:         24
        .size:           4
        .value_kind:     by_value
      - .offset:         32
        .size:           8
        .value_kind:     by_value
      - .address_space:  global
        .offset:         40
        .size:           8
        .value_kind:     global_buffer
      - .offset:         48
        .size:           4
        .value_kind:     by_value
      - .offset:         56
        .size:           8
        .value_kind:     by_value
      - .offset:         64
        .size:           4
        .value_kind:     by_value
      - .address_space:  global
        .offset:         72
        .size:           8
        .value_kind:     global_buffer
      - .offset:         80
        .size:           4
        .value_kind:     by_value
      - .offset:         88
        .size:           8
        .value_kind:     by_value
      - .offset:         96
        .size:           4
        .value_kind:     by_value
    .group_segment_fixed_size: 2048
    .kernarg_segment_align: 8
    .kernarg_segment_size: 100
    .language:       OpenCL C
    .language_version:
      - 2
      - 0
    .max_flat_workgroup_size: 256
    .name:           _ZL37rocblas_syrkx_herkx_restricted_kernelIifLi16ELi32ELi8ELb0ELb0ELc67ELc85EKPKfKPfEviT_T0_PT8_S5_lS8_S5_lS6_PT9_S5_li
    .private_segment_fixed_size: 0
    .sgpr_count:     20
    .sgpr_spill_count: 0
    .symbol:         _ZL37rocblas_syrkx_herkx_restricted_kernelIifLi16ELi32ELi8ELb0ELb0ELc67ELc85EKPKfKPfEviT_T0_PT8_S5_lS8_S5_lS6_PT9_S5_li.kd
    .uniform_work_group_size: 1
    .uses_dynamic_stack: false
    .vgpr_count:     46
    .vgpr_spill_count: 0
    .wavefront_size: 32
    .workgroup_processor_mode: 1
  - .args:
      - .offset:         0
        .size:           4
        .value_kind:     by_value
      - .offset:         4
        .size:           4
        .value_kind:     by_value
      - .offset:         8
        .size:           4
        .value_kind:     by_value
      - .address_space:  global
        .offset:         16
        .size:           8
        .value_kind:     global_buffer
      - .offset:         24
        .size:           4
        .value_kind:     by_value
      - .offset:         32
        .size:           8
        .value_kind:     by_value
      - .address_space:  global
        .offset:         40
        .size:           8
        .value_kind:     global_buffer
      - .offset:         48
        .size:           4
        .value_kind:     by_value
      - .offset:         56
        .size:           8
        .value_kind:     by_value
      - .offset:         64
        .size:           4
        .value_kind:     by_value
      - .address_space:  global
        .offset:         72
        .size:           8
        .value_kind:     global_buffer
      - .offset:         80
        .size:           4
        .value_kind:     by_value
      - .offset:         88
        .size:           8
        .value_kind:     by_value
      - .offset:         96
        .size:           4
        .value_kind:     by_value
    .group_segment_fixed_size: 2048
    .kernarg_segment_align: 8
    .kernarg_segment_size: 100
    .language:       OpenCL C
    .language_version:
      - 2
      - 0
    .max_flat_workgroup_size: 256
    .name:           _ZL37rocblas_syrkx_herkx_restricted_kernelIifLi16ELi32ELi8ELb0ELb0ELc78ELc85EKPKfKPfEviT_T0_PT8_S5_lS8_S5_lS6_PT9_S5_li
    .private_segment_fixed_size: 0
    .sgpr_count:     22
    .sgpr_spill_count: 0
    .symbol:         _ZL37rocblas_syrkx_herkx_restricted_kernelIifLi16ELi32ELi8ELb0ELb0ELc78ELc85EKPKfKPfEviT_T0_PT8_S5_lS8_S5_lS6_PT9_S5_li.kd
    .uniform_work_group_size: 1
    .uses_dynamic_stack: false
    .vgpr_count:     46
    .vgpr_spill_count: 0
    .wavefront_size: 32
    .workgroup_processor_mode: 1
  - .args:
      - .offset:         0
        .size:           4
        .value_kind:     by_value
      - .offset:         4
        .size:           4
        .value_kind:     by_value
      - .offset:         8
        .size:           4
        .value_kind:     by_value
      - .address_space:  global
        .offset:         16
        .size:           8
        .value_kind:     global_buffer
      - .offset:         24
        .size:           4
        .value_kind:     by_value
      - .offset:         32
        .size:           8
        .value_kind:     by_value
      - .address_space:  global
        .offset:         40
        .size:           8
        .value_kind:     global_buffer
      - .offset:         48
        .size:           4
        .value_kind:     by_value
      - .offset:         56
        .size:           8
        .value_kind:     by_value
      - .offset:         64
        .size:           4
        .value_kind:     by_value
      - .address_space:  global
        .offset:         72
        .size:           8
        .value_kind:     global_buffer
      - .offset:         80
        .size:           4
        .value_kind:     by_value
      - .offset:         88
        .size:           8
        .value_kind:     by_value
      - .offset:         96
        .size:           4
        .value_kind:     by_value
    .group_segment_fixed_size: 2048
    .kernarg_segment_align: 8
    .kernarg_segment_size: 100
    .language:       OpenCL C
    .language_version:
      - 2
      - 0
    .max_flat_workgroup_size: 256
    .name:           _ZL41rocblas_syrkx_herkx_small_restrict_kernelIifLi16ELb1ELb0ELc84ELc76EKPKfKPfEviT_T0_PT6_S5_lS8_S5_lS6_PT7_S5_li
    .private_segment_fixed_size: 0
    .sgpr_count:     18
    .sgpr_spill_count: 0
    .symbol:         _ZL41rocblas_syrkx_herkx_small_restrict_kernelIifLi16ELb1ELb0ELc84ELc76EKPKfKPfEviT_T0_PT6_S5_lS8_S5_lS6_PT7_S5_li.kd
    .uniform_work_group_size: 1
    .uses_dynamic_stack: false
    .vgpr_count:     25
    .vgpr_spill_count: 0
    .wavefront_size: 32
    .workgroup_processor_mode: 1
  - .args:
      - .offset:         0
        .size:           4
        .value_kind:     by_value
      - .offset:         4
        .size:           4
        .value_kind:     by_value
      - .offset:         8
        .size:           4
        .value_kind:     by_value
      - .address_space:  global
        .offset:         16
        .size:           8
        .value_kind:     global_buffer
      - .offset:         24
        .size:           4
        .value_kind:     by_value
      - .offset:         32
        .size:           8
        .value_kind:     by_value
      - .address_space:  global
        .offset:         40
        .size:           8
        .value_kind:     global_buffer
      - .offset:         48
        .size:           4
        .value_kind:     by_value
      - .offset:         56
        .size:           8
        .value_kind:     by_value
      - .offset:         64
        .size:           4
        .value_kind:     by_value
      - .address_space:  global
        .offset:         72
        .size:           8
        .value_kind:     global_buffer
      - .offset:         80
        .size:           4
        .value_kind:     by_value
      - .offset:         88
        .size:           8
        .value_kind:     by_value
      - .offset:         96
        .size:           4
        .value_kind:     by_value
    .group_segment_fixed_size: 2048
    .kernarg_segment_align: 8
    .kernarg_segment_size: 100
    .language:       OpenCL C
    .language_version:
      - 2
      - 0
    .max_flat_workgroup_size: 256
    .name:           _ZL41rocblas_syrkx_herkx_small_restrict_kernelIifLi16ELb1ELb0ELc67ELc76EKPKfKPfEviT_T0_PT6_S5_lS8_S5_lS6_PT7_S5_li
    .private_segment_fixed_size: 0
    .sgpr_count:     18
    .sgpr_spill_count: 0
    .symbol:         _ZL41rocblas_syrkx_herkx_small_restrict_kernelIifLi16ELb1ELb0ELc67ELc76EKPKfKPfEviT_T0_PT6_S5_lS8_S5_lS6_PT7_S5_li.kd
    .uniform_work_group_size: 1
    .uses_dynamic_stack: false
    .vgpr_count:     25
    .vgpr_spill_count: 0
    .wavefront_size: 32
    .workgroup_processor_mode: 1
  - .args:
      - .offset:         0
        .size:           4
        .value_kind:     by_value
      - .offset:         4
        .size:           4
        .value_kind:     by_value
      - .offset:         8
        .size:           4
        .value_kind:     by_value
      - .address_space:  global
        .offset:         16
        .size:           8
        .value_kind:     global_buffer
      - .offset:         24
        .size:           4
        .value_kind:     by_value
      - .offset:         32
        .size:           8
        .value_kind:     by_value
      - .address_space:  global
        .offset:         40
        .size:           8
        .value_kind:     global_buffer
      - .offset:         48
        .size:           4
        .value_kind:     by_value
      - .offset:         56
        .size:           8
        .value_kind:     by_value
      - .offset:         64
        .size:           4
        .value_kind:     by_value
      - .address_space:  global
        .offset:         72
        .size:           8
        .value_kind:     global_buffer
      - .offset:         80
        .size:           4
        .value_kind:     by_value
      - .offset:         88
        .size:           8
        .value_kind:     by_value
      - .offset:         96
        .size:           4
        .value_kind:     by_value
    .group_segment_fixed_size: 2048
    .kernarg_segment_align: 8
    .kernarg_segment_size: 100
    .language:       OpenCL C
    .language_version:
      - 2
      - 0
    .max_flat_workgroup_size: 256
    .name:           _ZL41rocblas_syrkx_herkx_small_restrict_kernelIifLi16ELb1ELb0ELc78ELc76EKPKfKPfEviT_T0_PT6_S5_lS8_S5_lS6_PT7_S5_li
    .private_segment_fixed_size: 0
    .sgpr_count:     20
    .sgpr_spill_count: 0
    .symbol:         _ZL41rocblas_syrkx_herkx_small_restrict_kernelIifLi16ELb1ELb0ELc78ELc76EKPKfKPfEviT_T0_PT6_S5_lS8_S5_lS6_PT7_S5_li.kd
    .uniform_work_group_size: 1
    .uses_dynamic_stack: false
    .vgpr_count:     26
    .vgpr_spill_count: 0
    .wavefront_size: 32
    .workgroup_processor_mode: 1
  - .args:
      - .offset:         0
        .size:           4
        .value_kind:     by_value
      - .offset:         4
        .size:           4
        .value_kind:     by_value
      - .offset:         8
        .size:           4
        .value_kind:     by_value
      - .address_space:  global
        .offset:         16
        .size:           8
        .value_kind:     global_buffer
      - .offset:         24
        .size:           4
        .value_kind:     by_value
      - .offset:         32
        .size:           8
        .value_kind:     by_value
      - .address_space:  global
        .offset:         40
        .size:           8
        .value_kind:     global_buffer
      - .offset:         48
        .size:           4
        .value_kind:     by_value
      - .offset:         56
        .size:           8
        .value_kind:     by_value
      - .offset:         64
        .size:           4
        .value_kind:     by_value
      - .address_space:  global
        .offset:         72
        .size:           8
        .value_kind:     global_buffer
      - .offset:         80
        .size:           4
        .value_kind:     by_value
      - .offset:         88
        .size:           8
        .value_kind:     by_value
      - .offset:         96
        .size:           4
        .value_kind:     by_value
    .group_segment_fixed_size: 2048
    .kernarg_segment_align: 8
    .kernarg_segment_size: 100
    .language:       OpenCL C
    .language_version:
      - 2
      - 0
    .max_flat_workgroup_size: 256
    .name:           _ZL41rocblas_syrkx_herkx_small_restrict_kernelIifLi16ELb1ELb0ELc84ELc85EKPKfKPfEviT_T0_PT6_S5_lS8_S5_lS6_PT7_S5_li
    .private_segment_fixed_size: 0
    .sgpr_count:     18
    .sgpr_spill_count: 0
    .symbol:         _ZL41rocblas_syrkx_herkx_small_restrict_kernelIifLi16ELb1ELb0ELc84ELc85EKPKfKPfEviT_T0_PT6_S5_lS8_S5_lS6_PT7_S5_li.kd
    .uniform_work_group_size: 1
    .uses_dynamic_stack: false
    .vgpr_count:     25
    .vgpr_spill_count: 0
    .wavefront_size: 32
    .workgroup_processor_mode: 1
  - .args:
      - .offset:         0
        .size:           4
        .value_kind:     by_value
      - .offset:         4
        .size:           4
        .value_kind:     by_value
      - .offset:         8
        .size:           4
        .value_kind:     by_value
      - .address_space:  global
        .offset:         16
        .size:           8
        .value_kind:     global_buffer
      - .offset:         24
        .size:           4
        .value_kind:     by_value
      - .offset:         32
        .size:           8
        .value_kind:     by_value
      - .address_space:  global
        .offset:         40
        .size:           8
        .value_kind:     global_buffer
      - .offset:         48
        .size:           4
        .value_kind:     by_value
      - .offset:         56
        .size:           8
        .value_kind:     by_value
      - .offset:         64
        .size:           4
        .value_kind:     by_value
      - .address_space:  global
        .offset:         72
        .size:           8
        .value_kind:     global_buffer
      - .offset:         80
        .size:           4
        .value_kind:     by_value
      - .offset:         88
        .size:           8
        .value_kind:     by_value
      - .offset:         96
        .size:           4
        .value_kind:     by_value
    .group_segment_fixed_size: 2048
    .kernarg_segment_align: 8
    .kernarg_segment_size: 100
    .language:       OpenCL C
    .language_version:
      - 2
      - 0
    .max_flat_workgroup_size: 256
    .name:           _ZL41rocblas_syrkx_herkx_small_restrict_kernelIifLi16ELb1ELb0ELc67ELc85EKPKfKPfEviT_T0_PT6_S5_lS8_S5_lS6_PT7_S5_li
    .private_segment_fixed_size: 0
    .sgpr_count:     18
    .sgpr_spill_count: 0
    .symbol:         _ZL41rocblas_syrkx_herkx_small_restrict_kernelIifLi16ELb1ELb0ELc67ELc85EKPKfKPfEviT_T0_PT6_S5_lS8_S5_lS6_PT7_S5_li.kd
    .uniform_work_group_size: 1
    .uses_dynamic_stack: false
    .vgpr_count:     25
    .vgpr_spill_count: 0
    .wavefront_size: 32
    .workgroup_processor_mode: 1
  - .args:
      - .offset:         0
        .size:           4
        .value_kind:     by_value
      - .offset:         4
        .size:           4
        .value_kind:     by_value
      - .offset:         8
        .size:           4
        .value_kind:     by_value
      - .address_space:  global
        .offset:         16
        .size:           8
        .value_kind:     global_buffer
      - .offset:         24
        .size:           4
        .value_kind:     by_value
      - .offset:         32
        .size:           8
        .value_kind:     by_value
      - .address_space:  global
        .offset:         40
        .size:           8
        .value_kind:     global_buffer
      - .offset:         48
        .size:           4
        .value_kind:     by_value
      - .offset:         56
        .size:           8
        .value_kind:     by_value
      - .offset:         64
        .size:           4
        .value_kind:     by_value
      - .address_space:  global
        .offset:         72
        .size:           8
        .value_kind:     global_buffer
      - .offset:         80
        .size:           4
        .value_kind:     by_value
      - .offset:         88
        .size:           8
        .value_kind:     by_value
      - .offset:         96
        .size:           4
        .value_kind:     by_value
    .group_segment_fixed_size: 2048
    .kernarg_segment_align: 8
    .kernarg_segment_size: 100
    .language:       OpenCL C
    .language_version:
      - 2
      - 0
    .max_flat_workgroup_size: 256
    .name:           _ZL41rocblas_syrkx_herkx_small_restrict_kernelIifLi16ELb1ELb0ELc78ELc85EKPKfKPfEviT_T0_PT6_S5_lS8_S5_lS6_PT7_S5_li
    .private_segment_fixed_size: 0
    .sgpr_count:     20
    .sgpr_spill_count: 0
    .symbol:         _ZL41rocblas_syrkx_herkx_small_restrict_kernelIifLi16ELb1ELb0ELc78ELc85EKPKfKPfEviT_T0_PT6_S5_lS8_S5_lS6_PT7_S5_li.kd
    .uniform_work_group_size: 1
    .uses_dynamic_stack: false
    .vgpr_count:     26
    .vgpr_spill_count: 0
    .wavefront_size: 32
    .workgroup_processor_mode: 1
  - .args:
      - .offset:         0
        .size:           4
        .value_kind:     by_value
      - .offset:         4
        .size:           4
        .value_kind:     by_value
      - .offset:         8
        .size:           4
        .value_kind:     by_value
      - .address_space:  global
        .offset:         16
        .size:           8
        .value_kind:     global_buffer
      - .offset:         24
        .size:           4
        .value_kind:     by_value
      - .offset:         32
        .size:           8
        .value_kind:     by_value
      - .address_space:  global
        .offset:         40
        .size:           8
        .value_kind:     global_buffer
      - .offset:         48
        .size:           4
        .value_kind:     by_value
      - .offset:         56
        .size:           8
        .value_kind:     by_value
      - .offset:         64
        .size:           4
        .value_kind:     by_value
      - .address_space:  global
        .offset:         72
        .size:           8
        .value_kind:     global_buffer
      - .offset:         80
        .size:           4
        .value_kind:     by_value
      - .offset:         88
        .size:           8
        .value_kind:     by_value
      - .offset:         96
        .size:           4
        .value_kind:     by_value
    .group_segment_fixed_size: 2048
    .kernarg_segment_align: 8
    .kernarg_segment_size: 100
    .language:       OpenCL C
    .language_version:
      - 2
      - 0
    .max_flat_workgroup_size: 256
    .name:           _ZL41rocblas_syrkx_herkx_small_restrict_kernelIifLi16ELb0ELb0ELc84ELc76EKPKfKPfEviT_T0_PT6_S5_lS8_S5_lS6_PT7_S5_li
    .private_segment_fixed_size: 0
    .sgpr_count:     18
    .sgpr_spill_count: 0
    .symbol:         _ZL41rocblas_syrkx_herkx_small_restrict_kernelIifLi16ELb0ELb0ELc84ELc76EKPKfKPfEviT_T0_PT6_S5_lS8_S5_lS6_PT7_S5_li.kd
    .uniform_work_group_size: 1
    .uses_dynamic_stack: false
    .vgpr_count:     25
    .vgpr_spill_count: 0
    .wavefront_size: 32
    .workgroup_processor_mode: 1
  - .args:
      - .offset:         0
        .size:           4
        .value_kind:     by_value
      - .offset:         4
        .size:           4
        .value_kind:     by_value
      - .offset:         8
        .size:           4
        .value_kind:     by_value
      - .address_space:  global
        .offset:         16
        .size:           8
        .value_kind:     global_buffer
      - .offset:         24
        .size:           4
        .value_kind:     by_value
      - .offset:         32
        .size:           8
        .value_kind:     by_value
      - .address_space:  global
        .offset:         40
        .size:           8
        .value_kind:     global_buffer
      - .offset:         48
        .size:           4
        .value_kind:     by_value
      - .offset:         56
        .size:           8
        .value_kind:     by_value
      - .offset:         64
        .size:           4
        .value_kind:     by_value
      - .address_space:  global
        .offset:         72
        .size:           8
        .value_kind:     global_buffer
      - .offset:         80
        .size:           4
        .value_kind:     by_value
      - .offset:         88
        .size:           8
        .value_kind:     by_value
      - .offset:         96
        .size:           4
        .value_kind:     by_value
    .group_segment_fixed_size: 2048
    .kernarg_segment_align: 8
    .kernarg_segment_size: 100
    .language:       OpenCL C
    .language_version:
      - 2
      - 0
    .max_flat_workgroup_size: 256
    .name:           _ZL41rocblas_syrkx_herkx_small_restrict_kernelIifLi16ELb0ELb0ELc67ELc76EKPKfKPfEviT_T0_PT6_S5_lS8_S5_lS6_PT7_S5_li
    .private_segment_fixed_size: 0
    .sgpr_count:     18
    .sgpr_spill_count: 0
    .symbol:         _ZL41rocblas_syrkx_herkx_small_restrict_kernelIifLi16ELb0ELb0ELc67ELc76EKPKfKPfEviT_T0_PT6_S5_lS8_S5_lS6_PT7_S5_li.kd
    .uniform_work_group_size: 1
    .uses_dynamic_stack: false
    .vgpr_count:     25
    .vgpr_spill_count: 0
    .wavefront_size: 32
    .workgroup_processor_mode: 1
  - .args:
      - .offset:         0
        .size:           4
        .value_kind:     by_value
      - .offset:         4
        .size:           4
        .value_kind:     by_value
      - .offset:         8
        .size:           4
        .value_kind:     by_value
      - .address_space:  global
        .offset:         16
        .size:           8
        .value_kind:     global_buffer
      - .offset:         24
        .size:           4
        .value_kind:     by_value
      - .offset:         32
        .size:           8
        .value_kind:     by_value
      - .address_space:  global
        .offset:         40
        .size:           8
        .value_kind:     global_buffer
      - .offset:         48
        .size:           4
        .value_kind:     by_value
      - .offset:         56
        .size:           8
        .value_kind:     by_value
      - .offset:         64
        .size:           4
        .value_kind:     by_value
      - .address_space:  global
        .offset:         72
        .size:           8
        .value_kind:     global_buffer
      - .offset:         80
        .size:           4
        .value_kind:     by_value
      - .offset:         88
        .size:           8
        .value_kind:     by_value
      - .offset:         96
        .size:           4
        .value_kind:     by_value
    .group_segment_fixed_size: 2048
    .kernarg_segment_align: 8
    .kernarg_segment_size: 100
    .language:       OpenCL C
    .language_version:
      - 2
      - 0
    .max_flat_workgroup_size: 256
    .name:           _ZL41rocblas_syrkx_herkx_small_restrict_kernelIifLi16ELb0ELb0ELc78ELc76EKPKfKPfEviT_T0_PT6_S5_lS8_S5_lS6_PT7_S5_li
    .private_segment_fixed_size: 0
    .sgpr_count:     20
    .sgpr_spill_count: 0
    .symbol:         _ZL41rocblas_syrkx_herkx_small_restrict_kernelIifLi16ELb0ELb0ELc78ELc76EKPKfKPfEviT_T0_PT6_S5_lS8_S5_lS6_PT7_S5_li.kd
    .uniform_work_group_size: 1
    .uses_dynamic_stack: false
    .vgpr_count:     26
    .vgpr_spill_count: 0
    .wavefront_size: 32
    .workgroup_processor_mode: 1
  - .args:
      - .offset:         0
        .size:           4
        .value_kind:     by_value
      - .offset:         4
        .size:           4
        .value_kind:     by_value
      - .offset:         8
        .size:           4
        .value_kind:     by_value
      - .address_space:  global
        .offset:         16
        .size:           8
        .value_kind:     global_buffer
      - .offset:         24
        .size:           4
        .value_kind:     by_value
      - .offset:         32
        .size:           8
        .value_kind:     by_value
      - .address_space:  global
        .offset:         40
        .size:           8
        .value_kind:     global_buffer
      - .offset:         48
        .size:           4
        .value_kind:     by_value
      - .offset:         56
        .size:           8
        .value_kind:     by_value
      - .offset:         64
        .size:           4
        .value_kind:     by_value
      - .address_space:  global
        .offset:         72
        .size:           8
        .value_kind:     global_buffer
      - .offset:         80
        .size:           4
        .value_kind:     by_value
      - .offset:         88
        .size:           8
        .value_kind:     by_value
      - .offset:         96
        .size:           4
        .value_kind:     by_value
    .group_segment_fixed_size: 2048
    .kernarg_segment_align: 8
    .kernarg_segment_size: 100
    .language:       OpenCL C
    .language_version:
      - 2
      - 0
    .max_flat_workgroup_size: 256
    .name:           _ZL41rocblas_syrkx_herkx_small_restrict_kernelIifLi16ELb0ELb0ELc84ELc85EKPKfKPfEviT_T0_PT6_S5_lS8_S5_lS6_PT7_S5_li
    .private_segment_fixed_size: 0
    .sgpr_count:     18
    .sgpr_spill_count: 0
    .symbol:         _ZL41rocblas_syrkx_herkx_small_restrict_kernelIifLi16ELb0ELb0ELc84ELc85EKPKfKPfEviT_T0_PT6_S5_lS8_S5_lS6_PT7_S5_li.kd
    .uniform_work_group_size: 1
    .uses_dynamic_stack: false
    .vgpr_count:     25
    .vgpr_spill_count: 0
    .wavefront_size: 32
    .workgroup_processor_mode: 1
  - .args:
      - .offset:         0
        .size:           4
        .value_kind:     by_value
      - .offset:         4
        .size:           4
        .value_kind:     by_value
      - .offset:         8
        .size:           4
        .value_kind:     by_value
      - .address_space:  global
        .offset:         16
        .size:           8
        .value_kind:     global_buffer
      - .offset:         24
        .size:           4
        .value_kind:     by_value
      - .offset:         32
        .size:           8
        .value_kind:     by_value
      - .address_space:  global
        .offset:         40
        .size:           8
        .value_kind:     global_buffer
      - .offset:         48
        .size:           4
        .value_kind:     by_value
      - .offset:         56
        .size:           8
        .value_kind:     by_value
      - .offset:         64
        .size:           4
        .value_kind:     by_value
      - .address_space:  global
        .offset:         72
        .size:           8
        .value_kind:     global_buffer
      - .offset:         80
        .size:           4
        .value_kind:     by_value
      - .offset:         88
        .size:           8
        .value_kind:     by_value
      - .offset:         96
        .size:           4
        .value_kind:     by_value
    .group_segment_fixed_size: 2048
    .kernarg_segment_align: 8
    .kernarg_segment_size: 100
    .language:       OpenCL C
    .language_version:
      - 2
      - 0
    .max_flat_workgroup_size: 256
    .name:           _ZL41rocblas_syrkx_herkx_small_restrict_kernelIifLi16ELb0ELb0ELc67ELc85EKPKfKPfEviT_T0_PT6_S5_lS8_S5_lS6_PT7_S5_li
    .private_segment_fixed_size: 0
    .sgpr_count:     18
    .sgpr_spill_count: 0
    .symbol:         _ZL41rocblas_syrkx_herkx_small_restrict_kernelIifLi16ELb0ELb0ELc67ELc85EKPKfKPfEviT_T0_PT6_S5_lS8_S5_lS6_PT7_S5_li.kd
    .uniform_work_group_size: 1
    .uses_dynamic_stack: false
    .vgpr_count:     25
    .vgpr_spill_count: 0
    .wavefront_size: 32
    .workgroup_processor_mode: 1
  - .args:
      - .offset:         0
        .size:           4
        .value_kind:     by_value
      - .offset:         4
        .size:           4
        .value_kind:     by_value
      - .offset:         8
        .size:           4
        .value_kind:     by_value
      - .address_space:  global
        .offset:         16
        .size:           8
        .value_kind:     global_buffer
      - .offset:         24
        .size:           4
        .value_kind:     by_value
      - .offset:         32
        .size:           8
        .value_kind:     by_value
      - .address_space:  global
        .offset:         40
        .size:           8
        .value_kind:     global_buffer
      - .offset:         48
        .size:           4
        .value_kind:     by_value
      - .offset:         56
        .size:           8
        .value_kind:     by_value
      - .offset:         64
        .size:           4
        .value_kind:     by_value
      - .address_space:  global
        .offset:         72
        .size:           8
        .value_kind:     global_buffer
      - .offset:         80
        .size:           4
        .value_kind:     by_value
      - .offset:         88
        .size:           8
        .value_kind:     by_value
      - .offset:         96
        .size:           4
        .value_kind:     by_value
    .group_segment_fixed_size: 2048
    .kernarg_segment_align: 8
    .kernarg_segment_size: 100
    .language:       OpenCL C
    .language_version:
      - 2
      - 0
    .max_flat_workgroup_size: 256
    .name:           _ZL41rocblas_syrkx_herkx_small_restrict_kernelIifLi16ELb0ELb0ELc78ELc85EKPKfKPfEviT_T0_PT6_S5_lS8_S5_lS6_PT7_S5_li
    .private_segment_fixed_size: 0
    .sgpr_count:     20
    .sgpr_spill_count: 0
    .symbol:         _ZL41rocblas_syrkx_herkx_small_restrict_kernelIifLi16ELb0ELb0ELc78ELc85EKPKfKPfEviT_T0_PT6_S5_lS8_S5_lS6_PT7_S5_li.kd
    .uniform_work_group_size: 1
    .uses_dynamic_stack: false
    .vgpr_count:     26
    .vgpr_spill_count: 0
    .wavefront_size: 32
    .workgroup_processor_mode: 1
  - .args:
      - .offset:         0
        .size:           4
        .value_kind:     by_value
      - .offset:         4
        .size:           4
        .value_kind:     by_value
      - .offset:         8
        .size:           4
        .value_kind:     by_value
      - .address_space:  global
        .offset:         16
        .size:           8
        .value_kind:     global_buffer
      - .offset:         24
        .size:           4
        .value_kind:     by_value
      - .offset:         32
        .size:           8
        .value_kind:     by_value
      - .address_space:  global
        .offset:         40
        .size:           8
        .value_kind:     global_buffer
      - .offset:         48
        .size:           4
        .value_kind:     by_value
      - .offset:         56
        .size:           8
        .value_kind:     by_value
      - .offset:         64
        .size:           4
        .value_kind:     by_value
      - .address_space:  global
        .offset:         72
        .size:           8
        .value_kind:     global_buffer
      - .offset:         80
        .size:           4
        .value_kind:     by_value
      - .offset:         88
        .size:           8
        .value_kind:     by_value
      - .offset:         96
        .size:           4
        .value_kind:     by_value
    .group_segment_fixed_size: 2048
    .kernarg_segment_align: 8
    .kernarg_segment_size: 100
    .language:       OpenCL C
    .language_version:
      - 2
      - 0
    .max_flat_workgroup_size: 256
    .name:           _ZL32rocblas_syrkx_herkx_small_kernelIifLi16ELb1ELb0ELc84ELc76EKPKfKPfEviT_T0_PT6_S5_lS8_S5_lS6_PT7_S5_li
    .private_segment_fixed_size: 0
    .sgpr_count:     18
    .sgpr_spill_count: 0
    .symbol:         _ZL32rocblas_syrkx_herkx_small_kernelIifLi16ELb1ELb0ELc84ELc76EKPKfKPfEviT_T0_PT6_S5_lS8_S5_lS6_PT7_S5_li.kd
    .uniform_work_group_size: 1
    .uses_dynamic_stack: false
    .vgpr_count:     27
    .vgpr_spill_count: 0
    .wavefront_size: 32
    .workgroup_processor_mode: 1
  - .args:
      - .offset:         0
        .size:           4
        .value_kind:     by_value
      - .offset:         4
        .size:           4
        .value_kind:     by_value
      - .offset:         8
        .size:           4
        .value_kind:     by_value
      - .address_space:  global
        .offset:         16
        .size:           8
        .value_kind:     global_buffer
      - .offset:         24
        .size:           4
        .value_kind:     by_value
      - .offset:         32
        .size:           8
        .value_kind:     by_value
      - .address_space:  global
        .offset:         40
        .size:           8
        .value_kind:     global_buffer
      - .offset:         48
        .size:           4
        .value_kind:     by_value
      - .offset:         56
        .size:           8
        .value_kind:     by_value
      - .offset:         64
        .size:           4
        .value_kind:     by_value
      - .address_space:  global
        .offset:         72
        .size:           8
        .value_kind:     global_buffer
      - .offset:         80
        .size:           4
        .value_kind:     by_value
      - .offset:         88
        .size:           8
        .value_kind:     by_value
      - .offset:         96
        .size:           4
        .value_kind:     by_value
    .group_segment_fixed_size: 2048
    .kernarg_segment_align: 8
    .kernarg_segment_size: 100
    .language:       OpenCL C
    .language_version:
      - 2
      - 0
    .max_flat_workgroup_size: 256
    .name:           _ZL32rocblas_syrkx_herkx_small_kernelIifLi16ELb1ELb0ELc67ELc76EKPKfKPfEviT_T0_PT6_S5_lS8_S5_lS6_PT7_S5_li
    .private_segment_fixed_size: 0
    .sgpr_count:     18
    .sgpr_spill_count: 0
    .symbol:         _ZL32rocblas_syrkx_herkx_small_kernelIifLi16ELb1ELb0ELc67ELc76EKPKfKPfEviT_T0_PT6_S5_lS8_S5_lS6_PT7_S5_li.kd
    .uniform_work_group_size: 1
    .uses_dynamic_stack: false
    .vgpr_count:     27
    .vgpr_spill_count: 0
    .wavefront_size: 32
    .workgroup_processor_mode: 1
  - .args:
      - .offset:         0
        .size:           4
        .value_kind:     by_value
      - .offset:         4
        .size:           4
        .value_kind:     by_value
      - .offset:         8
        .size:           4
        .value_kind:     by_value
      - .address_space:  global
        .offset:         16
        .size:           8
        .value_kind:     global_buffer
      - .offset:         24
        .size:           4
        .value_kind:     by_value
      - .offset:         32
        .size:           8
        .value_kind:     by_value
      - .address_space:  global
        .offset:         40
        .size:           8
        .value_kind:     global_buffer
      - .offset:         48
        .size:           4
        .value_kind:     by_value
      - .offset:         56
        .size:           8
        .value_kind:     by_value
      - .offset:         64
        .size:           4
        .value_kind:     by_value
      - .address_space:  global
        .offset:         72
        .size:           8
        .value_kind:     global_buffer
      - .offset:         80
        .size:           4
        .value_kind:     by_value
      - .offset:         88
        .size:           8
        .value_kind:     by_value
      - .offset:         96
        .size:           4
        .value_kind:     by_value
    .group_segment_fixed_size: 2048
    .kernarg_segment_align: 8
    .kernarg_segment_size: 100
    .language:       OpenCL C
    .language_version:
      - 2
      - 0
    .max_flat_workgroup_size: 256
    .name:           _ZL32rocblas_syrkx_herkx_small_kernelIifLi16ELb1ELb0ELc78ELc76EKPKfKPfEviT_T0_PT6_S5_lS8_S5_lS6_PT7_S5_li
    .private_segment_fixed_size: 0
    .sgpr_count:     24
    .sgpr_spill_count: 0
    .symbol:         _ZL32rocblas_syrkx_herkx_small_kernelIifLi16ELb1ELb0ELc78ELc76EKPKfKPfEviT_T0_PT6_S5_lS8_S5_lS6_PT7_S5_li.kd
    .uniform_work_group_size: 1
    .uses_dynamic_stack: false
    .vgpr_count:     28
    .vgpr_spill_count: 0
    .wavefront_size: 32
    .workgroup_processor_mode: 1
  - .args:
      - .offset:         0
        .size:           4
        .value_kind:     by_value
      - .offset:         4
        .size:           4
        .value_kind:     by_value
      - .offset:         8
        .size:           4
        .value_kind:     by_value
      - .address_space:  global
        .offset:         16
        .size:           8
        .value_kind:     global_buffer
      - .offset:         24
        .size:           4
        .value_kind:     by_value
      - .offset:         32
        .size:           8
        .value_kind:     by_value
      - .address_space:  global
        .offset:         40
        .size:           8
        .value_kind:     global_buffer
      - .offset:         48
        .size:           4
        .value_kind:     by_value
      - .offset:         56
        .size:           8
        .value_kind:     by_value
      - .offset:         64
        .size:           4
        .value_kind:     by_value
      - .address_space:  global
        .offset:         72
        .size:           8
        .value_kind:     global_buffer
      - .offset:         80
        .size:           4
        .value_kind:     by_value
      - .offset:         88
        .size:           8
        .value_kind:     by_value
      - .offset:         96
        .size:           4
        .value_kind:     by_value
    .group_segment_fixed_size: 2048
    .kernarg_segment_align: 8
    .kernarg_segment_size: 100
    .language:       OpenCL C
    .language_version:
      - 2
      - 0
    .max_flat_workgroup_size: 256
    .name:           _ZL32rocblas_syrkx_herkx_small_kernelIifLi16ELb1ELb0ELc84ELc85EKPKfKPfEviT_T0_PT6_S5_lS8_S5_lS6_PT7_S5_li
    .private_segment_fixed_size: 0
    .sgpr_count:     18
    .sgpr_spill_count: 0
    .symbol:         _ZL32rocblas_syrkx_herkx_small_kernelIifLi16ELb1ELb0ELc84ELc85EKPKfKPfEviT_T0_PT6_S5_lS8_S5_lS6_PT7_S5_li.kd
    .uniform_work_group_size: 1
    .uses_dynamic_stack: false
    .vgpr_count:     27
    .vgpr_spill_count: 0
    .wavefront_size: 32
    .workgroup_processor_mode: 1
  - .args:
      - .offset:         0
        .size:           4
        .value_kind:     by_value
      - .offset:         4
        .size:           4
        .value_kind:     by_value
      - .offset:         8
        .size:           4
        .value_kind:     by_value
      - .address_space:  global
        .offset:         16
        .size:           8
        .value_kind:     global_buffer
      - .offset:         24
        .size:           4
        .value_kind:     by_value
      - .offset:         32
        .size:           8
        .value_kind:     by_value
      - .address_space:  global
        .offset:         40
        .size:           8
        .value_kind:     global_buffer
      - .offset:         48
        .size:           4
        .value_kind:     by_value
      - .offset:         56
        .size:           8
        .value_kind:     by_value
      - .offset:         64
        .size:           4
        .value_kind:     by_value
      - .address_space:  global
        .offset:         72
        .size:           8
        .value_kind:     global_buffer
      - .offset:         80
        .size:           4
        .value_kind:     by_value
      - .offset:         88
        .size:           8
        .value_kind:     by_value
      - .offset:         96
        .size:           4
        .value_kind:     by_value
    .group_segment_fixed_size: 2048
    .kernarg_segment_align: 8
    .kernarg_segment_size: 100
    .language:       OpenCL C
    .language_version:
      - 2
      - 0
    .max_flat_workgroup_size: 256
    .name:           _ZL32rocblas_syrkx_herkx_small_kernelIifLi16ELb1ELb0ELc67ELc85EKPKfKPfEviT_T0_PT6_S5_lS8_S5_lS6_PT7_S5_li
    .private_segment_fixed_size: 0
    .sgpr_count:     18
    .sgpr_spill_count: 0
    .symbol:         _ZL32rocblas_syrkx_herkx_small_kernelIifLi16ELb1ELb0ELc67ELc85EKPKfKPfEviT_T0_PT6_S5_lS8_S5_lS6_PT7_S5_li.kd
    .uniform_work_group_size: 1
    .uses_dynamic_stack: false
    .vgpr_count:     27
    .vgpr_spill_count: 0
    .wavefront_size: 32
    .workgroup_processor_mode: 1
  - .args:
      - .offset:         0
        .size:           4
        .value_kind:     by_value
      - .offset:         4
        .size:           4
        .value_kind:     by_value
      - .offset:         8
        .size:           4
        .value_kind:     by_value
      - .address_space:  global
        .offset:         16
        .size:           8
        .value_kind:     global_buffer
      - .offset:         24
        .size:           4
        .value_kind:     by_value
      - .offset:         32
        .size:           8
        .value_kind:     by_value
      - .address_space:  global
        .offset:         40
        .size:           8
        .value_kind:     global_buffer
      - .offset:         48
        .size:           4
        .value_kind:     by_value
      - .offset:         56
        .size:           8
        .value_kind:     by_value
      - .offset:         64
        .size:           4
        .value_kind:     by_value
      - .address_space:  global
        .offset:         72
        .size:           8
        .value_kind:     global_buffer
      - .offset:         80
        .size:           4
        .value_kind:     by_value
      - .offset:         88
        .size:           8
        .value_kind:     by_value
      - .offset:         96
        .size:           4
        .value_kind:     by_value
    .group_segment_fixed_size: 2048
    .kernarg_segment_align: 8
    .kernarg_segment_size: 100
    .language:       OpenCL C
    .language_version:
      - 2
      - 0
    .max_flat_workgroup_size: 256
    .name:           _ZL32rocblas_syrkx_herkx_small_kernelIifLi16ELb1ELb0ELc78ELc85EKPKfKPfEviT_T0_PT6_S5_lS8_S5_lS6_PT7_S5_li
    .private_segment_fixed_size: 0
    .sgpr_count:     24
    .sgpr_spill_count: 0
    .symbol:         _ZL32rocblas_syrkx_herkx_small_kernelIifLi16ELb1ELb0ELc78ELc85EKPKfKPfEviT_T0_PT6_S5_lS8_S5_lS6_PT7_S5_li.kd
    .uniform_work_group_size: 1
    .uses_dynamic_stack: false
    .vgpr_count:     28
    .vgpr_spill_count: 0
    .wavefront_size: 32
    .workgroup_processor_mode: 1
  - .args:
      - .offset:         0
        .size:           4
        .value_kind:     by_value
      - .offset:         4
        .size:           4
        .value_kind:     by_value
      - .offset:         8
        .size:           4
        .value_kind:     by_value
      - .address_space:  global
        .offset:         16
        .size:           8
        .value_kind:     global_buffer
      - .offset:         24
        .size:           4
        .value_kind:     by_value
      - .offset:         32
        .size:           8
        .value_kind:     by_value
      - .address_space:  global
        .offset:         40
        .size:           8
        .value_kind:     global_buffer
      - .offset:         48
        .size:           4
        .value_kind:     by_value
      - .offset:         56
        .size:           8
        .value_kind:     by_value
      - .offset:         64
        .size:           4
        .value_kind:     by_value
      - .address_space:  global
        .offset:         72
        .size:           8
        .value_kind:     global_buffer
      - .offset:         80
        .size:           4
        .value_kind:     by_value
      - .offset:         88
        .size:           8
        .value_kind:     by_value
      - .offset:         96
        .size:           4
        .value_kind:     by_value
    .group_segment_fixed_size: 2048
    .kernarg_segment_align: 8
    .kernarg_segment_size: 100
    .language:       OpenCL C
    .language_version:
      - 2
      - 0
    .max_flat_workgroup_size: 256
    .name:           _ZL32rocblas_syrkx_herkx_small_kernelIifLi16ELb0ELb0ELc84ELc76EKPKfKPfEviT_T0_PT6_S5_lS8_S5_lS6_PT7_S5_li
    .private_segment_fixed_size: 0
    .sgpr_count:     18
    .sgpr_spill_count: 0
    .symbol:         _ZL32rocblas_syrkx_herkx_small_kernelIifLi16ELb0ELb0ELc84ELc76EKPKfKPfEviT_T0_PT6_S5_lS8_S5_lS6_PT7_S5_li.kd
    .uniform_work_group_size: 1
    .uses_dynamic_stack: false
    .vgpr_count:     27
    .vgpr_spill_count: 0
    .wavefront_size: 32
    .workgroup_processor_mode: 1
  - .args:
      - .offset:         0
        .size:           4
        .value_kind:     by_value
      - .offset:         4
        .size:           4
        .value_kind:     by_value
      - .offset:         8
        .size:           4
        .value_kind:     by_value
      - .address_space:  global
        .offset:         16
        .size:           8
        .value_kind:     global_buffer
      - .offset:         24
        .size:           4
        .value_kind:     by_value
      - .offset:         32
        .size:           8
        .value_kind:     by_value
      - .address_space:  global
        .offset:         40
        .size:           8
        .value_kind:     global_buffer
      - .offset:         48
        .size:           4
        .value_kind:     by_value
      - .offset:         56
        .size:           8
        .value_kind:     by_value
      - .offset:         64
        .size:           4
        .value_kind:     by_value
      - .address_space:  global
        .offset:         72
        .size:           8
        .value_kind:     global_buffer
      - .offset:         80
        .size:           4
        .value_kind:     by_value
      - .offset:         88
        .size:           8
        .value_kind:     by_value
      - .offset:         96
        .size:           4
        .value_kind:     by_value
    .group_segment_fixed_size: 2048
    .kernarg_segment_align: 8
    .kernarg_segment_size: 100
    .language:       OpenCL C
    .language_version:
      - 2
      - 0
    .max_flat_workgroup_size: 256
    .name:           _ZL32rocblas_syrkx_herkx_small_kernelIifLi16ELb0ELb0ELc67ELc76EKPKfKPfEviT_T0_PT6_S5_lS8_S5_lS6_PT7_S5_li
    .private_segment_fixed_size: 0
    .sgpr_count:     18
    .sgpr_spill_count: 0
    .symbol:         _ZL32rocblas_syrkx_herkx_small_kernelIifLi16ELb0ELb0ELc67ELc76EKPKfKPfEviT_T0_PT6_S5_lS8_S5_lS6_PT7_S5_li.kd
    .uniform_work_group_size: 1
    .uses_dynamic_stack: false
    .vgpr_count:     27
    .vgpr_spill_count: 0
    .wavefront_size: 32
    .workgroup_processor_mode: 1
  - .args:
      - .offset:         0
        .size:           4
        .value_kind:     by_value
      - .offset:         4
        .size:           4
        .value_kind:     by_value
      - .offset:         8
        .size:           4
        .value_kind:     by_value
      - .address_space:  global
        .offset:         16
        .size:           8
        .value_kind:     global_buffer
      - .offset:         24
        .size:           4
        .value_kind:     by_value
      - .offset:         32
        .size:           8
        .value_kind:     by_value
      - .address_space:  global
        .offset:         40
        .size:           8
        .value_kind:     global_buffer
      - .offset:         48
        .size:           4
        .value_kind:     by_value
      - .offset:         56
        .size:           8
        .value_kind:     by_value
      - .offset:         64
        .size:           4
        .value_kind:     by_value
      - .address_space:  global
        .offset:         72
        .size:           8
        .value_kind:     global_buffer
      - .offset:         80
        .size:           4
        .value_kind:     by_value
      - .offset:         88
        .size:           8
        .value_kind:     by_value
      - .offset:         96
        .size:           4
        .value_kind:     by_value
    .group_segment_fixed_size: 2048
    .kernarg_segment_align: 8
    .kernarg_segment_size: 100
    .language:       OpenCL C
    .language_version:
      - 2
      - 0
    .max_flat_workgroup_size: 256
    .name:           _ZL32rocblas_syrkx_herkx_small_kernelIifLi16ELb0ELb0ELc78ELc76EKPKfKPfEviT_T0_PT6_S5_lS8_S5_lS6_PT7_S5_li
    .private_segment_fixed_size: 0
    .sgpr_count:     24
    .sgpr_spill_count: 0
    .symbol:         _ZL32rocblas_syrkx_herkx_small_kernelIifLi16ELb0ELb0ELc78ELc76EKPKfKPfEviT_T0_PT6_S5_lS8_S5_lS6_PT7_S5_li.kd
    .uniform_work_group_size: 1
    .uses_dynamic_stack: false
    .vgpr_count:     28
    .vgpr_spill_count: 0
    .wavefront_size: 32
    .workgroup_processor_mode: 1
  - .args:
      - .offset:         0
        .size:           4
        .value_kind:     by_value
      - .offset:         4
        .size:           4
        .value_kind:     by_value
      - .offset:         8
        .size:           4
        .value_kind:     by_value
      - .address_space:  global
        .offset:         16
        .size:           8
        .value_kind:     global_buffer
      - .offset:         24
        .size:           4
        .value_kind:     by_value
      - .offset:         32
        .size:           8
        .value_kind:     by_value
      - .address_space:  global
        .offset:         40
        .size:           8
        .value_kind:     global_buffer
      - .offset:         48
        .size:           4
        .value_kind:     by_value
      - .offset:         56
        .size:           8
        .value_kind:     by_value
      - .offset:         64
        .size:           4
        .value_kind:     by_value
      - .address_space:  global
        .offset:         72
        .size:           8
        .value_kind:     global_buffer
      - .offset:         80
        .size:           4
        .value_kind:     by_value
      - .offset:         88
        .size:           8
        .value_kind:     by_value
      - .offset:         96
        .size:           4
        .value_kind:     by_value
    .group_segment_fixed_size: 2048
    .kernarg_segment_align: 8
    .kernarg_segment_size: 100
    .language:       OpenCL C
    .language_version:
      - 2
      - 0
    .max_flat_workgroup_size: 256
    .name:           _ZL32rocblas_syrkx_herkx_small_kernelIifLi16ELb0ELb0ELc84ELc85EKPKfKPfEviT_T0_PT6_S5_lS8_S5_lS6_PT7_S5_li
    .private_segment_fixed_size: 0
    .sgpr_count:     18
    .sgpr_spill_count: 0
    .symbol:         _ZL32rocblas_syrkx_herkx_small_kernelIifLi16ELb0ELb0ELc84ELc85EKPKfKPfEviT_T0_PT6_S5_lS8_S5_lS6_PT7_S5_li.kd
    .uniform_work_group_size: 1
    .uses_dynamic_stack: false
    .vgpr_count:     27
    .vgpr_spill_count: 0
    .wavefront_size: 32
    .workgroup_processor_mode: 1
  - .args:
      - .offset:         0
        .size:           4
        .value_kind:     by_value
      - .offset:         4
        .size:           4
        .value_kind:     by_value
      - .offset:         8
        .size:           4
        .value_kind:     by_value
      - .address_space:  global
        .offset:         16
        .size:           8
        .value_kind:     global_buffer
      - .offset:         24
        .size:           4
        .value_kind:     by_value
      - .offset:         32
        .size:           8
        .value_kind:     by_value
      - .address_space:  global
        .offset:         40
        .size:           8
        .value_kind:     global_buffer
      - .offset:         48
        .size:           4
        .value_kind:     by_value
      - .offset:         56
        .size:           8
        .value_kind:     by_value
      - .offset:         64
        .size:           4
        .value_kind:     by_value
      - .address_space:  global
        .offset:         72
        .size:           8
        .value_kind:     global_buffer
      - .offset:         80
        .size:           4
        .value_kind:     by_value
      - .offset:         88
        .size:           8
        .value_kind:     by_value
      - .offset:         96
        .size:           4
        .value_kind:     by_value
    .group_segment_fixed_size: 2048
    .kernarg_segment_align: 8
    .kernarg_segment_size: 100
    .language:       OpenCL C
    .language_version:
      - 2
      - 0
    .max_flat_workgroup_size: 256
    .name:           _ZL32rocblas_syrkx_herkx_small_kernelIifLi16ELb0ELb0ELc67ELc85EKPKfKPfEviT_T0_PT6_S5_lS8_S5_lS6_PT7_S5_li
    .private_segment_fixed_size: 0
    .sgpr_count:     18
    .sgpr_spill_count: 0
    .symbol:         _ZL32rocblas_syrkx_herkx_small_kernelIifLi16ELb0ELb0ELc67ELc85EKPKfKPfEviT_T0_PT6_S5_lS8_S5_lS6_PT7_S5_li.kd
    .uniform_work_group_size: 1
    .uses_dynamic_stack: false
    .vgpr_count:     27
    .vgpr_spill_count: 0
    .wavefront_size: 32
    .workgroup_processor_mode: 1
  - .args:
      - .offset:         0
        .size:           4
        .value_kind:     by_value
      - .offset:         4
        .size:           4
        .value_kind:     by_value
      - .offset:         8
        .size:           4
        .value_kind:     by_value
      - .address_space:  global
        .offset:         16
        .size:           8
        .value_kind:     global_buffer
      - .offset:         24
        .size:           4
        .value_kind:     by_value
      - .offset:         32
        .size:           8
        .value_kind:     by_value
      - .address_space:  global
        .offset:         40
        .size:           8
        .value_kind:     global_buffer
      - .offset:         48
        .size:           4
        .value_kind:     by_value
      - .offset:         56
        .size:           8
        .value_kind:     by_value
      - .offset:         64
        .size:           4
        .value_kind:     by_value
      - .address_space:  global
        .offset:         72
        .size:           8
        .value_kind:     global_buffer
      - .offset:         80
        .size:           4
        .value_kind:     by_value
      - .offset:         88
        .size:           8
        .value_kind:     by_value
      - .offset:         96
        .size:           4
        .value_kind:     by_value
    .group_segment_fixed_size: 2048
    .kernarg_segment_align: 8
    .kernarg_segment_size: 100
    .language:       OpenCL C
    .language_version:
      - 2
      - 0
    .max_flat_workgroup_size: 256
    .name:           _ZL32rocblas_syrkx_herkx_small_kernelIifLi16ELb0ELb0ELc78ELc85EKPKfKPfEviT_T0_PT6_S5_lS8_S5_lS6_PT7_S5_li
    .private_segment_fixed_size: 0
    .sgpr_count:     24
    .sgpr_spill_count: 0
    .symbol:         _ZL32rocblas_syrkx_herkx_small_kernelIifLi16ELb0ELb0ELc78ELc85EKPKfKPfEviT_T0_PT6_S5_lS8_S5_lS6_PT7_S5_li.kd
    .uniform_work_group_size: 1
    .uses_dynamic_stack: false
    .vgpr_count:     28
    .vgpr_spill_count: 0
    .wavefront_size: 32
    .workgroup_processor_mode: 1
  - .args:
      - .offset:         0
        .size:           4
        .value_kind:     by_value
      - .offset:         4
        .size:           4
        .value_kind:     by_value
      - .offset:         8
        .size:           4
        .value_kind:     by_value
      - .address_space:  global
        .offset:         16
        .size:           8
        .value_kind:     global_buffer
      - .offset:         24
        .size:           4
        .value_kind:     by_value
      - .offset:         32
        .size:           8
        .value_kind:     by_value
      - .address_space:  global
        .offset:         40
        .size:           8
        .value_kind:     global_buffer
      - .offset:         48
        .size:           4
        .value_kind:     by_value
      - .offset:         56
        .size:           8
        .value_kind:     by_value
      - .offset:         64
        .size:           4
        .value_kind:     by_value
      - .address_space:  global
        .offset:         72
        .size:           8
        .value_kind:     global_buffer
      - .offset:         80
        .size:           4
        .value_kind:     by_value
      - .offset:         88
        .size:           8
        .value_kind:     by_value
      - .offset:         96
        .size:           4
        .value_kind:     by_value
    .group_segment_fixed_size: 2048
    .kernarg_segment_align: 8
    .kernarg_segment_size: 100
    .language:       OpenCL C
    .language_version:
      - 2
      - 0
    .max_flat_workgroup_size: 256
    .name:           _ZL34rocblas_syrkx_herkx_general_kernelIifLi16ELi32ELi8ELb1ELb0ELc84ELc76EKPKfKPfEviT_T0_PT8_S5_lS8_S5_lS6_PT9_S5_li
    .private_segment_fixed_size: 0
    .sgpr_count:     20
    .sgpr_spill_count: 0
    .symbol:         _ZL34rocblas_syrkx_herkx_general_kernelIifLi16ELi32ELi8ELb1ELb0ELc84ELc76EKPKfKPfEviT_T0_PT8_S5_lS8_S5_lS6_PT9_S5_li.kd
    .uniform_work_group_size: 1
    .uses_dynamic_stack: false
    .vgpr_count:     42
    .vgpr_spill_count: 0
    .wavefront_size: 32
    .workgroup_processor_mode: 1
  - .args:
      - .offset:         0
        .size:           4
        .value_kind:     by_value
      - .offset:         4
        .size:           4
        .value_kind:     by_value
      - .offset:         8
        .size:           4
        .value_kind:     by_value
      - .address_space:  global
        .offset:         16
        .size:           8
        .value_kind:     global_buffer
      - .offset:         24
        .size:           4
        .value_kind:     by_value
      - .offset:         32
        .size:           8
        .value_kind:     by_value
      - .address_space:  global
        .offset:         40
        .size:           8
        .value_kind:     global_buffer
      - .offset:         48
        .size:           4
        .value_kind:     by_value
      - .offset:         56
        .size:           8
        .value_kind:     by_value
      - .offset:         64
        .size:           4
        .value_kind:     by_value
      - .address_space:  global
        .offset:         72
        .size:           8
        .value_kind:     global_buffer
      - .offset:         80
        .size:           4
        .value_kind:     by_value
      - .offset:         88
        .size:           8
        .value_kind:     by_value
      - .offset:         96
        .size:           4
        .value_kind:     by_value
    .group_segment_fixed_size: 2048
    .kernarg_segment_align: 8
    .kernarg_segment_size: 100
    .language:       OpenCL C
    .language_version:
      - 2
      - 0
    .max_flat_workgroup_size: 256
    .name:           _ZL34rocblas_syrkx_herkx_general_kernelIifLi16ELi32ELi8ELb1ELb0ELc67ELc76EKPKfKPfEviT_T0_PT8_S5_lS8_S5_lS6_PT9_S5_li
    .private_segment_fixed_size: 0
    .sgpr_count:     20
    .sgpr_spill_count: 0
    .symbol:         _ZL34rocblas_syrkx_herkx_general_kernelIifLi16ELi32ELi8ELb1ELb0ELc67ELc76EKPKfKPfEviT_T0_PT8_S5_lS8_S5_lS6_PT9_S5_li.kd
    .uniform_work_group_size: 1
    .uses_dynamic_stack: false
    .vgpr_count:     42
    .vgpr_spill_count: 0
    .wavefront_size: 32
    .workgroup_processor_mode: 1
  - .args:
      - .offset:         0
        .size:           4
        .value_kind:     by_value
      - .offset:         4
        .size:           4
        .value_kind:     by_value
      - .offset:         8
        .size:           4
        .value_kind:     by_value
      - .address_space:  global
        .offset:         16
        .size:           8
        .value_kind:     global_buffer
      - .offset:         24
        .size:           4
        .value_kind:     by_value
      - .offset:         32
        .size:           8
        .value_kind:     by_value
      - .address_space:  global
        .offset:         40
        .size:           8
        .value_kind:     global_buffer
      - .offset:         48
        .size:           4
        .value_kind:     by_value
      - .offset:         56
        .size:           8
        .value_kind:     by_value
      - .offset:         64
        .size:           4
        .value_kind:     by_value
      - .address_space:  global
        .offset:         72
        .size:           8
        .value_kind:     global_buffer
      - .offset:         80
        .size:           4
        .value_kind:     by_value
      - .offset:         88
        .size:           8
        .value_kind:     by_value
      - .offset:         96
        .size:           4
        .value_kind:     by_value
    .group_segment_fixed_size: 2048
    .kernarg_segment_align: 8
    .kernarg_segment_size: 100
    .language:       OpenCL C
    .language_version:
      - 2
      - 0
    .max_flat_workgroup_size: 256
    .name:           _ZL34rocblas_syrkx_herkx_general_kernelIifLi16ELi32ELi8ELb1ELb0ELc78ELc76EKPKfKPfEviT_T0_PT8_S5_lS8_S5_lS6_PT9_S5_li
    .private_segment_fixed_size: 0
    .sgpr_count:     22
    .sgpr_spill_count: 0
    .symbol:         _ZL34rocblas_syrkx_herkx_general_kernelIifLi16ELi32ELi8ELb1ELb0ELc78ELc76EKPKfKPfEviT_T0_PT8_S5_lS8_S5_lS6_PT9_S5_li.kd
    .uniform_work_group_size: 1
    .uses_dynamic_stack: false
    .vgpr_count:     42
    .vgpr_spill_count: 0
    .wavefront_size: 32
    .workgroup_processor_mode: 1
  - .args:
      - .offset:         0
        .size:           4
        .value_kind:     by_value
      - .offset:         4
        .size:           4
        .value_kind:     by_value
      - .offset:         8
        .size:           4
        .value_kind:     by_value
      - .address_space:  global
        .offset:         16
        .size:           8
        .value_kind:     global_buffer
      - .offset:         24
        .size:           4
        .value_kind:     by_value
      - .offset:         32
        .size:           8
        .value_kind:     by_value
      - .address_space:  global
        .offset:         40
        .size:           8
        .value_kind:     global_buffer
      - .offset:         48
        .size:           4
        .value_kind:     by_value
      - .offset:         56
        .size:           8
        .value_kind:     by_value
      - .offset:         64
        .size:           4
        .value_kind:     by_value
      - .address_space:  global
        .offset:         72
        .size:           8
        .value_kind:     global_buffer
      - .offset:         80
        .size:           4
        .value_kind:     by_value
      - .offset:         88
        .size:           8
        .value_kind:     by_value
      - .offset:         96
        .size:           4
        .value_kind:     by_value
    .group_segment_fixed_size: 2048
    .kernarg_segment_align: 8
    .kernarg_segment_size: 100
    .language:       OpenCL C
    .language_version:
      - 2
      - 0
    .max_flat_workgroup_size: 256
    .name:           _ZL34rocblas_syrkx_herkx_general_kernelIifLi16ELi32ELi8ELb1ELb0ELc84ELc85EKPKfKPfEviT_T0_PT8_S5_lS8_S5_lS6_PT9_S5_li
    .private_segment_fixed_size: 0
    .sgpr_count:     20
    .sgpr_spill_count: 0
    .symbol:         _ZL34rocblas_syrkx_herkx_general_kernelIifLi16ELi32ELi8ELb1ELb0ELc84ELc85EKPKfKPfEviT_T0_PT8_S5_lS8_S5_lS6_PT9_S5_li.kd
    .uniform_work_group_size: 1
    .uses_dynamic_stack: false
    .vgpr_count:     42
    .vgpr_spill_count: 0
    .wavefront_size: 32
    .workgroup_processor_mode: 1
  - .args:
      - .offset:         0
        .size:           4
        .value_kind:     by_value
      - .offset:         4
        .size:           4
        .value_kind:     by_value
      - .offset:         8
        .size:           4
        .value_kind:     by_value
      - .address_space:  global
        .offset:         16
        .size:           8
        .value_kind:     global_buffer
      - .offset:         24
        .size:           4
        .value_kind:     by_value
      - .offset:         32
        .size:           8
        .value_kind:     by_value
      - .address_space:  global
        .offset:         40
        .size:           8
        .value_kind:     global_buffer
      - .offset:         48
        .size:           4
        .value_kind:     by_value
      - .offset:         56
        .size:           8
        .value_kind:     by_value
      - .offset:         64
        .size:           4
        .value_kind:     by_value
      - .address_space:  global
        .offset:         72
        .size:           8
        .value_kind:     global_buffer
      - .offset:         80
        .size:           4
        .value_kind:     by_value
      - .offset:         88
        .size:           8
        .value_kind:     by_value
      - .offset:         96
        .size:           4
        .value_kind:     by_value
    .group_segment_fixed_size: 2048
    .kernarg_segment_align: 8
    .kernarg_segment_size: 100
    .language:       OpenCL C
    .language_version:
      - 2
      - 0
    .max_flat_workgroup_size: 256
    .name:           _ZL34rocblas_syrkx_herkx_general_kernelIifLi16ELi32ELi8ELb1ELb0ELc67ELc85EKPKfKPfEviT_T0_PT8_S5_lS8_S5_lS6_PT9_S5_li
    .private_segment_fixed_size: 0
    .sgpr_count:     20
    .sgpr_spill_count: 0
    .symbol:         _ZL34rocblas_syrkx_herkx_general_kernelIifLi16ELi32ELi8ELb1ELb0ELc67ELc85EKPKfKPfEviT_T0_PT8_S5_lS8_S5_lS6_PT9_S5_li.kd
    .uniform_work_group_size: 1
    .uses_dynamic_stack: false
    .vgpr_count:     42
    .vgpr_spill_count: 0
    .wavefront_size: 32
    .workgroup_processor_mode: 1
  - .args:
      - .offset:         0
        .size:           4
        .value_kind:     by_value
      - .offset:         4
        .size:           4
        .value_kind:     by_value
      - .offset:         8
        .size:           4
        .value_kind:     by_value
      - .address_space:  global
        .offset:         16
        .size:           8
        .value_kind:     global_buffer
      - .offset:         24
        .size:           4
        .value_kind:     by_value
      - .offset:         32
        .size:           8
        .value_kind:     by_value
      - .address_space:  global
        .offset:         40
        .size:           8
        .value_kind:     global_buffer
      - .offset:         48
        .size:           4
        .value_kind:     by_value
      - .offset:         56
        .size:           8
        .value_kind:     by_value
      - .offset:         64
        .size:           4
        .value_kind:     by_value
      - .address_space:  global
        .offset:         72
        .size:           8
        .value_kind:     global_buffer
      - .offset:         80
        .size:           4
        .value_kind:     by_value
      - .offset:         88
        .size:           8
        .value_kind:     by_value
      - .offset:         96
        .size:           4
        .value_kind:     by_value
    .group_segment_fixed_size: 2048
    .kernarg_segment_align: 8
    .kernarg_segment_size: 100
    .language:       OpenCL C
    .language_version:
      - 2
      - 0
    .max_flat_workgroup_size: 256
    .name:           _ZL34rocblas_syrkx_herkx_general_kernelIifLi16ELi32ELi8ELb1ELb0ELc78ELc85EKPKfKPfEviT_T0_PT8_S5_lS8_S5_lS6_PT9_S5_li
    .private_segment_fixed_size: 0
    .sgpr_count:     22
    .sgpr_spill_count: 0
    .symbol:         _ZL34rocblas_syrkx_herkx_general_kernelIifLi16ELi32ELi8ELb1ELb0ELc78ELc85EKPKfKPfEviT_T0_PT8_S5_lS8_S5_lS6_PT9_S5_li.kd
    .uniform_work_group_size: 1
    .uses_dynamic_stack: false
    .vgpr_count:     42
    .vgpr_spill_count: 0
    .wavefront_size: 32
    .workgroup_processor_mode: 1
  - .args:
      - .offset:         0
        .size:           4
        .value_kind:     by_value
      - .offset:         4
        .size:           4
        .value_kind:     by_value
      - .offset:         8
        .size:           4
        .value_kind:     by_value
      - .address_space:  global
        .offset:         16
        .size:           8
        .value_kind:     global_buffer
      - .offset:         24
        .size:           4
        .value_kind:     by_value
      - .offset:         32
        .size:           8
        .value_kind:     by_value
      - .address_space:  global
        .offset:         40
        .size:           8
        .value_kind:     global_buffer
      - .offset:         48
        .size:           4
        .value_kind:     by_value
      - .offset:         56
        .size:           8
        .value_kind:     by_value
      - .offset:         64
        .size:           4
        .value_kind:     by_value
      - .address_space:  global
        .offset:         72
        .size:           8
        .value_kind:     global_buffer
      - .offset:         80
        .size:           4
        .value_kind:     by_value
      - .offset:         88
        .size:           8
        .value_kind:     by_value
      - .offset:         96
        .size:           4
        .value_kind:     by_value
    .group_segment_fixed_size: 2048
    .kernarg_segment_align: 8
    .kernarg_segment_size: 100
    .language:       OpenCL C
    .language_version:
      - 2
      - 0
    .max_flat_workgroup_size: 256
    .name:           _ZL34rocblas_syrkx_herkx_general_kernelIifLi16ELi32ELi8ELb0ELb0ELc84ELc76EKPKfKPfEviT_T0_PT8_S5_lS8_S5_lS6_PT9_S5_li
    .private_segment_fixed_size: 0
    .sgpr_count:     20
    .sgpr_spill_count: 0
    .symbol:         _ZL34rocblas_syrkx_herkx_general_kernelIifLi16ELi32ELi8ELb0ELb0ELc84ELc76EKPKfKPfEviT_T0_PT8_S5_lS8_S5_lS6_PT9_S5_li.kd
    .uniform_work_group_size: 1
    .uses_dynamic_stack: false
    .vgpr_count:     42
    .vgpr_spill_count: 0
    .wavefront_size: 32
    .workgroup_processor_mode: 1
  - .args:
      - .offset:         0
        .size:           4
        .value_kind:     by_value
      - .offset:         4
        .size:           4
        .value_kind:     by_value
      - .offset:         8
        .size:           4
        .value_kind:     by_value
      - .address_space:  global
        .offset:         16
        .size:           8
        .value_kind:     global_buffer
      - .offset:         24
        .size:           4
        .value_kind:     by_value
      - .offset:         32
        .size:           8
        .value_kind:     by_value
      - .address_space:  global
        .offset:         40
        .size:           8
        .value_kind:     global_buffer
      - .offset:         48
        .size:           4
        .value_kind:     by_value
      - .offset:         56
        .size:           8
        .value_kind:     by_value
      - .offset:         64
        .size:           4
        .value_kind:     by_value
      - .address_space:  global
        .offset:         72
        .size:           8
        .value_kind:     global_buffer
      - .offset:         80
        .size:           4
        .value_kind:     by_value
      - .offset:         88
        .size:           8
        .value_kind:     by_value
      - .offset:         96
        .size:           4
        .value_kind:     by_value
    .group_segment_fixed_size: 2048
    .kernarg_segment_align: 8
    .kernarg_segment_size: 100
    .language:       OpenCL C
    .language_version:
      - 2
      - 0
    .max_flat_workgroup_size: 256
    .name:           _ZL34rocblas_syrkx_herkx_general_kernelIifLi16ELi32ELi8ELb0ELb0ELc67ELc76EKPKfKPfEviT_T0_PT8_S5_lS8_S5_lS6_PT9_S5_li
    .private_segment_fixed_size: 0
    .sgpr_count:     20
    .sgpr_spill_count: 0
    .symbol:         _ZL34rocblas_syrkx_herkx_general_kernelIifLi16ELi32ELi8ELb0ELb0ELc67ELc76EKPKfKPfEviT_T0_PT8_S5_lS8_S5_lS6_PT9_S5_li.kd
    .uniform_work_group_size: 1
    .uses_dynamic_stack: false
    .vgpr_count:     42
    .vgpr_spill_count: 0
    .wavefront_size: 32
    .workgroup_processor_mode: 1
  - .args:
      - .offset:         0
        .size:           4
        .value_kind:     by_value
      - .offset:         4
        .size:           4
        .value_kind:     by_value
      - .offset:         8
        .size:           4
        .value_kind:     by_value
      - .address_space:  global
        .offset:         16
        .size:           8
        .value_kind:     global_buffer
      - .offset:         24
        .size:           4
        .value_kind:     by_value
      - .offset:         32
        .size:           8
        .value_kind:     by_value
      - .address_space:  global
        .offset:         40
        .size:           8
        .value_kind:     global_buffer
      - .offset:         48
        .size:           4
        .value_kind:     by_value
      - .offset:         56
        .size:           8
        .value_kind:     by_value
      - .offset:         64
        .size:           4
        .value_kind:     by_value
      - .address_space:  global
        .offset:         72
        .size:           8
        .value_kind:     global_buffer
      - .offset:         80
        .size:           4
        .value_kind:     by_value
      - .offset:         88
        .size:           8
        .value_kind:     by_value
      - .offset:         96
        .size:           4
        .value_kind:     by_value
    .group_segment_fixed_size: 2048
    .kernarg_segment_align: 8
    .kernarg_segment_size: 100
    .language:       OpenCL C
    .language_version:
      - 2
      - 0
    .max_flat_workgroup_size: 256
    .name:           _ZL34rocblas_syrkx_herkx_general_kernelIifLi16ELi32ELi8ELb0ELb0ELc78ELc76EKPKfKPfEviT_T0_PT8_S5_lS8_S5_lS6_PT9_S5_li
    .private_segment_fixed_size: 0
    .sgpr_count:     22
    .sgpr_spill_count: 0
    .symbol:         _ZL34rocblas_syrkx_herkx_general_kernelIifLi16ELi32ELi8ELb0ELb0ELc78ELc76EKPKfKPfEviT_T0_PT8_S5_lS8_S5_lS6_PT9_S5_li.kd
    .uniform_work_group_size: 1
    .uses_dynamic_stack: false
    .vgpr_count:     42
    .vgpr_spill_count: 0
    .wavefront_size: 32
    .workgroup_processor_mode: 1
  - .args:
      - .offset:         0
        .size:           4
        .value_kind:     by_value
      - .offset:         4
        .size:           4
        .value_kind:     by_value
      - .offset:         8
        .size:           4
        .value_kind:     by_value
      - .address_space:  global
        .offset:         16
        .size:           8
        .value_kind:     global_buffer
      - .offset:         24
        .size:           4
        .value_kind:     by_value
      - .offset:         32
        .size:           8
        .value_kind:     by_value
      - .address_space:  global
        .offset:         40
        .size:           8
        .value_kind:     global_buffer
      - .offset:         48
        .size:           4
        .value_kind:     by_value
      - .offset:         56
        .size:           8
        .value_kind:     by_value
      - .offset:         64
        .size:           4
        .value_kind:     by_value
      - .address_space:  global
        .offset:         72
        .size:           8
        .value_kind:     global_buffer
      - .offset:         80
        .size:           4
        .value_kind:     by_value
      - .offset:         88
        .size:           8
        .value_kind:     by_value
      - .offset:         96
        .size:           4
        .value_kind:     by_value
    .group_segment_fixed_size: 2048
    .kernarg_segment_align: 8
    .kernarg_segment_size: 100
    .language:       OpenCL C
    .language_version:
      - 2
      - 0
    .max_flat_workgroup_size: 256
    .name:           _ZL34rocblas_syrkx_herkx_general_kernelIifLi16ELi32ELi8ELb0ELb0ELc84ELc85EKPKfKPfEviT_T0_PT8_S5_lS8_S5_lS6_PT9_S5_li
    .private_segment_fixed_size: 0
    .sgpr_count:     20
    .sgpr_spill_count: 0
    .symbol:         _ZL34rocblas_syrkx_herkx_general_kernelIifLi16ELi32ELi8ELb0ELb0ELc84ELc85EKPKfKPfEviT_T0_PT8_S5_lS8_S5_lS6_PT9_S5_li.kd
    .uniform_work_group_size: 1
    .uses_dynamic_stack: false
    .vgpr_count:     42
    .vgpr_spill_count: 0
    .wavefront_size: 32
    .workgroup_processor_mode: 1
  - .args:
      - .offset:         0
        .size:           4
        .value_kind:     by_value
      - .offset:         4
        .size:           4
        .value_kind:     by_value
      - .offset:         8
        .size:           4
        .value_kind:     by_value
      - .address_space:  global
        .offset:         16
        .size:           8
        .value_kind:     global_buffer
      - .offset:         24
        .size:           4
        .value_kind:     by_value
      - .offset:         32
        .size:           8
        .value_kind:     by_value
      - .address_space:  global
        .offset:         40
        .size:           8
        .value_kind:     global_buffer
      - .offset:         48
        .size:           4
        .value_kind:     by_value
      - .offset:         56
        .size:           8
        .value_kind:     by_value
      - .offset:         64
        .size:           4
        .value_kind:     by_value
      - .address_space:  global
        .offset:         72
        .size:           8
        .value_kind:     global_buffer
      - .offset:         80
        .size:           4
        .value_kind:     by_value
      - .offset:         88
        .size:           8
        .value_kind:     by_value
      - .offset:         96
        .size:           4
        .value_kind:     by_value
    .group_segment_fixed_size: 2048
    .kernarg_segment_align: 8
    .kernarg_segment_size: 100
    .language:       OpenCL C
    .language_version:
      - 2
      - 0
    .max_flat_workgroup_size: 256
    .name:           _ZL34rocblas_syrkx_herkx_general_kernelIifLi16ELi32ELi8ELb0ELb0ELc67ELc85EKPKfKPfEviT_T0_PT8_S5_lS8_S5_lS6_PT9_S5_li
    .private_segment_fixed_size: 0
    .sgpr_count:     20
    .sgpr_spill_count: 0
    .symbol:         _ZL34rocblas_syrkx_herkx_general_kernelIifLi16ELi32ELi8ELb0ELb0ELc67ELc85EKPKfKPfEviT_T0_PT8_S5_lS8_S5_lS6_PT9_S5_li.kd
    .uniform_work_group_size: 1
    .uses_dynamic_stack: false
    .vgpr_count:     42
    .vgpr_spill_count: 0
    .wavefront_size: 32
    .workgroup_processor_mode: 1
  - .args:
      - .offset:         0
        .size:           4
        .value_kind:     by_value
      - .offset:         4
        .size:           4
        .value_kind:     by_value
      - .offset:         8
        .size:           4
        .value_kind:     by_value
      - .address_space:  global
        .offset:         16
        .size:           8
        .value_kind:     global_buffer
      - .offset:         24
        .size:           4
        .value_kind:     by_value
      - .offset:         32
        .size:           8
        .value_kind:     by_value
      - .address_space:  global
        .offset:         40
        .size:           8
        .value_kind:     global_buffer
      - .offset:         48
        .size:           4
        .value_kind:     by_value
      - .offset:         56
        .size:           8
        .value_kind:     by_value
      - .offset:         64
        .size:           4
        .value_kind:     by_value
      - .address_space:  global
        .offset:         72
        .size:           8
        .value_kind:     global_buffer
      - .offset:         80
        .size:           4
        .value_kind:     by_value
      - .offset:         88
        .size:           8
        .value_kind:     by_value
      - .offset:         96
        .size:           4
        .value_kind:     by_value
    .group_segment_fixed_size: 2048
    .kernarg_segment_align: 8
    .kernarg_segment_size: 100
    .language:       OpenCL C
    .language_version:
      - 2
      - 0
    .max_flat_workgroup_size: 256
    .name:           _ZL34rocblas_syrkx_herkx_general_kernelIifLi16ELi32ELi8ELb0ELb0ELc78ELc85EKPKfKPfEviT_T0_PT8_S5_lS8_S5_lS6_PT9_S5_li
    .private_segment_fixed_size: 0
    .sgpr_count:     22
    .sgpr_spill_count: 0
    .symbol:         _ZL34rocblas_syrkx_herkx_general_kernelIifLi16ELi32ELi8ELb0ELb0ELc78ELc85EKPKfKPfEviT_T0_PT8_S5_lS8_S5_lS6_PT9_S5_li.kd
    .uniform_work_group_size: 1
    .uses_dynamic_stack: false
    .vgpr_count:     42
    .vgpr_spill_count: 0
    .wavefront_size: 32
    .workgroup_processor_mode: 1
  - .args:
      - .offset:         0
        .size:           1
        .value_kind:     by_value
      - .offset:         4
        .size:           4
        .value_kind:     by_value
      - .offset:         8
        .size:           4
        .value_kind:     by_value
      - .offset:         12
        .size:           4
        .value_kind:     by_value
      - .offset:         16
        .size:           4
        .value_kind:     by_value
      - .address_space:  global
        .offset:         24
        .size:           8
        .value_kind:     global_buffer
      - .offset:         32
        .size:           4
        .value_kind:     by_value
      - .offset:         40
        .size:           8
        .value_kind:     by_value
      - .offset:         48
        .size:           4
        .value_kind:     by_value
      - .offset:         56
        .size:           4
        .value_kind:     hidden_block_count_x
      - .offset:         60
        .size:           4
        .value_kind:     hidden_block_count_y
      - .offset:         64
        .size:           4
        .value_kind:     hidden_block_count_z
      - .offset:         68
        .size:           2
        .value_kind:     hidden_group_size_x
      - .offset:         70
        .size:           2
        .value_kind:     hidden_group_size_y
      - .offset:         72
        .size:           2
        .value_kind:     hidden_group_size_z
      - .offset:         74
        .size:           2
        .value_kind:     hidden_remainder_x
      - .offset:         76
        .size:           2
        .value_kind:     hidden_remainder_y
      - .offset:         78
        .size:           2
        .value_kind:     hidden_remainder_z
      - .offset:         96
        .size:           8
        .value_kind:     hidden_global_offset_x
      - .offset:         104
        .size:           8
        .value_kind:     hidden_global_offset_y
      - .offset:         112
        .size:           8
        .value_kind:     hidden_global_offset_z
      - .offset:         120
        .size:           2
        .value_kind:     hidden_grid_dims
    .group_segment_fixed_size: 0
    .kernarg_segment_align: 8
    .kernarg_segment_size: 312
    .language:       OpenCL C
    .language_version:
      - 2
      - 0
    .max_flat_workgroup_size: 1024
    .name:           _ZL26rocblas_syr2k_scale_kernelIiLi128ELi8ELb0EffPKPfEvbiT_T3_T4_T5_S3_li
    .private_segment_fixed_size: 0
    .sgpr_count:     18
    .sgpr_spill_count: 0
    .symbol:         _ZL26rocblas_syr2k_scale_kernelIiLi128ELi8ELb0EffPKPfEvbiT_T3_T4_T5_S3_li.kd
    .uniform_work_group_size: 1
    .uses_dynamic_stack: false
    .vgpr_count:     6
    .vgpr_spill_count: 0
    .wavefront_size: 32
    .workgroup_processor_mode: 1
  - .args:
      - .offset:         0
        .size:           1
        .value_kind:     by_value
      - .offset:         4
        .size:           4
        .value_kind:     by_value
      - .offset:         8
        .size:           4
        .value_kind:     by_value
      - .address_space:  global
        .offset:         16
        .size:           8
        .value_kind:     global_buffer
      - .address_space:  global
        .offset:         24
        .size:           8
        .value_kind:     global_buffer
      - .offset:         32
        .size:           4
        .value_kind:     by_value
      - .offset:         40
        .size:           8
        .value_kind:     by_value
      - .address_space:  global
        .offset:         48
        .size:           8
        .value_kind:     global_buffer
      - .offset:         56
        .size:           4
        .value_kind:     by_value
      - .offset:         64
        .size:           8
        .value_kind:     by_value
      - .address_space:  global
        .offset:         72
        .size:           8
        .value_kind:     global_buffer
      - .offset:         80
        .size:           4
        .value_kind:     by_value
      - .offset:         88
        .size:           8
        .value_kind:     by_value
      - .offset:         96
        .size:           4
        .value_kind:     by_value
    .group_segment_fixed_size: 8192
    .kernarg_segment_align: 8
    .kernarg_segment_size: 100
    .language:       OpenCL C
    .language_version:
      - 2
      - 0
    .max_flat_workgroup_size: 1024
    .name:           _ZL26rocblas_syr2k_her2k_kernelIiLb0ELb0ELb0ELi32EPKfPKS1_PKPfEvbiT_T4_T5_S7_lS9_S7_lT6_S7_li
    .private_segment_fixed_size: 0
    .sgpr_count:     28
    .sgpr_spill_count: 0
    .symbol:         _ZL26rocblas_syr2k_her2k_kernelIiLb0ELb0ELb0ELi32EPKfPKS1_PKPfEvbiT_T4_T5_S7_lS9_S7_lT6_S7_li.kd
    .uniform_work_group_size: 1
    .uses_dynamic_stack: false
    .vgpr_count:     31
    .vgpr_spill_count: 0
    .wavefront_size: 32
    .workgroup_processor_mode: 1
  - .args:
      - .offset:         0
        .size:           1
        .value_kind:     by_value
      - .offset:         4
        .size:           4
        .value_kind:     by_value
      - .offset:         8
        .size:           4
        .value_kind:     by_value
      - .address_space:  global
        .offset:         16
        .size:           8
        .value_kind:     global_buffer
      - .address_space:  global
        .offset:         24
        .size:           8
        .value_kind:     global_buffer
      - .offset:         32
        .size:           4
        .value_kind:     by_value
      - .offset:         40
        .size:           8
        .value_kind:     by_value
      - .address_space:  global
        .offset:         48
        .size:           8
        .value_kind:     global_buffer
      - .offset:         56
        .size:           4
        .value_kind:     by_value
      - .offset:         64
        .size:           8
        .value_kind:     by_value
      - .address_space:  global
        .offset:         72
        .size:           8
        .value_kind:     global_buffer
      - .offset:         80
        .size:           4
        .value_kind:     by_value
      - .offset:         88
        .size:           8
        .value_kind:     by_value
      - .offset:         96
        .size:           4
        .value_kind:     by_value
    .group_segment_fixed_size: 8192
    .kernarg_segment_align: 8
    .kernarg_segment_size: 100
    .language:       OpenCL C
    .language_version:
      - 2
      - 0
    .max_flat_workgroup_size: 1024
    .name:           _ZL26rocblas_syr2k_her2k_kernelIiLb0ELb0ELb1ELi32EPKfPKS1_PKPfEvbiT_T4_T5_S7_lS9_S7_lT6_S7_li
    .private_segment_fixed_size: 0
    .sgpr_count:     26
    .sgpr_spill_count: 0
    .symbol:         _ZL26rocblas_syr2k_her2k_kernelIiLb0ELb0ELb1ELi32EPKfPKS1_PKPfEvbiT_T4_T5_S7_lS9_S7_lT6_S7_li.kd
    .uniform_work_group_size: 1
    .uses_dynamic_stack: false
    .vgpr_count:     31
    .vgpr_spill_count: 0
    .wavefront_size: 32
    .workgroup_processor_mode: 1
  - .args:
      - .offset:         0
        .size:           1
        .value_kind:     by_value
      - .offset:         4
        .size:           4
        .value_kind:     by_value
      - .offset:         8
        .size:           4
        .value_kind:     by_value
      - .offset:         16
        .size:           8
        .value_kind:     by_value
      - .address_space:  global
        .offset:         24
        .size:           8
        .value_kind:     global_buffer
      - .offset:         32
        .size:           4
        .value_kind:     by_value
      - .offset:         40
        .size:           8
        .value_kind:     by_value
      - .address_space:  global
        .offset:         48
        .size:           8
        .value_kind:     global_buffer
      - .offset:         56
        .size:           4
        .value_kind:     by_value
      - .offset:         64
        .size:           8
        .value_kind:     by_value
      - .address_space:  global
        .offset:         72
        .size:           8
        .value_kind:     global_buffer
      - .offset:         80
        .size:           4
        .value_kind:     by_value
      - .offset:         88
        .size:           8
        .value_kind:     by_value
      - .offset:         96
        .size:           4
        .value_kind:     by_value
    .group_segment_fixed_size: 16384
    .kernarg_segment_align: 8
    .kernarg_segment_size: 100
    .language:       OpenCL C
    .language_version:
      - 2
      - 0
    .max_flat_workgroup_size: 1024
    .name:           _ZL26rocblas_syr2k_her2k_kernelIiLb0ELb0ELb0ELi32EdPKPKdPKPdEvbiT_T4_T5_S7_lS9_S7_lT6_S7_li
    .private_segment_fixed_size: 0
    .sgpr_count:     29
    .sgpr_spill_count: 0
    .symbol:         _ZL26rocblas_syr2k_her2k_kernelIiLb0ELb0ELb0ELi32EdPKPKdPKPdEvbiT_T4_T5_S7_lS9_S7_lT6_S7_li.kd
    .uniform_work_group_size: 1
    .uses_dynamic_stack: false
    .vgpr_count:     31
    .vgpr_spill_count: 0
    .wavefront_size: 32
    .workgroup_processor_mode: 1
  - .args:
      - .offset:         0
        .size:           1
        .value_kind:     by_value
      - .offset:         4
        .size:           4
        .value_kind:     by_value
      - .offset:         8
        .size:           4
        .value_kind:     by_value
      - .offset:         16
        .size:           8
        .value_kind:     by_value
      - .address_space:  global
        .offset:         24
        .size:           8
        .value_kind:     global_buffer
      - .offset:         32
        .size:           4
        .value_kind:     by_value
      - .offset:         40
        .size:           8
        .value_kind:     by_value
      - .address_space:  global
        .offset:         48
        .size:           8
        .value_kind:     global_buffer
      - .offset:         56
        .size:           4
        .value_kind:     by_value
      - .offset:         64
        .size:           8
        .value_kind:     by_value
      - .address_space:  global
        .offset:         72
        .size:           8
        .value_kind:     global_buffer
      - .offset:         80
        .size:           4
        .value_kind:     by_value
      - .offset:         88
        .size:           8
        .value_kind:     by_value
      - .offset:         96
        .size:           4
        .value_kind:     by_value
    .group_segment_fixed_size: 16384
    .kernarg_segment_align: 8
    .kernarg_segment_size: 100
    .language:       OpenCL C
    .language_version:
      - 2
      - 0
    .max_flat_workgroup_size: 1024
    .name:           _ZL26rocblas_syr2k_her2k_kernelIiLb0ELb0ELb1ELi32EdPKPKdPKPdEvbiT_T4_T5_S7_lS9_S7_lT6_S7_li
    .private_segment_fixed_size: 0
    .sgpr_count:     27
    .sgpr_spill_count: 0
    .symbol:         _ZL26rocblas_syr2k_her2k_kernelIiLb0ELb0ELb1ELi32EdPKPKdPKPdEvbiT_T4_T5_S7_lS9_S7_lT6_S7_li.kd
    .uniform_work_group_size: 1
    .uses_dynamic_stack: false
    .vgpr_count:     32
    .vgpr_spill_count: 0
    .wavefront_size: 32
    .workgroup_processor_mode: 1
  - .args:
      - .offset:         0
        .size:           4
        .value_kind:     by_value
      - .offset:         4
        .size:           4
        .value_kind:     by_value
      - .address_space:  global
        .offset:         8
        .size:           8
        .value_kind:     global_buffer
      - .offset:         16
        .size:           4
        .value_kind:     by_value
      - .offset:         24
        .size:           8
        .value_kind:     by_value
      - .address_space:  global
        .offset:         32
        .size:           8
        .value_kind:     global_buffer
      - .offset:         40
        .size:           4
        .value_kind:     by_value
      - .offset:         48
        .size:           8
        .value_kind:     by_value
      - .address_space:  global
        .offset:         56
        .size:           8
        .value_kind:     global_buffer
      - .offset:         64
        .size:           4
        .value_kind:     by_value
      - .offset:         72
        .size:           8
        .value_kind:     by_value
      - .offset:         80
        .size:           4
        .value_kind:     by_value
    .group_segment_fixed_size: 4096
    .kernarg_segment_align: 8
    .kernarg_segment_size: 84
    .language:       OpenCL C
    .language_version:
      - 2
      - 0
    .max_flat_workgroup_size: 256
    .name:           _ZL37rocblas_syrkx_herkx_restricted_kernelIidLi16ELi32ELi8ELi1ELi1ELb0ELc84ELc76EKPKdKPdEviT_PT9_S5_lS7_S5_lPT10_S5_li
    .private_segment_fixed_size: 0
    .sgpr_count:     19
    .sgpr_spill_count: 0
    .symbol:         _ZL37rocblas_syrkx_herkx_restricted_kernelIidLi16ELi32ELi8ELi1ELi1ELb0ELc84ELc76EKPKdKPdEviT_PT9_S5_lS7_S5_lPT10_S5_li.kd
    .uniform_work_group_size: 1
    .uses_dynamic_stack: false
    .vgpr_count:     38
    .vgpr_spill_count: 0
    .wavefront_size: 32
    .workgroup_processor_mode: 1
  - .args:
      - .offset:         0
        .size:           4
        .value_kind:     by_value
      - .offset:         4
        .size:           4
        .value_kind:     by_value
      - .address_space:  global
        .offset:         8
        .size:           8
        .value_kind:     global_buffer
      - .offset:         16
        .size:           4
        .value_kind:     by_value
      - .offset:         24
        .size:           8
        .value_kind:     by_value
      - .address_space:  global
        .offset:         32
        .size:           8
        .value_kind:     global_buffer
      - .offset:         40
        .size:           4
        .value_kind:     by_value
      - .offset:         48
        .size:           8
        .value_kind:     by_value
      - .address_space:  global
        .offset:         56
        .size:           8
        .value_kind:     global_buffer
      - .offset:         64
        .size:           4
        .value_kind:     by_value
      - .offset:         72
        .size:           8
        .value_kind:     by_value
      - .offset:         80
        .size:           4
        .value_kind:     by_value
    .group_segment_fixed_size: 4096
    .kernarg_segment_align: 8
    .kernarg_segment_size: 84
    .language:       OpenCL C
    .language_version:
      - 2
      - 0
    .max_flat_workgroup_size: 256
    .name:           _ZL37rocblas_syrkx_herkx_restricted_kernelIidLi16ELi32ELi8ELi1ELi1ELb0ELc67ELc76EKPKdKPdEviT_PT9_S5_lS7_S5_lPT10_S5_li
    .private_segment_fixed_size: 0
    .sgpr_count:     19
    .sgpr_spill_count: 0
    .symbol:         _ZL37rocblas_syrkx_herkx_restricted_kernelIidLi16ELi32ELi8ELi1ELi1ELb0ELc67ELc76EKPKdKPdEviT_PT9_S5_lS7_S5_lPT10_S5_li.kd
    .uniform_work_group_size: 1
    .uses_dynamic_stack: false
    .vgpr_count:     38
    .vgpr_spill_count: 0
    .wavefront_size: 32
    .workgroup_processor_mode: 1
  - .args:
      - .offset:         0
        .size:           4
        .value_kind:     by_value
      - .offset:         4
        .size:           4
        .value_kind:     by_value
      - .address_space:  global
        .offset:         8
        .size:           8
        .value_kind:     global_buffer
      - .offset:         16
        .size:           4
        .value_kind:     by_value
      - .offset:         24
        .size:           8
        .value_kind:     by_value
      - .address_space:  global
        .offset:         32
        .size:           8
        .value_kind:     global_buffer
      - .offset:         40
        .size:           4
        .value_kind:     by_value
      - .offset:         48
        .size:           8
        .value_kind:     by_value
      - .address_space:  global
        .offset:         56
        .size:           8
        .value_kind:     global_buffer
      - .offset:         64
        .size:           4
        .value_kind:     by_value
      - .offset:         72
        .size:           8
        .value_kind:     by_value
      - .offset:         80
        .size:           4
        .value_kind:     by_value
    .group_segment_fixed_size: 4096
    .kernarg_segment_align: 8
    .kernarg_segment_size: 84
    .language:       OpenCL C
    .language_version:
      - 2
      - 0
    .max_flat_workgroup_size: 256
    .name:           _ZL37rocblas_syrkx_herkx_restricted_kernelIidLi16ELi32ELi8ELi1ELi1ELb0ELc78ELc76EKPKdKPdEviT_PT9_S5_lS7_S5_lPT10_S5_li
    .private_segment_fixed_size: 0
    .sgpr_count:     22
    .sgpr_spill_count: 0
    .symbol:         _ZL37rocblas_syrkx_herkx_restricted_kernelIidLi16ELi32ELi8ELi1ELi1ELb0ELc78ELc76EKPKdKPdEviT_PT9_S5_lS7_S5_lPT10_S5_li.kd
    .uniform_work_group_size: 1
    .uses_dynamic_stack: false
    .vgpr_count:     38
    .vgpr_spill_count: 0
    .wavefront_size: 32
    .workgroup_processor_mode: 1
  - .args:
      - .offset:         0
        .size:           4
        .value_kind:     by_value
      - .offset:         4
        .size:           4
        .value_kind:     by_value
      - .address_space:  global
        .offset:         8
        .size:           8
        .value_kind:     global_buffer
      - .offset:         16
        .size:           4
        .value_kind:     by_value
      - .offset:         24
        .size:           8
        .value_kind:     by_value
      - .address_space:  global
        .offset:         32
        .size:           8
        .value_kind:     global_buffer
      - .offset:         40
        .size:           4
        .value_kind:     by_value
      - .offset:         48
        .size:           8
        .value_kind:     by_value
      - .address_space:  global
        .offset:         56
        .size:           8
        .value_kind:     global_buffer
      - .offset:         64
        .size:           4
        .value_kind:     by_value
      - .offset:         72
        .size:           8
        .value_kind:     by_value
      - .offset:         80
        .size:           4
        .value_kind:     by_value
    .group_segment_fixed_size: 4096
    .kernarg_segment_align: 8
    .kernarg_segment_size: 84
    .language:       OpenCL C
    .language_version:
      - 2
      - 0
    .max_flat_workgroup_size: 256
    .name:           _ZL37rocblas_syrkx_herkx_restricted_kernelIidLi16ELi32ELi8ELi1ELi1ELb0ELc84ELc85EKPKdKPdEviT_PT9_S5_lS7_S5_lPT10_S5_li
    .private_segment_fixed_size: 0
    .sgpr_count:     19
    .sgpr_spill_count: 0
    .symbol:         _ZL37rocblas_syrkx_herkx_restricted_kernelIidLi16ELi32ELi8ELi1ELi1ELb0ELc84ELc85EKPKdKPdEviT_PT9_S5_lS7_S5_lPT10_S5_li.kd
    .uniform_work_group_size: 1
    .uses_dynamic_stack: false
    .vgpr_count:     38
    .vgpr_spill_count: 0
    .wavefront_size: 32
    .workgroup_processor_mode: 1
  - .args:
      - .offset:         0
        .size:           4
        .value_kind:     by_value
      - .offset:         4
        .size:           4
        .value_kind:     by_value
      - .address_space:  global
        .offset:         8
        .size:           8
        .value_kind:     global_buffer
      - .offset:         16
        .size:           4
        .value_kind:     by_value
      - .offset:         24
        .size:           8
        .value_kind:     by_value
      - .address_space:  global
        .offset:         32
        .size:           8
        .value_kind:     global_buffer
      - .offset:         40
        .size:           4
        .value_kind:     by_value
      - .offset:         48
        .size:           8
        .value_kind:     by_value
      - .address_space:  global
        .offset:         56
        .size:           8
        .value_kind:     global_buffer
      - .offset:         64
        .size:           4
        .value_kind:     by_value
      - .offset:         72
        .size:           8
        .value_kind:     by_value
      - .offset:         80
        .size:           4
        .value_kind:     by_value
    .group_segment_fixed_size: 4096
    .kernarg_segment_align: 8
    .kernarg_segment_size: 84
    .language:       OpenCL C
    .language_version:
      - 2
      - 0
    .max_flat_workgroup_size: 256
    .name:           _ZL37rocblas_syrkx_herkx_restricted_kernelIidLi16ELi32ELi8ELi1ELi1ELb0ELc67ELc85EKPKdKPdEviT_PT9_S5_lS7_S5_lPT10_S5_li
    .private_segment_fixed_size: 0
    .sgpr_count:     19
    .sgpr_spill_count: 0
    .symbol:         _ZL37rocblas_syrkx_herkx_restricted_kernelIidLi16ELi32ELi8ELi1ELi1ELb0ELc67ELc85EKPKdKPdEviT_PT9_S5_lS7_S5_lPT10_S5_li.kd
    .uniform_work_group_size: 1
    .uses_dynamic_stack: false
    .vgpr_count:     38
    .vgpr_spill_count: 0
    .wavefront_size: 32
    .workgroup_processor_mode: 1
  - .args:
      - .offset:         0
        .size:           4
        .value_kind:     by_value
      - .offset:         4
        .size:           4
        .value_kind:     by_value
      - .address_space:  global
        .offset:         8
        .size:           8
        .value_kind:     global_buffer
      - .offset:         16
        .size:           4
        .value_kind:     by_value
      - .offset:         24
        .size:           8
        .value_kind:     by_value
      - .address_space:  global
        .offset:         32
        .size:           8
        .value_kind:     global_buffer
      - .offset:         40
        .size:           4
        .value_kind:     by_value
      - .offset:         48
        .size:           8
        .value_kind:     by_value
      - .address_space:  global
        .offset:         56
        .size:           8
        .value_kind:     global_buffer
      - .offset:         64
        .size:           4
        .value_kind:     by_value
      - .offset:         72
        .size:           8
        .value_kind:     by_value
      - .offset:         80
        .size:           4
        .value_kind:     by_value
    .group_segment_fixed_size: 4096
    .kernarg_segment_align: 8
    .kernarg_segment_size: 84
    .language:       OpenCL C
    .language_version:
      - 2
      - 0
    .max_flat_workgroup_size: 256
    .name:           _ZL37rocblas_syrkx_herkx_restricted_kernelIidLi16ELi32ELi8ELi1ELi1ELb0ELc78ELc85EKPKdKPdEviT_PT9_S5_lS7_S5_lPT10_S5_li
    .private_segment_fixed_size: 0
    .sgpr_count:     22
    .sgpr_spill_count: 0
    .symbol:         _ZL37rocblas_syrkx_herkx_restricted_kernelIidLi16ELi32ELi8ELi1ELi1ELb0ELc78ELc85EKPKdKPdEviT_PT9_S5_lS7_S5_lPT10_S5_li.kd
    .uniform_work_group_size: 1
    .uses_dynamic_stack: false
    .vgpr_count:     38
    .vgpr_spill_count: 0
    .wavefront_size: 32
    .workgroup_processor_mode: 1
  - .args:
      - .offset:         0
        .size:           4
        .value_kind:     by_value
      - .offset:         4
        .size:           4
        .value_kind:     by_value
      - .address_space:  global
        .offset:         8
        .size:           8
        .value_kind:     global_buffer
      - .offset:         16
        .size:           4
        .value_kind:     by_value
      - .offset:         24
        .size:           8
        .value_kind:     by_value
      - .address_space:  global
        .offset:         32
        .size:           8
        .value_kind:     global_buffer
      - .offset:         40
        .size:           4
        .value_kind:     by_value
      - .offset:         48
        .size:           8
        .value_kind:     by_value
      - .address_space:  global
        .offset:         56
        .size:           8
        .value_kind:     global_buffer
      - .offset:         64
        .size:           4
        .value_kind:     by_value
      - .offset:         72
        .size:           8
        .value_kind:     by_value
      - .offset:         80
        .size:           4
        .value_kind:     by_value
    .group_segment_fixed_size: 4096
    .kernarg_segment_align: 8
    .kernarg_segment_size: 84
    .language:       OpenCL C
    .language_version:
      - 2
      - 0
    .max_flat_workgroup_size: 256
    .name:           _ZL37rocblas_syrkx_herkx_restricted_kernelIidLi16ELi32ELi8ELi1ELin1ELb0ELc84ELc76EKPKdKPdEviT_PT9_S5_lS7_S5_lPT10_S5_li
    .private_segment_fixed_size: 0
    .sgpr_count:     19
    .sgpr_spill_count: 0
    .symbol:         _ZL37rocblas_syrkx_herkx_restricted_kernelIidLi16ELi32ELi8ELi1ELin1ELb0ELc84ELc76EKPKdKPdEviT_PT9_S5_lS7_S5_lPT10_S5_li.kd
    .uniform_work_group_size: 1
    .uses_dynamic_stack: false
    .vgpr_count:     38
    .vgpr_spill_count: 0
    .wavefront_size: 32
    .workgroup_processor_mode: 1
  - .args:
      - .offset:         0
        .size:           4
        .value_kind:     by_value
      - .offset:         4
        .size:           4
        .value_kind:     by_value
      - .address_space:  global
        .offset:         8
        .size:           8
        .value_kind:     global_buffer
      - .offset:         16
        .size:           4
        .value_kind:     by_value
      - .offset:         24
        .size:           8
        .value_kind:     by_value
      - .address_space:  global
        .offset:         32
        .size:           8
        .value_kind:     global_buffer
      - .offset:         40
        .size:           4
        .value_kind:     by_value
      - .offset:         48
        .size:           8
        .value_kind:     by_value
      - .address_space:  global
        .offset:         56
        .size:           8
        .value_kind:     global_buffer
      - .offset:         64
        .size:           4
        .value_kind:     by_value
      - .offset:         72
        .size:           8
        .value_kind:     by_value
      - .offset:         80
        .size:           4
        .value_kind:     by_value
    .group_segment_fixed_size: 4096
    .kernarg_segment_align: 8
    .kernarg_segment_size: 84
    .language:       OpenCL C
    .language_version:
      - 2
      - 0
    .max_flat_workgroup_size: 256
    .name:           _ZL37rocblas_syrkx_herkx_restricted_kernelIidLi16ELi32ELi8ELi1ELin1ELb0ELc67ELc76EKPKdKPdEviT_PT9_S5_lS7_S5_lPT10_S5_li
    .private_segment_fixed_size: 0
    .sgpr_count:     19
    .sgpr_spill_count: 0
    .symbol:         _ZL37rocblas_syrkx_herkx_restricted_kernelIidLi16ELi32ELi8ELi1ELin1ELb0ELc67ELc76EKPKdKPdEviT_PT9_S5_lS7_S5_lPT10_S5_li.kd
    .uniform_work_group_size: 1
    .uses_dynamic_stack: false
    .vgpr_count:     38
    .vgpr_spill_count: 0
    .wavefront_size: 32
    .workgroup_processor_mode: 1
  - .args:
      - .offset:         0
        .size:           4
        .value_kind:     by_value
      - .offset:         4
        .size:           4
        .value_kind:     by_value
      - .address_space:  global
        .offset:         8
        .size:           8
        .value_kind:     global_buffer
      - .offset:         16
        .size:           4
        .value_kind:     by_value
      - .offset:         24
        .size:           8
        .value_kind:     by_value
      - .address_space:  global
        .offset:         32
        .size:           8
        .value_kind:     global_buffer
      - .offset:         40
        .size:           4
        .value_kind:     by_value
      - .offset:         48
        .size:           8
        .value_kind:     by_value
      - .address_space:  global
        .offset:         56
        .size:           8
        .value_kind:     global_buffer
      - .offset:         64
        .size:           4
        .value_kind:     by_value
      - .offset:         72
        .size:           8
        .value_kind:     by_value
      - .offset:         80
        .size:           4
        .value_kind:     by_value
    .group_segment_fixed_size: 4096
    .kernarg_segment_align: 8
    .kernarg_segment_size: 84
    .language:       OpenCL C
    .language_version:
      - 2
      - 0
    .max_flat_workgroup_size: 256
    .name:           _ZL37rocblas_syrkx_herkx_restricted_kernelIidLi16ELi32ELi8ELi1ELin1ELb0ELc78ELc76EKPKdKPdEviT_PT9_S5_lS7_S5_lPT10_S5_li
    .private_segment_fixed_size: 0
    .sgpr_count:     22
    .sgpr_spill_count: 0
    .symbol:         _ZL37rocblas_syrkx_herkx_restricted_kernelIidLi16ELi32ELi8ELi1ELin1ELb0ELc78ELc76EKPKdKPdEviT_PT9_S5_lS7_S5_lPT10_S5_li.kd
    .uniform_work_group_size: 1
    .uses_dynamic_stack: false
    .vgpr_count:     38
    .vgpr_spill_count: 0
    .wavefront_size: 32
    .workgroup_processor_mode: 1
  - .args:
      - .offset:         0
        .size:           4
        .value_kind:     by_value
      - .offset:         4
        .size:           4
        .value_kind:     by_value
      - .address_space:  global
        .offset:         8
        .size:           8
        .value_kind:     global_buffer
      - .offset:         16
        .size:           4
        .value_kind:     by_value
      - .offset:         24
        .size:           8
        .value_kind:     by_value
      - .address_space:  global
        .offset:         32
        .size:           8
        .value_kind:     global_buffer
      - .offset:         40
        .size:           4
        .value_kind:     by_value
      - .offset:         48
        .size:           8
        .value_kind:     by_value
      - .address_space:  global
        .offset:         56
        .size:           8
        .value_kind:     global_buffer
      - .offset:         64
        .size:           4
        .value_kind:     by_value
      - .offset:         72
        .size:           8
        .value_kind:     by_value
      - .offset:         80
        .size:           4
        .value_kind:     by_value
    .group_segment_fixed_size: 4096
    .kernarg_segment_align: 8
    .kernarg_segment_size: 84
    .language:       OpenCL C
    .language_version:
      - 2
      - 0
    .max_flat_workgroup_size: 256
    .name:           _ZL37rocblas_syrkx_herkx_restricted_kernelIidLi16ELi32ELi8ELi1ELin1ELb0ELc84ELc85EKPKdKPdEviT_PT9_S5_lS7_S5_lPT10_S5_li
    .private_segment_fixed_size: 0
    .sgpr_count:     19
    .sgpr_spill_count: 0
    .symbol:         _ZL37rocblas_syrkx_herkx_restricted_kernelIidLi16ELi32ELi8ELi1ELin1ELb0ELc84ELc85EKPKdKPdEviT_PT9_S5_lS7_S5_lPT10_S5_li.kd
    .uniform_work_group_size: 1
    .uses_dynamic_stack: false
    .vgpr_count:     38
    .vgpr_spill_count: 0
    .wavefront_size: 32
    .workgroup_processor_mode: 1
  - .args:
      - .offset:         0
        .size:           4
        .value_kind:     by_value
      - .offset:         4
        .size:           4
        .value_kind:     by_value
      - .address_space:  global
        .offset:         8
        .size:           8
        .value_kind:     global_buffer
      - .offset:         16
        .size:           4
        .value_kind:     by_value
      - .offset:         24
        .size:           8
        .value_kind:     by_value
      - .address_space:  global
        .offset:         32
        .size:           8
        .value_kind:     global_buffer
      - .offset:         40
        .size:           4
        .value_kind:     by_value
      - .offset:         48
        .size:           8
        .value_kind:     by_value
      - .address_space:  global
        .offset:         56
        .size:           8
        .value_kind:     global_buffer
      - .offset:         64
        .size:           4
        .value_kind:     by_value
      - .offset:         72
        .size:           8
        .value_kind:     by_value
      - .offset:         80
        .size:           4
        .value_kind:     by_value
    .group_segment_fixed_size: 4096
    .kernarg_segment_align: 8
    .kernarg_segment_size: 84
    .language:       OpenCL C
    .language_version:
      - 2
      - 0
    .max_flat_workgroup_size: 256
    .name:           _ZL37rocblas_syrkx_herkx_restricted_kernelIidLi16ELi32ELi8ELi1ELin1ELb0ELc67ELc85EKPKdKPdEviT_PT9_S5_lS7_S5_lPT10_S5_li
    .private_segment_fixed_size: 0
    .sgpr_count:     19
    .sgpr_spill_count: 0
    .symbol:         _ZL37rocblas_syrkx_herkx_restricted_kernelIidLi16ELi32ELi8ELi1ELin1ELb0ELc67ELc85EKPKdKPdEviT_PT9_S5_lS7_S5_lPT10_S5_li.kd
    .uniform_work_group_size: 1
    .uses_dynamic_stack: false
    .vgpr_count:     38
    .vgpr_spill_count: 0
    .wavefront_size: 32
    .workgroup_processor_mode: 1
  - .args:
      - .offset:         0
        .size:           4
        .value_kind:     by_value
      - .offset:         4
        .size:           4
        .value_kind:     by_value
      - .address_space:  global
        .offset:         8
        .size:           8
        .value_kind:     global_buffer
      - .offset:         16
        .size:           4
        .value_kind:     by_value
      - .offset:         24
        .size:           8
        .value_kind:     by_value
      - .address_space:  global
        .offset:         32
        .size:           8
        .value_kind:     global_buffer
      - .offset:         40
        .size:           4
        .value_kind:     by_value
      - .offset:         48
        .size:           8
        .value_kind:     by_value
      - .address_space:  global
        .offset:         56
        .size:           8
        .value_kind:     global_buffer
      - .offset:         64
        .size:           4
        .value_kind:     by_value
      - .offset:         72
        .size:           8
        .value_kind:     by_value
      - .offset:         80
        .size:           4
        .value_kind:     by_value
    .group_segment_fixed_size: 4096
    .kernarg_segment_align: 8
    .kernarg_segment_size: 84
    .language:       OpenCL C
    .language_version:
      - 2
      - 0
    .max_flat_workgroup_size: 256
    .name:           _ZL37rocblas_syrkx_herkx_restricted_kernelIidLi16ELi32ELi8ELi1ELin1ELb0ELc78ELc85EKPKdKPdEviT_PT9_S5_lS7_S5_lPT10_S5_li
    .private_segment_fixed_size: 0
    .sgpr_count:     22
    .sgpr_spill_count: 0
    .symbol:         _ZL37rocblas_syrkx_herkx_restricted_kernelIidLi16ELi32ELi8ELi1ELin1ELb0ELc78ELc85EKPKdKPdEviT_PT9_S5_lS7_S5_lPT10_S5_li.kd
    .uniform_work_group_size: 1
    .uses_dynamic_stack: false
    .vgpr_count:     38
    .vgpr_spill_count: 0
    .wavefront_size: 32
    .workgroup_processor_mode: 1
  - .args:
      - .offset:         0
        .size:           4
        .value_kind:     by_value
      - .offset:         4
        .size:           4
        .value_kind:     by_value
      - .address_space:  global
        .offset:         8
        .size:           8
        .value_kind:     global_buffer
      - .offset:         16
        .size:           4
        .value_kind:     by_value
      - .offset:         24
        .size:           8
        .value_kind:     by_value
      - .address_space:  global
        .offset:         32
        .size:           8
        .value_kind:     global_buffer
      - .offset:         40
        .size:           4
        .value_kind:     by_value
      - .offset:         48
        .size:           8
        .value_kind:     by_value
      - .address_space:  global
        .offset:         56
        .size:           8
        .value_kind:     global_buffer
      - .offset:         64
        .size:           4
        .value_kind:     by_value
      - .offset:         72
        .size:           8
        .value_kind:     by_value
      - .offset:         80
        .size:           4
        .value_kind:     by_value
    .group_segment_fixed_size: 4096
    .kernarg_segment_align: 8
    .kernarg_segment_size: 84
    .language:       OpenCL C
    .language_version:
      - 2
      - 0
    .max_flat_workgroup_size: 256
    .name:           _ZL37rocblas_syrkx_herkx_restricted_kernelIidLi16ELi32ELi8ELi1ELi0ELb0ELc84ELc76EKPKdKPdEviT_PT9_S5_lS7_S5_lPT10_S5_li
    .private_segment_fixed_size: 0
    .sgpr_count:     19
    .sgpr_spill_count: 0
    .symbol:         _ZL37rocblas_syrkx_herkx_restricted_kernelIidLi16ELi32ELi8ELi1ELi0ELb0ELc84ELc76EKPKdKPdEviT_PT9_S5_lS7_S5_lPT10_S5_li.kd
    .uniform_work_group_size: 1
    .uses_dynamic_stack: false
    .vgpr_count:     38
    .vgpr_spill_count: 0
    .wavefront_size: 32
    .workgroup_processor_mode: 1
  - .args:
      - .offset:         0
        .size:           4
        .value_kind:     by_value
      - .offset:         4
        .size:           4
        .value_kind:     by_value
      - .address_space:  global
        .offset:         8
        .size:           8
        .value_kind:     global_buffer
      - .offset:         16
        .size:           4
        .value_kind:     by_value
      - .offset:         24
        .size:           8
        .value_kind:     by_value
      - .address_space:  global
        .offset:         32
        .size:           8
        .value_kind:     global_buffer
      - .offset:         40
        .size:           4
        .value_kind:     by_value
      - .offset:         48
        .size:           8
        .value_kind:     by_value
      - .address_space:  global
        .offset:         56
        .size:           8
        .value_kind:     global_buffer
      - .offset:         64
        .size:           4
        .value_kind:     by_value
      - .offset:         72
        .size:           8
        .value_kind:     by_value
      - .offset:         80
        .size:           4
        .value_kind:     by_value
    .group_segment_fixed_size: 4096
    .kernarg_segment_align: 8
    .kernarg_segment_size: 84
    .language:       OpenCL C
    .language_version:
      - 2
      - 0
    .max_flat_workgroup_size: 256
    .name:           _ZL37rocblas_syrkx_herkx_restricted_kernelIidLi16ELi32ELi8ELi1ELi0ELb0ELc67ELc76EKPKdKPdEviT_PT9_S5_lS7_S5_lPT10_S5_li
    .private_segment_fixed_size: 0
    .sgpr_count:     19
    .sgpr_spill_count: 0
    .symbol:         _ZL37rocblas_syrkx_herkx_restricted_kernelIidLi16ELi32ELi8ELi1ELi0ELb0ELc67ELc76EKPKdKPdEviT_PT9_S5_lS7_S5_lPT10_S5_li.kd
    .uniform_work_group_size: 1
    .uses_dynamic_stack: false
    .vgpr_count:     38
    .vgpr_spill_count: 0
    .wavefront_size: 32
    .workgroup_processor_mode: 1
  - .args:
      - .offset:         0
        .size:           4
        .value_kind:     by_value
      - .offset:         4
        .size:           4
        .value_kind:     by_value
      - .address_space:  global
        .offset:         8
        .size:           8
        .value_kind:     global_buffer
      - .offset:         16
        .size:           4
        .value_kind:     by_value
      - .offset:         24
        .size:           8
        .value_kind:     by_value
      - .address_space:  global
        .offset:         32
        .size:           8
        .value_kind:     global_buffer
      - .offset:         40
        .size:           4
        .value_kind:     by_value
      - .offset:         48
        .size:           8
        .value_kind:     by_value
      - .address_space:  global
        .offset:         56
        .size:           8
        .value_kind:     global_buffer
      - .offset:         64
        .size:           4
        .value_kind:     by_value
      - .offset:         72
        .size:           8
        .value_kind:     by_value
      - .offset:         80
        .size:           4
        .value_kind:     by_value
    .group_segment_fixed_size: 4096
    .kernarg_segment_align: 8
    .kernarg_segment_size: 84
    .language:       OpenCL C
    .language_version:
      - 2
      - 0
    .max_flat_workgroup_size: 256
    .name:           _ZL37rocblas_syrkx_herkx_restricted_kernelIidLi16ELi32ELi8ELi1ELi0ELb0ELc78ELc76EKPKdKPdEviT_PT9_S5_lS7_S5_lPT10_S5_li
    .private_segment_fixed_size: 0
    .sgpr_count:     22
    .sgpr_spill_count: 0
    .symbol:         _ZL37rocblas_syrkx_herkx_restricted_kernelIidLi16ELi32ELi8ELi1ELi0ELb0ELc78ELc76EKPKdKPdEviT_PT9_S5_lS7_S5_lPT10_S5_li.kd
    .uniform_work_group_size: 1
    .uses_dynamic_stack: false
    .vgpr_count:     38
    .vgpr_spill_count: 0
    .wavefront_size: 32
    .workgroup_processor_mode: 1
  - .args:
      - .offset:         0
        .size:           4
        .value_kind:     by_value
      - .offset:         4
        .size:           4
        .value_kind:     by_value
      - .address_space:  global
        .offset:         8
        .size:           8
        .value_kind:     global_buffer
      - .offset:         16
        .size:           4
        .value_kind:     by_value
      - .offset:         24
        .size:           8
        .value_kind:     by_value
      - .address_space:  global
        .offset:         32
        .size:           8
        .value_kind:     global_buffer
      - .offset:         40
        .size:           4
        .value_kind:     by_value
      - .offset:         48
        .size:           8
        .value_kind:     by_value
      - .address_space:  global
        .offset:         56
        .size:           8
        .value_kind:     global_buffer
      - .offset:         64
        .size:           4
        .value_kind:     by_value
      - .offset:         72
        .size:           8
        .value_kind:     by_value
      - .offset:         80
        .size:           4
        .value_kind:     by_value
    .group_segment_fixed_size: 4096
    .kernarg_segment_align: 8
    .kernarg_segment_size: 84
    .language:       OpenCL C
    .language_version:
      - 2
      - 0
    .max_flat_workgroup_size: 256
    .name:           _ZL37rocblas_syrkx_herkx_restricted_kernelIidLi16ELi32ELi8ELi1ELi0ELb0ELc84ELc85EKPKdKPdEviT_PT9_S5_lS7_S5_lPT10_S5_li
    .private_segment_fixed_size: 0
    .sgpr_count:     19
    .sgpr_spill_count: 0
    .symbol:         _ZL37rocblas_syrkx_herkx_restricted_kernelIidLi16ELi32ELi8ELi1ELi0ELb0ELc84ELc85EKPKdKPdEviT_PT9_S5_lS7_S5_lPT10_S5_li.kd
    .uniform_work_group_size: 1
    .uses_dynamic_stack: false
    .vgpr_count:     38
    .vgpr_spill_count: 0
    .wavefront_size: 32
    .workgroup_processor_mode: 1
  - .args:
      - .offset:         0
        .size:           4
        .value_kind:     by_value
      - .offset:         4
        .size:           4
        .value_kind:     by_value
      - .address_space:  global
        .offset:         8
        .size:           8
        .value_kind:     global_buffer
      - .offset:         16
        .size:           4
        .value_kind:     by_value
      - .offset:         24
        .size:           8
        .value_kind:     by_value
      - .address_space:  global
        .offset:         32
        .size:           8
        .value_kind:     global_buffer
      - .offset:         40
        .size:           4
        .value_kind:     by_value
      - .offset:         48
        .size:           8
        .value_kind:     by_value
      - .address_space:  global
        .offset:         56
        .size:           8
        .value_kind:     global_buffer
      - .offset:         64
        .size:           4
        .value_kind:     by_value
      - .offset:         72
        .size:           8
        .value_kind:     by_value
      - .offset:         80
        .size:           4
        .value_kind:     by_value
    .group_segment_fixed_size: 4096
    .kernarg_segment_align: 8
    .kernarg_segment_size: 84
    .language:       OpenCL C
    .language_version:
      - 2
      - 0
    .max_flat_workgroup_size: 256
    .name:           _ZL37rocblas_syrkx_herkx_restricted_kernelIidLi16ELi32ELi8ELi1ELi0ELb0ELc67ELc85EKPKdKPdEviT_PT9_S5_lS7_S5_lPT10_S5_li
    .private_segment_fixed_size: 0
    .sgpr_count:     19
    .sgpr_spill_count: 0
    .symbol:         _ZL37rocblas_syrkx_herkx_restricted_kernelIidLi16ELi32ELi8ELi1ELi0ELb0ELc67ELc85EKPKdKPdEviT_PT9_S5_lS7_S5_lPT10_S5_li.kd
    .uniform_work_group_size: 1
    .uses_dynamic_stack: false
    .vgpr_count:     38
    .vgpr_spill_count: 0
    .wavefront_size: 32
    .workgroup_processor_mode: 1
  - .args:
      - .offset:         0
        .size:           4
        .value_kind:     by_value
      - .offset:         4
        .size:           4
        .value_kind:     by_value
      - .address_space:  global
        .offset:         8
        .size:           8
        .value_kind:     global_buffer
      - .offset:         16
        .size:           4
        .value_kind:     by_value
      - .offset:         24
        .size:           8
        .value_kind:     by_value
      - .address_space:  global
        .offset:         32
        .size:           8
        .value_kind:     global_buffer
      - .offset:         40
        .size:           4
        .value_kind:     by_value
      - .offset:         48
        .size:           8
        .value_kind:     by_value
      - .address_space:  global
        .offset:         56
        .size:           8
        .value_kind:     global_buffer
      - .offset:         64
        .size:           4
        .value_kind:     by_value
      - .offset:         72
        .size:           8
        .value_kind:     by_value
      - .offset:         80
        .size:           4
        .value_kind:     by_value
    .group_segment_fixed_size: 4096
    .kernarg_segment_align: 8
    .kernarg_segment_size: 84
    .language:       OpenCL C
    .language_version:
      - 2
      - 0
    .max_flat_workgroup_size: 256
    .name:           _ZL37rocblas_syrkx_herkx_restricted_kernelIidLi16ELi32ELi8ELi1ELi0ELb0ELc78ELc85EKPKdKPdEviT_PT9_S5_lS7_S5_lPT10_S5_li
    .private_segment_fixed_size: 0
    .sgpr_count:     22
    .sgpr_spill_count: 0
    .symbol:         _ZL37rocblas_syrkx_herkx_restricted_kernelIidLi16ELi32ELi8ELi1ELi0ELb0ELc78ELc85EKPKdKPdEviT_PT9_S5_lS7_S5_lPT10_S5_li.kd
    .uniform_work_group_size: 1
    .uses_dynamic_stack: false
    .vgpr_count:     38
    .vgpr_spill_count: 0
    .wavefront_size: 32
    .workgroup_processor_mode: 1
  - .args:
      - .offset:         0
        .size:           4
        .value_kind:     by_value
      - .offset:         4
        .size:           4
        .value_kind:     by_value
      - .address_space:  global
        .offset:         8
        .size:           8
        .value_kind:     global_buffer
      - .offset:         16
        .size:           4
        .value_kind:     by_value
      - .offset:         24
        .size:           8
        .value_kind:     by_value
      - .address_space:  global
        .offset:         32
        .size:           8
        .value_kind:     global_buffer
      - .offset:         40
        .size:           4
        .value_kind:     by_value
      - .offset:         48
        .size:           8
        .value_kind:     by_value
      - .address_space:  global
        .offset:         56
        .size:           8
        .value_kind:     global_buffer
      - .offset:         64
        .size:           4
        .value_kind:     by_value
      - .offset:         72
        .size:           8
        .value_kind:     by_value
      - .offset:         80
        .size:           4
        .value_kind:     by_value
    .group_segment_fixed_size: 4096
    .kernarg_segment_align: 8
    .kernarg_segment_size: 84
    .language:       OpenCL C
    .language_version:
      - 2
      - 0
    .max_flat_workgroup_size: 256
    .name:           _ZL37rocblas_syrkx_herkx_restricted_kernelIidLi16ELi32ELi8ELin1ELi0ELb0ELc84ELc76EKPKdKPdEviT_PT9_S5_lS7_S5_lPT10_S5_li
    .private_segment_fixed_size: 0
    .sgpr_count:     19
    .sgpr_spill_count: 0
    .symbol:         _ZL37rocblas_syrkx_herkx_restricted_kernelIidLi16ELi32ELi8ELin1ELi0ELb0ELc84ELc76EKPKdKPdEviT_PT9_S5_lS7_S5_lPT10_S5_li.kd
    .uniform_work_group_size: 1
    .uses_dynamic_stack: false
    .vgpr_count:     38
    .vgpr_spill_count: 0
    .wavefront_size: 32
    .workgroup_processor_mode: 1
  - .args:
      - .offset:         0
        .size:           4
        .value_kind:     by_value
      - .offset:         4
        .size:           4
        .value_kind:     by_value
      - .address_space:  global
        .offset:         8
        .size:           8
        .value_kind:     global_buffer
      - .offset:         16
        .size:           4
        .value_kind:     by_value
      - .offset:         24
        .size:           8
        .value_kind:     by_value
      - .address_space:  global
        .offset:         32
        .size:           8
        .value_kind:     global_buffer
      - .offset:         40
        .size:           4
        .value_kind:     by_value
      - .offset:         48
        .size:           8
        .value_kind:     by_value
      - .address_space:  global
        .offset:         56
        .size:           8
        .value_kind:     global_buffer
      - .offset:         64
        .size:           4
        .value_kind:     by_value
      - .offset:         72
        .size:           8
        .value_kind:     by_value
      - .offset:         80
        .size:           4
        .value_kind:     by_value
    .group_segment_fixed_size: 4096
    .kernarg_segment_align: 8
    .kernarg_segment_size: 84
    .language:       OpenCL C
    .language_version:
      - 2
      - 0
    .max_flat_workgroup_size: 256
    .name:           _ZL37rocblas_syrkx_herkx_restricted_kernelIidLi16ELi32ELi8ELin1ELi0ELb0ELc67ELc76EKPKdKPdEviT_PT9_S5_lS7_S5_lPT10_S5_li
    .private_segment_fixed_size: 0
    .sgpr_count:     19
    .sgpr_spill_count: 0
    .symbol:         _ZL37rocblas_syrkx_herkx_restricted_kernelIidLi16ELi32ELi8ELin1ELi0ELb0ELc67ELc76EKPKdKPdEviT_PT9_S5_lS7_S5_lPT10_S5_li.kd
    .uniform_work_group_size: 1
    .uses_dynamic_stack: false
    .vgpr_count:     38
    .vgpr_spill_count: 0
    .wavefront_size: 32
    .workgroup_processor_mode: 1
  - .args:
      - .offset:         0
        .size:           4
        .value_kind:     by_value
      - .offset:         4
        .size:           4
        .value_kind:     by_value
      - .address_space:  global
        .offset:         8
        .size:           8
        .value_kind:     global_buffer
      - .offset:         16
        .size:           4
        .value_kind:     by_value
      - .offset:         24
        .size:           8
        .value_kind:     by_value
      - .address_space:  global
        .offset:         32
        .size:           8
        .value_kind:     global_buffer
      - .offset:         40
        .size:           4
        .value_kind:     by_value
      - .offset:         48
        .size:           8
        .value_kind:     by_value
      - .address_space:  global
        .offset:         56
        .size:           8
        .value_kind:     global_buffer
      - .offset:         64
        .size:           4
        .value_kind:     by_value
      - .offset:         72
        .size:           8
        .value_kind:     by_value
      - .offset:         80
        .size:           4
        .value_kind:     by_value
    .group_segment_fixed_size: 4096
    .kernarg_segment_align: 8
    .kernarg_segment_size: 84
    .language:       OpenCL C
    .language_version:
      - 2
      - 0
    .max_flat_workgroup_size: 256
    .name:           _ZL37rocblas_syrkx_herkx_restricted_kernelIidLi16ELi32ELi8ELin1ELi0ELb0ELc78ELc76EKPKdKPdEviT_PT9_S5_lS7_S5_lPT10_S5_li
    .private_segment_fixed_size: 0
    .sgpr_count:     22
    .sgpr_spill_count: 0
    .symbol:         _ZL37rocblas_syrkx_herkx_restricted_kernelIidLi16ELi32ELi8ELin1ELi0ELb0ELc78ELc76EKPKdKPdEviT_PT9_S5_lS7_S5_lPT10_S5_li.kd
    .uniform_work_group_size: 1
    .uses_dynamic_stack: false
    .vgpr_count:     38
    .vgpr_spill_count: 0
    .wavefront_size: 32
    .workgroup_processor_mode: 1
  - .args:
      - .offset:         0
        .size:           4
        .value_kind:     by_value
      - .offset:         4
        .size:           4
        .value_kind:     by_value
      - .address_space:  global
        .offset:         8
        .size:           8
        .value_kind:     global_buffer
      - .offset:         16
        .size:           4
        .value_kind:     by_value
      - .offset:         24
        .size:           8
        .value_kind:     by_value
      - .address_space:  global
        .offset:         32
        .size:           8
        .value_kind:     global_buffer
      - .offset:         40
        .size:           4
        .value_kind:     by_value
      - .offset:         48
        .size:           8
        .value_kind:     by_value
      - .address_space:  global
        .offset:         56
        .size:           8
        .value_kind:     global_buffer
      - .offset:         64
        .size:           4
        .value_kind:     by_value
      - .offset:         72
        .size:           8
        .value_kind:     by_value
      - .offset:         80
        .size:           4
        .value_kind:     by_value
    .group_segment_fixed_size: 4096
    .kernarg_segment_align: 8
    .kernarg_segment_size: 84
    .language:       OpenCL C
    .language_version:
      - 2
      - 0
    .max_flat_workgroup_size: 256
    .name:           _ZL37rocblas_syrkx_herkx_restricted_kernelIidLi16ELi32ELi8ELin1ELi0ELb0ELc84ELc85EKPKdKPdEviT_PT9_S5_lS7_S5_lPT10_S5_li
    .private_segment_fixed_size: 0
    .sgpr_count:     19
    .sgpr_spill_count: 0
    .symbol:         _ZL37rocblas_syrkx_herkx_restricted_kernelIidLi16ELi32ELi8ELin1ELi0ELb0ELc84ELc85EKPKdKPdEviT_PT9_S5_lS7_S5_lPT10_S5_li.kd
    .uniform_work_group_size: 1
    .uses_dynamic_stack: false
    .vgpr_count:     38
    .vgpr_spill_count: 0
    .wavefront_size: 32
    .workgroup_processor_mode: 1
  - .args:
      - .offset:         0
        .size:           4
        .value_kind:     by_value
      - .offset:         4
        .size:           4
        .value_kind:     by_value
      - .address_space:  global
        .offset:         8
        .size:           8
        .value_kind:     global_buffer
      - .offset:         16
        .size:           4
        .value_kind:     by_value
      - .offset:         24
        .size:           8
        .value_kind:     by_value
      - .address_space:  global
        .offset:         32
        .size:           8
        .value_kind:     global_buffer
      - .offset:         40
        .size:           4
        .value_kind:     by_value
      - .offset:         48
        .size:           8
        .value_kind:     by_value
      - .address_space:  global
        .offset:         56
        .size:           8
        .value_kind:     global_buffer
      - .offset:         64
        .size:           4
        .value_kind:     by_value
      - .offset:         72
        .size:           8
        .value_kind:     by_value
      - .offset:         80
        .size:           4
        .value_kind:     by_value
    .group_segment_fixed_size: 4096
    .kernarg_segment_align: 8
    .kernarg_segment_size: 84
    .language:       OpenCL C
    .language_version:
      - 2
      - 0
    .max_flat_workgroup_size: 256
    .name:           _ZL37rocblas_syrkx_herkx_restricted_kernelIidLi16ELi32ELi8ELin1ELi0ELb0ELc67ELc85EKPKdKPdEviT_PT9_S5_lS7_S5_lPT10_S5_li
    .private_segment_fixed_size: 0
    .sgpr_count:     19
    .sgpr_spill_count: 0
    .symbol:         _ZL37rocblas_syrkx_herkx_restricted_kernelIidLi16ELi32ELi8ELin1ELi0ELb0ELc67ELc85EKPKdKPdEviT_PT9_S5_lS7_S5_lPT10_S5_li.kd
    .uniform_work_group_size: 1
    .uses_dynamic_stack: false
    .vgpr_count:     38
    .vgpr_spill_count: 0
    .wavefront_size: 32
    .workgroup_processor_mode: 1
  - .args:
      - .offset:         0
        .size:           4
        .value_kind:     by_value
      - .offset:         4
        .size:           4
        .value_kind:     by_value
      - .address_space:  global
        .offset:         8
        .size:           8
        .value_kind:     global_buffer
      - .offset:         16
        .size:           4
        .value_kind:     by_value
      - .offset:         24
        .size:           8
        .value_kind:     by_value
      - .address_space:  global
        .offset:         32
        .size:           8
        .value_kind:     global_buffer
      - .offset:         40
        .size:           4
        .value_kind:     by_value
      - .offset:         48
        .size:           8
        .value_kind:     by_value
      - .address_space:  global
        .offset:         56
        .size:           8
        .value_kind:     global_buffer
      - .offset:         64
        .size:           4
        .value_kind:     by_value
      - .offset:         72
        .size:           8
        .value_kind:     by_value
      - .offset:         80
        .size:           4
        .value_kind:     by_value
    .group_segment_fixed_size: 4096
    .kernarg_segment_align: 8
    .kernarg_segment_size: 84
    .language:       OpenCL C
    .language_version:
      - 2
      - 0
    .max_flat_workgroup_size: 256
    .name:           _ZL37rocblas_syrkx_herkx_restricted_kernelIidLi16ELi32ELi8ELin1ELi0ELb0ELc78ELc85EKPKdKPdEviT_PT9_S5_lS7_S5_lPT10_S5_li
    .private_segment_fixed_size: 0
    .sgpr_count:     22
    .sgpr_spill_count: 0
    .symbol:         _ZL37rocblas_syrkx_herkx_restricted_kernelIidLi16ELi32ELi8ELin1ELi0ELb0ELc78ELc85EKPKdKPdEviT_PT9_S5_lS7_S5_lPT10_S5_li.kd
    .uniform_work_group_size: 1
    .uses_dynamic_stack: false
    .vgpr_count:     38
    .vgpr_spill_count: 0
    .wavefront_size: 32
    .workgroup_processor_mode: 1
  - .args:
      - .offset:         0
        .size:           4
        .value_kind:     by_value
      - .offset:         4
        .size:           4
        .value_kind:     by_value
      - .offset:         8
        .size:           8
        .value_kind:     by_value
      - .address_space:  global
        .offset:         16
        .size:           8
        .value_kind:     global_buffer
      - .offset:         24
        .size:           4
        .value_kind:     by_value
      - .offset:         32
        .size:           8
        .value_kind:     by_value
      - .address_space:  global
        .offset:         40
        .size:           8
        .value_kind:     global_buffer
      - .offset:         48
        .size:           4
        .value_kind:     by_value
      - .offset:         56
        .size:           8
        .value_kind:     by_value
      - .offset:         64
        .size:           8
        .value_kind:     by_value
      - .address_space:  global
        .offset:         72
        .size:           8
        .value_kind:     global_buffer
      - .offset:         80
        .size:           4
        .value_kind:     by_value
      - .offset:         88
        .size:           8
        .value_kind:     by_value
      - .offset:         96
        .size:           4
        .value_kind:     by_value
    .group_segment_fixed_size: 4096
    .kernarg_segment_align: 8
    .kernarg_segment_size: 100
    .language:       OpenCL C
    .language_version:
      - 2
      - 0
    .max_flat_workgroup_size: 256
    .name:           _ZL37rocblas_syrkx_herkx_restricted_kernelIidLi16ELi32ELi8ELb1ELb0ELc84ELc76EKPKdKPdEviT_T0_PT8_S5_lS8_S5_lS6_PT9_S5_li
    .private_segment_fixed_size: 0
    .sgpr_count:     21
    .sgpr_spill_count: 0
    .symbol:         _ZL37rocblas_syrkx_herkx_restricted_kernelIidLi16ELi32ELi8ELb1ELb0ELc84ELc76EKPKdKPdEviT_T0_PT8_S5_lS8_S5_lS6_PT9_S5_li.kd
    .uniform_work_group_size: 1
    .uses_dynamic_stack: false
    .vgpr_count:     38
    .vgpr_spill_count: 0
    .wavefront_size: 32
    .workgroup_processor_mode: 1
  - .args:
      - .offset:         0
        .size:           4
        .value_kind:     by_value
      - .offset:         4
        .size:           4
        .value_kind:     by_value
      - .offset:         8
        .size:           8
        .value_kind:     by_value
      - .address_space:  global
        .offset:         16
        .size:           8
        .value_kind:     global_buffer
      - .offset:         24
        .size:           4
        .value_kind:     by_value
      - .offset:         32
        .size:           8
        .value_kind:     by_value
      - .address_space:  global
        .offset:         40
        .size:           8
        .value_kind:     global_buffer
      - .offset:         48
        .size:           4
        .value_kind:     by_value
      - .offset:         56
        .size:           8
        .value_kind:     by_value
      - .offset:         64
        .size:           8
        .value_kind:     by_value
      - .address_space:  global
        .offset:         72
        .size:           8
        .value_kind:     global_buffer
      - .offset:         80
        .size:           4
        .value_kind:     by_value
      - .offset:         88
        .size:           8
        .value_kind:     by_value
      - .offset:         96
        .size:           4
        .value_kind:     by_value
    .group_segment_fixed_size: 4096
    .kernarg_segment_align: 8
    .kernarg_segment_size: 100
    .language:       OpenCL C
    .language_version:
      - 2
      - 0
    .max_flat_workgroup_size: 256
    .name:           _ZL37rocblas_syrkx_herkx_restricted_kernelIidLi16ELi32ELi8ELb1ELb0ELc67ELc76EKPKdKPdEviT_T0_PT8_S5_lS8_S5_lS6_PT9_S5_li
    .private_segment_fixed_size: 0
    .sgpr_count:     21
    .sgpr_spill_count: 0
    .symbol:         _ZL37rocblas_syrkx_herkx_restricted_kernelIidLi16ELi32ELi8ELb1ELb0ELc67ELc76EKPKdKPdEviT_T0_PT8_S5_lS8_S5_lS6_PT9_S5_li.kd
    .uniform_work_group_size: 1
    .uses_dynamic_stack: false
    .vgpr_count:     38
    .vgpr_spill_count: 0
    .wavefront_size: 32
    .workgroup_processor_mode: 1
  - .args:
      - .offset:         0
        .size:           4
        .value_kind:     by_value
      - .offset:         4
        .size:           4
        .value_kind:     by_value
      - .offset:         8
        .size:           8
        .value_kind:     by_value
      - .address_space:  global
        .offset:         16
        .size:           8
        .value_kind:     global_buffer
      - .offset:         24
        .size:           4
        .value_kind:     by_value
      - .offset:         32
        .size:           8
        .value_kind:     by_value
      - .address_space:  global
        .offset:         40
        .size:           8
        .value_kind:     global_buffer
      - .offset:         48
        .size:           4
        .value_kind:     by_value
      - .offset:         56
        .size:           8
        .value_kind:     by_value
      - .offset:         64
        .size:           8
        .value_kind:     by_value
      - .address_space:  global
        .offset:         72
        .size:           8
        .value_kind:     global_buffer
      - .offset:         80
        .size:           4
        .value_kind:     by_value
      - .offset:         88
        .size:           8
        .value_kind:     by_value
      - .offset:         96
        .size:           4
        .value_kind:     by_value
    .group_segment_fixed_size: 4096
    .kernarg_segment_align: 8
    .kernarg_segment_size: 100
    .language:       OpenCL C
    .language_version:
      - 2
      - 0
    .max_flat_workgroup_size: 256
    .name:           _ZL37rocblas_syrkx_herkx_restricted_kernelIidLi16ELi32ELi8ELb1ELb0ELc78ELc76EKPKdKPdEviT_T0_PT8_S5_lS8_S5_lS6_PT9_S5_li
    .private_segment_fixed_size: 0
    .sgpr_count:     24
    .sgpr_spill_count: 0
    .symbol:         _ZL37rocblas_syrkx_herkx_restricted_kernelIidLi16ELi32ELi8ELb1ELb0ELc78ELc76EKPKdKPdEviT_T0_PT8_S5_lS8_S5_lS6_PT9_S5_li.kd
    .uniform_work_group_size: 1
    .uses_dynamic_stack: false
    .vgpr_count:     38
    .vgpr_spill_count: 0
    .wavefront_size: 32
    .workgroup_processor_mode: 1
  - .args:
      - .offset:         0
        .size:           4
        .value_kind:     by_value
      - .offset:         4
        .size:           4
        .value_kind:     by_value
      - .offset:         8
        .size:           8
        .value_kind:     by_value
      - .address_space:  global
        .offset:         16
        .size:           8
        .value_kind:     global_buffer
      - .offset:         24
        .size:           4
        .value_kind:     by_value
      - .offset:         32
        .size:           8
        .value_kind:     by_value
      - .address_space:  global
        .offset:         40
        .size:           8
        .value_kind:     global_buffer
      - .offset:         48
        .size:           4
        .value_kind:     by_value
      - .offset:         56
        .size:           8
        .value_kind:     by_value
      - .offset:         64
        .size:           8
        .value_kind:     by_value
      - .address_space:  global
        .offset:         72
        .size:           8
        .value_kind:     global_buffer
      - .offset:         80
        .size:           4
        .value_kind:     by_value
      - .offset:         88
        .size:           8
        .value_kind:     by_value
      - .offset:         96
        .size:           4
        .value_kind:     by_value
    .group_segment_fixed_size: 4096
    .kernarg_segment_align: 8
    .kernarg_segment_size: 100
    .language:       OpenCL C
    .language_version:
      - 2
      - 0
    .max_flat_workgroup_size: 256
    .name:           _ZL37rocblas_syrkx_herkx_restricted_kernelIidLi16ELi32ELi8ELb1ELb0ELc84ELc85EKPKdKPdEviT_T0_PT8_S5_lS8_S5_lS6_PT9_S5_li
    .private_segment_fixed_size: 0
    .sgpr_count:     21
    .sgpr_spill_count: 0
    .symbol:         _ZL37rocblas_syrkx_herkx_restricted_kernelIidLi16ELi32ELi8ELb1ELb0ELc84ELc85EKPKdKPdEviT_T0_PT8_S5_lS8_S5_lS6_PT9_S5_li.kd
    .uniform_work_group_size: 1
    .uses_dynamic_stack: false
    .vgpr_count:     38
    .vgpr_spill_count: 0
    .wavefront_size: 32
    .workgroup_processor_mode: 1
  - .args:
      - .offset:         0
        .size:           4
        .value_kind:     by_value
      - .offset:         4
        .size:           4
        .value_kind:     by_value
      - .offset:         8
        .size:           8
        .value_kind:     by_value
      - .address_space:  global
        .offset:         16
        .size:           8
        .value_kind:     global_buffer
      - .offset:         24
        .size:           4
        .value_kind:     by_value
      - .offset:         32
        .size:           8
        .value_kind:     by_value
      - .address_space:  global
        .offset:         40
        .size:           8
        .value_kind:     global_buffer
      - .offset:         48
        .size:           4
        .value_kind:     by_value
      - .offset:         56
        .size:           8
        .value_kind:     by_value
      - .offset:         64
        .size:           8
        .value_kind:     by_value
      - .address_space:  global
        .offset:         72
        .size:           8
        .value_kind:     global_buffer
      - .offset:         80
        .size:           4
        .value_kind:     by_value
      - .offset:         88
        .size:           8
        .value_kind:     by_value
      - .offset:         96
        .size:           4
        .value_kind:     by_value
    .group_segment_fixed_size: 4096
    .kernarg_segment_align: 8
    .kernarg_segment_size: 100
    .language:       OpenCL C
    .language_version:
      - 2
      - 0
    .max_flat_workgroup_size: 256
    .name:           _ZL37rocblas_syrkx_herkx_restricted_kernelIidLi16ELi32ELi8ELb1ELb0ELc67ELc85EKPKdKPdEviT_T0_PT8_S5_lS8_S5_lS6_PT9_S5_li
    .private_segment_fixed_size: 0
    .sgpr_count:     21
    .sgpr_spill_count: 0
    .symbol:         _ZL37rocblas_syrkx_herkx_restricted_kernelIidLi16ELi32ELi8ELb1ELb0ELc67ELc85EKPKdKPdEviT_T0_PT8_S5_lS8_S5_lS6_PT9_S5_li.kd
    .uniform_work_group_size: 1
    .uses_dynamic_stack: false
    .vgpr_count:     38
    .vgpr_spill_count: 0
    .wavefront_size: 32
    .workgroup_processor_mode: 1
  - .args:
      - .offset:         0
        .size:           4
        .value_kind:     by_value
      - .offset:         4
        .size:           4
        .value_kind:     by_value
      - .offset:         8
        .size:           8
        .value_kind:     by_value
      - .address_space:  global
        .offset:         16
        .size:           8
        .value_kind:     global_buffer
      - .offset:         24
        .size:           4
        .value_kind:     by_value
      - .offset:         32
        .size:           8
        .value_kind:     by_value
      - .address_space:  global
        .offset:         40
        .size:           8
        .value_kind:     global_buffer
      - .offset:         48
        .size:           4
        .value_kind:     by_value
      - .offset:         56
        .size:           8
        .value_kind:     by_value
      - .offset:         64
        .size:           8
        .value_kind:     by_value
      - .address_space:  global
        .offset:         72
        .size:           8
        .value_kind:     global_buffer
      - .offset:         80
        .size:           4
        .value_kind:     by_value
      - .offset:         88
        .size:           8
        .value_kind:     by_value
      - .offset:         96
        .size:           4
        .value_kind:     by_value
    .group_segment_fixed_size: 4096
    .kernarg_segment_align: 8
    .kernarg_segment_size: 100
    .language:       OpenCL C
    .language_version:
      - 2
      - 0
    .max_flat_workgroup_size: 256
    .name:           _ZL37rocblas_syrkx_herkx_restricted_kernelIidLi16ELi32ELi8ELb1ELb0ELc78ELc85EKPKdKPdEviT_T0_PT8_S5_lS8_S5_lS6_PT9_S5_li
    .private_segment_fixed_size: 0
    .sgpr_count:     24
    .sgpr_spill_count: 0
    .symbol:         _ZL37rocblas_syrkx_herkx_restricted_kernelIidLi16ELi32ELi8ELb1ELb0ELc78ELc85EKPKdKPdEviT_T0_PT8_S5_lS8_S5_lS6_PT9_S5_li.kd
    .uniform_work_group_size: 1
    .uses_dynamic_stack: false
    .vgpr_count:     38
    .vgpr_spill_count: 0
    .wavefront_size: 32
    .workgroup_processor_mode: 1
  - .args:
      - .offset:         0
        .size:           4
        .value_kind:     by_value
      - .offset:         4
        .size:           4
        .value_kind:     by_value
      - .offset:         8
        .size:           8
        .value_kind:     by_value
      - .address_space:  global
        .offset:         16
        .size:           8
        .value_kind:     global_buffer
      - .offset:         24
        .size:           4
        .value_kind:     by_value
      - .offset:         32
        .size:           8
        .value_kind:     by_value
      - .address_space:  global
        .offset:         40
        .size:           8
        .value_kind:     global_buffer
      - .offset:         48
        .size:           4
        .value_kind:     by_value
      - .offset:         56
        .size:           8
        .value_kind:     by_value
      - .offset:         64
        .size:           8
        .value_kind:     by_value
      - .address_space:  global
        .offset:         72
        .size:           8
        .value_kind:     global_buffer
      - .offset:         80
        .size:           4
        .value_kind:     by_value
      - .offset:         88
        .size:           8
        .value_kind:     by_value
      - .offset:         96
        .size:           4
        .value_kind:     by_value
    .group_segment_fixed_size: 4096
    .kernarg_segment_align: 8
    .kernarg_segment_size: 100
    .language:       OpenCL C
    .language_version:
      - 2
      - 0
    .max_flat_workgroup_size: 256
    .name:           _ZL37rocblas_syrkx_herkx_restricted_kernelIidLi16ELi32ELi8ELb0ELb0ELc84ELc76EKPKdKPdEviT_T0_PT8_S5_lS8_S5_lS6_PT9_S5_li
    .private_segment_fixed_size: 0
    .sgpr_count:     24
    .sgpr_spill_count: 0
    .symbol:         _ZL37rocblas_syrkx_herkx_restricted_kernelIidLi16ELi32ELi8ELb0ELb0ELc84ELc76EKPKdKPdEviT_T0_PT8_S5_lS8_S5_lS6_PT9_S5_li.kd
    .uniform_work_group_size: 1
    .uses_dynamic_stack: false
    .vgpr_count:     38
    .vgpr_spill_count: 0
    .wavefront_size: 32
    .workgroup_processor_mode: 1
  - .args:
      - .offset:         0
        .size:           4
        .value_kind:     by_value
      - .offset:         4
        .size:           4
        .value_kind:     by_value
      - .offset:         8
        .size:           8
        .value_kind:     by_value
      - .address_space:  global
        .offset:         16
        .size:           8
        .value_kind:     global_buffer
      - .offset:         24
        .size:           4
        .value_kind:     by_value
      - .offset:         32
        .size:           8
        .value_kind:     by_value
      - .address_space:  global
        .offset:         40
        .size:           8
        .value_kind:     global_buffer
      - .offset:         48
        .size:           4
        .value_kind:     by_value
      - .offset:         56
        .size:           8
        .value_kind:     by_value
      - .offset:         64
        .size:           8
        .value_kind:     by_value
      - .address_space:  global
        .offset:         72
        .size:           8
        .value_kind:     global_buffer
      - .offset:         80
        .size:           4
        .value_kind:     by_value
      - .offset:         88
        .size:           8
        .value_kind:     by_value
      - .offset:         96
        .size:           4
        .value_kind:     by_value
    .group_segment_fixed_size: 4096
    .kernarg_segment_align: 8
    .kernarg_segment_size: 100
    .language:       OpenCL C
    .language_version:
      - 2
      - 0
    .max_flat_workgroup_size: 256
    .name:           _ZL37rocblas_syrkx_herkx_restricted_kernelIidLi16ELi32ELi8ELb0ELb0ELc67ELc76EKPKdKPdEviT_T0_PT8_S5_lS8_S5_lS6_PT9_S5_li
    .private_segment_fixed_size: 0
    .sgpr_count:     24
    .sgpr_spill_count: 0
    .symbol:         _ZL37rocblas_syrkx_herkx_restricted_kernelIidLi16ELi32ELi8ELb0ELb0ELc67ELc76EKPKdKPdEviT_T0_PT8_S5_lS8_S5_lS6_PT9_S5_li.kd
    .uniform_work_group_size: 1
    .uses_dynamic_stack: false
    .vgpr_count:     38
    .vgpr_spill_count: 0
    .wavefront_size: 32
    .workgroup_processor_mode: 1
  - .args:
      - .offset:         0
        .size:           4
        .value_kind:     by_value
      - .offset:         4
        .size:           4
        .value_kind:     by_value
      - .offset:         8
        .size:           8
        .value_kind:     by_value
      - .address_space:  global
        .offset:         16
        .size:           8
        .value_kind:     global_buffer
      - .offset:         24
        .size:           4
        .value_kind:     by_value
      - .offset:         32
        .size:           8
        .value_kind:     by_value
      - .address_space:  global
        .offset:         40
        .size:           8
        .value_kind:     global_buffer
      - .offset:         48
        .size:           4
        .value_kind:     by_value
      - .offset:         56
        .size:           8
        .value_kind:     by_value
      - .offset:         64
        .size:           8
        .value_kind:     by_value
      - .address_space:  global
        .offset:         72
        .size:           8
        .value_kind:     global_buffer
      - .offset:         80
        .size:           4
        .value_kind:     by_value
      - .offset:         88
        .size:           8
        .value_kind:     by_value
      - .offset:         96
        .size:           4
        .value_kind:     by_value
    .group_segment_fixed_size: 4096
    .kernarg_segment_align: 8
    .kernarg_segment_size: 100
    .language:       OpenCL C
    .language_version:
      - 2
      - 0
    .max_flat_workgroup_size: 256
    .name:           _ZL37rocblas_syrkx_herkx_restricted_kernelIidLi16ELi32ELi8ELb0ELb0ELc78ELc76EKPKdKPdEviT_T0_PT8_S5_lS8_S5_lS6_PT9_S5_li
    .private_segment_fixed_size: 0
    .sgpr_count:     26
    .sgpr_spill_count: 0
    .symbol:         _ZL37rocblas_syrkx_herkx_restricted_kernelIidLi16ELi32ELi8ELb0ELb0ELc78ELc76EKPKdKPdEviT_T0_PT8_S5_lS8_S5_lS6_PT9_S5_li.kd
    .uniform_work_group_size: 1
    .uses_dynamic_stack: false
    .vgpr_count:     38
    .vgpr_spill_count: 0
    .wavefront_size: 32
    .workgroup_processor_mode: 1
  - .args:
      - .offset:         0
        .size:           4
        .value_kind:     by_value
      - .offset:         4
        .size:           4
        .value_kind:     by_value
      - .offset:         8
        .size:           8
        .value_kind:     by_value
      - .address_space:  global
        .offset:         16
        .size:           8
        .value_kind:     global_buffer
      - .offset:         24
        .size:           4
        .value_kind:     by_value
      - .offset:         32
        .size:           8
        .value_kind:     by_value
      - .address_space:  global
        .offset:         40
        .size:           8
        .value_kind:     global_buffer
      - .offset:         48
        .size:           4
        .value_kind:     by_value
      - .offset:         56
        .size:           8
        .value_kind:     by_value
      - .offset:         64
        .size:           8
        .value_kind:     by_value
      - .address_space:  global
        .offset:         72
        .size:           8
        .value_kind:     global_buffer
      - .offset:         80
        .size:           4
        .value_kind:     by_value
      - .offset:         88
        .size:           8
        .value_kind:     by_value
      - .offset:         96
        .size:           4
        .value_kind:     by_value
    .group_segment_fixed_size: 4096
    .kernarg_segment_align: 8
    .kernarg_segment_size: 100
    .language:       OpenCL C
    .language_version:
      - 2
      - 0
    .max_flat_workgroup_size: 256
    .name:           _ZL37rocblas_syrkx_herkx_restricted_kernelIidLi16ELi32ELi8ELb0ELb0ELc84ELc85EKPKdKPdEviT_T0_PT8_S5_lS8_S5_lS6_PT9_S5_li
    .private_segment_fixed_size: 0
    .sgpr_count:     23
    .sgpr_spill_count: 0
    .symbol:         _ZL37rocblas_syrkx_herkx_restricted_kernelIidLi16ELi32ELi8ELb0ELb0ELc84ELc85EKPKdKPdEviT_T0_PT8_S5_lS8_S5_lS6_PT9_S5_li.kd
    .uniform_work_group_size: 1
    .uses_dynamic_stack: false
    .vgpr_count:     38
    .vgpr_spill_count: 0
    .wavefront_size: 32
    .workgroup_processor_mode: 1
  - .args:
      - .offset:         0
        .size:           4
        .value_kind:     by_value
      - .offset:         4
        .size:           4
        .value_kind:     by_value
      - .offset:         8
        .size:           8
        .value_kind:     by_value
      - .address_space:  global
        .offset:         16
        .size:           8
        .value_kind:     global_buffer
      - .offset:         24
        .size:           4
        .value_kind:     by_value
      - .offset:         32
        .size:           8
        .value_kind:     by_value
      - .address_space:  global
        .offset:         40
        .size:           8
        .value_kind:     global_buffer
      - .offset:         48
        .size:           4
        .value_kind:     by_value
      - .offset:         56
        .size:           8
        .value_kind:     by_value
      - .offset:         64
        .size:           8
        .value_kind:     by_value
      - .address_space:  global
        .offset:         72
        .size:           8
        .value_kind:     global_buffer
      - .offset:         80
        .size:           4
        .value_kind:     by_value
      - .offset:         88
        .size:           8
        .value_kind:     by_value
      - .offset:         96
        .size:           4
        .value_kind:     by_value
    .group_segment_fixed_size: 4096
    .kernarg_segment_align: 8
    .kernarg_segment_size: 100
    .language:       OpenCL C
    .language_version:
      - 2
      - 0
    .max_flat_workgroup_size: 256
    .name:           _ZL37rocblas_syrkx_herkx_restricted_kernelIidLi16ELi32ELi8ELb0ELb0ELc67ELc85EKPKdKPdEviT_T0_PT8_S5_lS8_S5_lS6_PT9_S5_li
    .private_segment_fixed_size: 0
    .sgpr_count:     23
    .sgpr_spill_count: 0
    .symbol:         _ZL37rocblas_syrkx_herkx_restricted_kernelIidLi16ELi32ELi8ELb0ELb0ELc67ELc85EKPKdKPdEviT_T0_PT8_S5_lS8_S5_lS6_PT9_S5_li.kd
    .uniform_work_group_size: 1
    .uses_dynamic_stack: false
    .vgpr_count:     38
    .vgpr_spill_count: 0
    .wavefront_size: 32
    .workgroup_processor_mode: 1
  - .args:
      - .offset:         0
        .size:           4
        .value_kind:     by_value
      - .offset:         4
        .size:           4
        .value_kind:     by_value
      - .offset:         8
        .size:           8
        .value_kind:     by_value
      - .address_space:  global
        .offset:         16
        .size:           8
        .value_kind:     global_buffer
      - .offset:         24
        .size:           4
        .value_kind:     by_value
      - .offset:         32
        .size:           8
        .value_kind:     by_value
      - .address_space:  global
        .offset:         40
        .size:           8
        .value_kind:     global_buffer
      - .offset:         48
        .size:           4
        .value_kind:     by_value
      - .offset:         56
        .size:           8
        .value_kind:     by_value
      - .offset:         64
        .size:           8
        .value_kind:     by_value
      - .address_space:  global
        .offset:         72
        .size:           8
        .value_kind:     global_buffer
      - .offset:         80
        .size:           4
        .value_kind:     by_value
      - .offset:         88
        .size:           8
        .value_kind:     by_value
      - .offset:         96
        .size:           4
        .value_kind:     by_value
    .group_segment_fixed_size: 4096
    .kernarg_segment_align: 8
    .kernarg_segment_size: 100
    .language:       OpenCL C
    .language_version:
      - 2
      - 0
    .max_flat_workgroup_size: 256
    .name:           _ZL37rocblas_syrkx_herkx_restricted_kernelIidLi16ELi32ELi8ELb0ELb0ELc78ELc85EKPKdKPdEviT_T0_PT8_S5_lS8_S5_lS6_PT9_S5_li
    .private_segment_fixed_size: 0
    .sgpr_count:     26
    .sgpr_spill_count: 0
    .symbol:         _ZL37rocblas_syrkx_herkx_restricted_kernelIidLi16ELi32ELi8ELb0ELb0ELc78ELc85EKPKdKPdEviT_T0_PT8_S5_lS8_S5_lS6_PT9_S5_li.kd
    .uniform_work_group_size: 1
    .uses_dynamic_stack: false
    .vgpr_count:     38
    .vgpr_spill_count: 0
    .wavefront_size: 32
    .workgroup_processor_mode: 1
  - .args:
      - .offset:         0
        .size:           4
        .value_kind:     by_value
      - .offset:         4
        .size:           4
        .value_kind:     by_value
      - .offset:         8
        .size:           8
        .value_kind:     by_value
      - .address_space:  global
        .offset:         16
        .size:           8
        .value_kind:     global_buffer
      - .offset:         24
        .size:           4
        .value_kind:     by_value
      - .offset:         32
        .size:           8
        .value_kind:     by_value
      - .address_space:  global
        .offset:         40
        .size:           8
        .value_kind:     global_buffer
      - .offset:         48
        .size:           4
        .value_kind:     by_value
      - .offset:         56
        .size:           8
        .value_kind:     by_value
      - .offset:         64
        .size:           8
        .value_kind:     by_value
      - .address_space:  global
        .offset:         72
        .size:           8
        .value_kind:     global_buffer
      - .offset:         80
        .size:           4
        .value_kind:     by_value
      - .offset:         88
        .size:           8
        .value_kind:     by_value
      - .offset:         96
        .size:           4
        .value_kind:     by_value
    .group_segment_fixed_size: 4096
    .kernarg_segment_align: 8
    .kernarg_segment_size: 100
    .language:       OpenCL C
    .language_version:
      - 2
      - 0
    .max_flat_workgroup_size: 256
    .name:           _ZL41rocblas_syrkx_herkx_small_restrict_kernelIidLi16ELb1ELb0ELc84ELc76EKPKdKPdEviT_T0_PT6_S5_lS8_S5_lS6_PT7_S5_li
    .private_segment_fixed_size: 0
    .sgpr_count:     18
    .sgpr_spill_count: 0
    .symbol:         _ZL41rocblas_syrkx_herkx_small_restrict_kernelIidLi16ELb1ELb0ELc84ELc76EKPKdKPdEviT_T0_PT6_S5_lS8_S5_lS6_PT7_S5_li.kd
    .uniform_work_group_size: 1
    .uses_dynamic_stack: false
    .vgpr_count:     24
    .vgpr_spill_count: 0
    .wavefront_size: 32
    .workgroup_processor_mode: 1
  - .args:
      - .offset:         0
        .size:           4
        .value_kind:     by_value
      - .offset:         4
        .size:           4
        .value_kind:     by_value
      - .offset:         8
        .size:           8
        .value_kind:     by_value
      - .address_space:  global
        .offset:         16
        .size:           8
        .value_kind:     global_buffer
      - .offset:         24
        .size:           4
        .value_kind:     by_value
      - .offset:         32
        .size:           8
        .value_kind:     by_value
      - .address_space:  global
        .offset:         40
        .size:           8
        .value_kind:     global_buffer
      - .offset:         48
        .size:           4
        .value_kind:     by_value
      - .offset:         56
        .size:           8
        .value_kind:     by_value
      - .offset:         64
        .size:           8
        .value_kind:     by_value
      - .address_space:  global
        .offset:         72
        .size:           8
        .value_kind:     global_buffer
      - .offset:         80
        .size:           4
        .value_kind:     by_value
      - .offset:         88
        .size:           8
        .value_kind:     by_value
      - .offset:         96
        .size:           4
        .value_kind:     by_value
    .group_segment_fixed_size: 4096
    .kernarg_segment_align: 8
    .kernarg_segment_size: 100
    .language:       OpenCL C
    .language_version:
      - 2
      - 0
    .max_flat_workgroup_size: 256
    .name:           _ZL41rocblas_syrkx_herkx_small_restrict_kernelIidLi16ELb1ELb0ELc67ELc76EKPKdKPdEviT_T0_PT6_S5_lS8_S5_lS6_PT7_S5_li
    .private_segment_fixed_size: 0
    .sgpr_count:     18
    .sgpr_spill_count: 0
    .symbol:         _ZL41rocblas_syrkx_herkx_small_restrict_kernelIidLi16ELb1ELb0ELc67ELc76EKPKdKPdEviT_T0_PT6_S5_lS8_S5_lS6_PT7_S5_li.kd
    .uniform_work_group_size: 1
    .uses_dynamic_stack: false
    .vgpr_count:     24
    .vgpr_spill_count: 0
    .wavefront_size: 32
    .workgroup_processor_mode: 1
  - .args:
      - .offset:         0
        .size:           4
        .value_kind:     by_value
      - .offset:         4
        .size:           4
        .value_kind:     by_value
      - .offset:         8
        .size:           8
        .value_kind:     by_value
      - .address_space:  global
        .offset:         16
        .size:           8
        .value_kind:     global_buffer
      - .offset:         24
        .size:           4
        .value_kind:     by_value
      - .offset:         32
        .size:           8
        .value_kind:     by_value
      - .address_space:  global
        .offset:         40
        .size:           8
        .value_kind:     global_buffer
      - .offset:         48
        .size:           4
        .value_kind:     by_value
      - .offset:         56
        .size:           8
        .value_kind:     by_value
      - .offset:         64
        .size:           8
        .value_kind:     by_value
      - .address_space:  global
        .offset:         72
        .size:           8
        .value_kind:     global_buffer
      - .offset:         80
        .size:           4
        .value_kind:     by_value
      - .offset:         88
        .size:           8
        .value_kind:     by_value
      - .offset:         96
        .size:           4
        .value_kind:     by_value
    .group_segment_fixed_size: 4096
    .kernarg_segment_align: 8
    .kernarg_segment_size: 100
    .language:       OpenCL C
    .language_version:
      - 2
      - 0
    .max_flat_workgroup_size: 256
    .name:           _ZL41rocblas_syrkx_herkx_small_restrict_kernelIidLi16ELb1ELb0ELc78ELc76EKPKdKPdEviT_T0_PT6_S5_lS8_S5_lS6_PT7_S5_li
    .private_segment_fixed_size: 0
    .sgpr_count:     20
    .sgpr_spill_count: 0
    .symbol:         _ZL41rocblas_syrkx_herkx_small_restrict_kernelIidLi16ELb1ELb0ELc78ELc76EKPKdKPdEviT_T0_PT6_S5_lS8_S5_lS6_PT7_S5_li.kd
    .uniform_work_group_size: 1
    .uses_dynamic_stack: false
    .vgpr_count:     25
    .vgpr_spill_count: 0
    .wavefront_size: 32
    .workgroup_processor_mode: 1
  - .args:
      - .offset:         0
        .size:           4
        .value_kind:     by_value
      - .offset:         4
        .size:           4
        .value_kind:     by_value
      - .offset:         8
        .size:           8
        .value_kind:     by_value
      - .address_space:  global
        .offset:         16
        .size:           8
        .value_kind:     global_buffer
      - .offset:         24
        .size:           4
        .value_kind:     by_value
      - .offset:         32
        .size:           8
        .value_kind:     by_value
      - .address_space:  global
        .offset:         40
        .size:           8
        .value_kind:     global_buffer
      - .offset:         48
        .size:           4
        .value_kind:     by_value
      - .offset:         56
        .size:           8
        .value_kind:     by_value
      - .offset:         64
        .size:           8
        .value_kind:     by_value
      - .address_space:  global
        .offset:         72
        .size:           8
        .value_kind:     global_buffer
      - .offset:         80
        .size:           4
        .value_kind:     by_value
      - .offset:         88
        .size:           8
        .value_kind:     by_value
      - .offset:         96
        .size:           4
        .value_kind:     by_value
    .group_segment_fixed_size: 4096
    .kernarg_segment_align: 8
    .kernarg_segment_size: 100
    .language:       OpenCL C
    .language_version:
      - 2
      - 0
    .max_flat_workgroup_size: 256
    .name:           _ZL41rocblas_syrkx_herkx_small_restrict_kernelIidLi16ELb1ELb0ELc84ELc85EKPKdKPdEviT_T0_PT6_S5_lS8_S5_lS6_PT7_S5_li
    .private_segment_fixed_size: 0
    .sgpr_count:     18
    .sgpr_spill_count: 0
    .symbol:         _ZL41rocblas_syrkx_herkx_small_restrict_kernelIidLi16ELb1ELb0ELc84ELc85EKPKdKPdEviT_T0_PT6_S5_lS8_S5_lS6_PT7_S5_li.kd
    .uniform_work_group_size: 1
    .uses_dynamic_stack: false
    .vgpr_count:     24
    .vgpr_spill_count: 0
    .wavefront_size: 32
    .workgroup_processor_mode: 1
  - .args:
      - .offset:         0
        .size:           4
        .value_kind:     by_value
      - .offset:         4
        .size:           4
        .value_kind:     by_value
      - .offset:         8
        .size:           8
        .value_kind:     by_value
      - .address_space:  global
        .offset:         16
        .size:           8
        .value_kind:     global_buffer
      - .offset:         24
        .size:           4
        .value_kind:     by_value
      - .offset:         32
        .size:           8
        .value_kind:     by_value
      - .address_space:  global
        .offset:         40
        .size:           8
        .value_kind:     global_buffer
      - .offset:         48
        .size:           4
        .value_kind:     by_value
      - .offset:         56
        .size:           8
        .value_kind:     by_value
      - .offset:         64
        .size:           8
        .value_kind:     by_value
      - .address_space:  global
        .offset:         72
        .size:           8
        .value_kind:     global_buffer
      - .offset:         80
        .size:           4
        .value_kind:     by_value
      - .offset:         88
        .size:           8
        .value_kind:     by_value
      - .offset:         96
        .size:           4
        .value_kind:     by_value
    .group_segment_fixed_size: 4096
    .kernarg_segment_align: 8
    .kernarg_segment_size: 100
    .language:       OpenCL C
    .language_version:
      - 2
      - 0
    .max_flat_workgroup_size: 256
    .name:           _ZL41rocblas_syrkx_herkx_small_restrict_kernelIidLi16ELb1ELb0ELc67ELc85EKPKdKPdEviT_T0_PT6_S5_lS8_S5_lS6_PT7_S5_li
    .private_segment_fixed_size: 0
    .sgpr_count:     18
    .sgpr_spill_count: 0
    .symbol:         _ZL41rocblas_syrkx_herkx_small_restrict_kernelIidLi16ELb1ELb0ELc67ELc85EKPKdKPdEviT_T0_PT6_S5_lS8_S5_lS6_PT7_S5_li.kd
    .uniform_work_group_size: 1
    .uses_dynamic_stack: false
    .vgpr_count:     24
    .vgpr_spill_count: 0
    .wavefront_size: 32
    .workgroup_processor_mode: 1
  - .args:
      - .offset:         0
        .size:           4
        .value_kind:     by_value
      - .offset:         4
        .size:           4
        .value_kind:     by_value
      - .offset:         8
        .size:           8
        .value_kind:     by_value
      - .address_space:  global
        .offset:         16
        .size:           8
        .value_kind:     global_buffer
      - .offset:         24
        .size:           4
        .value_kind:     by_value
      - .offset:         32
        .size:           8
        .value_kind:     by_value
      - .address_space:  global
        .offset:         40
        .size:           8
        .value_kind:     global_buffer
      - .offset:         48
        .size:           4
        .value_kind:     by_value
      - .offset:         56
        .size:           8
        .value_kind:     by_value
      - .offset:         64
        .size:           8
        .value_kind:     by_value
      - .address_space:  global
        .offset:         72
        .size:           8
        .value_kind:     global_buffer
      - .offset:         80
        .size:           4
        .value_kind:     by_value
      - .offset:         88
        .size:           8
        .value_kind:     by_value
      - .offset:         96
        .size:           4
        .value_kind:     by_value
    .group_segment_fixed_size: 4096
    .kernarg_segment_align: 8
    .kernarg_segment_size: 100
    .language:       OpenCL C
    .language_version:
      - 2
      - 0
    .max_flat_workgroup_size: 256
    .name:           _ZL41rocblas_syrkx_herkx_small_restrict_kernelIidLi16ELb1ELb0ELc78ELc85EKPKdKPdEviT_T0_PT6_S5_lS8_S5_lS6_PT7_S5_li
    .private_segment_fixed_size: 0
    .sgpr_count:     20
    .sgpr_spill_count: 0
    .symbol:         _ZL41rocblas_syrkx_herkx_small_restrict_kernelIidLi16ELb1ELb0ELc78ELc85EKPKdKPdEviT_T0_PT6_S5_lS8_S5_lS6_PT7_S5_li.kd
    .uniform_work_group_size: 1
    .uses_dynamic_stack: false
    .vgpr_count:     25
    .vgpr_spill_count: 0
    .wavefront_size: 32
    .workgroup_processor_mode: 1
  - .args:
      - .offset:         0
        .size:           4
        .value_kind:     by_value
      - .offset:         4
        .size:           4
        .value_kind:     by_value
      - .offset:         8
        .size:           8
        .value_kind:     by_value
      - .address_space:  global
        .offset:         16
        .size:           8
        .value_kind:     global_buffer
      - .offset:         24
        .size:           4
        .value_kind:     by_value
      - .offset:         32
        .size:           8
        .value_kind:     by_value
      - .address_space:  global
        .offset:         40
        .size:           8
        .value_kind:     global_buffer
      - .offset:         48
        .size:           4
        .value_kind:     by_value
      - .offset:         56
        .size:           8
        .value_kind:     by_value
      - .offset:         64
        .size:           8
        .value_kind:     by_value
      - .address_space:  global
        .offset:         72
        .size:           8
        .value_kind:     global_buffer
      - .offset:         80
        .size:           4
        .value_kind:     by_value
      - .offset:         88
        .size:           8
        .value_kind:     by_value
      - .offset:         96
        .size:           4
        .value_kind:     by_value
    .group_segment_fixed_size: 4096
    .kernarg_segment_align: 8
    .kernarg_segment_size: 100
    .language:       OpenCL C
    .language_version:
      - 2
      - 0
    .max_flat_workgroup_size: 256
    .name:           _ZL41rocblas_syrkx_herkx_small_restrict_kernelIidLi16ELb0ELb0ELc84ELc76EKPKdKPdEviT_T0_PT6_S5_lS8_S5_lS6_PT7_S5_li
    .private_segment_fixed_size: 0
    .sgpr_count:     22
    .sgpr_spill_count: 0
    .symbol:         _ZL41rocblas_syrkx_herkx_small_restrict_kernelIidLi16ELb0ELb0ELc84ELc76EKPKdKPdEviT_T0_PT6_S5_lS8_S5_lS6_PT7_S5_li.kd
    .uniform_work_group_size: 1
    .uses_dynamic_stack: false
    .vgpr_count:     24
    .vgpr_spill_count: 0
    .wavefront_size: 32
    .workgroup_processor_mode: 1
  - .args:
      - .offset:         0
        .size:           4
        .value_kind:     by_value
      - .offset:         4
        .size:           4
        .value_kind:     by_value
      - .offset:         8
        .size:           8
        .value_kind:     by_value
      - .address_space:  global
        .offset:         16
        .size:           8
        .value_kind:     global_buffer
      - .offset:         24
        .size:           4
        .value_kind:     by_value
      - .offset:         32
        .size:           8
        .value_kind:     by_value
      - .address_space:  global
        .offset:         40
        .size:           8
        .value_kind:     global_buffer
      - .offset:         48
        .size:           4
        .value_kind:     by_value
      - .offset:         56
        .size:           8
        .value_kind:     by_value
      - .offset:         64
        .size:           8
        .value_kind:     by_value
      - .address_space:  global
        .offset:         72
        .size:           8
        .value_kind:     global_buffer
      - .offset:         80
        .size:           4
        .value_kind:     by_value
      - .offset:         88
        .size:           8
        .value_kind:     by_value
      - .offset:         96
        .size:           4
        .value_kind:     by_value
    .group_segment_fixed_size: 4096
    .kernarg_segment_align: 8
    .kernarg_segment_size: 100
    .language:       OpenCL C
    .language_version:
      - 2
      - 0
    .max_flat_workgroup_size: 256
    .name:           _ZL41rocblas_syrkx_herkx_small_restrict_kernelIidLi16ELb0ELb0ELc67ELc76EKPKdKPdEviT_T0_PT6_S5_lS8_S5_lS6_PT7_S5_li
    .private_segment_fixed_size: 0
    .sgpr_count:     22
    .sgpr_spill_count: 0
    .symbol:         _ZL41rocblas_syrkx_herkx_small_restrict_kernelIidLi16ELb0ELb0ELc67ELc76EKPKdKPdEviT_T0_PT6_S5_lS8_S5_lS6_PT7_S5_li.kd
    .uniform_work_group_size: 1
    .uses_dynamic_stack: false
    .vgpr_count:     24
    .vgpr_spill_count: 0
    .wavefront_size: 32
    .workgroup_processor_mode: 1
  - .args:
      - .offset:         0
        .size:           4
        .value_kind:     by_value
      - .offset:         4
        .size:           4
        .value_kind:     by_value
      - .offset:         8
        .size:           8
        .value_kind:     by_value
      - .address_space:  global
        .offset:         16
        .size:           8
        .value_kind:     global_buffer
      - .offset:         24
        .size:           4
        .value_kind:     by_value
      - .offset:         32
        .size:           8
        .value_kind:     by_value
      - .address_space:  global
        .offset:         40
        .size:           8
        .value_kind:     global_buffer
      - .offset:         48
        .size:           4
        .value_kind:     by_value
      - .offset:         56
        .size:           8
        .value_kind:     by_value
      - .offset:         64
        .size:           8
        .value_kind:     by_value
      - .address_space:  global
        .offset:         72
        .size:           8
        .value_kind:     global_buffer
      - .offset:         80
        .size:           4
        .value_kind:     by_value
      - .offset:         88
        .size:           8
        .value_kind:     by_value
      - .offset:         96
        .size:           4
        .value_kind:     by_value
    .group_segment_fixed_size: 4096
    .kernarg_segment_align: 8
    .kernarg_segment_size: 100
    .language:       OpenCL C
    .language_version:
      - 2
      - 0
    .max_flat_workgroup_size: 256
    .name:           _ZL41rocblas_syrkx_herkx_small_restrict_kernelIidLi16ELb0ELb0ELc78ELc76EKPKdKPdEviT_T0_PT6_S5_lS8_S5_lS6_PT7_S5_li
    .private_segment_fixed_size: 0
    .sgpr_count:     24
    .sgpr_spill_count: 0
    .symbol:         _ZL41rocblas_syrkx_herkx_small_restrict_kernelIidLi16ELb0ELb0ELc78ELc76EKPKdKPdEviT_T0_PT6_S5_lS8_S5_lS6_PT7_S5_li.kd
    .uniform_work_group_size: 1
    .uses_dynamic_stack: false
    .vgpr_count:     25
    .vgpr_spill_count: 0
    .wavefront_size: 32
    .workgroup_processor_mode: 1
  - .args:
      - .offset:         0
        .size:           4
        .value_kind:     by_value
      - .offset:         4
        .size:           4
        .value_kind:     by_value
      - .offset:         8
        .size:           8
        .value_kind:     by_value
      - .address_space:  global
        .offset:         16
        .size:           8
        .value_kind:     global_buffer
      - .offset:         24
        .size:           4
        .value_kind:     by_value
      - .offset:         32
        .size:           8
        .value_kind:     by_value
      - .address_space:  global
        .offset:         40
        .size:           8
        .value_kind:     global_buffer
      - .offset:         48
        .size:           4
        .value_kind:     by_value
      - .offset:         56
        .size:           8
        .value_kind:     by_value
      - .offset:         64
        .size:           8
        .value_kind:     by_value
      - .address_space:  global
        .offset:         72
        .size:           8
        .value_kind:     global_buffer
      - .offset:         80
        .size:           4
        .value_kind:     by_value
      - .offset:         88
        .size:           8
        .value_kind:     by_value
      - .offset:         96
        .size:           4
        .value_kind:     by_value
    .group_segment_fixed_size: 4096
    .kernarg_segment_align: 8
    .kernarg_segment_size: 100
    .language:       OpenCL C
    .language_version:
      - 2
      - 0
    .max_flat_workgroup_size: 256
    .name:           _ZL41rocblas_syrkx_herkx_small_restrict_kernelIidLi16ELb0ELb0ELc84ELc85EKPKdKPdEviT_T0_PT6_S5_lS8_S5_lS6_PT7_S5_li
    .private_segment_fixed_size: 0
    .sgpr_count:     22
    .sgpr_spill_count: 0
    .symbol:         _ZL41rocblas_syrkx_herkx_small_restrict_kernelIidLi16ELb0ELb0ELc84ELc85EKPKdKPdEviT_T0_PT6_S5_lS8_S5_lS6_PT7_S5_li.kd
    .uniform_work_group_size: 1
    .uses_dynamic_stack: false
    .vgpr_count:     24
    .vgpr_spill_count: 0
    .wavefront_size: 32
    .workgroup_processor_mode: 1
  - .args:
      - .offset:         0
        .size:           4
        .value_kind:     by_value
      - .offset:         4
        .size:           4
        .value_kind:     by_value
      - .offset:         8
        .size:           8
        .value_kind:     by_value
      - .address_space:  global
        .offset:         16
        .size:           8
        .value_kind:     global_buffer
      - .offset:         24
        .size:           4
        .value_kind:     by_value
      - .offset:         32
        .size:           8
        .value_kind:     by_value
      - .address_space:  global
        .offset:         40
        .size:           8
        .value_kind:     global_buffer
      - .offset:         48
        .size:           4
        .value_kind:     by_value
      - .offset:         56
        .size:           8
        .value_kind:     by_value
      - .offset:         64
        .size:           8
        .value_kind:     by_value
      - .address_space:  global
        .offset:         72
        .size:           8
        .value_kind:     global_buffer
      - .offset:         80
        .size:           4
        .value_kind:     by_value
      - .offset:         88
        .size:           8
        .value_kind:     by_value
      - .offset:         96
        .size:           4
        .value_kind:     by_value
    .group_segment_fixed_size: 4096
    .kernarg_segment_align: 8
    .kernarg_segment_size: 100
    .language:       OpenCL C
    .language_version:
      - 2
      - 0
    .max_flat_workgroup_size: 256
    .name:           _ZL41rocblas_syrkx_herkx_small_restrict_kernelIidLi16ELb0ELb0ELc67ELc85EKPKdKPdEviT_T0_PT6_S5_lS8_S5_lS6_PT7_S5_li
    .private_segment_fixed_size: 0
    .sgpr_count:     22
    .sgpr_spill_count: 0
    .symbol:         _ZL41rocblas_syrkx_herkx_small_restrict_kernelIidLi16ELb0ELb0ELc67ELc85EKPKdKPdEviT_T0_PT6_S5_lS8_S5_lS6_PT7_S5_li.kd
    .uniform_work_group_size: 1
    .uses_dynamic_stack: false
    .vgpr_count:     24
    .vgpr_spill_count: 0
    .wavefront_size: 32
    .workgroup_processor_mode: 1
  - .args:
      - .offset:         0
        .size:           4
        .value_kind:     by_value
      - .offset:         4
        .size:           4
        .value_kind:     by_value
      - .offset:         8
        .size:           8
        .value_kind:     by_value
      - .address_space:  global
        .offset:         16
        .size:           8
        .value_kind:     global_buffer
      - .offset:         24
        .size:           4
        .value_kind:     by_value
      - .offset:         32
        .size:           8
        .value_kind:     by_value
      - .address_space:  global
        .offset:         40
        .size:           8
        .value_kind:     global_buffer
      - .offset:         48
        .size:           4
        .value_kind:     by_value
      - .offset:         56
        .size:           8
        .value_kind:     by_value
      - .offset:         64
        .size:           8
        .value_kind:     by_value
      - .address_space:  global
        .offset:         72
        .size:           8
        .value_kind:     global_buffer
      - .offset:         80
        .size:           4
        .value_kind:     by_value
      - .offset:         88
        .size:           8
        .value_kind:     by_value
      - .offset:         96
        .size:           4
        .value_kind:     by_value
    .group_segment_fixed_size: 4096
    .kernarg_segment_align: 8
    .kernarg_segment_size: 100
    .language:       OpenCL C
    .language_version:
      - 2
      - 0
    .max_flat_workgroup_size: 256
    .name:           _ZL41rocblas_syrkx_herkx_small_restrict_kernelIidLi16ELb0ELb0ELc78ELc85EKPKdKPdEviT_T0_PT6_S5_lS8_S5_lS6_PT7_S5_li
    .private_segment_fixed_size: 0
    .sgpr_count:     24
    .sgpr_spill_count: 0
    .symbol:         _ZL41rocblas_syrkx_herkx_small_restrict_kernelIidLi16ELb0ELb0ELc78ELc85EKPKdKPdEviT_T0_PT6_S5_lS8_S5_lS6_PT7_S5_li.kd
    .uniform_work_group_size: 1
    .uses_dynamic_stack: false
    .vgpr_count:     25
    .vgpr_spill_count: 0
    .wavefront_size: 32
    .workgroup_processor_mode: 1
  - .args:
      - .offset:         0
        .size:           4
        .value_kind:     by_value
      - .offset:         4
        .size:           4
        .value_kind:     by_value
      - .offset:         8
        .size:           8
        .value_kind:     by_value
      - .address_space:  global
        .offset:         16
        .size:           8
        .value_kind:     global_buffer
      - .offset:         24
        .size:           4
        .value_kind:     by_value
      - .offset:         32
        .size:           8
        .value_kind:     by_value
      - .address_space:  global
        .offset:         40
        .size:           8
        .value_kind:     global_buffer
      - .offset:         48
        .size:           4
        .value_kind:     by_value
      - .offset:         56
        .size:           8
        .value_kind:     by_value
      - .offset:         64
        .size:           8
        .value_kind:     by_value
      - .address_space:  global
        .offset:         72
        .size:           8
        .value_kind:     global_buffer
      - .offset:         80
        .size:           4
        .value_kind:     by_value
      - .offset:         88
        .size:           8
        .value_kind:     by_value
      - .offset:         96
        .size:           4
        .value_kind:     by_value
    .group_segment_fixed_size: 4096
    .kernarg_segment_align: 8
    .kernarg_segment_size: 100
    .language:       OpenCL C
    .language_version:
      - 2
      - 0
    .max_flat_workgroup_size: 256
    .name:           _ZL32rocblas_syrkx_herkx_small_kernelIidLi16ELb1ELb0ELc84ELc76EKPKdKPdEviT_T0_PT6_S5_lS8_S5_lS6_PT7_S5_li
    .private_segment_fixed_size: 0
    .sgpr_count:     22
    .sgpr_spill_count: 0
    .symbol:         _ZL32rocblas_syrkx_herkx_small_kernelIidLi16ELb1ELb0ELc84ELc76EKPKdKPdEviT_T0_PT6_S5_lS8_S5_lS6_PT7_S5_li.kd
    .uniform_work_group_size: 1
    .uses_dynamic_stack: false
    .vgpr_count:     28
    .vgpr_spill_count: 0
    .wavefront_size: 32
    .workgroup_processor_mode: 1
  - .args:
      - .offset:         0
        .size:           4
        .value_kind:     by_value
      - .offset:         4
        .size:           4
        .value_kind:     by_value
      - .offset:         8
        .size:           8
        .value_kind:     by_value
      - .address_space:  global
        .offset:         16
        .size:           8
        .value_kind:     global_buffer
      - .offset:         24
        .size:           4
        .value_kind:     by_value
      - .offset:         32
        .size:           8
        .value_kind:     by_value
      - .address_space:  global
        .offset:         40
        .size:           8
        .value_kind:     global_buffer
      - .offset:         48
        .size:           4
        .value_kind:     by_value
      - .offset:         56
        .size:           8
        .value_kind:     by_value
      - .offset:         64
        .size:           8
        .value_kind:     by_value
      - .address_space:  global
        .offset:         72
        .size:           8
        .value_kind:     global_buffer
      - .offset:         80
        .size:           4
        .value_kind:     by_value
      - .offset:         88
        .size:           8
        .value_kind:     by_value
      - .offset:         96
        .size:           4
        .value_kind:     by_value
    .group_segment_fixed_size: 4096
    .kernarg_segment_align: 8
    .kernarg_segment_size: 100
    .language:       OpenCL C
    .language_version:
      - 2
      - 0
    .max_flat_workgroup_size: 256
    .name:           _ZL32rocblas_syrkx_herkx_small_kernelIidLi16ELb1ELb0ELc67ELc76EKPKdKPdEviT_T0_PT6_S5_lS8_S5_lS6_PT7_S5_li
    .private_segment_fixed_size: 0
    .sgpr_count:     22
    .sgpr_spill_count: 0
    .symbol:         _ZL32rocblas_syrkx_herkx_small_kernelIidLi16ELb1ELb0ELc67ELc76EKPKdKPdEviT_T0_PT6_S5_lS8_S5_lS6_PT7_S5_li.kd
    .uniform_work_group_size: 1
    .uses_dynamic_stack: false
    .vgpr_count:     28
    .vgpr_spill_count: 0
    .wavefront_size: 32
    .workgroup_processor_mode: 1
  - .args:
      - .offset:         0
        .size:           4
        .value_kind:     by_value
      - .offset:         4
        .size:           4
        .value_kind:     by_value
      - .offset:         8
        .size:           8
        .value_kind:     by_value
      - .address_space:  global
        .offset:         16
        .size:           8
        .value_kind:     global_buffer
      - .offset:         24
        .size:           4
        .value_kind:     by_value
      - .offset:         32
        .size:           8
        .value_kind:     by_value
      - .address_space:  global
        .offset:         40
        .size:           8
        .value_kind:     global_buffer
      - .offset:         48
        .size:           4
        .value_kind:     by_value
      - .offset:         56
        .size:           8
        .value_kind:     by_value
      - .offset:         64
        .size:           8
        .value_kind:     by_value
      - .address_space:  global
        .offset:         72
        .size:           8
        .value_kind:     global_buffer
      - .offset:         80
        .size:           4
        .value_kind:     by_value
      - .offset:         88
        .size:           8
        .value_kind:     by_value
      - .offset:         96
        .size:           4
        .value_kind:     by_value
    .group_segment_fixed_size: 4096
    .kernarg_segment_align: 8
    .kernarg_segment_size: 100
    .language:       OpenCL C
    .language_version:
      - 2
      - 0
    .max_flat_workgroup_size: 256
    .name:           _ZL32rocblas_syrkx_herkx_small_kernelIidLi16ELb1ELb0ELc78ELc76EKPKdKPdEviT_T0_PT6_S5_lS8_S5_lS6_PT7_S5_li
    .private_segment_fixed_size: 0
    .sgpr_count:     24
    .sgpr_spill_count: 0
    .symbol:         _ZL32rocblas_syrkx_herkx_small_kernelIidLi16ELb1ELb0ELc78ELc76EKPKdKPdEviT_T0_PT6_S5_lS8_S5_lS6_PT7_S5_li.kd
    .uniform_work_group_size: 1
    .uses_dynamic_stack: false
    .vgpr_count:     29
    .vgpr_spill_count: 0
    .wavefront_size: 32
    .workgroup_processor_mode: 1
  - .args:
      - .offset:         0
        .size:           4
        .value_kind:     by_value
      - .offset:         4
        .size:           4
        .value_kind:     by_value
      - .offset:         8
        .size:           8
        .value_kind:     by_value
      - .address_space:  global
        .offset:         16
        .size:           8
        .value_kind:     global_buffer
      - .offset:         24
        .size:           4
        .value_kind:     by_value
      - .offset:         32
        .size:           8
        .value_kind:     by_value
      - .address_space:  global
        .offset:         40
        .size:           8
        .value_kind:     global_buffer
      - .offset:         48
        .size:           4
        .value_kind:     by_value
      - .offset:         56
        .size:           8
        .value_kind:     by_value
      - .offset:         64
        .size:           8
        .value_kind:     by_value
      - .address_space:  global
        .offset:         72
        .size:           8
        .value_kind:     global_buffer
      - .offset:         80
        .size:           4
        .value_kind:     by_value
      - .offset:         88
        .size:           8
        .value_kind:     by_value
      - .offset:         96
        .size:           4
        .value_kind:     by_value
    .group_segment_fixed_size: 4096
    .kernarg_segment_align: 8
    .kernarg_segment_size: 100
    .language:       OpenCL C
    .language_version:
      - 2
      - 0
    .max_flat_workgroup_size: 256
    .name:           _ZL32rocblas_syrkx_herkx_small_kernelIidLi16ELb1ELb0ELc84ELc85EKPKdKPdEviT_T0_PT6_S5_lS8_S5_lS6_PT7_S5_li
    .private_segment_fixed_size: 0
    .sgpr_count:     22
    .sgpr_spill_count: 0
    .symbol:         _ZL32rocblas_syrkx_herkx_small_kernelIidLi16ELb1ELb0ELc84ELc85EKPKdKPdEviT_T0_PT6_S5_lS8_S5_lS6_PT7_S5_li.kd
    .uniform_work_group_size: 1
    .uses_dynamic_stack: false
    .vgpr_count:     28
    .vgpr_spill_count: 0
    .wavefront_size: 32
    .workgroup_processor_mode: 1
  - .args:
      - .offset:         0
        .size:           4
        .value_kind:     by_value
      - .offset:         4
        .size:           4
        .value_kind:     by_value
      - .offset:         8
        .size:           8
        .value_kind:     by_value
      - .address_space:  global
        .offset:         16
        .size:           8
        .value_kind:     global_buffer
      - .offset:         24
        .size:           4
        .value_kind:     by_value
      - .offset:         32
        .size:           8
        .value_kind:     by_value
      - .address_space:  global
        .offset:         40
        .size:           8
        .value_kind:     global_buffer
      - .offset:         48
        .size:           4
        .value_kind:     by_value
      - .offset:         56
        .size:           8
        .value_kind:     by_value
      - .offset:         64
        .size:           8
        .value_kind:     by_value
      - .address_space:  global
        .offset:         72
        .size:           8
        .value_kind:     global_buffer
      - .offset:         80
        .size:           4
        .value_kind:     by_value
      - .offset:         88
        .size:           8
        .value_kind:     by_value
      - .offset:         96
        .size:           4
        .value_kind:     by_value
    .group_segment_fixed_size: 4096
    .kernarg_segment_align: 8
    .kernarg_segment_size: 100
    .language:       OpenCL C
    .language_version:
      - 2
      - 0
    .max_flat_workgroup_size: 256
    .name:           _ZL32rocblas_syrkx_herkx_small_kernelIidLi16ELb1ELb0ELc67ELc85EKPKdKPdEviT_T0_PT6_S5_lS8_S5_lS6_PT7_S5_li
    .private_segment_fixed_size: 0
    .sgpr_count:     22
    .sgpr_spill_count: 0
    .symbol:         _ZL32rocblas_syrkx_herkx_small_kernelIidLi16ELb1ELb0ELc67ELc85EKPKdKPdEviT_T0_PT6_S5_lS8_S5_lS6_PT7_S5_li.kd
    .uniform_work_group_size: 1
    .uses_dynamic_stack: false
    .vgpr_count:     28
    .vgpr_spill_count: 0
    .wavefront_size: 32
    .workgroup_processor_mode: 1
  - .args:
      - .offset:         0
        .size:           4
        .value_kind:     by_value
      - .offset:         4
        .size:           4
        .value_kind:     by_value
      - .offset:         8
        .size:           8
        .value_kind:     by_value
      - .address_space:  global
        .offset:         16
        .size:           8
        .value_kind:     global_buffer
      - .offset:         24
        .size:           4
        .value_kind:     by_value
      - .offset:         32
        .size:           8
        .value_kind:     by_value
      - .address_space:  global
        .offset:         40
        .size:           8
        .value_kind:     global_buffer
      - .offset:         48
        .size:           4
        .value_kind:     by_value
      - .offset:         56
        .size:           8
        .value_kind:     by_value
      - .offset:         64
        .size:           8
        .value_kind:     by_value
      - .address_space:  global
        .offset:         72
        .size:           8
        .value_kind:     global_buffer
      - .offset:         80
        .size:           4
        .value_kind:     by_value
      - .offset:         88
        .size:           8
        .value_kind:     by_value
      - .offset:         96
        .size:           4
        .value_kind:     by_value
    .group_segment_fixed_size: 4096
    .kernarg_segment_align: 8
    .kernarg_segment_size: 100
    .language:       OpenCL C
    .language_version:
      - 2
      - 0
    .max_flat_workgroup_size: 256
    .name:           _ZL32rocblas_syrkx_herkx_small_kernelIidLi16ELb1ELb0ELc78ELc85EKPKdKPdEviT_T0_PT6_S5_lS8_S5_lS6_PT7_S5_li
    .private_segment_fixed_size: 0
    .sgpr_count:     24
    .sgpr_spill_count: 0
    .symbol:         _ZL32rocblas_syrkx_herkx_small_kernelIidLi16ELb1ELb0ELc78ELc85EKPKdKPdEviT_T0_PT6_S5_lS8_S5_lS6_PT7_S5_li.kd
    .uniform_work_group_size: 1
    .uses_dynamic_stack: false
    .vgpr_count:     29
    .vgpr_spill_count: 0
    .wavefront_size: 32
    .workgroup_processor_mode: 1
  - .args:
      - .offset:         0
        .size:           4
        .value_kind:     by_value
      - .offset:         4
        .size:           4
        .value_kind:     by_value
      - .offset:         8
        .size:           8
        .value_kind:     by_value
      - .address_space:  global
        .offset:         16
        .size:           8
        .value_kind:     global_buffer
      - .offset:         24
        .size:           4
        .value_kind:     by_value
      - .offset:         32
        .size:           8
        .value_kind:     by_value
      - .address_space:  global
        .offset:         40
        .size:           8
        .value_kind:     global_buffer
      - .offset:         48
        .size:           4
        .value_kind:     by_value
      - .offset:         56
        .size:           8
        .value_kind:     by_value
      - .offset:         64
        .size:           8
        .value_kind:     by_value
      - .address_space:  global
        .offset:         72
        .size:           8
        .value_kind:     global_buffer
      - .offset:         80
        .size:           4
        .value_kind:     by_value
      - .offset:         88
        .size:           8
        .value_kind:     by_value
      - .offset:         96
        .size:           4
        .value_kind:     by_value
    .group_segment_fixed_size: 4096
    .kernarg_segment_align: 8
    .kernarg_segment_size: 100
    .language:       OpenCL C
    .language_version:
      - 2
      - 0
    .max_flat_workgroup_size: 256
    .name:           _ZL32rocblas_syrkx_herkx_small_kernelIidLi16ELb0ELb0ELc84ELc76EKPKdKPdEviT_T0_PT6_S5_lS8_S5_lS6_PT7_S5_li
    .private_segment_fixed_size: 0
    .sgpr_count:     24
    .sgpr_spill_count: 0
    .symbol:         _ZL32rocblas_syrkx_herkx_small_kernelIidLi16ELb0ELb0ELc84ELc76EKPKdKPdEviT_T0_PT6_S5_lS8_S5_lS6_PT7_S5_li.kd
    .uniform_work_group_size: 1
    .uses_dynamic_stack: false
    .vgpr_count:     28
    .vgpr_spill_count: 0
    .wavefront_size: 32
    .workgroup_processor_mode: 1
  - .args:
      - .offset:         0
        .size:           4
        .value_kind:     by_value
      - .offset:         4
        .size:           4
        .value_kind:     by_value
      - .offset:         8
        .size:           8
        .value_kind:     by_value
      - .address_space:  global
        .offset:         16
        .size:           8
        .value_kind:     global_buffer
      - .offset:         24
        .size:           4
        .value_kind:     by_value
      - .offset:         32
        .size:           8
        .value_kind:     by_value
      - .address_space:  global
        .offset:         40
        .size:           8
        .value_kind:     global_buffer
      - .offset:         48
        .size:           4
        .value_kind:     by_value
      - .offset:         56
        .size:           8
        .value_kind:     by_value
      - .offset:         64
        .size:           8
        .value_kind:     by_value
      - .address_space:  global
        .offset:         72
        .size:           8
        .value_kind:     global_buffer
      - .offset:         80
        .size:           4
        .value_kind:     by_value
      - .offset:         88
        .size:           8
        .value_kind:     by_value
      - .offset:         96
        .size:           4
        .value_kind:     by_value
    .group_segment_fixed_size: 4096
    .kernarg_segment_align: 8
    .kernarg_segment_size: 100
    .language:       OpenCL C
    .language_version:
      - 2
      - 0
    .max_flat_workgroup_size: 256
    .name:           _ZL32rocblas_syrkx_herkx_small_kernelIidLi16ELb0ELb0ELc67ELc76EKPKdKPdEviT_T0_PT6_S5_lS8_S5_lS6_PT7_S5_li
    .private_segment_fixed_size: 0
    .sgpr_count:     24
    .sgpr_spill_count: 0
    .symbol:         _ZL32rocblas_syrkx_herkx_small_kernelIidLi16ELb0ELb0ELc67ELc76EKPKdKPdEviT_T0_PT6_S5_lS8_S5_lS6_PT7_S5_li.kd
    .uniform_work_group_size: 1
    .uses_dynamic_stack: false
    .vgpr_count:     28
    .vgpr_spill_count: 0
    .wavefront_size: 32
    .workgroup_processor_mode: 1
  - .args:
      - .offset:         0
        .size:           4
        .value_kind:     by_value
      - .offset:         4
        .size:           4
        .value_kind:     by_value
      - .offset:         8
        .size:           8
        .value_kind:     by_value
      - .address_space:  global
        .offset:         16
        .size:           8
        .value_kind:     global_buffer
      - .offset:         24
        .size:           4
        .value_kind:     by_value
      - .offset:         32
        .size:           8
        .value_kind:     by_value
      - .address_space:  global
        .offset:         40
        .size:           8
        .value_kind:     global_buffer
      - .offset:         48
        .size:           4
        .value_kind:     by_value
      - .offset:         56
        .size:           8
        .value_kind:     by_value
      - .offset:         64
        .size:           8
        .value_kind:     by_value
      - .address_space:  global
        .offset:         72
        .size:           8
        .value_kind:     global_buffer
      - .offset:         80
        .size:           4
        .value_kind:     by_value
      - .offset:         88
        .size:           8
        .value_kind:     by_value
      - .offset:         96
        .size:           4
        .value_kind:     by_value
    .group_segment_fixed_size: 4096
    .kernarg_segment_align: 8
    .kernarg_segment_size: 100
    .language:       OpenCL C
    .language_version:
      - 2
      - 0
    .max_flat_workgroup_size: 256
    .name:           _ZL32rocblas_syrkx_herkx_small_kernelIidLi16ELb0ELb0ELc78ELc76EKPKdKPdEviT_T0_PT6_S5_lS8_S5_lS6_PT7_S5_li
    .private_segment_fixed_size: 0
    .sgpr_count:     26
    .sgpr_spill_count: 0
    .symbol:         _ZL32rocblas_syrkx_herkx_small_kernelIidLi16ELb0ELb0ELc78ELc76EKPKdKPdEviT_T0_PT6_S5_lS8_S5_lS6_PT7_S5_li.kd
    .uniform_work_group_size: 1
    .uses_dynamic_stack: false
    .vgpr_count:     29
    .vgpr_spill_count: 0
    .wavefront_size: 32
    .workgroup_processor_mode: 1
  - .args:
      - .offset:         0
        .size:           4
        .value_kind:     by_value
      - .offset:         4
        .size:           4
        .value_kind:     by_value
      - .offset:         8
        .size:           8
        .value_kind:     by_value
      - .address_space:  global
        .offset:         16
        .size:           8
        .value_kind:     global_buffer
      - .offset:         24
        .size:           4
        .value_kind:     by_value
      - .offset:         32
        .size:           8
        .value_kind:     by_value
      - .address_space:  global
        .offset:         40
        .size:           8
        .value_kind:     global_buffer
      - .offset:         48
        .size:           4
        .value_kind:     by_value
      - .offset:         56
        .size:           8
        .value_kind:     by_value
      - .offset:         64
        .size:           8
        .value_kind:     by_value
      - .address_space:  global
        .offset:         72
        .size:           8
        .value_kind:     global_buffer
      - .offset:         80
        .size:           4
        .value_kind:     by_value
      - .offset:         88
        .size:           8
        .value_kind:     by_value
      - .offset:         96
        .size:           4
        .value_kind:     by_value
    .group_segment_fixed_size: 4096
    .kernarg_segment_align: 8
    .kernarg_segment_size: 100
    .language:       OpenCL C
    .language_version:
      - 2
      - 0
    .max_flat_workgroup_size: 256
    .name:           _ZL32rocblas_syrkx_herkx_small_kernelIidLi16ELb0ELb0ELc84ELc85EKPKdKPdEviT_T0_PT6_S5_lS8_S5_lS6_PT7_S5_li
    .private_segment_fixed_size: 0
    .sgpr_count:     24
    .sgpr_spill_count: 0
    .symbol:         _ZL32rocblas_syrkx_herkx_small_kernelIidLi16ELb0ELb0ELc84ELc85EKPKdKPdEviT_T0_PT6_S5_lS8_S5_lS6_PT7_S5_li.kd
    .uniform_work_group_size: 1
    .uses_dynamic_stack: false
    .vgpr_count:     28
    .vgpr_spill_count: 0
    .wavefront_size: 32
    .workgroup_processor_mode: 1
  - .args:
      - .offset:         0
        .size:           4
        .value_kind:     by_value
      - .offset:         4
        .size:           4
        .value_kind:     by_value
      - .offset:         8
        .size:           8
        .value_kind:     by_value
      - .address_space:  global
        .offset:         16
        .size:           8
        .value_kind:     global_buffer
      - .offset:         24
        .size:           4
        .value_kind:     by_value
      - .offset:         32
        .size:           8
        .value_kind:     by_value
      - .address_space:  global
        .offset:         40
        .size:           8
        .value_kind:     global_buffer
      - .offset:         48
        .size:           4
        .value_kind:     by_value
      - .offset:         56
        .size:           8
        .value_kind:     by_value
      - .offset:         64
        .size:           8
        .value_kind:     by_value
      - .address_space:  global
        .offset:         72
        .size:           8
        .value_kind:     global_buffer
      - .offset:         80
        .size:           4
        .value_kind:     by_value
      - .offset:         88
        .size:           8
        .value_kind:     by_value
      - .offset:         96
        .size:           4
        .value_kind:     by_value
    .group_segment_fixed_size: 4096
    .kernarg_segment_align: 8
    .kernarg_segment_size: 100
    .language:       OpenCL C
    .language_version:
      - 2
      - 0
    .max_flat_workgroup_size: 256
    .name:           _ZL32rocblas_syrkx_herkx_small_kernelIidLi16ELb0ELb0ELc67ELc85EKPKdKPdEviT_T0_PT6_S5_lS8_S5_lS6_PT7_S5_li
    .private_segment_fixed_size: 0
    .sgpr_count:     24
    .sgpr_spill_count: 0
    .symbol:         _ZL32rocblas_syrkx_herkx_small_kernelIidLi16ELb0ELb0ELc67ELc85EKPKdKPdEviT_T0_PT6_S5_lS8_S5_lS6_PT7_S5_li.kd
    .uniform_work_group_size: 1
    .uses_dynamic_stack: false
    .vgpr_count:     28
    .vgpr_spill_count: 0
    .wavefront_size: 32
    .workgroup_processor_mode: 1
  - .args:
      - .offset:         0
        .size:           4
        .value_kind:     by_value
      - .offset:         4
        .size:           4
        .value_kind:     by_value
      - .offset:         8
        .size:           8
        .value_kind:     by_value
      - .address_space:  global
        .offset:         16
        .size:           8
        .value_kind:     global_buffer
      - .offset:         24
        .size:           4
        .value_kind:     by_value
      - .offset:         32
        .size:           8
        .value_kind:     by_value
      - .address_space:  global
        .offset:         40
        .size:           8
        .value_kind:     global_buffer
      - .offset:         48
        .size:           4
        .value_kind:     by_value
      - .offset:         56
        .size:           8
        .value_kind:     by_value
      - .offset:         64
        .size:           8
        .value_kind:     by_value
      - .address_space:  global
        .offset:         72
        .size:           8
        .value_kind:     global_buffer
      - .offset:         80
        .size:           4
        .value_kind:     by_value
      - .offset:         88
        .size:           8
        .value_kind:     by_value
      - .offset:         96
        .size:           4
        .value_kind:     by_value
    .group_segment_fixed_size: 4096
    .kernarg_segment_align: 8
    .kernarg_segment_size: 100
    .language:       OpenCL C
    .language_version:
      - 2
      - 0
    .max_flat_workgroup_size: 256
    .name:           _ZL32rocblas_syrkx_herkx_small_kernelIidLi16ELb0ELb0ELc78ELc85EKPKdKPdEviT_T0_PT6_S5_lS8_S5_lS6_PT7_S5_li
    .private_segment_fixed_size: 0
    .sgpr_count:     26
    .sgpr_spill_count: 0
    .symbol:         _ZL32rocblas_syrkx_herkx_small_kernelIidLi16ELb0ELb0ELc78ELc85EKPKdKPdEviT_T0_PT6_S5_lS8_S5_lS6_PT7_S5_li.kd
    .uniform_work_group_size: 1
    .uses_dynamic_stack: false
    .vgpr_count:     29
    .vgpr_spill_count: 0
    .wavefront_size: 32
    .workgroup_processor_mode: 1
  - .args:
      - .offset:         0
        .size:           4
        .value_kind:     by_value
      - .offset:         4
        .size:           4
        .value_kind:     by_value
      - .offset:         8
        .size:           8
        .value_kind:     by_value
      - .address_space:  global
        .offset:         16
        .size:           8
        .value_kind:     global_buffer
      - .offset:         24
        .size:           4
        .value_kind:     by_value
      - .offset:         32
        .size:           8
        .value_kind:     by_value
      - .address_space:  global
        .offset:         40
        .size:           8
        .value_kind:     global_buffer
      - .offset:         48
        .size:           4
        .value_kind:     by_value
      - .offset:         56
        .size:           8
        .value_kind:     by_value
      - .offset:         64
        .size:           8
        .value_kind:     by_value
      - .address_space:  global
        .offset:         72
        .size:           8
        .value_kind:     global_buffer
      - .offset:         80
        .size:           4
        .value_kind:     by_value
      - .offset:         88
        .size:           8
        .value_kind:     by_value
      - .offset:         96
        .size:           4
        .value_kind:     by_value
    .group_segment_fixed_size: 4096
    .kernarg_segment_align: 8
    .kernarg_segment_size: 100
    .language:       OpenCL C
    .language_version:
      - 2
      - 0
    .max_flat_workgroup_size: 256
    .name:           _ZL34rocblas_syrkx_herkx_general_kernelIidLi16ELi32ELi8ELb1ELb0ELc84ELc76EKPKdKPdEviT_T0_PT8_S5_lS8_S5_lS6_PT9_S5_li
    .private_segment_fixed_size: 0
    .sgpr_count:     21
    .sgpr_spill_count: 0
    .symbol:         _ZL34rocblas_syrkx_herkx_general_kernelIidLi16ELi32ELi8ELb1ELb0ELc84ELc76EKPKdKPdEviT_T0_PT8_S5_lS8_S5_lS6_PT9_S5_li.kd
    .uniform_work_group_size: 1
    .uses_dynamic_stack: false
    .vgpr_count:     44
    .vgpr_spill_count: 0
    .wavefront_size: 32
    .workgroup_processor_mode: 1
  - .args:
      - .offset:         0
        .size:           4
        .value_kind:     by_value
      - .offset:         4
        .size:           4
        .value_kind:     by_value
      - .offset:         8
        .size:           8
        .value_kind:     by_value
      - .address_space:  global
        .offset:         16
        .size:           8
        .value_kind:     global_buffer
      - .offset:         24
        .size:           4
        .value_kind:     by_value
      - .offset:         32
        .size:           8
        .value_kind:     by_value
      - .address_space:  global
        .offset:         40
        .size:           8
        .value_kind:     global_buffer
      - .offset:         48
        .size:           4
        .value_kind:     by_value
      - .offset:         56
        .size:           8
        .value_kind:     by_value
      - .offset:         64
        .size:           8
        .value_kind:     by_value
      - .address_space:  global
        .offset:         72
        .size:           8
        .value_kind:     global_buffer
      - .offset:         80
        .size:           4
        .value_kind:     by_value
      - .offset:         88
        .size:           8
        .value_kind:     by_value
      - .offset:         96
        .size:           4
        .value_kind:     by_value
    .group_segment_fixed_size: 4096
    .kernarg_segment_align: 8
    .kernarg_segment_size: 100
    .language:       OpenCL C
    .language_version:
      - 2
      - 0
    .max_flat_workgroup_size: 256
    .name:           _ZL34rocblas_syrkx_herkx_general_kernelIidLi16ELi32ELi8ELb1ELb0ELc67ELc76EKPKdKPdEviT_T0_PT8_S5_lS8_S5_lS6_PT9_S5_li
    .private_segment_fixed_size: 0
    .sgpr_count:     21
    .sgpr_spill_count: 0
    .symbol:         _ZL34rocblas_syrkx_herkx_general_kernelIidLi16ELi32ELi8ELb1ELb0ELc67ELc76EKPKdKPdEviT_T0_PT8_S5_lS8_S5_lS6_PT9_S5_li.kd
    .uniform_work_group_size: 1
    .uses_dynamic_stack: false
    .vgpr_count:     44
    .vgpr_spill_count: 0
    .wavefront_size: 32
    .workgroup_processor_mode: 1
  - .args:
      - .offset:         0
        .size:           4
        .value_kind:     by_value
      - .offset:         4
        .size:           4
        .value_kind:     by_value
      - .offset:         8
        .size:           8
        .value_kind:     by_value
      - .address_space:  global
        .offset:         16
        .size:           8
        .value_kind:     global_buffer
      - .offset:         24
        .size:           4
        .value_kind:     by_value
      - .offset:         32
        .size:           8
        .value_kind:     by_value
      - .address_space:  global
        .offset:         40
        .size:           8
        .value_kind:     global_buffer
      - .offset:         48
        .size:           4
        .value_kind:     by_value
      - .offset:         56
        .size:           8
        .value_kind:     by_value
      - .offset:         64
        .size:           8
        .value_kind:     by_value
      - .address_space:  global
        .offset:         72
        .size:           8
        .value_kind:     global_buffer
      - .offset:         80
        .size:           4
        .value_kind:     by_value
      - .offset:         88
        .size:           8
        .value_kind:     by_value
      - .offset:         96
        .size:           4
        .value_kind:     by_value
    .group_segment_fixed_size: 4096
    .kernarg_segment_align: 8
    .kernarg_segment_size: 100
    .language:       OpenCL C
    .language_version:
      - 2
      - 0
    .max_flat_workgroup_size: 256
    .name:           _ZL34rocblas_syrkx_herkx_general_kernelIidLi16ELi32ELi8ELb1ELb0ELc78ELc76EKPKdKPdEviT_T0_PT8_S5_lS8_S5_lS6_PT9_S5_li
    .private_segment_fixed_size: 0
    .sgpr_count:     24
    .sgpr_spill_count: 0
    .symbol:         _ZL34rocblas_syrkx_herkx_general_kernelIidLi16ELi32ELi8ELb1ELb0ELc78ELc76EKPKdKPdEviT_T0_PT8_S5_lS8_S5_lS6_PT9_S5_li.kd
    .uniform_work_group_size: 1
    .uses_dynamic_stack: false
    .vgpr_count:     44
    .vgpr_spill_count: 0
    .wavefront_size: 32
    .workgroup_processor_mode: 1
  - .args:
      - .offset:         0
        .size:           4
        .value_kind:     by_value
      - .offset:         4
        .size:           4
        .value_kind:     by_value
      - .offset:         8
        .size:           8
        .value_kind:     by_value
      - .address_space:  global
        .offset:         16
        .size:           8
        .value_kind:     global_buffer
      - .offset:         24
        .size:           4
        .value_kind:     by_value
      - .offset:         32
        .size:           8
        .value_kind:     by_value
      - .address_space:  global
        .offset:         40
        .size:           8
        .value_kind:     global_buffer
      - .offset:         48
        .size:           4
        .value_kind:     by_value
      - .offset:         56
        .size:           8
        .value_kind:     by_value
      - .offset:         64
        .size:           8
        .value_kind:     by_value
      - .address_space:  global
        .offset:         72
        .size:           8
        .value_kind:     global_buffer
      - .offset:         80
        .size:           4
        .value_kind:     by_value
      - .offset:         88
        .size:           8
        .value_kind:     by_value
      - .offset:         96
        .size:           4
        .value_kind:     by_value
    .group_segment_fixed_size: 4096
    .kernarg_segment_align: 8
    .kernarg_segment_size: 100
    .language:       OpenCL C
    .language_version:
      - 2
      - 0
    .max_flat_workgroup_size: 256
    .name:           _ZL34rocblas_syrkx_herkx_general_kernelIidLi16ELi32ELi8ELb1ELb0ELc84ELc85EKPKdKPdEviT_T0_PT8_S5_lS8_S5_lS6_PT9_S5_li
    .private_segment_fixed_size: 0
    .sgpr_count:     21
    .sgpr_spill_count: 0
    .symbol:         _ZL34rocblas_syrkx_herkx_general_kernelIidLi16ELi32ELi8ELb1ELb0ELc84ELc85EKPKdKPdEviT_T0_PT8_S5_lS8_S5_lS6_PT9_S5_li.kd
    .uniform_work_group_size: 1
    .uses_dynamic_stack: false
    .vgpr_count:     42
    .vgpr_spill_count: 0
    .wavefront_size: 32
    .workgroup_processor_mode: 1
  - .args:
      - .offset:         0
        .size:           4
        .value_kind:     by_value
      - .offset:         4
        .size:           4
        .value_kind:     by_value
      - .offset:         8
        .size:           8
        .value_kind:     by_value
      - .address_space:  global
        .offset:         16
        .size:           8
        .value_kind:     global_buffer
      - .offset:         24
        .size:           4
        .value_kind:     by_value
      - .offset:         32
        .size:           8
        .value_kind:     by_value
      - .address_space:  global
        .offset:         40
        .size:           8
        .value_kind:     global_buffer
      - .offset:         48
        .size:           4
        .value_kind:     by_value
      - .offset:         56
        .size:           8
        .value_kind:     by_value
      - .offset:         64
        .size:           8
        .value_kind:     by_value
      - .address_space:  global
        .offset:         72
        .size:           8
        .value_kind:     global_buffer
      - .offset:         80
        .size:           4
        .value_kind:     by_value
      - .offset:         88
        .size:           8
        .value_kind:     by_value
      - .offset:         96
        .size:           4
        .value_kind:     by_value
    .group_segment_fixed_size: 4096
    .kernarg_segment_align: 8
    .kernarg_segment_size: 100
    .language:       OpenCL C
    .language_version:
      - 2
      - 0
    .max_flat_workgroup_size: 256
    .name:           _ZL34rocblas_syrkx_herkx_general_kernelIidLi16ELi32ELi8ELb1ELb0ELc67ELc85EKPKdKPdEviT_T0_PT8_S5_lS8_S5_lS6_PT9_S5_li
    .private_segment_fixed_size: 0
    .sgpr_count:     21
    .sgpr_spill_count: 0
    .symbol:         _ZL34rocblas_syrkx_herkx_general_kernelIidLi16ELi32ELi8ELb1ELb0ELc67ELc85EKPKdKPdEviT_T0_PT8_S5_lS8_S5_lS6_PT9_S5_li.kd
    .uniform_work_group_size: 1
    .uses_dynamic_stack: false
    .vgpr_count:     42
    .vgpr_spill_count: 0
    .wavefront_size: 32
    .workgroup_processor_mode: 1
  - .args:
      - .offset:         0
        .size:           4
        .value_kind:     by_value
      - .offset:         4
        .size:           4
        .value_kind:     by_value
      - .offset:         8
        .size:           8
        .value_kind:     by_value
      - .address_space:  global
        .offset:         16
        .size:           8
        .value_kind:     global_buffer
      - .offset:         24
        .size:           4
        .value_kind:     by_value
      - .offset:         32
        .size:           8
        .value_kind:     by_value
      - .address_space:  global
        .offset:         40
        .size:           8
        .value_kind:     global_buffer
      - .offset:         48
        .size:           4
        .value_kind:     by_value
      - .offset:         56
        .size:           8
        .value_kind:     by_value
      - .offset:         64
        .size:           8
        .value_kind:     by_value
      - .address_space:  global
        .offset:         72
        .size:           8
        .value_kind:     global_buffer
      - .offset:         80
        .size:           4
        .value_kind:     by_value
      - .offset:         88
        .size:           8
        .value_kind:     by_value
      - .offset:         96
        .size:           4
        .value_kind:     by_value
    .group_segment_fixed_size: 4096
    .kernarg_segment_align: 8
    .kernarg_segment_size: 100
    .language:       OpenCL C
    .language_version:
      - 2
      - 0
    .max_flat_workgroup_size: 256
    .name:           _ZL34rocblas_syrkx_herkx_general_kernelIidLi16ELi32ELi8ELb1ELb0ELc78ELc85EKPKdKPdEviT_T0_PT8_S5_lS8_S5_lS6_PT9_S5_li
    .private_segment_fixed_size: 0
    .sgpr_count:     24
    .sgpr_spill_count: 0
    .symbol:         _ZL34rocblas_syrkx_herkx_general_kernelIidLi16ELi32ELi8ELb1ELb0ELc78ELc85EKPKdKPdEviT_T0_PT8_S5_lS8_S5_lS6_PT9_S5_li.kd
    .uniform_work_group_size: 1
    .uses_dynamic_stack: false
    .vgpr_count:     44
    .vgpr_spill_count: 0
    .wavefront_size: 32
    .workgroup_processor_mode: 1
  - .args:
      - .offset:         0
        .size:           4
        .value_kind:     by_value
      - .offset:         4
        .size:           4
        .value_kind:     by_value
      - .offset:         8
        .size:           8
        .value_kind:     by_value
      - .address_space:  global
        .offset:         16
        .size:           8
        .value_kind:     global_buffer
      - .offset:         24
        .size:           4
        .value_kind:     by_value
      - .offset:         32
        .size:           8
        .value_kind:     by_value
      - .address_space:  global
        .offset:         40
        .size:           8
        .value_kind:     global_buffer
      - .offset:         48
        .size:           4
        .value_kind:     by_value
      - .offset:         56
        .size:           8
        .value_kind:     by_value
      - .offset:         64
        .size:           8
        .value_kind:     by_value
      - .address_space:  global
        .offset:         72
        .size:           8
        .value_kind:     global_buffer
      - .offset:         80
        .size:           4
        .value_kind:     by_value
      - .offset:         88
        .size:           8
        .value_kind:     by_value
      - .offset:         96
        .size:           4
        .value_kind:     by_value
    .group_segment_fixed_size: 4096
    .kernarg_segment_align: 8
    .kernarg_segment_size: 100
    .language:       OpenCL C
    .language_version:
      - 2
      - 0
    .max_flat_workgroup_size: 256
    .name:           _ZL34rocblas_syrkx_herkx_general_kernelIidLi16ELi32ELi8ELb0ELb0ELc84ELc76EKPKdKPdEviT_T0_PT8_S5_lS8_S5_lS6_PT9_S5_li
    .private_segment_fixed_size: 0
    .sgpr_count:     23
    .sgpr_spill_count: 0
    .symbol:         _ZL34rocblas_syrkx_herkx_general_kernelIidLi16ELi32ELi8ELb0ELb0ELc84ELc76EKPKdKPdEviT_T0_PT8_S5_lS8_S5_lS6_PT9_S5_li.kd
    .uniform_work_group_size: 1
    .uses_dynamic_stack: false
    .vgpr_count:     44
    .vgpr_spill_count: 0
    .wavefront_size: 32
    .workgroup_processor_mode: 1
  - .args:
      - .offset:         0
        .size:           4
        .value_kind:     by_value
      - .offset:         4
        .size:           4
        .value_kind:     by_value
      - .offset:         8
        .size:           8
        .value_kind:     by_value
      - .address_space:  global
        .offset:         16
        .size:           8
        .value_kind:     global_buffer
      - .offset:         24
        .size:           4
        .value_kind:     by_value
      - .offset:         32
        .size:           8
        .value_kind:     by_value
      - .address_space:  global
        .offset:         40
        .size:           8
        .value_kind:     global_buffer
      - .offset:         48
        .size:           4
        .value_kind:     by_value
      - .offset:         56
        .size:           8
        .value_kind:     by_value
      - .offset:         64
        .size:           8
        .value_kind:     by_value
      - .address_space:  global
        .offset:         72
        .size:           8
        .value_kind:     global_buffer
      - .offset:         80
        .size:           4
        .value_kind:     by_value
      - .offset:         88
        .size:           8
        .value_kind:     by_value
      - .offset:         96
        .size:           4
        .value_kind:     by_value
    .group_segment_fixed_size: 4096
    .kernarg_segment_align: 8
    .kernarg_segment_size: 100
    .language:       OpenCL C
    .language_version:
      - 2
      - 0
    .max_flat_workgroup_size: 256
    .name:           _ZL34rocblas_syrkx_herkx_general_kernelIidLi16ELi32ELi8ELb0ELb0ELc67ELc76EKPKdKPdEviT_T0_PT8_S5_lS8_S5_lS6_PT9_S5_li
    .private_segment_fixed_size: 0
    .sgpr_count:     23
    .sgpr_spill_count: 0
    .symbol:         _ZL34rocblas_syrkx_herkx_general_kernelIidLi16ELi32ELi8ELb0ELb0ELc67ELc76EKPKdKPdEviT_T0_PT8_S5_lS8_S5_lS6_PT9_S5_li.kd
    .uniform_work_group_size: 1
    .uses_dynamic_stack: false
    .vgpr_count:     44
    .vgpr_spill_count: 0
    .wavefront_size: 32
    .workgroup_processor_mode: 1
  - .args:
      - .offset:         0
        .size:           4
        .value_kind:     by_value
      - .offset:         4
        .size:           4
        .value_kind:     by_value
      - .offset:         8
        .size:           8
        .value_kind:     by_value
      - .address_space:  global
        .offset:         16
        .size:           8
        .value_kind:     global_buffer
      - .offset:         24
        .size:           4
        .value_kind:     by_value
      - .offset:         32
        .size:           8
        .value_kind:     by_value
      - .address_space:  global
        .offset:         40
        .size:           8
        .value_kind:     global_buffer
      - .offset:         48
        .size:           4
        .value_kind:     by_value
      - .offset:         56
        .size:           8
        .value_kind:     by_value
      - .offset:         64
        .size:           8
        .value_kind:     by_value
      - .address_space:  global
        .offset:         72
        .size:           8
        .value_kind:     global_buffer
      - .offset:         80
        .size:           4
        .value_kind:     by_value
      - .offset:         88
        .size:           8
        .value_kind:     by_value
      - .offset:         96
        .size:           4
        .value_kind:     by_value
    .group_segment_fixed_size: 4096
    .kernarg_segment_align: 8
    .kernarg_segment_size: 100
    .language:       OpenCL C
    .language_version:
      - 2
      - 0
    .max_flat_workgroup_size: 256
    .name:           _ZL34rocblas_syrkx_herkx_general_kernelIidLi16ELi32ELi8ELb0ELb0ELc78ELc76EKPKdKPdEviT_T0_PT8_S5_lS8_S5_lS6_PT9_S5_li
    .private_segment_fixed_size: 0
    .sgpr_count:     26
    .sgpr_spill_count: 0
    .symbol:         _ZL34rocblas_syrkx_herkx_general_kernelIidLi16ELi32ELi8ELb0ELb0ELc78ELc76EKPKdKPdEviT_T0_PT8_S5_lS8_S5_lS6_PT9_S5_li.kd
    .uniform_work_group_size: 1
    .uses_dynamic_stack: false
    .vgpr_count:     42
    .vgpr_spill_count: 0
    .wavefront_size: 32
    .workgroup_processor_mode: 1
  - .args:
      - .offset:         0
        .size:           4
        .value_kind:     by_value
      - .offset:         4
        .size:           4
        .value_kind:     by_value
      - .offset:         8
        .size:           8
        .value_kind:     by_value
      - .address_space:  global
        .offset:         16
        .size:           8
        .value_kind:     global_buffer
      - .offset:         24
        .size:           4
        .value_kind:     by_value
      - .offset:         32
        .size:           8
        .value_kind:     by_value
      - .address_space:  global
        .offset:         40
        .size:           8
        .value_kind:     global_buffer
      - .offset:         48
        .size:           4
        .value_kind:     by_value
      - .offset:         56
        .size:           8
        .value_kind:     by_value
      - .offset:         64
        .size:           8
        .value_kind:     by_value
      - .address_space:  global
        .offset:         72
        .size:           8
        .value_kind:     global_buffer
      - .offset:         80
        .size:           4
        .value_kind:     by_value
      - .offset:         88
        .size:           8
        .value_kind:     by_value
      - .offset:         96
        .size:           4
        .value_kind:     by_value
    .group_segment_fixed_size: 4096
    .kernarg_segment_align: 8
    .kernarg_segment_size: 100
    .language:       OpenCL C
    .language_version:
      - 2
      - 0
    .max_flat_workgroup_size: 256
    .name:           _ZL34rocblas_syrkx_herkx_general_kernelIidLi16ELi32ELi8ELb0ELb0ELc84ELc85EKPKdKPdEviT_T0_PT8_S5_lS8_S5_lS6_PT9_S5_li
    .private_segment_fixed_size: 0
    .sgpr_count:     23
    .sgpr_spill_count: 0
    .symbol:         _ZL34rocblas_syrkx_herkx_general_kernelIidLi16ELi32ELi8ELb0ELb0ELc84ELc85EKPKdKPdEviT_T0_PT8_S5_lS8_S5_lS6_PT9_S5_li.kd
    .uniform_work_group_size: 1
    .uses_dynamic_stack: false
    .vgpr_count:     44
    .vgpr_spill_count: 0
    .wavefront_size: 32
    .workgroup_processor_mode: 1
  - .args:
      - .offset:         0
        .size:           4
        .value_kind:     by_value
      - .offset:         4
        .size:           4
        .value_kind:     by_value
      - .offset:         8
        .size:           8
        .value_kind:     by_value
      - .address_space:  global
        .offset:         16
        .size:           8
        .value_kind:     global_buffer
      - .offset:         24
        .size:           4
        .value_kind:     by_value
      - .offset:         32
        .size:           8
        .value_kind:     by_value
      - .address_space:  global
        .offset:         40
        .size:           8
        .value_kind:     global_buffer
      - .offset:         48
        .size:           4
        .value_kind:     by_value
      - .offset:         56
        .size:           8
        .value_kind:     by_value
      - .offset:         64
        .size:           8
        .value_kind:     by_value
      - .address_space:  global
        .offset:         72
        .size:           8
        .value_kind:     global_buffer
      - .offset:         80
        .size:           4
        .value_kind:     by_value
      - .offset:         88
        .size:           8
        .value_kind:     by_value
      - .offset:         96
        .size:           4
        .value_kind:     by_value
    .group_segment_fixed_size: 4096
    .kernarg_segment_align: 8
    .kernarg_segment_size: 100
    .language:       OpenCL C
    .language_version:
      - 2
      - 0
    .max_flat_workgroup_size: 256
    .name:           _ZL34rocblas_syrkx_herkx_general_kernelIidLi16ELi32ELi8ELb0ELb0ELc67ELc85EKPKdKPdEviT_T0_PT8_S5_lS8_S5_lS6_PT9_S5_li
    .private_segment_fixed_size: 0
    .sgpr_count:     23
    .sgpr_spill_count: 0
    .symbol:         _ZL34rocblas_syrkx_herkx_general_kernelIidLi16ELi32ELi8ELb0ELb0ELc67ELc85EKPKdKPdEviT_T0_PT8_S5_lS8_S5_lS6_PT9_S5_li.kd
    .uniform_work_group_size: 1
    .uses_dynamic_stack: false
    .vgpr_count:     44
    .vgpr_spill_count: 0
    .wavefront_size: 32
    .workgroup_processor_mode: 1
  - .args:
      - .offset:         0
        .size:           4
        .value_kind:     by_value
      - .offset:         4
        .size:           4
        .value_kind:     by_value
      - .offset:         8
        .size:           8
        .value_kind:     by_value
      - .address_space:  global
        .offset:         16
        .size:           8
        .value_kind:     global_buffer
      - .offset:         24
        .size:           4
        .value_kind:     by_value
      - .offset:         32
        .size:           8
        .value_kind:     by_value
      - .address_space:  global
        .offset:         40
        .size:           8
        .value_kind:     global_buffer
      - .offset:         48
        .size:           4
        .value_kind:     by_value
      - .offset:         56
        .size:           8
        .value_kind:     by_value
      - .offset:         64
        .size:           8
        .value_kind:     by_value
      - .address_space:  global
        .offset:         72
        .size:           8
        .value_kind:     global_buffer
      - .offset:         80
        .size:           4
        .value_kind:     by_value
      - .offset:         88
        .size:           8
        .value_kind:     by_value
      - .offset:         96
        .size:           4
        .value_kind:     by_value
    .group_segment_fixed_size: 4096
    .kernarg_segment_align: 8
    .kernarg_segment_size: 100
    .language:       OpenCL C
    .language_version:
      - 2
      - 0
    .max_flat_workgroup_size: 256
    .name:           _ZL34rocblas_syrkx_herkx_general_kernelIidLi16ELi32ELi8ELb0ELb0ELc78ELc85EKPKdKPdEviT_T0_PT8_S5_lS8_S5_lS6_PT9_S5_li
    .private_segment_fixed_size: 0
    .sgpr_count:     26
    .sgpr_spill_count: 0
    .symbol:         _ZL34rocblas_syrkx_herkx_general_kernelIidLi16ELi32ELi8ELb0ELb0ELc78ELc85EKPKdKPdEviT_T0_PT8_S5_lS8_S5_lS6_PT9_S5_li.kd
    .uniform_work_group_size: 1
    .uses_dynamic_stack: false
    .vgpr_count:     42
    .vgpr_spill_count: 0
    .wavefront_size: 32
    .workgroup_processor_mode: 1
  - .args:
      - .offset:         0
        .size:           1
        .value_kind:     by_value
      - .offset:         4
        .size:           4
        .value_kind:     by_value
      - .offset:         8
        .size:           4
        .value_kind:     by_value
      - .offset:         16
        .size:           8
        .value_kind:     by_value
      - .offset:         24
        .size:           8
        .value_kind:     by_value
      - .address_space:  global
        .offset:         32
        .size:           8
        .value_kind:     global_buffer
      - .offset:         40
        .size:           4
        .value_kind:     by_value
      - .offset:         48
        .size:           8
        .value_kind:     by_value
      - .offset:         56
        .size:           4
        .value_kind:     by_value
      - .offset:         64
        .size:           4
        .value_kind:     hidden_block_count_x
      - .offset:         68
        .size:           4
        .value_kind:     hidden_block_count_y
      - .offset:         72
        .size:           4
        .value_kind:     hidden_block_count_z
      - .offset:         76
        .size:           2
        .value_kind:     hidden_group_size_x
      - .offset:         78
        .size:           2
        .value_kind:     hidden_group_size_y
      - .offset:         80
        .size:           2
        .value_kind:     hidden_group_size_z
      - .offset:         82
        .size:           2
        .value_kind:     hidden_remainder_x
      - .offset:         84
        .size:           2
        .value_kind:     hidden_remainder_y
      - .offset:         86
        .size:           2
        .value_kind:     hidden_remainder_z
      - .offset:         104
        .size:           8
        .value_kind:     hidden_global_offset_x
      - .offset:         112
        .size:           8
        .value_kind:     hidden_global_offset_y
      - .offset:         120
        .size:           8
        .value_kind:     hidden_global_offset_z
      - .offset:         128
        .size:           2
        .value_kind:     hidden_grid_dims
    .group_segment_fixed_size: 0
    .kernarg_segment_align: 8
    .kernarg_segment_size: 320
    .language:       OpenCL C
    .language_version:
      - 2
      - 0
    .max_flat_workgroup_size: 1024
    .name:           _ZL26rocblas_syr2k_scale_kernelIiLi128ELi8ELb0EddPKPdEvbiT_T3_T4_T5_S3_li
    .private_segment_fixed_size: 0
    .sgpr_count:     18
    .sgpr_spill_count: 0
    .symbol:         _ZL26rocblas_syr2k_scale_kernelIiLi128ELi8ELb0EddPKPdEvbiT_T3_T4_T5_S3_li.kd
    .uniform_work_group_size: 1
    .uses_dynamic_stack: false
    .vgpr_count:     6
    .vgpr_spill_count: 0
    .wavefront_size: 32
    .workgroup_processor_mode: 1
  - .args:
      - .offset:         0
        .size:           1
        .value_kind:     by_value
      - .offset:         4
        .size:           4
        .value_kind:     by_value
      - .offset:         8
        .size:           4
        .value_kind:     by_value
      - .address_space:  global
        .offset:         16
        .size:           8
        .value_kind:     global_buffer
      - .address_space:  global
        .offset:         24
        .size:           8
        .value_kind:     global_buffer
      - .offset:         32
        .size:           4
        .value_kind:     by_value
      - .offset:         40
        .size:           8
        .value_kind:     by_value
      - .address_space:  global
        .offset:         48
        .size:           8
        .value_kind:     global_buffer
      - .offset:         56
        .size:           4
        .value_kind:     by_value
      - .offset:         64
        .size:           8
        .value_kind:     by_value
      - .address_space:  global
        .offset:         72
        .size:           8
        .value_kind:     global_buffer
      - .offset:         80
        .size:           4
        .value_kind:     by_value
      - .offset:         88
        .size:           8
        .value_kind:     by_value
      - .offset:         96
        .size:           4
        .value_kind:     by_value
    .group_segment_fixed_size: 16384
    .kernarg_segment_align: 8
    .kernarg_segment_size: 100
    .language:       OpenCL C
    .language_version:
      - 2
      - 0
    .max_flat_workgroup_size: 1024
    .name:           _ZL26rocblas_syr2k_her2k_kernelIiLb0ELb0ELb0ELi32EPKdPKS1_PKPdEvbiT_T4_T5_S7_lS9_S7_lT6_S7_li
    .private_segment_fixed_size: 0
    .sgpr_count:     29
    .sgpr_spill_count: 0
    .symbol:         _ZL26rocblas_syr2k_her2k_kernelIiLb0ELb0ELb0ELi32EPKdPKS1_PKPdEvbiT_T4_T5_S7_lS9_S7_lT6_S7_li.kd
    .uniform_work_group_size: 1
    .uses_dynamic_stack: false
    .vgpr_count:     31
    .vgpr_spill_count: 0
    .wavefront_size: 32
    .workgroup_processor_mode: 1
  - .args:
      - .offset:         0
        .size:           1
        .value_kind:     by_value
      - .offset:         4
        .size:           4
        .value_kind:     by_value
      - .offset:         8
        .size:           4
        .value_kind:     by_value
      - .address_space:  global
        .offset:         16
        .size:           8
        .value_kind:     global_buffer
      - .address_space:  global
        .offset:         24
        .size:           8
        .value_kind:     global_buffer
      - .offset:         32
        .size:           4
        .value_kind:     by_value
      - .offset:         40
        .size:           8
        .value_kind:     by_value
      - .address_space:  global
        .offset:         48
        .size:           8
        .value_kind:     global_buffer
      - .offset:         56
        .size:           4
        .value_kind:     by_value
      - .offset:         64
        .size:           8
        .value_kind:     by_value
      - .address_space:  global
        .offset:         72
        .size:           8
        .value_kind:     global_buffer
      - .offset:         80
        .size:           4
        .value_kind:     by_value
      - .offset:         88
        .size:           8
        .value_kind:     by_value
      - .offset:         96
        .size:           4
        .value_kind:     by_value
    .group_segment_fixed_size: 16384
    .kernarg_segment_align: 8
    .kernarg_segment_size: 100
    .language:       OpenCL C
    .language_version:
      - 2
      - 0
    .max_flat_workgroup_size: 1024
    .name:           _ZL26rocblas_syr2k_her2k_kernelIiLb0ELb0ELb1ELi32EPKdPKS1_PKPdEvbiT_T4_T5_S7_lS9_S7_lT6_S7_li
    .private_segment_fixed_size: 0
    .sgpr_count:     27
    .sgpr_spill_count: 0
    .symbol:         _ZL26rocblas_syr2k_her2k_kernelIiLb0ELb0ELb1ELi32EPKdPKS1_PKPdEvbiT_T4_T5_S7_lS9_S7_lT6_S7_li.kd
    .uniform_work_group_size: 1
    .uses_dynamic_stack: false
    .vgpr_count:     32
    .vgpr_spill_count: 0
    .wavefront_size: 32
    .workgroup_processor_mode: 1
  - .args:
      - .offset:         0
        .size:           1
        .value_kind:     by_value
      - .offset:         4
        .size:           4
        .value_kind:     by_value
      - .offset:         8
        .size:           4
        .value_kind:     by_value
      - .offset:         12
        .size:           8
        .value_kind:     by_value
      - .address_space:  global
        .offset:         24
        .size:           8
        .value_kind:     global_buffer
      - .offset:         32
        .size:           4
        .value_kind:     by_value
      - .offset:         40
        .size:           8
        .value_kind:     by_value
      - .address_space:  global
        .offset:         48
        .size:           8
        .value_kind:     global_buffer
      - .offset:         56
        .size:           4
        .value_kind:     by_value
      - .offset:         64
        .size:           8
        .value_kind:     by_value
      - .address_space:  global
        .offset:         72
        .size:           8
        .value_kind:     global_buffer
      - .offset:         80
        .size:           4
        .value_kind:     by_value
      - .offset:         88
        .size:           8
        .value_kind:     by_value
      - .offset:         96
        .size:           4
        .value_kind:     by_value
    .group_segment_fixed_size: 16384
    .kernarg_segment_align: 8
    .kernarg_segment_size: 100
    .language:       OpenCL C
    .language_version:
      - 2
      - 0
    .max_flat_workgroup_size: 1024
    .name:           _ZL26rocblas_syr2k_her2k_kernelIiLb0ELb0ELb0ELi32E19rocblas_complex_numIfEPKPKS1_PKPS1_EvbiT_T4_T5_S9_lSB_S9_lT6_S9_li
    .private_segment_fixed_size: 0
    .sgpr_count:     27
    .sgpr_spill_count: 0
    .symbol:         _ZL26rocblas_syr2k_her2k_kernelIiLb0ELb0ELb0ELi32E19rocblas_complex_numIfEPKPKS1_PKPS1_EvbiT_T4_T5_S9_lSB_S9_lT6_S9_li.kd
    .uniform_work_group_size: 1
    .uses_dynamic_stack: false
    .vgpr_count:     106
    .vgpr_spill_count: 0
    .wavefront_size: 32
    .workgroup_processor_mode: 1
  - .args:
      - .offset:         0
        .size:           1
        .value_kind:     by_value
      - .offset:         4
        .size:           4
        .value_kind:     by_value
      - .offset:         8
        .size:           4
        .value_kind:     by_value
      - .offset:         12
        .size:           8
        .value_kind:     by_value
      - .address_space:  global
        .offset:         24
        .size:           8
        .value_kind:     global_buffer
      - .offset:         32
        .size:           4
        .value_kind:     by_value
      - .offset:         40
        .size:           8
        .value_kind:     by_value
      - .address_space:  global
        .offset:         48
        .size:           8
        .value_kind:     global_buffer
      - .offset:         56
        .size:           4
        .value_kind:     by_value
      - .offset:         64
        .size:           8
        .value_kind:     by_value
      - .address_space:  global
        .offset:         72
        .size:           8
        .value_kind:     global_buffer
      - .offset:         80
        .size:           4
        .value_kind:     by_value
      - .offset:         88
        .size:           8
        .value_kind:     by_value
      - .offset:         96
        .size:           4
        .value_kind:     by_value
    .group_segment_fixed_size: 16384
    .kernarg_segment_align: 8
    .kernarg_segment_size: 100
    .language:       OpenCL C
    .language_version:
      - 2
      - 0
    .max_flat_workgroup_size: 1024
    .name:           _ZL26rocblas_syr2k_her2k_kernelIiLb0ELb0ELb1ELi32E19rocblas_complex_numIfEPKPKS1_PKPS1_EvbiT_T4_T5_S9_lSB_S9_lT6_S9_li
    .private_segment_fixed_size: 0
    .sgpr_count:     27
    .sgpr_spill_count: 0
    .symbol:         _ZL26rocblas_syr2k_her2k_kernelIiLb0ELb0ELb1ELi32E19rocblas_complex_numIfEPKPKS1_PKPS1_EvbiT_T4_T5_S9_lSB_S9_lT6_S9_li.kd
    .uniform_work_group_size: 1
    .uses_dynamic_stack: false
    .vgpr_count:     106
    .vgpr_spill_count: 0
    .wavefront_size: 32
    .workgroup_processor_mode: 1
  - .args:
      - .offset:         0
        .size:           4
        .value_kind:     by_value
      - .offset:         4
        .size:           4
        .value_kind:     by_value
      - .address_space:  global
        .offset:         8
        .size:           8
        .value_kind:     global_buffer
      - .offset:         16
        .size:           4
        .value_kind:     by_value
      - .offset:         24
        .size:           8
        .value_kind:     by_value
      - .address_space:  global
        .offset:         32
        .size:           8
        .value_kind:     global_buffer
      - .offset:         40
        .size:           4
        .value_kind:     by_value
      - .offset:         48
        .size:           8
        .value_kind:     by_value
      - .address_space:  global
        .offset:         56
        .size:           8
        .value_kind:     global_buffer
      - .offset:         64
        .size:           4
        .value_kind:     by_value
      - .offset:         72
        .size:           8
        .value_kind:     by_value
      - .offset:         80
        .size:           4
        .value_kind:     by_value
    .group_segment_fixed_size: 4096
    .kernarg_segment_align: 8
    .kernarg_segment_size: 84
    .language:       OpenCL C
    .language_version:
      - 2
      - 0
    .max_flat_workgroup_size: 256
    .name:           _ZL37rocblas_syrkx_herkx_restricted_kernelIi19rocblas_complex_numIfELi16ELi32ELi8ELi1ELi1ELb0ELc84ELc76EKPKS1_KPS1_EviT_PT9_S7_lS9_S7_lPT10_S7_li
    .private_segment_fixed_size: 0
    .sgpr_count:     19
    .sgpr_spill_count: 0
    .symbol:         _ZL37rocblas_syrkx_herkx_restricted_kernelIi19rocblas_complex_numIfELi16ELi32ELi8ELi1ELi1ELb0ELc84ELc76EKPKS1_KPS1_EviT_PT9_S7_lS9_S7_lPT10_S7_li.kd
    .uniform_work_group_size: 1
    .uses_dynamic_stack: false
    .vgpr_count:     91
    .vgpr_spill_count: 0
    .wavefront_size: 32
    .workgroup_processor_mode: 1
  - .args:
      - .offset:         0
        .size:           4
        .value_kind:     by_value
      - .offset:         4
        .size:           4
        .value_kind:     by_value
      - .address_space:  global
        .offset:         8
        .size:           8
        .value_kind:     global_buffer
      - .offset:         16
        .size:           4
        .value_kind:     by_value
      - .offset:         24
        .size:           8
        .value_kind:     by_value
      - .address_space:  global
        .offset:         32
        .size:           8
        .value_kind:     global_buffer
      - .offset:         40
        .size:           4
        .value_kind:     by_value
      - .offset:         48
        .size:           8
        .value_kind:     by_value
      - .address_space:  global
        .offset:         56
        .size:           8
        .value_kind:     global_buffer
      - .offset:         64
        .size:           4
        .value_kind:     by_value
      - .offset:         72
        .size:           8
        .value_kind:     by_value
      - .offset:         80
        .size:           4
        .value_kind:     by_value
    .group_segment_fixed_size: 4096
    .kernarg_segment_align: 8
    .kernarg_segment_size: 84
    .language:       OpenCL C
    .language_version:
      - 2
      - 0
    .max_flat_workgroup_size: 256
    .name:           _ZL37rocblas_syrkx_herkx_restricted_kernelIi19rocblas_complex_numIfELi16ELi32ELi8ELi1ELi1ELb0ELc67ELc76EKPKS1_KPS1_EviT_PT9_S7_lS9_S7_lPT10_S7_li
    .private_segment_fixed_size: 0
    .sgpr_count:     19
    .sgpr_spill_count: 0
    .symbol:         _ZL37rocblas_syrkx_herkx_restricted_kernelIi19rocblas_complex_numIfELi16ELi32ELi8ELi1ELi1ELb0ELc67ELc76EKPKS1_KPS1_EviT_PT9_S7_lS9_S7_lPT10_S7_li.kd
    .uniform_work_group_size: 1
    .uses_dynamic_stack: false
    .vgpr_count:     91
    .vgpr_spill_count: 0
    .wavefront_size: 32
    .workgroup_processor_mode: 1
  - .args:
      - .offset:         0
        .size:           4
        .value_kind:     by_value
      - .offset:         4
        .size:           4
        .value_kind:     by_value
      - .address_space:  global
        .offset:         8
        .size:           8
        .value_kind:     global_buffer
      - .offset:         16
        .size:           4
        .value_kind:     by_value
      - .offset:         24
        .size:           8
        .value_kind:     by_value
      - .address_space:  global
        .offset:         32
        .size:           8
        .value_kind:     global_buffer
      - .offset:         40
        .size:           4
        .value_kind:     by_value
      - .offset:         48
        .size:           8
        .value_kind:     by_value
      - .address_space:  global
        .offset:         56
        .size:           8
        .value_kind:     global_buffer
      - .offset:         64
        .size:           4
        .value_kind:     by_value
      - .offset:         72
        .size:           8
        .value_kind:     by_value
      - .offset:         80
        .size:           4
        .value_kind:     by_value
    .group_segment_fixed_size: 4096
    .kernarg_segment_align: 8
    .kernarg_segment_size: 84
    .language:       OpenCL C
    .language_version:
      - 2
      - 0
    .max_flat_workgroup_size: 256
    .name:           _ZL37rocblas_syrkx_herkx_restricted_kernelIi19rocblas_complex_numIfELi16ELi32ELi8ELi1ELi1ELb0ELc78ELc76EKPKS1_KPS1_EviT_PT9_S7_lS9_S7_lPT10_S7_li
    .private_segment_fixed_size: 0
    .sgpr_count:     22
    .sgpr_spill_count: 0
    .symbol:         _ZL37rocblas_syrkx_herkx_restricted_kernelIi19rocblas_complex_numIfELi16ELi32ELi8ELi1ELi1ELb0ELc78ELc76EKPKS1_KPS1_EviT_PT9_S7_lS9_S7_lPT10_S7_li.kd
    .uniform_work_group_size: 1
    .uses_dynamic_stack: false
    .vgpr_count:     92
    .vgpr_spill_count: 0
    .wavefront_size: 32
    .workgroup_processor_mode: 1
  - .args:
      - .offset:         0
        .size:           4
        .value_kind:     by_value
      - .offset:         4
        .size:           4
        .value_kind:     by_value
      - .address_space:  global
        .offset:         8
        .size:           8
        .value_kind:     global_buffer
      - .offset:         16
        .size:           4
        .value_kind:     by_value
      - .offset:         24
        .size:           8
        .value_kind:     by_value
      - .address_space:  global
        .offset:         32
        .size:           8
        .value_kind:     global_buffer
      - .offset:         40
        .size:           4
        .value_kind:     by_value
      - .offset:         48
        .size:           8
        .value_kind:     by_value
      - .address_space:  global
        .offset:         56
        .size:           8
        .value_kind:     global_buffer
      - .offset:         64
        .size:           4
        .value_kind:     by_value
      - .offset:         72
        .size:           8
        .value_kind:     by_value
      - .offset:         80
        .size:           4
        .value_kind:     by_value
    .group_segment_fixed_size: 4096
    .kernarg_segment_align: 8
    .kernarg_segment_size: 84
    .language:       OpenCL C
    .language_version:
      - 2
      - 0
    .max_flat_workgroup_size: 256
    .name:           _ZL37rocblas_syrkx_herkx_restricted_kernelIi19rocblas_complex_numIfELi16ELi32ELi8ELi1ELi1ELb0ELc84ELc85EKPKS1_KPS1_EviT_PT9_S7_lS9_S7_lPT10_S7_li
    .private_segment_fixed_size: 0
    .sgpr_count:     19
    .sgpr_spill_count: 0
    .symbol:         _ZL37rocblas_syrkx_herkx_restricted_kernelIi19rocblas_complex_numIfELi16ELi32ELi8ELi1ELi1ELb0ELc84ELc85EKPKS1_KPS1_EviT_PT9_S7_lS9_S7_lPT10_S7_li.kd
    .uniform_work_group_size: 1
    .uses_dynamic_stack: false
    .vgpr_count:     91
    .vgpr_spill_count: 0
    .wavefront_size: 32
    .workgroup_processor_mode: 1
  - .args:
      - .offset:         0
        .size:           4
        .value_kind:     by_value
      - .offset:         4
        .size:           4
        .value_kind:     by_value
      - .address_space:  global
        .offset:         8
        .size:           8
        .value_kind:     global_buffer
      - .offset:         16
        .size:           4
        .value_kind:     by_value
      - .offset:         24
        .size:           8
        .value_kind:     by_value
      - .address_space:  global
        .offset:         32
        .size:           8
        .value_kind:     global_buffer
      - .offset:         40
        .size:           4
        .value_kind:     by_value
      - .offset:         48
        .size:           8
        .value_kind:     by_value
      - .address_space:  global
        .offset:         56
        .size:           8
        .value_kind:     global_buffer
      - .offset:         64
        .size:           4
        .value_kind:     by_value
      - .offset:         72
        .size:           8
        .value_kind:     by_value
      - .offset:         80
        .size:           4
        .value_kind:     by_value
    .group_segment_fixed_size: 4096
    .kernarg_segment_align: 8
    .kernarg_segment_size: 84
    .language:       OpenCL C
    .language_version:
      - 2
      - 0
    .max_flat_workgroup_size: 256
    .name:           _ZL37rocblas_syrkx_herkx_restricted_kernelIi19rocblas_complex_numIfELi16ELi32ELi8ELi1ELi1ELb0ELc67ELc85EKPKS1_KPS1_EviT_PT9_S7_lS9_S7_lPT10_S7_li
    .private_segment_fixed_size: 0
    .sgpr_count:     19
    .sgpr_spill_count: 0
    .symbol:         _ZL37rocblas_syrkx_herkx_restricted_kernelIi19rocblas_complex_numIfELi16ELi32ELi8ELi1ELi1ELb0ELc67ELc85EKPKS1_KPS1_EviT_PT9_S7_lS9_S7_lPT10_S7_li.kd
    .uniform_work_group_size: 1
    .uses_dynamic_stack: false
    .vgpr_count:     91
    .vgpr_spill_count: 0
    .wavefront_size: 32
    .workgroup_processor_mode: 1
  - .args:
      - .offset:         0
        .size:           4
        .value_kind:     by_value
      - .offset:         4
        .size:           4
        .value_kind:     by_value
      - .address_space:  global
        .offset:         8
        .size:           8
        .value_kind:     global_buffer
      - .offset:         16
        .size:           4
        .value_kind:     by_value
      - .offset:         24
        .size:           8
        .value_kind:     by_value
      - .address_space:  global
        .offset:         32
        .size:           8
        .value_kind:     global_buffer
      - .offset:         40
        .size:           4
        .value_kind:     by_value
      - .offset:         48
        .size:           8
        .value_kind:     by_value
      - .address_space:  global
        .offset:         56
        .size:           8
        .value_kind:     global_buffer
      - .offset:         64
        .size:           4
        .value_kind:     by_value
      - .offset:         72
        .size:           8
        .value_kind:     by_value
      - .offset:         80
        .size:           4
        .value_kind:     by_value
    .group_segment_fixed_size: 4096
    .kernarg_segment_align: 8
    .kernarg_segment_size: 84
    .language:       OpenCL C
    .language_version:
      - 2
      - 0
    .max_flat_workgroup_size: 256
    .name:           _ZL37rocblas_syrkx_herkx_restricted_kernelIi19rocblas_complex_numIfELi16ELi32ELi8ELi1ELi1ELb0ELc78ELc85EKPKS1_KPS1_EviT_PT9_S7_lS9_S7_lPT10_S7_li
    .private_segment_fixed_size: 0
    .sgpr_count:     22
    .sgpr_spill_count: 0
    .symbol:         _ZL37rocblas_syrkx_herkx_restricted_kernelIi19rocblas_complex_numIfELi16ELi32ELi8ELi1ELi1ELb0ELc78ELc85EKPKS1_KPS1_EviT_PT9_S7_lS9_S7_lPT10_S7_li.kd
    .uniform_work_group_size: 1
    .uses_dynamic_stack: false
    .vgpr_count:     92
    .vgpr_spill_count: 0
    .wavefront_size: 32
    .workgroup_processor_mode: 1
  - .args:
      - .offset:         0
        .size:           4
        .value_kind:     by_value
      - .offset:         4
        .size:           4
        .value_kind:     by_value
      - .address_space:  global
        .offset:         8
        .size:           8
        .value_kind:     global_buffer
      - .offset:         16
        .size:           4
        .value_kind:     by_value
      - .offset:         24
        .size:           8
        .value_kind:     by_value
      - .address_space:  global
        .offset:         32
        .size:           8
        .value_kind:     global_buffer
      - .offset:         40
        .size:           4
        .value_kind:     by_value
      - .offset:         48
        .size:           8
        .value_kind:     by_value
      - .address_space:  global
        .offset:         56
        .size:           8
        .value_kind:     global_buffer
      - .offset:         64
        .size:           4
        .value_kind:     by_value
      - .offset:         72
        .size:           8
        .value_kind:     by_value
      - .offset:         80
        .size:           4
        .value_kind:     by_value
    .group_segment_fixed_size: 4096
    .kernarg_segment_align: 8
    .kernarg_segment_size: 84
    .language:       OpenCL C
    .language_version:
      - 2
      - 0
    .max_flat_workgroup_size: 256
    .name:           _ZL37rocblas_syrkx_herkx_restricted_kernelIi19rocblas_complex_numIfELi16ELi32ELi8ELi1ELin1ELb0ELc84ELc76EKPKS1_KPS1_EviT_PT9_S7_lS9_S7_lPT10_S7_li
    .private_segment_fixed_size: 0
    .sgpr_count:     19
    .sgpr_spill_count: 0
    .symbol:         _ZL37rocblas_syrkx_herkx_restricted_kernelIi19rocblas_complex_numIfELi16ELi32ELi8ELi1ELin1ELb0ELc84ELc76EKPKS1_KPS1_EviT_PT9_S7_lS9_S7_lPT10_S7_li.kd
    .uniform_work_group_size: 1
    .uses_dynamic_stack: false
    .vgpr_count:     91
    .vgpr_spill_count: 0
    .wavefront_size: 32
    .workgroup_processor_mode: 1
  - .args:
      - .offset:         0
        .size:           4
        .value_kind:     by_value
      - .offset:         4
        .size:           4
        .value_kind:     by_value
      - .address_space:  global
        .offset:         8
        .size:           8
        .value_kind:     global_buffer
      - .offset:         16
        .size:           4
        .value_kind:     by_value
      - .offset:         24
        .size:           8
        .value_kind:     by_value
      - .address_space:  global
        .offset:         32
        .size:           8
        .value_kind:     global_buffer
      - .offset:         40
        .size:           4
        .value_kind:     by_value
      - .offset:         48
        .size:           8
        .value_kind:     by_value
      - .address_space:  global
        .offset:         56
        .size:           8
        .value_kind:     global_buffer
      - .offset:         64
        .size:           4
        .value_kind:     by_value
      - .offset:         72
        .size:           8
        .value_kind:     by_value
      - .offset:         80
        .size:           4
        .value_kind:     by_value
    .group_segment_fixed_size: 4096
    .kernarg_segment_align: 8
    .kernarg_segment_size: 84
    .language:       OpenCL C
    .language_version:
      - 2
      - 0
    .max_flat_workgroup_size: 256
    .name:           _ZL37rocblas_syrkx_herkx_restricted_kernelIi19rocblas_complex_numIfELi16ELi32ELi8ELi1ELin1ELb0ELc67ELc76EKPKS1_KPS1_EviT_PT9_S7_lS9_S7_lPT10_S7_li
    .private_segment_fixed_size: 0
    .sgpr_count:     19
    .sgpr_spill_count: 0
    .symbol:         _ZL37rocblas_syrkx_herkx_restricted_kernelIi19rocblas_complex_numIfELi16ELi32ELi8ELi1ELin1ELb0ELc67ELc76EKPKS1_KPS1_EviT_PT9_S7_lS9_S7_lPT10_S7_li.kd
    .uniform_work_group_size: 1
    .uses_dynamic_stack: false
    .vgpr_count:     91
    .vgpr_spill_count: 0
    .wavefront_size: 32
    .workgroup_processor_mode: 1
  - .args:
      - .offset:         0
        .size:           4
        .value_kind:     by_value
      - .offset:         4
        .size:           4
        .value_kind:     by_value
      - .address_space:  global
        .offset:         8
        .size:           8
        .value_kind:     global_buffer
      - .offset:         16
        .size:           4
        .value_kind:     by_value
      - .offset:         24
        .size:           8
        .value_kind:     by_value
      - .address_space:  global
        .offset:         32
        .size:           8
        .value_kind:     global_buffer
      - .offset:         40
        .size:           4
        .value_kind:     by_value
      - .offset:         48
        .size:           8
        .value_kind:     by_value
      - .address_space:  global
        .offset:         56
        .size:           8
        .value_kind:     global_buffer
      - .offset:         64
        .size:           4
        .value_kind:     by_value
      - .offset:         72
        .size:           8
        .value_kind:     by_value
      - .offset:         80
        .size:           4
        .value_kind:     by_value
    .group_segment_fixed_size: 4096
    .kernarg_segment_align: 8
    .kernarg_segment_size: 84
    .language:       OpenCL C
    .language_version:
      - 2
      - 0
    .max_flat_workgroup_size: 256
    .name:           _ZL37rocblas_syrkx_herkx_restricted_kernelIi19rocblas_complex_numIfELi16ELi32ELi8ELi1ELin1ELb0ELc78ELc76EKPKS1_KPS1_EviT_PT9_S7_lS9_S7_lPT10_S7_li
    .private_segment_fixed_size: 0
    .sgpr_count:     22
    .sgpr_spill_count: 0
    .symbol:         _ZL37rocblas_syrkx_herkx_restricted_kernelIi19rocblas_complex_numIfELi16ELi32ELi8ELi1ELin1ELb0ELc78ELc76EKPKS1_KPS1_EviT_PT9_S7_lS9_S7_lPT10_S7_li.kd
    .uniform_work_group_size: 1
    .uses_dynamic_stack: false
    .vgpr_count:     92
    .vgpr_spill_count: 0
    .wavefront_size: 32
    .workgroup_processor_mode: 1
  - .args:
      - .offset:         0
        .size:           4
        .value_kind:     by_value
      - .offset:         4
        .size:           4
        .value_kind:     by_value
      - .address_space:  global
        .offset:         8
        .size:           8
        .value_kind:     global_buffer
      - .offset:         16
        .size:           4
        .value_kind:     by_value
      - .offset:         24
        .size:           8
        .value_kind:     by_value
      - .address_space:  global
        .offset:         32
        .size:           8
        .value_kind:     global_buffer
      - .offset:         40
        .size:           4
        .value_kind:     by_value
      - .offset:         48
        .size:           8
        .value_kind:     by_value
      - .address_space:  global
        .offset:         56
        .size:           8
        .value_kind:     global_buffer
      - .offset:         64
        .size:           4
        .value_kind:     by_value
      - .offset:         72
        .size:           8
        .value_kind:     by_value
      - .offset:         80
        .size:           4
        .value_kind:     by_value
    .group_segment_fixed_size: 4096
    .kernarg_segment_align: 8
    .kernarg_segment_size: 84
    .language:       OpenCL C
    .language_version:
      - 2
      - 0
    .max_flat_workgroup_size: 256
    .name:           _ZL37rocblas_syrkx_herkx_restricted_kernelIi19rocblas_complex_numIfELi16ELi32ELi8ELi1ELin1ELb0ELc84ELc85EKPKS1_KPS1_EviT_PT9_S7_lS9_S7_lPT10_S7_li
    .private_segment_fixed_size: 0
    .sgpr_count:     19
    .sgpr_spill_count: 0
    .symbol:         _ZL37rocblas_syrkx_herkx_restricted_kernelIi19rocblas_complex_numIfELi16ELi32ELi8ELi1ELin1ELb0ELc84ELc85EKPKS1_KPS1_EviT_PT9_S7_lS9_S7_lPT10_S7_li.kd
    .uniform_work_group_size: 1
    .uses_dynamic_stack: false
    .vgpr_count:     91
    .vgpr_spill_count: 0
    .wavefront_size: 32
    .workgroup_processor_mode: 1
  - .args:
      - .offset:         0
        .size:           4
        .value_kind:     by_value
      - .offset:         4
        .size:           4
        .value_kind:     by_value
      - .address_space:  global
        .offset:         8
        .size:           8
        .value_kind:     global_buffer
      - .offset:         16
        .size:           4
        .value_kind:     by_value
      - .offset:         24
        .size:           8
        .value_kind:     by_value
      - .address_space:  global
        .offset:         32
        .size:           8
        .value_kind:     global_buffer
      - .offset:         40
        .size:           4
        .value_kind:     by_value
      - .offset:         48
        .size:           8
        .value_kind:     by_value
      - .address_space:  global
        .offset:         56
        .size:           8
        .value_kind:     global_buffer
      - .offset:         64
        .size:           4
        .value_kind:     by_value
      - .offset:         72
        .size:           8
        .value_kind:     by_value
      - .offset:         80
        .size:           4
        .value_kind:     by_value
    .group_segment_fixed_size: 4096
    .kernarg_segment_align: 8
    .kernarg_segment_size: 84
    .language:       OpenCL C
    .language_version:
      - 2
      - 0
    .max_flat_workgroup_size: 256
    .name:           _ZL37rocblas_syrkx_herkx_restricted_kernelIi19rocblas_complex_numIfELi16ELi32ELi8ELi1ELin1ELb0ELc67ELc85EKPKS1_KPS1_EviT_PT9_S7_lS9_S7_lPT10_S7_li
    .private_segment_fixed_size: 0
    .sgpr_count:     19
    .sgpr_spill_count: 0
    .symbol:         _ZL37rocblas_syrkx_herkx_restricted_kernelIi19rocblas_complex_numIfELi16ELi32ELi8ELi1ELin1ELb0ELc67ELc85EKPKS1_KPS1_EviT_PT9_S7_lS9_S7_lPT10_S7_li.kd
    .uniform_work_group_size: 1
    .uses_dynamic_stack: false
    .vgpr_count:     91
    .vgpr_spill_count: 0
    .wavefront_size: 32
    .workgroup_processor_mode: 1
  - .args:
      - .offset:         0
        .size:           4
        .value_kind:     by_value
      - .offset:         4
        .size:           4
        .value_kind:     by_value
      - .address_space:  global
        .offset:         8
        .size:           8
        .value_kind:     global_buffer
      - .offset:         16
        .size:           4
        .value_kind:     by_value
      - .offset:         24
        .size:           8
        .value_kind:     by_value
      - .address_space:  global
        .offset:         32
        .size:           8
        .value_kind:     global_buffer
      - .offset:         40
        .size:           4
        .value_kind:     by_value
      - .offset:         48
        .size:           8
        .value_kind:     by_value
      - .address_space:  global
        .offset:         56
        .size:           8
        .value_kind:     global_buffer
      - .offset:         64
        .size:           4
        .value_kind:     by_value
      - .offset:         72
        .size:           8
        .value_kind:     by_value
      - .offset:         80
        .size:           4
        .value_kind:     by_value
    .group_segment_fixed_size: 4096
    .kernarg_segment_align: 8
    .kernarg_segment_size: 84
    .language:       OpenCL C
    .language_version:
      - 2
      - 0
    .max_flat_workgroup_size: 256
    .name:           _ZL37rocblas_syrkx_herkx_restricted_kernelIi19rocblas_complex_numIfELi16ELi32ELi8ELi1ELin1ELb0ELc78ELc85EKPKS1_KPS1_EviT_PT9_S7_lS9_S7_lPT10_S7_li
    .private_segment_fixed_size: 0
    .sgpr_count:     22
    .sgpr_spill_count: 0
    .symbol:         _ZL37rocblas_syrkx_herkx_restricted_kernelIi19rocblas_complex_numIfELi16ELi32ELi8ELi1ELin1ELb0ELc78ELc85EKPKS1_KPS1_EviT_PT9_S7_lS9_S7_lPT10_S7_li.kd
    .uniform_work_group_size: 1
    .uses_dynamic_stack: false
    .vgpr_count:     92
    .vgpr_spill_count: 0
    .wavefront_size: 32
    .workgroup_processor_mode: 1
  - .args:
      - .offset:         0
        .size:           4
        .value_kind:     by_value
      - .offset:         4
        .size:           4
        .value_kind:     by_value
      - .address_space:  global
        .offset:         8
        .size:           8
        .value_kind:     global_buffer
      - .offset:         16
        .size:           4
        .value_kind:     by_value
      - .offset:         24
        .size:           8
        .value_kind:     by_value
      - .address_space:  global
        .offset:         32
        .size:           8
        .value_kind:     global_buffer
      - .offset:         40
        .size:           4
        .value_kind:     by_value
      - .offset:         48
        .size:           8
        .value_kind:     by_value
      - .address_space:  global
        .offset:         56
        .size:           8
        .value_kind:     global_buffer
      - .offset:         64
        .size:           4
        .value_kind:     by_value
      - .offset:         72
        .size:           8
        .value_kind:     by_value
      - .offset:         80
        .size:           4
        .value_kind:     by_value
    .group_segment_fixed_size: 4096
    .kernarg_segment_align: 8
    .kernarg_segment_size: 84
    .language:       OpenCL C
    .language_version:
      - 2
      - 0
    .max_flat_workgroup_size: 256
    .name:           _ZL37rocblas_syrkx_herkx_restricted_kernelIi19rocblas_complex_numIfELi16ELi32ELi8ELi1ELi0ELb0ELc84ELc76EKPKS1_KPS1_EviT_PT9_S7_lS9_S7_lPT10_S7_li
    .private_segment_fixed_size: 0
    .sgpr_count:     19
    .sgpr_spill_count: 0
    .symbol:         _ZL37rocblas_syrkx_herkx_restricted_kernelIi19rocblas_complex_numIfELi16ELi32ELi8ELi1ELi0ELb0ELc84ELc76EKPKS1_KPS1_EviT_PT9_S7_lS9_S7_lPT10_S7_li.kd
    .uniform_work_group_size: 1
    .uses_dynamic_stack: false
    .vgpr_count:     92
    .vgpr_spill_count: 0
    .wavefront_size: 32
    .workgroup_processor_mode: 1
  - .args:
      - .offset:         0
        .size:           4
        .value_kind:     by_value
      - .offset:         4
        .size:           4
        .value_kind:     by_value
      - .address_space:  global
        .offset:         8
        .size:           8
        .value_kind:     global_buffer
      - .offset:         16
        .size:           4
        .value_kind:     by_value
      - .offset:         24
        .size:           8
        .value_kind:     by_value
      - .address_space:  global
        .offset:         32
        .size:           8
        .value_kind:     global_buffer
      - .offset:         40
        .size:           4
        .value_kind:     by_value
      - .offset:         48
        .size:           8
        .value_kind:     by_value
      - .address_space:  global
        .offset:         56
        .size:           8
        .value_kind:     global_buffer
      - .offset:         64
        .size:           4
        .value_kind:     by_value
      - .offset:         72
        .size:           8
        .value_kind:     by_value
      - .offset:         80
        .size:           4
        .value_kind:     by_value
    .group_segment_fixed_size: 4096
    .kernarg_segment_align: 8
    .kernarg_segment_size: 84
    .language:       OpenCL C
    .language_version:
      - 2
      - 0
    .max_flat_workgroup_size: 256
    .name:           _ZL37rocblas_syrkx_herkx_restricted_kernelIi19rocblas_complex_numIfELi16ELi32ELi8ELi1ELi0ELb0ELc67ELc76EKPKS1_KPS1_EviT_PT9_S7_lS9_S7_lPT10_S7_li
    .private_segment_fixed_size: 0
    .sgpr_count:     19
    .sgpr_spill_count: 0
    .symbol:         _ZL37rocblas_syrkx_herkx_restricted_kernelIi19rocblas_complex_numIfELi16ELi32ELi8ELi1ELi0ELb0ELc67ELc76EKPKS1_KPS1_EviT_PT9_S7_lS9_S7_lPT10_S7_li.kd
    .uniform_work_group_size: 1
    .uses_dynamic_stack: false
    .vgpr_count:     92
    .vgpr_spill_count: 0
    .wavefront_size: 32
    .workgroup_processor_mode: 1
  - .args:
      - .offset:         0
        .size:           4
        .value_kind:     by_value
      - .offset:         4
        .size:           4
        .value_kind:     by_value
      - .address_space:  global
        .offset:         8
        .size:           8
        .value_kind:     global_buffer
      - .offset:         16
        .size:           4
        .value_kind:     by_value
      - .offset:         24
        .size:           8
        .value_kind:     by_value
      - .address_space:  global
        .offset:         32
        .size:           8
        .value_kind:     global_buffer
      - .offset:         40
        .size:           4
        .value_kind:     by_value
      - .offset:         48
        .size:           8
        .value_kind:     by_value
      - .address_space:  global
        .offset:         56
        .size:           8
        .value_kind:     global_buffer
      - .offset:         64
        .size:           4
        .value_kind:     by_value
      - .offset:         72
        .size:           8
        .value_kind:     by_value
      - .offset:         80
        .size:           4
        .value_kind:     by_value
    .group_segment_fixed_size: 4096
    .kernarg_segment_align: 8
    .kernarg_segment_size: 84
    .language:       OpenCL C
    .language_version:
      - 2
      - 0
    .max_flat_workgroup_size: 256
    .name:           _ZL37rocblas_syrkx_herkx_restricted_kernelIi19rocblas_complex_numIfELi16ELi32ELi8ELi1ELi0ELb0ELc78ELc76EKPKS1_KPS1_EviT_PT9_S7_lS9_S7_lPT10_S7_li
    .private_segment_fixed_size: 0
    .sgpr_count:     22
    .sgpr_spill_count: 0
    .symbol:         _ZL37rocblas_syrkx_herkx_restricted_kernelIi19rocblas_complex_numIfELi16ELi32ELi8ELi1ELi0ELb0ELc78ELc76EKPKS1_KPS1_EviT_PT9_S7_lS9_S7_lPT10_S7_li.kd
    .uniform_work_group_size: 1
    .uses_dynamic_stack: false
    .vgpr_count:     92
    .vgpr_spill_count: 0
    .wavefront_size: 32
    .workgroup_processor_mode: 1
  - .args:
      - .offset:         0
        .size:           4
        .value_kind:     by_value
      - .offset:         4
        .size:           4
        .value_kind:     by_value
      - .address_space:  global
        .offset:         8
        .size:           8
        .value_kind:     global_buffer
      - .offset:         16
        .size:           4
        .value_kind:     by_value
      - .offset:         24
        .size:           8
        .value_kind:     by_value
      - .address_space:  global
        .offset:         32
        .size:           8
        .value_kind:     global_buffer
      - .offset:         40
        .size:           4
        .value_kind:     by_value
      - .offset:         48
        .size:           8
        .value_kind:     by_value
      - .address_space:  global
        .offset:         56
        .size:           8
        .value_kind:     global_buffer
      - .offset:         64
        .size:           4
        .value_kind:     by_value
      - .offset:         72
        .size:           8
        .value_kind:     by_value
      - .offset:         80
        .size:           4
        .value_kind:     by_value
    .group_segment_fixed_size: 4096
    .kernarg_segment_align: 8
    .kernarg_segment_size: 84
    .language:       OpenCL C
    .language_version:
      - 2
      - 0
    .max_flat_workgroup_size: 256
    .name:           _ZL37rocblas_syrkx_herkx_restricted_kernelIi19rocblas_complex_numIfELi16ELi32ELi8ELi1ELi0ELb0ELc84ELc85EKPKS1_KPS1_EviT_PT9_S7_lS9_S7_lPT10_S7_li
    .private_segment_fixed_size: 0
    .sgpr_count:     19
    .sgpr_spill_count: 0
    .symbol:         _ZL37rocblas_syrkx_herkx_restricted_kernelIi19rocblas_complex_numIfELi16ELi32ELi8ELi1ELi0ELb0ELc84ELc85EKPKS1_KPS1_EviT_PT9_S7_lS9_S7_lPT10_S7_li.kd
    .uniform_work_group_size: 1
    .uses_dynamic_stack: false
    .vgpr_count:     92
    .vgpr_spill_count: 0
    .wavefront_size: 32
    .workgroup_processor_mode: 1
  - .args:
      - .offset:         0
        .size:           4
        .value_kind:     by_value
      - .offset:         4
        .size:           4
        .value_kind:     by_value
      - .address_space:  global
        .offset:         8
        .size:           8
        .value_kind:     global_buffer
      - .offset:         16
        .size:           4
        .value_kind:     by_value
      - .offset:         24
        .size:           8
        .value_kind:     by_value
      - .address_space:  global
        .offset:         32
        .size:           8
        .value_kind:     global_buffer
      - .offset:         40
        .size:           4
        .value_kind:     by_value
      - .offset:         48
        .size:           8
        .value_kind:     by_value
      - .address_space:  global
        .offset:         56
        .size:           8
        .value_kind:     global_buffer
      - .offset:         64
        .size:           4
        .value_kind:     by_value
      - .offset:         72
        .size:           8
        .value_kind:     by_value
      - .offset:         80
        .size:           4
        .value_kind:     by_value
    .group_segment_fixed_size: 4096
    .kernarg_segment_align: 8
    .kernarg_segment_size: 84
    .language:       OpenCL C
    .language_version:
      - 2
      - 0
    .max_flat_workgroup_size: 256
    .name:           _ZL37rocblas_syrkx_herkx_restricted_kernelIi19rocblas_complex_numIfELi16ELi32ELi8ELi1ELi0ELb0ELc67ELc85EKPKS1_KPS1_EviT_PT9_S7_lS9_S7_lPT10_S7_li
    .private_segment_fixed_size: 0
    .sgpr_count:     19
    .sgpr_spill_count: 0
    .symbol:         _ZL37rocblas_syrkx_herkx_restricted_kernelIi19rocblas_complex_numIfELi16ELi32ELi8ELi1ELi0ELb0ELc67ELc85EKPKS1_KPS1_EviT_PT9_S7_lS9_S7_lPT10_S7_li.kd
    .uniform_work_group_size: 1
    .uses_dynamic_stack: false
    .vgpr_count:     92
    .vgpr_spill_count: 0
    .wavefront_size: 32
    .workgroup_processor_mode: 1
  - .args:
      - .offset:         0
        .size:           4
        .value_kind:     by_value
      - .offset:         4
        .size:           4
        .value_kind:     by_value
      - .address_space:  global
        .offset:         8
        .size:           8
        .value_kind:     global_buffer
      - .offset:         16
        .size:           4
        .value_kind:     by_value
      - .offset:         24
        .size:           8
        .value_kind:     by_value
      - .address_space:  global
        .offset:         32
        .size:           8
        .value_kind:     global_buffer
      - .offset:         40
        .size:           4
        .value_kind:     by_value
      - .offset:         48
        .size:           8
        .value_kind:     by_value
      - .address_space:  global
        .offset:         56
        .size:           8
        .value_kind:     global_buffer
      - .offset:         64
        .size:           4
        .value_kind:     by_value
      - .offset:         72
        .size:           8
        .value_kind:     by_value
      - .offset:         80
        .size:           4
        .value_kind:     by_value
    .group_segment_fixed_size: 4096
    .kernarg_segment_align: 8
    .kernarg_segment_size: 84
    .language:       OpenCL C
    .language_version:
      - 2
      - 0
    .max_flat_workgroup_size: 256
    .name:           _ZL37rocblas_syrkx_herkx_restricted_kernelIi19rocblas_complex_numIfELi16ELi32ELi8ELi1ELi0ELb0ELc78ELc85EKPKS1_KPS1_EviT_PT9_S7_lS9_S7_lPT10_S7_li
    .private_segment_fixed_size: 0
    .sgpr_count:     22
    .sgpr_spill_count: 0
    .symbol:         _ZL37rocblas_syrkx_herkx_restricted_kernelIi19rocblas_complex_numIfELi16ELi32ELi8ELi1ELi0ELb0ELc78ELc85EKPKS1_KPS1_EviT_PT9_S7_lS9_S7_lPT10_S7_li.kd
    .uniform_work_group_size: 1
    .uses_dynamic_stack: false
    .vgpr_count:     92
    .vgpr_spill_count: 0
    .wavefront_size: 32
    .workgroup_processor_mode: 1
  - .args:
      - .offset:         0
        .size:           4
        .value_kind:     by_value
      - .offset:         4
        .size:           4
        .value_kind:     by_value
      - .address_space:  global
        .offset:         8
        .size:           8
        .value_kind:     global_buffer
      - .offset:         16
        .size:           4
        .value_kind:     by_value
      - .offset:         24
        .size:           8
        .value_kind:     by_value
      - .address_space:  global
        .offset:         32
        .size:           8
        .value_kind:     global_buffer
      - .offset:         40
        .size:           4
        .value_kind:     by_value
      - .offset:         48
        .size:           8
        .value_kind:     by_value
      - .address_space:  global
        .offset:         56
        .size:           8
        .value_kind:     global_buffer
      - .offset:         64
        .size:           4
        .value_kind:     by_value
      - .offset:         72
        .size:           8
        .value_kind:     by_value
      - .offset:         80
        .size:           4
        .value_kind:     by_value
    .group_segment_fixed_size: 4096
    .kernarg_segment_align: 8
    .kernarg_segment_size: 84
    .language:       OpenCL C
    .language_version:
      - 2
      - 0
    .max_flat_workgroup_size: 256
    .name:           _ZL37rocblas_syrkx_herkx_restricted_kernelIi19rocblas_complex_numIfELi16ELi32ELi8ELin1ELi0ELb0ELc84ELc76EKPKS1_KPS1_EviT_PT9_S7_lS9_S7_lPT10_S7_li
    .private_segment_fixed_size: 0
    .sgpr_count:     19
    .sgpr_spill_count: 0
    .symbol:         _ZL37rocblas_syrkx_herkx_restricted_kernelIi19rocblas_complex_numIfELi16ELi32ELi8ELin1ELi0ELb0ELc84ELc76EKPKS1_KPS1_EviT_PT9_S7_lS9_S7_lPT10_S7_li.kd
    .uniform_work_group_size: 1
    .uses_dynamic_stack: false
    .vgpr_count:     91
    .vgpr_spill_count: 0
    .wavefront_size: 32
    .workgroup_processor_mode: 1
  - .args:
      - .offset:         0
        .size:           4
        .value_kind:     by_value
      - .offset:         4
        .size:           4
        .value_kind:     by_value
      - .address_space:  global
        .offset:         8
        .size:           8
        .value_kind:     global_buffer
      - .offset:         16
        .size:           4
        .value_kind:     by_value
      - .offset:         24
        .size:           8
        .value_kind:     by_value
      - .address_space:  global
        .offset:         32
        .size:           8
        .value_kind:     global_buffer
      - .offset:         40
        .size:           4
        .value_kind:     by_value
      - .offset:         48
        .size:           8
        .value_kind:     by_value
      - .address_space:  global
        .offset:         56
        .size:           8
        .value_kind:     global_buffer
      - .offset:         64
        .size:           4
        .value_kind:     by_value
      - .offset:         72
        .size:           8
        .value_kind:     by_value
      - .offset:         80
        .size:           4
        .value_kind:     by_value
    .group_segment_fixed_size: 4096
    .kernarg_segment_align: 8
    .kernarg_segment_size: 84
    .language:       OpenCL C
    .language_version:
      - 2
      - 0
    .max_flat_workgroup_size: 256
    .name:           _ZL37rocblas_syrkx_herkx_restricted_kernelIi19rocblas_complex_numIfELi16ELi32ELi8ELin1ELi0ELb0ELc67ELc76EKPKS1_KPS1_EviT_PT9_S7_lS9_S7_lPT10_S7_li
    .private_segment_fixed_size: 0
    .sgpr_count:     19
    .sgpr_spill_count: 0
    .symbol:         _ZL37rocblas_syrkx_herkx_restricted_kernelIi19rocblas_complex_numIfELi16ELi32ELi8ELin1ELi0ELb0ELc67ELc76EKPKS1_KPS1_EviT_PT9_S7_lS9_S7_lPT10_S7_li.kd
    .uniform_work_group_size: 1
    .uses_dynamic_stack: false
    .vgpr_count:     91
    .vgpr_spill_count: 0
    .wavefront_size: 32
    .workgroup_processor_mode: 1
  - .args:
      - .offset:         0
        .size:           4
        .value_kind:     by_value
      - .offset:         4
        .size:           4
        .value_kind:     by_value
      - .address_space:  global
        .offset:         8
        .size:           8
        .value_kind:     global_buffer
      - .offset:         16
        .size:           4
        .value_kind:     by_value
      - .offset:         24
        .size:           8
        .value_kind:     by_value
      - .address_space:  global
        .offset:         32
        .size:           8
        .value_kind:     global_buffer
      - .offset:         40
        .size:           4
        .value_kind:     by_value
      - .offset:         48
        .size:           8
        .value_kind:     by_value
      - .address_space:  global
        .offset:         56
        .size:           8
        .value_kind:     global_buffer
      - .offset:         64
        .size:           4
        .value_kind:     by_value
      - .offset:         72
        .size:           8
        .value_kind:     by_value
      - .offset:         80
        .size:           4
        .value_kind:     by_value
    .group_segment_fixed_size: 4096
    .kernarg_segment_align: 8
    .kernarg_segment_size: 84
    .language:       OpenCL C
    .language_version:
      - 2
      - 0
    .max_flat_workgroup_size: 256
    .name:           _ZL37rocblas_syrkx_herkx_restricted_kernelIi19rocblas_complex_numIfELi16ELi32ELi8ELin1ELi0ELb0ELc78ELc76EKPKS1_KPS1_EviT_PT9_S7_lS9_S7_lPT10_S7_li
    .private_segment_fixed_size: 0
    .sgpr_count:     22
    .sgpr_spill_count: 0
    .symbol:         _ZL37rocblas_syrkx_herkx_restricted_kernelIi19rocblas_complex_numIfELi16ELi32ELi8ELin1ELi0ELb0ELc78ELc76EKPKS1_KPS1_EviT_PT9_S7_lS9_S7_lPT10_S7_li.kd
    .uniform_work_group_size: 1
    .uses_dynamic_stack: false
    .vgpr_count:     92
    .vgpr_spill_count: 0
    .wavefront_size: 32
    .workgroup_processor_mode: 1
  - .args:
      - .offset:         0
        .size:           4
        .value_kind:     by_value
      - .offset:         4
        .size:           4
        .value_kind:     by_value
      - .address_space:  global
        .offset:         8
        .size:           8
        .value_kind:     global_buffer
      - .offset:         16
        .size:           4
        .value_kind:     by_value
      - .offset:         24
        .size:           8
        .value_kind:     by_value
      - .address_space:  global
        .offset:         32
        .size:           8
        .value_kind:     global_buffer
      - .offset:         40
        .size:           4
        .value_kind:     by_value
      - .offset:         48
        .size:           8
        .value_kind:     by_value
      - .address_space:  global
        .offset:         56
        .size:           8
        .value_kind:     global_buffer
      - .offset:         64
        .size:           4
        .value_kind:     by_value
      - .offset:         72
        .size:           8
        .value_kind:     by_value
      - .offset:         80
        .size:           4
        .value_kind:     by_value
    .group_segment_fixed_size: 4096
    .kernarg_segment_align: 8
    .kernarg_segment_size: 84
    .language:       OpenCL C
    .language_version:
      - 2
      - 0
    .max_flat_workgroup_size: 256
    .name:           _ZL37rocblas_syrkx_herkx_restricted_kernelIi19rocblas_complex_numIfELi16ELi32ELi8ELin1ELi0ELb0ELc84ELc85EKPKS1_KPS1_EviT_PT9_S7_lS9_S7_lPT10_S7_li
    .private_segment_fixed_size: 0
    .sgpr_count:     19
    .sgpr_spill_count: 0
    .symbol:         _ZL37rocblas_syrkx_herkx_restricted_kernelIi19rocblas_complex_numIfELi16ELi32ELi8ELin1ELi0ELb0ELc84ELc85EKPKS1_KPS1_EviT_PT9_S7_lS9_S7_lPT10_S7_li.kd
    .uniform_work_group_size: 1
    .uses_dynamic_stack: false
    .vgpr_count:     91
    .vgpr_spill_count: 0
    .wavefront_size: 32
    .workgroup_processor_mode: 1
  - .args:
      - .offset:         0
        .size:           4
        .value_kind:     by_value
      - .offset:         4
        .size:           4
        .value_kind:     by_value
      - .address_space:  global
        .offset:         8
        .size:           8
        .value_kind:     global_buffer
      - .offset:         16
        .size:           4
        .value_kind:     by_value
      - .offset:         24
        .size:           8
        .value_kind:     by_value
      - .address_space:  global
        .offset:         32
        .size:           8
        .value_kind:     global_buffer
      - .offset:         40
        .size:           4
        .value_kind:     by_value
      - .offset:         48
        .size:           8
        .value_kind:     by_value
      - .address_space:  global
        .offset:         56
        .size:           8
        .value_kind:     global_buffer
      - .offset:         64
        .size:           4
        .value_kind:     by_value
      - .offset:         72
        .size:           8
        .value_kind:     by_value
      - .offset:         80
        .size:           4
        .value_kind:     by_value
    .group_segment_fixed_size: 4096
    .kernarg_segment_align: 8
    .kernarg_segment_size: 84
    .language:       OpenCL C
    .language_version:
      - 2
      - 0
    .max_flat_workgroup_size: 256
    .name:           _ZL37rocblas_syrkx_herkx_restricted_kernelIi19rocblas_complex_numIfELi16ELi32ELi8ELin1ELi0ELb0ELc67ELc85EKPKS1_KPS1_EviT_PT9_S7_lS9_S7_lPT10_S7_li
    .private_segment_fixed_size: 0
    .sgpr_count:     19
    .sgpr_spill_count: 0
    .symbol:         _ZL37rocblas_syrkx_herkx_restricted_kernelIi19rocblas_complex_numIfELi16ELi32ELi8ELin1ELi0ELb0ELc67ELc85EKPKS1_KPS1_EviT_PT9_S7_lS9_S7_lPT10_S7_li.kd
    .uniform_work_group_size: 1
    .uses_dynamic_stack: false
    .vgpr_count:     91
    .vgpr_spill_count: 0
    .wavefront_size: 32
    .workgroup_processor_mode: 1
  - .args:
      - .offset:         0
        .size:           4
        .value_kind:     by_value
      - .offset:         4
        .size:           4
        .value_kind:     by_value
      - .address_space:  global
        .offset:         8
        .size:           8
        .value_kind:     global_buffer
      - .offset:         16
        .size:           4
        .value_kind:     by_value
      - .offset:         24
        .size:           8
        .value_kind:     by_value
      - .address_space:  global
        .offset:         32
        .size:           8
        .value_kind:     global_buffer
      - .offset:         40
        .size:           4
        .value_kind:     by_value
      - .offset:         48
        .size:           8
        .value_kind:     by_value
      - .address_space:  global
        .offset:         56
        .size:           8
        .value_kind:     global_buffer
      - .offset:         64
        .size:           4
        .value_kind:     by_value
      - .offset:         72
        .size:           8
        .value_kind:     by_value
      - .offset:         80
        .size:           4
        .value_kind:     by_value
    .group_segment_fixed_size: 4096
    .kernarg_segment_align: 8
    .kernarg_segment_size: 84
    .language:       OpenCL C
    .language_version:
      - 2
      - 0
    .max_flat_workgroup_size: 256
    .name:           _ZL37rocblas_syrkx_herkx_restricted_kernelIi19rocblas_complex_numIfELi16ELi32ELi8ELin1ELi0ELb0ELc78ELc85EKPKS1_KPS1_EviT_PT9_S7_lS9_S7_lPT10_S7_li
    .private_segment_fixed_size: 0
    .sgpr_count:     22
    .sgpr_spill_count: 0
    .symbol:         _ZL37rocblas_syrkx_herkx_restricted_kernelIi19rocblas_complex_numIfELi16ELi32ELi8ELin1ELi0ELb0ELc78ELc85EKPKS1_KPS1_EviT_PT9_S7_lS9_S7_lPT10_S7_li.kd
    .uniform_work_group_size: 1
    .uses_dynamic_stack: false
    .vgpr_count:     92
    .vgpr_spill_count: 0
    .wavefront_size: 32
    .workgroup_processor_mode: 1
  - .args:
      - .offset:         0
        .size:           4
        .value_kind:     by_value
      - .offset:         4
        .size:           4
        .value_kind:     by_value
      - .offset:         8
        .size:           8
        .value_kind:     by_value
      - .address_space:  global
        .offset:         16
        .size:           8
        .value_kind:     global_buffer
      - .offset:         24
        .size:           4
        .value_kind:     by_value
      - .offset:         32
        .size:           8
        .value_kind:     by_value
      - .address_space:  global
        .offset:         40
        .size:           8
        .value_kind:     global_buffer
      - .offset:         48
        .size:           4
        .value_kind:     by_value
      - .offset:         56
        .size:           8
        .value_kind:     by_value
      - .offset:         64
        .size:           8
        .value_kind:     by_value
      - .address_space:  global
        .offset:         72
        .size:           8
        .value_kind:     global_buffer
      - .offset:         80
        .size:           4
        .value_kind:     by_value
      - .offset:         88
        .size:           8
        .value_kind:     by_value
      - .offset:         96
        .size:           4
        .value_kind:     by_value
    .group_segment_fixed_size: 4096
    .kernarg_segment_align: 8
    .kernarg_segment_size: 100
    .language:       OpenCL C
    .language_version:
      - 2
      - 0
    .max_flat_workgroup_size: 256
    .name:           _ZL37rocblas_syrkx_herkx_restricted_kernelIi19rocblas_complex_numIfELi16ELi32ELi8ELb1ELb0ELc84ELc76EKPKS1_KPS1_EviT_T0_PT8_S7_lSA_S7_lS8_PT9_S7_li
    .private_segment_fixed_size: 0
    .sgpr_count:     21
    .sgpr_spill_count: 0
    .symbol:         _ZL37rocblas_syrkx_herkx_restricted_kernelIi19rocblas_complex_numIfELi16ELi32ELi8ELb1ELb0ELc84ELc76EKPKS1_KPS1_EviT_T0_PT8_S7_lSA_S7_lS8_PT9_S7_li.kd
    .uniform_work_group_size: 1
    .uses_dynamic_stack: false
    .vgpr_count:     91
    .vgpr_spill_count: 0
    .wavefront_size: 32
    .workgroup_processor_mode: 1
  - .args:
      - .offset:         0
        .size:           4
        .value_kind:     by_value
      - .offset:         4
        .size:           4
        .value_kind:     by_value
      - .offset:         8
        .size:           8
        .value_kind:     by_value
      - .address_space:  global
        .offset:         16
        .size:           8
        .value_kind:     global_buffer
      - .offset:         24
        .size:           4
        .value_kind:     by_value
      - .offset:         32
        .size:           8
        .value_kind:     by_value
      - .address_space:  global
        .offset:         40
        .size:           8
        .value_kind:     global_buffer
      - .offset:         48
        .size:           4
        .value_kind:     by_value
      - .offset:         56
        .size:           8
        .value_kind:     by_value
      - .offset:         64
        .size:           8
        .value_kind:     by_value
      - .address_space:  global
        .offset:         72
        .size:           8
        .value_kind:     global_buffer
      - .offset:         80
        .size:           4
        .value_kind:     by_value
      - .offset:         88
        .size:           8
        .value_kind:     by_value
      - .offset:         96
        .size:           4
        .value_kind:     by_value
    .group_segment_fixed_size: 4096
    .kernarg_segment_align: 8
    .kernarg_segment_size: 100
    .language:       OpenCL C
    .language_version:
      - 2
      - 0
    .max_flat_workgroup_size: 256
    .name:           _ZL37rocblas_syrkx_herkx_restricted_kernelIi19rocblas_complex_numIfELi16ELi32ELi8ELb1ELb0ELc67ELc76EKPKS1_KPS1_EviT_T0_PT8_S7_lSA_S7_lS8_PT9_S7_li
    .private_segment_fixed_size: 0
    .sgpr_count:     21
    .sgpr_spill_count: 0
    .symbol:         _ZL37rocblas_syrkx_herkx_restricted_kernelIi19rocblas_complex_numIfELi16ELi32ELi8ELb1ELb0ELc67ELc76EKPKS1_KPS1_EviT_T0_PT8_S7_lSA_S7_lS8_PT9_S7_li.kd
    .uniform_work_group_size: 1
    .uses_dynamic_stack: false
    .vgpr_count:     91
    .vgpr_spill_count: 0
    .wavefront_size: 32
    .workgroup_processor_mode: 1
  - .args:
      - .offset:         0
        .size:           4
        .value_kind:     by_value
      - .offset:         4
        .size:           4
        .value_kind:     by_value
      - .offset:         8
        .size:           8
        .value_kind:     by_value
      - .address_space:  global
        .offset:         16
        .size:           8
        .value_kind:     global_buffer
      - .offset:         24
        .size:           4
        .value_kind:     by_value
      - .offset:         32
        .size:           8
        .value_kind:     by_value
      - .address_space:  global
        .offset:         40
        .size:           8
        .value_kind:     global_buffer
      - .offset:         48
        .size:           4
        .value_kind:     by_value
      - .offset:         56
        .size:           8
        .value_kind:     by_value
      - .offset:         64
        .size:           8
        .value_kind:     by_value
      - .address_space:  global
        .offset:         72
        .size:           8
        .value_kind:     global_buffer
      - .offset:         80
        .size:           4
        .value_kind:     by_value
      - .offset:         88
        .size:           8
        .value_kind:     by_value
      - .offset:         96
        .size:           4
        .value_kind:     by_value
    .group_segment_fixed_size: 4096
    .kernarg_segment_align: 8
    .kernarg_segment_size: 100
    .language:       OpenCL C
    .language_version:
      - 2
      - 0
    .max_flat_workgroup_size: 256
    .name:           _ZL37rocblas_syrkx_herkx_restricted_kernelIi19rocblas_complex_numIfELi16ELi32ELi8ELb1ELb0ELc78ELc76EKPKS1_KPS1_EviT_T0_PT8_S7_lSA_S7_lS8_PT9_S7_li
    .private_segment_fixed_size: 0
    .sgpr_count:     24
    .sgpr_spill_count: 0
    .symbol:         _ZL37rocblas_syrkx_herkx_restricted_kernelIi19rocblas_complex_numIfELi16ELi32ELi8ELb1ELb0ELc78ELc76EKPKS1_KPS1_EviT_T0_PT8_S7_lSA_S7_lS8_PT9_S7_li.kd
    .uniform_work_group_size: 1
    .uses_dynamic_stack: false
    .vgpr_count:     92
    .vgpr_spill_count: 0
    .wavefront_size: 32
    .workgroup_processor_mode: 1
  - .args:
      - .offset:         0
        .size:           4
        .value_kind:     by_value
      - .offset:         4
        .size:           4
        .value_kind:     by_value
      - .offset:         8
        .size:           8
        .value_kind:     by_value
      - .address_space:  global
        .offset:         16
        .size:           8
        .value_kind:     global_buffer
      - .offset:         24
        .size:           4
        .value_kind:     by_value
      - .offset:         32
        .size:           8
        .value_kind:     by_value
      - .address_space:  global
        .offset:         40
        .size:           8
        .value_kind:     global_buffer
      - .offset:         48
        .size:           4
        .value_kind:     by_value
      - .offset:         56
        .size:           8
        .value_kind:     by_value
      - .offset:         64
        .size:           8
        .value_kind:     by_value
      - .address_space:  global
        .offset:         72
        .size:           8
        .value_kind:     global_buffer
      - .offset:         80
        .size:           4
        .value_kind:     by_value
      - .offset:         88
        .size:           8
        .value_kind:     by_value
      - .offset:         96
        .size:           4
        .value_kind:     by_value
    .group_segment_fixed_size: 4096
    .kernarg_segment_align: 8
    .kernarg_segment_size: 100
    .language:       OpenCL C
    .language_version:
      - 2
      - 0
    .max_flat_workgroup_size: 256
    .name:           _ZL37rocblas_syrkx_herkx_restricted_kernelIi19rocblas_complex_numIfELi16ELi32ELi8ELb1ELb0ELc84ELc85EKPKS1_KPS1_EviT_T0_PT8_S7_lSA_S7_lS8_PT9_S7_li
    .private_segment_fixed_size: 0
    .sgpr_count:     21
    .sgpr_spill_count: 0
    .symbol:         _ZL37rocblas_syrkx_herkx_restricted_kernelIi19rocblas_complex_numIfELi16ELi32ELi8ELb1ELb0ELc84ELc85EKPKS1_KPS1_EviT_T0_PT8_S7_lSA_S7_lS8_PT9_S7_li.kd
    .uniform_work_group_size: 1
    .uses_dynamic_stack: false
    .vgpr_count:     91
    .vgpr_spill_count: 0
    .wavefront_size: 32
    .workgroup_processor_mode: 1
  - .args:
      - .offset:         0
        .size:           4
        .value_kind:     by_value
      - .offset:         4
        .size:           4
        .value_kind:     by_value
      - .offset:         8
        .size:           8
        .value_kind:     by_value
      - .address_space:  global
        .offset:         16
        .size:           8
        .value_kind:     global_buffer
      - .offset:         24
        .size:           4
        .value_kind:     by_value
      - .offset:         32
        .size:           8
        .value_kind:     by_value
      - .address_space:  global
        .offset:         40
        .size:           8
        .value_kind:     global_buffer
      - .offset:         48
        .size:           4
        .value_kind:     by_value
      - .offset:         56
        .size:           8
        .value_kind:     by_value
      - .offset:         64
        .size:           8
        .value_kind:     by_value
      - .address_space:  global
        .offset:         72
        .size:           8
        .value_kind:     global_buffer
      - .offset:         80
        .size:           4
        .value_kind:     by_value
      - .offset:         88
        .size:           8
        .value_kind:     by_value
      - .offset:         96
        .size:           4
        .value_kind:     by_value
    .group_segment_fixed_size: 4096
    .kernarg_segment_align: 8
    .kernarg_segment_size: 100
    .language:       OpenCL C
    .language_version:
      - 2
      - 0
    .max_flat_workgroup_size: 256
    .name:           _ZL37rocblas_syrkx_herkx_restricted_kernelIi19rocblas_complex_numIfELi16ELi32ELi8ELb1ELb0ELc67ELc85EKPKS1_KPS1_EviT_T0_PT8_S7_lSA_S7_lS8_PT9_S7_li
    .private_segment_fixed_size: 0
    .sgpr_count:     21
    .sgpr_spill_count: 0
    .symbol:         _ZL37rocblas_syrkx_herkx_restricted_kernelIi19rocblas_complex_numIfELi16ELi32ELi8ELb1ELb0ELc67ELc85EKPKS1_KPS1_EviT_T0_PT8_S7_lSA_S7_lS8_PT9_S7_li.kd
    .uniform_work_group_size: 1
    .uses_dynamic_stack: false
    .vgpr_count:     91
    .vgpr_spill_count: 0
    .wavefront_size: 32
    .workgroup_processor_mode: 1
  - .args:
      - .offset:         0
        .size:           4
        .value_kind:     by_value
      - .offset:         4
        .size:           4
        .value_kind:     by_value
      - .offset:         8
        .size:           8
        .value_kind:     by_value
      - .address_space:  global
        .offset:         16
        .size:           8
        .value_kind:     global_buffer
      - .offset:         24
        .size:           4
        .value_kind:     by_value
      - .offset:         32
        .size:           8
        .value_kind:     by_value
      - .address_space:  global
        .offset:         40
        .size:           8
        .value_kind:     global_buffer
      - .offset:         48
        .size:           4
        .value_kind:     by_value
      - .offset:         56
        .size:           8
        .value_kind:     by_value
      - .offset:         64
        .size:           8
        .value_kind:     by_value
      - .address_space:  global
        .offset:         72
        .size:           8
        .value_kind:     global_buffer
      - .offset:         80
        .size:           4
        .value_kind:     by_value
      - .offset:         88
        .size:           8
        .value_kind:     by_value
      - .offset:         96
        .size:           4
        .value_kind:     by_value
    .group_segment_fixed_size: 4096
    .kernarg_segment_align: 8
    .kernarg_segment_size: 100
    .language:       OpenCL C
    .language_version:
      - 2
      - 0
    .max_flat_workgroup_size: 256
    .name:           _ZL37rocblas_syrkx_herkx_restricted_kernelIi19rocblas_complex_numIfELi16ELi32ELi8ELb1ELb0ELc78ELc85EKPKS1_KPS1_EviT_T0_PT8_S7_lSA_S7_lS8_PT9_S7_li
    .private_segment_fixed_size: 0
    .sgpr_count:     24
    .sgpr_spill_count: 0
    .symbol:         _ZL37rocblas_syrkx_herkx_restricted_kernelIi19rocblas_complex_numIfELi16ELi32ELi8ELb1ELb0ELc78ELc85EKPKS1_KPS1_EviT_T0_PT8_S7_lSA_S7_lS8_PT9_S7_li.kd
    .uniform_work_group_size: 1
    .uses_dynamic_stack: false
    .vgpr_count:     92
    .vgpr_spill_count: 0
    .wavefront_size: 32
    .workgroup_processor_mode: 1
  - .args:
      - .offset:         0
        .size:           4
        .value_kind:     by_value
      - .offset:         4
        .size:           4
        .value_kind:     by_value
      - .offset:         8
        .size:           8
        .value_kind:     by_value
      - .address_space:  global
        .offset:         16
        .size:           8
        .value_kind:     global_buffer
      - .offset:         24
        .size:           4
        .value_kind:     by_value
      - .offset:         32
        .size:           8
        .value_kind:     by_value
      - .address_space:  global
        .offset:         40
        .size:           8
        .value_kind:     global_buffer
      - .offset:         48
        .size:           4
        .value_kind:     by_value
      - .offset:         56
        .size:           8
        .value_kind:     by_value
      - .offset:         64
        .size:           8
        .value_kind:     by_value
      - .address_space:  global
        .offset:         72
        .size:           8
        .value_kind:     global_buffer
      - .offset:         80
        .size:           4
        .value_kind:     by_value
      - .offset:         88
        .size:           8
        .value_kind:     by_value
      - .offset:         96
        .size:           4
        .value_kind:     by_value
    .group_segment_fixed_size: 4096
    .kernarg_segment_align: 8
    .kernarg_segment_size: 100
    .language:       OpenCL C
    .language_version:
      - 2
      - 0
    .max_flat_workgroup_size: 256
    .name:           _ZL37rocblas_syrkx_herkx_restricted_kernelIi19rocblas_complex_numIfELi16ELi32ELi8ELb0ELb0ELc84ELc76EKPKS1_KPS1_EviT_T0_PT8_S7_lSA_S7_lS8_PT9_S7_li
    .private_segment_fixed_size: 0
    .sgpr_count:     24
    .sgpr_spill_count: 0
    .symbol:         _ZL37rocblas_syrkx_herkx_restricted_kernelIi19rocblas_complex_numIfELi16ELi32ELi8ELb0ELb0ELc84ELc76EKPKS1_KPS1_EviT_T0_PT8_S7_lSA_S7_lS8_PT9_S7_li.kd
    .uniform_work_group_size: 1
    .uses_dynamic_stack: false
    .vgpr_count:     91
    .vgpr_spill_count: 0
    .wavefront_size: 32
    .workgroup_processor_mode: 1
  - .args:
      - .offset:         0
        .size:           4
        .value_kind:     by_value
      - .offset:         4
        .size:           4
        .value_kind:     by_value
      - .offset:         8
        .size:           8
        .value_kind:     by_value
      - .address_space:  global
        .offset:         16
        .size:           8
        .value_kind:     global_buffer
      - .offset:         24
        .size:           4
        .value_kind:     by_value
      - .offset:         32
        .size:           8
        .value_kind:     by_value
      - .address_space:  global
        .offset:         40
        .size:           8
        .value_kind:     global_buffer
      - .offset:         48
        .size:           4
        .value_kind:     by_value
      - .offset:         56
        .size:           8
        .value_kind:     by_value
      - .offset:         64
        .size:           8
        .value_kind:     by_value
      - .address_space:  global
        .offset:         72
        .size:           8
        .value_kind:     global_buffer
      - .offset:         80
        .size:           4
        .value_kind:     by_value
      - .offset:         88
        .size:           8
        .value_kind:     by_value
      - .offset:         96
        .size:           4
        .value_kind:     by_value
    .group_segment_fixed_size: 4096
    .kernarg_segment_align: 8
    .kernarg_segment_size: 100
    .language:       OpenCL C
    .language_version:
      - 2
      - 0
    .max_flat_workgroup_size: 256
    .name:           _ZL37rocblas_syrkx_herkx_restricted_kernelIi19rocblas_complex_numIfELi16ELi32ELi8ELb0ELb0ELc67ELc76EKPKS1_KPS1_EviT_T0_PT8_S7_lSA_S7_lS8_PT9_S7_li
    .private_segment_fixed_size: 0
    .sgpr_count:     24
    .sgpr_spill_count: 0
    .symbol:         _ZL37rocblas_syrkx_herkx_restricted_kernelIi19rocblas_complex_numIfELi16ELi32ELi8ELb0ELb0ELc67ELc76EKPKS1_KPS1_EviT_T0_PT8_S7_lSA_S7_lS8_PT9_S7_li.kd
    .uniform_work_group_size: 1
    .uses_dynamic_stack: false
    .vgpr_count:     91
    .vgpr_spill_count: 0
    .wavefront_size: 32
    .workgroup_processor_mode: 1
  - .args:
      - .offset:         0
        .size:           4
        .value_kind:     by_value
      - .offset:         4
        .size:           4
        .value_kind:     by_value
      - .offset:         8
        .size:           8
        .value_kind:     by_value
      - .address_space:  global
        .offset:         16
        .size:           8
        .value_kind:     global_buffer
      - .offset:         24
        .size:           4
        .value_kind:     by_value
      - .offset:         32
        .size:           8
        .value_kind:     by_value
      - .address_space:  global
        .offset:         40
        .size:           8
        .value_kind:     global_buffer
      - .offset:         48
        .size:           4
        .value_kind:     by_value
      - .offset:         56
        .size:           8
        .value_kind:     by_value
      - .offset:         64
        .size:           8
        .value_kind:     by_value
      - .address_space:  global
        .offset:         72
        .size:           8
        .value_kind:     global_buffer
      - .offset:         80
        .size:           4
        .value_kind:     by_value
      - .offset:         88
        .size:           8
        .value_kind:     by_value
      - .offset:         96
        .size:           4
        .value_kind:     by_value
    .group_segment_fixed_size: 4096
    .kernarg_segment_align: 8
    .kernarg_segment_size: 100
    .language:       OpenCL C
    .language_version:
      - 2
      - 0
    .max_flat_workgroup_size: 256
    .name:           _ZL37rocblas_syrkx_herkx_restricted_kernelIi19rocblas_complex_numIfELi16ELi32ELi8ELb0ELb0ELc78ELc76EKPKS1_KPS1_EviT_T0_PT8_S7_lSA_S7_lS8_PT9_S7_li
    .private_segment_fixed_size: 0
    .sgpr_count:     26
    .sgpr_spill_count: 0
    .symbol:         _ZL37rocblas_syrkx_herkx_restricted_kernelIi19rocblas_complex_numIfELi16ELi32ELi8ELb0ELb0ELc78ELc76EKPKS1_KPS1_EviT_T0_PT8_S7_lSA_S7_lS8_PT9_S7_li.kd
    .uniform_work_group_size: 1
    .uses_dynamic_stack: false
    .vgpr_count:     92
    .vgpr_spill_count: 0
    .wavefront_size: 32
    .workgroup_processor_mode: 1
  - .args:
      - .offset:         0
        .size:           4
        .value_kind:     by_value
      - .offset:         4
        .size:           4
        .value_kind:     by_value
      - .offset:         8
        .size:           8
        .value_kind:     by_value
      - .address_space:  global
        .offset:         16
        .size:           8
        .value_kind:     global_buffer
      - .offset:         24
        .size:           4
        .value_kind:     by_value
      - .offset:         32
        .size:           8
        .value_kind:     by_value
      - .address_space:  global
        .offset:         40
        .size:           8
        .value_kind:     global_buffer
      - .offset:         48
        .size:           4
        .value_kind:     by_value
      - .offset:         56
        .size:           8
        .value_kind:     by_value
      - .offset:         64
        .size:           8
        .value_kind:     by_value
      - .address_space:  global
        .offset:         72
        .size:           8
        .value_kind:     global_buffer
      - .offset:         80
        .size:           4
        .value_kind:     by_value
      - .offset:         88
        .size:           8
        .value_kind:     by_value
      - .offset:         96
        .size:           4
        .value_kind:     by_value
    .group_segment_fixed_size: 4096
    .kernarg_segment_align: 8
    .kernarg_segment_size: 100
    .language:       OpenCL C
    .language_version:
      - 2
      - 0
    .max_flat_workgroup_size: 256
    .name:           _ZL37rocblas_syrkx_herkx_restricted_kernelIi19rocblas_complex_numIfELi16ELi32ELi8ELb0ELb0ELc84ELc85EKPKS1_KPS1_EviT_T0_PT8_S7_lSA_S7_lS8_PT9_S7_li
    .private_segment_fixed_size: 0
    .sgpr_count:     23
    .sgpr_spill_count: 0
    .symbol:         _ZL37rocblas_syrkx_herkx_restricted_kernelIi19rocblas_complex_numIfELi16ELi32ELi8ELb0ELb0ELc84ELc85EKPKS1_KPS1_EviT_T0_PT8_S7_lSA_S7_lS8_PT9_S7_li.kd
    .uniform_work_group_size: 1
    .uses_dynamic_stack: false
    .vgpr_count:     91
    .vgpr_spill_count: 0
    .wavefront_size: 32
    .workgroup_processor_mode: 1
  - .args:
      - .offset:         0
        .size:           4
        .value_kind:     by_value
      - .offset:         4
        .size:           4
        .value_kind:     by_value
      - .offset:         8
        .size:           8
        .value_kind:     by_value
      - .address_space:  global
        .offset:         16
        .size:           8
        .value_kind:     global_buffer
      - .offset:         24
        .size:           4
        .value_kind:     by_value
      - .offset:         32
        .size:           8
        .value_kind:     by_value
      - .address_space:  global
        .offset:         40
        .size:           8
        .value_kind:     global_buffer
      - .offset:         48
        .size:           4
        .value_kind:     by_value
      - .offset:         56
        .size:           8
        .value_kind:     by_value
      - .offset:         64
        .size:           8
        .value_kind:     by_value
      - .address_space:  global
        .offset:         72
        .size:           8
        .value_kind:     global_buffer
      - .offset:         80
        .size:           4
        .value_kind:     by_value
      - .offset:         88
        .size:           8
        .value_kind:     by_value
      - .offset:         96
        .size:           4
        .value_kind:     by_value
    .group_segment_fixed_size: 4096
    .kernarg_segment_align: 8
    .kernarg_segment_size: 100
    .language:       OpenCL C
    .language_version:
      - 2
      - 0
    .max_flat_workgroup_size: 256
    .name:           _ZL37rocblas_syrkx_herkx_restricted_kernelIi19rocblas_complex_numIfELi16ELi32ELi8ELb0ELb0ELc67ELc85EKPKS1_KPS1_EviT_T0_PT8_S7_lSA_S7_lS8_PT9_S7_li
    .private_segment_fixed_size: 0
    .sgpr_count:     23
    .sgpr_spill_count: 0
    .symbol:         _ZL37rocblas_syrkx_herkx_restricted_kernelIi19rocblas_complex_numIfELi16ELi32ELi8ELb0ELb0ELc67ELc85EKPKS1_KPS1_EviT_T0_PT8_S7_lSA_S7_lS8_PT9_S7_li.kd
    .uniform_work_group_size: 1
    .uses_dynamic_stack: false
    .vgpr_count:     91
    .vgpr_spill_count: 0
    .wavefront_size: 32
    .workgroup_processor_mode: 1
  - .args:
      - .offset:         0
        .size:           4
        .value_kind:     by_value
      - .offset:         4
        .size:           4
        .value_kind:     by_value
      - .offset:         8
        .size:           8
        .value_kind:     by_value
      - .address_space:  global
        .offset:         16
        .size:           8
        .value_kind:     global_buffer
      - .offset:         24
        .size:           4
        .value_kind:     by_value
      - .offset:         32
        .size:           8
        .value_kind:     by_value
      - .address_space:  global
        .offset:         40
        .size:           8
        .value_kind:     global_buffer
      - .offset:         48
        .size:           4
        .value_kind:     by_value
      - .offset:         56
        .size:           8
        .value_kind:     by_value
      - .offset:         64
        .size:           8
        .value_kind:     by_value
      - .address_space:  global
        .offset:         72
        .size:           8
        .value_kind:     global_buffer
      - .offset:         80
        .size:           4
        .value_kind:     by_value
      - .offset:         88
        .size:           8
        .value_kind:     by_value
      - .offset:         96
        .size:           4
        .value_kind:     by_value
    .group_segment_fixed_size: 4096
    .kernarg_segment_align: 8
    .kernarg_segment_size: 100
    .language:       OpenCL C
    .language_version:
      - 2
      - 0
    .max_flat_workgroup_size: 256
    .name:           _ZL37rocblas_syrkx_herkx_restricted_kernelIi19rocblas_complex_numIfELi16ELi32ELi8ELb0ELb0ELc78ELc85EKPKS1_KPS1_EviT_T0_PT8_S7_lSA_S7_lS8_PT9_S7_li
    .private_segment_fixed_size: 0
    .sgpr_count:     26
    .sgpr_spill_count: 0
    .symbol:         _ZL37rocblas_syrkx_herkx_restricted_kernelIi19rocblas_complex_numIfELi16ELi32ELi8ELb0ELb0ELc78ELc85EKPKS1_KPS1_EviT_T0_PT8_S7_lSA_S7_lS8_PT9_S7_li.kd
    .uniform_work_group_size: 1
    .uses_dynamic_stack: false
    .vgpr_count:     92
    .vgpr_spill_count: 0
    .wavefront_size: 32
    .workgroup_processor_mode: 1
  - .args:
      - .offset:         0
        .size:           4
        .value_kind:     by_value
      - .offset:         4
        .size:           4
        .value_kind:     by_value
      - .offset:         8
        .size:           8
        .value_kind:     by_value
      - .address_space:  global
        .offset:         16
        .size:           8
        .value_kind:     global_buffer
      - .offset:         24
        .size:           4
        .value_kind:     by_value
      - .offset:         32
        .size:           8
        .value_kind:     by_value
      - .address_space:  global
        .offset:         40
        .size:           8
        .value_kind:     global_buffer
      - .offset:         48
        .size:           4
        .value_kind:     by_value
      - .offset:         56
        .size:           8
        .value_kind:     by_value
      - .offset:         64
        .size:           8
        .value_kind:     by_value
      - .address_space:  global
        .offset:         72
        .size:           8
        .value_kind:     global_buffer
      - .offset:         80
        .size:           4
        .value_kind:     by_value
      - .offset:         88
        .size:           8
        .value_kind:     by_value
      - .offset:         96
        .size:           4
        .value_kind:     by_value
    .group_segment_fixed_size: 4096
    .kernarg_segment_align: 8
    .kernarg_segment_size: 100
    .language:       OpenCL C
    .language_version:
      - 2
      - 0
    .max_flat_workgroup_size: 256
    .name:           _ZL41rocblas_syrkx_herkx_small_restrict_kernelIi19rocblas_complex_numIfELi16ELb1ELb0ELc84ELc76EKPKS1_KPS1_EviT_T0_PT6_S7_lSA_S7_lS8_PT7_S7_li
    .private_segment_fixed_size: 0
    .sgpr_count:     18
    .sgpr_spill_count: 0
    .symbol:         _ZL41rocblas_syrkx_herkx_small_restrict_kernelIi19rocblas_complex_numIfELi16ELb1ELb0ELc84ELc76EKPKS1_KPS1_EviT_T0_PT6_S7_lSA_S7_lS8_PT7_S7_li.kd
    .uniform_work_group_size: 1
    .uses_dynamic_stack: false
    .vgpr_count:     85
    .vgpr_spill_count: 0
    .wavefront_size: 32
    .workgroup_processor_mode: 1
  - .args:
      - .offset:         0
        .size:           4
        .value_kind:     by_value
      - .offset:         4
        .size:           4
        .value_kind:     by_value
      - .offset:         8
        .size:           8
        .value_kind:     by_value
      - .address_space:  global
        .offset:         16
        .size:           8
        .value_kind:     global_buffer
      - .offset:         24
        .size:           4
        .value_kind:     by_value
      - .offset:         32
        .size:           8
        .value_kind:     by_value
      - .address_space:  global
        .offset:         40
        .size:           8
        .value_kind:     global_buffer
      - .offset:         48
        .size:           4
        .value_kind:     by_value
      - .offset:         56
        .size:           8
        .value_kind:     by_value
      - .offset:         64
        .size:           8
        .value_kind:     by_value
      - .address_space:  global
        .offset:         72
        .size:           8
        .value_kind:     global_buffer
      - .offset:         80
        .size:           4
        .value_kind:     by_value
      - .offset:         88
        .size:           8
        .value_kind:     by_value
      - .offset:         96
        .size:           4
        .value_kind:     by_value
    .group_segment_fixed_size: 4096
    .kernarg_segment_align: 8
    .kernarg_segment_size: 100
    .language:       OpenCL C
    .language_version:
      - 2
      - 0
    .max_flat_workgroup_size: 256
    .name:           _ZL41rocblas_syrkx_herkx_small_restrict_kernelIi19rocblas_complex_numIfELi16ELb1ELb0ELc67ELc76EKPKS1_KPS1_EviT_T0_PT6_S7_lSA_S7_lS8_PT7_S7_li
    .private_segment_fixed_size: 0
    .sgpr_count:     18
    .sgpr_spill_count: 0
    .symbol:         _ZL41rocblas_syrkx_herkx_small_restrict_kernelIi19rocblas_complex_numIfELi16ELb1ELb0ELc67ELc76EKPKS1_KPS1_EviT_T0_PT6_S7_lSA_S7_lS8_PT7_S7_li.kd
    .uniform_work_group_size: 1
    .uses_dynamic_stack: false
    .vgpr_count:     85
    .vgpr_spill_count: 0
    .wavefront_size: 32
    .workgroup_processor_mode: 1
  - .args:
      - .offset:         0
        .size:           4
        .value_kind:     by_value
      - .offset:         4
        .size:           4
        .value_kind:     by_value
      - .offset:         8
        .size:           8
        .value_kind:     by_value
      - .address_space:  global
        .offset:         16
        .size:           8
        .value_kind:     global_buffer
      - .offset:         24
        .size:           4
        .value_kind:     by_value
      - .offset:         32
        .size:           8
        .value_kind:     by_value
      - .address_space:  global
        .offset:         40
        .size:           8
        .value_kind:     global_buffer
      - .offset:         48
        .size:           4
        .value_kind:     by_value
      - .offset:         56
        .size:           8
        .value_kind:     by_value
      - .offset:         64
        .size:           8
        .value_kind:     by_value
      - .address_space:  global
        .offset:         72
        .size:           8
        .value_kind:     global_buffer
      - .offset:         80
        .size:           4
        .value_kind:     by_value
      - .offset:         88
        .size:           8
        .value_kind:     by_value
      - .offset:         96
        .size:           4
        .value_kind:     by_value
    .group_segment_fixed_size: 4096
    .kernarg_segment_align: 8
    .kernarg_segment_size: 100
    .language:       OpenCL C
    .language_version:
      - 2
      - 0
    .max_flat_workgroup_size: 256
    .name:           _ZL41rocblas_syrkx_herkx_small_restrict_kernelIi19rocblas_complex_numIfELi16ELb1ELb0ELc78ELc76EKPKS1_KPS1_EviT_T0_PT6_S7_lSA_S7_lS8_PT7_S7_li
    .private_segment_fixed_size: 0
    .sgpr_count:     20
    .sgpr_spill_count: 0
    .symbol:         _ZL41rocblas_syrkx_herkx_small_restrict_kernelIi19rocblas_complex_numIfELi16ELb1ELb0ELc78ELc76EKPKS1_KPS1_EviT_T0_PT6_S7_lSA_S7_lS8_PT7_S7_li.kd
    .uniform_work_group_size: 1
    .uses_dynamic_stack: false
    .vgpr_count:     86
    .vgpr_spill_count: 0
    .wavefront_size: 32
    .workgroup_processor_mode: 1
  - .args:
      - .offset:         0
        .size:           4
        .value_kind:     by_value
      - .offset:         4
        .size:           4
        .value_kind:     by_value
      - .offset:         8
        .size:           8
        .value_kind:     by_value
      - .address_space:  global
        .offset:         16
        .size:           8
        .value_kind:     global_buffer
      - .offset:         24
        .size:           4
        .value_kind:     by_value
      - .offset:         32
        .size:           8
        .value_kind:     by_value
      - .address_space:  global
        .offset:         40
        .size:           8
        .value_kind:     global_buffer
      - .offset:         48
        .size:           4
        .value_kind:     by_value
      - .offset:         56
        .size:           8
        .value_kind:     by_value
      - .offset:         64
        .size:           8
        .value_kind:     by_value
      - .address_space:  global
        .offset:         72
        .size:           8
        .value_kind:     global_buffer
      - .offset:         80
        .size:           4
        .value_kind:     by_value
      - .offset:         88
        .size:           8
        .value_kind:     by_value
      - .offset:         96
        .size:           4
        .value_kind:     by_value
    .group_segment_fixed_size: 4096
    .kernarg_segment_align: 8
    .kernarg_segment_size: 100
    .language:       OpenCL C
    .language_version:
      - 2
      - 0
    .max_flat_workgroup_size: 256
    .name:           _ZL41rocblas_syrkx_herkx_small_restrict_kernelIi19rocblas_complex_numIfELi16ELb1ELb0ELc84ELc85EKPKS1_KPS1_EviT_T0_PT6_S7_lSA_S7_lS8_PT7_S7_li
    .private_segment_fixed_size: 0
    .sgpr_count:     18
    .sgpr_spill_count: 0
    .symbol:         _ZL41rocblas_syrkx_herkx_small_restrict_kernelIi19rocblas_complex_numIfELi16ELb1ELb0ELc84ELc85EKPKS1_KPS1_EviT_T0_PT6_S7_lSA_S7_lS8_PT7_S7_li.kd
    .uniform_work_group_size: 1
    .uses_dynamic_stack: false
    .vgpr_count:     85
    .vgpr_spill_count: 0
    .wavefront_size: 32
    .workgroup_processor_mode: 1
  - .args:
      - .offset:         0
        .size:           4
        .value_kind:     by_value
      - .offset:         4
        .size:           4
        .value_kind:     by_value
      - .offset:         8
        .size:           8
        .value_kind:     by_value
      - .address_space:  global
        .offset:         16
        .size:           8
        .value_kind:     global_buffer
      - .offset:         24
        .size:           4
        .value_kind:     by_value
      - .offset:         32
        .size:           8
        .value_kind:     by_value
      - .address_space:  global
        .offset:         40
        .size:           8
        .value_kind:     global_buffer
      - .offset:         48
        .size:           4
        .value_kind:     by_value
      - .offset:         56
        .size:           8
        .value_kind:     by_value
      - .offset:         64
        .size:           8
        .value_kind:     by_value
      - .address_space:  global
        .offset:         72
        .size:           8
        .value_kind:     global_buffer
      - .offset:         80
        .size:           4
        .value_kind:     by_value
      - .offset:         88
        .size:           8
        .value_kind:     by_value
      - .offset:         96
        .size:           4
        .value_kind:     by_value
    .group_segment_fixed_size: 4096
    .kernarg_segment_align: 8
    .kernarg_segment_size: 100
    .language:       OpenCL C
    .language_version:
      - 2
      - 0
    .max_flat_workgroup_size: 256
    .name:           _ZL41rocblas_syrkx_herkx_small_restrict_kernelIi19rocblas_complex_numIfELi16ELb1ELb0ELc67ELc85EKPKS1_KPS1_EviT_T0_PT6_S7_lSA_S7_lS8_PT7_S7_li
    .private_segment_fixed_size: 0
    .sgpr_count:     18
    .sgpr_spill_count: 0
    .symbol:         _ZL41rocblas_syrkx_herkx_small_restrict_kernelIi19rocblas_complex_numIfELi16ELb1ELb0ELc67ELc85EKPKS1_KPS1_EviT_T0_PT6_S7_lSA_S7_lS8_PT7_S7_li.kd
    .uniform_work_group_size: 1
    .uses_dynamic_stack: false
    .vgpr_count:     85
    .vgpr_spill_count: 0
    .wavefront_size: 32
    .workgroup_processor_mode: 1
  - .args:
      - .offset:         0
        .size:           4
        .value_kind:     by_value
      - .offset:         4
        .size:           4
        .value_kind:     by_value
      - .offset:         8
        .size:           8
        .value_kind:     by_value
      - .address_space:  global
        .offset:         16
        .size:           8
        .value_kind:     global_buffer
      - .offset:         24
        .size:           4
        .value_kind:     by_value
      - .offset:         32
        .size:           8
        .value_kind:     by_value
      - .address_space:  global
        .offset:         40
        .size:           8
        .value_kind:     global_buffer
      - .offset:         48
        .size:           4
        .value_kind:     by_value
      - .offset:         56
        .size:           8
        .value_kind:     by_value
      - .offset:         64
        .size:           8
        .value_kind:     by_value
      - .address_space:  global
        .offset:         72
        .size:           8
        .value_kind:     global_buffer
      - .offset:         80
        .size:           4
        .value_kind:     by_value
      - .offset:         88
        .size:           8
        .value_kind:     by_value
      - .offset:         96
        .size:           4
        .value_kind:     by_value
    .group_segment_fixed_size: 4096
    .kernarg_segment_align: 8
    .kernarg_segment_size: 100
    .language:       OpenCL C
    .language_version:
      - 2
      - 0
    .max_flat_workgroup_size: 256
    .name:           _ZL41rocblas_syrkx_herkx_small_restrict_kernelIi19rocblas_complex_numIfELi16ELb1ELb0ELc78ELc85EKPKS1_KPS1_EviT_T0_PT6_S7_lSA_S7_lS8_PT7_S7_li
    .private_segment_fixed_size: 0
    .sgpr_count:     20
    .sgpr_spill_count: 0
    .symbol:         _ZL41rocblas_syrkx_herkx_small_restrict_kernelIi19rocblas_complex_numIfELi16ELb1ELb0ELc78ELc85EKPKS1_KPS1_EviT_T0_PT6_S7_lSA_S7_lS8_PT7_S7_li.kd
    .uniform_work_group_size: 1
    .uses_dynamic_stack: false
    .vgpr_count:     86
    .vgpr_spill_count: 0
    .wavefront_size: 32
    .workgroup_processor_mode: 1
  - .args:
      - .offset:         0
        .size:           4
        .value_kind:     by_value
      - .offset:         4
        .size:           4
        .value_kind:     by_value
      - .offset:         8
        .size:           8
        .value_kind:     by_value
      - .address_space:  global
        .offset:         16
        .size:           8
        .value_kind:     global_buffer
      - .offset:         24
        .size:           4
        .value_kind:     by_value
      - .offset:         32
        .size:           8
        .value_kind:     by_value
      - .address_space:  global
        .offset:         40
        .size:           8
        .value_kind:     global_buffer
      - .offset:         48
        .size:           4
        .value_kind:     by_value
      - .offset:         56
        .size:           8
        .value_kind:     by_value
      - .offset:         64
        .size:           8
        .value_kind:     by_value
      - .address_space:  global
        .offset:         72
        .size:           8
        .value_kind:     global_buffer
      - .offset:         80
        .size:           4
        .value_kind:     by_value
      - .offset:         88
        .size:           8
        .value_kind:     by_value
      - .offset:         96
        .size:           4
        .value_kind:     by_value
    .group_segment_fixed_size: 4096
    .kernarg_segment_align: 8
    .kernarg_segment_size: 100
    .language:       OpenCL C
    .language_version:
      - 2
      - 0
    .max_flat_workgroup_size: 256
    .name:           _ZL41rocblas_syrkx_herkx_small_restrict_kernelIi19rocblas_complex_numIfELi16ELb0ELb0ELc84ELc76EKPKS1_KPS1_EviT_T0_PT6_S7_lSA_S7_lS8_PT7_S7_li
    .private_segment_fixed_size: 0
    .sgpr_count:     22
    .sgpr_spill_count: 0
    .symbol:         _ZL41rocblas_syrkx_herkx_small_restrict_kernelIi19rocblas_complex_numIfELi16ELb0ELb0ELc84ELc76EKPKS1_KPS1_EviT_T0_PT6_S7_lSA_S7_lS8_PT7_S7_li.kd
    .uniform_work_group_size: 1
    .uses_dynamic_stack: false
    .vgpr_count:     85
    .vgpr_spill_count: 0
    .wavefront_size: 32
    .workgroup_processor_mode: 1
  - .args:
      - .offset:         0
        .size:           4
        .value_kind:     by_value
      - .offset:         4
        .size:           4
        .value_kind:     by_value
      - .offset:         8
        .size:           8
        .value_kind:     by_value
      - .address_space:  global
        .offset:         16
        .size:           8
        .value_kind:     global_buffer
      - .offset:         24
        .size:           4
        .value_kind:     by_value
      - .offset:         32
        .size:           8
        .value_kind:     by_value
      - .address_space:  global
        .offset:         40
        .size:           8
        .value_kind:     global_buffer
      - .offset:         48
        .size:           4
        .value_kind:     by_value
      - .offset:         56
        .size:           8
        .value_kind:     by_value
      - .offset:         64
        .size:           8
        .value_kind:     by_value
      - .address_space:  global
        .offset:         72
        .size:           8
        .value_kind:     global_buffer
      - .offset:         80
        .size:           4
        .value_kind:     by_value
      - .offset:         88
        .size:           8
        .value_kind:     by_value
      - .offset:         96
        .size:           4
        .value_kind:     by_value
    .group_segment_fixed_size: 4096
    .kernarg_segment_align: 8
    .kernarg_segment_size: 100
    .language:       OpenCL C
    .language_version:
      - 2
      - 0
    .max_flat_workgroup_size: 256
    .name:           _ZL41rocblas_syrkx_herkx_small_restrict_kernelIi19rocblas_complex_numIfELi16ELb0ELb0ELc67ELc76EKPKS1_KPS1_EviT_T0_PT6_S7_lSA_S7_lS8_PT7_S7_li
    .private_segment_fixed_size: 0
    .sgpr_count:     22
    .sgpr_spill_count: 0
    .symbol:         _ZL41rocblas_syrkx_herkx_small_restrict_kernelIi19rocblas_complex_numIfELi16ELb0ELb0ELc67ELc76EKPKS1_KPS1_EviT_T0_PT6_S7_lSA_S7_lS8_PT7_S7_li.kd
    .uniform_work_group_size: 1
    .uses_dynamic_stack: false
    .vgpr_count:     85
    .vgpr_spill_count: 0
    .wavefront_size: 32
    .workgroup_processor_mode: 1
  - .args:
      - .offset:         0
        .size:           4
        .value_kind:     by_value
      - .offset:         4
        .size:           4
        .value_kind:     by_value
      - .offset:         8
        .size:           8
        .value_kind:     by_value
      - .address_space:  global
        .offset:         16
        .size:           8
        .value_kind:     global_buffer
      - .offset:         24
        .size:           4
        .value_kind:     by_value
      - .offset:         32
        .size:           8
        .value_kind:     by_value
      - .address_space:  global
        .offset:         40
        .size:           8
        .value_kind:     global_buffer
      - .offset:         48
        .size:           4
        .value_kind:     by_value
      - .offset:         56
        .size:           8
        .value_kind:     by_value
      - .offset:         64
        .size:           8
        .value_kind:     by_value
      - .address_space:  global
        .offset:         72
        .size:           8
        .value_kind:     global_buffer
      - .offset:         80
        .size:           4
        .value_kind:     by_value
      - .offset:         88
        .size:           8
        .value_kind:     by_value
      - .offset:         96
        .size:           4
        .value_kind:     by_value
    .group_segment_fixed_size: 4096
    .kernarg_segment_align: 8
    .kernarg_segment_size: 100
    .language:       OpenCL C
    .language_version:
      - 2
      - 0
    .max_flat_workgroup_size: 256
    .name:           _ZL41rocblas_syrkx_herkx_small_restrict_kernelIi19rocblas_complex_numIfELi16ELb0ELb0ELc78ELc76EKPKS1_KPS1_EviT_T0_PT6_S7_lSA_S7_lS8_PT7_S7_li
    .private_segment_fixed_size: 0
    .sgpr_count:     24
    .sgpr_spill_count: 0
    .symbol:         _ZL41rocblas_syrkx_herkx_small_restrict_kernelIi19rocblas_complex_numIfELi16ELb0ELb0ELc78ELc76EKPKS1_KPS1_EviT_T0_PT6_S7_lSA_S7_lS8_PT7_S7_li.kd
    .uniform_work_group_size: 1
    .uses_dynamic_stack: false
    .vgpr_count:     86
    .vgpr_spill_count: 0
    .wavefront_size: 32
    .workgroup_processor_mode: 1
  - .args:
      - .offset:         0
        .size:           4
        .value_kind:     by_value
      - .offset:         4
        .size:           4
        .value_kind:     by_value
      - .offset:         8
        .size:           8
        .value_kind:     by_value
      - .address_space:  global
        .offset:         16
        .size:           8
        .value_kind:     global_buffer
      - .offset:         24
        .size:           4
        .value_kind:     by_value
      - .offset:         32
        .size:           8
        .value_kind:     by_value
      - .address_space:  global
        .offset:         40
        .size:           8
        .value_kind:     global_buffer
      - .offset:         48
        .size:           4
        .value_kind:     by_value
      - .offset:         56
        .size:           8
        .value_kind:     by_value
      - .offset:         64
        .size:           8
        .value_kind:     by_value
      - .address_space:  global
        .offset:         72
        .size:           8
        .value_kind:     global_buffer
      - .offset:         80
        .size:           4
        .value_kind:     by_value
      - .offset:         88
        .size:           8
        .value_kind:     by_value
      - .offset:         96
        .size:           4
        .value_kind:     by_value
    .group_segment_fixed_size: 4096
    .kernarg_segment_align: 8
    .kernarg_segment_size: 100
    .language:       OpenCL C
    .language_version:
      - 2
      - 0
    .max_flat_workgroup_size: 256
    .name:           _ZL41rocblas_syrkx_herkx_small_restrict_kernelIi19rocblas_complex_numIfELi16ELb0ELb0ELc84ELc85EKPKS1_KPS1_EviT_T0_PT6_S7_lSA_S7_lS8_PT7_S7_li
    .private_segment_fixed_size: 0
    .sgpr_count:     22
    .sgpr_spill_count: 0
    .symbol:         _ZL41rocblas_syrkx_herkx_small_restrict_kernelIi19rocblas_complex_numIfELi16ELb0ELb0ELc84ELc85EKPKS1_KPS1_EviT_T0_PT6_S7_lSA_S7_lS8_PT7_S7_li.kd
    .uniform_work_group_size: 1
    .uses_dynamic_stack: false
    .vgpr_count:     85
    .vgpr_spill_count: 0
    .wavefront_size: 32
    .workgroup_processor_mode: 1
  - .args:
      - .offset:         0
        .size:           4
        .value_kind:     by_value
      - .offset:         4
        .size:           4
        .value_kind:     by_value
      - .offset:         8
        .size:           8
        .value_kind:     by_value
      - .address_space:  global
        .offset:         16
        .size:           8
        .value_kind:     global_buffer
      - .offset:         24
        .size:           4
        .value_kind:     by_value
      - .offset:         32
        .size:           8
        .value_kind:     by_value
      - .address_space:  global
        .offset:         40
        .size:           8
        .value_kind:     global_buffer
      - .offset:         48
        .size:           4
        .value_kind:     by_value
      - .offset:         56
        .size:           8
        .value_kind:     by_value
      - .offset:         64
        .size:           8
        .value_kind:     by_value
      - .address_space:  global
        .offset:         72
        .size:           8
        .value_kind:     global_buffer
      - .offset:         80
        .size:           4
        .value_kind:     by_value
      - .offset:         88
        .size:           8
        .value_kind:     by_value
      - .offset:         96
        .size:           4
        .value_kind:     by_value
    .group_segment_fixed_size: 4096
    .kernarg_segment_align: 8
    .kernarg_segment_size: 100
    .language:       OpenCL C
    .language_version:
      - 2
      - 0
    .max_flat_workgroup_size: 256
    .name:           _ZL41rocblas_syrkx_herkx_small_restrict_kernelIi19rocblas_complex_numIfELi16ELb0ELb0ELc67ELc85EKPKS1_KPS1_EviT_T0_PT6_S7_lSA_S7_lS8_PT7_S7_li
    .private_segment_fixed_size: 0
    .sgpr_count:     22
    .sgpr_spill_count: 0
    .symbol:         _ZL41rocblas_syrkx_herkx_small_restrict_kernelIi19rocblas_complex_numIfELi16ELb0ELb0ELc67ELc85EKPKS1_KPS1_EviT_T0_PT6_S7_lSA_S7_lS8_PT7_S7_li.kd
    .uniform_work_group_size: 1
    .uses_dynamic_stack: false
    .vgpr_count:     85
    .vgpr_spill_count: 0
    .wavefront_size: 32
    .workgroup_processor_mode: 1
  - .args:
      - .offset:         0
        .size:           4
        .value_kind:     by_value
      - .offset:         4
        .size:           4
        .value_kind:     by_value
      - .offset:         8
        .size:           8
        .value_kind:     by_value
      - .address_space:  global
        .offset:         16
        .size:           8
        .value_kind:     global_buffer
      - .offset:         24
        .size:           4
        .value_kind:     by_value
      - .offset:         32
        .size:           8
        .value_kind:     by_value
      - .address_space:  global
        .offset:         40
        .size:           8
        .value_kind:     global_buffer
      - .offset:         48
        .size:           4
        .value_kind:     by_value
      - .offset:         56
        .size:           8
        .value_kind:     by_value
      - .offset:         64
        .size:           8
        .value_kind:     by_value
      - .address_space:  global
        .offset:         72
        .size:           8
        .value_kind:     global_buffer
      - .offset:         80
        .size:           4
        .value_kind:     by_value
      - .offset:         88
        .size:           8
        .value_kind:     by_value
      - .offset:         96
        .size:           4
        .value_kind:     by_value
    .group_segment_fixed_size: 4096
    .kernarg_segment_align: 8
    .kernarg_segment_size: 100
    .language:       OpenCL C
    .language_version:
      - 2
      - 0
    .max_flat_workgroup_size: 256
    .name:           _ZL41rocblas_syrkx_herkx_small_restrict_kernelIi19rocblas_complex_numIfELi16ELb0ELb0ELc78ELc85EKPKS1_KPS1_EviT_T0_PT6_S7_lSA_S7_lS8_PT7_S7_li
    .private_segment_fixed_size: 0
    .sgpr_count:     24
    .sgpr_spill_count: 0
    .symbol:         _ZL41rocblas_syrkx_herkx_small_restrict_kernelIi19rocblas_complex_numIfELi16ELb0ELb0ELc78ELc85EKPKS1_KPS1_EviT_T0_PT6_S7_lSA_S7_lS8_PT7_S7_li.kd
    .uniform_work_group_size: 1
    .uses_dynamic_stack: false
    .vgpr_count:     86
    .vgpr_spill_count: 0
    .wavefront_size: 32
    .workgroup_processor_mode: 1
  - .args:
      - .offset:         0
        .size:           4
        .value_kind:     by_value
      - .offset:         4
        .size:           4
        .value_kind:     by_value
      - .offset:         8
        .size:           8
        .value_kind:     by_value
      - .address_space:  global
        .offset:         16
        .size:           8
        .value_kind:     global_buffer
      - .offset:         24
        .size:           4
        .value_kind:     by_value
      - .offset:         32
        .size:           8
        .value_kind:     by_value
      - .address_space:  global
        .offset:         40
        .size:           8
        .value_kind:     global_buffer
      - .offset:         48
        .size:           4
        .value_kind:     by_value
      - .offset:         56
        .size:           8
        .value_kind:     by_value
      - .offset:         64
        .size:           8
        .value_kind:     by_value
      - .address_space:  global
        .offset:         72
        .size:           8
        .value_kind:     global_buffer
      - .offset:         80
        .size:           4
        .value_kind:     by_value
      - .offset:         88
        .size:           8
        .value_kind:     by_value
      - .offset:         96
        .size:           4
        .value_kind:     by_value
    .group_segment_fixed_size: 4096
    .kernarg_segment_align: 8
    .kernarg_segment_size: 100
    .language:       OpenCL C
    .language_version:
      - 2
      - 0
    .max_flat_workgroup_size: 256
    .name:           _ZL32rocblas_syrkx_herkx_small_kernelIi19rocblas_complex_numIfELi16ELb1ELb0ELc84ELc76EKPKS1_KPS1_EviT_T0_PT6_S7_lSA_S7_lS8_PT7_S7_li
    .private_segment_fixed_size: 0
    .sgpr_count:     22
    .sgpr_spill_count: 0
    .symbol:         _ZL32rocblas_syrkx_herkx_small_kernelIi19rocblas_complex_numIfELi16ELb1ELb0ELc84ELc76EKPKS1_KPS1_EviT_T0_PT6_S7_lSA_S7_lS8_PT7_S7_li.kd
    .uniform_work_group_size: 1
    .uses_dynamic_stack: false
    .vgpr_count:     68
    .vgpr_spill_count: 0
    .wavefront_size: 32
    .workgroup_processor_mode: 1
  - .args:
      - .offset:         0
        .size:           4
        .value_kind:     by_value
      - .offset:         4
        .size:           4
        .value_kind:     by_value
      - .offset:         8
        .size:           8
        .value_kind:     by_value
      - .address_space:  global
        .offset:         16
        .size:           8
        .value_kind:     global_buffer
      - .offset:         24
        .size:           4
        .value_kind:     by_value
      - .offset:         32
        .size:           8
        .value_kind:     by_value
      - .address_space:  global
        .offset:         40
        .size:           8
        .value_kind:     global_buffer
      - .offset:         48
        .size:           4
        .value_kind:     by_value
      - .offset:         56
        .size:           8
        .value_kind:     by_value
      - .offset:         64
        .size:           8
        .value_kind:     by_value
      - .address_space:  global
        .offset:         72
        .size:           8
        .value_kind:     global_buffer
      - .offset:         80
        .size:           4
        .value_kind:     by_value
      - .offset:         88
        .size:           8
        .value_kind:     by_value
      - .offset:         96
        .size:           4
        .value_kind:     by_value
    .group_segment_fixed_size: 4096
    .kernarg_segment_align: 8
    .kernarg_segment_size: 100
    .language:       OpenCL C
    .language_version:
      - 2
      - 0
    .max_flat_workgroup_size: 256
    .name:           _ZL32rocblas_syrkx_herkx_small_kernelIi19rocblas_complex_numIfELi16ELb1ELb0ELc67ELc76EKPKS1_KPS1_EviT_T0_PT6_S7_lSA_S7_lS8_PT7_S7_li
    .private_segment_fixed_size: 0
    .sgpr_count:     22
    .sgpr_spill_count: 0
    .symbol:         _ZL32rocblas_syrkx_herkx_small_kernelIi19rocblas_complex_numIfELi16ELb1ELb0ELc67ELc76EKPKS1_KPS1_EviT_T0_PT6_S7_lSA_S7_lS8_PT7_S7_li.kd
    .uniform_work_group_size: 1
    .uses_dynamic_stack: false
    .vgpr_count:     68
    .vgpr_spill_count: 0
    .wavefront_size: 32
    .workgroup_processor_mode: 1
  - .args:
      - .offset:         0
        .size:           4
        .value_kind:     by_value
      - .offset:         4
        .size:           4
        .value_kind:     by_value
      - .offset:         8
        .size:           8
        .value_kind:     by_value
      - .address_space:  global
        .offset:         16
        .size:           8
        .value_kind:     global_buffer
      - .offset:         24
        .size:           4
        .value_kind:     by_value
      - .offset:         32
        .size:           8
        .value_kind:     by_value
      - .address_space:  global
        .offset:         40
        .size:           8
        .value_kind:     global_buffer
      - .offset:         48
        .size:           4
        .value_kind:     by_value
      - .offset:         56
        .size:           8
        .value_kind:     by_value
      - .offset:         64
        .size:           8
        .value_kind:     by_value
      - .address_space:  global
        .offset:         72
        .size:           8
        .value_kind:     global_buffer
      - .offset:         80
        .size:           4
        .value_kind:     by_value
      - .offset:         88
        .size:           8
        .value_kind:     by_value
      - .offset:         96
        .size:           4
        .value_kind:     by_value
    .group_segment_fixed_size: 4096
    .kernarg_segment_align: 8
    .kernarg_segment_size: 100
    .language:       OpenCL C
    .language_version:
      - 2
      - 0
    .max_flat_workgroup_size: 256
    .name:           _ZL32rocblas_syrkx_herkx_small_kernelIi19rocblas_complex_numIfELi16ELb1ELb0ELc78ELc76EKPKS1_KPS1_EviT_T0_PT6_S7_lSA_S7_lS8_PT7_S7_li
    .private_segment_fixed_size: 0
    .sgpr_count:     24
    .sgpr_spill_count: 0
    .symbol:         _ZL32rocblas_syrkx_herkx_small_kernelIi19rocblas_complex_numIfELi16ELb1ELb0ELc78ELc76EKPKS1_KPS1_EviT_T0_PT6_S7_lSA_S7_lS8_PT7_S7_li.kd
    .uniform_work_group_size: 1
    .uses_dynamic_stack: false
    .vgpr_count:     69
    .vgpr_spill_count: 0
    .wavefront_size: 32
    .workgroup_processor_mode: 1
  - .args:
      - .offset:         0
        .size:           4
        .value_kind:     by_value
      - .offset:         4
        .size:           4
        .value_kind:     by_value
      - .offset:         8
        .size:           8
        .value_kind:     by_value
      - .address_space:  global
        .offset:         16
        .size:           8
        .value_kind:     global_buffer
      - .offset:         24
        .size:           4
        .value_kind:     by_value
      - .offset:         32
        .size:           8
        .value_kind:     by_value
      - .address_space:  global
        .offset:         40
        .size:           8
        .value_kind:     global_buffer
      - .offset:         48
        .size:           4
        .value_kind:     by_value
      - .offset:         56
        .size:           8
        .value_kind:     by_value
      - .offset:         64
        .size:           8
        .value_kind:     by_value
      - .address_space:  global
        .offset:         72
        .size:           8
        .value_kind:     global_buffer
      - .offset:         80
        .size:           4
        .value_kind:     by_value
      - .offset:         88
        .size:           8
        .value_kind:     by_value
      - .offset:         96
        .size:           4
        .value_kind:     by_value
    .group_segment_fixed_size: 4096
    .kernarg_segment_align: 8
    .kernarg_segment_size: 100
    .language:       OpenCL C
    .language_version:
      - 2
      - 0
    .max_flat_workgroup_size: 256
    .name:           _ZL32rocblas_syrkx_herkx_small_kernelIi19rocblas_complex_numIfELi16ELb1ELb0ELc84ELc85EKPKS1_KPS1_EviT_T0_PT6_S7_lSA_S7_lS8_PT7_S7_li
    .private_segment_fixed_size: 0
    .sgpr_count:     22
    .sgpr_spill_count: 0
    .symbol:         _ZL32rocblas_syrkx_herkx_small_kernelIi19rocblas_complex_numIfELi16ELb1ELb0ELc84ELc85EKPKS1_KPS1_EviT_T0_PT6_S7_lSA_S7_lS8_PT7_S7_li.kd
    .uniform_work_group_size: 1
    .uses_dynamic_stack: false
    .vgpr_count:     68
    .vgpr_spill_count: 0
    .wavefront_size: 32
    .workgroup_processor_mode: 1
  - .args:
      - .offset:         0
        .size:           4
        .value_kind:     by_value
      - .offset:         4
        .size:           4
        .value_kind:     by_value
      - .offset:         8
        .size:           8
        .value_kind:     by_value
      - .address_space:  global
        .offset:         16
        .size:           8
        .value_kind:     global_buffer
      - .offset:         24
        .size:           4
        .value_kind:     by_value
      - .offset:         32
        .size:           8
        .value_kind:     by_value
      - .address_space:  global
        .offset:         40
        .size:           8
        .value_kind:     global_buffer
      - .offset:         48
        .size:           4
        .value_kind:     by_value
      - .offset:         56
        .size:           8
        .value_kind:     by_value
      - .offset:         64
        .size:           8
        .value_kind:     by_value
      - .address_space:  global
        .offset:         72
        .size:           8
        .value_kind:     global_buffer
      - .offset:         80
        .size:           4
        .value_kind:     by_value
      - .offset:         88
        .size:           8
        .value_kind:     by_value
      - .offset:         96
        .size:           4
        .value_kind:     by_value
    .group_segment_fixed_size: 4096
    .kernarg_segment_align: 8
    .kernarg_segment_size: 100
    .language:       OpenCL C
    .language_version:
      - 2
      - 0
    .max_flat_workgroup_size: 256
    .name:           _ZL32rocblas_syrkx_herkx_small_kernelIi19rocblas_complex_numIfELi16ELb1ELb0ELc67ELc85EKPKS1_KPS1_EviT_T0_PT6_S7_lSA_S7_lS8_PT7_S7_li
    .private_segment_fixed_size: 0
    .sgpr_count:     22
    .sgpr_spill_count: 0
    .symbol:         _ZL32rocblas_syrkx_herkx_small_kernelIi19rocblas_complex_numIfELi16ELb1ELb0ELc67ELc85EKPKS1_KPS1_EviT_T0_PT6_S7_lSA_S7_lS8_PT7_S7_li.kd
    .uniform_work_group_size: 1
    .uses_dynamic_stack: false
    .vgpr_count:     68
    .vgpr_spill_count: 0
    .wavefront_size: 32
    .workgroup_processor_mode: 1
  - .args:
      - .offset:         0
        .size:           4
        .value_kind:     by_value
      - .offset:         4
        .size:           4
        .value_kind:     by_value
      - .offset:         8
        .size:           8
        .value_kind:     by_value
      - .address_space:  global
        .offset:         16
        .size:           8
        .value_kind:     global_buffer
      - .offset:         24
        .size:           4
        .value_kind:     by_value
      - .offset:         32
        .size:           8
        .value_kind:     by_value
      - .address_space:  global
        .offset:         40
        .size:           8
        .value_kind:     global_buffer
      - .offset:         48
        .size:           4
        .value_kind:     by_value
      - .offset:         56
        .size:           8
        .value_kind:     by_value
      - .offset:         64
        .size:           8
        .value_kind:     by_value
      - .address_space:  global
        .offset:         72
        .size:           8
        .value_kind:     global_buffer
      - .offset:         80
        .size:           4
        .value_kind:     by_value
      - .offset:         88
        .size:           8
        .value_kind:     by_value
      - .offset:         96
        .size:           4
        .value_kind:     by_value
    .group_segment_fixed_size: 4096
    .kernarg_segment_align: 8
    .kernarg_segment_size: 100
    .language:       OpenCL C
    .language_version:
      - 2
      - 0
    .max_flat_workgroup_size: 256
    .name:           _ZL32rocblas_syrkx_herkx_small_kernelIi19rocblas_complex_numIfELi16ELb1ELb0ELc78ELc85EKPKS1_KPS1_EviT_T0_PT6_S7_lSA_S7_lS8_PT7_S7_li
    .private_segment_fixed_size: 0
    .sgpr_count:     24
    .sgpr_spill_count: 0
    .symbol:         _ZL32rocblas_syrkx_herkx_small_kernelIi19rocblas_complex_numIfELi16ELb1ELb0ELc78ELc85EKPKS1_KPS1_EviT_T0_PT6_S7_lSA_S7_lS8_PT7_S7_li.kd
    .uniform_work_group_size: 1
    .uses_dynamic_stack: false
    .vgpr_count:     69
    .vgpr_spill_count: 0
    .wavefront_size: 32
    .workgroup_processor_mode: 1
  - .args:
      - .offset:         0
        .size:           4
        .value_kind:     by_value
      - .offset:         4
        .size:           4
        .value_kind:     by_value
      - .offset:         8
        .size:           8
        .value_kind:     by_value
      - .address_space:  global
        .offset:         16
        .size:           8
        .value_kind:     global_buffer
      - .offset:         24
        .size:           4
        .value_kind:     by_value
      - .offset:         32
        .size:           8
        .value_kind:     by_value
      - .address_space:  global
        .offset:         40
        .size:           8
        .value_kind:     global_buffer
      - .offset:         48
        .size:           4
        .value_kind:     by_value
      - .offset:         56
        .size:           8
        .value_kind:     by_value
      - .offset:         64
        .size:           8
        .value_kind:     by_value
      - .address_space:  global
        .offset:         72
        .size:           8
        .value_kind:     global_buffer
      - .offset:         80
        .size:           4
        .value_kind:     by_value
      - .offset:         88
        .size:           8
        .value_kind:     by_value
      - .offset:         96
        .size:           4
        .value_kind:     by_value
    .group_segment_fixed_size: 4096
    .kernarg_segment_align: 8
    .kernarg_segment_size: 100
    .language:       OpenCL C
    .language_version:
      - 2
      - 0
    .max_flat_workgroup_size: 256
    .name:           _ZL32rocblas_syrkx_herkx_small_kernelIi19rocblas_complex_numIfELi16ELb0ELb0ELc84ELc76EKPKS1_KPS1_EviT_T0_PT6_S7_lSA_S7_lS8_PT7_S7_li
    .private_segment_fixed_size: 0
    .sgpr_count:     24
    .sgpr_spill_count: 0
    .symbol:         _ZL32rocblas_syrkx_herkx_small_kernelIi19rocblas_complex_numIfELi16ELb0ELb0ELc84ELc76EKPKS1_KPS1_EviT_T0_PT6_S7_lSA_S7_lS8_PT7_S7_li.kd
    .uniform_work_group_size: 1
    .uses_dynamic_stack: false
    .vgpr_count:     68
    .vgpr_spill_count: 0
    .wavefront_size: 32
    .workgroup_processor_mode: 1
  - .args:
      - .offset:         0
        .size:           4
        .value_kind:     by_value
      - .offset:         4
        .size:           4
        .value_kind:     by_value
      - .offset:         8
        .size:           8
        .value_kind:     by_value
      - .address_space:  global
        .offset:         16
        .size:           8
        .value_kind:     global_buffer
      - .offset:         24
        .size:           4
        .value_kind:     by_value
      - .offset:         32
        .size:           8
        .value_kind:     by_value
      - .address_space:  global
        .offset:         40
        .size:           8
        .value_kind:     global_buffer
      - .offset:         48
        .size:           4
        .value_kind:     by_value
      - .offset:         56
        .size:           8
        .value_kind:     by_value
      - .offset:         64
        .size:           8
        .value_kind:     by_value
      - .address_space:  global
        .offset:         72
        .size:           8
        .value_kind:     global_buffer
      - .offset:         80
        .size:           4
        .value_kind:     by_value
      - .offset:         88
        .size:           8
        .value_kind:     by_value
      - .offset:         96
        .size:           4
        .value_kind:     by_value
    .group_segment_fixed_size: 4096
    .kernarg_segment_align: 8
    .kernarg_segment_size: 100
    .language:       OpenCL C
    .language_version:
      - 2
      - 0
    .max_flat_workgroup_size: 256
    .name:           _ZL32rocblas_syrkx_herkx_small_kernelIi19rocblas_complex_numIfELi16ELb0ELb0ELc67ELc76EKPKS1_KPS1_EviT_T0_PT6_S7_lSA_S7_lS8_PT7_S7_li
    .private_segment_fixed_size: 0
    .sgpr_count:     24
    .sgpr_spill_count: 0
    .symbol:         _ZL32rocblas_syrkx_herkx_small_kernelIi19rocblas_complex_numIfELi16ELb0ELb0ELc67ELc76EKPKS1_KPS1_EviT_T0_PT6_S7_lSA_S7_lS8_PT7_S7_li.kd
    .uniform_work_group_size: 1
    .uses_dynamic_stack: false
    .vgpr_count:     68
    .vgpr_spill_count: 0
    .wavefront_size: 32
    .workgroup_processor_mode: 1
  - .args:
      - .offset:         0
        .size:           4
        .value_kind:     by_value
      - .offset:         4
        .size:           4
        .value_kind:     by_value
      - .offset:         8
        .size:           8
        .value_kind:     by_value
      - .address_space:  global
        .offset:         16
        .size:           8
        .value_kind:     global_buffer
      - .offset:         24
        .size:           4
        .value_kind:     by_value
      - .offset:         32
        .size:           8
        .value_kind:     by_value
      - .address_space:  global
        .offset:         40
        .size:           8
        .value_kind:     global_buffer
      - .offset:         48
        .size:           4
        .value_kind:     by_value
      - .offset:         56
        .size:           8
        .value_kind:     by_value
      - .offset:         64
        .size:           8
        .value_kind:     by_value
      - .address_space:  global
        .offset:         72
        .size:           8
        .value_kind:     global_buffer
      - .offset:         80
        .size:           4
        .value_kind:     by_value
      - .offset:         88
        .size:           8
        .value_kind:     by_value
      - .offset:         96
        .size:           4
        .value_kind:     by_value
    .group_segment_fixed_size: 4096
    .kernarg_segment_align: 8
    .kernarg_segment_size: 100
    .language:       OpenCL C
    .language_version:
      - 2
      - 0
    .max_flat_workgroup_size: 256
    .name:           _ZL32rocblas_syrkx_herkx_small_kernelIi19rocblas_complex_numIfELi16ELb0ELb0ELc78ELc76EKPKS1_KPS1_EviT_T0_PT6_S7_lSA_S7_lS8_PT7_S7_li
    .private_segment_fixed_size: 0
    .sgpr_count:     26
    .sgpr_spill_count: 0
    .symbol:         _ZL32rocblas_syrkx_herkx_small_kernelIi19rocblas_complex_numIfELi16ELb0ELb0ELc78ELc76EKPKS1_KPS1_EviT_T0_PT6_S7_lSA_S7_lS8_PT7_S7_li.kd
    .uniform_work_group_size: 1
    .uses_dynamic_stack: false
    .vgpr_count:     69
    .vgpr_spill_count: 0
    .wavefront_size: 32
    .workgroup_processor_mode: 1
  - .args:
      - .offset:         0
        .size:           4
        .value_kind:     by_value
      - .offset:         4
        .size:           4
        .value_kind:     by_value
      - .offset:         8
        .size:           8
        .value_kind:     by_value
      - .address_space:  global
        .offset:         16
        .size:           8
        .value_kind:     global_buffer
      - .offset:         24
        .size:           4
        .value_kind:     by_value
      - .offset:         32
        .size:           8
        .value_kind:     by_value
      - .address_space:  global
        .offset:         40
        .size:           8
        .value_kind:     global_buffer
      - .offset:         48
        .size:           4
        .value_kind:     by_value
      - .offset:         56
        .size:           8
        .value_kind:     by_value
      - .offset:         64
        .size:           8
        .value_kind:     by_value
      - .address_space:  global
        .offset:         72
        .size:           8
        .value_kind:     global_buffer
      - .offset:         80
        .size:           4
        .value_kind:     by_value
      - .offset:         88
        .size:           8
        .value_kind:     by_value
      - .offset:         96
        .size:           4
        .value_kind:     by_value
    .group_segment_fixed_size: 4096
    .kernarg_segment_align: 8
    .kernarg_segment_size: 100
    .language:       OpenCL C
    .language_version:
      - 2
      - 0
    .max_flat_workgroup_size: 256
    .name:           _ZL32rocblas_syrkx_herkx_small_kernelIi19rocblas_complex_numIfELi16ELb0ELb0ELc84ELc85EKPKS1_KPS1_EviT_T0_PT6_S7_lSA_S7_lS8_PT7_S7_li
    .private_segment_fixed_size: 0
    .sgpr_count:     24
    .sgpr_spill_count: 0
    .symbol:         _ZL32rocblas_syrkx_herkx_small_kernelIi19rocblas_complex_numIfELi16ELb0ELb0ELc84ELc85EKPKS1_KPS1_EviT_T0_PT6_S7_lSA_S7_lS8_PT7_S7_li.kd
    .uniform_work_group_size: 1
    .uses_dynamic_stack: false
    .vgpr_count:     68
    .vgpr_spill_count: 0
    .wavefront_size: 32
    .workgroup_processor_mode: 1
  - .args:
      - .offset:         0
        .size:           4
        .value_kind:     by_value
      - .offset:         4
        .size:           4
        .value_kind:     by_value
      - .offset:         8
        .size:           8
        .value_kind:     by_value
      - .address_space:  global
        .offset:         16
        .size:           8
        .value_kind:     global_buffer
      - .offset:         24
        .size:           4
        .value_kind:     by_value
      - .offset:         32
        .size:           8
        .value_kind:     by_value
      - .address_space:  global
        .offset:         40
        .size:           8
        .value_kind:     global_buffer
      - .offset:         48
        .size:           4
        .value_kind:     by_value
      - .offset:         56
        .size:           8
        .value_kind:     by_value
      - .offset:         64
        .size:           8
        .value_kind:     by_value
      - .address_space:  global
        .offset:         72
        .size:           8
        .value_kind:     global_buffer
      - .offset:         80
        .size:           4
        .value_kind:     by_value
      - .offset:         88
        .size:           8
        .value_kind:     by_value
      - .offset:         96
        .size:           4
        .value_kind:     by_value
    .group_segment_fixed_size: 4096
    .kernarg_segment_align: 8
    .kernarg_segment_size: 100
    .language:       OpenCL C
    .language_version:
      - 2
      - 0
    .max_flat_workgroup_size: 256
    .name:           _ZL32rocblas_syrkx_herkx_small_kernelIi19rocblas_complex_numIfELi16ELb0ELb0ELc67ELc85EKPKS1_KPS1_EviT_T0_PT6_S7_lSA_S7_lS8_PT7_S7_li
    .private_segment_fixed_size: 0
    .sgpr_count:     24
    .sgpr_spill_count: 0
    .symbol:         _ZL32rocblas_syrkx_herkx_small_kernelIi19rocblas_complex_numIfELi16ELb0ELb0ELc67ELc85EKPKS1_KPS1_EviT_T0_PT6_S7_lSA_S7_lS8_PT7_S7_li.kd
    .uniform_work_group_size: 1
    .uses_dynamic_stack: false
    .vgpr_count:     68
    .vgpr_spill_count: 0
    .wavefront_size: 32
    .workgroup_processor_mode: 1
  - .args:
      - .offset:         0
        .size:           4
        .value_kind:     by_value
      - .offset:         4
        .size:           4
        .value_kind:     by_value
      - .offset:         8
        .size:           8
        .value_kind:     by_value
      - .address_space:  global
        .offset:         16
        .size:           8
        .value_kind:     global_buffer
      - .offset:         24
        .size:           4
        .value_kind:     by_value
      - .offset:         32
        .size:           8
        .value_kind:     by_value
      - .address_space:  global
        .offset:         40
        .size:           8
        .value_kind:     global_buffer
      - .offset:         48
        .size:           4
        .value_kind:     by_value
      - .offset:         56
        .size:           8
        .value_kind:     by_value
      - .offset:         64
        .size:           8
        .value_kind:     by_value
      - .address_space:  global
        .offset:         72
        .size:           8
        .value_kind:     global_buffer
      - .offset:         80
        .size:           4
        .value_kind:     by_value
      - .offset:         88
        .size:           8
        .value_kind:     by_value
      - .offset:         96
        .size:           4
        .value_kind:     by_value
    .group_segment_fixed_size: 4096
    .kernarg_segment_align: 8
    .kernarg_segment_size: 100
    .language:       OpenCL C
    .language_version:
      - 2
      - 0
    .max_flat_workgroup_size: 256
    .name:           _ZL32rocblas_syrkx_herkx_small_kernelIi19rocblas_complex_numIfELi16ELb0ELb0ELc78ELc85EKPKS1_KPS1_EviT_T0_PT6_S7_lSA_S7_lS8_PT7_S7_li
    .private_segment_fixed_size: 0
    .sgpr_count:     26
    .sgpr_spill_count: 0
    .symbol:         _ZL32rocblas_syrkx_herkx_small_kernelIi19rocblas_complex_numIfELi16ELb0ELb0ELc78ELc85EKPKS1_KPS1_EviT_T0_PT6_S7_lSA_S7_lS8_PT7_S7_li.kd
    .uniform_work_group_size: 1
    .uses_dynamic_stack: false
    .vgpr_count:     69
    .vgpr_spill_count: 0
    .wavefront_size: 32
    .workgroup_processor_mode: 1
  - .args:
      - .offset:         0
        .size:           4
        .value_kind:     by_value
      - .offset:         4
        .size:           4
        .value_kind:     by_value
      - .offset:         8
        .size:           8
        .value_kind:     by_value
      - .address_space:  global
        .offset:         16
        .size:           8
        .value_kind:     global_buffer
      - .offset:         24
        .size:           4
        .value_kind:     by_value
      - .offset:         32
        .size:           8
        .value_kind:     by_value
      - .address_space:  global
        .offset:         40
        .size:           8
        .value_kind:     global_buffer
      - .offset:         48
        .size:           4
        .value_kind:     by_value
      - .offset:         56
        .size:           8
        .value_kind:     by_value
      - .offset:         64
        .size:           8
        .value_kind:     by_value
      - .address_space:  global
        .offset:         72
        .size:           8
        .value_kind:     global_buffer
      - .offset:         80
        .size:           4
        .value_kind:     by_value
      - .offset:         88
        .size:           8
        .value_kind:     by_value
      - .offset:         96
        .size:           4
        .value_kind:     by_value
    .group_segment_fixed_size: 4096
    .kernarg_segment_align: 8
    .kernarg_segment_size: 100
    .language:       OpenCL C
    .language_version:
      - 2
      - 0
    .max_flat_workgroup_size: 256
    .name:           _ZL34rocblas_syrkx_herkx_general_kernelIi19rocblas_complex_numIfELi16ELi32ELi8ELb1ELb0ELc84ELc76EKPKS1_KPS1_EviT_T0_PT8_S7_lSA_S7_lS8_PT9_S7_li
    .private_segment_fixed_size: 0
    .sgpr_count:     21
    .sgpr_spill_count: 0
    .symbol:         _ZL34rocblas_syrkx_herkx_general_kernelIi19rocblas_complex_numIfELi16ELi32ELi8ELb1ELb0ELc84ELc76EKPKS1_KPS1_EviT_T0_PT8_S7_lSA_S7_lS8_PT9_S7_li.kd
    .uniform_work_group_size: 1
    .uses_dynamic_stack: false
    .vgpr_count:     59
    .vgpr_spill_count: 0
    .wavefront_size: 32
    .workgroup_processor_mode: 1
  - .args:
      - .offset:         0
        .size:           4
        .value_kind:     by_value
      - .offset:         4
        .size:           4
        .value_kind:     by_value
      - .offset:         8
        .size:           8
        .value_kind:     by_value
      - .address_space:  global
        .offset:         16
        .size:           8
        .value_kind:     global_buffer
      - .offset:         24
        .size:           4
        .value_kind:     by_value
      - .offset:         32
        .size:           8
        .value_kind:     by_value
      - .address_space:  global
        .offset:         40
        .size:           8
        .value_kind:     global_buffer
      - .offset:         48
        .size:           4
        .value_kind:     by_value
      - .offset:         56
        .size:           8
        .value_kind:     by_value
      - .offset:         64
        .size:           8
        .value_kind:     by_value
      - .address_space:  global
        .offset:         72
        .size:           8
        .value_kind:     global_buffer
      - .offset:         80
        .size:           4
        .value_kind:     by_value
      - .offset:         88
        .size:           8
        .value_kind:     by_value
      - .offset:         96
        .size:           4
        .value_kind:     by_value
    .group_segment_fixed_size: 4096
    .kernarg_segment_align: 8
    .kernarg_segment_size: 100
    .language:       OpenCL C
    .language_version:
      - 2
      - 0
    .max_flat_workgroup_size: 256
    .name:           _ZL34rocblas_syrkx_herkx_general_kernelIi19rocblas_complex_numIfELi16ELi32ELi8ELb1ELb0ELc67ELc76EKPKS1_KPS1_EviT_T0_PT8_S7_lSA_S7_lS8_PT9_S7_li
    .private_segment_fixed_size: 0
    .sgpr_count:     21
    .sgpr_spill_count: 0
    .symbol:         _ZL34rocblas_syrkx_herkx_general_kernelIi19rocblas_complex_numIfELi16ELi32ELi8ELb1ELb0ELc67ELc76EKPKS1_KPS1_EviT_T0_PT8_S7_lSA_S7_lS8_PT9_S7_li.kd
    .uniform_work_group_size: 1
    .uses_dynamic_stack: false
    .vgpr_count:     59
    .vgpr_spill_count: 0
    .wavefront_size: 32
    .workgroup_processor_mode: 1
  - .args:
      - .offset:         0
        .size:           4
        .value_kind:     by_value
      - .offset:         4
        .size:           4
        .value_kind:     by_value
      - .offset:         8
        .size:           8
        .value_kind:     by_value
      - .address_space:  global
        .offset:         16
        .size:           8
        .value_kind:     global_buffer
      - .offset:         24
        .size:           4
        .value_kind:     by_value
      - .offset:         32
        .size:           8
        .value_kind:     by_value
      - .address_space:  global
        .offset:         40
        .size:           8
        .value_kind:     global_buffer
      - .offset:         48
        .size:           4
        .value_kind:     by_value
      - .offset:         56
        .size:           8
        .value_kind:     by_value
      - .offset:         64
        .size:           8
        .value_kind:     by_value
      - .address_space:  global
        .offset:         72
        .size:           8
        .value_kind:     global_buffer
      - .offset:         80
        .size:           4
        .value_kind:     by_value
      - .offset:         88
        .size:           8
        .value_kind:     by_value
      - .offset:         96
        .size:           4
        .value_kind:     by_value
    .group_segment_fixed_size: 4096
    .kernarg_segment_align: 8
    .kernarg_segment_size: 100
    .language:       OpenCL C
    .language_version:
      - 2
      - 0
    .max_flat_workgroup_size: 256
    .name:           _ZL34rocblas_syrkx_herkx_general_kernelIi19rocblas_complex_numIfELi16ELi32ELi8ELb1ELb0ELc78ELc76EKPKS1_KPS1_EviT_T0_PT8_S7_lSA_S7_lS8_PT9_S7_li
    .private_segment_fixed_size: 0
    .sgpr_count:     26
    .sgpr_spill_count: 0
    .symbol:         _ZL34rocblas_syrkx_herkx_general_kernelIi19rocblas_complex_numIfELi16ELi32ELi8ELb1ELb0ELc78ELc76EKPKS1_KPS1_EviT_T0_PT8_S7_lSA_S7_lS8_PT9_S7_li.kd
    .uniform_work_group_size: 1
    .uses_dynamic_stack: false
    .vgpr_count:     59
    .vgpr_spill_count: 0
    .wavefront_size: 32
    .workgroup_processor_mode: 1
  - .args:
      - .offset:         0
        .size:           4
        .value_kind:     by_value
      - .offset:         4
        .size:           4
        .value_kind:     by_value
      - .offset:         8
        .size:           8
        .value_kind:     by_value
      - .address_space:  global
        .offset:         16
        .size:           8
        .value_kind:     global_buffer
      - .offset:         24
        .size:           4
        .value_kind:     by_value
      - .offset:         32
        .size:           8
        .value_kind:     by_value
      - .address_space:  global
        .offset:         40
        .size:           8
        .value_kind:     global_buffer
      - .offset:         48
        .size:           4
        .value_kind:     by_value
      - .offset:         56
        .size:           8
        .value_kind:     by_value
      - .offset:         64
        .size:           8
        .value_kind:     by_value
      - .address_space:  global
        .offset:         72
        .size:           8
        .value_kind:     global_buffer
      - .offset:         80
        .size:           4
        .value_kind:     by_value
      - .offset:         88
        .size:           8
        .value_kind:     by_value
      - .offset:         96
        .size:           4
        .value_kind:     by_value
    .group_segment_fixed_size: 4096
    .kernarg_segment_align: 8
    .kernarg_segment_size: 100
    .language:       OpenCL C
    .language_version:
      - 2
      - 0
    .max_flat_workgroup_size: 256
    .name:           _ZL34rocblas_syrkx_herkx_general_kernelIi19rocblas_complex_numIfELi16ELi32ELi8ELb1ELb0ELc84ELc85EKPKS1_KPS1_EviT_T0_PT8_S7_lSA_S7_lS8_PT9_S7_li
    .private_segment_fixed_size: 0
    .sgpr_count:     21
    .sgpr_spill_count: 0
    .symbol:         _ZL34rocblas_syrkx_herkx_general_kernelIi19rocblas_complex_numIfELi16ELi32ELi8ELb1ELb0ELc84ELc85EKPKS1_KPS1_EviT_T0_PT8_S7_lSA_S7_lS8_PT9_S7_li.kd
    .uniform_work_group_size: 1
    .uses_dynamic_stack: false
    .vgpr_count:     59
    .vgpr_spill_count: 0
    .wavefront_size: 32
    .workgroup_processor_mode: 1
  - .args:
      - .offset:         0
        .size:           4
        .value_kind:     by_value
      - .offset:         4
        .size:           4
        .value_kind:     by_value
      - .offset:         8
        .size:           8
        .value_kind:     by_value
      - .address_space:  global
        .offset:         16
        .size:           8
        .value_kind:     global_buffer
      - .offset:         24
        .size:           4
        .value_kind:     by_value
      - .offset:         32
        .size:           8
        .value_kind:     by_value
      - .address_space:  global
        .offset:         40
        .size:           8
        .value_kind:     global_buffer
      - .offset:         48
        .size:           4
        .value_kind:     by_value
      - .offset:         56
        .size:           8
        .value_kind:     by_value
      - .offset:         64
        .size:           8
        .value_kind:     by_value
      - .address_space:  global
        .offset:         72
        .size:           8
        .value_kind:     global_buffer
      - .offset:         80
        .size:           4
        .value_kind:     by_value
      - .offset:         88
        .size:           8
        .value_kind:     by_value
      - .offset:         96
        .size:           4
        .value_kind:     by_value
    .group_segment_fixed_size: 4096
    .kernarg_segment_align: 8
    .kernarg_segment_size: 100
    .language:       OpenCL C
    .language_version:
      - 2
      - 0
    .max_flat_workgroup_size: 256
    .name:           _ZL34rocblas_syrkx_herkx_general_kernelIi19rocblas_complex_numIfELi16ELi32ELi8ELb1ELb0ELc67ELc85EKPKS1_KPS1_EviT_T0_PT8_S7_lSA_S7_lS8_PT9_S7_li
    .private_segment_fixed_size: 0
    .sgpr_count:     21
    .sgpr_spill_count: 0
    .symbol:         _ZL34rocblas_syrkx_herkx_general_kernelIi19rocblas_complex_numIfELi16ELi32ELi8ELb1ELb0ELc67ELc85EKPKS1_KPS1_EviT_T0_PT8_S7_lSA_S7_lS8_PT9_S7_li.kd
    .uniform_work_group_size: 1
    .uses_dynamic_stack: false
    .vgpr_count:     59
    .vgpr_spill_count: 0
    .wavefront_size: 32
    .workgroup_processor_mode: 1
  - .args:
      - .offset:         0
        .size:           4
        .value_kind:     by_value
      - .offset:         4
        .size:           4
        .value_kind:     by_value
      - .offset:         8
        .size:           8
        .value_kind:     by_value
      - .address_space:  global
        .offset:         16
        .size:           8
        .value_kind:     global_buffer
      - .offset:         24
        .size:           4
        .value_kind:     by_value
      - .offset:         32
        .size:           8
        .value_kind:     by_value
      - .address_space:  global
        .offset:         40
        .size:           8
        .value_kind:     global_buffer
      - .offset:         48
        .size:           4
        .value_kind:     by_value
      - .offset:         56
        .size:           8
        .value_kind:     by_value
      - .offset:         64
        .size:           8
        .value_kind:     by_value
      - .address_space:  global
        .offset:         72
        .size:           8
        .value_kind:     global_buffer
      - .offset:         80
        .size:           4
        .value_kind:     by_value
      - .offset:         88
        .size:           8
        .value_kind:     by_value
      - .offset:         96
        .size:           4
        .value_kind:     by_value
    .group_segment_fixed_size: 4096
    .kernarg_segment_align: 8
    .kernarg_segment_size: 100
    .language:       OpenCL C
    .language_version:
      - 2
      - 0
    .max_flat_workgroup_size: 256
    .name:           _ZL34rocblas_syrkx_herkx_general_kernelIi19rocblas_complex_numIfELi16ELi32ELi8ELb1ELb0ELc78ELc85EKPKS1_KPS1_EviT_T0_PT8_S7_lSA_S7_lS8_PT9_S7_li
    .private_segment_fixed_size: 0
    .sgpr_count:     26
    .sgpr_spill_count: 0
    .symbol:         _ZL34rocblas_syrkx_herkx_general_kernelIi19rocblas_complex_numIfELi16ELi32ELi8ELb1ELb0ELc78ELc85EKPKS1_KPS1_EviT_T0_PT8_S7_lSA_S7_lS8_PT9_S7_li.kd
    .uniform_work_group_size: 1
    .uses_dynamic_stack: false
    .vgpr_count:     59
    .vgpr_spill_count: 0
    .wavefront_size: 32
    .workgroup_processor_mode: 1
  - .args:
      - .offset:         0
        .size:           4
        .value_kind:     by_value
      - .offset:         4
        .size:           4
        .value_kind:     by_value
      - .offset:         8
        .size:           8
        .value_kind:     by_value
      - .address_space:  global
        .offset:         16
        .size:           8
        .value_kind:     global_buffer
      - .offset:         24
        .size:           4
        .value_kind:     by_value
      - .offset:         32
        .size:           8
        .value_kind:     by_value
      - .address_space:  global
        .offset:         40
        .size:           8
        .value_kind:     global_buffer
      - .offset:         48
        .size:           4
        .value_kind:     by_value
      - .offset:         56
        .size:           8
        .value_kind:     by_value
      - .offset:         64
        .size:           8
        .value_kind:     by_value
      - .address_space:  global
        .offset:         72
        .size:           8
        .value_kind:     global_buffer
      - .offset:         80
        .size:           4
        .value_kind:     by_value
      - .offset:         88
        .size:           8
        .value_kind:     by_value
      - .offset:         96
        .size:           4
        .value_kind:     by_value
    .group_segment_fixed_size: 4096
    .kernarg_segment_align: 8
    .kernarg_segment_size: 100
    .language:       OpenCL C
    .language_version:
      - 2
      - 0
    .max_flat_workgroup_size: 256
    .name:           _ZL34rocblas_syrkx_herkx_general_kernelIi19rocblas_complex_numIfELi16ELi32ELi8ELb0ELb0ELc84ELc76EKPKS1_KPS1_EviT_T0_PT8_S7_lSA_S7_lS8_PT9_S7_li
    .private_segment_fixed_size: 0
    .sgpr_count:     23
    .sgpr_spill_count: 0
    .symbol:         _ZL34rocblas_syrkx_herkx_general_kernelIi19rocblas_complex_numIfELi16ELi32ELi8ELb0ELb0ELc84ELc76EKPKS1_KPS1_EviT_T0_PT8_S7_lSA_S7_lS8_PT9_S7_li.kd
    .uniform_work_group_size: 1
    .uses_dynamic_stack: false
    .vgpr_count:     59
    .vgpr_spill_count: 0
    .wavefront_size: 32
    .workgroup_processor_mode: 1
  - .args:
      - .offset:         0
        .size:           4
        .value_kind:     by_value
      - .offset:         4
        .size:           4
        .value_kind:     by_value
      - .offset:         8
        .size:           8
        .value_kind:     by_value
      - .address_space:  global
        .offset:         16
        .size:           8
        .value_kind:     global_buffer
      - .offset:         24
        .size:           4
        .value_kind:     by_value
      - .offset:         32
        .size:           8
        .value_kind:     by_value
      - .address_space:  global
        .offset:         40
        .size:           8
        .value_kind:     global_buffer
      - .offset:         48
        .size:           4
        .value_kind:     by_value
      - .offset:         56
        .size:           8
        .value_kind:     by_value
      - .offset:         64
        .size:           8
        .value_kind:     by_value
      - .address_space:  global
        .offset:         72
        .size:           8
        .value_kind:     global_buffer
      - .offset:         80
        .size:           4
        .value_kind:     by_value
      - .offset:         88
        .size:           8
        .value_kind:     by_value
      - .offset:         96
        .size:           4
        .value_kind:     by_value
    .group_segment_fixed_size: 4096
    .kernarg_segment_align: 8
    .kernarg_segment_size: 100
    .language:       OpenCL C
    .language_version:
      - 2
      - 0
    .max_flat_workgroup_size: 256
    .name:           _ZL34rocblas_syrkx_herkx_general_kernelIi19rocblas_complex_numIfELi16ELi32ELi8ELb0ELb0ELc67ELc76EKPKS1_KPS1_EviT_T0_PT8_S7_lSA_S7_lS8_PT9_S7_li
    .private_segment_fixed_size: 0
    .sgpr_count:     23
    .sgpr_spill_count: 0
    .symbol:         _ZL34rocblas_syrkx_herkx_general_kernelIi19rocblas_complex_numIfELi16ELi32ELi8ELb0ELb0ELc67ELc76EKPKS1_KPS1_EviT_T0_PT8_S7_lSA_S7_lS8_PT9_S7_li.kd
    .uniform_work_group_size: 1
    .uses_dynamic_stack: false
    .vgpr_count:     59
    .vgpr_spill_count: 0
    .wavefront_size: 32
    .workgroup_processor_mode: 1
  - .args:
      - .offset:         0
        .size:           4
        .value_kind:     by_value
      - .offset:         4
        .size:           4
        .value_kind:     by_value
      - .offset:         8
        .size:           8
        .value_kind:     by_value
      - .address_space:  global
        .offset:         16
        .size:           8
        .value_kind:     global_buffer
      - .offset:         24
        .size:           4
        .value_kind:     by_value
      - .offset:         32
        .size:           8
        .value_kind:     by_value
      - .address_space:  global
        .offset:         40
        .size:           8
        .value_kind:     global_buffer
      - .offset:         48
        .size:           4
        .value_kind:     by_value
      - .offset:         56
        .size:           8
        .value_kind:     by_value
      - .offset:         64
        .size:           8
        .value_kind:     by_value
      - .address_space:  global
        .offset:         72
        .size:           8
        .value_kind:     global_buffer
      - .offset:         80
        .size:           4
        .value_kind:     by_value
      - .offset:         88
        .size:           8
        .value_kind:     by_value
      - .offset:         96
        .size:           4
        .value_kind:     by_value
    .group_segment_fixed_size: 4096
    .kernarg_segment_align: 8
    .kernarg_segment_size: 100
    .language:       OpenCL C
    .language_version:
      - 2
      - 0
    .max_flat_workgroup_size: 256
    .name:           _ZL34rocblas_syrkx_herkx_general_kernelIi19rocblas_complex_numIfELi16ELi32ELi8ELb0ELb0ELc78ELc76EKPKS1_KPS1_EviT_T0_PT8_S7_lSA_S7_lS8_PT9_S7_li
    .private_segment_fixed_size: 0
    .sgpr_count:     28
    .sgpr_spill_count: 0
    .symbol:         _ZL34rocblas_syrkx_herkx_general_kernelIi19rocblas_complex_numIfELi16ELi32ELi8ELb0ELb0ELc78ELc76EKPKS1_KPS1_EviT_T0_PT8_S7_lSA_S7_lS8_PT9_S7_li.kd
    .uniform_work_group_size: 1
    .uses_dynamic_stack: false
    .vgpr_count:     59
    .vgpr_spill_count: 0
    .wavefront_size: 32
    .workgroup_processor_mode: 1
  - .args:
      - .offset:         0
        .size:           4
        .value_kind:     by_value
      - .offset:         4
        .size:           4
        .value_kind:     by_value
      - .offset:         8
        .size:           8
        .value_kind:     by_value
      - .address_space:  global
        .offset:         16
        .size:           8
        .value_kind:     global_buffer
      - .offset:         24
        .size:           4
        .value_kind:     by_value
      - .offset:         32
        .size:           8
        .value_kind:     by_value
      - .address_space:  global
        .offset:         40
        .size:           8
        .value_kind:     global_buffer
      - .offset:         48
        .size:           4
        .value_kind:     by_value
      - .offset:         56
        .size:           8
        .value_kind:     by_value
      - .offset:         64
        .size:           8
        .value_kind:     by_value
      - .address_space:  global
        .offset:         72
        .size:           8
        .value_kind:     global_buffer
      - .offset:         80
        .size:           4
        .value_kind:     by_value
      - .offset:         88
        .size:           8
        .value_kind:     by_value
      - .offset:         96
        .size:           4
        .value_kind:     by_value
    .group_segment_fixed_size: 4096
    .kernarg_segment_align: 8
    .kernarg_segment_size: 100
    .language:       OpenCL C
    .language_version:
      - 2
      - 0
    .max_flat_workgroup_size: 256
    .name:           _ZL34rocblas_syrkx_herkx_general_kernelIi19rocblas_complex_numIfELi16ELi32ELi8ELb0ELb0ELc84ELc85EKPKS1_KPS1_EviT_T0_PT8_S7_lSA_S7_lS8_PT9_S7_li
    .private_segment_fixed_size: 0
    .sgpr_count:     23
    .sgpr_spill_count: 0
    .symbol:         _ZL34rocblas_syrkx_herkx_general_kernelIi19rocblas_complex_numIfELi16ELi32ELi8ELb0ELb0ELc84ELc85EKPKS1_KPS1_EviT_T0_PT8_S7_lSA_S7_lS8_PT9_S7_li.kd
    .uniform_work_group_size: 1
    .uses_dynamic_stack: false
    .vgpr_count:     59
    .vgpr_spill_count: 0
    .wavefront_size: 32
    .workgroup_processor_mode: 1
  - .args:
      - .offset:         0
        .size:           4
        .value_kind:     by_value
      - .offset:         4
        .size:           4
        .value_kind:     by_value
      - .offset:         8
        .size:           8
        .value_kind:     by_value
      - .address_space:  global
        .offset:         16
        .size:           8
        .value_kind:     global_buffer
      - .offset:         24
        .size:           4
        .value_kind:     by_value
      - .offset:         32
        .size:           8
        .value_kind:     by_value
      - .address_space:  global
        .offset:         40
        .size:           8
        .value_kind:     global_buffer
      - .offset:         48
        .size:           4
        .value_kind:     by_value
      - .offset:         56
        .size:           8
        .value_kind:     by_value
      - .offset:         64
        .size:           8
        .value_kind:     by_value
      - .address_space:  global
        .offset:         72
        .size:           8
        .value_kind:     global_buffer
      - .offset:         80
        .size:           4
        .value_kind:     by_value
      - .offset:         88
        .size:           8
        .value_kind:     by_value
      - .offset:         96
        .size:           4
        .value_kind:     by_value
    .group_segment_fixed_size: 4096
    .kernarg_segment_align: 8
    .kernarg_segment_size: 100
    .language:       OpenCL C
    .language_version:
      - 2
      - 0
    .max_flat_workgroup_size: 256
    .name:           _ZL34rocblas_syrkx_herkx_general_kernelIi19rocblas_complex_numIfELi16ELi32ELi8ELb0ELb0ELc67ELc85EKPKS1_KPS1_EviT_T0_PT8_S7_lSA_S7_lS8_PT9_S7_li
    .private_segment_fixed_size: 0
    .sgpr_count:     23
    .sgpr_spill_count: 0
    .symbol:         _ZL34rocblas_syrkx_herkx_general_kernelIi19rocblas_complex_numIfELi16ELi32ELi8ELb0ELb0ELc67ELc85EKPKS1_KPS1_EviT_T0_PT8_S7_lSA_S7_lS8_PT9_S7_li.kd
    .uniform_work_group_size: 1
    .uses_dynamic_stack: false
    .vgpr_count:     59
    .vgpr_spill_count: 0
    .wavefront_size: 32
    .workgroup_processor_mode: 1
  - .args:
      - .offset:         0
        .size:           4
        .value_kind:     by_value
      - .offset:         4
        .size:           4
        .value_kind:     by_value
      - .offset:         8
        .size:           8
        .value_kind:     by_value
      - .address_space:  global
        .offset:         16
        .size:           8
        .value_kind:     global_buffer
      - .offset:         24
        .size:           4
        .value_kind:     by_value
      - .offset:         32
        .size:           8
        .value_kind:     by_value
      - .address_space:  global
        .offset:         40
        .size:           8
        .value_kind:     global_buffer
      - .offset:         48
        .size:           4
        .value_kind:     by_value
      - .offset:         56
        .size:           8
        .value_kind:     by_value
      - .offset:         64
        .size:           8
        .value_kind:     by_value
      - .address_space:  global
        .offset:         72
        .size:           8
        .value_kind:     global_buffer
      - .offset:         80
        .size:           4
        .value_kind:     by_value
      - .offset:         88
        .size:           8
        .value_kind:     by_value
      - .offset:         96
        .size:           4
        .value_kind:     by_value
    .group_segment_fixed_size: 4096
    .kernarg_segment_align: 8
    .kernarg_segment_size: 100
    .language:       OpenCL C
    .language_version:
      - 2
      - 0
    .max_flat_workgroup_size: 256
    .name:           _ZL34rocblas_syrkx_herkx_general_kernelIi19rocblas_complex_numIfELi16ELi32ELi8ELb0ELb0ELc78ELc85EKPKS1_KPS1_EviT_T0_PT8_S7_lSA_S7_lS8_PT9_S7_li
    .private_segment_fixed_size: 0
    .sgpr_count:     28
    .sgpr_spill_count: 0
    .symbol:         _ZL34rocblas_syrkx_herkx_general_kernelIi19rocblas_complex_numIfELi16ELi32ELi8ELb0ELb0ELc78ELc85EKPKS1_KPS1_EviT_T0_PT8_S7_lSA_S7_lS8_PT9_S7_li.kd
    .uniform_work_group_size: 1
    .uses_dynamic_stack: false
    .vgpr_count:     59
    .vgpr_spill_count: 0
    .wavefront_size: 32
    .workgroup_processor_mode: 1
  - .args:
      - .offset:         0
        .size:           1
        .value_kind:     by_value
      - .offset:         4
        .size:           4
        .value_kind:     by_value
      - .offset:         8
        .size:           4
        .value_kind:     by_value
      - .offset:         12
        .size:           8
        .value_kind:     by_value
      - .offset:         20
        .size:           8
        .value_kind:     by_value
      - .address_space:  global
        .offset:         32
        .size:           8
        .value_kind:     global_buffer
      - .offset:         40
        .size:           4
        .value_kind:     by_value
      - .offset:         48
        .size:           8
        .value_kind:     by_value
      - .offset:         56
        .size:           4
        .value_kind:     by_value
      - .offset:         64
        .size:           4
        .value_kind:     hidden_block_count_x
      - .offset:         68
        .size:           4
        .value_kind:     hidden_block_count_y
      - .offset:         72
        .size:           4
        .value_kind:     hidden_block_count_z
      - .offset:         76
        .size:           2
        .value_kind:     hidden_group_size_x
      - .offset:         78
        .size:           2
        .value_kind:     hidden_group_size_y
      - .offset:         80
        .size:           2
        .value_kind:     hidden_group_size_z
      - .offset:         82
        .size:           2
        .value_kind:     hidden_remainder_x
      - .offset:         84
        .size:           2
        .value_kind:     hidden_remainder_y
      - .offset:         86
        .size:           2
        .value_kind:     hidden_remainder_z
      - .offset:         104
        .size:           8
        .value_kind:     hidden_global_offset_x
      - .offset:         112
        .size:           8
        .value_kind:     hidden_global_offset_y
      - .offset:         120
        .size:           8
        .value_kind:     hidden_global_offset_z
      - .offset:         128
        .size:           2
        .value_kind:     hidden_grid_dims
    .group_segment_fixed_size: 0
    .kernarg_segment_align: 8
    .kernarg_segment_size: 320
    .language:       OpenCL C
    .language_version:
      - 2
      - 0
    .max_flat_workgroup_size: 1024
    .name:           _ZL26rocblas_syr2k_scale_kernelIiLi128ELi8ELb0E19rocblas_complex_numIfES1_PKPS1_EvbiT_T3_T4_T5_S5_li
    .private_segment_fixed_size: 0
    .sgpr_count:     18
    .sgpr_spill_count: 0
    .symbol:         _ZL26rocblas_syr2k_scale_kernelIiLi128ELi8ELb0E19rocblas_complex_numIfES1_PKPS1_EvbiT_T3_T4_T5_S5_li.kd
    .uniform_work_group_size: 1
    .uses_dynamic_stack: false
    .vgpr_count:     6
    .vgpr_spill_count: 0
    .wavefront_size: 32
    .workgroup_processor_mode: 1
  - .args:
      - .offset:         0
        .size:           1
        .value_kind:     by_value
      - .offset:         4
        .size:           4
        .value_kind:     by_value
      - .offset:         8
        .size:           4
        .value_kind:     by_value
      - .address_space:  global
        .offset:         16
        .size:           8
        .value_kind:     global_buffer
      - .address_space:  global
        .offset:         24
        .size:           8
        .value_kind:     global_buffer
      - .offset:         32
        .size:           4
        .value_kind:     by_value
      - .offset:         40
        .size:           8
        .value_kind:     by_value
      - .address_space:  global
        .offset:         48
        .size:           8
        .value_kind:     global_buffer
      - .offset:         56
        .size:           4
        .value_kind:     by_value
      - .offset:         64
        .size:           8
        .value_kind:     by_value
      - .address_space:  global
        .offset:         72
        .size:           8
        .value_kind:     global_buffer
      - .offset:         80
        .size:           4
        .value_kind:     by_value
      - .offset:         88
        .size:           8
        .value_kind:     by_value
      - .offset:         96
        .size:           4
        .value_kind:     by_value
    .group_segment_fixed_size: 16384
    .kernarg_segment_align: 8
    .kernarg_segment_size: 100
    .language:       OpenCL C
    .language_version:
      - 2
      - 0
    .max_flat_workgroup_size: 1024
    .name:           _ZL26rocblas_syr2k_her2k_kernelIiLb0ELb0ELb0ELi32EPK19rocblas_complex_numIfEPKS3_PKPS1_EvbiT_T4_T5_S9_lSB_S9_lT6_S9_li
    .private_segment_fixed_size: 0
    .sgpr_count:     29
    .sgpr_spill_count: 0
    .symbol:         _ZL26rocblas_syr2k_her2k_kernelIiLb0ELb0ELb0ELi32EPK19rocblas_complex_numIfEPKS3_PKPS1_EvbiT_T4_T5_S9_lSB_S9_lT6_S9_li.kd
    .uniform_work_group_size: 1
    .uses_dynamic_stack: false
    .vgpr_count:     106
    .vgpr_spill_count: 0
    .wavefront_size: 32
    .workgroup_processor_mode: 1
  - .args:
      - .offset:         0
        .size:           1
        .value_kind:     by_value
      - .offset:         4
        .size:           4
        .value_kind:     by_value
      - .offset:         8
        .size:           4
        .value_kind:     by_value
      - .address_space:  global
        .offset:         16
        .size:           8
        .value_kind:     global_buffer
      - .address_space:  global
        .offset:         24
        .size:           8
        .value_kind:     global_buffer
      - .offset:         32
        .size:           4
        .value_kind:     by_value
      - .offset:         40
        .size:           8
        .value_kind:     by_value
      - .address_space:  global
        .offset:         48
        .size:           8
        .value_kind:     global_buffer
      - .offset:         56
        .size:           4
        .value_kind:     by_value
      - .offset:         64
        .size:           8
        .value_kind:     by_value
      - .address_space:  global
        .offset:         72
        .size:           8
        .value_kind:     global_buffer
      - .offset:         80
        .size:           4
        .value_kind:     by_value
      - .offset:         88
        .size:           8
        .value_kind:     by_value
      - .offset:         96
        .size:           4
        .value_kind:     by_value
    .group_segment_fixed_size: 16384
    .kernarg_segment_align: 8
    .kernarg_segment_size: 100
    .language:       OpenCL C
    .language_version:
      - 2
      - 0
    .max_flat_workgroup_size: 1024
    .name:           _ZL26rocblas_syr2k_her2k_kernelIiLb0ELb0ELb1ELi32EPK19rocblas_complex_numIfEPKS3_PKPS1_EvbiT_T4_T5_S9_lSB_S9_lT6_S9_li
    .private_segment_fixed_size: 0
    .sgpr_count:     27
    .sgpr_spill_count: 0
    .symbol:         _ZL26rocblas_syr2k_her2k_kernelIiLb0ELb0ELb1ELi32EPK19rocblas_complex_numIfEPKS3_PKPS1_EvbiT_T4_T5_S9_lSB_S9_lT6_S9_li.kd
    .uniform_work_group_size: 1
    .uses_dynamic_stack: false
    .vgpr_count:     106
    .vgpr_spill_count: 0
    .wavefront_size: 32
    .workgroup_processor_mode: 1
  - .args:
      - .offset:         0
        .size:           1
        .value_kind:     by_value
      - .offset:         4
        .size:           4
        .value_kind:     by_value
      - .offset:         8
        .size:           4
        .value_kind:     by_value
      - .offset:         16
        .size:           16
        .value_kind:     by_value
      - .address_space:  global
        .offset:         32
        .size:           8
        .value_kind:     global_buffer
      - .offset:         40
        .size:           4
        .value_kind:     by_value
      - .offset:         48
        .size:           8
        .value_kind:     by_value
      - .address_space:  global
        .offset:         56
        .size:           8
        .value_kind:     global_buffer
      - .offset:         64
        .size:           4
        .value_kind:     by_value
      - .offset:         72
        .size:           8
        .value_kind:     by_value
      - .address_space:  global
        .offset:         80
        .size:           8
        .value_kind:     global_buffer
      - .offset:         88
        .size:           4
        .value_kind:     by_value
      - .offset:         96
        .size:           8
        .value_kind:     by_value
      - .offset:         104
        .size:           4
        .value_kind:     by_value
    .group_segment_fixed_size: 32768
    .kernarg_segment_align: 8
    .kernarg_segment_size: 108
    .language:       OpenCL C
    .language_version:
      - 2
      - 0
    .max_flat_workgroup_size: 1024
    .name:           _ZL26rocblas_syr2k_her2k_kernelIiLb0ELb0ELb0ELi32E19rocblas_complex_numIdEPKPKS1_PKPS1_EvbiT_T4_T5_S9_lSB_S9_lT6_S9_li
    .private_segment_fixed_size: 0
    .sgpr_count:     29
    .sgpr_spill_count: 0
    .symbol:         _ZL26rocblas_syr2k_her2k_kernelIiLb0ELb0ELb0ELi32E19rocblas_complex_numIdEPKPKS1_PKPS1_EvbiT_T4_T5_S9_lSB_S9_lT6_S9_li.kd
    .uniform_work_group_size: 1
    .uses_dynamic_stack: false
    .vgpr_count:     52
    .vgpr_spill_count: 0
    .wavefront_size: 32
    .workgroup_processor_mode: 1
  - .args:
      - .offset:         0
        .size:           1
        .value_kind:     by_value
      - .offset:         4
        .size:           4
        .value_kind:     by_value
      - .offset:         8
        .size:           4
        .value_kind:     by_value
      - .offset:         16
        .size:           16
        .value_kind:     by_value
      - .address_space:  global
        .offset:         32
        .size:           8
        .value_kind:     global_buffer
      - .offset:         40
        .size:           4
        .value_kind:     by_value
      - .offset:         48
        .size:           8
        .value_kind:     by_value
      - .address_space:  global
        .offset:         56
        .size:           8
        .value_kind:     global_buffer
      - .offset:         64
        .size:           4
        .value_kind:     by_value
      - .offset:         72
        .size:           8
        .value_kind:     by_value
      - .address_space:  global
        .offset:         80
        .size:           8
        .value_kind:     global_buffer
      - .offset:         88
        .size:           4
        .value_kind:     by_value
      - .offset:         96
        .size:           8
        .value_kind:     by_value
      - .offset:         104
        .size:           4
        .value_kind:     by_value
    .group_segment_fixed_size: 32768
    .kernarg_segment_align: 8
    .kernarg_segment_size: 108
    .language:       OpenCL C
    .language_version:
      - 2
      - 0
    .max_flat_workgroup_size: 1024
    .name:           _ZL26rocblas_syr2k_her2k_kernelIiLb0ELb0ELb1ELi32E19rocblas_complex_numIdEPKPKS1_PKPS1_EvbiT_T4_T5_S9_lSB_S9_lT6_S9_li
    .private_segment_fixed_size: 0
    .sgpr_count:     29
    .sgpr_spill_count: 0
    .symbol:         _ZL26rocblas_syr2k_her2k_kernelIiLb0ELb0ELb1ELi32E19rocblas_complex_numIdEPKPKS1_PKPS1_EvbiT_T4_T5_S9_lSB_S9_lT6_S9_li.kd
    .uniform_work_group_size: 1
    .uses_dynamic_stack: false
    .vgpr_count:     52
    .vgpr_spill_count: 0
    .wavefront_size: 32
    .workgroup_processor_mode: 1
  - .args:
      - .offset:         0
        .size:           4
        .value_kind:     by_value
      - .offset:         4
        .size:           4
        .value_kind:     by_value
      - .address_space:  global
        .offset:         8
        .size:           8
        .value_kind:     global_buffer
      - .offset:         16
        .size:           4
        .value_kind:     by_value
      - .offset:         24
        .size:           8
        .value_kind:     by_value
      - .address_space:  global
        .offset:         32
        .size:           8
        .value_kind:     global_buffer
      - .offset:         40
        .size:           4
        .value_kind:     by_value
      - .offset:         48
        .size:           8
        .value_kind:     by_value
      - .address_space:  global
        .offset:         56
        .size:           8
        .value_kind:     global_buffer
      - .offset:         64
        .size:           4
        .value_kind:     by_value
      - .offset:         72
        .size:           8
        .value_kind:     by_value
      - .offset:         80
        .size:           4
        .value_kind:     by_value
    .group_segment_fixed_size: 8192
    .kernarg_segment_align: 8
    .kernarg_segment_size: 84
    .language:       OpenCL C
    .language_version:
      - 2
      - 0
    .max_flat_workgroup_size: 256
    .name:           _ZL37rocblas_syrkx_herkx_restricted_kernelIi19rocblas_complex_numIdELi16ELi32ELi8ELi1ELi1ELb0ELc84ELc76EKPKS1_KPS1_EviT_PT9_S7_lS9_S7_lPT10_S7_li
    .private_segment_fixed_size: 0
    .sgpr_count:     19
    .sgpr_spill_count: 0
    .symbol:         _ZL37rocblas_syrkx_herkx_restricted_kernelIi19rocblas_complex_numIdELi16ELi32ELi8ELi1ELi1ELb0ELc84ELc76EKPKS1_KPS1_EviT_PT9_S7_lS9_S7_lPT10_S7_li.kd
    .uniform_work_group_size: 1
    .uses_dynamic_stack: false
    .vgpr_count:     118
    .vgpr_spill_count: 0
    .wavefront_size: 32
    .workgroup_processor_mode: 1
  - .args:
      - .offset:         0
        .size:           4
        .value_kind:     by_value
      - .offset:         4
        .size:           4
        .value_kind:     by_value
      - .address_space:  global
        .offset:         8
        .size:           8
        .value_kind:     global_buffer
      - .offset:         16
        .size:           4
        .value_kind:     by_value
      - .offset:         24
        .size:           8
        .value_kind:     by_value
      - .address_space:  global
        .offset:         32
        .size:           8
        .value_kind:     global_buffer
      - .offset:         40
        .size:           4
        .value_kind:     by_value
      - .offset:         48
        .size:           8
        .value_kind:     by_value
      - .address_space:  global
        .offset:         56
        .size:           8
        .value_kind:     global_buffer
      - .offset:         64
        .size:           4
        .value_kind:     by_value
      - .offset:         72
        .size:           8
        .value_kind:     by_value
      - .offset:         80
        .size:           4
        .value_kind:     by_value
    .group_segment_fixed_size: 8192
    .kernarg_segment_align: 8
    .kernarg_segment_size: 84
    .language:       OpenCL C
    .language_version:
      - 2
      - 0
    .max_flat_workgroup_size: 256
    .name:           _ZL37rocblas_syrkx_herkx_restricted_kernelIi19rocblas_complex_numIdELi16ELi32ELi8ELi1ELi1ELb0ELc67ELc76EKPKS1_KPS1_EviT_PT9_S7_lS9_S7_lPT10_S7_li
    .private_segment_fixed_size: 0
    .sgpr_count:     19
    .sgpr_spill_count: 0
    .symbol:         _ZL37rocblas_syrkx_herkx_restricted_kernelIi19rocblas_complex_numIdELi16ELi32ELi8ELi1ELi1ELb0ELc67ELc76EKPKS1_KPS1_EviT_PT9_S7_lS9_S7_lPT10_S7_li.kd
    .uniform_work_group_size: 1
    .uses_dynamic_stack: false
    .vgpr_count:     118
    .vgpr_spill_count: 0
    .wavefront_size: 32
    .workgroup_processor_mode: 1
  - .args:
      - .offset:         0
        .size:           4
        .value_kind:     by_value
      - .offset:         4
        .size:           4
        .value_kind:     by_value
      - .address_space:  global
        .offset:         8
        .size:           8
        .value_kind:     global_buffer
      - .offset:         16
        .size:           4
        .value_kind:     by_value
      - .offset:         24
        .size:           8
        .value_kind:     by_value
      - .address_space:  global
        .offset:         32
        .size:           8
        .value_kind:     global_buffer
      - .offset:         40
        .size:           4
        .value_kind:     by_value
      - .offset:         48
        .size:           8
        .value_kind:     by_value
      - .address_space:  global
        .offset:         56
        .size:           8
        .value_kind:     global_buffer
      - .offset:         64
        .size:           4
        .value_kind:     by_value
      - .offset:         72
        .size:           8
        .value_kind:     by_value
      - .offset:         80
        .size:           4
        .value_kind:     by_value
    .group_segment_fixed_size: 8192
    .kernarg_segment_align: 8
    .kernarg_segment_size: 84
    .language:       OpenCL C
    .language_version:
      - 2
      - 0
    .max_flat_workgroup_size: 256
    .name:           _ZL37rocblas_syrkx_herkx_restricted_kernelIi19rocblas_complex_numIdELi16ELi32ELi8ELi1ELi1ELb0ELc78ELc76EKPKS1_KPS1_EviT_PT9_S7_lS9_S7_lPT10_S7_li
    .private_segment_fixed_size: 0
    .sgpr_count:     22
    .sgpr_spill_count: 0
    .symbol:         _ZL37rocblas_syrkx_herkx_restricted_kernelIi19rocblas_complex_numIdELi16ELi32ELi8ELi1ELi1ELb0ELc78ELc76EKPKS1_KPS1_EviT_PT9_S7_lS9_S7_lPT10_S7_li.kd
    .uniform_work_group_size: 1
    .uses_dynamic_stack: false
    .vgpr_count:     118
    .vgpr_spill_count: 0
    .wavefront_size: 32
    .workgroup_processor_mode: 1
  - .args:
      - .offset:         0
        .size:           4
        .value_kind:     by_value
      - .offset:         4
        .size:           4
        .value_kind:     by_value
      - .address_space:  global
        .offset:         8
        .size:           8
        .value_kind:     global_buffer
      - .offset:         16
        .size:           4
        .value_kind:     by_value
      - .offset:         24
        .size:           8
        .value_kind:     by_value
      - .address_space:  global
        .offset:         32
        .size:           8
        .value_kind:     global_buffer
      - .offset:         40
        .size:           4
        .value_kind:     by_value
      - .offset:         48
        .size:           8
        .value_kind:     by_value
      - .address_space:  global
        .offset:         56
        .size:           8
        .value_kind:     global_buffer
      - .offset:         64
        .size:           4
        .value_kind:     by_value
      - .offset:         72
        .size:           8
        .value_kind:     by_value
      - .offset:         80
        .size:           4
        .value_kind:     by_value
    .group_segment_fixed_size: 8192
    .kernarg_segment_align: 8
    .kernarg_segment_size: 84
    .language:       OpenCL C
    .language_version:
      - 2
      - 0
    .max_flat_workgroup_size: 256
    .name:           _ZL37rocblas_syrkx_herkx_restricted_kernelIi19rocblas_complex_numIdELi16ELi32ELi8ELi1ELi1ELb0ELc84ELc85EKPKS1_KPS1_EviT_PT9_S7_lS9_S7_lPT10_S7_li
    .private_segment_fixed_size: 0
    .sgpr_count:     19
    .sgpr_spill_count: 0
    .symbol:         _ZL37rocblas_syrkx_herkx_restricted_kernelIi19rocblas_complex_numIdELi16ELi32ELi8ELi1ELi1ELb0ELc84ELc85EKPKS1_KPS1_EviT_PT9_S7_lS9_S7_lPT10_S7_li.kd
    .uniform_work_group_size: 1
    .uses_dynamic_stack: false
    .vgpr_count:     118
    .vgpr_spill_count: 0
    .wavefront_size: 32
    .workgroup_processor_mode: 1
  - .args:
      - .offset:         0
        .size:           4
        .value_kind:     by_value
      - .offset:         4
        .size:           4
        .value_kind:     by_value
      - .address_space:  global
        .offset:         8
        .size:           8
        .value_kind:     global_buffer
      - .offset:         16
        .size:           4
        .value_kind:     by_value
      - .offset:         24
        .size:           8
        .value_kind:     by_value
      - .address_space:  global
        .offset:         32
        .size:           8
        .value_kind:     global_buffer
      - .offset:         40
        .size:           4
        .value_kind:     by_value
      - .offset:         48
        .size:           8
        .value_kind:     by_value
      - .address_space:  global
        .offset:         56
        .size:           8
        .value_kind:     global_buffer
      - .offset:         64
        .size:           4
        .value_kind:     by_value
      - .offset:         72
        .size:           8
        .value_kind:     by_value
      - .offset:         80
        .size:           4
        .value_kind:     by_value
    .group_segment_fixed_size: 8192
    .kernarg_segment_align: 8
    .kernarg_segment_size: 84
    .language:       OpenCL C
    .language_version:
      - 2
      - 0
    .max_flat_workgroup_size: 256
    .name:           _ZL37rocblas_syrkx_herkx_restricted_kernelIi19rocblas_complex_numIdELi16ELi32ELi8ELi1ELi1ELb0ELc67ELc85EKPKS1_KPS1_EviT_PT9_S7_lS9_S7_lPT10_S7_li
    .private_segment_fixed_size: 0
    .sgpr_count:     19
    .sgpr_spill_count: 0
    .symbol:         _ZL37rocblas_syrkx_herkx_restricted_kernelIi19rocblas_complex_numIdELi16ELi32ELi8ELi1ELi1ELb0ELc67ELc85EKPKS1_KPS1_EviT_PT9_S7_lS9_S7_lPT10_S7_li.kd
    .uniform_work_group_size: 1
    .uses_dynamic_stack: false
    .vgpr_count:     118
    .vgpr_spill_count: 0
    .wavefront_size: 32
    .workgroup_processor_mode: 1
  - .args:
      - .offset:         0
        .size:           4
        .value_kind:     by_value
      - .offset:         4
        .size:           4
        .value_kind:     by_value
      - .address_space:  global
        .offset:         8
        .size:           8
        .value_kind:     global_buffer
      - .offset:         16
        .size:           4
        .value_kind:     by_value
      - .offset:         24
        .size:           8
        .value_kind:     by_value
      - .address_space:  global
        .offset:         32
        .size:           8
        .value_kind:     global_buffer
      - .offset:         40
        .size:           4
        .value_kind:     by_value
      - .offset:         48
        .size:           8
        .value_kind:     by_value
      - .address_space:  global
        .offset:         56
        .size:           8
        .value_kind:     global_buffer
      - .offset:         64
        .size:           4
        .value_kind:     by_value
      - .offset:         72
        .size:           8
        .value_kind:     by_value
      - .offset:         80
        .size:           4
        .value_kind:     by_value
    .group_segment_fixed_size: 8192
    .kernarg_segment_align: 8
    .kernarg_segment_size: 84
    .language:       OpenCL C
    .language_version:
      - 2
      - 0
    .max_flat_workgroup_size: 256
    .name:           _ZL37rocblas_syrkx_herkx_restricted_kernelIi19rocblas_complex_numIdELi16ELi32ELi8ELi1ELi1ELb0ELc78ELc85EKPKS1_KPS1_EviT_PT9_S7_lS9_S7_lPT10_S7_li
    .private_segment_fixed_size: 0
    .sgpr_count:     22
    .sgpr_spill_count: 0
    .symbol:         _ZL37rocblas_syrkx_herkx_restricted_kernelIi19rocblas_complex_numIdELi16ELi32ELi8ELi1ELi1ELb0ELc78ELc85EKPKS1_KPS1_EviT_PT9_S7_lS9_S7_lPT10_S7_li.kd
    .uniform_work_group_size: 1
    .uses_dynamic_stack: false
    .vgpr_count:     118
    .vgpr_spill_count: 0
    .wavefront_size: 32
    .workgroup_processor_mode: 1
  - .args:
      - .offset:         0
        .size:           4
        .value_kind:     by_value
      - .offset:         4
        .size:           4
        .value_kind:     by_value
      - .address_space:  global
        .offset:         8
        .size:           8
        .value_kind:     global_buffer
      - .offset:         16
        .size:           4
        .value_kind:     by_value
      - .offset:         24
        .size:           8
        .value_kind:     by_value
      - .address_space:  global
        .offset:         32
        .size:           8
        .value_kind:     global_buffer
      - .offset:         40
        .size:           4
        .value_kind:     by_value
      - .offset:         48
        .size:           8
        .value_kind:     by_value
      - .address_space:  global
        .offset:         56
        .size:           8
        .value_kind:     global_buffer
      - .offset:         64
        .size:           4
        .value_kind:     by_value
      - .offset:         72
        .size:           8
        .value_kind:     by_value
      - .offset:         80
        .size:           4
        .value_kind:     by_value
    .group_segment_fixed_size: 8192
    .kernarg_segment_align: 8
    .kernarg_segment_size: 84
    .language:       OpenCL C
    .language_version:
      - 2
      - 0
    .max_flat_workgroup_size: 256
    .name:           _ZL37rocblas_syrkx_herkx_restricted_kernelIi19rocblas_complex_numIdELi16ELi32ELi8ELi1ELin1ELb0ELc84ELc76EKPKS1_KPS1_EviT_PT9_S7_lS9_S7_lPT10_S7_li
    .private_segment_fixed_size: 0
    .sgpr_count:     19
    .sgpr_spill_count: 0
    .symbol:         _ZL37rocblas_syrkx_herkx_restricted_kernelIi19rocblas_complex_numIdELi16ELi32ELi8ELi1ELin1ELb0ELc84ELc76EKPKS1_KPS1_EviT_PT9_S7_lS9_S7_lPT10_S7_li.kd
    .uniform_work_group_size: 1
    .uses_dynamic_stack: false
    .vgpr_count:     118
    .vgpr_spill_count: 0
    .wavefront_size: 32
    .workgroup_processor_mode: 1
  - .args:
      - .offset:         0
        .size:           4
        .value_kind:     by_value
      - .offset:         4
        .size:           4
        .value_kind:     by_value
      - .address_space:  global
        .offset:         8
        .size:           8
        .value_kind:     global_buffer
      - .offset:         16
        .size:           4
        .value_kind:     by_value
      - .offset:         24
        .size:           8
        .value_kind:     by_value
      - .address_space:  global
        .offset:         32
        .size:           8
        .value_kind:     global_buffer
      - .offset:         40
        .size:           4
        .value_kind:     by_value
      - .offset:         48
        .size:           8
        .value_kind:     by_value
      - .address_space:  global
        .offset:         56
        .size:           8
        .value_kind:     global_buffer
      - .offset:         64
        .size:           4
        .value_kind:     by_value
      - .offset:         72
        .size:           8
        .value_kind:     by_value
      - .offset:         80
        .size:           4
        .value_kind:     by_value
    .group_segment_fixed_size: 8192
    .kernarg_segment_align: 8
    .kernarg_segment_size: 84
    .language:       OpenCL C
    .language_version:
      - 2
      - 0
    .max_flat_workgroup_size: 256
    .name:           _ZL37rocblas_syrkx_herkx_restricted_kernelIi19rocblas_complex_numIdELi16ELi32ELi8ELi1ELin1ELb0ELc67ELc76EKPKS1_KPS1_EviT_PT9_S7_lS9_S7_lPT10_S7_li
    .private_segment_fixed_size: 0
    .sgpr_count:     19
    .sgpr_spill_count: 0
    .symbol:         _ZL37rocblas_syrkx_herkx_restricted_kernelIi19rocblas_complex_numIdELi16ELi32ELi8ELi1ELin1ELb0ELc67ELc76EKPKS1_KPS1_EviT_PT9_S7_lS9_S7_lPT10_S7_li.kd
    .uniform_work_group_size: 1
    .uses_dynamic_stack: false
    .vgpr_count:     118
    .vgpr_spill_count: 0
    .wavefront_size: 32
    .workgroup_processor_mode: 1
  - .args:
      - .offset:         0
        .size:           4
        .value_kind:     by_value
      - .offset:         4
        .size:           4
        .value_kind:     by_value
      - .address_space:  global
        .offset:         8
        .size:           8
        .value_kind:     global_buffer
      - .offset:         16
        .size:           4
        .value_kind:     by_value
      - .offset:         24
        .size:           8
        .value_kind:     by_value
      - .address_space:  global
        .offset:         32
        .size:           8
        .value_kind:     global_buffer
      - .offset:         40
        .size:           4
        .value_kind:     by_value
      - .offset:         48
        .size:           8
        .value_kind:     by_value
      - .address_space:  global
        .offset:         56
        .size:           8
        .value_kind:     global_buffer
      - .offset:         64
        .size:           4
        .value_kind:     by_value
      - .offset:         72
        .size:           8
        .value_kind:     by_value
      - .offset:         80
        .size:           4
        .value_kind:     by_value
    .group_segment_fixed_size: 8192
    .kernarg_segment_align: 8
    .kernarg_segment_size: 84
    .language:       OpenCL C
    .language_version:
      - 2
      - 0
    .max_flat_workgroup_size: 256
    .name:           _ZL37rocblas_syrkx_herkx_restricted_kernelIi19rocblas_complex_numIdELi16ELi32ELi8ELi1ELin1ELb0ELc78ELc76EKPKS1_KPS1_EviT_PT9_S7_lS9_S7_lPT10_S7_li
    .private_segment_fixed_size: 0
    .sgpr_count:     22
    .sgpr_spill_count: 0
    .symbol:         _ZL37rocblas_syrkx_herkx_restricted_kernelIi19rocblas_complex_numIdELi16ELi32ELi8ELi1ELin1ELb0ELc78ELc76EKPKS1_KPS1_EviT_PT9_S7_lS9_S7_lPT10_S7_li.kd
    .uniform_work_group_size: 1
    .uses_dynamic_stack: false
    .vgpr_count:     118
    .vgpr_spill_count: 0
    .wavefront_size: 32
    .workgroup_processor_mode: 1
  - .args:
      - .offset:         0
        .size:           4
        .value_kind:     by_value
      - .offset:         4
        .size:           4
        .value_kind:     by_value
      - .address_space:  global
        .offset:         8
        .size:           8
        .value_kind:     global_buffer
      - .offset:         16
        .size:           4
        .value_kind:     by_value
      - .offset:         24
        .size:           8
        .value_kind:     by_value
      - .address_space:  global
        .offset:         32
        .size:           8
        .value_kind:     global_buffer
      - .offset:         40
        .size:           4
        .value_kind:     by_value
      - .offset:         48
        .size:           8
        .value_kind:     by_value
      - .address_space:  global
        .offset:         56
        .size:           8
        .value_kind:     global_buffer
      - .offset:         64
        .size:           4
        .value_kind:     by_value
      - .offset:         72
        .size:           8
        .value_kind:     by_value
      - .offset:         80
        .size:           4
        .value_kind:     by_value
    .group_segment_fixed_size: 8192
    .kernarg_segment_align: 8
    .kernarg_segment_size: 84
    .language:       OpenCL C
    .language_version:
      - 2
      - 0
    .max_flat_workgroup_size: 256
    .name:           _ZL37rocblas_syrkx_herkx_restricted_kernelIi19rocblas_complex_numIdELi16ELi32ELi8ELi1ELin1ELb0ELc84ELc85EKPKS1_KPS1_EviT_PT9_S7_lS9_S7_lPT10_S7_li
    .private_segment_fixed_size: 0
    .sgpr_count:     19
    .sgpr_spill_count: 0
    .symbol:         _ZL37rocblas_syrkx_herkx_restricted_kernelIi19rocblas_complex_numIdELi16ELi32ELi8ELi1ELin1ELb0ELc84ELc85EKPKS1_KPS1_EviT_PT9_S7_lS9_S7_lPT10_S7_li.kd
    .uniform_work_group_size: 1
    .uses_dynamic_stack: false
    .vgpr_count:     118
    .vgpr_spill_count: 0
    .wavefront_size: 32
    .workgroup_processor_mode: 1
  - .args:
      - .offset:         0
        .size:           4
        .value_kind:     by_value
      - .offset:         4
        .size:           4
        .value_kind:     by_value
      - .address_space:  global
        .offset:         8
        .size:           8
        .value_kind:     global_buffer
      - .offset:         16
        .size:           4
        .value_kind:     by_value
      - .offset:         24
        .size:           8
        .value_kind:     by_value
      - .address_space:  global
        .offset:         32
        .size:           8
        .value_kind:     global_buffer
      - .offset:         40
        .size:           4
        .value_kind:     by_value
      - .offset:         48
        .size:           8
        .value_kind:     by_value
      - .address_space:  global
        .offset:         56
        .size:           8
        .value_kind:     global_buffer
      - .offset:         64
        .size:           4
        .value_kind:     by_value
      - .offset:         72
        .size:           8
        .value_kind:     by_value
      - .offset:         80
        .size:           4
        .value_kind:     by_value
    .group_segment_fixed_size: 8192
    .kernarg_segment_align: 8
    .kernarg_segment_size: 84
    .language:       OpenCL C
    .language_version:
      - 2
      - 0
    .max_flat_workgroup_size: 256
    .name:           _ZL37rocblas_syrkx_herkx_restricted_kernelIi19rocblas_complex_numIdELi16ELi32ELi8ELi1ELin1ELb0ELc67ELc85EKPKS1_KPS1_EviT_PT9_S7_lS9_S7_lPT10_S7_li
    .private_segment_fixed_size: 0
    .sgpr_count:     19
    .sgpr_spill_count: 0
    .symbol:         _ZL37rocblas_syrkx_herkx_restricted_kernelIi19rocblas_complex_numIdELi16ELi32ELi8ELi1ELin1ELb0ELc67ELc85EKPKS1_KPS1_EviT_PT9_S7_lS9_S7_lPT10_S7_li.kd
    .uniform_work_group_size: 1
    .uses_dynamic_stack: false
    .vgpr_count:     118
    .vgpr_spill_count: 0
    .wavefront_size: 32
    .workgroup_processor_mode: 1
  - .args:
      - .offset:         0
        .size:           4
        .value_kind:     by_value
      - .offset:         4
        .size:           4
        .value_kind:     by_value
      - .address_space:  global
        .offset:         8
        .size:           8
        .value_kind:     global_buffer
      - .offset:         16
        .size:           4
        .value_kind:     by_value
      - .offset:         24
        .size:           8
        .value_kind:     by_value
      - .address_space:  global
        .offset:         32
        .size:           8
        .value_kind:     global_buffer
      - .offset:         40
        .size:           4
        .value_kind:     by_value
      - .offset:         48
        .size:           8
        .value_kind:     by_value
      - .address_space:  global
        .offset:         56
        .size:           8
        .value_kind:     global_buffer
      - .offset:         64
        .size:           4
        .value_kind:     by_value
      - .offset:         72
        .size:           8
        .value_kind:     by_value
      - .offset:         80
        .size:           4
        .value_kind:     by_value
    .group_segment_fixed_size: 8192
    .kernarg_segment_align: 8
    .kernarg_segment_size: 84
    .language:       OpenCL C
    .language_version:
      - 2
      - 0
    .max_flat_workgroup_size: 256
    .name:           _ZL37rocblas_syrkx_herkx_restricted_kernelIi19rocblas_complex_numIdELi16ELi32ELi8ELi1ELin1ELb0ELc78ELc85EKPKS1_KPS1_EviT_PT9_S7_lS9_S7_lPT10_S7_li
    .private_segment_fixed_size: 0
    .sgpr_count:     22
    .sgpr_spill_count: 0
    .symbol:         _ZL37rocblas_syrkx_herkx_restricted_kernelIi19rocblas_complex_numIdELi16ELi32ELi8ELi1ELin1ELb0ELc78ELc85EKPKS1_KPS1_EviT_PT9_S7_lS9_S7_lPT10_S7_li.kd
    .uniform_work_group_size: 1
    .uses_dynamic_stack: false
    .vgpr_count:     118
    .vgpr_spill_count: 0
    .wavefront_size: 32
    .workgroup_processor_mode: 1
  - .args:
      - .offset:         0
        .size:           4
        .value_kind:     by_value
      - .offset:         4
        .size:           4
        .value_kind:     by_value
      - .address_space:  global
        .offset:         8
        .size:           8
        .value_kind:     global_buffer
      - .offset:         16
        .size:           4
        .value_kind:     by_value
      - .offset:         24
        .size:           8
        .value_kind:     by_value
      - .address_space:  global
        .offset:         32
        .size:           8
        .value_kind:     global_buffer
      - .offset:         40
        .size:           4
        .value_kind:     by_value
      - .offset:         48
        .size:           8
        .value_kind:     by_value
      - .address_space:  global
        .offset:         56
        .size:           8
        .value_kind:     global_buffer
      - .offset:         64
        .size:           4
        .value_kind:     by_value
      - .offset:         72
        .size:           8
        .value_kind:     by_value
      - .offset:         80
        .size:           4
        .value_kind:     by_value
    .group_segment_fixed_size: 8192
    .kernarg_segment_align: 8
    .kernarg_segment_size: 84
    .language:       OpenCL C
    .language_version:
      - 2
      - 0
    .max_flat_workgroup_size: 256
    .name:           _ZL37rocblas_syrkx_herkx_restricted_kernelIi19rocblas_complex_numIdELi16ELi32ELi8ELi1ELi0ELb0ELc84ELc76EKPKS1_KPS1_EviT_PT9_S7_lS9_S7_lPT10_S7_li
    .private_segment_fixed_size: 0
    .sgpr_count:     19
    .sgpr_spill_count: 0
    .symbol:         _ZL37rocblas_syrkx_herkx_restricted_kernelIi19rocblas_complex_numIdELi16ELi32ELi8ELi1ELi0ELb0ELc84ELc76EKPKS1_KPS1_EviT_PT9_S7_lS9_S7_lPT10_S7_li.kd
    .uniform_work_group_size: 1
    .uses_dynamic_stack: false
    .vgpr_count:     118
    .vgpr_spill_count: 0
    .wavefront_size: 32
    .workgroup_processor_mode: 1
  - .args:
      - .offset:         0
        .size:           4
        .value_kind:     by_value
      - .offset:         4
        .size:           4
        .value_kind:     by_value
      - .address_space:  global
        .offset:         8
        .size:           8
        .value_kind:     global_buffer
      - .offset:         16
        .size:           4
        .value_kind:     by_value
      - .offset:         24
        .size:           8
        .value_kind:     by_value
      - .address_space:  global
        .offset:         32
        .size:           8
        .value_kind:     global_buffer
      - .offset:         40
        .size:           4
        .value_kind:     by_value
      - .offset:         48
        .size:           8
        .value_kind:     by_value
      - .address_space:  global
        .offset:         56
        .size:           8
        .value_kind:     global_buffer
      - .offset:         64
        .size:           4
        .value_kind:     by_value
      - .offset:         72
        .size:           8
        .value_kind:     by_value
      - .offset:         80
        .size:           4
        .value_kind:     by_value
    .group_segment_fixed_size: 8192
    .kernarg_segment_align: 8
    .kernarg_segment_size: 84
    .language:       OpenCL C
    .language_version:
      - 2
      - 0
    .max_flat_workgroup_size: 256
    .name:           _ZL37rocblas_syrkx_herkx_restricted_kernelIi19rocblas_complex_numIdELi16ELi32ELi8ELi1ELi0ELb0ELc67ELc76EKPKS1_KPS1_EviT_PT9_S7_lS9_S7_lPT10_S7_li
    .private_segment_fixed_size: 0
    .sgpr_count:     19
    .sgpr_spill_count: 0
    .symbol:         _ZL37rocblas_syrkx_herkx_restricted_kernelIi19rocblas_complex_numIdELi16ELi32ELi8ELi1ELi0ELb0ELc67ELc76EKPKS1_KPS1_EviT_PT9_S7_lS9_S7_lPT10_S7_li.kd
    .uniform_work_group_size: 1
    .uses_dynamic_stack: false
    .vgpr_count:     118
    .vgpr_spill_count: 0
    .wavefront_size: 32
    .workgroup_processor_mode: 1
  - .args:
      - .offset:         0
        .size:           4
        .value_kind:     by_value
      - .offset:         4
        .size:           4
        .value_kind:     by_value
      - .address_space:  global
        .offset:         8
        .size:           8
        .value_kind:     global_buffer
      - .offset:         16
        .size:           4
        .value_kind:     by_value
      - .offset:         24
        .size:           8
        .value_kind:     by_value
      - .address_space:  global
        .offset:         32
        .size:           8
        .value_kind:     global_buffer
      - .offset:         40
        .size:           4
        .value_kind:     by_value
      - .offset:         48
        .size:           8
        .value_kind:     by_value
      - .address_space:  global
        .offset:         56
        .size:           8
        .value_kind:     global_buffer
      - .offset:         64
        .size:           4
        .value_kind:     by_value
      - .offset:         72
        .size:           8
        .value_kind:     by_value
      - .offset:         80
        .size:           4
        .value_kind:     by_value
    .group_segment_fixed_size: 8192
    .kernarg_segment_align: 8
    .kernarg_segment_size: 84
    .language:       OpenCL C
    .language_version:
      - 2
      - 0
    .max_flat_workgroup_size: 256
    .name:           _ZL37rocblas_syrkx_herkx_restricted_kernelIi19rocblas_complex_numIdELi16ELi32ELi8ELi1ELi0ELb0ELc78ELc76EKPKS1_KPS1_EviT_PT9_S7_lS9_S7_lPT10_S7_li
    .private_segment_fixed_size: 0
    .sgpr_count:     22
    .sgpr_spill_count: 0
    .symbol:         _ZL37rocblas_syrkx_herkx_restricted_kernelIi19rocblas_complex_numIdELi16ELi32ELi8ELi1ELi0ELb0ELc78ELc76EKPKS1_KPS1_EviT_PT9_S7_lS9_S7_lPT10_S7_li.kd
    .uniform_work_group_size: 1
    .uses_dynamic_stack: false
    .vgpr_count:     118
    .vgpr_spill_count: 0
    .wavefront_size: 32
    .workgroup_processor_mode: 1
  - .args:
      - .offset:         0
        .size:           4
        .value_kind:     by_value
      - .offset:         4
        .size:           4
        .value_kind:     by_value
      - .address_space:  global
        .offset:         8
        .size:           8
        .value_kind:     global_buffer
      - .offset:         16
        .size:           4
        .value_kind:     by_value
      - .offset:         24
        .size:           8
        .value_kind:     by_value
      - .address_space:  global
        .offset:         32
        .size:           8
        .value_kind:     global_buffer
      - .offset:         40
        .size:           4
        .value_kind:     by_value
      - .offset:         48
        .size:           8
        .value_kind:     by_value
      - .address_space:  global
        .offset:         56
        .size:           8
        .value_kind:     global_buffer
      - .offset:         64
        .size:           4
        .value_kind:     by_value
      - .offset:         72
        .size:           8
        .value_kind:     by_value
      - .offset:         80
        .size:           4
        .value_kind:     by_value
    .group_segment_fixed_size: 8192
    .kernarg_segment_align: 8
    .kernarg_segment_size: 84
    .language:       OpenCL C
    .language_version:
      - 2
      - 0
    .max_flat_workgroup_size: 256
    .name:           _ZL37rocblas_syrkx_herkx_restricted_kernelIi19rocblas_complex_numIdELi16ELi32ELi8ELi1ELi0ELb0ELc84ELc85EKPKS1_KPS1_EviT_PT9_S7_lS9_S7_lPT10_S7_li
    .private_segment_fixed_size: 0
    .sgpr_count:     19
    .sgpr_spill_count: 0
    .symbol:         _ZL37rocblas_syrkx_herkx_restricted_kernelIi19rocblas_complex_numIdELi16ELi32ELi8ELi1ELi0ELb0ELc84ELc85EKPKS1_KPS1_EviT_PT9_S7_lS9_S7_lPT10_S7_li.kd
    .uniform_work_group_size: 1
    .uses_dynamic_stack: false
    .vgpr_count:     118
    .vgpr_spill_count: 0
    .wavefront_size: 32
    .workgroup_processor_mode: 1
  - .args:
      - .offset:         0
        .size:           4
        .value_kind:     by_value
      - .offset:         4
        .size:           4
        .value_kind:     by_value
      - .address_space:  global
        .offset:         8
        .size:           8
        .value_kind:     global_buffer
      - .offset:         16
        .size:           4
        .value_kind:     by_value
      - .offset:         24
        .size:           8
        .value_kind:     by_value
      - .address_space:  global
        .offset:         32
        .size:           8
        .value_kind:     global_buffer
      - .offset:         40
        .size:           4
        .value_kind:     by_value
      - .offset:         48
        .size:           8
        .value_kind:     by_value
      - .address_space:  global
        .offset:         56
        .size:           8
        .value_kind:     global_buffer
      - .offset:         64
        .size:           4
        .value_kind:     by_value
      - .offset:         72
        .size:           8
        .value_kind:     by_value
      - .offset:         80
        .size:           4
        .value_kind:     by_value
    .group_segment_fixed_size: 8192
    .kernarg_segment_align: 8
    .kernarg_segment_size: 84
    .language:       OpenCL C
    .language_version:
      - 2
      - 0
    .max_flat_workgroup_size: 256
    .name:           _ZL37rocblas_syrkx_herkx_restricted_kernelIi19rocblas_complex_numIdELi16ELi32ELi8ELi1ELi0ELb0ELc67ELc85EKPKS1_KPS1_EviT_PT9_S7_lS9_S7_lPT10_S7_li
    .private_segment_fixed_size: 0
    .sgpr_count:     19
    .sgpr_spill_count: 0
    .symbol:         _ZL37rocblas_syrkx_herkx_restricted_kernelIi19rocblas_complex_numIdELi16ELi32ELi8ELi1ELi0ELb0ELc67ELc85EKPKS1_KPS1_EviT_PT9_S7_lS9_S7_lPT10_S7_li.kd
    .uniform_work_group_size: 1
    .uses_dynamic_stack: false
    .vgpr_count:     118
    .vgpr_spill_count: 0
    .wavefront_size: 32
    .workgroup_processor_mode: 1
  - .args:
      - .offset:         0
        .size:           4
        .value_kind:     by_value
      - .offset:         4
        .size:           4
        .value_kind:     by_value
      - .address_space:  global
        .offset:         8
        .size:           8
        .value_kind:     global_buffer
      - .offset:         16
        .size:           4
        .value_kind:     by_value
      - .offset:         24
        .size:           8
        .value_kind:     by_value
      - .address_space:  global
        .offset:         32
        .size:           8
        .value_kind:     global_buffer
      - .offset:         40
        .size:           4
        .value_kind:     by_value
      - .offset:         48
        .size:           8
        .value_kind:     by_value
      - .address_space:  global
        .offset:         56
        .size:           8
        .value_kind:     global_buffer
      - .offset:         64
        .size:           4
        .value_kind:     by_value
      - .offset:         72
        .size:           8
        .value_kind:     by_value
      - .offset:         80
        .size:           4
        .value_kind:     by_value
    .group_segment_fixed_size: 8192
    .kernarg_segment_align: 8
    .kernarg_segment_size: 84
    .language:       OpenCL C
    .language_version:
      - 2
      - 0
    .max_flat_workgroup_size: 256
    .name:           _ZL37rocblas_syrkx_herkx_restricted_kernelIi19rocblas_complex_numIdELi16ELi32ELi8ELi1ELi0ELb0ELc78ELc85EKPKS1_KPS1_EviT_PT9_S7_lS9_S7_lPT10_S7_li
    .private_segment_fixed_size: 0
    .sgpr_count:     22
    .sgpr_spill_count: 0
    .symbol:         _ZL37rocblas_syrkx_herkx_restricted_kernelIi19rocblas_complex_numIdELi16ELi32ELi8ELi1ELi0ELb0ELc78ELc85EKPKS1_KPS1_EviT_PT9_S7_lS9_S7_lPT10_S7_li.kd
    .uniform_work_group_size: 1
    .uses_dynamic_stack: false
    .vgpr_count:     118
    .vgpr_spill_count: 0
    .wavefront_size: 32
    .workgroup_processor_mode: 1
  - .args:
      - .offset:         0
        .size:           4
        .value_kind:     by_value
      - .offset:         4
        .size:           4
        .value_kind:     by_value
      - .address_space:  global
        .offset:         8
        .size:           8
        .value_kind:     global_buffer
      - .offset:         16
        .size:           4
        .value_kind:     by_value
      - .offset:         24
        .size:           8
        .value_kind:     by_value
      - .address_space:  global
        .offset:         32
        .size:           8
        .value_kind:     global_buffer
      - .offset:         40
        .size:           4
        .value_kind:     by_value
      - .offset:         48
        .size:           8
        .value_kind:     by_value
      - .address_space:  global
        .offset:         56
        .size:           8
        .value_kind:     global_buffer
      - .offset:         64
        .size:           4
        .value_kind:     by_value
      - .offset:         72
        .size:           8
        .value_kind:     by_value
      - .offset:         80
        .size:           4
        .value_kind:     by_value
    .group_segment_fixed_size: 8192
    .kernarg_segment_align: 8
    .kernarg_segment_size: 84
    .language:       OpenCL C
    .language_version:
      - 2
      - 0
    .max_flat_workgroup_size: 256
    .name:           _ZL37rocblas_syrkx_herkx_restricted_kernelIi19rocblas_complex_numIdELi16ELi32ELi8ELin1ELi0ELb0ELc84ELc76EKPKS1_KPS1_EviT_PT9_S7_lS9_S7_lPT10_S7_li
    .private_segment_fixed_size: 0
    .sgpr_count:     19
    .sgpr_spill_count: 0
    .symbol:         _ZL37rocblas_syrkx_herkx_restricted_kernelIi19rocblas_complex_numIdELi16ELi32ELi8ELin1ELi0ELb0ELc84ELc76EKPKS1_KPS1_EviT_PT9_S7_lS9_S7_lPT10_S7_li.kd
    .uniform_work_group_size: 1
    .uses_dynamic_stack: false
    .vgpr_count:     118
    .vgpr_spill_count: 0
    .wavefront_size: 32
    .workgroup_processor_mode: 1
  - .args:
      - .offset:         0
        .size:           4
        .value_kind:     by_value
      - .offset:         4
        .size:           4
        .value_kind:     by_value
      - .address_space:  global
        .offset:         8
        .size:           8
        .value_kind:     global_buffer
      - .offset:         16
        .size:           4
        .value_kind:     by_value
      - .offset:         24
        .size:           8
        .value_kind:     by_value
      - .address_space:  global
        .offset:         32
        .size:           8
        .value_kind:     global_buffer
      - .offset:         40
        .size:           4
        .value_kind:     by_value
      - .offset:         48
        .size:           8
        .value_kind:     by_value
      - .address_space:  global
        .offset:         56
        .size:           8
        .value_kind:     global_buffer
      - .offset:         64
        .size:           4
        .value_kind:     by_value
      - .offset:         72
        .size:           8
        .value_kind:     by_value
      - .offset:         80
        .size:           4
        .value_kind:     by_value
    .group_segment_fixed_size: 8192
    .kernarg_segment_align: 8
    .kernarg_segment_size: 84
    .language:       OpenCL C
    .language_version:
      - 2
      - 0
    .max_flat_workgroup_size: 256
    .name:           _ZL37rocblas_syrkx_herkx_restricted_kernelIi19rocblas_complex_numIdELi16ELi32ELi8ELin1ELi0ELb0ELc67ELc76EKPKS1_KPS1_EviT_PT9_S7_lS9_S7_lPT10_S7_li
    .private_segment_fixed_size: 0
    .sgpr_count:     19
    .sgpr_spill_count: 0
    .symbol:         _ZL37rocblas_syrkx_herkx_restricted_kernelIi19rocblas_complex_numIdELi16ELi32ELi8ELin1ELi0ELb0ELc67ELc76EKPKS1_KPS1_EviT_PT9_S7_lS9_S7_lPT10_S7_li.kd
    .uniform_work_group_size: 1
    .uses_dynamic_stack: false
    .vgpr_count:     118
    .vgpr_spill_count: 0
    .wavefront_size: 32
    .workgroup_processor_mode: 1
  - .args:
      - .offset:         0
        .size:           4
        .value_kind:     by_value
      - .offset:         4
        .size:           4
        .value_kind:     by_value
      - .address_space:  global
        .offset:         8
        .size:           8
        .value_kind:     global_buffer
      - .offset:         16
        .size:           4
        .value_kind:     by_value
      - .offset:         24
        .size:           8
        .value_kind:     by_value
      - .address_space:  global
        .offset:         32
        .size:           8
        .value_kind:     global_buffer
      - .offset:         40
        .size:           4
        .value_kind:     by_value
      - .offset:         48
        .size:           8
        .value_kind:     by_value
      - .address_space:  global
        .offset:         56
        .size:           8
        .value_kind:     global_buffer
      - .offset:         64
        .size:           4
        .value_kind:     by_value
      - .offset:         72
        .size:           8
        .value_kind:     by_value
      - .offset:         80
        .size:           4
        .value_kind:     by_value
    .group_segment_fixed_size: 8192
    .kernarg_segment_align: 8
    .kernarg_segment_size: 84
    .language:       OpenCL C
    .language_version:
      - 2
      - 0
    .max_flat_workgroup_size: 256
    .name:           _ZL37rocblas_syrkx_herkx_restricted_kernelIi19rocblas_complex_numIdELi16ELi32ELi8ELin1ELi0ELb0ELc78ELc76EKPKS1_KPS1_EviT_PT9_S7_lS9_S7_lPT10_S7_li
    .private_segment_fixed_size: 0
    .sgpr_count:     22
    .sgpr_spill_count: 0
    .symbol:         _ZL37rocblas_syrkx_herkx_restricted_kernelIi19rocblas_complex_numIdELi16ELi32ELi8ELin1ELi0ELb0ELc78ELc76EKPKS1_KPS1_EviT_PT9_S7_lS9_S7_lPT10_S7_li.kd
    .uniform_work_group_size: 1
    .uses_dynamic_stack: false
    .vgpr_count:     118
    .vgpr_spill_count: 0
    .wavefront_size: 32
    .workgroup_processor_mode: 1
  - .args:
      - .offset:         0
        .size:           4
        .value_kind:     by_value
      - .offset:         4
        .size:           4
        .value_kind:     by_value
      - .address_space:  global
        .offset:         8
        .size:           8
        .value_kind:     global_buffer
      - .offset:         16
        .size:           4
        .value_kind:     by_value
      - .offset:         24
        .size:           8
        .value_kind:     by_value
      - .address_space:  global
        .offset:         32
        .size:           8
        .value_kind:     global_buffer
      - .offset:         40
        .size:           4
        .value_kind:     by_value
      - .offset:         48
        .size:           8
        .value_kind:     by_value
      - .address_space:  global
        .offset:         56
        .size:           8
        .value_kind:     global_buffer
      - .offset:         64
        .size:           4
        .value_kind:     by_value
      - .offset:         72
        .size:           8
        .value_kind:     by_value
      - .offset:         80
        .size:           4
        .value_kind:     by_value
    .group_segment_fixed_size: 8192
    .kernarg_segment_align: 8
    .kernarg_segment_size: 84
    .language:       OpenCL C
    .language_version:
      - 2
      - 0
    .max_flat_workgroup_size: 256
    .name:           _ZL37rocblas_syrkx_herkx_restricted_kernelIi19rocblas_complex_numIdELi16ELi32ELi8ELin1ELi0ELb0ELc84ELc85EKPKS1_KPS1_EviT_PT9_S7_lS9_S7_lPT10_S7_li
    .private_segment_fixed_size: 0
    .sgpr_count:     19
    .sgpr_spill_count: 0
    .symbol:         _ZL37rocblas_syrkx_herkx_restricted_kernelIi19rocblas_complex_numIdELi16ELi32ELi8ELin1ELi0ELb0ELc84ELc85EKPKS1_KPS1_EviT_PT9_S7_lS9_S7_lPT10_S7_li.kd
    .uniform_work_group_size: 1
    .uses_dynamic_stack: false
    .vgpr_count:     118
    .vgpr_spill_count: 0
    .wavefront_size: 32
    .workgroup_processor_mode: 1
  - .args:
      - .offset:         0
        .size:           4
        .value_kind:     by_value
      - .offset:         4
        .size:           4
        .value_kind:     by_value
      - .address_space:  global
        .offset:         8
        .size:           8
        .value_kind:     global_buffer
      - .offset:         16
        .size:           4
        .value_kind:     by_value
      - .offset:         24
        .size:           8
        .value_kind:     by_value
      - .address_space:  global
        .offset:         32
        .size:           8
        .value_kind:     global_buffer
      - .offset:         40
        .size:           4
        .value_kind:     by_value
      - .offset:         48
        .size:           8
        .value_kind:     by_value
      - .address_space:  global
        .offset:         56
        .size:           8
        .value_kind:     global_buffer
      - .offset:         64
        .size:           4
        .value_kind:     by_value
      - .offset:         72
        .size:           8
        .value_kind:     by_value
      - .offset:         80
        .size:           4
        .value_kind:     by_value
    .group_segment_fixed_size: 8192
    .kernarg_segment_align: 8
    .kernarg_segment_size: 84
    .language:       OpenCL C
    .language_version:
      - 2
      - 0
    .max_flat_workgroup_size: 256
    .name:           _ZL37rocblas_syrkx_herkx_restricted_kernelIi19rocblas_complex_numIdELi16ELi32ELi8ELin1ELi0ELb0ELc67ELc85EKPKS1_KPS1_EviT_PT9_S7_lS9_S7_lPT10_S7_li
    .private_segment_fixed_size: 0
    .sgpr_count:     19
    .sgpr_spill_count: 0
    .symbol:         _ZL37rocblas_syrkx_herkx_restricted_kernelIi19rocblas_complex_numIdELi16ELi32ELi8ELin1ELi0ELb0ELc67ELc85EKPKS1_KPS1_EviT_PT9_S7_lS9_S7_lPT10_S7_li.kd
    .uniform_work_group_size: 1
    .uses_dynamic_stack: false
    .vgpr_count:     118
    .vgpr_spill_count: 0
    .wavefront_size: 32
    .workgroup_processor_mode: 1
  - .args:
      - .offset:         0
        .size:           4
        .value_kind:     by_value
      - .offset:         4
        .size:           4
        .value_kind:     by_value
      - .address_space:  global
        .offset:         8
        .size:           8
        .value_kind:     global_buffer
      - .offset:         16
        .size:           4
        .value_kind:     by_value
      - .offset:         24
        .size:           8
        .value_kind:     by_value
      - .address_space:  global
        .offset:         32
        .size:           8
        .value_kind:     global_buffer
      - .offset:         40
        .size:           4
        .value_kind:     by_value
      - .offset:         48
        .size:           8
        .value_kind:     by_value
      - .address_space:  global
        .offset:         56
        .size:           8
        .value_kind:     global_buffer
      - .offset:         64
        .size:           4
        .value_kind:     by_value
      - .offset:         72
        .size:           8
        .value_kind:     by_value
      - .offset:         80
        .size:           4
        .value_kind:     by_value
    .group_segment_fixed_size: 8192
    .kernarg_segment_align: 8
    .kernarg_segment_size: 84
    .language:       OpenCL C
    .language_version:
      - 2
      - 0
    .max_flat_workgroup_size: 256
    .name:           _ZL37rocblas_syrkx_herkx_restricted_kernelIi19rocblas_complex_numIdELi16ELi32ELi8ELin1ELi0ELb0ELc78ELc85EKPKS1_KPS1_EviT_PT9_S7_lS9_S7_lPT10_S7_li
    .private_segment_fixed_size: 0
    .sgpr_count:     22
    .sgpr_spill_count: 0
    .symbol:         _ZL37rocblas_syrkx_herkx_restricted_kernelIi19rocblas_complex_numIdELi16ELi32ELi8ELin1ELi0ELb0ELc78ELc85EKPKS1_KPS1_EviT_PT9_S7_lS9_S7_lPT10_S7_li.kd
    .uniform_work_group_size: 1
    .uses_dynamic_stack: false
    .vgpr_count:     118
    .vgpr_spill_count: 0
    .wavefront_size: 32
    .workgroup_processor_mode: 1
  - .args:
      - .offset:         0
        .size:           4
        .value_kind:     by_value
      - .offset:         4
        .size:           4
        .value_kind:     by_value
      - .offset:         8
        .size:           16
        .value_kind:     by_value
      - .address_space:  global
        .offset:         24
        .size:           8
        .value_kind:     global_buffer
      - .offset:         32
        .size:           4
        .value_kind:     by_value
      - .offset:         40
        .size:           8
        .value_kind:     by_value
      - .address_space:  global
        .offset:         48
        .size:           8
        .value_kind:     global_buffer
      - .offset:         56
        .size:           4
        .value_kind:     by_value
      - .offset:         64
        .size:           8
        .value_kind:     by_value
      - .offset:         72
        .size:           16
        .value_kind:     by_value
      - .address_space:  global
        .offset:         88
        .size:           8
        .value_kind:     global_buffer
      - .offset:         96
        .size:           4
        .value_kind:     by_value
      - .offset:         104
        .size:           8
        .value_kind:     by_value
      - .offset:         112
        .size:           4
        .value_kind:     by_value
    .group_segment_fixed_size: 8192
    .kernarg_segment_align: 8
    .kernarg_segment_size: 116
    .language:       OpenCL C
    .language_version:
      - 2
      - 0
    .max_flat_workgroup_size: 256
    .name:           _ZL37rocblas_syrkx_herkx_restricted_kernelIi19rocblas_complex_numIdELi16ELi32ELi8ELb1ELb0ELc84ELc76EKPKS1_KPS1_EviT_T0_PT8_S7_lSA_S7_lS8_PT9_S7_li
    .private_segment_fixed_size: 0
    .sgpr_count:     23
    .sgpr_spill_count: 0
    .symbol:         _ZL37rocblas_syrkx_herkx_restricted_kernelIi19rocblas_complex_numIdELi16ELi32ELi8ELb1ELb0ELc84ELc76EKPKS1_KPS1_EviT_T0_PT8_S7_lSA_S7_lS8_PT9_S7_li.kd
    .uniform_work_group_size: 1
    .uses_dynamic_stack: false
    .vgpr_count:     118
    .vgpr_spill_count: 0
    .wavefront_size: 32
    .workgroup_processor_mode: 1
  - .args:
      - .offset:         0
        .size:           4
        .value_kind:     by_value
      - .offset:         4
        .size:           4
        .value_kind:     by_value
      - .offset:         8
        .size:           16
        .value_kind:     by_value
      - .address_space:  global
        .offset:         24
        .size:           8
        .value_kind:     global_buffer
      - .offset:         32
        .size:           4
        .value_kind:     by_value
      - .offset:         40
        .size:           8
        .value_kind:     by_value
      - .address_space:  global
        .offset:         48
        .size:           8
        .value_kind:     global_buffer
      - .offset:         56
        .size:           4
        .value_kind:     by_value
      - .offset:         64
        .size:           8
        .value_kind:     by_value
      - .offset:         72
        .size:           16
        .value_kind:     by_value
      - .address_space:  global
        .offset:         88
        .size:           8
        .value_kind:     global_buffer
      - .offset:         96
        .size:           4
        .value_kind:     by_value
      - .offset:         104
        .size:           8
        .value_kind:     by_value
      - .offset:         112
        .size:           4
        .value_kind:     by_value
    .group_segment_fixed_size: 8192
    .kernarg_segment_align: 8
    .kernarg_segment_size: 116
    .language:       OpenCL C
    .language_version:
      - 2
      - 0
    .max_flat_workgroup_size: 256
    .name:           _ZL37rocblas_syrkx_herkx_restricted_kernelIi19rocblas_complex_numIdELi16ELi32ELi8ELb1ELb0ELc67ELc76EKPKS1_KPS1_EviT_T0_PT8_S7_lSA_S7_lS8_PT9_S7_li
    .private_segment_fixed_size: 0
    .sgpr_count:     23
    .sgpr_spill_count: 0
    .symbol:         _ZL37rocblas_syrkx_herkx_restricted_kernelIi19rocblas_complex_numIdELi16ELi32ELi8ELb1ELb0ELc67ELc76EKPKS1_KPS1_EviT_T0_PT8_S7_lSA_S7_lS8_PT9_S7_li.kd
    .uniform_work_group_size: 1
    .uses_dynamic_stack: false
    .vgpr_count:     118
    .vgpr_spill_count: 0
    .wavefront_size: 32
    .workgroup_processor_mode: 1
  - .args:
      - .offset:         0
        .size:           4
        .value_kind:     by_value
      - .offset:         4
        .size:           4
        .value_kind:     by_value
      - .offset:         8
        .size:           16
        .value_kind:     by_value
      - .address_space:  global
        .offset:         24
        .size:           8
        .value_kind:     global_buffer
      - .offset:         32
        .size:           4
        .value_kind:     by_value
      - .offset:         40
        .size:           8
        .value_kind:     by_value
      - .address_space:  global
        .offset:         48
        .size:           8
        .value_kind:     global_buffer
      - .offset:         56
        .size:           4
        .value_kind:     by_value
      - .offset:         64
        .size:           8
        .value_kind:     by_value
      - .offset:         72
        .size:           16
        .value_kind:     by_value
      - .address_space:  global
        .offset:         88
        .size:           8
        .value_kind:     global_buffer
      - .offset:         96
        .size:           4
        .value_kind:     by_value
      - .offset:         104
        .size:           8
        .value_kind:     by_value
      - .offset:         112
        .size:           4
        .value_kind:     by_value
    .group_segment_fixed_size: 8192
    .kernarg_segment_align: 8
    .kernarg_segment_size: 116
    .language:       OpenCL C
    .language_version:
      - 2
      - 0
    .max_flat_workgroup_size: 256
    .name:           _ZL37rocblas_syrkx_herkx_restricted_kernelIi19rocblas_complex_numIdELi16ELi32ELi8ELb1ELb0ELc78ELc76EKPKS1_KPS1_EviT_T0_PT8_S7_lSA_S7_lS8_PT9_S7_li
    .private_segment_fixed_size: 0
    .sgpr_count:     26
    .sgpr_spill_count: 0
    .symbol:         _ZL37rocblas_syrkx_herkx_restricted_kernelIi19rocblas_complex_numIdELi16ELi32ELi8ELb1ELb0ELc78ELc76EKPKS1_KPS1_EviT_T0_PT8_S7_lSA_S7_lS8_PT9_S7_li.kd
    .uniform_work_group_size: 1
    .uses_dynamic_stack: false
    .vgpr_count:     118
    .vgpr_spill_count: 0
    .wavefront_size: 32
    .workgroup_processor_mode: 1
  - .args:
      - .offset:         0
        .size:           4
        .value_kind:     by_value
      - .offset:         4
        .size:           4
        .value_kind:     by_value
      - .offset:         8
        .size:           16
        .value_kind:     by_value
      - .address_space:  global
        .offset:         24
        .size:           8
        .value_kind:     global_buffer
      - .offset:         32
        .size:           4
        .value_kind:     by_value
      - .offset:         40
        .size:           8
        .value_kind:     by_value
      - .address_space:  global
        .offset:         48
        .size:           8
        .value_kind:     global_buffer
      - .offset:         56
        .size:           4
        .value_kind:     by_value
      - .offset:         64
        .size:           8
        .value_kind:     by_value
      - .offset:         72
        .size:           16
        .value_kind:     by_value
      - .address_space:  global
        .offset:         88
        .size:           8
        .value_kind:     global_buffer
      - .offset:         96
        .size:           4
        .value_kind:     by_value
      - .offset:         104
        .size:           8
        .value_kind:     by_value
      - .offset:         112
        .size:           4
        .value_kind:     by_value
    .group_segment_fixed_size: 8192
    .kernarg_segment_align: 8
    .kernarg_segment_size: 116
    .language:       OpenCL C
    .language_version:
      - 2
      - 0
    .max_flat_workgroup_size: 256
    .name:           _ZL37rocblas_syrkx_herkx_restricted_kernelIi19rocblas_complex_numIdELi16ELi32ELi8ELb1ELb0ELc84ELc85EKPKS1_KPS1_EviT_T0_PT8_S7_lSA_S7_lS8_PT9_S7_li
    .private_segment_fixed_size: 0
    .sgpr_count:     23
    .sgpr_spill_count: 0
    .symbol:         _ZL37rocblas_syrkx_herkx_restricted_kernelIi19rocblas_complex_numIdELi16ELi32ELi8ELb1ELb0ELc84ELc85EKPKS1_KPS1_EviT_T0_PT8_S7_lSA_S7_lS8_PT9_S7_li.kd
    .uniform_work_group_size: 1
    .uses_dynamic_stack: false
    .vgpr_count:     118
    .vgpr_spill_count: 0
    .wavefront_size: 32
    .workgroup_processor_mode: 1
  - .args:
      - .offset:         0
        .size:           4
        .value_kind:     by_value
      - .offset:         4
        .size:           4
        .value_kind:     by_value
      - .offset:         8
        .size:           16
        .value_kind:     by_value
      - .address_space:  global
        .offset:         24
        .size:           8
        .value_kind:     global_buffer
      - .offset:         32
        .size:           4
        .value_kind:     by_value
      - .offset:         40
        .size:           8
        .value_kind:     by_value
      - .address_space:  global
        .offset:         48
        .size:           8
        .value_kind:     global_buffer
      - .offset:         56
        .size:           4
        .value_kind:     by_value
      - .offset:         64
        .size:           8
        .value_kind:     by_value
      - .offset:         72
        .size:           16
        .value_kind:     by_value
      - .address_space:  global
        .offset:         88
        .size:           8
        .value_kind:     global_buffer
      - .offset:         96
        .size:           4
        .value_kind:     by_value
      - .offset:         104
        .size:           8
        .value_kind:     by_value
      - .offset:         112
        .size:           4
        .value_kind:     by_value
    .group_segment_fixed_size: 8192
    .kernarg_segment_align: 8
    .kernarg_segment_size: 116
    .language:       OpenCL C
    .language_version:
      - 2
      - 0
    .max_flat_workgroup_size: 256
    .name:           _ZL37rocblas_syrkx_herkx_restricted_kernelIi19rocblas_complex_numIdELi16ELi32ELi8ELb1ELb0ELc67ELc85EKPKS1_KPS1_EviT_T0_PT8_S7_lSA_S7_lS8_PT9_S7_li
    .private_segment_fixed_size: 0
    .sgpr_count:     23
    .sgpr_spill_count: 0
    .symbol:         _ZL37rocblas_syrkx_herkx_restricted_kernelIi19rocblas_complex_numIdELi16ELi32ELi8ELb1ELb0ELc67ELc85EKPKS1_KPS1_EviT_T0_PT8_S7_lSA_S7_lS8_PT9_S7_li.kd
    .uniform_work_group_size: 1
    .uses_dynamic_stack: false
    .vgpr_count:     118
    .vgpr_spill_count: 0
    .wavefront_size: 32
    .workgroup_processor_mode: 1
  - .args:
      - .offset:         0
        .size:           4
        .value_kind:     by_value
      - .offset:         4
        .size:           4
        .value_kind:     by_value
      - .offset:         8
        .size:           16
        .value_kind:     by_value
      - .address_space:  global
        .offset:         24
        .size:           8
        .value_kind:     global_buffer
      - .offset:         32
        .size:           4
        .value_kind:     by_value
      - .offset:         40
        .size:           8
        .value_kind:     by_value
      - .address_space:  global
        .offset:         48
        .size:           8
        .value_kind:     global_buffer
      - .offset:         56
        .size:           4
        .value_kind:     by_value
      - .offset:         64
        .size:           8
        .value_kind:     by_value
      - .offset:         72
        .size:           16
        .value_kind:     by_value
      - .address_space:  global
        .offset:         88
        .size:           8
        .value_kind:     global_buffer
      - .offset:         96
        .size:           4
        .value_kind:     by_value
      - .offset:         104
        .size:           8
        .value_kind:     by_value
      - .offset:         112
        .size:           4
        .value_kind:     by_value
    .group_segment_fixed_size: 8192
    .kernarg_segment_align: 8
    .kernarg_segment_size: 116
    .language:       OpenCL C
    .language_version:
      - 2
      - 0
    .max_flat_workgroup_size: 256
    .name:           _ZL37rocblas_syrkx_herkx_restricted_kernelIi19rocblas_complex_numIdELi16ELi32ELi8ELb1ELb0ELc78ELc85EKPKS1_KPS1_EviT_T0_PT8_S7_lSA_S7_lS8_PT9_S7_li
    .private_segment_fixed_size: 0
    .sgpr_count:     26
    .sgpr_spill_count: 0
    .symbol:         _ZL37rocblas_syrkx_herkx_restricted_kernelIi19rocblas_complex_numIdELi16ELi32ELi8ELb1ELb0ELc78ELc85EKPKS1_KPS1_EviT_T0_PT8_S7_lSA_S7_lS8_PT9_S7_li.kd
    .uniform_work_group_size: 1
    .uses_dynamic_stack: false
    .vgpr_count:     118
    .vgpr_spill_count: 0
    .wavefront_size: 32
    .workgroup_processor_mode: 1
  - .args:
      - .offset:         0
        .size:           4
        .value_kind:     by_value
      - .offset:         4
        .size:           4
        .value_kind:     by_value
      - .offset:         8
        .size:           16
        .value_kind:     by_value
      - .address_space:  global
        .offset:         24
        .size:           8
        .value_kind:     global_buffer
      - .offset:         32
        .size:           4
        .value_kind:     by_value
      - .offset:         40
        .size:           8
        .value_kind:     by_value
      - .address_space:  global
        .offset:         48
        .size:           8
        .value_kind:     global_buffer
      - .offset:         56
        .size:           4
        .value_kind:     by_value
      - .offset:         64
        .size:           8
        .value_kind:     by_value
      - .offset:         72
        .size:           16
        .value_kind:     by_value
      - .address_space:  global
        .offset:         88
        .size:           8
        .value_kind:     global_buffer
      - .offset:         96
        .size:           4
        .value_kind:     by_value
      - .offset:         104
        .size:           8
        .value_kind:     by_value
      - .offset:         112
        .size:           4
        .value_kind:     by_value
    .group_segment_fixed_size: 8192
    .kernarg_segment_align: 8
    .kernarg_segment_size: 116
    .language:       OpenCL C
    .language_version:
      - 2
      - 0
    .max_flat_workgroup_size: 256
    .name:           _ZL37rocblas_syrkx_herkx_restricted_kernelIi19rocblas_complex_numIdELi16ELi32ELi8ELb0ELb0ELc84ELc76EKPKS1_KPS1_EviT_T0_PT8_S7_lSA_S7_lS8_PT9_S7_li
    .private_segment_fixed_size: 0
    .sgpr_count:     27
    .sgpr_spill_count: 0
    .symbol:         _ZL37rocblas_syrkx_herkx_restricted_kernelIi19rocblas_complex_numIdELi16ELi32ELi8ELb0ELb0ELc84ELc76EKPKS1_KPS1_EviT_T0_PT8_S7_lSA_S7_lS8_PT9_S7_li.kd
    .uniform_work_group_size: 1
    .uses_dynamic_stack: false
    .vgpr_count:     118
    .vgpr_spill_count: 0
    .wavefront_size: 32
    .workgroup_processor_mode: 1
  - .args:
      - .offset:         0
        .size:           4
        .value_kind:     by_value
      - .offset:         4
        .size:           4
        .value_kind:     by_value
      - .offset:         8
        .size:           16
        .value_kind:     by_value
      - .address_space:  global
        .offset:         24
        .size:           8
        .value_kind:     global_buffer
      - .offset:         32
        .size:           4
        .value_kind:     by_value
      - .offset:         40
        .size:           8
        .value_kind:     by_value
      - .address_space:  global
        .offset:         48
        .size:           8
        .value_kind:     global_buffer
      - .offset:         56
        .size:           4
        .value_kind:     by_value
      - .offset:         64
        .size:           8
        .value_kind:     by_value
      - .offset:         72
        .size:           16
        .value_kind:     by_value
      - .address_space:  global
        .offset:         88
        .size:           8
        .value_kind:     global_buffer
      - .offset:         96
        .size:           4
        .value_kind:     by_value
      - .offset:         104
        .size:           8
        .value_kind:     by_value
      - .offset:         112
        .size:           4
        .value_kind:     by_value
    .group_segment_fixed_size: 8192
    .kernarg_segment_align: 8
    .kernarg_segment_size: 116
    .language:       OpenCL C
    .language_version:
      - 2
      - 0
    .max_flat_workgroup_size: 256
    .name:           _ZL37rocblas_syrkx_herkx_restricted_kernelIi19rocblas_complex_numIdELi16ELi32ELi8ELb0ELb0ELc67ELc76EKPKS1_KPS1_EviT_T0_PT8_S7_lSA_S7_lS8_PT9_S7_li
    .private_segment_fixed_size: 0
    .sgpr_count:     27
    .sgpr_spill_count: 0
    .symbol:         _ZL37rocblas_syrkx_herkx_restricted_kernelIi19rocblas_complex_numIdELi16ELi32ELi8ELb0ELb0ELc67ELc76EKPKS1_KPS1_EviT_T0_PT8_S7_lSA_S7_lS8_PT9_S7_li.kd
    .uniform_work_group_size: 1
    .uses_dynamic_stack: false
    .vgpr_count:     118
    .vgpr_spill_count: 0
    .wavefront_size: 32
    .workgroup_processor_mode: 1
  - .args:
      - .offset:         0
        .size:           4
        .value_kind:     by_value
      - .offset:         4
        .size:           4
        .value_kind:     by_value
      - .offset:         8
        .size:           16
        .value_kind:     by_value
      - .address_space:  global
        .offset:         24
        .size:           8
        .value_kind:     global_buffer
      - .offset:         32
        .size:           4
        .value_kind:     by_value
      - .offset:         40
        .size:           8
        .value_kind:     by_value
      - .address_space:  global
        .offset:         48
        .size:           8
        .value_kind:     global_buffer
      - .offset:         56
        .size:           4
        .value_kind:     by_value
      - .offset:         64
        .size:           8
        .value_kind:     by_value
      - .offset:         72
        .size:           16
        .value_kind:     by_value
      - .address_space:  global
        .offset:         88
        .size:           8
        .value_kind:     global_buffer
      - .offset:         96
        .size:           4
        .value_kind:     by_value
      - .offset:         104
        .size:           8
        .value_kind:     by_value
      - .offset:         112
        .size:           4
        .value_kind:     by_value
    .group_segment_fixed_size: 8192
    .kernarg_segment_align: 8
    .kernarg_segment_size: 116
    .language:       OpenCL C
    .language_version:
      - 2
      - 0
    .max_flat_workgroup_size: 256
    .name:           _ZL37rocblas_syrkx_herkx_restricted_kernelIi19rocblas_complex_numIdELi16ELi32ELi8ELb0ELb0ELc78ELc76EKPKS1_KPS1_EviT_T0_PT8_S7_lSA_S7_lS8_PT9_S7_li
    .private_segment_fixed_size: 0
    .sgpr_count:     30
    .sgpr_spill_count: 0
    .symbol:         _ZL37rocblas_syrkx_herkx_restricted_kernelIi19rocblas_complex_numIdELi16ELi32ELi8ELb0ELb0ELc78ELc76EKPKS1_KPS1_EviT_T0_PT8_S7_lSA_S7_lS8_PT9_S7_li.kd
    .uniform_work_group_size: 1
    .uses_dynamic_stack: false
    .vgpr_count:     118
    .vgpr_spill_count: 0
    .wavefront_size: 32
    .workgroup_processor_mode: 1
  - .args:
      - .offset:         0
        .size:           4
        .value_kind:     by_value
      - .offset:         4
        .size:           4
        .value_kind:     by_value
      - .offset:         8
        .size:           16
        .value_kind:     by_value
      - .address_space:  global
        .offset:         24
        .size:           8
        .value_kind:     global_buffer
      - .offset:         32
        .size:           4
        .value_kind:     by_value
      - .offset:         40
        .size:           8
        .value_kind:     by_value
      - .address_space:  global
        .offset:         48
        .size:           8
        .value_kind:     global_buffer
      - .offset:         56
        .size:           4
        .value_kind:     by_value
      - .offset:         64
        .size:           8
        .value_kind:     by_value
      - .offset:         72
        .size:           16
        .value_kind:     by_value
      - .address_space:  global
        .offset:         88
        .size:           8
        .value_kind:     global_buffer
      - .offset:         96
        .size:           4
        .value_kind:     by_value
      - .offset:         104
        .size:           8
        .value_kind:     by_value
      - .offset:         112
        .size:           4
        .value_kind:     by_value
    .group_segment_fixed_size: 8192
    .kernarg_segment_align: 8
    .kernarg_segment_size: 116
    .language:       OpenCL C
    .language_version:
      - 2
      - 0
    .max_flat_workgroup_size: 256
    .name:           _ZL37rocblas_syrkx_herkx_restricted_kernelIi19rocblas_complex_numIdELi16ELi32ELi8ELb0ELb0ELc84ELc85EKPKS1_KPS1_EviT_T0_PT8_S7_lSA_S7_lS8_PT9_S7_li
    .private_segment_fixed_size: 0
    .sgpr_count:     27
    .sgpr_spill_count: 0
    .symbol:         _ZL37rocblas_syrkx_herkx_restricted_kernelIi19rocblas_complex_numIdELi16ELi32ELi8ELb0ELb0ELc84ELc85EKPKS1_KPS1_EviT_T0_PT8_S7_lSA_S7_lS8_PT9_S7_li.kd
    .uniform_work_group_size: 1
    .uses_dynamic_stack: false
    .vgpr_count:     118
    .vgpr_spill_count: 0
    .wavefront_size: 32
    .workgroup_processor_mode: 1
  - .args:
      - .offset:         0
        .size:           4
        .value_kind:     by_value
      - .offset:         4
        .size:           4
        .value_kind:     by_value
      - .offset:         8
        .size:           16
        .value_kind:     by_value
      - .address_space:  global
        .offset:         24
        .size:           8
        .value_kind:     global_buffer
      - .offset:         32
        .size:           4
        .value_kind:     by_value
      - .offset:         40
        .size:           8
        .value_kind:     by_value
      - .address_space:  global
        .offset:         48
        .size:           8
        .value_kind:     global_buffer
      - .offset:         56
        .size:           4
        .value_kind:     by_value
      - .offset:         64
        .size:           8
        .value_kind:     by_value
      - .offset:         72
        .size:           16
        .value_kind:     by_value
      - .address_space:  global
        .offset:         88
        .size:           8
        .value_kind:     global_buffer
      - .offset:         96
        .size:           4
        .value_kind:     by_value
      - .offset:         104
        .size:           8
        .value_kind:     by_value
      - .offset:         112
        .size:           4
        .value_kind:     by_value
    .group_segment_fixed_size: 8192
    .kernarg_segment_align: 8
    .kernarg_segment_size: 116
    .language:       OpenCL C
    .language_version:
      - 2
      - 0
    .max_flat_workgroup_size: 256
    .name:           _ZL37rocblas_syrkx_herkx_restricted_kernelIi19rocblas_complex_numIdELi16ELi32ELi8ELb0ELb0ELc67ELc85EKPKS1_KPS1_EviT_T0_PT8_S7_lSA_S7_lS8_PT9_S7_li
    .private_segment_fixed_size: 0
    .sgpr_count:     27
    .sgpr_spill_count: 0
    .symbol:         _ZL37rocblas_syrkx_herkx_restricted_kernelIi19rocblas_complex_numIdELi16ELi32ELi8ELb0ELb0ELc67ELc85EKPKS1_KPS1_EviT_T0_PT8_S7_lSA_S7_lS8_PT9_S7_li.kd
    .uniform_work_group_size: 1
    .uses_dynamic_stack: false
    .vgpr_count:     118
    .vgpr_spill_count: 0
    .wavefront_size: 32
    .workgroup_processor_mode: 1
  - .args:
      - .offset:         0
        .size:           4
        .value_kind:     by_value
      - .offset:         4
        .size:           4
        .value_kind:     by_value
      - .offset:         8
        .size:           16
        .value_kind:     by_value
      - .address_space:  global
        .offset:         24
        .size:           8
        .value_kind:     global_buffer
      - .offset:         32
        .size:           4
        .value_kind:     by_value
      - .offset:         40
        .size:           8
        .value_kind:     by_value
      - .address_space:  global
        .offset:         48
        .size:           8
        .value_kind:     global_buffer
      - .offset:         56
        .size:           4
        .value_kind:     by_value
      - .offset:         64
        .size:           8
        .value_kind:     by_value
      - .offset:         72
        .size:           16
        .value_kind:     by_value
      - .address_space:  global
        .offset:         88
        .size:           8
        .value_kind:     global_buffer
      - .offset:         96
        .size:           4
        .value_kind:     by_value
      - .offset:         104
        .size:           8
        .value_kind:     by_value
      - .offset:         112
        .size:           4
        .value_kind:     by_value
    .group_segment_fixed_size: 8192
    .kernarg_segment_align: 8
    .kernarg_segment_size: 116
    .language:       OpenCL C
    .language_version:
      - 2
      - 0
    .max_flat_workgroup_size: 256
    .name:           _ZL37rocblas_syrkx_herkx_restricted_kernelIi19rocblas_complex_numIdELi16ELi32ELi8ELb0ELb0ELc78ELc85EKPKS1_KPS1_EviT_T0_PT8_S7_lSA_S7_lS8_PT9_S7_li
    .private_segment_fixed_size: 0
    .sgpr_count:     30
    .sgpr_spill_count: 0
    .symbol:         _ZL37rocblas_syrkx_herkx_restricted_kernelIi19rocblas_complex_numIdELi16ELi32ELi8ELb0ELb0ELc78ELc85EKPKS1_KPS1_EviT_T0_PT8_S7_lSA_S7_lS8_PT9_S7_li.kd
    .uniform_work_group_size: 1
    .uses_dynamic_stack: false
    .vgpr_count:     118
    .vgpr_spill_count: 0
    .wavefront_size: 32
    .workgroup_processor_mode: 1
  - .args:
      - .offset:         0
        .size:           4
        .value_kind:     by_value
      - .offset:         4
        .size:           4
        .value_kind:     by_value
      - .offset:         8
        .size:           16
        .value_kind:     by_value
      - .address_space:  global
        .offset:         24
        .size:           8
        .value_kind:     global_buffer
      - .offset:         32
        .size:           4
        .value_kind:     by_value
      - .offset:         40
        .size:           8
        .value_kind:     by_value
      - .address_space:  global
        .offset:         48
        .size:           8
        .value_kind:     global_buffer
      - .offset:         56
        .size:           4
        .value_kind:     by_value
      - .offset:         64
        .size:           8
        .value_kind:     by_value
      - .offset:         72
        .size:           16
        .value_kind:     by_value
      - .address_space:  global
        .offset:         88
        .size:           8
        .value_kind:     global_buffer
      - .offset:         96
        .size:           4
        .value_kind:     by_value
      - .offset:         104
        .size:           8
        .value_kind:     by_value
      - .offset:         112
        .size:           4
        .value_kind:     by_value
    .group_segment_fixed_size: 8192
    .kernarg_segment_align: 8
    .kernarg_segment_size: 116
    .language:       OpenCL C
    .language_version:
      - 2
      - 0
    .max_flat_workgroup_size: 256
    .name:           _ZL41rocblas_syrkx_herkx_small_restrict_kernelIi19rocblas_complex_numIdELi16ELb1ELb0ELc84ELc76EKPKS1_KPS1_EviT_T0_PT6_S7_lSA_S7_lS8_PT7_S7_li
    .private_segment_fixed_size: 0
    .sgpr_count:     20
    .sgpr_spill_count: 0
    .symbol:         _ZL41rocblas_syrkx_herkx_small_restrict_kernelIi19rocblas_complex_numIdELi16ELb1ELb0ELc84ELc76EKPKS1_KPS1_EviT_T0_PT6_S7_lSA_S7_lS8_PT7_S7_li.kd
    .uniform_work_group_size: 1
    .uses_dynamic_stack: false
    .vgpr_count:     46
    .vgpr_spill_count: 0
    .wavefront_size: 32
    .workgroup_processor_mode: 1
  - .args:
      - .offset:         0
        .size:           4
        .value_kind:     by_value
      - .offset:         4
        .size:           4
        .value_kind:     by_value
      - .offset:         8
        .size:           16
        .value_kind:     by_value
      - .address_space:  global
        .offset:         24
        .size:           8
        .value_kind:     global_buffer
      - .offset:         32
        .size:           4
        .value_kind:     by_value
      - .offset:         40
        .size:           8
        .value_kind:     by_value
      - .address_space:  global
        .offset:         48
        .size:           8
        .value_kind:     global_buffer
      - .offset:         56
        .size:           4
        .value_kind:     by_value
      - .offset:         64
        .size:           8
        .value_kind:     by_value
      - .offset:         72
        .size:           16
        .value_kind:     by_value
      - .address_space:  global
        .offset:         88
        .size:           8
        .value_kind:     global_buffer
      - .offset:         96
        .size:           4
        .value_kind:     by_value
      - .offset:         104
        .size:           8
        .value_kind:     by_value
      - .offset:         112
        .size:           4
        .value_kind:     by_value
    .group_segment_fixed_size: 8192
    .kernarg_segment_align: 8
    .kernarg_segment_size: 116
    .language:       OpenCL C
    .language_version:
      - 2
      - 0
    .max_flat_workgroup_size: 256
    .name:           _ZL41rocblas_syrkx_herkx_small_restrict_kernelIi19rocblas_complex_numIdELi16ELb1ELb0ELc67ELc76EKPKS1_KPS1_EviT_T0_PT6_S7_lSA_S7_lS8_PT7_S7_li
    .private_segment_fixed_size: 0
    .sgpr_count:     20
    .sgpr_spill_count: 0
    .symbol:         _ZL41rocblas_syrkx_herkx_small_restrict_kernelIi19rocblas_complex_numIdELi16ELb1ELb0ELc67ELc76EKPKS1_KPS1_EviT_T0_PT6_S7_lSA_S7_lS8_PT7_S7_li.kd
    .uniform_work_group_size: 1
    .uses_dynamic_stack: false
    .vgpr_count:     46
    .vgpr_spill_count: 0
    .wavefront_size: 32
    .workgroup_processor_mode: 1
  - .args:
      - .offset:         0
        .size:           4
        .value_kind:     by_value
      - .offset:         4
        .size:           4
        .value_kind:     by_value
      - .offset:         8
        .size:           16
        .value_kind:     by_value
      - .address_space:  global
        .offset:         24
        .size:           8
        .value_kind:     global_buffer
      - .offset:         32
        .size:           4
        .value_kind:     by_value
      - .offset:         40
        .size:           8
        .value_kind:     by_value
      - .address_space:  global
        .offset:         48
        .size:           8
        .value_kind:     global_buffer
      - .offset:         56
        .size:           4
        .value_kind:     by_value
      - .offset:         64
        .size:           8
        .value_kind:     by_value
      - .offset:         72
        .size:           16
        .value_kind:     by_value
      - .address_space:  global
        .offset:         88
        .size:           8
        .value_kind:     global_buffer
      - .offset:         96
        .size:           4
        .value_kind:     by_value
      - .offset:         104
        .size:           8
        .value_kind:     by_value
      - .offset:         112
        .size:           4
        .value_kind:     by_value
    .group_segment_fixed_size: 8192
    .kernarg_segment_align: 8
    .kernarg_segment_size: 116
    .language:       OpenCL C
    .language_version:
      - 2
      - 0
    .max_flat_workgroup_size: 256
    .name:           _ZL41rocblas_syrkx_herkx_small_restrict_kernelIi19rocblas_complex_numIdELi16ELb1ELb0ELc78ELc76EKPKS1_KPS1_EviT_T0_PT6_S7_lSA_S7_lS8_PT7_S7_li
    .private_segment_fixed_size: 0
    .sgpr_count:     22
    .sgpr_spill_count: 0
    .symbol:         _ZL41rocblas_syrkx_herkx_small_restrict_kernelIi19rocblas_complex_numIdELi16ELb1ELb0ELc78ELc76EKPKS1_KPS1_EviT_T0_PT6_S7_lSA_S7_lS8_PT7_S7_li.kd
    .uniform_work_group_size: 1
    .uses_dynamic_stack: false
    .vgpr_count:     47
    .vgpr_spill_count: 0
    .wavefront_size: 32
    .workgroup_processor_mode: 1
  - .args:
      - .offset:         0
        .size:           4
        .value_kind:     by_value
      - .offset:         4
        .size:           4
        .value_kind:     by_value
      - .offset:         8
        .size:           16
        .value_kind:     by_value
      - .address_space:  global
        .offset:         24
        .size:           8
        .value_kind:     global_buffer
      - .offset:         32
        .size:           4
        .value_kind:     by_value
      - .offset:         40
        .size:           8
        .value_kind:     by_value
      - .address_space:  global
        .offset:         48
        .size:           8
        .value_kind:     global_buffer
      - .offset:         56
        .size:           4
        .value_kind:     by_value
      - .offset:         64
        .size:           8
        .value_kind:     by_value
      - .offset:         72
        .size:           16
        .value_kind:     by_value
      - .address_space:  global
        .offset:         88
        .size:           8
        .value_kind:     global_buffer
      - .offset:         96
        .size:           4
        .value_kind:     by_value
      - .offset:         104
        .size:           8
        .value_kind:     by_value
      - .offset:         112
        .size:           4
        .value_kind:     by_value
    .group_segment_fixed_size: 8192
    .kernarg_segment_align: 8
    .kernarg_segment_size: 116
    .language:       OpenCL C
    .language_version:
      - 2
      - 0
    .max_flat_workgroup_size: 256
    .name:           _ZL41rocblas_syrkx_herkx_small_restrict_kernelIi19rocblas_complex_numIdELi16ELb1ELb0ELc84ELc85EKPKS1_KPS1_EviT_T0_PT6_S7_lSA_S7_lS8_PT7_S7_li
    .private_segment_fixed_size: 0
    .sgpr_count:     20
    .sgpr_spill_count: 0
    .symbol:         _ZL41rocblas_syrkx_herkx_small_restrict_kernelIi19rocblas_complex_numIdELi16ELb1ELb0ELc84ELc85EKPKS1_KPS1_EviT_T0_PT6_S7_lSA_S7_lS8_PT7_S7_li.kd
    .uniform_work_group_size: 1
    .uses_dynamic_stack: false
    .vgpr_count:     46
    .vgpr_spill_count: 0
    .wavefront_size: 32
    .workgroup_processor_mode: 1
  - .args:
      - .offset:         0
        .size:           4
        .value_kind:     by_value
      - .offset:         4
        .size:           4
        .value_kind:     by_value
      - .offset:         8
        .size:           16
        .value_kind:     by_value
      - .address_space:  global
        .offset:         24
        .size:           8
        .value_kind:     global_buffer
      - .offset:         32
        .size:           4
        .value_kind:     by_value
      - .offset:         40
        .size:           8
        .value_kind:     by_value
      - .address_space:  global
        .offset:         48
        .size:           8
        .value_kind:     global_buffer
      - .offset:         56
        .size:           4
        .value_kind:     by_value
      - .offset:         64
        .size:           8
        .value_kind:     by_value
      - .offset:         72
        .size:           16
        .value_kind:     by_value
      - .address_space:  global
        .offset:         88
        .size:           8
        .value_kind:     global_buffer
      - .offset:         96
        .size:           4
        .value_kind:     by_value
      - .offset:         104
        .size:           8
        .value_kind:     by_value
      - .offset:         112
        .size:           4
        .value_kind:     by_value
    .group_segment_fixed_size: 8192
    .kernarg_segment_align: 8
    .kernarg_segment_size: 116
    .language:       OpenCL C
    .language_version:
      - 2
      - 0
    .max_flat_workgroup_size: 256
    .name:           _ZL41rocblas_syrkx_herkx_small_restrict_kernelIi19rocblas_complex_numIdELi16ELb1ELb0ELc67ELc85EKPKS1_KPS1_EviT_T0_PT6_S7_lSA_S7_lS8_PT7_S7_li
    .private_segment_fixed_size: 0
    .sgpr_count:     20
    .sgpr_spill_count: 0
    .symbol:         _ZL41rocblas_syrkx_herkx_small_restrict_kernelIi19rocblas_complex_numIdELi16ELb1ELb0ELc67ELc85EKPKS1_KPS1_EviT_T0_PT6_S7_lSA_S7_lS8_PT7_S7_li.kd
    .uniform_work_group_size: 1
    .uses_dynamic_stack: false
    .vgpr_count:     46
    .vgpr_spill_count: 0
    .wavefront_size: 32
    .workgroup_processor_mode: 1
  - .args:
      - .offset:         0
        .size:           4
        .value_kind:     by_value
      - .offset:         4
        .size:           4
        .value_kind:     by_value
      - .offset:         8
        .size:           16
        .value_kind:     by_value
      - .address_space:  global
        .offset:         24
        .size:           8
        .value_kind:     global_buffer
      - .offset:         32
        .size:           4
        .value_kind:     by_value
      - .offset:         40
        .size:           8
        .value_kind:     by_value
      - .address_space:  global
        .offset:         48
        .size:           8
        .value_kind:     global_buffer
      - .offset:         56
        .size:           4
        .value_kind:     by_value
      - .offset:         64
        .size:           8
        .value_kind:     by_value
      - .offset:         72
        .size:           16
        .value_kind:     by_value
      - .address_space:  global
        .offset:         88
        .size:           8
        .value_kind:     global_buffer
      - .offset:         96
        .size:           4
        .value_kind:     by_value
      - .offset:         104
        .size:           8
        .value_kind:     by_value
      - .offset:         112
        .size:           4
        .value_kind:     by_value
    .group_segment_fixed_size: 8192
    .kernarg_segment_align: 8
    .kernarg_segment_size: 116
    .language:       OpenCL C
    .language_version:
      - 2
      - 0
    .max_flat_workgroup_size: 256
    .name:           _ZL41rocblas_syrkx_herkx_small_restrict_kernelIi19rocblas_complex_numIdELi16ELb1ELb0ELc78ELc85EKPKS1_KPS1_EviT_T0_PT6_S7_lSA_S7_lS8_PT7_S7_li
    .private_segment_fixed_size: 0
    .sgpr_count:     22
    .sgpr_spill_count: 0
    .symbol:         _ZL41rocblas_syrkx_herkx_small_restrict_kernelIi19rocblas_complex_numIdELi16ELb1ELb0ELc78ELc85EKPKS1_KPS1_EviT_T0_PT6_S7_lSA_S7_lS8_PT7_S7_li.kd
    .uniform_work_group_size: 1
    .uses_dynamic_stack: false
    .vgpr_count:     47
    .vgpr_spill_count: 0
    .wavefront_size: 32
    .workgroup_processor_mode: 1
  - .args:
      - .offset:         0
        .size:           4
        .value_kind:     by_value
      - .offset:         4
        .size:           4
        .value_kind:     by_value
      - .offset:         8
        .size:           16
        .value_kind:     by_value
      - .address_space:  global
        .offset:         24
        .size:           8
        .value_kind:     global_buffer
      - .offset:         32
        .size:           4
        .value_kind:     by_value
      - .offset:         40
        .size:           8
        .value_kind:     by_value
      - .address_space:  global
        .offset:         48
        .size:           8
        .value_kind:     global_buffer
      - .offset:         56
        .size:           4
        .value_kind:     by_value
      - .offset:         64
        .size:           8
        .value_kind:     by_value
      - .offset:         72
        .size:           16
        .value_kind:     by_value
      - .address_space:  global
        .offset:         88
        .size:           8
        .value_kind:     global_buffer
      - .offset:         96
        .size:           4
        .value_kind:     by_value
      - .offset:         104
        .size:           8
        .value_kind:     by_value
      - .offset:         112
        .size:           4
        .value_kind:     by_value
    .group_segment_fixed_size: 8192
    .kernarg_segment_align: 8
    .kernarg_segment_size: 116
    .language:       OpenCL C
    .language_version:
      - 2
      - 0
    .max_flat_workgroup_size: 256
    .name:           _ZL41rocblas_syrkx_herkx_small_restrict_kernelIi19rocblas_complex_numIdELi16ELb0ELb0ELc84ELc76EKPKS1_KPS1_EviT_T0_PT6_S7_lSA_S7_lS8_PT7_S7_li
    .private_segment_fixed_size: 0
    .sgpr_count:     24
    .sgpr_spill_count: 0
    .symbol:         _ZL41rocblas_syrkx_herkx_small_restrict_kernelIi19rocblas_complex_numIdELi16ELb0ELb0ELc84ELc76EKPKS1_KPS1_EviT_T0_PT6_S7_lSA_S7_lS8_PT7_S7_li.kd
    .uniform_work_group_size: 1
    .uses_dynamic_stack: false
    .vgpr_count:     46
    .vgpr_spill_count: 0
    .wavefront_size: 32
    .workgroup_processor_mode: 1
  - .args:
      - .offset:         0
        .size:           4
        .value_kind:     by_value
      - .offset:         4
        .size:           4
        .value_kind:     by_value
      - .offset:         8
        .size:           16
        .value_kind:     by_value
      - .address_space:  global
        .offset:         24
        .size:           8
        .value_kind:     global_buffer
      - .offset:         32
        .size:           4
        .value_kind:     by_value
      - .offset:         40
        .size:           8
        .value_kind:     by_value
      - .address_space:  global
        .offset:         48
        .size:           8
        .value_kind:     global_buffer
      - .offset:         56
        .size:           4
        .value_kind:     by_value
      - .offset:         64
        .size:           8
        .value_kind:     by_value
      - .offset:         72
        .size:           16
        .value_kind:     by_value
      - .address_space:  global
        .offset:         88
        .size:           8
        .value_kind:     global_buffer
      - .offset:         96
        .size:           4
        .value_kind:     by_value
      - .offset:         104
        .size:           8
        .value_kind:     by_value
      - .offset:         112
        .size:           4
        .value_kind:     by_value
    .group_segment_fixed_size: 8192
    .kernarg_segment_align: 8
    .kernarg_segment_size: 116
    .language:       OpenCL C
    .language_version:
      - 2
      - 0
    .max_flat_workgroup_size: 256
    .name:           _ZL41rocblas_syrkx_herkx_small_restrict_kernelIi19rocblas_complex_numIdELi16ELb0ELb0ELc67ELc76EKPKS1_KPS1_EviT_T0_PT6_S7_lSA_S7_lS8_PT7_S7_li
    .private_segment_fixed_size: 0
    .sgpr_count:     24
    .sgpr_spill_count: 0
    .symbol:         _ZL41rocblas_syrkx_herkx_small_restrict_kernelIi19rocblas_complex_numIdELi16ELb0ELb0ELc67ELc76EKPKS1_KPS1_EviT_T0_PT6_S7_lSA_S7_lS8_PT7_S7_li.kd
    .uniform_work_group_size: 1
    .uses_dynamic_stack: false
    .vgpr_count:     46
    .vgpr_spill_count: 0
    .wavefront_size: 32
    .workgroup_processor_mode: 1
  - .args:
      - .offset:         0
        .size:           4
        .value_kind:     by_value
      - .offset:         4
        .size:           4
        .value_kind:     by_value
      - .offset:         8
        .size:           16
        .value_kind:     by_value
      - .address_space:  global
        .offset:         24
        .size:           8
        .value_kind:     global_buffer
      - .offset:         32
        .size:           4
        .value_kind:     by_value
      - .offset:         40
        .size:           8
        .value_kind:     by_value
      - .address_space:  global
        .offset:         48
        .size:           8
        .value_kind:     global_buffer
      - .offset:         56
        .size:           4
        .value_kind:     by_value
      - .offset:         64
        .size:           8
        .value_kind:     by_value
      - .offset:         72
        .size:           16
        .value_kind:     by_value
      - .address_space:  global
        .offset:         88
        .size:           8
        .value_kind:     global_buffer
      - .offset:         96
        .size:           4
        .value_kind:     by_value
      - .offset:         104
        .size:           8
        .value_kind:     by_value
      - .offset:         112
        .size:           4
        .value_kind:     by_value
    .group_segment_fixed_size: 8192
    .kernarg_segment_align: 8
    .kernarg_segment_size: 116
    .language:       OpenCL C
    .language_version:
      - 2
      - 0
    .max_flat_workgroup_size: 256
    .name:           _ZL41rocblas_syrkx_herkx_small_restrict_kernelIi19rocblas_complex_numIdELi16ELb0ELb0ELc78ELc76EKPKS1_KPS1_EviT_T0_PT6_S7_lSA_S7_lS8_PT7_S7_li
    .private_segment_fixed_size: 0
    .sgpr_count:     26
    .sgpr_spill_count: 0
    .symbol:         _ZL41rocblas_syrkx_herkx_small_restrict_kernelIi19rocblas_complex_numIdELi16ELb0ELb0ELc78ELc76EKPKS1_KPS1_EviT_T0_PT6_S7_lSA_S7_lS8_PT7_S7_li.kd
    .uniform_work_group_size: 1
    .uses_dynamic_stack: false
    .vgpr_count:     47
    .vgpr_spill_count: 0
    .wavefront_size: 32
    .workgroup_processor_mode: 1
  - .args:
      - .offset:         0
        .size:           4
        .value_kind:     by_value
      - .offset:         4
        .size:           4
        .value_kind:     by_value
      - .offset:         8
        .size:           16
        .value_kind:     by_value
      - .address_space:  global
        .offset:         24
        .size:           8
        .value_kind:     global_buffer
      - .offset:         32
        .size:           4
        .value_kind:     by_value
      - .offset:         40
        .size:           8
        .value_kind:     by_value
      - .address_space:  global
        .offset:         48
        .size:           8
        .value_kind:     global_buffer
      - .offset:         56
        .size:           4
        .value_kind:     by_value
      - .offset:         64
        .size:           8
        .value_kind:     by_value
      - .offset:         72
        .size:           16
        .value_kind:     by_value
      - .address_space:  global
        .offset:         88
        .size:           8
        .value_kind:     global_buffer
      - .offset:         96
        .size:           4
        .value_kind:     by_value
      - .offset:         104
        .size:           8
        .value_kind:     by_value
      - .offset:         112
        .size:           4
        .value_kind:     by_value
    .group_segment_fixed_size: 8192
    .kernarg_segment_align: 8
    .kernarg_segment_size: 116
    .language:       OpenCL C
    .language_version:
      - 2
      - 0
    .max_flat_workgroup_size: 256
    .name:           _ZL41rocblas_syrkx_herkx_small_restrict_kernelIi19rocblas_complex_numIdELi16ELb0ELb0ELc84ELc85EKPKS1_KPS1_EviT_T0_PT6_S7_lSA_S7_lS8_PT7_S7_li
    .private_segment_fixed_size: 0
    .sgpr_count:     24
    .sgpr_spill_count: 0
    .symbol:         _ZL41rocblas_syrkx_herkx_small_restrict_kernelIi19rocblas_complex_numIdELi16ELb0ELb0ELc84ELc85EKPKS1_KPS1_EviT_T0_PT6_S7_lSA_S7_lS8_PT7_S7_li.kd
    .uniform_work_group_size: 1
    .uses_dynamic_stack: false
    .vgpr_count:     46
    .vgpr_spill_count: 0
    .wavefront_size: 32
    .workgroup_processor_mode: 1
  - .args:
      - .offset:         0
        .size:           4
        .value_kind:     by_value
      - .offset:         4
        .size:           4
        .value_kind:     by_value
      - .offset:         8
        .size:           16
        .value_kind:     by_value
      - .address_space:  global
        .offset:         24
        .size:           8
        .value_kind:     global_buffer
      - .offset:         32
        .size:           4
        .value_kind:     by_value
      - .offset:         40
        .size:           8
        .value_kind:     by_value
      - .address_space:  global
        .offset:         48
        .size:           8
        .value_kind:     global_buffer
      - .offset:         56
        .size:           4
        .value_kind:     by_value
      - .offset:         64
        .size:           8
        .value_kind:     by_value
      - .offset:         72
        .size:           16
        .value_kind:     by_value
      - .address_space:  global
        .offset:         88
        .size:           8
        .value_kind:     global_buffer
      - .offset:         96
        .size:           4
        .value_kind:     by_value
      - .offset:         104
        .size:           8
        .value_kind:     by_value
      - .offset:         112
        .size:           4
        .value_kind:     by_value
    .group_segment_fixed_size: 8192
    .kernarg_segment_align: 8
    .kernarg_segment_size: 116
    .language:       OpenCL C
    .language_version:
      - 2
      - 0
    .max_flat_workgroup_size: 256
    .name:           _ZL41rocblas_syrkx_herkx_small_restrict_kernelIi19rocblas_complex_numIdELi16ELb0ELb0ELc67ELc85EKPKS1_KPS1_EviT_T0_PT6_S7_lSA_S7_lS8_PT7_S7_li
    .private_segment_fixed_size: 0
    .sgpr_count:     24
    .sgpr_spill_count: 0
    .symbol:         _ZL41rocblas_syrkx_herkx_small_restrict_kernelIi19rocblas_complex_numIdELi16ELb0ELb0ELc67ELc85EKPKS1_KPS1_EviT_T0_PT6_S7_lSA_S7_lS8_PT7_S7_li.kd
    .uniform_work_group_size: 1
    .uses_dynamic_stack: false
    .vgpr_count:     46
    .vgpr_spill_count: 0
    .wavefront_size: 32
    .workgroup_processor_mode: 1
  - .args:
      - .offset:         0
        .size:           4
        .value_kind:     by_value
      - .offset:         4
        .size:           4
        .value_kind:     by_value
      - .offset:         8
        .size:           16
        .value_kind:     by_value
      - .address_space:  global
        .offset:         24
        .size:           8
        .value_kind:     global_buffer
      - .offset:         32
        .size:           4
        .value_kind:     by_value
      - .offset:         40
        .size:           8
        .value_kind:     by_value
      - .address_space:  global
        .offset:         48
        .size:           8
        .value_kind:     global_buffer
      - .offset:         56
        .size:           4
        .value_kind:     by_value
      - .offset:         64
        .size:           8
        .value_kind:     by_value
      - .offset:         72
        .size:           16
        .value_kind:     by_value
      - .address_space:  global
        .offset:         88
        .size:           8
        .value_kind:     global_buffer
      - .offset:         96
        .size:           4
        .value_kind:     by_value
      - .offset:         104
        .size:           8
        .value_kind:     by_value
      - .offset:         112
        .size:           4
        .value_kind:     by_value
    .group_segment_fixed_size: 8192
    .kernarg_segment_align: 8
    .kernarg_segment_size: 116
    .language:       OpenCL C
    .language_version:
      - 2
      - 0
    .max_flat_workgroup_size: 256
    .name:           _ZL41rocblas_syrkx_herkx_small_restrict_kernelIi19rocblas_complex_numIdELi16ELb0ELb0ELc78ELc85EKPKS1_KPS1_EviT_T0_PT6_S7_lSA_S7_lS8_PT7_S7_li
    .private_segment_fixed_size: 0
    .sgpr_count:     26
    .sgpr_spill_count: 0
    .symbol:         _ZL41rocblas_syrkx_herkx_small_restrict_kernelIi19rocblas_complex_numIdELi16ELb0ELb0ELc78ELc85EKPKS1_KPS1_EviT_T0_PT6_S7_lSA_S7_lS8_PT7_S7_li.kd
    .uniform_work_group_size: 1
    .uses_dynamic_stack: false
    .vgpr_count:     47
    .vgpr_spill_count: 0
    .wavefront_size: 32
    .workgroup_processor_mode: 1
  - .args:
      - .offset:         0
        .size:           4
        .value_kind:     by_value
      - .offset:         4
        .size:           4
        .value_kind:     by_value
      - .offset:         8
        .size:           16
        .value_kind:     by_value
      - .address_space:  global
        .offset:         24
        .size:           8
        .value_kind:     global_buffer
      - .offset:         32
        .size:           4
        .value_kind:     by_value
      - .offset:         40
        .size:           8
        .value_kind:     by_value
      - .address_space:  global
        .offset:         48
        .size:           8
        .value_kind:     global_buffer
      - .offset:         56
        .size:           4
        .value_kind:     by_value
      - .offset:         64
        .size:           8
        .value_kind:     by_value
      - .offset:         72
        .size:           16
        .value_kind:     by_value
      - .address_space:  global
        .offset:         88
        .size:           8
        .value_kind:     global_buffer
      - .offset:         96
        .size:           4
        .value_kind:     by_value
      - .offset:         104
        .size:           8
        .value_kind:     by_value
      - .offset:         112
        .size:           4
        .value_kind:     by_value
    .group_segment_fixed_size: 8192
    .kernarg_segment_align: 8
    .kernarg_segment_size: 116
    .language:       OpenCL C
    .language_version:
      - 2
      - 0
    .max_flat_workgroup_size: 256
    .name:           _ZL32rocblas_syrkx_herkx_small_kernelIi19rocblas_complex_numIdELi16ELb1ELb0ELc84ELc76EKPKS1_KPS1_EviT_T0_PT6_S7_lSA_S7_lS8_PT7_S7_li
    .private_segment_fixed_size: 0
    .sgpr_count:     24
    .sgpr_spill_count: 0
    .symbol:         _ZL32rocblas_syrkx_herkx_small_kernelIi19rocblas_complex_numIdELi16ELb1ELb0ELc84ELc76EKPKS1_KPS1_EviT_T0_PT6_S7_lSA_S7_lS8_PT7_S7_li.kd
    .uniform_work_group_size: 1
    .uses_dynamic_stack: false
    .vgpr_count:     50
    .vgpr_spill_count: 0
    .wavefront_size: 32
    .workgroup_processor_mode: 1
  - .args:
      - .offset:         0
        .size:           4
        .value_kind:     by_value
      - .offset:         4
        .size:           4
        .value_kind:     by_value
      - .offset:         8
        .size:           16
        .value_kind:     by_value
      - .address_space:  global
        .offset:         24
        .size:           8
        .value_kind:     global_buffer
      - .offset:         32
        .size:           4
        .value_kind:     by_value
      - .offset:         40
        .size:           8
        .value_kind:     by_value
      - .address_space:  global
        .offset:         48
        .size:           8
        .value_kind:     global_buffer
      - .offset:         56
        .size:           4
        .value_kind:     by_value
      - .offset:         64
        .size:           8
        .value_kind:     by_value
      - .offset:         72
        .size:           16
        .value_kind:     by_value
      - .address_space:  global
        .offset:         88
        .size:           8
        .value_kind:     global_buffer
      - .offset:         96
        .size:           4
        .value_kind:     by_value
      - .offset:         104
        .size:           8
        .value_kind:     by_value
      - .offset:         112
        .size:           4
        .value_kind:     by_value
    .group_segment_fixed_size: 8192
    .kernarg_segment_align: 8
    .kernarg_segment_size: 116
    .language:       OpenCL C
    .language_version:
      - 2
      - 0
    .max_flat_workgroup_size: 256
    .name:           _ZL32rocblas_syrkx_herkx_small_kernelIi19rocblas_complex_numIdELi16ELb1ELb0ELc67ELc76EKPKS1_KPS1_EviT_T0_PT6_S7_lSA_S7_lS8_PT7_S7_li
    .private_segment_fixed_size: 0
    .sgpr_count:     24
    .sgpr_spill_count: 0
    .symbol:         _ZL32rocblas_syrkx_herkx_small_kernelIi19rocblas_complex_numIdELi16ELb1ELb0ELc67ELc76EKPKS1_KPS1_EviT_T0_PT6_S7_lSA_S7_lS8_PT7_S7_li.kd
    .uniform_work_group_size: 1
    .uses_dynamic_stack: false
    .vgpr_count:     51
    .vgpr_spill_count: 0
    .wavefront_size: 32
    .workgroup_processor_mode: 1
  - .args:
      - .offset:         0
        .size:           4
        .value_kind:     by_value
      - .offset:         4
        .size:           4
        .value_kind:     by_value
      - .offset:         8
        .size:           16
        .value_kind:     by_value
      - .address_space:  global
        .offset:         24
        .size:           8
        .value_kind:     global_buffer
      - .offset:         32
        .size:           4
        .value_kind:     by_value
      - .offset:         40
        .size:           8
        .value_kind:     by_value
      - .address_space:  global
        .offset:         48
        .size:           8
        .value_kind:     global_buffer
      - .offset:         56
        .size:           4
        .value_kind:     by_value
      - .offset:         64
        .size:           8
        .value_kind:     by_value
      - .offset:         72
        .size:           16
        .value_kind:     by_value
      - .address_space:  global
        .offset:         88
        .size:           8
        .value_kind:     global_buffer
      - .offset:         96
        .size:           4
        .value_kind:     by_value
      - .offset:         104
        .size:           8
        .value_kind:     by_value
      - .offset:         112
        .size:           4
        .value_kind:     by_value
    .group_segment_fixed_size: 8192
    .kernarg_segment_align: 8
    .kernarg_segment_size: 116
    .language:       OpenCL C
    .language_version:
      - 2
      - 0
    .max_flat_workgroup_size: 256
    .name:           _ZL32rocblas_syrkx_herkx_small_kernelIi19rocblas_complex_numIdELi16ELb1ELb0ELc78ELc76EKPKS1_KPS1_EviT_T0_PT6_S7_lSA_S7_lS8_PT7_S7_li
    .private_segment_fixed_size: 0
    .sgpr_count:     26
    .sgpr_spill_count: 0
    .symbol:         _ZL32rocblas_syrkx_herkx_small_kernelIi19rocblas_complex_numIdELi16ELb1ELb0ELc78ELc76EKPKS1_KPS1_EviT_T0_PT6_S7_lSA_S7_lS8_PT7_S7_li.kd
    .uniform_work_group_size: 1
    .uses_dynamic_stack: false
    .vgpr_count:     50
    .vgpr_spill_count: 0
    .wavefront_size: 32
    .workgroup_processor_mode: 1
  - .args:
      - .offset:         0
        .size:           4
        .value_kind:     by_value
      - .offset:         4
        .size:           4
        .value_kind:     by_value
      - .offset:         8
        .size:           16
        .value_kind:     by_value
      - .address_space:  global
        .offset:         24
        .size:           8
        .value_kind:     global_buffer
      - .offset:         32
        .size:           4
        .value_kind:     by_value
      - .offset:         40
        .size:           8
        .value_kind:     by_value
      - .address_space:  global
        .offset:         48
        .size:           8
        .value_kind:     global_buffer
      - .offset:         56
        .size:           4
        .value_kind:     by_value
      - .offset:         64
        .size:           8
        .value_kind:     by_value
      - .offset:         72
        .size:           16
        .value_kind:     by_value
      - .address_space:  global
        .offset:         88
        .size:           8
        .value_kind:     global_buffer
      - .offset:         96
        .size:           4
        .value_kind:     by_value
      - .offset:         104
        .size:           8
        .value_kind:     by_value
      - .offset:         112
        .size:           4
        .value_kind:     by_value
    .group_segment_fixed_size: 8192
    .kernarg_segment_align: 8
    .kernarg_segment_size: 116
    .language:       OpenCL C
    .language_version:
      - 2
      - 0
    .max_flat_workgroup_size: 256
    .name:           _ZL32rocblas_syrkx_herkx_small_kernelIi19rocblas_complex_numIdELi16ELb1ELb0ELc84ELc85EKPKS1_KPS1_EviT_T0_PT6_S7_lSA_S7_lS8_PT7_S7_li
    .private_segment_fixed_size: 0
    .sgpr_count:     24
    .sgpr_spill_count: 0
    .symbol:         _ZL32rocblas_syrkx_herkx_small_kernelIi19rocblas_complex_numIdELi16ELb1ELb0ELc84ELc85EKPKS1_KPS1_EviT_T0_PT6_S7_lSA_S7_lS8_PT7_S7_li.kd
    .uniform_work_group_size: 1
    .uses_dynamic_stack: false
    .vgpr_count:     50
    .vgpr_spill_count: 0
    .wavefront_size: 32
    .workgroup_processor_mode: 1
  - .args:
      - .offset:         0
        .size:           4
        .value_kind:     by_value
      - .offset:         4
        .size:           4
        .value_kind:     by_value
      - .offset:         8
        .size:           16
        .value_kind:     by_value
      - .address_space:  global
        .offset:         24
        .size:           8
        .value_kind:     global_buffer
      - .offset:         32
        .size:           4
        .value_kind:     by_value
      - .offset:         40
        .size:           8
        .value_kind:     by_value
      - .address_space:  global
        .offset:         48
        .size:           8
        .value_kind:     global_buffer
      - .offset:         56
        .size:           4
        .value_kind:     by_value
      - .offset:         64
        .size:           8
        .value_kind:     by_value
      - .offset:         72
        .size:           16
        .value_kind:     by_value
      - .address_space:  global
        .offset:         88
        .size:           8
        .value_kind:     global_buffer
      - .offset:         96
        .size:           4
        .value_kind:     by_value
      - .offset:         104
        .size:           8
        .value_kind:     by_value
      - .offset:         112
        .size:           4
        .value_kind:     by_value
    .group_segment_fixed_size: 8192
    .kernarg_segment_align: 8
    .kernarg_segment_size: 116
    .language:       OpenCL C
    .language_version:
      - 2
      - 0
    .max_flat_workgroup_size: 256
    .name:           _ZL32rocblas_syrkx_herkx_small_kernelIi19rocblas_complex_numIdELi16ELb1ELb0ELc67ELc85EKPKS1_KPS1_EviT_T0_PT6_S7_lSA_S7_lS8_PT7_S7_li
    .private_segment_fixed_size: 0
    .sgpr_count:     24
    .sgpr_spill_count: 0
    .symbol:         _ZL32rocblas_syrkx_herkx_small_kernelIi19rocblas_complex_numIdELi16ELb1ELb0ELc67ELc85EKPKS1_KPS1_EviT_T0_PT6_S7_lSA_S7_lS8_PT7_S7_li.kd
    .uniform_work_group_size: 1
    .uses_dynamic_stack: false
    .vgpr_count:     51
    .vgpr_spill_count: 0
    .wavefront_size: 32
    .workgroup_processor_mode: 1
  - .args:
      - .offset:         0
        .size:           4
        .value_kind:     by_value
      - .offset:         4
        .size:           4
        .value_kind:     by_value
      - .offset:         8
        .size:           16
        .value_kind:     by_value
      - .address_space:  global
        .offset:         24
        .size:           8
        .value_kind:     global_buffer
      - .offset:         32
        .size:           4
        .value_kind:     by_value
      - .offset:         40
        .size:           8
        .value_kind:     by_value
      - .address_space:  global
        .offset:         48
        .size:           8
        .value_kind:     global_buffer
      - .offset:         56
        .size:           4
        .value_kind:     by_value
      - .offset:         64
        .size:           8
        .value_kind:     by_value
      - .offset:         72
        .size:           16
        .value_kind:     by_value
      - .address_space:  global
        .offset:         88
        .size:           8
        .value_kind:     global_buffer
      - .offset:         96
        .size:           4
        .value_kind:     by_value
      - .offset:         104
        .size:           8
        .value_kind:     by_value
      - .offset:         112
        .size:           4
        .value_kind:     by_value
    .group_segment_fixed_size: 8192
    .kernarg_segment_align: 8
    .kernarg_segment_size: 116
    .language:       OpenCL C
    .language_version:
      - 2
      - 0
    .max_flat_workgroup_size: 256
    .name:           _ZL32rocblas_syrkx_herkx_small_kernelIi19rocblas_complex_numIdELi16ELb1ELb0ELc78ELc85EKPKS1_KPS1_EviT_T0_PT6_S7_lSA_S7_lS8_PT7_S7_li
    .private_segment_fixed_size: 0
    .sgpr_count:     26
    .sgpr_spill_count: 0
    .symbol:         _ZL32rocblas_syrkx_herkx_small_kernelIi19rocblas_complex_numIdELi16ELb1ELb0ELc78ELc85EKPKS1_KPS1_EviT_T0_PT6_S7_lSA_S7_lS8_PT7_S7_li.kd
    .uniform_work_group_size: 1
    .uses_dynamic_stack: false
    .vgpr_count:     50
    .vgpr_spill_count: 0
    .wavefront_size: 32
    .workgroup_processor_mode: 1
  - .args:
      - .offset:         0
        .size:           4
        .value_kind:     by_value
      - .offset:         4
        .size:           4
        .value_kind:     by_value
      - .offset:         8
        .size:           16
        .value_kind:     by_value
      - .address_space:  global
        .offset:         24
        .size:           8
        .value_kind:     global_buffer
      - .offset:         32
        .size:           4
        .value_kind:     by_value
      - .offset:         40
        .size:           8
        .value_kind:     by_value
      - .address_space:  global
        .offset:         48
        .size:           8
        .value_kind:     global_buffer
      - .offset:         56
        .size:           4
        .value_kind:     by_value
      - .offset:         64
        .size:           8
        .value_kind:     by_value
      - .offset:         72
        .size:           16
        .value_kind:     by_value
      - .address_space:  global
        .offset:         88
        .size:           8
        .value_kind:     global_buffer
      - .offset:         96
        .size:           4
        .value_kind:     by_value
      - .offset:         104
        .size:           8
        .value_kind:     by_value
      - .offset:         112
        .size:           4
        .value_kind:     by_value
    .group_segment_fixed_size: 8192
    .kernarg_segment_align: 8
    .kernarg_segment_size: 116
    .language:       OpenCL C
    .language_version:
      - 2
      - 0
    .max_flat_workgroup_size: 256
    .name:           _ZL32rocblas_syrkx_herkx_small_kernelIi19rocblas_complex_numIdELi16ELb0ELb0ELc84ELc76EKPKS1_KPS1_EviT_T0_PT6_S7_lSA_S7_lS8_PT7_S7_li
    .private_segment_fixed_size: 0
    .sgpr_count:     28
    .sgpr_spill_count: 0
    .symbol:         _ZL32rocblas_syrkx_herkx_small_kernelIi19rocblas_complex_numIdELi16ELb0ELb0ELc84ELc76EKPKS1_KPS1_EviT_T0_PT6_S7_lSA_S7_lS8_PT7_S7_li.kd
    .uniform_work_group_size: 1
    .uses_dynamic_stack: false
    .vgpr_count:     50
    .vgpr_spill_count: 0
    .wavefront_size: 32
    .workgroup_processor_mode: 1
  - .args:
      - .offset:         0
        .size:           4
        .value_kind:     by_value
      - .offset:         4
        .size:           4
        .value_kind:     by_value
      - .offset:         8
        .size:           16
        .value_kind:     by_value
      - .address_space:  global
        .offset:         24
        .size:           8
        .value_kind:     global_buffer
      - .offset:         32
        .size:           4
        .value_kind:     by_value
      - .offset:         40
        .size:           8
        .value_kind:     by_value
      - .address_space:  global
        .offset:         48
        .size:           8
        .value_kind:     global_buffer
      - .offset:         56
        .size:           4
        .value_kind:     by_value
      - .offset:         64
        .size:           8
        .value_kind:     by_value
      - .offset:         72
        .size:           16
        .value_kind:     by_value
      - .address_space:  global
        .offset:         88
        .size:           8
        .value_kind:     global_buffer
      - .offset:         96
        .size:           4
        .value_kind:     by_value
      - .offset:         104
        .size:           8
        .value_kind:     by_value
      - .offset:         112
        .size:           4
        .value_kind:     by_value
    .group_segment_fixed_size: 8192
    .kernarg_segment_align: 8
    .kernarg_segment_size: 116
    .language:       OpenCL C
    .language_version:
      - 2
      - 0
    .max_flat_workgroup_size: 256
    .name:           _ZL32rocblas_syrkx_herkx_small_kernelIi19rocblas_complex_numIdELi16ELb0ELb0ELc67ELc76EKPKS1_KPS1_EviT_T0_PT6_S7_lSA_S7_lS8_PT7_S7_li
    .private_segment_fixed_size: 0
    .sgpr_count:     28
    .sgpr_spill_count: 0
    .symbol:         _ZL32rocblas_syrkx_herkx_small_kernelIi19rocblas_complex_numIdELi16ELb0ELb0ELc67ELc76EKPKS1_KPS1_EviT_T0_PT6_S7_lSA_S7_lS8_PT7_S7_li.kd
    .uniform_work_group_size: 1
    .uses_dynamic_stack: false
    .vgpr_count:     51
    .vgpr_spill_count: 0
    .wavefront_size: 32
    .workgroup_processor_mode: 1
  - .args:
      - .offset:         0
        .size:           4
        .value_kind:     by_value
      - .offset:         4
        .size:           4
        .value_kind:     by_value
      - .offset:         8
        .size:           16
        .value_kind:     by_value
      - .address_space:  global
        .offset:         24
        .size:           8
        .value_kind:     global_buffer
      - .offset:         32
        .size:           4
        .value_kind:     by_value
      - .offset:         40
        .size:           8
        .value_kind:     by_value
      - .address_space:  global
        .offset:         48
        .size:           8
        .value_kind:     global_buffer
      - .offset:         56
        .size:           4
        .value_kind:     by_value
      - .offset:         64
        .size:           8
        .value_kind:     by_value
      - .offset:         72
        .size:           16
        .value_kind:     by_value
      - .address_space:  global
        .offset:         88
        .size:           8
        .value_kind:     global_buffer
      - .offset:         96
        .size:           4
        .value_kind:     by_value
      - .offset:         104
        .size:           8
        .value_kind:     by_value
      - .offset:         112
        .size:           4
        .value_kind:     by_value
    .group_segment_fixed_size: 8192
    .kernarg_segment_align: 8
    .kernarg_segment_size: 116
    .language:       OpenCL C
    .language_version:
      - 2
      - 0
    .max_flat_workgroup_size: 256
    .name:           _ZL32rocblas_syrkx_herkx_small_kernelIi19rocblas_complex_numIdELi16ELb0ELb0ELc78ELc76EKPKS1_KPS1_EviT_T0_PT6_S7_lSA_S7_lS8_PT7_S7_li
    .private_segment_fixed_size: 0
    .sgpr_count:     30
    .sgpr_spill_count: 0
    .symbol:         _ZL32rocblas_syrkx_herkx_small_kernelIi19rocblas_complex_numIdELi16ELb0ELb0ELc78ELc76EKPKS1_KPS1_EviT_T0_PT6_S7_lSA_S7_lS8_PT7_S7_li.kd
    .uniform_work_group_size: 1
    .uses_dynamic_stack: false
    .vgpr_count:     50
    .vgpr_spill_count: 0
    .wavefront_size: 32
    .workgroup_processor_mode: 1
  - .args:
      - .offset:         0
        .size:           4
        .value_kind:     by_value
      - .offset:         4
        .size:           4
        .value_kind:     by_value
      - .offset:         8
        .size:           16
        .value_kind:     by_value
      - .address_space:  global
        .offset:         24
        .size:           8
        .value_kind:     global_buffer
      - .offset:         32
        .size:           4
        .value_kind:     by_value
      - .offset:         40
        .size:           8
        .value_kind:     by_value
      - .address_space:  global
        .offset:         48
        .size:           8
        .value_kind:     global_buffer
      - .offset:         56
        .size:           4
        .value_kind:     by_value
      - .offset:         64
        .size:           8
        .value_kind:     by_value
      - .offset:         72
        .size:           16
        .value_kind:     by_value
      - .address_space:  global
        .offset:         88
        .size:           8
        .value_kind:     global_buffer
      - .offset:         96
        .size:           4
        .value_kind:     by_value
      - .offset:         104
        .size:           8
        .value_kind:     by_value
      - .offset:         112
        .size:           4
        .value_kind:     by_value
    .group_segment_fixed_size: 8192
    .kernarg_segment_align: 8
    .kernarg_segment_size: 116
    .language:       OpenCL C
    .language_version:
      - 2
      - 0
    .max_flat_workgroup_size: 256
    .name:           _ZL32rocblas_syrkx_herkx_small_kernelIi19rocblas_complex_numIdELi16ELb0ELb0ELc84ELc85EKPKS1_KPS1_EviT_T0_PT6_S7_lSA_S7_lS8_PT7_S7_li
    .private_segment_fixed_size: 0
    .sgpr_count:     28
    .sgpr_spill_count: 0
    .symbol:         _ZL32rocblas_syrkx_herkx_small_kernelIi19rocblas_complex_numIdELi16ELb0ELb0ELc84ELc85EKPKS1_KPS1_EviT_T0_PT6_S7_lSA_S7_lS8_PT7_S7_li.kd
    .uniform_work_group_size: 1
    .uses_dynamic_stack: false
    .vgpr_count:     50
    .vgpr_spill_count: 0
    .wavefront_size: 32
    .workgroup_processor_mode: 1
  - .args:
      - .offset:         0
        .size:           4
        .value_kind:     by_value
      - .offset:         4
        .size:           4
        .value_kind:     by_value
      - .offset:         8
        .size:           16
        .value_kind:     by_value
      - .address_space:  global
        .offset:         24
        .size:           8
        .value_kind:     global_buffer
      - .offset:         32
        .size:           4
        .value_kind:     by_value
      - .offset:         40
        .size:           8
        .value_kind:     by_value
      - .address_space:  global
        .offset:         48
        .size:           8
        .value_kind:     global_buffer
      - .offset:         56
        .size:           4
        .value_kind:     by_value
      - .offset:         64
        .size:           8
        .value_kind:     by_value
      - .offset:         72
        .size:           16
        .value_kind:     by_value
      - .address_space:  global
        .offset:         88
        .size:           8
        .value_kind:     global_buffer
      - .offset:         96
        .size:           4
        .value_kind:     by_value
      - .offset:         104
        .size:           8
        .value_kind:     by_value
      - .offset:         112
        .size:           4
        .value_kind:     by_value
    .group_segment_fixed_size: 8192
    .kernarg_segment_align: 8
    .kernarg_segment_size: 116
    .language:       OpenCL C
    .language_version:
      - 2
      - 0
    .max_flat_workgroup_size: 256
    .name:           _ZL32rocblas_syrkx_herkx_small_kernelIi19rocblas_complex_numIdELi16ELb0ELb0ELc67ELc85EKPKS1_KPS1_EviT_T0_PT6_S7_lSA_S7_lS8_PT7_S7_li
    .private_segment_fixed_size: 0
    .sgpr_count:     28
    .sgpr_spill_count: 0
    .symbol:         _ZL32rocblas_syrkx_herkx_small_kernelIi19rocblas_complex_numIdELi16ELb0ELb0ELc67ELc85EKPKS1_KPS1_EviT_T0_PT6_S7_lSA_S7_lS8_PT7_S7_li.kd
    .uniform_work_group_size: 1
    .uses_dynamic_stack: false
    .vgpr_count:     51
    .vgpr_spill_count: 0
    .wavefront_size: 32
    .workgroup_processor_mode: 1
  - .args:
      - .offset:         0
        .size:           4
        .value_kind:     by_value
      - .offset:         4
        .size:           4
        .value_kind:     by_value
      - .offset:         8
        .size:           16
        .value_kind:     by_value
      - .address_space:  global
        .offset:         24
        .size:           8
        .value_kind:     global_buffer
      - .offset:         32
        .size:           4
        .value_kind:     by_value
      - .offset:         40
        .size:           8
        .value_kind:     by_value
      - .address_space:  global
        .offset:         48
        .size:           8
        .value_kind:     global_buffer
      - .offset:         56
        .size:           4
        .value_kind:     by_value
      - .offset:         64
        .size:           8
        .value_kind:     by_value
      - .offset:         72
        .size:           16
        .value_kind:     by_value
      - .address_space:  global
        .offset:         88
        .size:           8
        .value_kind:     global_buffer
      - .offset:         96
        .size:           4
        .value_kind:     by_value
      - .offset:         104
        .size:           8
        .value_kind:     by_value
      - .offset:         112
        .size:           4
        .value_kind:     by_value
    .group_segment_fixed_size: 8192
    .kernarg_segment_align: 8
    .kernarg_segment_size: 116
    .language:       OpenCL C
    .language_version:
      - 2
      - 0
    .max_flat_workgroup_size: 256
    .name:           _ZL32rocblas_syrkx_herkx_small_kernelIi19rocblas_complex_numIdELi16ELb0ELb0ELc78ELc85EKPKS1_KPS1_EviT_T0_PT6_S7_lSA_S7_lS8_PT7_S7_li
    .private_segment_fixed_size: 0
    .sgpr_count:     30
    .sgpr_spill_count: 0
    .symbol:         _ZL32rocblas_syrkx_herkx_small_kernelIi19rocblas_complex_numIdELi16ELb0ELb0ELc78ELc85EKPKS1_KPS1_EviT_T0_PT6_S7_lSA_S7_lS8_PT7_S7_li.kd
    .uniform_work_group_size: 1
    .uses_dynamic_stack: false
    .vgpr_count:     50
    .vgpr_spill_count: 0
    .wavefront_size: 32
    .workgroup_processor_mode: 1
  - .args:
      - .offset:         0
        .size:           4
        .value_kind:     by_value
      - .offset:         4
        .size:           4
        .value_kind:     by_value
      - .offset:         8
        .size:           16
        .value_kind:     by_value
      - .address_space:  global
        .offset:         24
        .size:           8
        .value_kind:     global_buffer
      - .offset:         32
        .size:           4
        .value_kind:     by_value
      - .offset:         40
        .size:           8
        .value_kind:     by_value
      - .address_space:  global
        .offset:         48
        .size:           8
        .value_kind:     global_buffer
      - .offset:         56
        .size:           4
        .value_kind:     by_value
      - .offset:         64
        .size:           8
        .value_kind:     by_value
      - .offset:         72
        .size:           16
        .value_kind:     by_value
      - .address_space:  global
        .offset:         88
        .size:           8
        .value_kind:     global_buffer
      - .offset:         96
        .size:           4
        .value_kind:     by_value
      - .offset:         104
        .size:           8
        .value_kind:     by_value
      - .offset:         112
        .size:           4
        .value_kind:     by_value
    .group_segment_fixed_size: 8192
    .kernarg_segment_align: 8
    .kernarg_segment_size: 116
    .language:       OpenCL C
    .language_version:
      - 2
      - 0
    .max_flat_workgroup_size: 256
    .name:           _ZL34rocblas_syrkx_herkx_general_kernelIi19rocblas_complex_numIdELi16ELi32ELi8ELb1ELb0ELc84ELc76EKPKS1_KPS1_EviT_T0_PT8_S7_lSA_S7_lS8_PT9_S7_li
    .private_segment_fixed_size: 0
    .sgpr_count:     23
    .sgpr_spill_count: 0
    .symbol:         _ZL34rocblas_syrkx_herkx_general_kernelIi19rocblas_complex_numIdELi16ELi32ELi8ELb1ELb0ELc84ELc76EKPKS1_KPS1_EviT_T0_PT8_S7_lSA_S7_lS8_PT9_S7_li.kd
    .uniform_work_group_size: 1
    .uses_dynamic_stack: false
    .vgpr_count:     120
    .vgpr_spill_count: 0
    .wavefront_size: 32
    .workgroup_processor_mode: 1
  - .args:
      - .offset:         0
        .size:           4
        .value_kind:     by_value
      - .offset:         4
        .size:           4
        .value_kind:     by_value
      - .offset:         8
        .size:           16
        .value_kind:     by_value
      - .address_space:  global
        .offset:         24
        .size:           8
        .value_kind:     global_buffer
      - .offset:         32
        .size:           4
        .value_kind:     by_value
      - .offset:         40
        .size:           8
        .value_kind:     by_value
      - .address_space:  global
        .offset:         48
        .size:           8
        .value_kind:     global_buffer
      - .offset:         56
        .size:           4
        .value_kind:     by_value
      - .offset:         64
        .size:           8
        .value_kind:     by_value
      - .offset:         72
        .size:           16
        .value_kind:     by_value
      - .address_space:  global
        .offset:         88
        .size:           8
        .value_kind:     global_buffer
      - .offset:         96
        .size:           4
        .value_kind:     by_value
      - .offset:         104
        .size:           8
        .value_kind:     by_value
      - .offset:         112
        .size:           4
        .value_kind:     by_value
    .group_segment_fixed_size: 8192
    .kernarg_segment_align: 8
    .kernarg_segment_size: 116
    .language:       OpenCL C
    .language_version:
      - 2
      - 0
    .max_flat_workgroup_size: 256
    .name:           _ZL34rocblas_syrkx_herkx_general_kernelIi19rocblas_complex_numIdELi16ELi32ELi8ELb1ELb0ELc67ELc76EKPKS1_KPS1_EviT_T0_PT8_S7_lSA_S7_lS8_PT9_S7_li
    .private_segment_fixed_size: 0
    .sgpr_count:     23
    .sgpr_spill_count: 0
    .symbol:         _ZL34rocblas_syrkx_herkx_general_kernelIi19rocblas_complex_numIdELi16ELi32ELi8ELb1ELb0ELc67ELc76EKPKS1_KPS1_EviT_T0_PT8_S7_lSA_S7_lS8_PT9_S7_li.kd
    .uniform_work_group_size: 1
    .uses_dynamic_stack: false
    .vgpr_count:     121
    .vgpr_spill_count: 0
    .wavefront_size: 32
    .workgroup_processor_mode: 1
  - .args:
      - .offset:         0
        .size:           4
        .value_kind:     by_value
      - .offset:         4
        .size:           4
        .value_kind:     by_value
      - .offset:         8
        .size:           16
        .value_kind:     by_value
      - .address_space:  global
        .offset:         24
        .size:           8
        .value_kind:     global_buffer
      - .offset:         32
        .size:           4
        .value_kind:     by_value
      - .offset:         40
        .size:           8
        .value_kind:     by_value
      - .address_space:  global
        .offset:         48
        .size:           8
        .value_kind:     global_buffer
      - .offset:         56
        .size:           4
        .value_kind:     by_value
      - .offset:         64
        .size:           8
        .value_kind:     by_value
      - .offset:         72
        .size:           16
        .value_kind:     by_value
      - .address_space:  global
        .offset:         88
        .size:           8
        .value_kind:     global_buffer
      - .offset:         96
        .size:           4
        .value_kind:     by_value
      - .offset:         104
        .size:           8
        .value_kind:     by_value
      - .offset:         112
        .size:           4
        .value_kind:     by_value
    .group_segment_fixed_size: 8192
    .kernarg_segment_align: 8
    .kernarg_segment_size: 116
    .language:       OpenCL C
    .language_version:
      - 2
      - 0
    .max_flat_workgroup_size: 256
    .name:           _ZL34rocblas_syrkx_herkx_general_kernelIi19rocblas_complex_numIdELi16ELi32ELi8ELb1ELb0ELc78ELc76EKPKS1_KPS1_EviT_T0_PT8_S7_lSA_S7_lS8_PT9_S7_li
    .private_segment_fixed_size: 0
    .sgpr_count:     28
    .sgpr_spill_count: 0
    .symbol:         _ZL34rocblas_syrkx_herkx_general_kernelIi19rocblas_complex_numIdELi16ELi32ELi8ELb1ELb0ELc78ELc76EKPKS1_KPS1_EviT_T0_PT8_S7_lSA_S7_lS8_PT9_S7_li.kd
    .uniform_work_group_size: 1
    .uses_dynamic_stack: false
    .vgpr_count:     119
    .vgpr_spill_count: 0
    .wavefront_size: 32
    .workgroup_processor_mode: 1
  - .args:
      - .offset:         0
        .size:           4
        .value_kind:     by_value
      - .offset:         4
        .size:           4
        .value_kind:     by_value
      - .offset:         8
        .size:           16
        .value_kind:     by_value
      - .address_space:  global
        .offset:         24
        .size:           8
        .value_kind:     global_buffer
      - .offset:         32
        .size:           4
        .value_kind:     by_value
      - .offset:         40
        .size:           8
        .value_kind:     by_value
      - .address_space:  global
        .offset:         48
        .size:           8
        .value_kind:     global_buffer
      - .offset:         56
        .size:           4
        .value_kind:     by_value
      - .offset:         64
        .size:           8
        .value_kind:     by_value
      - .offset:         72
        .size:           16
        .value_kind:     by_value
      - .address_space:  global
        .offset:         88
        .size:           8
        .value_kind:     global_buffer
      - .offset:         96
        .size:           4
        .value_kind:     by_value
      - .offset:         104
        .size:           8
        .value_kind:     by_value
      - .offset:         112
        .size:           4
        .value_kind:     by_value
    .group_segment_fixed_size: 8192
    .kernarg_segment_align: 8
    .kernarg_segment_size: 116
    .language:       OpenCL C
    .language_version:
      - 2
      - 0
    .max_flat_workgroup_size: 256
    .name:           _ZL34rocblas_syrkx_herkx_general_kernelIi19rocblas_complex_numIdELi16ELi32ELi8ELb1ELb0ELc84ELc85EKPKS1_KPS1_EviT_T0_PT8_S7_lSA_S7_lS8_PT9_S7_li
    .private_segment_fixed_size: 0
    .sgpr_count:     23
    .sgpr_spill_count: 0
    .symbol:         _ZL34rocblas_syrkx_herkx_general_kernelIi19rocblas_complex_numIdELi16ELi32ELi8ELb1ELb0ELc84ELc85EKPKS1_KPS1_EviT_T0_PT8_S7_lSA_S7_lS8_PT9_S7_li.kd
    .uniform_work_group_size: 1
    .uses_dynamic_stack: false
    .vgpr_count:     120
    .vgpr_spill_count: 0
    .wavefront_size: 32
    .workgroup_processor_mode: 1
  - .args:
      - .offset:         0
        .size:           4
        .value_kind:     by_value
      - .offset:         4
        .size:           4
        .value_kind:     by_value
      - .offset:         8
        .size:           16
        .value_kind:     by_value
      - .address_space:  global
        .offset:         24
        .size:           8
        .value_kind:     global_buffer
      - .offset:         32
        .size:           4
        .value_kind:     by_value
      - .offset:         40
        .size:           8
        .value_kind:     by_value
      - .address_space:  global
        .offset:         48
        .size:           8
        .value_kind:     global_buffer
      - .offset:         56
        .size:           4
        .value_kind:     by_value
      - .offset:         64
        .size:           8
        .value_kind:     by_value
      - .offset:         72
        .size:           16
        .value_kind:     by_value
      - .address_space:  global
        .offset:         88
        .size:           8
        .value_kind:     global_buffer
      - .offset:         96
        .size:           4
        .value_kind:     by_value
      - .offset:         104
        .size:           8
        .value_kind:     by_value
      - .offset:         112
        .size:           4
        .value_kind:     by_value
    .group_segment_fixed_size: 8192
    .kernarg_segment_align: 8
    .kernarg_segment_size: 116
    .language:       OpenCL C
    .language_version:
      - 2
      - 0
    .max_flat_workgroup_size: 256
    .name:           _ZL34rocblas_syrkx_herkx_general_kernelIi19rocblas_complex_numIdELi16ELi32ELi8ELb1ELb0ELc67ELc85EKPKS1_KPS1_EviT_T0_PT8_S7_lSA_S7_lS8_PT9_S7_li
    .private_segment_fixed_size: 0
    .sgpr_count:     23
    .sgpr_spill_count: 0
    .symbol:         _ZL34rocblas_syrkx_herkx_general_kernelIi19rocblas_complex_numIdELi16ELi32ELi8ELb1ELb0ELc67ELc85EKPKS1_KPS1_EviT_T0_PT8_S7_lSA_S7_lS8_PT9_S7_li.kd
    .uniform_work_group_size: 1
    .uses_dynamic_stack: false
    .vgpr_count:     121
    .vgpr_spill_count: 0
    .wavefront_size: 32
    .workgroup_processor_mode: 1
  - .args:
      - .offset:         0
        .size:           4
        .value_kind:     by_value
      - .offset:         4
        .size:           4
        .value_kind:     by_value
      - .offset:         8
        .size:           16
        .value_kind:     by_value
      - .address_space:  global
        .offset:         24
        .size:           8
        .value_kind:     global_buffer
      - .offset:         32
        .size:           4
        .value_kind:     by_value
      - .offset:         40
        .size:           8
        .value_kind:     by_value
      - .address_space:  global
        .offset:         48
        .size:           8
        .value_kind:     global_buffer
      - .offset:         56
        .size:           4
        .value_kind:     by_value
      - .offset:         64
        .size:           8
        .value_kind:     by_value
      - .offset:         72
        .size:           16
        .value_kind:     by_value
      - .address_space:  global
        .offset:         88
        .size:           8
        .value_kind:     global_buffer
      - .offset:         96
        .size:           4
        .value_kind:     by_value
      - .offset:         104
        .size:           8
        .value_kind:     by_value
      - .offset:         112
        .size:           4
        .value_kind:     by_value
    .group_segment_fixed_size: 8192
    .kernarg_segment_align: 8
    .kernarg_segment_size: 116
    .language:       OpenCL C
    .language_version:
      - 2
      - 0
    .max_flat_workgroup_size: 256
    .name:           _ZL34rocblas_syrkx_herkx_general_kernelIi19rocblas_complex_numIdELi16ELi32ELi8ELb1ELb0ELc78ELc85EKPKS1_KPS1_EviT_T0_PT8_S7_lSA_S7_lS8_PT9_S7_li
    .private_segment_fixed_size: 0
    .sgpr_count:     28
    .sgpr_spill_count: 0
    .symbol:         _ZL34rocblas_syrkx_herkx_general_kernelIi19rocblas_complex_numIdELi16ELi32ELi8ELb1ELb0ELc78ELc85EKPKS1_KPS1_EviT_T0_PT8_S7_lSA_S7_lS8_PT9_S7_li.kd
    .uniform_work_group_size: 1
    .uses_dynamic_stack: false
    .vgpr_count:     119
    .vgpr_spill_count: 0
    .wavefront_size: 32
    .workgroup_processor_mode: 1
  - .args:
      - .offset:         0
        .size:           4
        .value_kind:     by_value
      - .offset:         4
        .size:           4
        .value_kind:     by_value
      - .offset:         8
        .size:           16
        .value_kind:     by_value
      - .address_space:  global
        .offset:         24
        .size:           8
        .value_kind:     global_buffer
      - .offset:         32
        .size:           4
        .value_kind:     by_value
      - .offset:         40
        .size:           8
        .value_kind:     by_value
      - .address_space:  global
        .offset:         48
        .size:           8
        .value_kind:     global_buffer
      - .offset:         56
        .size:           4
        .value_kind:     by_value
      - .offset:         64
        .size:           8
        .value_kind:     by_value
      - .offset:         72
        .size:           16
        .value_kind:     by_value
      - .address_space:  global
        .offset:         88
        .size:           8
        .value_kind:     global_buffer
      - .offset:         96
        .size:           4
        .value_kind:     by_value
      - .offset:         104
        .size:           8
        .value_kind:     by_value
      - .offset:         112
        .size:           4
        .value_kind:     by_value
    .group_segment_fixed_size: 8192
    .kernarg_segment_align: 8
    .kernarg_segment_size: 116
    .language:       OpenCL C
    .language_version:
      - 2
      - 0
    .max_flat_workgroup_size: 256
    .name:           _ZL34rocblas_syrkx_herkx_general_kernelIi19rocblas_complex_numIdELi16ELi32ELi8ELb0ELb0ELc84ELc76EKPKS1_KPS1_EviT_T0_PT8_S7_lSA_S7_lS8_PT9_S7_li
    .private_segment_fixed_size: 0
    .sgpr_count:     27
    .sgpr_spill_count: 0
    .symbol:         _ZL34rocblas_syrkx_herkx_general_kernelIi19rocblas_complex_numIdELi16ELi32ELi8ELb0ELb0ELc84ELc76EKPKS1_KPS1_EviT_T0_PT8_S7_lSA_S7_lS8_PT9_S7_li.kd
    .uniform_work_group_size: 1
    .uses_dynamic_stack: false
    .vgpr_count:     120
    .vgpr_spill_count: 0
    .wavefront_size: 32
    .workgroup_processor_mode: 1
  - .args:
      - .offset:         0
        .size:           4
        .value_kind:     by_value
      - .offset:         4
        .size:           4
        .value_kind:     by_value
      - .offset:         8
        .size:           16
        .value_kind:     by_value
      - .address_space:  global
        .offset:         24
        .size:           8
        .value_kind:     global_buffer
      - .offset:         32
        .size:           4
        .value_kind:     by_value
      - .offset:         40
        .size:           8
        .value_kind:     by_value
      - .address_space:  global
        .offset:         48
        .size:           8
        .value_kind:     global_buffer
      - .offset:         56
        .size:           4
        .value_kind:     by_value
      - .offset:         64
        .size:           8
        .value_kind:     by_value
      - .offset:         72
        .size:           16
        .value_kind:     by_value
      - .address_space:  global
        .offset:         88
        .size:           8
        .value_kind:     global_buffer
      - .offset:         96
        .size:           4
        .value_kind:     by_value
      - .offset:         104
        .size:           8
        .value_kind:     by_value
      - .offset:         112
        .size:           4
        .value_kind:     by_value
    .group_segment_fixed_size: 8192
    .kernarg_segment_align: 8
    .kernarg_segment_size: 116
    .language:       OpenCL C
    .language_version:
      - 2
      - 0
    .max_flat_workgroup_size: 256
    .name:           _ZL34rocblas_syrkx_herkx_general_kernelIi19rocblas_complex_numIdELi16ELi32ELi8ELb0ELb0ELc67ELc76EKPKS1_KPS1_EviT_T0_PT8_S7_lSA_S7_lS8_PT9_S7_li
    .private_segment_fixed_size: 0
    .sgpr_count:     27
    .sgpr_spill_count: 0
    .symbol:         _ZL34rocblas_syrkx_herkx_general_kernelIi19rocblas_complex_numIdELi16ELi32ELi8ELb0ELb0ELc67ELc76EKPKS1_KPS1_EviT_T0_PT8_S7_lSA_S7_lS8_PT9_S7_li.kd
    .uniform_work_group_size: 1
    .uses_dynamic_stack: false
    .vgpr_count:     121
    .vgpr_spill_count: 0
    .wavefront_size: 32
    .workgroup_processor_mode: 1
  - .args:
      - .offset:         0
        .size:           4
        .value_kind:     by_value
      - .offset:         4
        .size:           4
        .value_kind:     by_value
      - .offset:         8
        .size:           16
        .value_kind:     by_value
      - .address_space:  global
        .offset:         24
        .size:           8
        .value_kind:     global_buffer
      - .offset:         32
        .size:           4
        .value_kind:     by_value
      - .offset:         40
        .size:           8
        .value_kind:     by_value
      - .address_space:  global
        .offset:         48
        .size:           8
        .value_kind:     global_buffer
      - .offset:         56
        .size:           4
        .value_kind:     by_value
      - .offset:         64
        .size:           8
        .value_kind:     by_value
      - .offset:         72
        .size:           16
        .value_kind:     by_value
      - .address_space:  global
        .offset:         88
        .size:           8
        .value_kind:     global_buffer
      - .offset:         96
        .size:           4
        .value_kind:     by_value
      - .offset:         104
        .size:           8
        .value_kind:     by_value
      - .offset:         112
        .size:           4
        .value_kind:     by_value
    .group_segment_fixed_size: 8192
    .kernarg_segment_align: 8
    .kernarg_segment_size: 116
    .language:       OpenCL C
    .language_version:
      - 2
      - 0
    .max_flat_workgroup_size: 256
    .name:           _ZL34rocblas_syrkx_herkx_general_kernelIi19rocblas_complex_numIdELi16ELi32ELi8ELb0ELb0ELc78ELc76EKPKS1_KPS1_EviT_T0_PT8_S7_lSA_S7_lS8_PT9_S7_li
    .private_segment_fixed_size: 0
    .sgpr_count:     32
    .sgpr_spill_count: 0
    .symbol:         _ZL34rocblas_syrkx_herkx_general_kernelIi19rocblas_complex_numIdELi16ELi32ELi8ELb0ELb0ELc78ELc76EKPKS1_KPS1_EviT_T0_PT8_S7_lSA_S7_lS8_PT9_S7_li.kd
    .uniform_work_group_size: 1
    .uses_dynamic_stack: false
    .vgpr_count:     119
    .vgpr_spill_count: 0
    .wavefront_size: 32
    .workgroup_processor_mode: 1
  - .args:
      - .offset:         0
        .size:           4
        .value_kind:     by_value
      - .offset:         4
        .size:           4
        .value_kind:     by_value
      - .offset:         8
        .size:           16
        .value_kind:     by_value
      - .address_space:  global
        .offset:         24
        .size:           8
        .value_kind:     global_buffer
      - .offset:         32
        .size:           4
        .value_kind:     by_value
      - .offset:         40
        .size:           8
        .value_kind:     by_value
      - .address_space:  global
        .offset:         48
        .size:           8
        .value_kind:     global_buffer
      - .offset:         56
        .size:           4
        .value_kind:     by_value
      - .offset:         64
        .size:           8
        .value_kind:     by_value
      - .offset:         72
        .size:           16
        .value_kind:     by_value
      - .address_space:  global
        .offset:         88
        .size:           8
        .value_kind:     global_buffer
      - .offset:         96
        .size:           4
        .value_kind:     by_value
      - .offset:         104
        .size:           8
        .value_kind:     by_value
      - .offset:         112
        .size:           4
        .value_kind:     by_value
    .group_segment_fixed_size: 8192
    .kernarg_segment_align: 8
    .kernarg_segment_size: 116
    .language:       OpenCL C
    .language_version:
      - 2
      - 0
    .max_flat_workgroup_size: 256
    .name:           _ZL34rocblas_syrkx_herkx_general_kernelIi19rocblas_complex_numIdELi16ELi32ELi8ELb0ELb0ELc84ELc85EKPKS1_KPS1_EviT_T0_PT8_S7_lSA_S7_lS8_PT9_S7_li
    .private_segment_fixed_size: 0
    .sgpr_count:     27
    .sgpr_spill_count: 0
    .symbol:         _ZL34rocblas_syrkx_herkx_general_kernelIi19rocblas_complex_numIdELi16ELi32ELi8ELb0ELb0ELc84ELc85EKPKS1_KPS1_EviT_T0_PT8_S7_lSA_S7_lS8_PT9_S7_li.kd
    .uniform_work_group_size: 1
    .uses_dynamic_stack: false
    .vgpr_count:     120
    .vgpr_spill_count: 0
    .wavefront_size: 32
    .workgroup_processor_mode: 1
  - .args:
      - .offset:         0
        .size:           4
        .value_kind:     by_value
      - .offset:         4
        .size:           4
        .value_kind:     by_value
      - .offset:         8
        .size:           16
        .value_kind:     by_value
      - .address_space:  global
        .offset:         24
        .size:           8
        .value_kind:     global_buffer
      - .offset:         32
        .size:           4
        .value_kind:     by_value
      - .offset:         40
        .size:           8
        .value_kind:     by_value
      - .address_space:  global
        .offset:         48
        .size:           8
        .value_kind:     global_buffer
      - .offset:         56
        .size:           4
        .value_kind:     by_value
      - .offset:         64
        .size:           8
        .value_kind:     by_value
      - .offset:         72
        .size:           16
        .value_kind:     by_value
      - .address_space:  global
        .offset:         88
        .size:           8
        .value_kind:     global_buffer
      - .offset:         96
        .size:           4
        .value_kind:     by_value
      - .offset:         104
        .size:           8
        .value_kind:     by_value
      - .offset:         112
        .size:           4
        .value_kind:     by_value
    .group_segment_fixed_size: 8192
    .kernarg_segment_align: 8
    .kernarg_segment_size: 116
    .language:       OpenCL C
    .language_version:
      - 2
      - 0
    .max_flat_workgroup_size: 256
    .name:           _ZL34rocblas_syrkx_herkx_general_kernelIi19rocblas_complex_numIdELi16ELi32ELi8ELb0ELb0ELc67ELc85EKPKS1_KPS1_EviT_T0_PT8_S7_lSA_S7_lS8_PT9_S7_li
    .private_segment_fixed_size: 0
    .sgpr_count:     27
    .sgpr_spill_count: 0
    .symbol:         _ZL34rocblas_syrkx_herkx_general_kernelIi19rocblas_complex_numIdELi16ELi32ELi8ELb0ELb0ELc67ELc85EKPKS1_KPS1_EviT_T0_PT8_S7_lSA_S7_lS8_PT9_S7_li.kd
    .uniform_work_group_size: 1
    .uses_dynamic_stack: false
    .vgpr_count:     121
    .vgpr_spill_count: 0
    .wavefront_size: 32
    .workgroup_processor_mode: 1
  - .args:
      - .offset:         0
        .size:           4
        .value_kind:     by_value
      - .offset:         4
        .size:           4
        .value_kind:     by_value
      - .offset:         8
        .size:           16
        .value_kind:     by_value
      - .address_space:  global
        .offset:         24
        .size:           8
        .value_kind:     global_buffer
      - .offset:         32
        .size:           4
        .value_kind:     by_value
      - .offset:         40
        .size:           8
        .value_kind:     by_value
      - .address_space:  global
        .offset:         48
        .size:           8
        .value_kind:     global_buffer
      - .offset:         56
        .size:           4
        .value_kind:     by_value
      - .offset:         64
        .size:           8
        .value_kind:     by_value
      - .offset:         72
        .size:           16
        .value_kind:     by_value
      - .address_space:  global
        .offset:         88
        .size:           8
        .value_kind:     global_buffer
      - .offset:         96
        .size:           4
        .value_kind:     by_value
      - .offset:         104
        .size:           8
        .value_kind:     by_value
      - .offset:         112
        .size:           4
        .value_kind:     by_value
    .group_segment_fixed_size: 8192
    .kernarg_segment_align: 8
    .kernarg_segment_size: 116
    .language:       OpenCL C
    .language_version:
      - 2
      - 0
    .max_flat_workgroup_size: 256
    .name:           _ZL34rocblas_syrkx_herkx_general_kernelIi19rocblas_complex_numIdELi16ELi32ELi8ELb0ELb0ELc78ELc85EKPKS1_KPS1_EviT_T0_PT8_S7_lSA_S7_lS8_PT9_S7_li
    .private_segment_fixed_size: 0
    .sgpr_count:     32
    .sgpr_spill_count: 0
    .symbol:         _ZL34rocblas_syrkx_herkx_general_kernelIi19rocblas_complex_numIdELi16ELi32ELi8ELb0ELb0ELc78ELc85EKPKS1_KPS1_EviT_T0_PT8_S7_lSA_S7_lS8_PT9_S7_li.kd
    .uniform_work_group_size: 1
    .uses_dynamic_stack: false
    .vgpr_count:     119
    .vgpr_spill_count: 0
    .wavefront_size: 32
    .workgroup_processor_mode: 1
  - .args:
      - .offset:         0
        .size:           1
        .value_kind:     by_value
      - .offset:         4
        .size:           4
        .value_kind:     by_value
      - .offset:         8
        .size:           4
        .value_kind:     by_value
      - .offset:         16
        .size:           16
        .value_kind:     by_value
      - .offset:         32
        .size:           16
        .value_kind:     by_value
      - .address_space:  global
        .offset:         48
        .size:           8
        .value_kind:     global_buffer
      - .offset:         56
        .size:           4
        .value_kind:     by_value
      - .offset:         64
        .size:           8
        .value_kind:     by_value
      - .offset:         72
        .size:           4
        .value_kind:     by_value
      - .offset:         80
        .size:           4
        .value_kind:     hidden_block_count_x
      - .offset:         84
        .size:           4
        .value_kind:     hidden_block_count_y
      - .offset:         88
        .size:           4
        .value_kind:     hidden_block_count_z
      - .offset:         92
        .size:           2
        .value_kind:     hidden_group_size_x
      - .offset:         94
        .size:           2
        .value_kind:     hidden_group_size_y
      - .offset:         96
        .size:           2
        .value_kind:     hidden_group_size_z
      - .offset:         98
        .size:           2
        .value_kind:     hidden_remainder_x
      - .offset:         100
        .size:           2
        .value_kind:     hidden_remainder_y
      - .offset:         102
        .size:           2
        .value_kind:     hidden_remainder_z
      - .offset:         120
        .size:           8
        .value_kind:     hidden_global_offset_x
      - .offset:         128
        .size:           8
        .value_kind:     hidden_global_offset_y
      - .offset:         136
        .size:           8
        .value_kind:     hidden_global_offset_z
      - .offset:         144
        .size:           2
        .value_kind:     hidden_grid_dims
    .group_segment_fixed_size: 0
    .kernarg_segment_align: 8
    .kernarg_segment_size: 336
    .language:       OpenCL C
    .language_version:
      - 2
      - 0
    .max_flat_workgroup_size: 1024
    .name:           _ZL26rocblas_syr2k_scale_kernelIiLi128ELi8ELb0E19rocblas_complex_numIdES1_PKPS1_EvbiT_T3_T4_T5_S5_li
    .private_segment_fixed_size: 0
    .sgpr_count:     18
    .sgpr_spill_count: 0
    .symbol:         _ZL26rocblas_syr2k_scale_kernelIiLi128ELi8ELb0E19rocblas_complex_numIdES1_PKPS1_EvbiT_T3_T4_T5_S5_li.kd
    .uniform_work_group_size: 1
    .uses_dynamic_stack: false
    .vgpr_count:     10
    .vgpr_spill_count: 0
    .wavefront_size: 32
    .workgroup_processor_mode: 1
  - .args:
      - .offset:         0
        .size:           1
        .value_kind:     by_value
      - .offset:         4
        .size:           4
        .value_kind:     by_value
      - .offset:         8
        .size:           4
        .value_kind:     by_value
      - .address_space:  global
        .offset:         16
        .size:           8
        .value_kind:     global_buffer
      - .address_space:  global
        .offset:         24
        .size:           8
        .value_kind:     global_buffer
      - .offset:         32
        .size:           4
        .value_kind:     by_value
      - .offset:         40
        .size:           8
        .value_kind:     by_value
      - .address_space:  global
        .offset:         48
        .size:           8
        .value_kind:     global_buffer
      - .offset:         56
        .size:           4
        .value_kind:     by_value
      - .offset:         64
        .size:           8
        .value_kind:     by_value
      - .address_space:  global
        .offset:         72
        .size:           8
        .value_kind:     global_buffer
      - .offset:         80
        .size:           4
        .value_kind:     by_value
      - .offset:         88
        .size:           8
        .value_kind:     by_value
      - .offset:         96
        .size:           4
        .value_kind:     by_value
    .group_segment_fixed_size: 32768
    .kernarg_segment_align: 8
    .kernarg_segment_size: 100
    .language:       OpenCL C
    .language_version:
      - 2
      - 0
    .max_flat_workgroup_size: 1024
    .name:           _ZL26rocblas_syr2k_her2k_kernelIiLb0ELb0ELb0ELi32EPK19rocblas_complex_numIdEPKS3_PKPS1_EvbiT_T4_T5_S9_lSB_S9_lT6_S9_li
    .private_segment_fixed_size: 0
    .sgpr_count:     31
    .sgpr_spill_count: 0
    .symbol:         _ZL26rocblas_syr2k_her2k_kernelIiLb0ELb0ELb0ELi32EPK19rocblas_complex_numIdEPKS3_PKPS1_EvbiT_T4_T5_S9_lSB_S9_lT6_S9_li.kd
    .uniform_work_group_size: 1
    .uses_dynamic_stack: false
    .vgpr_count:     52
    .vgpr_spill_count: 0
    .wavefront_size: 32
    .workgroup_processor_mode: 1
  - .args:
      - .offset:         0
        .size:           1
        .value_kind:     by_value
      - .offset:         4
        .size:           4
        .value_kind:     by_value
      - .offset:         8
        .size:           4
        .value_kind:     by_value
      - .address_space:  global
        .offset:         16
        .size:           8
        .value_kind:     global_buffer
      - .address_space:  global
        .offset:         24
        .size:           8
        .value_kind:     global_buffer
      - .offset:         32
        .size:           4
        .value_kind:     by_value
      - .offset:         40
        .size:           8
        .value_kind:     by_value
      - .address_space:  global
        .offset:         48
        .size:           8
        .value_kind:     global_buffer
      - .offset:         56
        .size:           4
        .value_kind:     by_value
      - .offset:         64
        .size:           8
        .value_kind:     by_value
      - .address_space:  global
        .offset:         72
        .size:           8
        .value_kind:     global_buffer
      - .offset:         80
        .size:           4
        .value_kind:     by_value
      - .offset:         88
        .size:           8
        .value_kind:     by_value
      - .offset:         96
        .size:           4
        .value_kind:     by_value
    .group_segment_fixed_size: 32768
    .kernarg_segment_align: 8
    .kernarg_segment_size: 100
    .language:       OpenCL C
    .language_version:
      - 2
      - 0
    .max_flat_workgroup_size: 1024
    .name:           _ZL26rocblas_syr2k_her2k_kernelIiLb0ELb0ELb1ELi32EPK19rocblas_complex_numIdEPKS3_PKPS1_EvbiT_T4_T5_S9_lSB_S9_lT6_S9_li
    .private_segment_fixed_size: 0
    .sgpr_count:     29
    .sgpr_spill_count: 0
    .symbol:         _ZL26rocblas_syr2k_her2k_kernelIiLb0ELb0ELb1ELi32EPK19rocblas_complex_numIdEPKS3_PKPS1_EvbiT_T4_T5_S9_lSB_S9_lT6_S9_li.kd
    .uniform_work_group_size: 1
    .uses_dynamic_stack: false
    .vgpr_count:     52
    .vgpr_spill_count: 0
    .wavefront_size: 32
    .workgroup_processor_mode: 1
  - .args:
      - .offset:         0
        .size:           1
        .value_kind:     by_value
      - .offset:         4
        .size:           4
        .value_kind:     by_value
      - .offset:         8
        .size:           4
        .value_kind:     by_value
      - .offset:         12
        .size:           8
        .value_kind:     by_value
      - .address_space:  global
        .offset:         24
        .size:           8
        .value_kind:     global_buffer
      - .offset:         32
        .size:           4
        .value_kind:     by_value
      - .offset:         40
        .size:           8
        .value_kind:     by_value
      - .address_space:  global
        .offset:         48
        .size:           8
        .value_kind:     global_buffer
      - .offset:         56
        .size:           4
        .value_kind:     by_value
      - .offset:         64
        .size:           8
        .value_kind:     by_value
      - .address_space:  global
        .offset:         72
        .size:           8
        .value_kind:     global_buffer
      - .offset:         80
        .size:           4
        .value_kind:     by_value
      - .offset:         88
        .size:           8
        .value_kind:     by_value
      - .offset:         96
        .size:           4
        .value_kind:     by_value
    .group_segment_fixed_size: 16384
    .kernarg_segment_align: 8
    .kernarg_segment_size: 100
    .language:       OpenCL C
    .language_version:
      - 2
      - 0
    .max_flat_workgroup_size: 1024
    .name:           _ZL26rocblas_syr2k_her2k_kernelIiLb0ELb1ELb0ELi32E19rocblas_complex_numIfEPKPKS1_PKPS1_EvbiT_T4_T5_S9_lSB_S9_lT6_S9_li
    .private_segment_fixed_size: 0
    .sgpr_count:     26
    .sgpr_spill_count: 0
    .symbol:         _ZL26rocblas_syr2k_her2k_kernelIiLb0ELb1ELb0ELi32E19rocblas_complex_numIfEPKPKS1_PKPS1_EvbiT_T4_T5_S9_lSB_S9_lT6_S9_li.kd
    .uniform_work_group_size: 1
    .uses_dynamic_stack: false
    .vgpr_count:     110
    .vgpr_spill_count: 0
    .wavefront_size: 32
    .workgroup_processor_mode: 1
  - .args:
      - .offset:         0
        .size:           1
        .value_kind:     by_value
      - .offset:         4
        .size:           4
        .value_kind:     by_value
      - .offset:         8
        .size:           4
        .value_kind:     by_value
      - .offset:         12
        .size:           8
        .value_kind:     by_value
      - .address_space:  global
        .offset:         24
        .size:           8
        .value_kind:     global_buffer
      - .offset:         32
        .size:           4
        .value_kind:     by_value
      - .offset:         40
        .size:           8
        .value_kind:     by_value
      - .address_space:  global
        .offset:         48
        .size:           8
        .value_kind:     global_buffer
      - .offset:         56
        .size:           4
        .value_kind:     by_value
      - .offset:         64
        .size:           8
        .value_kind:     by_value
      - .address_space:  global
        .offset:         72
        .size:           8
        .value_kind:     global_buffer
      - .offset:         80
        .size:           4
        .value_kind:     by_value
      - .offset:         88
        .size:           8
        .value_kind:     by_value
      - .offset:         96
        .size:           4
        .value_kind:     by_value
    .group_segment_fixed_size: 16384
    .kernarg_segment_align: 8
    .kernarg_segment_size: 100
    .language:       OpenCL C
    .language_version:
      - 2
      - 0
    .max_flat_workgroup_size: 1024
    .name:           _ZL26rocblas_syr2k_her2k_kernelIiLb0ELb1ELb1ELi32E19rocblas_complex_numIfEPKPKS1_PKPS1_EvbiT_T4_T5_S9_lSB_S9_lT6_S9_li
    .private_segment_fixed_size: 0
    .sgpr_count:     25
    .sgpr_spill_count: 0
    .symbol:         _ZL26rocblas_syr2k_her2k_kernelIiLb0ELb1ELb1ELi32E19rocblas_complex_numIfEPKPKS1_PKPS1_EvbiT_T4_T5_S9_lSB_S9_lT6_S9_li.kd
    .uniform_work_group_size: 1
    .uses_dynamic_stack: false
    .vgpr_count:     108
    .vgpr_spill_count: 0
    .wavefront_size: 32
    .workgroup_processor_mode: 1
  - .args:
      - .offset:         0
        .size:           4
        .value_kind:     by_value
      - .offset:         4
        .size:           4
        .value_kind:     by_value
      - .address_space:  global
        .offset:         8
        .size:           8
        .value_kind:     global_buffer
      - .offset:         16
        .size:           4
        .value_kind:     by_value
      - .offset:         24
        .size:           8
        .value_kind:     by_value
      - .address_space:  global
        .offset:         32
        .size:           8
        .value_kind:     global_buffer
      - .offset:         40
        .size:           4
        .value_kind:     by_value
      - .offset:         48
        .size:           8
        .value_kind:     by_value
      - .address_space:  global
        .offset:         56
        .size:           8
        .value_kind:     global_buffer
      - .offset:         64
        .size:           4
        .value_kind:     by_value
      - .offset:         72
        .size:           8
        .value_kind:     by_value
      - .offset:         80
        .size:           4
        .value_kind:     by_value
    .group_segment_fixed_size: 4096
    .kernarg_segment_align: 8
    .kernarg_segment_size: 84
    .language:       OpenCL C
    .language_version:
      - 2
      - 0
    .max_flat_workgroup_size: 256
    .name:           _ZL37rocblas_syrkx_herkx_restricted_kernelIi19rocblas_complex_numIfELi16ELi32ELi8ELi1ELi1ELb1ELc84ELc76EKPKS1_KPS1_EviT_PT9_S7_lS9_S7_lPT10_S7_li
    .private_segment_fixed_size: 0
    .sgpr_count:     19
    .sgpr_spill_count: 0
    .symbol:         _ZL37rocblas_syrkx_herkx_restricted_kernelIi19rocblas_complex_numIfELi16ELi32ELi8ELi1ELi1ELb1ELc84ELc76EKPKS1_KPS1_EviT_PT9_S7_lS9_S7_lPT10_S7_li.kd
    .uniform_work_group_size: 1
    .uses_dynamic_stack: false
    .vgpr_count:     91
    .vgpr_spill_count: 0
    .wavefront_size: 32
    .workgroup_processor_mode: 1
  - .args:
      - .offset:         0
        .size:           4
        .value_kind:     by_value
      - .offset:         4
        .size:           4
        .value_kind:     by_value
      - .address_space:  global
        .offset:         8
        .size:           8
        .value_kind:     global_buffer
      - .offset:         16
        .size:           4
        .value_kind:     by_value
      - .offset:         24
        .size:           8
        .value_kind:     by_value
      - .address_space:  global
        .offset:         32
        .size:           8
        .value_kind:     global_buffer
      - .offset:         40
        .size:           4
        .value_kind:     by_value
      - .offset:         48
        .size:           8
        .value_kind:     by_value
      - .address_space:  global
        .offset:         56
        .size:           8
        .value_kind:     global_buffer
      - .offset:         64
        .size:           4
        .value_kind:     by_value
      - .offset:         72
        .size:           8
        .value_kind:     by_value
      - .offset:         80
        .size:           4
        .value_kind:     by_value
    .group_segment_fixed_size: 4096
    .kernarg_segment_align: 8
    .kernarg_segment_size: 84
    .language:       OpenCL C
    .language_version:
      - 2
      - 0
    .max_flat_workgroup_size: 256
    .name:           _ZL37rocblas_syrkx_herkx_restricted_kernelIi19rocblas_complex_numIfELi16ELi32ELi8ELi1ELi1ELb1ELc67ELc76EKPKS1_KPS1_EviT_PT9_S7_lS9_S7_lPT10_S7_li
    .private_segment_fixed_size: 0
    .sgpr_count:     19
    .sgpr_spill_count: 0
    .symbol:         _ZL37rocblas_syrkx_herkx_restricted_kernelIi19rocblas_complex_numIfELi16ELi32ELi8ELi1ELi1ELb1ELc67ELc76EKPKS1_KPS1_EviT_PT9_S7_lS9_S7_lPT10_S7_li.kd
    .uniform_work_group_size: 1
    .uses_dynamic_stack: false
    .vgpr_count:     91
    .vgpr_spill_count: 0
    .wavefront_size: 32
    .workgroup_processor_mode: 1
  - .args:
      - .offset:         0
        .size:           4
        .value_kind:     by_value
      - .offset:         4
        .size:           4
        .value_kind:     by_value
      - .address_space:  global
        .offset:         8
        .size:           8
        .value_kind:     global_buffer
      - .offset:         16
        .size:           4
        .value_kind:     by_value
      - .offset:         24
        .size:           8
        .value_kind:     by_value
      - .address_space:  global
        .offset:         32
        .size:           8
        .value_kind:     global_buffer
      - .offset:         40
        .size:           4
        .value_kind:     by_value
      - .offset:         48
        .size:           8
        .value_kind:     by_value
      - .address_space:  global
        .offset:         56
        .size:           8
        .value_kind:     global_buffer
      - .offset:         64
        .size:           4
        .value_kind:     by_value
      - .offset:         72
        .size:           8
        .value_kind:     by_value
      - .offset:         80
        .size:           4
        .value_kind:     by_value
    .group_segment_fixed_size: 4096
    .kernarg_segment_align: 8
    .kernarg_segment_size: 84
    .language:       OpenCL C
    .language_version:
      - 2
      - 0
    .max_flat_workgroup_size: 256
    .name:           _ZL37rocblas_syrkx_herkx_restricted_kernelIi19rocblas_complex_numIfELi16ELi32ELi8ELi1ELi1ELb1ELc78ELc76EKPKS1_KPS1_EviT_PT9_S7_lS9_S7_lPT10_S7_li
    .private_segment_fixed_size: 0
    .sgpr_count:     22
    .sgpr_spill_count: 0
    .symbol:         _ZL37rocblas_syrkx_herkx_restricted_kernelIi19rocblas_complex_numIfELi16ELi32ELi8ELi1ELi1ELb1ELc78ELc76EKPKS1_KPS1_EviT_PT9_S7_lS9_S7_lPT10_S7_li.kd
    .uniform_work_group_size: 1
    .uses_dynamic_stack: false
    .vgpr_count:     92
    .vgpr_spill_count: 0
    .wavefront_size: 32
    .workgroup_processor_mode: 1
  - .args:
      - .offset:         0
        .size:           4
        .value_kind:     by_value
      - .offset:         4
        .size:           4
        .value_kind:     by_value
      - .address_space:  global
        .offset:         8
        .size:           8
        .value_kind:     global_buffer
      - .offset:         16
        .size:           4
        .value_kind:     by_value
      - .offset:         24
        .size:           8
        .value_kind:     by_value
      - .address_space:  global
        .offset:         32
        .size:           8
        .value_kind:     global_buffer
      - .offset:         40
        .size:           4
        .value_kind:     by_value
      - .offset:         48
        .size:           8
        .value_kind:     by_value
      - .address_space:  global
        .offset:         56
        .size:           8
        .value_kind:     global_buffer
      - .offset:         64
        .size:           4
        .value_kind:     by_value
      - .offset:         72
        .size:           8
        .value_kind:     by_value
      - .offset:         80
        .size:           4
        .value_kind:     by_value
    .group_segment_fixed_size: 4096
    .kernarg_segment_align: 8
    .kernarg_segment_size: 84
    .language:       OpenCL C
    .language_version:
      - 2
      - 0
    .max_flat_workgroup_size: 256
    .name:           _ZL37rocblas_syrkx_herkx_restricted_kernelIi19rocblas_complex_numIfELi16ELi32ELi8ELi1ELi1ELb1ELc84ELc85EKPKS1_KPS1_EviT_PT9_S7_lS9_S7_lPT10_S7_li
    .private_segment_fixed_size: 0
    .sgpr_count:     19
    .sgpr_spill_count: 0
    .symbol:         _ZL37rocblas_syrkx_herkx_restricted_kernelIi19rocblas_complex_numIfELi16ELi32ELi8ELi1ELi1ELb1ELc84ELc85EKPKS1_KPS1_EviT_PT9_S7_lS9_S7_lPT10_S7_li.kd
    .uniform_work_group_size: 1
    .uses_dynamic_stack: false
    .vgpr_count:     91
    .vgpr_spill_count: 0
    .wavefront_size: 32
    .workgroup_processor_mode: 1
  - .args:
      - .offset:         0
        .size:           4
        .value_kind:     by_value
      - .offset:         4
        .size:           4
        .value_kind:     by_value
      - .address_space:  global
        .offset:         8
        .size:           8
        .value_kind:     global_buffer
      - .offset:         16
        .size:           4
        .value_kind:     by_value
      - .offset:         24
        .size:           8
        .value_kind:     by_value
      - .address_space:  global
        .offset:         32
        .size:           8
        .value_kind:     global_buffer
      - .offset:         40
        .size:           4
        .value_kind:     by_value
      - .offset:         48
        .size:           8
        .value_kind:     by_value
      - .address_space:  global
        .offset:         56
        .size:           8
        .value_kind:     global_buffer
      - .offset:         64
        .size:           4
        .value_kind:     by_value
      - .offset:         72
        .size:           8
        .value_kind:     by_value
      - .offset:         80
        .size:           4
        .value_kind:     by_value
    .group_segment_fixed_size: 4096
    .kernarg_segment_align: 8
    .kernarg_segment_size: 84
    .language:       OpenCL C
    .language_version:
      - 2
      - 0
    .max_flat_workgroup_size: 256
    .name:           _ZL37rocblas_syrkx_herkx_restricted_kernelIi19rocblas_complex_numIfELi16ELi32ELi8ELi1ELi1ELb1ELc67ELc85EKPKS1_KPS1_EviT_PT9_S7_lS9_S7_lPT10_S7_li
    .private_segment_fixed_size: 0
    .sgpr_count:     19
    .sgpr_spill_count: 0
    .symbol:         _ZL37rocblas_syrkx_herkx_restricted_kernelIi19rocblas_complex_numIfELi16ELi32ELi8ELi1ELi1ELb1ELc67ELc85EKPKS1_KPS1_EviT_PT9_S7_lS9_S7_lPT10_S7_li.kd
    .uniform_work_group_size: 1
    .uses_dynamic_stack: false
    .vgpr_count:     91
    .vgpr_spill_count: 0
    .wavefront_size: 32
    .workgroup_processor_mode: 1
  - .args:
      - .offset:         0
        .size:           4
        .value_kind:     by_value
      - .offset:         4
        .size:           4
        .value_kind:     by_value
      - .address_space:  global
        .offset:         8
        .size:           8
        .value_kind:     global_buffer
      - .offset:         16
        .size:           4
        .value_kind:     by_value
      - .offset:         24
        .size:           8
        .value_kind:     by_value
      - .address_space:  global
        .offset:         32
        .size:           8
        .value_kind:     global_buffer
      - .offset:         40
        .size:           4
        .value_kind:     by_value
      - .offset:         48
        .size:           8
        .value_kind:     by_value
      - .address_space:  global
        .offset:         56
        .size:           8
        .value_kind:     global_buffer
      - .offset:         64
        .size:           4
        .value_kind:     by_value
      - .offset:         72
        .size:           8
        .value_kind:     by_value
      - .offset:         80
        .size:           4
        .value_kind:     by_value
    .group_segment_fixed_size: 4096
    .kernarg_segment_align: 8
    .kernarg_segment_size: 84
    .language:       OpenCL C
    .language_version:
      - 2
      - 0
    .max_flat_workgroup_size: 256
    .name:           _ZL37rocblas_syrkx_herkx_restricted_kernelIi19rocblas_complex_numIfELi16ELi32ELi8ELi1ELi1ELb1ELc78ELc85EKPKS1_KPS1_EviT_PT9_S7_lS9_S7_lPT10_S7_li
    .private_segment_fixed_size: 0
    .sgpr_count:     22
    .sgpr_spill_count: 0
    .symbol:         _ZL37rocblas_syrkx_herkx_restricted_kernelIi19rocblas_complex_numIfELi16ELi32ELi8ELi1ELi1ELb1ELc78ELc85EKPKS1_KPS1_EviT_PT9_S7_lS9_S7_lPT10_S7_li.kd
    .uniform_work_group_size: 1
    .uses_dynamic_stack: false
    .vgpr_count:     92
    .vgpr_spill_count: 0
    .wavefront_size: 32
    .workgroup_processor_mode: 1
  - .args:
      - .offset:         0
        .size:           4
        .value_kind:     by_value
      - .offset:         4
        .size:           4
        .value_kind:     by_value
      - .address_space:  global
        .offset:         8
        .size:           8
        .value_kind:     global_buffer
      - .offset:         16
        .size:           4
        .value_kind:     by_value
      - .offset:         24
        .size:           8
        .value_kind:     by_value
      - .address_space:  global
        .offset:         32
        .size:           8
        .value_kind:     global_buffer
      - .offset:         40
        .size:           4
        .value_kind:     by_value
      - .offset:         48
        .size:           8
        .value_kind:     by_value
      - .address_space:  global
        .offset:         56
        .size:           8
        .value_kind:     global_buffer
      - .offset:         64
        .size:           4
        .value_kind:     by_value
      - .offset:         72
        .size:           8
        .value_kind:     by_value
      - .offset:         80
        .size:           4
        .value_kind:     by_value
    .group_segment_fixed_size: 4096
    .kernarg_segment_align: 8
    .kernarg_segment_size: 84
    .language:       OpenCL C
    .language_version:
      - 2
      - 0
    .max_flat_workgroup_size: 256
    .name:           _ZL37rocblas_syrkx_herkx_restricted_kernelIi19rocblas_complex_numIfELi16ELi32ELi8ELi1ELin1ELb1ELc84ELc76EKPKS1_KPS1_EviT_PT9_S7_lS9_S7_lPT10_S7_li
    .private_segment_fixed_size: 0
    .sgpr_count:     19
    .sgpr_spill_count: 0
    .symbol:         _ZL37rocblas_syrkx_herkx_restricted_kernelIi19rocblas_complex_numIfELi16ELi32ELi8ELi1ELin1ELb1ELc84ELc76EKPKS1_KPS1_EviT_PT9_S7_lS9_S7_lPT10_S7_li.kd
    .uniform_work_group_size: 1
    .uses_dynamic_stack: false
    .vgpr_count:     91
    .vgpr_spill_count: 0
    .wavefront_size: 32
    .workgroup_processor_mode: 1
  - .args:
      - .offset:         0
        .size:           4
        .value_kind:     by_value
      - .offset:         4
        .size:           4
        .value_kind:     by_value
      - .address_space:  global
        .offset:         8
        .size:           8
        .value_kind:     global_buffer
      - .offset:         16
        .size:           4
        .value_kind:     by_value
      - .offset:         24
        .size:           8
        .value_kind:     by_value
      - .address_space:  global
        .offset:         32
        .size:           8
        .value_kind:     global_buffer
      - .offset:         40
        .size:           4
        .value_kind:     by_value
      - .offset:         48
        .size:           8
        .value_kind:     by_value
      - .address_space:  global
        .offset:         56
        .size:           8
        .value_kind:     global_buffer
      - .offset:         64
        .size:           4
        .value_kind:     by_value
      - .offset:         72
        .size:           8
        .value_kind:     by_value
      - .offset:         80
        .size:           4
        .value_kind:     by_value
    .group_segment_fixed_size: 4096
    .kernarg_segment_align: 8
    .kernarg_segment_size: 84
    .language:       OpenCL C
    .language_version:
      - 2
      - 0
    .max_flat_workgroup_size: 256
    .name:           _ZL37rocblas_syrkx_herkx_restricted_kernelIi19rocblas_complex_numIfELi16ELi32ELi8ELi1ELin1ELb1ELc67ELc76EKPKS1_KPS1_EviT_PT9_S7_lS9_S7_lPT10_S7_li
    .private_segment_fixed_size: 0
    .sgpr_count:     19
    .sgpr_spill_count: 0
    .symbol:         _ZL37rocblas_syrkx_herkx_restricted_kernelIi19rocblas_complex_numIfELi16ELi32ELi8ELi1ELin1ELb1ELc67ELc76EKPKS1_KPS1_EviT_PT9_S7_lS9_S7_lPT10_S7_li.kd
    .uniform_work_group_size: 1
    .uses_dynamic_stack: false
    .vgpr_count:     91
    .vgpr_spill_count: 0
    .wavefront_size: 32
    .workgroup_processor_mode: 1
  - .args:
      - .offset:         0
        .size:           4
        .value_kind:     by_value
      - .offset:         4
        .size:           4
        .value_kind:     by_value
      - .address_space:  global
        .offset:         8
        .size:           8
        .value_kind:     global_buffer
      - .offset:         16
        .size:           4
        .value_kind:     by_value
      - .offset:         24
        .size:           8
        .value_kind:     by_value
      - .address_space:  global
        .offset:         32
        .size:           8
        .value_kind:     global_buffer
      - .offset:         40
        .size:           4
        .value_kind:     by_value
      - .offset:         48
        .size:           8
        .value_kind:     by_value
      - .address_space:  global
        .offset:         56
        .size:           8
        .value_kind:     global_buffer
      - .offset:         64
        .size:           4
        .value_kind:     by_value
      - .offset:         72
        .size:           8
        .value_kind:     by_value
      - .offset:         80
        .size:           4
        .value_kind:     by_value
    .group_segment_fixed_size: 4096
    .kernarg_segment_align: 8
    .kernarg_segment_size: 84
    .language:       OpenCL C
    .language_version:
      - 2
      - 0
    .max_flat_workgroup_size: 256
    .name:           _ZL37rocblas_syrkx_herkx_restricted_kernelIi19rocblas_complex_numIfELi16ELi32ELi8ELi1ELin1ELb1ELc78ELc76EKPKS1_KPS1_EviT_PT9_S7_lS9_S7_lPT10_S7_li
    .private_segment_fixed_size: 0
    .sgpr_count:     22
    .sgpr_spill_count: 0
    .symbol:         _ZL37rocblas_syrkx_herkx_restricted_kernelIi19rocblas_complex_numIfELi16ELi32ELi8ELi1ELin1ELb1ELc78ELc76EKPKS1_KPS1_EviT_PT9_S7_lS9_S7_lPT10_S7_li.kd
    .uniform_work_group_size: 1
    .uses_dynamic_stack: false
    .vgpr_count:     92
    .vgpr_spill_count: 0
    .wavefront_size: 32
    .workgroup_processor_mode: 1
  - .args:
      - .offset:         0
        .size:           4
        .value_kind:     by_value
      - .offset:         4
        .size:           4
        .value_kind:     by_value
      - .address_space:  global
        .offset:         8
        .size:           8
        .value_kind:     global_buffer
      - .offset:         16
        .size:           4
        .value_kind:     by_value
      - .offset:         24
        .size:           8
        .value_kind:     by_value
      - .address_space:  global
        .offset:         32
        .size:           8
        .value_kind:     global_buffer
      - .offset:         40
        .size:           4
        .value_kind:     by_value
      - .offset:         48
        .size:           8
        .value_kind:     by_value
      - .address_space:  global
        .offset:         56
        .size:           8
        .value_kind:     global_buffer
      - .offset:         64
        .size:           4
        .value_kind:     by_value
      - .offset:         72
        .size:           8
        .value_kind:     by_value
      - .offset:         80
        .size:           4
        .value_kind:     by_value
    .group_segment_fixed_size: 4096
    .kernarg_segment_align: 8
    .kernarg_segment_size: 84
    .language:       OpenCL C
    .language_version:
      - 2
      - 0
    .max_flat_workgroup_size: 256
    .name:           _ZL37rocblas_syrkx_herkx_restricted_kernelIi19rocblas_complex_numIfELi16ELi32ELi8ELi1ELin1ELb1ELc84ELc85EKPKS1_KPS1_EviT_PT9_S7_lS9_S7_lPT10_S7_li
    .private_segment_fixed_size: 0
    .sgpr_count:     19
    .sgpr_spill_count: 0
    .symbol:         _ZL37rocblas_syrkx_herkx_restricted_kernelIi19rocblas_complex_numIfELi16ELi32ELi8ELi1ELin1ELb1ELc84ELc85EKPKS1_KPS1_EviT_PT9_S7_lS9_S7_lPT10_S7_li.kd
    .uniform_work_group_size: 1
    .uses_dynamic_stack: false
    .vgpr_count:     91
    .vgpr_spill_count: 0
    .wavefront_size: 32
    .workgroup_processor_mode: 1
  - .args:
      - .offset:         0
        .size:           4
        .value_kind:     by_value
      - .offset:         4
        .size:           4
        .value_kind:     by_value
      - .address_space:  global
        .offset:         8
        .size:           8
        .value_kind:     global_buffer
      - .offset:         16
        .size:           4
        .value_kind:     by_value
      - .offset:         24
        .size:           8
        .value_kind:     by_value
      - .address_space:  global
        .offset:         32
        .size:           8
        .value_kind:     global_buffer
      - .offset:         40
        .size:           4
        .value_kind:     by_value
      - .offset:         48
        .size:           8
        .value_kind:     by_value
      - .address_space:  global
        .offset:         56
        .size:           8
        .value_kind:     global_buffer
      - .offset:         64
        .size:           4
        .value_kind:     by_value
      - .offset:         72
        .size:           8
        .value_kind:     by_value
      - .offset:         80
        .size:           4
        .value_kind:     by_value
    .group_segment_fixed_size: 4096
    .kernarg_segment_align: 8
    .kernarg_segment_size: 84
    .language:       OpenCL C
    .language_version:
      - 2
      - 0
    .max_flat_workgroup_size: 256
    .name:           _ZL37rocblas_syrkx_herkx_restricted_kernelIi19rocblas_complex_numIfELi16ELi32ELi8ELi1ELin1ELb1ELc67ELc85EKPKS1_KPS1_EviT_PT9_S7_lS9_S7_lPT10_S7_li
    .private_segment_fixed_size: 0
    .sgpr_count:     19
    .sgpr_spill_count: 0
    .symbol:         _ZL37rocblas_syrkx_herkx_restricted_kernelIi19rocblas_complex_numIfELi16ELi32ELi8ELi1ELin1ELb1ELc67ELc85EKPKS1_KPS1_EviT_PT9_S7_lS9_S7_lPT10_S7_li.kd
    .uniform_work_group_size: 1
    .uses_dynamic_stack: false
    .vgpr_count:     91
    .vgpr_spill_count: 0
    .wavefront_size: 32
    .workgroup_processor_mode: 1
  - .args:
      - .offset:         0
        .size:           4
        .value_kind:     by_value
      - .offset:         4
        .size:           4
        .value_kind:     by_value
      - .address_space:  global
        .offset:         8
        .size:           8
        .value_kind:     global_buffer
      - .offset:         16
        .size:           4
        .value_kind:     by_value
      - .offset:         24
        .size:           8
        .value_kind:     by_value
      - .address_space:  global
        .offset:         32
        .size:           8
        .value_kind:     global_buffer
      - .offset:         40
        .size:           4
        .value_kind:     by_value
      - .offset:         48
        .size:           8
        .value_kind:     by_value
      - .address_space:  global
        .offset:         56
        .size:           8
        .value_kind:     global_buffer
      - .offset:         64
        .size:           4
        .value_kind:     by_value
      - .offset:         72
        .size:           8
        .value_kind:     by_value
      - .offset:         80
        .size:           4
        .value_kind:     by_value
    .group_segment_fixed_size: 4096
    .kernarg_segment_align: 8
    .kernarg_segment_size: 84
    .language:       OpenCL C
    .language_version:
      - 2
      - 0
    .max_flat_workgroup_size: 256
    .name:           _ZL37rocblas_syrkx_herkx_restricted_kernelIi19rocblas_complex_numIfELi16ELi32ELi8ELi1ELin1ELb1ELc78ELc85EKPKS1_KPS1_EviT_PT9_S7_lS9_S7_lPT10_S7_li
    .private_segment_fixed_size: 0
    .sgpr_count:     22
    .sgpr_spill_count: 0
    .symbol:         _ZL37rocblas_syrkx_herkx_restricted_kernelIi19rocblas_complex_numIfELi16ELi32ELi8ELi1ELin1ELb1ELc78ELc85EKPKS1_KPS1_EviT_PT9_S7_lS9_S7_lPT10_S7_li.kd
    .uniform_work_group_size: 1
    .uses_dynamic_stack: false
    .vgpr_count:     92
    .vgpr_spill_count: 0
    .wavefront_size: 32
    .workgroup_processor_mode: 1
  - .args:
      - .offset:         0
        .size:           4
        .value_kind:     by_value
      - .offset:         4
        .size:           4
        .value_kind:     by_value
      - .address_space:  global
        .offset:         8
        .size:           8
        .value_kind:     global_buffer
      - .offset:         16
        .size:           4
        .value_kind:     by_value
      - .offset:         24
        .size:           8
        .value_kind:     by_value
      - .address_space:  global
        .offset:         32
        .size:           8
        .value_kind:     global_buffer
      - .offset:         40
        .size:           4
        .value_kind:     by_value
      - .offset:         48
        .size:           8
        .value_kind:     by_value
      - .address_space:  global
        .offset:         56
        .size:           8
        .value_kind:     global_buffer
      - .offset:         64
        .size:           4
        .value_kind:     by_value
      - .offset:         72
        .size:           8
        .value_kind:     by_value
      - .offset:         80
        .size:           4
        .value_kind:     by_value
    .group_segment_fixed_size: 4096
    .kernarg_segment_align: 8
    .kernarg_segment_size: 84
    .language:       OpenCL C
    .language_version:
      - 2
      - 0
    .max_flat_workgroup_size: 256
    .name:           _ZL37rocblas_syrkx_herkx_restricted_kernelIi19rocblas_complex_numIfELi16ELi32ELi8ELi1ELi0ELb1ELc84ELc76EKPKS1_KPS1_EviT_PT9_S7_lS9_S7_lPT10_S7_li
    .private_segment_fixed_size: 0
    .sgpr_count:     19
    .sgpr_spill_count: 0
    .symbol:         _ZL37rocblas_syrkx_herkx_restricted_kernelIi19rocblas_complex_numIfELi16ELi32ELi8ELi1ELi0ELb1ELc84ELc76EKPKS1_KPS1_EviT_PT9_S7_lS9_S7_lPT10_S7_li.kd
    .uniform_work_group_size: 1
    .uses_dynamic_stack: false
    .vgpr_count:     88
    .vgpr_spill_count: 0
    .wavefront_size: 32
    .workgroup_processor_mode: 1
  - .args:
      - .offset:         0
        .size:           4
        .value_kind:     by_value
      - .offset:         4
        .size:           4
        .value_kind:     by_value
      - .address_space:  global
        .offset:         8
        .size:           8
        .value_kind:     global_buffer
      - .offset:         16
        .size:           4
        .value_kind:     by_value
      - .offset:         24
        .size:           8
        .value_kind:     by_value
      - .address_space:  global
        .offset:         32
        .size:           8
        .value_kind:     global_buffer
      - .offset:         40
        .size:           4
        .value_kind:     by_value
      - .offset:         48
        .size:           8
        .value_kind:     by_value
      - .address_space:  global
        .offset:         56
        .size:           8
        .value_kind:     global_buffer
      - .offset:         64
        .size:           4
        .value_kind:     by_value
      - .offset:         72
        .size:           8
        .value_kind:     by_value
      - .offset:         80
        .size:           4
        .value_kind:     by_value
    .group_segment_fixed_size: 4096
    .kernarg_segment_align: 8
    .kernarg_segment_size: 84
    .language:       OpenCL C
    .language_version:
      - 2
      - 0
    .max_flat_workgroup_size: 256
    .name:           _ZL37rocblas_syrkx_herkx_restricted_kernelIi19rocblas_complex_numIfELi16ELi32ELi8ELi1ELi0ELb1ELc67ELc76EKPKS1_KPS1_EviT_PT9_S7_lS9_S7_lPT10_S7_li
    .private_segment_fixed_size: 0
    .sgpr_count:     19
    .sgpr_spill_count: 0
    .symbol:         _ZL37rocblas_syrkx_herkx_restricted_kernelIi19rocblas_complex_numIfELi16ELi32ELi8ELi1ELi0ELb1ELc67ELc76EKPKS1_KPS1_EviT_PT9_S7_lS9_S7_lPT10_S7_li.kd
    .uniform_work_group_size: 1
    .uses_dynamic_stack: false
    .vgpr_count:     88
    .vgpr_spill_count: 0
    .wavefront_size: 32
    .workgroup_processor_mode: 1
  - .args:
      - .offset:         0
        .size:           4
        .value_kind:     by_value
      - .offset:         4
        .size:           4
        .value_kind:     by_value
      - .address_space:  global
        .offset:         8
        .size:           8
        .value_kind:     global_buffer
      - .offset:         16
        .size:           4
        .value_kind:     by_value
      - .offset:         24
        .size:           8
        .value_kind:     by_value
      - .address_space:  global
        .offset:         32
        .size:           8
        .value_kind:     global_buffer
      - .offset:         40
        .size:           4
        .value_kind:     by_value
      - .offset:         48
        .size:           8
        .value_kind:     by_value
      - .address_space:  global
        .offset:         56
        .size:           8
        .value_kind:     global_buffer
      - .offset:         64
        .size:           4
        .value_kind:     by_value
      - .offset:         72
        .size:           8
        .value_kind:     by_value
      - .offset:         80
        .size:           4
        .value_kind:     by_value
    .group_segment_fixed_size: 4096
    .kernarg_segment_align: 8
    .kernarg_segment_size: 84
    .language:       OpenCL C
    .language_version:
      - 2
      - 0
    .max_flat_workgroup_size: 256
    .name:           _ZL37rocblas_syrkx_herkx_restricted_kernelIi19rocblas_complex_numIfELi16ELi32ELi8ELi1ELi0ELb1ELc78ELc76EKPKS1_KPS1_EviT_PT9_S7_lS9_S7_lPT10_S7_li
    .private_segment_fixed_size: 0
    .sgpr_count:     22
    .sgpr_spill_count: 0
    .symbol:         _ZL37rocblas_syrkx_herkx_restricted_kernelIi19rocblas_complex_numIfELi16ELi32ELi8ELi1ELi0ELb1ELc78ELc76EKPKS1_KPS1_EviT_PT9_S7_lS9_S7_lPT10_S7_li.kd
    .uniform_work_group_size: 1
    .uses_dynamic_stack: false
    .vgpr_count:     88
    .vgpr_spill_count: 0
    .wavefront_size: 32
    .workgroup_processor_mode: 1
  - .args:
      - .offset:         0
        .size:           4
        .value_kind:     by_value
      - .offset:         4
        .size:           4
        .value_kind:     by_value
      - .address_space:  global
        .offset:         8
        .size:           8
        .value_kind:     global_buffer
      - .offset:         16
        .size:           4
        .value_kind:     by_value
      - .offset:         24
        .size:           8
        .value_kind:     by_value
      - .address_space:  global
        .offset:         32
        .size:           8
        .value_kind:     global_buffer
      - .offset:         40
        .size:           4
        .value_kind:     by_value
      - .offset:         48
        .size:           8
        .value_kind:     by_value
      - .address_space:  global
        .offset:         56
        .size:           8
        .value_kind:     global_buffer
      - .offset:         64
        .size:           4
        .value_kind:     by_value
      - .offset:         72
        .size:           8
        .value_kind:     by_value
      - .offset:         80
        .size:           4
        .value_kind:     by_value
    .group_segment_fixed_size: 4096
    .kernarg_segment_align: 8
    .kernarg_segment_size: 84
    .language:       OpenCL C
    .language_version:
      - 2
      - 0
    .max_flat_workgroup_size: 256
    .name:           _ZL37rocblas_syrkx_herkx_restricted_kernelIi19rocblas_complex_numIfELi16ELi32ELi8ELi1ELi0ELb1ELc84ELc85EKPKS1_KPS1_EviT_PT9_S7_lS9_S7_lPT10_S7_li
    .private_segment_fixed_size: 0
    .sgpr_count:     19
    .sgpr_spill_count: 0
    .symbol:         _ZL37rocblas_syrkx_herkx_restricted_kernelIi19rocblas_complex_numIfELi16ELi32ELi8ELi1ELi0ELb1ELc84ELc85EKPKS1_KPS1_EviT_PT9_S7_lS9_S7_lPT10_S7_li.kd
    .uniform_work_group_size: 1
    .uses_dynamic_stack: false
    .vgpr_count:     88
    .vgpr_spill_count: 0
    .wavefront_size: 32
    .workgroup_processor_mode: 1
  - .args:
      - .offset:         0
        .size:           4
        .value_kind:     by_value
      - .offset:         4
        .size:           4
        .value_kind:     by_value
      - .address_space:  global
        .offset:         8
        .size:           8
        .value_kind:     global_buffer
      - .offset:         16
        .size:           4
        .value_kind:     by_value
      - .offset:         24
        .size:           8
        .value_kind:     by_value
      - .address_space:  global
        .offset:         32
        .size:           8
        .value_kind:     global_buffer
      - .offset:         40
        .size:           4
        .value_kind:     by_value
      - .offset:         48
        .size:           8
        .value_kind:     by_value
      - .address_space:  global
        .offset:         56
        .size:           8
        .value_kind:     global_buffer
      - .offset:         64
        .size:           4
        .value_kind:     by_value
      - .offset:         72
        .size:           8
        .value_kind:     by_value
      - .offset:         80
        .size:           4
        .value_kind:     by_value
    .group_segment_fixed_size: 4096
    .kernarg_segment_align: 8
    .kernarg_segment_size: 84
    .language:       OpenCL C
    .language_version:
      - 2
      - 0
    .max_flat_workgroup_size: 256
    .name:           _ZL37rocblas_syrkx_herkx_restricted_kernelIi19rocblas_complex_numIfELi16ELi32ELi8ELi1ELi0ELb1ELc67ELc85EKPKS1_KPS1_EviT_PT9_S7_lS9_S7_lPT10_S7_li
    .private_segment_fixed_size: 0
    .sgpr_count:     19
    .sgpr_spill_count: 0
    .symbol:         _ZL37rocblas_syrkx_herkx_restricted_kernelIi19rocblas_complex_numIfELi16ELi32ELi8ELi1ELi0ELb1ELc67ELc85EKPKS1_KPS1_EviT_PT9_S7_lS9_S7_lPT10_S7_li.kd
    .uniform_work_group_size: 1
    .uses_dynamic_stack: false
    .vgpr_count:     88
    .vgpr_spill_count: 0
    .wavefront_size: 32
    .workgroup_processor_mode: 1
  - .args:
      - .offset:         0
        .size:           4
        .value_kind:     by_value
      - .offset:         4
        .size:           4
        .value_kind:     by_value
      - .address_space:  global
        .offset:         8
        .size:           8
        .value_kind:     global_buffer
      - .offset:         16
        .size:           4
        .value_kind:     by_value
      - .offset:         24
        .size:           8
        .value_kind:     by_value
      - .address_space:  global
        .offset:         32
        .size:           8
        .value_kind:     global_buffer
      - .offset:         40
        .size:           4
        .value_kind:     by_value
      - .offset:         48
        .size:           8
        .value_kind:     by_value
      - .address_space:  global
        .offset:         56
        .size:           8
        .value_kind:     global_buffer
      - .offset:         64
        .size:           4
        .value_kind:     by_value
      - .offset:         72
        .size:           8
        .value_kind:     by_value
      - .offset:         80
        .size:           4
        .value_kind:     by_value
    .group_segment_fixed_size: 4096
    .kernarg_segment_align: 8
    .kernarg_segment_size: 84
    .language:       OpenCL C
    .language_version:
      - 2
      - 0
    .max_flat_workgroup_size: 256
    .name:           _ZL37rocblas_syrkx_herkx_restricted_kernelIi19rocblas_complex_numIfELi16ELi32ELi8ELi1ELi0ELb1ELc78ELc85EKPKS1_KPS1_EviT_PT9_S7_lS9_S7_lPT10_S7_li
    .private_segment_fixed_size: 0
    .sgpr_count:     22
    .sgpr_spill_count: 0
    .symbol:         _ZL37rocblas_syrkx_herkx_restricted_kernelIi19rocblas_complex_numIfELi16ELi32ELi8ELi1ELi0ELb1ELc78ELc85EKPKS1_KPS1_EviT_PT9_S7_lS9_S7_lPT10_S7_li.kd
    .uniform_work_group_size: 1
    .uses_dynamic_stack: false
    .vgpr_count:     88
    .vgpr_spill_count: 0
    .wavefront_size: 32
    .workgroup_processor_mode: 1
  - .args:
      - .offset:         0
        .size:           4
        .value_kind:     by_value
      - .offset:         4
        .size:           4
        .value_kind:     by_value
      - .address_space:  global
        .offset:         8
        .size:           8
        .value_kind:     global_buffer
      - .offset:         16
        .size:           4
        .value_kind:     by_value
      - .offset:         24
        .size:           8
        .value_kind:     by_value
      - .address_space:  global
        .offset:         32
        .size:           8
        .value_kind:     global_buffer
      - .offset:         40
        .size:           4
        .value_kind:     by_value
      - .offset:         48
        .size:           8
        .value_kind:     by_value
      - .address_space:  global
        .offset:         56
        .size:           8
        .value_kind:     global_buffer
      - .offset:         64
        .size:           4
        .value_kind:     by_value
      - .offset:         72
        .size:           8
        .value_kind:     by_value
      - .offset:         80
        .size:           4
        .value_kind:     by_value
    .group_segment_fixed_size: 4096
    .kernarg_segment_align: 8
    .kernarg_segment_size: 84
    .language:       OpenCL C
    .language_version:
      - 2
      - 0
    .max_flat_workgroup_size: 256
    .name:           _ZL37rocblas_syrkx_herkx_restricted_kernelIi19rocblas_complex_numIfELi16ELi32ELi8ELin1ELi0ELb1ELc84ELc76EKPKS1_KPS1_EviT_PT9_S7_lS9_S7_lPT10_S7_li
    .private_segment_fixed_size: 0
    .sgpr_count:     19
    .sgpr_spill_count: 0
    .symbol:         _ZL37rocblas_syrkx_herkx_restricted_kernelIi19rocblas_complex_numIfELi16ELi32ELi8ELin1ELi0ELb1ELc84ELc76EKPKS1_KPS1_EviT_PT9_S7_lS9_S7_lPT10_S7_li.kd
    .uniform_work_group_size: 1
    .uses_dynamic_stack: false
    .vgpr_count:     91
    .vgpr_spill_count: 0
    .wavefront_size: 32
    .workgroup_processor_mode: 1
  - .args:
      - .offset:         0
        .size:           4
        .value_kind:     by_value
      - .offset:         4
        .size:           4
        .value_kind:     by_value
      - .address_space:  global
        .offset:         8
        .size:           8
        .value_kind:     global_buffer
      - .offset:         16
        .size:           4
        .value_kind:     by_value
      - .offset:         24
        .size:           8
        .value_kind:     by_value
      - .address_space:  global
        .offset:         32
        .size:           8
        .value_kind:     global_buffer
      - .offset:         40
        .size:           4
        .value_kind:     by_value
      - .offset:         48
        .size:           8
        .value_kind:     by_value
      - .address_space:  global
        .offset:         56
        .size:           8
        .value_kind:     global_buffer
      - .offset:         64
        .size:           4
        .value_kind:     by_value
      - .offset:         72
        .size:           8
        .value_kind:     by_value
      - .offset:         80
        .size:           4
        .value_kind:     by_value
    .group_segment_fixed_size: 4096
    .kernarg_segment_align: 8
    .kernarg_segment_size: 84
    .language:       OpenCL C
    .language_version:
      - 2
      - 0
    .max_flat_workgroup_size: 256
    .name:           _ZL37rocblas_syrkx_herkx_restricted_kernelIi19rocblas_complex_numIfELi16ELi32ELi8ELin1ELi0ELb1ELc67ELc76EKPKS1_KPS1_EviT_PT9_S7_lS9_S7_lPT10_S7_li
    .private_segment_fixed_size: 0
    .sgpr_count:     19
    .sgpr_spill_count: 0
    .symbol:         _ZL37rocblas_syrkx_herkx_restricted_kernelIi19rocblas_complex_numIfELi16ELi32ELi8ELin1ELi0ELb1ELc67ELc76EKPKS1_KPS1_EviT_PT9_S7_lS9_S7_lPT10_S7_li.kd
    .uniform_work_group_size: 1
    .uses_dynamic_stack: false
    .vgpr_count:     91
    .vgpr_spill_count: 0
    .wavefront_size: 32
    .workgroup_processor_mode: 1
  - .args:
      - .offset:         0
        .size:           4
        .value_kind:     by_value
      - .offset:         4
        .size:           4
        .value_kind:     by_value
      - .address_space:  global
        .offset:         8
        .size:           8
        .value_kind:     global_buffer
      - .offset:         16
        .size:           4
        .value_kind:     by_value
      - .offset:         24
        .size:           8
        .value_kind:     by_value
      - .address_space:  global
        .offset:         32
        .size:           8
        .value_kind:     global_buffer
      - .offset:         40
        .size:           4
        .value_kind:     by_value
      - .offset:         48
        .size:           8
        .value_kind:     by_value
      - .address_space:  global
        .offset:         56
        .size:           8
        .value_kind:     global_buffer
      - .offset:         64
        .size:           4
        .value_kind:     by_value
      - .offset:         72
        .size:           8
        .value_kind:     by_value
      - .offset:         80
        .size:           4
        .value_kind:     by_value
    .group_segment_fixed_size: 4096
    .kernarg_segment_align: 8
    .kernarg_segment_size: 84
    .language:       OpenCL C
    .language_version:
      - 2
      - 0
    .max_flat_workgroup_size: 256
    .name:           _ZL37rocblas_syrkx_herkx_restricted_kernelIi19rocblas_complex_numIfELi16ELi32ELi8ELin1ELi0ELb1ELc78ELc76EKPKS1_KPS1_EviT_PT9_S7_lS9_S7_lPT10_S7_li
    .private_segment_fixed_size: 0
    .sgpr_count:     22
    .sgpr_spill_count: 0
    .symbol:         _ZL37rocblas_syrkx_herkx_restricted_kernelIi19rocblas_complex_numIfELi16ELi32ELi8ELin1ELi0ELb1ELc78ELc76EKPKS1_KPS1_EviT_PT9_S7_lS9_S7_lPT10_S7_li.kd
    .uniform_work_group_size: 1
    .uses_dynamic_stack: false
    .vgpr_count:     92
    .vgpr_spill_count: 0
    .wavefront_size: 32
    .workgroup_processor_mode: 1
  - .args:
      - .offset:         0
        .size:           4
        .value_kind:     by_value
      - .offset:         4
        .size:           4
        .value_kind:     by_value
      - .address_space:  global
        .offset:         8
        .size:           8
        .value_kind:     global_buffer
      - .offset:         16
        .size:           4
        .value_kind:     by_value
      - .offset:         24
        .size:           8
        .value_kind:     by_value
      - .address_space:  global
        .offset:         32
        .size:           8
        .value_kind:     global_buffer
      - .offset:         40
        .size:           4
        .value_kind:     by_value
      - .offset:         48
        .size:           8
        .value_kind:     by_value
      - .address_space:  global
        .offset:         56
        .size:           8
        .value_kind:     global_buffer
      - .offset:         64
        .size:           4
        .value_kind:     by_value
      - .offset:         72
        .size:           8
        .value_kind:     by_value
      - .offset:         80
        .size:           4
        .value_kind:     by_value
    .group_segment_fixed_size: 4096
    .kernarg_segment_align: 8
    .kernarg_segment_size: 84
    .language:       OpenCL C
    .language_version:
      - 2
      - 0
    .max_flat_workgroup_size: 256
    .name:           _ZL37rocblas_syrkx_herkx_restricted_kernelIi19rocblas_complex_numIfELi16ELi32ELi8ELin1ELi0ELb1ELc84ELc85EKPKS1_KPS1_EviT_PT9_S7_lS9_S7_lPT10_S7_li
    .private_segment_fixed_size: 0
    .sgpr_count:     19
    .sgpr_spill_count: 0
    .symbol:         _ZL37rocblas_syrkx_herkx_restricted_kernelIi19rocblas_complex_numIfELi16ELi32ELi8ELin1ELi0ELb1ELc84ELc85EKPKS1_KPS1_EviT_PT9_S7_lS9_S7_lPT10_S7_li.kd
    .uniform_work_group_size: 1
    .uses_dynamic_stack: false
    .vgpr_count:     91
    .vgpr_spill_count: 0
    .wavefront_size: 32
    .workgroup_processor_mode: 1
  - .args:
      - .offset:         0
        .size:           4
        .value_kind:     by_value
      - .offset:         4
        .size:           4
        .value_kind:     by_value
      - .address_space:  global
        .offset:         8
        .size:           8
        .value_kind:     global_buffer
      - .offset:         16
        .size:           4
        .value_kind:     by_value
      - .offset:         24
        .size:           8
        .value_kind:     by_value
      - .address_space:  global
        .offset:         32
        .size:           8
        .value_kind:     global_buffer
      - .offset:         40
        .size:           4
        .value_kind:     by_value
      - .offset:         48
        .size:           8
        .value_kind:     by_value
      - .address_space:  global
        .offset:         56
        .size:           8
        .value_kind:     global_buffer
      - .offset:         64
        .size:           4
        .value_kind:     by_value
      - .offset:         72
        .size:           8
        .value_kind:     by_value
      - .offset:         80
        .size:           4
        .value_kind:     by_value
    .group_segment_fixed_size: 4096
    .kernarg_segment_align: 8
    .kernarg_segment_size: 84
    .language:       OpenCL C
    .language_version:
      - 2
      - 0
    .max_flat_workgroup_size: 256
    .name:           _ZL37rocblas_syrkx_herkx_restricted_kernelIi19rocblas_complex_numIfELi16ELi32ELi8ELin1ELi0ELb1ELc67ELc85EKPKS1_KPS1_EviT_PT9_S7_lS9_S7_lPT10_S7_li
    .private_segment_fixed_size: 0
    .sgpr_count:     19
    .sgpr_spill_count: 0
    .symbol:         _ZL37rocblas_syrkx_herkx_restricted_kernelIi19rocblas_complex_numIfELi16ELi32ELi8ELin1ELi0ELb1ELc67ELc85EKPKS1_KPS1_EviT_PT9_S7_lS9_S7_lPT10_S7_li.kd
    .uniform_work_group_size: 1
    .uses_dynamic_stack: false
    .vgpr_count:     91
    .vgpr_spill_count: 0
    .wavefront_size: 32
    .workgroup_processor_mode: 1
  - .args:
      - .offset:         0
        .size:           4
        .value_kind:     by_value
      - .offset:         4
        .size:           4
        .value_kind:     by_value
      - .address_space:  global
        .offset:         8
        .size:           8
        .value_kind:     global_buffer
      - .offset:         16
        .size:           4
        .value_kind:     by_value
      - .offset:         24
        .size:           8
        .value_kind:     by_value
      - .address_space:  global
        .offset:         32
        .size:           8
        .value_kind:     global_buffer
      - .offset:         40
        .size:           4
        .value_kind:     by_value
      - .offset:         48
        .size:           8
        .value_kind:     by_value
      - .address_space:  global
        .offset:         56
        .size:           8
        .value_kind:     global_buffer
      - .offset:         64
        .size:           4
        .value_kind:     by_value
      - .offset:         72
        .size:           8
        .value_kind:     by_value
      - .offset:         80
        .size:           4
        .value_kind:     by_value
    .group_segment_fixed_size: 4096
    .kernarg_segment_align: 8
    .kernarg_segment_size: 84
    .language:       OpenCL C
    .language_version:
      - 2
      - 0
    .max_flat_workgroup_size: 256
    .name:           _ZL37rocblas_syrkx_herkx_restricted_kernelIi19rocblas_complex_numIfELi16ELi32ELi8ELin1ELi0ELb1ELc78ELc85EKPKS1_KPS1_EviT_PT9_S7_lS9_S7_lPT10_S7_li
    .private_segment_fixed_size: 0
    .sgpr_count:     22
    .sgpr_spill_count: 0
    .symbol:         _ZL37rocblas_syrkx_herkx_restricted_kernelIi19rocblas_complex_numIfELi16ELi32ELi8ELin1ELi0ELb1ELc78ELc85EKPKS1_KPS1_EviT_PT9_S7_lS9_S7_lPT10_S7_li.kd
    .uniform_work_group_size: 1
    .uses_dynamic_stack: false
    .vgpr_count:     92
    .vgpr_spill_count: 0
    .wavefront_size: 32
    .workgroup_processor_mode: 1
  - .args:
      - .offset:         0
        .size:           4
        .value_kind:     by_value
      - .offset:         4
        .size:           4
        .value_kind:     by_value
      - .offset:         8
        .size:           8
        .value_kind:     by_value
      - .address_space:  global
        .offset:         16
        .size:           8
        .value_kind:     global_buffer
      - .offset:         24
        .size:           4
        .value_kind:     by_value
      - .offset:         32
        .size:           8
        .value_kind:     by_value
      - .address_space:  global
        .offset:         40
        .size:           8
        .value_kind:     global_buffer
      - .offset:         48
        .size:           4
        .value_kind:     by_value
      - .offset:         56
        .size:           8
        .value_kind:     by_value
      - .offset:         64
        .size:           8
        .value_kind:     by_value
      - .address_space:  global
        .offset:         72
        .size:           8
        .value_kind:     global_buffer
      - .offset:         80
        .size:           4
        .value_kind:     by_value
      - .offset:         88
        .size:           8
        .value_kind:     by_value
      - .offset:         96
        .size:           4
        .value_kind:     by_value
    .group_segment_fixed_size: 4096
    .kernarg_segment_align: 8
    .kernarg_segment_size: 100
    .language:       OpenCL C
    .language_version:
      - 2
      - 0
    .max_flat_workgroup_size: 256
    .name:           _ZL37rocblas_syrkx_herkx_restricted_kernelIi19rocblas_complex_numIfELi16ELi32ELi8ELb1ELb1ELc84ELc76EKPKS1_KPS1_EviT_T0_PT8_S7_lSA_S7_lS8_PT9_S7_li
    .private_segment_fixed_size: 0
    .sgpr_count:     21
    .sgpr_spill_count: 0
    .symbol:         _ZL37rocblas_syrkx_herkx_restricted_kernelIi19rocblas_complex_numIfELi16ELi32ELi8ELb1ELb1ELc84ELc76EKPKS1_KPS1_EviT_T0_PT8_S7_lSA_S7_lS8_PT9_S7_li.kd
    .uniform_work_group_size: 1
    .uses_dynamic_stack: false
    .vgpr_count:     91
    .vgpr_spill_count: 0
    .wavefront_size: 32
    .workgroup_processor_mode: 1
  - .args:
      - .offset:         0
        .size:           4
        .value_kind:     by_value
      - .offset:         4
        .size:           4
        .value_kind:     by_value
      - .offset:         8
        .size:           8
        .value_kind:     by_value
      - .address_space:  global
        .offset:         16
        .size:           8
        .value_kind:     global_buffer
      - .offset:         24
        .size:           4
        .value_kind:     by_value
      - .offset:         32
        .size:           8
        .value_kind:     by_value
      - .address_space:  global
        .offset:         40
        .size:           8
        .value_kind:     global_buffer
      - .offset:         48
        .size:           4
        .value_kind:     by_value
      - .offset:         56
        .size:           8
        .value_kind:     by_value
      - .offset:         64
        .size:           8
        .value_kind:     by_value
      - .address_space:  global
        .offset:         72
        .size:           8
        .value_kind:     global_buffer
      - .offset:         80
        .size:           4
        .value_kind:     by_value
      - .offset:         88
        .size:           8
        .value_kind:     by_value
      - .offset:         96
        .size:           4
        .value_kind:     by_value
    .group_segment_fixed_size: 4096
    .kernarg_segment_align: 8
    .kernarg_segment_size: 100
    .language:       OpenCL C
    .language_version:
      - 2
      - 0
    .max_flat_workgroup_size: 256
    .name:           _ZL37rocblas_syrkx_herkx_restricted_kernelIi19rocblas_complex_numIfELi16ELi32ELi8ELb1ELb1ELc67ELc76EKPKS1_KPS1_EviT_T0_PT8_S7_lSA_S7_lS8_PT9_S7_li
    .private_segment_fixed_size: 0
    .sgpr_count:     21
    .sgpr_spill_count: 0
    .symbol:         _ZL37rocblas_syrkx_herkx_restricted_kernelIi19rocblas_complex_numIfELi16ELi32ELi8ELb1ELb1ELc67ELc76EKPKS1_KPS1_EviT_T0_PT8_S7_lSA_S7_lS8_PT9_S7_li.kd
    .uniform_work_group_size: 1
    .uses_dynamic_stack: false
    .vgpr_count:     91
    .vgpr_spill_count: 0
    .wavefront_size: 32
    .workgroup_processor_mode: 1
  - .args:
      - .offset:         0
        .size:           4
        .value_kind:     by_value
      - .offset:         4
        .size:           4
        .value_kind:     by_value
      - .offset:         8
        .size:           8
        .value_kind:     by_value
      - .address_space:  global
        .offset:         16
        .size:           8
        .value_kind:     global_buffer
      - .offset:         24
        .size:           4
        .value_kind:     by_value
      - .offset:         32
        .size:           8
        .value_kind:     by_value
      - .address_space:  global
        .offset:         40
        .size:           8
        .value_kind:     global_buffer
      - .offset:         48
        .size:           4
        .value_kind:     by_value
      - .offset:         56
        .size:           8
        .value_kind:     by_value
      - .offset:         64
        .size:           8
        .value_kind:     by_value
      - .address_space:  global
        .offset:         72
        .size:           8
        .value_kind:     global_buffer
      - .offset:         80
        .size:           4
        .value_kind:     by_value
      - .offset:         88
        .size:           8
        .value_kind:     by_value
      - .offset:         96
        .size:           4
        .value_kind:     by_value
    .group_segment_fixed_size: 4096
    .kernarg_segment_align: 8
    .kernarg_segment_size: 100
    .language:       OpenCL C
    .language_version:
      - 2
      - 0
    .max_flat_workgroup_size: 256
    .name:           _ZL37rocblas_syrkx_herkx_restricted_kernelIi19rocblas_complex_numIfELi16ELi32ELi8ELb1ELb1ELc78ELc76EKPKS1_KPS1_EviT_T0_PT8_S7_lSA_S7_lS8_PT9_S7_li
    .private_segment_fixed_size: 0
    .sgpr_count:     24
    .sgpr_spill_count: 0
    .symbol:         _ZL37rocblas_syrkx_herkx_restricted_kernelIi19rocblas_complex_numIfELi16ELi32ELi8ELb1ELb1ELc78ELc76EKPKS1_KPS1_EviT_T0_PT8_S7_lSA_S7_lS8_PT9_S7_li.kd
    .uniform_work_group_size: 1
    .uses_dynamic_stack: false
    .vgpr_count:     92
    .vgpr_spill_count: 0
    .wavefront_size: 32
    .workgroup_processor_mode: 1
  - .args:
      - .offset:         0
        .size:           4
        .value_kind:     by_value
      - .offset:         4
        .size:           4
        .value_kind:     by_value
      - .offset:         8
        .size:           8
        .value_kind:     by_value
      - .address_space:  global
        .offset:         16
        .size:           8
        .value_kind:     global_buffer
      - .offset:         24
        .size:           4
        .value_kind:     by_value
      - .offset:         32
        .size:           8
        .value_kind:     by_value
      - .address_space:  global
        .offset:         40
        .size:           8
        .value_kind:     global_buffer
      - .offset:         48
        .size:           4
        .value_kind:     by_value
      - .offset:         56
        .size:           8
        .value_kind:     by_value
      - .offset:         64
        .size:           8
        .value_kind:     by_value
      - .address_space:  global
        .offset:         72
        .size:           8
        .value_kind:     global_buffer
      - .offset:         80
        .size:           4
        .value_kind:     by_value
      - .offset:         88
        .size:           8
        .value_kind:     by_value
      - .offset:         96
        .size:           4
        .value_kind:     by_value
    .group_segment_fixed_size: 4096
    .kernarg_segment_align: 8
    .kernarg_segment_size: 100
    .language:       OpenCL C
    .language_version:
      - 2
      - 0
    .max_flat_workgroup_size: 256
    .name:           _ZL37rocblas_syrkx_herkx_restricted_kernelIi19rocblas_complex_numIfELi16ELi32ELi8ELb1ELb1ELc84ELc85EKPKS1_KPS1_EviT_T0_PT8_S7_lSA_S7_lS8_PT9_S7_li
    .private_segment_fixed_size: 0
    .sgpr_count:     21
    .sgpr_spill_count: 0
    .symbol:         _ZL37rocblas_syrkx_herkx_restricted_kernelIi19rocblas_complex_numIfELi16ELi32ELi8ELb1ELb1ELc84ELc85EKPKS1_KPS1_EviT_T0_PT8_S7_lSA_S7_lS8_PT9_S7_li.kd
    .uniform_work_group_size: 1
    .uses_dynamic_stack: false
    .vgpr_count:     91
    .vgpr_spill_count: 0
    .wavefront_size: 32
    .workgroup_processor_mode: 1
  - .args:
      - .offset:         0
        .size:           4
        .value_kind:     by_value
      - .offset:         4
        .size:           4
        .value_kind:     by_value
      - .offset:         8
        .size:           8
        .value_kind:     by_value
      - .address_space:  global
        .offset:         16
        .size:           8
        .value_kind:     global_buffer
      - .offset:         24
        .size:           4
        .value_kind:     by_value
      - .offset:         32
        .size:           8
        .value_kind:     by_value
      - .address_space:  global
        .offset:         40
        .size:           8
        .value_kind:     global_buffer
      - .offset:         48
        .size:           4
        .value_kind:     by_value
      - .offset:         56
        .size:           8
        .value_kind:     by_value
      - .offset:         64
        .size:           8
        .value_kind:     by_value
      - .address_space:  global
        .offset:         72
        .size:           8
        .value_kind:     global_buffer
      - .offset:         80
        .size:           4
        .value_kind:     by_value
      - .offset:         88
        .size:           8
        .value_kind:     by_value
      - .offset:         96
        .size:           4
        .value_kind:     by_value
    .group_segment_fixed_size: 4096
    .kernarg_segment_align: 8
    .kernarg_segment_size: 100
    .language:       OpenCL C
    .language_version:
      - 2
      - 0
    .max_flat_workgroup_size: 256
    .name:           _ZL37rocblas_syrkx_herkx_restricted_kernelIi19rocblas_complex_numIfELi16ELi32ELi8ELb1ELb1ELc67ELc85EKPKS1_KPS1_EviT_T0_PT8_S7_lSA_S7_lS8_PT9_S7_li
    .private_segment_fixed_size: 0
    .sgpr_count:     21
    .sgpr_spill_count: 0
    .symbol:         _ZL37rocblas_syrkx_herkx_restricted_kernelIi19rocblas_complex_numIfELi16ELi32ELi8ELb1ELb1ELc67ELc85EKPKS1_KPS1_EviT_T0_PT8_S7_lSA_S7_lS8_PT9_S7_li.kd
    .uniform_work_group_size: 1
    .uses_dynamic_stack: false
    .vgpr_count:     91
    .vgpr_spill_count: 0
    .wavefront_size: 32
    .workgroup_processor_mode: 1
  - .args:
      - .offset:         0
        .size:           4
        .value_kind:     by_value
      - .offset:         4
        .size:           4
        .value_kind:     by_value
      - .offset:         8
        .size:           8
        .value_kind:     by_value
      - .address_space:  global
        .offset:         16
        .size:           8
        .value_kind:     global_buffer
      - .offset:         24
        .size:           4
        .value_kind:     by_value
      - .offset:         32
        .size:           8
        .value_kind:     by_value
      - .address_space:  global
        .offset:         40
        .size:           8
        .value_kind:     global_buffer
      - .offset:         48
        .size:           4
        .value_kind:     by_value
      - .offset:         56
        .size:           8
        .value_kind:     by_value
      - .offset:         64
        .size:           8
        .value_kind:     by_value
      - .address_space:  global
        .offset:         72
        .size:           8
        .value_kind:     global_buffer
      - .offset:         80
        .size:           4
        .value_kind:     by_value
      - .offset:         88
        .size:           8
        .value_kind:     by_value
      - .offset:         96
        .size:           4
        .value_kind:     by_value
    .group_segment_fixed_size: 4096
    .kernarg_segment_align: 8
    .kernarg_segment_size: 100
    .language:       OpenCL C
    .language_version:
      - 2
      - 0
    .max_flat_workgroup_size: 256
    .name:           _ZL37rocblas_syrkx_herkx_restricted_kernelIi19rocblas_complex_numIfELi16ELi32ELi8ELb1ELb1ELc78ELc85EKPKS1_KPS1_EviT_T0_PT8_S7_lSA_S7_lS8_PT9_S7_li
    .private_segment_fixed_size: 0
    .sgpr_count:     24
    .sgpr_spill_count: 0
    .symbol:         _ZL37rocblas_syrkx_herkx_restricted_kernelIi19rocblas_complex_numIfELi16ELi32ELi8ELb1ELb1ELc78ELc85EKPKS1_KPS1_EviT_T0_PT8_S7_lSA_S7_lS8_PT9_S7_li.kd
    .uniform_work_group_size: 1
    .uses_dynamic_stack: false
    .vgpr_count:     92
    .vgpr_spill_count: 0
    .wavefront_size: 32
    .workgroup_processor_mode: 1
  - .args:
      - .offset:         0
        .size:           4
        .value_kind:     by_value
      - .offset:         4
        .size:           4
        .value_kind:     by_value
      - .offset:         8
        .size:           8
        .value_kind:     by_value
      - .address_space:  global
        .offset:         16
        .size:           8
        .value_kind:     global_buffer
      - .offset:         24
        .size:           4
        .value_kind:     by_value
      - .offset:         32
        .size:           8
        .value_kind:     by_value
      - .address_space:  global
        .offset:         40
        .size:           8
        .value_kind:     global_buffer
      - .offset:         48
        .size:           4
        .value_kind:     by_value
      - .offset:         56
        .size:           8
        .value_kind:     by_value
      - .offset:         64
        .size:           8
        .value_kind:     by_value
      - .address_space:  global
        .offset:         72
        .size:           8
        .value_kind:     global_buffer
      - .offset:         80
        .size:           4
        .value_kind:     by_value
      - .offset:         88
        .size:           8
        .value_kind:     by_value
      - .offset:         96
        .size:           4
        .value_kind:     by_value
    .group_segment_fixed_size: 4096
    .kernarg_segment_align: 8
    .kernarg_segment_size: 100
    .language:       OpenCL C
    .language_version:
      - 2
      - 0
    .max_flat_workgroup_size: 256
    .name:           _ZL37rocblas_syrkx_herkx_restricted_kernelIi19rocblas_complex_numIfELi16ELi32ELi8ELb0ELb1ELc84ELc76EKPKS1_KPS1_EviT_T0_PT8_S7_lSA_S7_lS8_PT9_S7_li
    .private_segment_fixed_size: 0
    .sgpr_count:     24
    .sgpr_spill_count: 0
    .symbol:         _ZL37rocblas_syrkx_herkx_restricted_kernelIi19rocblas_complex_numIfELi16ELi32ELi8ELb0ELb1ELc84ELc76EKPKS1_KPS1_EviT_T0_PT8_S7_lSA_S7_lS8_PT9_S7_li.kd
    .uniform_work_group_size: 1
    .uses_dynamic_stack: false
    .vgpr_count:     91
    .vgpr_spill_count: 0
    .wavefront_size: 32
    .workgroup_processor_mode: 1
  - .args:
      - .offset:         0
        .size:           4
        .value_kind:     by_value
      - .offset:         4
        .size:           4
        .value_kind:     by_value
      - .offset:         8
        .size:           8
        .value_kind:     by_value
      - .address_space:  global
        .offset:         16
        .size:           8
        .value_kind:     global_buffer
      - .offset:         24
        .size:           4
        .value_kind:     by_value
      - .offset:         32
        .size:           8
        .value_kind:     by_value
      - .address_space:  global
        .offset:         40
        .size:           8
        .value_kind:     global_buffer
      - .offset:         48
        .size:           4
        .value_kind:     by_value
      - .offset:         56
        .size:           8
        .value_kind:     by_value
      - .offset:         64
        .size:           8
        .value_kind:     by_value
      - .address_space:  global
        .offset:         72
        .size:           8
        .value_kind:     global_buffer
      - .offset:         80
        .size:           4
        .value_kind:     by_value
      - .offset:         88
        .size:           8
        .value_kind:     by_value
      - .offset:         96
        .size:           4
        .value_kind:     by_value
    .group_segment_fixed_size: 4096
    .kernarg_segment_align: 8
    .kernarg_segment_size: 100
    .language:       OpenCL C
    .language_version:
      - 2
      - 0
    .max_flat_workgroup_size: 256
    .name:           _ZL37rocblas_syrkx_herkx_restricted_kernelIi19rocblas_complex_numIfELi16ELi32ELi8ELb0ELb1ELc67ELc76EKPKS1_KPS1_EviT_T0_PT8_S7_lSA_S7_lS8_PT9_S7_li
    .private_segment_fixed_size: 0
    .sgpr_count:     24
    .sgpr_spill_count: 0
    .symbol:         _ZL37rocblas_syrkx_herkx_restricted_kernelIi19rocblas_complex_numIfELi16ELi32ELi8ELb0ELb1ELc67ELc76EKPKS1_KPS1_EviT_T0_PT8_S7_lSA_S7_lS8_PT9_S7_li.kd
    .uniform_work_group_size: 1
    .uses_dynamic_stack: false
    .vgpr_count:     91
    .vgpr_spill_count: 0
    .wavefront_size: 32
    .workgroup_processor_mode: 1
  - .args:
      - .offset:         0
        .size:           4
        .value_kind:     by_value
      - .offset:         4
        .size:           4
        .value_kind:     by_value
      - .offset:         8
        .size:           8
        .value_kind:     by_value
      - .address_space:  global
        .offset:         16
        .size:           8
        .value_kind:     global_buffer
      - .offset:         24
        .size:           4
        .value_kind:     by_value
      - .offset:         32
        .size:           8
        .value_kind:     by_value
      - .address_space:  global
        .offset:         40
        .size:           8
        .value_kind:     global_buffer
      - .offset:         48
        .size:           4
        .value_kind:     by_value
      - .offset:         56
        .size:           8
        .value_kind:     by_value
      - .offset:         64
        .size:           8
        .value_kind:     by_value
      - .address_space:  global
        .offset:         72
        .size:           8
        .value_kind:     global_buffer
      - .offset:         80
        .size:           4
        .value_kind:     by_value
      - .offset:         88
        .size:           8
        .value_kind:     by_value
      - .offset:         96
        .size:           4
        .value_kind:     by_value
    .group_segment_fixed_size: 4096
    .kernarg_segment_align: 8
    .kernarg_segment_size: 100
    .language:       OpenCL C
    .language_version:
      - 2
      - 0
    .max_flat_workgroup_size: 256
    .name:           _ZL37rocblas_syrkx_herkx_restricted_kernelIi19rocblas_complex_numIfELi16ELi32ELi8ELb0ELb1ELc78ELc76EKPKS1_KPS1_EviT_T0_PT8_S7_lSA_S7_lS8_PT9_S7_li
    .private_segment_fixed_size: 0
    .sgpr_count:     26
    .sgpr_spill_count: 0
    .symbol:         _ZL37rocblas_syrkx_herkx_restricted_kernelIi19rocblas_complex_numIfELi16ELi32ELi8ELb0ELb1ELc78ELc76EKPKS1_KPS1_EviT_T0_PT8_S7_lSA_S7_lS8_PT9_S7_li.kd
    .uniform_work_group_size: 1
    .uses_dynamic_stack: false
    .vgpr_count:     92
    .vgpr_spill_count: 0
    .wavefront_size: 32
    .workgroup_processor_mode: 1
  - .args:
      - .offset:         0
        .size:           4
        .value_kind:     by_value
      - .offset:         4
        .size:           4
        .value_kind:     by_value
      - .offset:         8
        .size:           8
        .value_kind:     by_value
      - .address_space:  global
        .offset:         16
        .size:           8
        .value_kind:     global_buffer
      - .offset:         24
        .size:           4
        .value_kind:     by_value
      - .offset:         32
        .size:           8
        .value_kind:     by_value
      - .address_space:  global
        .offset:         40
        .size:           8
        .value_kind:     global_buffer
      - .offset:         48
        .size:           4
        .value_kind:     by_value
      - .offset:         56
        .size:           8
        .value_kind:     by_value
      - .offset:         64
        .size:           8
        .value_kind:     by_value
      - .address_space:  global
        .offset:         72
        .size:           8
        .value_kind:     global_buffer
      - .offset:         80
        .size:           4
        .value_kind:     by_value
      - .offset:         88
        .size:           8
        .value_kind:     by_value
      - .offset:         96
        .size:           4
        .value_kind:     by_value
    .group_segment_fixed_size: 4096
    .kernarg_segment_align: 8
    .kernarg_segment_size: 100
    .language:       OpenCL C
    .language_version:
      - 2
      - 0
    .max_flat_workgroup_size: 256
    .name:           _ZL37rocblas_syrkx_herkx_restricted_kernelIi19rocblas_complex_numIfELi16ELi32ELi8ELb0ELb1ELc84ELc85EKPKS1_KPS1_EviT_T0_PT8_S7_lSA_S7_lS8_PT9_S7_li
    .private_segment_fixed_size: 0
    .sgpr_count:     23
    .sgpr_spill_count: 0
    .symbol:         _ZL37rocblas_syrkx_herkx_restricted_kernelIi19rocblas_complex_numIfELi16ELi32ELi8ELb0ELb1ELc84ELc85EKPKS1_KPS1_EviT_T0_PT8_S7_lSA_S7_lS8_PT9_S7_li.kd
    .uniform_work_group_size: 1
    .uses_dynamic_stack: false
    .vgpr_count:     91
    .vgpr_spill_count: 0
    .wavefront_size: 32
    .workgroup_processor_mode: 1
  - .args:
      - .offset:         0
        .size:           4
        .value_kind:     by_value
      - .offset:         4
        .size:           4
        .value_kind:     by_value
      - .offset:         8
        .size:           8
        .value_kind:     by_value
      - .address_space:  global
        .offset:         16
        .size:           8
        .value_kind:     global_buffer
      - .offset:         24
        .size:           4
        .value_kind:     by_value
      - .offset:         32
        .size:           8
        .value_kind:     by_value
      - .address_space:  global
        .offset:         40
        .size:           8
        .value_kind:     global_buffer
      - .offset:         48
        .size:           4
        .value_kind:     by_value
      - .offset:         56
        .size:           8
        .value_kind:     by_value
      - .offset:         64
        .size:           8
        .value_kind:     by_value
      - .address_space:  global
        .offset:         72
        .size:           8
        .value_kind:     global_buffer
      - .offset:         80
        .size:           4
        .value_kind:     by_value
      - .offset:         88
        .size:           8
        .value_kind:     by_value
      - .offset:         96
        .size:           4
        .value_kind:     by_value
    .group_segment_fixed_size: 4096
    .kernarg_segment_align: 8
    .kernarg_segment_size: 100
    .language:       OpenCL C
    .language_version:
      - 2
      - 0
    .max_flat_workgroup_size: 256
    .name:           _ZL37rocblas_syrkx_herkx_restricted_kernelIi19rocblas_complex_numIfELi16ELi32ELi8ELb0ELb1ELc67ELc85EKPKS1_KPS1_EviT_T0_PT8_S7_lSA_S7_lS8_PT9_S7_li
    .private_segment_fixed_size: 0
    .sgpr_count:     23
    .sgpr_spill_count: 0
    .symbol:         _ZL37rocblas_syrkx_herkx_restricted_kernelIi19rocblas_complex_numIfELi16ELi32ELi8ELb0ELb1ELc67ELc85EKPKS1_KPS1_EviT_T0_PT8_S7_lSA_S7_lS8_PT9_S7_li.kd
    .uniform_work_group_size: 1
    .uses_dynamic_stack: false
    .vgpr_count:     91
    .vgpr_spill_count: 0
    .wavefront_size: 32
    .workgroup_processor_mode: 1
  - .args:
      - .offset:         0
        .size:           4
        .value_kind:     by_value
      - .offset:         4
        .size:           4
        .value_kind:     by_value
      - .offset:         8
        .size:           8
        .value_kind:     by_value
      - .address_space:  global
        .offset:         16
        .size:           8
        .value_kind:     global_buffer
      - .offset:         24
        .size:           4
        .value_kind:     by_value
      - .offset:         32
        .size:           8
        .value_kind:     by_value
      - .address_space:  global
        .offset:         40
        .size:           8
        .value_kind:     global_buffer
      - .offset:         48
        .size:           4
        .value_kind:     by_value
      - .offset:         56
        .size:           8
        .value_kind:     by_value
      - .offset:         64
        .size:           8
        .value_kind:     by_value
      - .address_space:  global
        .offset:         72
        .size:           8
        .value_kind:     global_buffer
      - .offset:         80
        .size:           4
        .value_kind:     by_value
      - .offset:         88
        .size:           8
        .value_kind:     by_value
      - .offset:         96
        .size:           4
        .value_kind:     by_value
    .group_segment_fixed_size: 4096
    .kernarg_segment_align: 8
    .kernarg_segment_size: 100
    .language:       OpenCL C
    .language_version:
      - 2
      - 0
    .max_flat_workgroup_size: 256
    .name:           _ZL37rocblas_syrkx_herkx_restricted_kernelIi19rocblas_complex_numIfELi16ELi32ELi8ELb0ELb1ELc78ELc85EKPKS1_KPS1_EviT_T0_PT8_S7_lSA_S7_lS8_PT9_S7_li
    .private_segment_fixed_size: 0
    .sgpr_count:     26
    .sgpr_spill_count: 0
    .symbol:         _ZL37rocblas_syrkx_herkx_restricted_kernelIi19rocblas_complex_numIfELi16ELi32ELi8ELb0ELb1ELc78ELc85EKPKS1_KPS1_EviT_T0_PT8_S7_lSA_S7_lS8_PT9_S7_li.kd
    .uniform_work_group_size: 1
    .uses_dynamic_stack: false
    .vgpr_count:     92
    .vgpr_spill_count: 0
    .wavefront_size: 32
    .workgroup_processor_mode: 1
  - .args:
      - .offset:         0
        .size:           4
        .value_kind:     by_value
      - .offset:         4
        .size:           4
        .value_kind:     by_value
      - .offset:         8
        .size:           8
        .value_kind:     by_value
      - .address_space:  global
        .offset:         16
        .size:           8
        .value_kind:     global_buffer
      - .offset:         24
        .size:           4
        .value_kind:     by_value
      - .offset:         32
        .size:           8
        .value_kind:     by_value
      - .address_space:  global
        .offset:         40
        .size:           8
        .value_kind:     global_buffer
      - .offset:         48
        .size:           4
        .value_kind:     by_value
      - .offset:         56
        .size:           8
        .value_kind:     by_value
      - .offset:         64
        .size:           8
        .value_kind:     by_value
      - .address_space:  global
        .offset:         72
        .size:           8
        .value_kind:     global_buffer
      - .offset:         80
        .size:           4
        .value_kind:     by_value
      - .offset:         88
        .size:           8
        .value_kind:     by_value
      - .offset:         96
        .size:           4
        .value_kind:     by_value
    .group_segment_fixed_size: 4096
    .kernarg_segment_align: 8
    .kernarg_segment_size: 100
    .language:       OpenCL C
    .language_version:
      - 2
      - 0
    .max_flat_workgroup_size: 256
    .name:           _ZL41rocblas_syrkx_herkx_small_restrict_kernelIi19rocblas_complex_numIfELi16ELb1ELb1ELc84ELc76EKPKS1_KPS1_EviT_T0_PT6_S7_lSA_S7_lS8_PT7_S7_li
    .private_segment_fixed_size: 0
    .sgpr_count:     18
    .sgpr_spill_count: 0
    .symbol:         _ZL41rocblas_syrkx_herkx_small_restrict_kernelIi19rocblas_complex_numIfELi16ELb1ELb1ELc84ELc76EKPKS1_KPS1_EviT_T0_PT6_S7_lSA_S7_lS8_PT7_S7_li.kd
    .uniform_work_group_size: 1
    .uses_dynamic_stack: false
    .vgpr_count:     85
    .vgpr_spill_count: 0
    .wavefront_size: 32
    .workgroup_processor_mode: 1
  - .args:
      - .offset:         0
        .size:           4
        .value_kind:     by_value
      - .offset:         4
        .size:           4
        .value_kind:     by_value
      - .offset:         8
        .size:           8
        .value_kind:     by_value
      - .address_space:  global
        .offset:         16
        .size:           8
        .value_kind:     global_buffer
      - .offset:         24
        .size:           4
        .value_kind:     by_value
      - .offset:         32
        .size:           8
        .value_kind:     by_value
      - .address_space:  global
        .offset:         40
        .size:           8
        .value_kind:     global_buffer
      - .offset:         48
        .size:           4
        .value_kind:     by_value
      - .offset:         56
        .size:           8
        .value_kind:     by_value
      - .offset:         64
        .size:           8
        .value_kind:     by_value
      - .address_space:  global
        .offset:         72
        .size:           8
        .value_kind:     global_buffer
      - .offset:         80
        .size:           4
        .value_kind:     by_value
      - .offset:         88
        .size:           8
        .value_kind:     by_value
      - .offset:         96
        .size:           4
        .value_kind:     by_value
    .group_segment_fixed_size: 4096
    .kernarg_segment_align: 8
    .kernarg_segment_size: 100
    .language:       OpenCL C
    .language_version:
      - 2
      - 0
    .max_flat_workgroup_size: 256
    .name:           _ZL41rocblas_syrkx_herkx_small_restrict_kernelIi19rocblas_complex_numIfELi16ELb1ELb1ELc67ELc76EKPKS1_KPS1_EviT_T0_PT6_S7_lSA_S7_lS8_PT7_S7_li
    .private_segment_fixed_size: 0
    .sgpr_count:     18
    .sgpr_spill_count: 0
    .symbol:         _ZL41rocblas_syrkx_herkx_small_restrict_kernelIi19rocblas_complex_numIfELi16ELb1ELb1ELc67ELc76EKPKS1_KPS1_EviT_T0_PT6_S7_lSA_S7_lS8_PT7_S7_li.kd
    .uniform_work_group_size: 1
    .uses_dynamic_stack: false
    .vgpr_count:     85
    .vgpr_spill_count: 0
    .wavefront_size: 32
    .workgroup_processor_mode: 1
  - .args:
      - .offset:         0
        .size:           4
        .value_kind:     by_value
      - .offset:         4
        .size:           4
        .value_kind:     by_value
      - .offset:         8
        .size:           8
        .value_kind:     by_value
      - .address_space:  global
        .offset:         16
        .size:           8
        .value_kind:     global_buffer
      - .offset:         24
        .size:           4
        .value_kind:     by_value
      - .offset:         32
        .size:           8
        .value_kind:     by_value
      - .address_space:  global
        .offset:         40
        .size:           8
        .value_kind:     global_buffer
      - .offset:         48
        .size:           4
        .value_kind:     by_value
      - .offset:         56
        .size:           8
        .value_kind:     by_value
      - .offset:         64
        .size:           8
        .value_kind:     by_value
      - .address_space:  global
        .offset:         72
        .size:           8
        .value_kind:     global_buffer
      - .offset:         80
        .size:           4
        .value_kind:     by_value
      - .offset:         88
        .size:           8
        .value_kind:     by_value
      - .offset:         96
        .size:           4
        .value_kind:     by_value
    .group_segment_fixed_size: 4096
    .kernarg_segment_align: 8
    .kernarg_segment_size: 100
    .language:       OpenCL C
    .language_version:
      - 2
      - 0
    .max_flat_workgroup_size: 256
    .name:           _ZL41rocblas_syrkx_herkx_small_restrict_kernelIi19rocblas_complex_numIfELi16ELb1ELb1ELc78ELc76EKPKS1_KPS1_EviT_T0_PT6_S7_lSA_S7_lS8_PT7_S7_li
    .private_segment_fixed_size: 0
    .sgpr_count:     20
    .sgpr_spill_count: 0
    .symbol:         _ZL41rocblas_syrkx_herkx_small_restrict_kernelIi19rocblas_complex_numIfELi16ELb1ELb1ELc78ELc76EKPKS1_KPS1_EviT_T0_PT6_S7_lSA_S7_lS8_PT7_S7_li.kd
    .uniform_work_group_size: 1
    .uses_dynamic_stack: false
    .vgpr_count:     86
    .vgpr_spill_count: 0
    .wavefront_size: 32
    .workgroup_processor_mode: 1
  - .args:
      - .offset:         0
        .size:           4
        .value_kind:     by_value
      - .offset:         4
        .size:           4
        .value_kind:     by_value
      - .offset:         8
        .size:           8
        .value_kind:     by_value
      - .address_space:  global
        .offset:         16
        .size:           8
        .value_kind:     global_buffer
      - .offset:         24
        .size:           4
        .value_kind:     by_value
      - .offset:         32
        .size:           8
        .value_kind:     by_value
      - .address_space:  global
        .offset:         40
        .size:           8
        .value_kind:     global_buffer
      - .offset:         48
        .size:           4
        .value_kind:     by_value
      - .offset:         56
        .size:           8
        .value_kind:     by_value
      - .offset:         64
        .size:           8
        .value_kind:     by_value
      - .address_space:  global
        .offset:         72
        .size:           8
        .value_kind:     global_buffer
      - .offset:         80
        .size:           4
        .value_kind:     by_value
      - .offset:         88
        .size:           8
        .value_kind:     by_value
      - .offset:         96
        .size:           4
        .value_kind:     by_value
    .group_segment_fixed_size: 4096
    .kernarg_segment_align: 8
    .kernarg_segment_size: 100
    .language:       OpenCL C
    .language_version:
      - 2
      - 0
    .max_flat_workgroup_size: 256
    .name:           _ZL41rocblas_syrkx_herkx_small_restrict_kernelIi19rocblas_complex_numIfELi16ELb1ELb1ELc84ELc85EKPKS1_KPS1_EviT_T0_PT6_S7_lSA_S7_lS8_PT7_S7_li
    .private_segment_fixed_size: 0
    .sgpr_count:     18
    .sgpr_spill_count: 0
    .symbol:         _ZL41rocblas_syrkx_herkx_small_restrict_kernelIi19rocblas_complex_numIfELi16ELb1ELb1ELc84ELc85EKPKS1_KPS1_EviT_T0_PT6_S7_lSA_S7_lS8_PT7_S7_li.kd
    .uniform_work_group_size: 1
    .uses_dynamic_stack: false
    .vgpr_count:     85
    .vgpr_spill_count: 0
    .wavefront_size: 32
    .workgroup_processor_mode: 1
  - .args:
      - .offset:         0
        .size:           4
        .value_kind:     by_value
      - .offset:         4
        .size:           4
        .value_kind:     by_value
      - .offset:         8
        .size:           8
        .value_kind:     by_value
      - .address_space:  global
        .offset:         16
        .size:           8
        .value_kind:     global_buffer
      - .offset:         24
        .size:           4
        .value_kind:     by_value
      - .offset:         32
        .size:           8
        .value_kind:     by_value
      - .address_space:  global
        .offset:         40
        .size:           8
        .value_kind:     global_buffer
      - .offset:         48
        .size:           4
        .value_kind:     by_value
      - .offset:         56
        .size:           8
        .value_kind:     by_value
      - .offset:         64
        .size:           8
        .value_kind:     by_value
      - .address_space:  global
        .offset:         72
        .size:           8
        .value_kind:     global_buffer
      - .offset:         80
        .size:           4
        .value_kind:     by_value
      - .offset:         88
        .size:           8
        .value_kind:     by_value
      - .offset:         96
        .size:           4
        .value_kind:     by_value
    .group_segment_fixed_size: 4096
    .kernarg_segment_align: 8
    .kernarg_segment_size: 100
    .language:       OpenCL C
    .language_version:
      - 2
      - 0
    .max_flat_workgroup_size: 256
    .name:           _ZL41rocblas_syrkx_herkx_small_restrict_kernelIi19rocblas_complex_numIfELi16ELb1ELb1ELc67ELc85EKPKS1_KPS1_EviT_T0_PT6_S7_lSA_S7_lS8_PT7_S7_li
    .private_segment_fixed_size: 0
    .sgpr_count:     18
    .sgpr_spill_count: 0
    .symbol:         _ZL41rocblas_syrkx_herkx_small_restrict_kernelIi19rocblas_complex_numIfELi16ELb1ELb1ELc67ELc85EKPKS1_KPS1_EviT_T0_PT6_S7_lSA_S7_lS8_PT7_S7_li.kd
    .uniform_work_group_size: 1
    .uses_dynamic_stack: false
    .vgpr_count:     85
    .vgpr_spill_count: 0
    .wavefront_size: 32
    .workgroup_processor_mode: 1
  - .args:
      - .offset:         0
        .size:           4
        .value_kind:     by_value
      - .offset:         4
        .size:           4
        .value_kind:     by_value
      - .offset:         8
        .size:           8
        .value_kind:     by_value
      - .address_space:  global
        .offset:         16
        .size:           8
        .value_kind:     global_buffer
      - .offset:         24
        .size:           4
        .value_kind:     by_value
      - .offset:         32
        .size:           8
        .value_kind:     by_value
      - .address_space:  global
        .offset:         40
        .size:           8
        .value_kind:     global_buffer
      - .offset:         48
        .size:           4
        .value_kind:     by_value
      - .offset:         56
        .size:           8
        .value_kind:     by_value
      - .offset:         64
        .size:           8
        .value_kind:     by_value
      - .address_space:  global
        .offset:         72
        .size:           8
        .value_kind:     global_buffer
      - .offset:         80
        .size:           4
        .value_kind:     by_value
      - .offset:         88
        .size:           8
        .value_kind:     by_value
      - .offset:         96
        .size:           4
        .value_kind:     by_value
    .group_segment_fixed_size: 4096
    .kernarg_segment_align: 8
    .kernarg_segment_size: 100
    .language:       OpenCL C
    .language_version:
      - 2
      - 0
    .max_flat_workgroup_size: 256
    .name:           _ZL41rocblas_syrkx_herkx_small_restrict_kernelIi19rocblas_complex_numIfELi16ELb1ELb1ELc78ELc85EKPKS1_KPS1_EviT_T0_PT6_S7_lSA_S7_lS8_PT7_S7_li
    .private_segment_fixed_size: 0
    .sgpr_count:     20
    .sgpr_spill_count: 0
    .symbol:         _ZL41rocblas_syrkx_herkx_small_restrict_kernelIi19rocblas_complex_numIfELi16ELb1ELb1ELc78ELc85EKPKS1_KPS1_EviT_T0_PT6_S7_lSA_S7_lS8_PT7_S7_li.kd
    .uniform_work_group_size: 1
    .uses_dynamic_stack: false
    .vgpr_count:     86
    .vgpr_spill_count: 0
    .wavefront_size: 32
    .workgroup_processor_mode: 1
  - .args:
      - .offset:         0
        .size:           4
        .value_kind:     by_value
      - .offset:         4
        .size:           4
        .value_kind:     by_value
      - .offset:         8
        .size:           8
        .value_kind:     by_value
      - .address_space:  global
        .offset:         16
        .size:           8
        .value_kind:     global_buffer
      - .offset:         24
        .size:           4
        .value_kind:     by_value
      - .offset:         32
        .size:           8
        .value_kind:     by_value
      - .address_space:  global
        .offset:         40
        .size:           8
        .value_kind:     global_buffer
      - .offset:         48
        .size:           4
        .value_kind:     by_value
      - .offset:         56
        .size:           8
        .value_kind:     by_value
      - .offset:         64
        .size:           8
        .value_kind:     by_value
      - .address_space:  global
        .offset:         72
        .size:           8
        .value_kind:     global_buffer
      - .offset:         80
        .size:           4
        .value_kind:     by_value
      - .offset:         88
        .size:           8
        .value_kind:     by_value
      - .offset:         96
        .size:           4
        .value_kind:     by_value
    .group_segment_fixed_size: 4096
    .kernarg_segment_align: 8
    .kernarg_segment_size: 100
    .language:       OpenCL C
    .language_version:
      - 2
      - 0
    .max_flat_workgroup_size: 256
    .name:           _ZL41rocblas_syrkx_herkx_small_restrict_kernelIi19rocblas_complex_numIfELi16ELb0ELb1ELc84ELc76EKPKS1_KPS1_EviT_T0_PT6_S7_lSA_S7_lS8_PT7_S7_li
    .private_segment_fixed_size: 0
    .sgpr_count:     22
    .sgpr_spill_count: 0
    .symbol:         _ZL41rocblas_syrkx_herkx_small_restrict_kernelIi19rocblas_complex_numIfELi16ELb0ELb1ELc84ELc76EKPKS1_KPS1_EviT_T0_PT6_S7_lSA_S7_lS8_PT7_S7_li.kd
    .uniform_work_group_size: 1
    .uses_dynamic_stack: false
    .vgpr_count:     85
    .vgpr_spill_count: 0
    .wavefront_size: 32
    .workgroup_processor_mode: 1
  - .args:
      - .offset:         0
        .size:           4
        .value_kind:     by_value
      - .offset:         4
        .size:           4
        .value_kind:     by_value
      - .offset:         8
        .size:           8
        .value_kind:     by_value
      - .address_space:  global
        .offset:         16
        .size:           8
        .value_kind:     global_buffer
      - .offset:         24
        .size:           4
        .value_kind:     by_value
      - .offset:         32
        .size:           8
        .value_kind:     by_value
      - .address_space:  global
        .offset:         40
        .size:           8
        .value_kind:     global_buffer
      - .offset:         48
        .size:           4
        .value_kind:     by_value
      - .offset:         56
        .size:           8
        .value_kind:     by_value
      - .offset:         64
        .size:           8
        .value_kind:     by_value
      - .address_space:  global
        .offset:         72
        .size:           8
        .value_kind:     global_buffer
      - .offset:         80
        .size:           4
        .value_kind:     by_value
      - .offset:         88
        .size:           8
        .value_kind:     by_value
      - .offset:         96
        .size:           4
        .value_kind:     by_value
    .group_segment_fixed_size: 4096
    .kernarg_segment_align: 8
    .kernarg_segment_size: 100
    .language:       OpenCL C
    .language_version:
      - 2
      - 0
    .max_flat_workgroup_size: 256
    .name:           _ZL41rocblas_syrkx_herkx_small_restrict_kernelIi19rocblas_complex_numIfELi16ELb0ELb1ELc67ELc76EKPKS1_KPS1_EviT_T0_PT6_S7_lSA_S7_lS8_PT7_S7_li
    .private_segment_fixed_size: 0
    .sgpr_count:     22
    .sgpr_spill_count: 0
    .symbol:         _ZL41rocblas_syrkx_herkx_small_restrict_kernelIi19rocblas_complex_numIfELi16ELb0ELb1ELc67ELc76EKPKS1_KPS1_EviT_T0_PT6_S7_lSA_S7_lS8_PT7_S7_li.kd
    .uniform_work_group_size: 1
    .uses_dynamic_stack: false
    .vgpr_count:     85
    .vgpr_spill_count: 0
    .wavefront_size: 32
    .workgroup_processor_mode: 1
  - .args:
      - .offset:         0
        .size:           4
        .value_kind:     by_value
      - .offset:         4
        .size:           4
        .value_kind:     by_value
      - .offset:         8
        .size:           8
        .value_kind:     by_value
      - .address_space:  global
        .offset:         16
        .size:           8
        .value_kind:     global_buffer
      - .offset:         24
        .size:           4
        .value_kind:     by_value
      - .offset:         32
        .size:           8
        .value_kind:     by_value
      - .address_space:  global
        .offset:         40
        .size:           8
        .value_kind:     global_buffer
      - .offset:         48
        .size:           4
        .value_kind:     by_value
      - .offset:         56
        .size:           8
        .value_kind:     by_value
      - .offset:         64
        .size:           8
        .value_kind:     by_value
      - .address_space:  global
        .offset:         72
        .size:           8
        .value_kind:     global_buffer
      - .offset:         80
        .size:           4
        .value_kind:     by_value
      - .offset:         88
        .size:           8
        .value_kind:     by_value
      - .offset:         96
        .size:           4
        .value_kind:     by_value
    .group_segment_fixed_size: 4096
    .kernarg_segment_align: 8
    .kernarg_segment_size: 100
    .language:       OpenCL C
    .language_version:
      - 2
      - 0
    .max_flat_workgroup_size: 256
    .name:           _ZL41rocblas_syrkx_herkx_small_restrict_kernelIi19rocblas_complex_numIfELi16ELb0ELb1ELc78ELc76EKPKS1_KPS1_EviT_T0_PT6_S7_lSA_S7_lS8_PT7_S7_li
    .private_segment_fixed_size: 0
    .sgpr_count:     24
    .sgpr_spill_count: 0
    .symbol:         _ZL41rocblas_syrkx_herkx_small_restrict_kernelIi19rocblas_complex_numIfELi16ELb0ELb1ELc78ELc76EKPKS1_KPS1_EviT_T0_PT6_S7_lSA_S7_lS8_PT7_S7_li.kd
    .uniform_work_group_size: 1
    .uses_dynamic_stack: false
    .vgpr_count:     86
    .vgpr_spill_count: 0
    .wavefront_size: 32
    .workgroup_processor_mode: 1
  - .args:
      - .offset:         0
        .size:           4
        .value_kind:     by_value
      - .offset:         4
        .size:           4
        .value_kind:     by_value
      - .offset:         8
        .size:           8
        .value_kind:     by_value
      - .address_space:  global
        .offset:         16
        .size:           8
        .value_kind:     global_buffer
      - .offset:         24
        .size:           4
        .value_kind:     by_value
      - .offset:         32
        .size:           8
        .value_kind:     by_value
      - .address_space:  global
        .offset:         40
        .size:           8
        .value_kind:     global_buffer
      - .offset:         48
        .size:           4
        .value_kind:     by_value
      - .offset:         56
        .size:           8
        .value_kind:     by_value
      - .offset:         64
        .size:           8
        .value_kind:     by_value
      - .address_space:  global
        .offset:         72
        .size:           8
        .value_kind:     global_buffer
      - .offset:         80
        .size:           4
        .value_kind:     by_value
      - .offset:         88
        .size:           8
        .value_kind:     by_value
      - .offset:         96
        .size:           4
        .value_kind:     by_value
    .group_segment_fixed_size: 4096
    .kernarg_segment_align: 8
    .kernarg_segment_size: 100
    .language:       OpenCL C
    .language_version:
      - 2
      - 0
    .max_flat_workgroup_size: 256
    .name:           _ZL41rocblas_syrkx_herkx_small_restrict_kernelIi19rocblas_complex_numIfELi16ELb0ELb1ELc84ELc85EKPKS1_KPS1_EviT_T0_PT6_S7_lSA_S7_lS8_PT7_S7_li
    .private_segment_fixed_size: 0
    .sgpr_count:     22
    .sgpr_spill_count: 0
    .symbol:         _ZL41rocblas_syrkx_herkx_small_restrict_kernelIi19rocblas_complex_numIfELi16ELb0ELb1ELc84ELc85EKPKS1_KPS1_EviT_T0_PT6_S7_lSA_S7_lS8_PT7_S7_li.kd
    .uniform_work_group_size: 1
    .uses_dynamic_stack: false
    .vgpr_count:     85
    .vgpr_spill_count: 0
    .wavefront_size: 32
    .workgroup_processor_mode: 1
  - .args:
      - .offset:         0
        .size:           4
        .value_kind:     by_value
      - .offset:         4
        .size:           4
        .value_kind:     by_value
      - .offset:         8
        .size:           8
        .value_kind:     by_value
      - .address_space:  global
        .offset:         16
        .size:           8
        .value_kind:     global_buffer
      - .offset:         24
        .size:           4
        .value_kind:     by_value
      - .offset:         32
        .size:           8
        .value_kind:     by_value
      - .address_space:  global
        .offset:         40
        .size:           8
        .value_kind:     global_buffer
      - .offset:         48
        .size:           4
        .value_kind:     by_value
      - .offset:         56
        .size:           8
        .value_kind:     by_value
      - .offset:         64
        .size:           8
        .value_kind:     by_value
      - .address_space:  global
        .offset:         72
        .size:           8
        .value_kind:     global_buffer
      - .offset:         80
        .size:           4
        .value_kind:     by_value
      - .offset:         88
        .size:           8
        .value_kind:     by_value
      - .offset:         96
        .size:           4
        .value_kind:     by_value
    .group_segment_fixed_size: 4096
    .kernarg_segment_align: 8
    .kernarg_segment_size: 100
    .language:       OpenCL C
    .language_version:
      - 2
      - 0
    .max_flat_workgroup_size: 256
    .name:           _ZL41rocblas_syrkx_herkx_small_restrict_kernelIi19rocblas_complex_numIfELi16ELb0ELb1ELc67ELc85EKPKS1_KPS1_EviT_T0_PT6_S7_lSA_S7_lS8_PT7_S7_li
    .private_segment_fixed_size: 0
    .sgpr_count:     22
    .sgpr_spill_count: 0
    .symbol:         _ZL41rocblas_syrkx_herkx_small_restrict_kernelIi19rocblas_complex_numIfELi16ELb0ELb1ELc67ELc85EKPKS1_KPS1_EviT_T0_PT6_S7_lSA_S7_lS8_PT7_S7_li.kd
    .uniform_work_group_size: 1
    .uses_dynamic_stack: false
    .vgpr_count:     85
    .vgpr_spill_count: 0
    .wavefront_size: 32
    .workgroup_processor_mode: 1
  - .args:
      - .offset:         0
        .size:           4
        .value_kind:     by_value
      - .offset:         4
        .size:           4
        .value_kind:     by_value
      - .offset:         8
        .size:           8
        .value_kind:     by_value
      - .address_space:  global
        .offset:         16
        .size:           8
        .value_kind:     global_buffer
      - .offset:         24
        .size:           4
        .value_kind:     by_value
      - .offset:         32
        .size:           8
        .value_kind:     by_value
      - .address_space:  global
        .offset:         40
        .size:           8
        .value_kind:     global_buffer
      - .offset:         48
        .size:           4
        .value_kind:     by_value
      - .offset:         56
        .size:           8
        .value_kind:     by_value
      - .offset:         64
        .size:           8
        .value_kind:     by_value
      - .address_space:  global
        .offset:         72
        .size:           8
        .value_kind:     global_buffer
      - .offset:         80
        .size:           4
        .value_kind:     by_value
      - .offset:         88
        .size:           8
        .value_kind:     by_value
      - .offset:         96
        .size:           4
        .value_kind:     by_value
    .group_segment_fixed_size: 4096
    .kernarg_segment_align: 8
    .kernarg_segment_size: 100
    .language:       OpenCL C
    .language_version:
      - 2
      - 0
    .max_flat_workgroup_size: 256
    .name:           _ZL41rocblas_syrkx_herkx_small_restrict_kernelIi19rocblas_complex_numIfELi16ELb0ELb1ELc78ELc85EKPKS1_KPS1_EviT_T0_PT6_S7_lSA_S7_lS8_PT7_S7_li
    .private_segment_fixed_size: 0
    .sgpr_count:     24
    .sgpr_spill_count: 0
    .symbol:         _ZL41rocblas_syrkx_herkx_small_restrict_kernelIi19rocblas_complex_numIfELi16ELb0ELb1ELc78ELc85EKPKS1_KPS1_EviT_T0_PT6_S7_lSA_S7_lS8_PT7_S7_li.kd
    .uniform_work_group_size: 1
    .uses_dynamic_stack: false
    .vgpr_count:     86
    .vgpr_spill_count: 0
    .wavefront_size: 32
    .workgroup_processor_mode: 1
  - .args:
      - .offset:         0
        .size:           4
        .value_kind:     by_value
      - .offset:         4
        .size:           4
        .value_kind:     by_value
      - .offset:         8
        .size:           8
        .value_kind:     by_value
      - .address_space:  global
        .offset:         16
        .size:           8
        .value_kind:     global_buffer
      - .offset:         24
        .size:           4
        .value_kind:     by_value
      - .offset:         32
        .size:           8
        .value_kind:     by_value
      - .address_space:  global
        .offset:         40
        .size:           8
        .value_kind:     global_buffer
      - .offset:         48
        .size:           4
        .value_kind:     by_value
      - .offset:         56
        .size:           8
        .value_kind:     by_value
      - .offset:         64
        .size:           8
        .value_kind:     by_value
      - .address_space:  global
        .offset:         72
        .size:           8
        .value_kind:     global_buffer
      - .offset:         80
        .size:           4
        .value_kind:     by_value
      - .offset:         88
        .size:           8
        .value_kind:     by_value
      - .offset:         96
        .size:           4
        .value_kind:     by_value
    .group_segment_fixed_size: 4096
    .kernarg_segment_align: 8
    .kernarg_segment_size: 100
    .language:       OpenCL C
    .language_version:
      - 2
      - 0
    .max_flat_workgroup_size: 256
    .name:           _ZL32rocblas_syrkx_herkx_small_kernelIi19rocblas_complex_numIfELi16ELb1ELb1ELc84ELc76EKPKS1_KPS1_EviT_T0_PT6_S7_lSA_S7_lS8_PT7_S7_li
    .private_segment_fixed_size: 0
    .sgpr_count:     22
    .sgpr_spill_count: 0
    .symbol:         _ZL32rocblas_syrkx_herkx_small_kernelIi19rocblas_complex_numIfELi16ELb1ELb1ELc84ELc76EKPKS1_KPS1_EviT_T0_PT6_S7_lSA_S7_lS8_PT7_S7_li.kd
    .uniform_work_group_size: 1
    .uses_dynamic_stack: false
    .vgpr_count:     68
    .vgpr_spill_count: 0
    .wavefront_size: 32
    .workgroup_processor_mode: 1
  - .args:
      - .offset:         0
        .size:           4
        .value_kind:     by_value
      - .offset:         4
        .size:           4
        .value_kind:     by_value
      - .offset:         8
        .size:           8
        .value_kind:     by_value
      - .address_space:  global
        .offset:         16
        .size:           8
        .value_kind:     global_buffer
      - .offset:         24
        .size:           4
        .value_kind:     by_value
      - .offset:         32
        .size:           8
        .value_kind:     by_value
      - .address_space:  global
        .offset:         40
        .size:           8
        .value_kind:     global_buffer
      - .offset:         48
        .size:           4
        .value_kind:     by_value
      - .offset:         56
        .size:           8
        .value_kind:     by_value
      - .offset:         64
        .size:           8
        .value_kind:     by_value
      - .address_space:  global
        .offset:         72
        .size:           8
        .value_kind:     global_buffer
      - .offset:         80
        .size:           4
        .value_kind:     by_value
      - .offset:         88
        .size:           8
        .value_kind:     by_value
      - .offset:         96
        .size:           4
        .value_kind:     by_value
    .group_segment_fixed_size: 4096
    .kernarg_segment_align: 8
    .kernarg_segment_size: 100
    .language:       OpenCL C
    .language_version:
      - 2
      - 0
    .max_flat_workgroup_size: 256
    .name:           _ZL32rocblas_syrkx_herkx_small_kernelIi19rocblas_complex_numIfELi16ELb1ELb1ELc67ELc76EKPKS1_KPS1_EviT_T0_PT6_S7_lSA_S7_lS8_PT7_S7_li
    .private_segment_fixed_size: 0
    .sgpr_count:     22
    .sgpr_spill_count: 0
    .symbol:         _ZL32rocblas_syrkx_herkx_small_kernelIi19rocblas_complex_numIfELi16ELb1ELb1ELc67ELc76EKPKS1_KPS1_EviT_T0_PT6_S7_lSA_S7_lS8_PT7_S7_li.kd
    .uniform_work_group_size: 1
    .uses_dynamic_stack: false
    .vgpr_count:     69
    .vgpr_spill_count: 0
    .wavefront_size: 32
    .workgroup_processor_mode: 1
  - .args:
      - .offset:         0
        .size:           4
        .value_kind:     by_value
      - .offset:         4
        .size:           4
        .value_kind:     by_value
      - .offset:         8
        .size:           8
        .value_kind:     by_value
      - .address_space:  global
        .offset:         16
        .size:           8
        .value_kind:     global_buffer
      - .offset:         24
        .size:           4
        .value_kind:     by_value
      - .offset:         32
        .size:           8
        .value_kind:     by_value
      - .address_space:  global
        .offset:         40
        .size:           8
        .value_kind:     global_buffer
      - .offset:         48
        .size:           4
        .value_kind:     by_value
      - .offset:         56
        .size:           8
        .value_kind:     by_value
      - .offset:         64
        .size:           8
        .value_kind:     by_value
      - .address_space:  global
        .offset:         72
        .size:           8
        .value_kind:     global_buffer
      - .offset:         80
        .size:           4
        .value_kind:     by_value
      - .offset:         88
        .size:           8
        .value_kind:     by_value
      - .offset:         96
        .size:           4
        .value_kind:     by_value
    .group_segment_fixed_size: 4096
    .kernarg_segment_align: 8
    .kernarg_segment_size: 100
    .language:       OpenCL C
    .language_version:
      - 2
      - 0
    .max_flat_workgroup_size: 256
    .name:           _ZL32rocblas_syrkx_herkx_small_kernelIi19rocblas_complex_numIfELi16ELb1ELb1ELc78ELc76EKPKS1_KPS1_EviT_T0_PT6_S7_lSA_S7_lS8_PT7_S7_li
    .private_segment_fixed_size: 0
    .sgpr_count:     24
    .sgpr_spill_count: 0
    .symbol:         _ZL32rocblas_syrkx_herkx_small_kernelIi19rocblas_complex_numIfELi16ELb1ELb1ELc78ELc76EKPKS1_KPS1_EviT_T0_PT6_S7_lSA_S7_lS8_PT7_S7_li.kd
    .uniform_work_group_size: 1
    .uses_dynamic_stack: false
    .vgpr_count:     70
    .vgpr_spill_count: 0
    .wavefront_size: 32
    .workgroup_processor_mode: 1
  - .args:
      - .offset:         0
        .size:           4
        .value_kind:     by_value
      - .offset:         4
        .size:           4
        .value_kind:     by_value
      - .offset:         8
        .size:           8
        .value_kind:     by_value
      - .address_space:  global
        .offset:         16
        .size:           8
        .value_kind:     global_buffer
      - .offset:         24
        .size:           4
        .value_kind:     by_value
      - .offset:         32
        .size:           8
        .value_kind:     by_value
      - .address_space:  global
        .offset:         40
        .size:           8
        .value_kind:     global_buffer
      - .offset:         48
        .size:           4
        .value_kind:     by_value
      - .offset:         56
        .size:           8
        .value_kind:     by_value
      - .offset:         64
        .size:           8
        .value_kind:     by_value
      - .address_space:  global
        .offset:         72
        .size:           8
        .value_kind:     global_buffer
      - .offset:         80
        .size:           4
        .value_kind:     by_value
      - .offset:         88
        .size:           8
        .value_kind:     by_value
      - .offset:         96
        .size:           4
        .value_kind:     by_value
    .group_segment_fixed_size: 4096
    .kernarg_segment_align: 8
    .kernarg_segment_size: 100
    .language:       OpenCL C
    .language_version:
      - 2
      - 0
    .max_flat_workgroup_size: 256
    .name:           _ZL32rocblas_syrkx_herkx_small_kernelIi19rocblas_complex_numIfELi16ELb1ELb1ELc84ELc85EKPKS1_KPS1_EviT_T0_PT6_S7_lSA_S7_lS8_PT7_S7_li
    .private_segment_fixed_size: 0
    .sgpr_count:     22
    .sgpr_spill_count: 0
    .symbol:         _ZL32rocblas_syrkx_herkx_small_kernelIi19rocblas_complex_numIfELi16ELb1ELb1ELc84ELc85EKPKS1_KPS1_EviT_T0_PT6_S7_lSA_S7_lS8_PT7_S7_li.kd
    .uniform_work_group_size: 1
    .uses_dynamic_stack: false
    .vgpr_count:     68
    .vgpr_spill_count: 0
    .wavefront_size: 32
    .workgroup_processor_mode: 1
  - .args:
      - .offset:         0
        .size:           4
        .value_kind:     by_value
      - .offset:         4
        .size:           4
        .value_kind:     by_value
      - .offset:         8
        .size:           8
        .value_kind:     by_value
      - .address_space:  global
        .offset:         16
        .size:           8
        .value_kind:     global_buffer
      - .offset:         24
        .size:           4
        .value_kind:     by_value
      - .offset:         32
        .size:           8
        .value_kind:     by_value
      - .address_space:  global
        .offset:         40
        .size:           8
        .value_kind:     global_buffer
      - .offset:         48
        .size:           4
        .value_kind:     by_value
      - .offset:         56
        .size:           8
        .value_kind:     by_value
      - .offset:         64
        .size:           8
        .value_kind:     by_value
      - .address_space:  global
        .offset:         72
        .size:           8
        .value_kind:     global_buffer
      - .offset:         80
        .size:           4
        .value_kind:     by_value
      - .offset:         88
        .size:           8
        .value_kind:     by_value
      - .offset:         96
        .size:           4
        .value_kind:     by_value
    .group_segment_fixed_size: 4096
    .kernarg_segment_align: 8
    .kernarg_segment_size: 100
    .language:       OpenCL C
    .language_version:
      - 2
      - 0
    .max_flat_workgroup_size: 256
    .name:           _ZL32rocblas_syrkx_herkx_small_kernelIi19rocblas_complex_numIfELi16ELb1ELb1ELc67ELc85EKPKS1_KPS1_EviT_T0_PT6_S7_lSA_S7_lS8_PT7_S7_li
    .private_segment_fixed_size: 0
    .sgpr_count:     22
    .sgpr_spill_count: 0
    .symbol:         _ZL32rocblas_syrkx_herkx_small_kernelIi19rocblas_complex_numIfELi16ELb1ELb1ELc67ELc85EKPKS1_KPS1_EviT_T0_PT6_S7_lSA_S7_lS8_PT7_S7_li.kd
    .uniform_work_group_size: 1
    .uses_dynamic_stack: false
    .vgpr_count:     69
    .vgpr_spill_count: 0
    .wavefront_size: 32
    .workgroup_processor_mode: 1
  - .args:
      - .offset:         0
        .size:           4
        .value_kind:     by_value
      - .offset:         4
        .size:           4
        .value_kind:     by_value
      - .offset:         8
        .size:           8
        .value_kind:     by_value
      - .address_space:  global
        .offset:         16
        .size:           8
        .value_kind:     global_buffer
      - .offset:         24
        .size:           4
        .value_kind:     by_value
      - .offset:         32
        .size:           8
        .value_kind:     by_value
      - .address_space:  global
        .offset:         40
        .size:           8
        .value_kind:     global_buffer
      - .offset:         48
        .size:           4
        .value_kind:     by_value
      - .offset:         56
        .size:           8
        .value_kind:     by_value
      - .offset:         64
        .size:           8
        .value_kind:     by_value
      - .address_space:  global
        .offset:         72
        .size:           8
        .value_kind:     global_buffer
      - .offset:         80
        .size:           4
        .value_kind:     by_value
      - .offset:         88
        .size:           8
        .value_kind:     by_value
      - .offset:         96
        .size:           4
        .value_kind:     by_value
    .group_segment_fixed_size: 4096
    .kernarg_segment_align: 8
    .kernarg_segment_size: 100
    .language:       OpenCL C
    .language_version:
      - 2
      - 0
    .max_flat_workgroup_size: 256
    .name:           _ZL32rocblas_syrkx_herkx_small_kernelIi19rocblas_complex_numIfELi16ELb1ELb1ELc78ELc85EKPKS1_KPS1_EviT_T0_PT6_S7_lSA_S7_lS8_PT7_S7_li
    .private_segment_fixed_size: 0
    .sgpr_count:     24
    .sgpr_spill_count: 0
    .symbol:         _ZL32rocblas_syrkx_herkx_small_kernelIi19rocblas_complex_numIfELi16ELb1ELb1ELc78ELc85EKPKS1_KPS1_EviT_T0_PT6_S7_lSA_S7_lS8_PT7_S7_li.kd
    .uniform_work_group_size: 1
    .uses_dynamic_stack: false
    .vgpr_count:     70
    .vgpr_spill_count: 0
    .wavefront_size: 32
    .workgroup_processor_mode: 1
  - .args:
      - .offset:         0
        .size:           4
        .value_kind:     by_value
      - .offset:         4
        .size:           4
        .value_kind:     by_value
      - .offset:         8
        .size:           8
        .value_kind:     by_value
      - .address_space:  global
        .offset:         16
        .size:           8
        .value_kind:     global_buffer
      - .offset:         24
        .size:           4
        .value_kind:     by_value
      - .offset:         32
        .size:           8
        .value_kind:     by_value
      - .address_space:  global
        .offset:         40
        .size:           8
        .value_kind:     global_buffer
      - .offset:         48
        .size:           4
        .value_kind:     by_value
      - .offset:         56
        .size:           8
        .value_kind:     by_value
      - .offset:         64
        .size:           8
        .value_kind:     by_value
      - .address_space:  global
        .offset:         72
        .size:           8
        .value_kind:     global_buffer
      - .offset:         80
        .size:           4
        .value_kind:     by_value
      - .offset:         88
        .size:           8
        .value_kind:     by_value
      - .offset:         96
        .size:           4
        .value_kind:     by_value
    .group_segment_fixed_size: 4096
    .kernarg_segment_align: 8
    .kernarg_segment_size: 100
    .language:       OpenCL C
    .language_version:
      - 2
      - 0
    .max_flat_workgroup_size: 256
    .name:           _ZL32rocblas_syrkx_herkx_small_kernelIi19rocblas_complex_numIfELi16ELb0ELb1ELc84ELc76EKPKS1_KPS1_EviT_T0_PT6_S7_lSA_S7_lS8_PT7_S7_li
    .private_segment_fixed_size: 0
    .sgpr_count:     24
    .sgpr_spill_count: 0
    .symbol:         _ZL32rocblas_syrkx_herkx_small_kernelIi19rocblas_complex_numIfELi16ELb0ELb1ELc84ELc76EKPKS1_KPS1_EviT_T0_PT6_S7_lSA_S7_lS8_PT7_S7_li.kd
    .uniform_work_group_size: 1
    .uses_dynamic_stack: false
    .vgpr_count:     68
    .vgpr_spill_count: 0
    .wavefront_size: 32
    .workgroup_processor_mode: 1
  - .args:
      - .offset:         0
        .size:           4
        .value_kind:     by_value
      - .offset:         4
        .size:           4
        .value_kind:     by_value
      - .offset:         8
        .size:           8
        .value_kind:     by_value
      - .address_space:  global
        .offset:         16
        .size:           8
        .value_kind:     global_buffer
      - .offset:         24
        .size:           4
        .value_kind:     by_value
      - .offset:         32
        .size:           8
        .value_kind:     by_value
      - .address_space:  global
        .offset:         40
        .size:           8
        .value_kind:     global_buffer
      - .offset:         48
        .size:           4
        .value_kind:     by_value
      - .offset:         56
        .size:           8
        .value_kind:     by_value
      - .offset:         64
        .size:           8
        .value_kind:     by_value
      - .address_space:  global
        .offset:         72
        .size:           8
        .value_kind:     global_buffer
      - .offset:         80
        .size:           4
        .value_kind:     by_value
      - .offset:         88
        .size:           8
        .value_kind:     by_value
      - .offset:         96
        .size:           4
        .value_kind:     by_value
    .group_segment_fixed_size: 4096
    .kernarg_segment_align: 8
    .kernarg_segment_size: 100
    .language:       OpenCL C
    .language_version:
      - 2
      - 0
    .max_flat_workgroup_size: 256
    .name:           _ZL32rocblas_syrkx_herkx_small_kernelIi19rocblas_complex_numIfELi16ELb0ELb1ELc67ELc76EKPKS1_KPS1_EviT_T0_PT6_S7_lSA_S7_lS8_PT7_S7_li
    .private_segment_fixed_size: 0
    .sgpr_count:     24
    .sgpr_spill_count: 0
    .symbol:         _ZL32rocblas_syrkx_herkx_small_kernelIi19rocblas_complex_numIfELi16ELb0ELb1ELc67ELc76EKPKS1_KPS1_EviT_T0_PT6_S7_lSA_S7_lS8_PT7_S7_li.kd
    .uniform_work_group_size: 1
    .uses_dynamic_stack: false
    .vgpr_count:     69
    .vgpr_spill_count: 0
    .wavefront_size: 32
    .workgroup_processor_mode: 1
  - .args:
      - .offset:         0
        .size:           4
        .value_kind:     by_value
      - .offset:         4
        .size:           4
        .value_kind:     by_value
      - .offset:         8
        .size:           8
        .value_kind:     by_value
      - .address_space:  global
        .offset:         16
        .size:           8
        .value_kind:     global_buffer
      - .offset:         24
        .size:           4
        .value_kind:     by_value
      - .offset:         32
        .size:           8
        .value_kind:     by_value
      - .address_space:  global
        .offset:         40
        .size:           8
        .value_kind:     global_buffer
      - .offset:         48
        .size:           4
        .value_kind:     by_value
      - .offset:         56
        .size:           8
        .value_kind:     by_value
      - .offset:         64
        .size:           8
        .value_kind:     by_value
      - .address_space:  global
        .offset:         72
        .size:           8
        .value_kind:     global_buffer
      - .offset:         80
        .size:           4
        .value_kind:     by_value
      - .offset:         88
        .size:           8
        .value_kind:     by_value
      - .offset:         96
        .size:           4
        .value_kind:     by_value
    .group_segment_fixed_size: 4096
    .kernarg_segment_align: 8
    .kernarg_segment_size: 100
    .language:       OpenCL C
    .language_version:
      - 2
      - 0
    .max_flat_workgroup_size: 256
    .name:           _ZL32rocblas_syrkx_herkx_small_kernelIi19rocblas_complex_numIfELi16ELb0ELb1ELc78ELc76EKPKS1_KPS1_EviT_T0_PT6_S7_lSA_S7_lS8_PT7_S7_li
    .private_segment_fixed_size: 0
    .sgpr_count:     26
    .sgpr_spill_count: 0
    .symbol:         _ZL32rocblas_syrkx_herkx_small_kernelIi19rocblas_complex_numIfELi16ELb0ELb1ELc78ELc76EKPKS1_KPS1_EviT_T0_PT6_S7_lSA_S7_lS8_PT7_S7_li.kd
    .uniform_work_group_size: 1
    .uses_dynamic_stack: false
    .vgpr_count:     70
    .vgpr_spill_count: 0
    .wavefront_size: 32
    .workgroup_processor_mode: 1
  - .args:
      - .offset:         0
        .size:           4
        .value_kind:     by_value
      - .offset:         4
        .size:           4
        .value_kind:     by_value
      - .offset:         8
        .size:           8
        .value_kind:     by_value
      - .address_space:  global
        .offset:         16
        .size:           8
        .value_kind:     global_buffer
      - .offset:         24
        .size:           4
        .value_kind:     by_value
      - .offset:         32
        .size:           8
        .value_kind:     by_value
      - .address_space:  global
        .offset:         40
        .size:           8
        .value_kind:     global_buffer
      - .offset:         48
        .size:           4
        .value_kind:     by_value
      - .offset:         56
        .size:           8
        .value_kind:     by_value
      - .offset:         64
        .size:           8
        .value_kind:     by_value
      - .address_space:  global
        .offset:         72
        .size:           8
        .value_kind:     global_buffer
      - .offset:         80
        .size:           4
        .value_kind:     by_value
      - .offset:         88
        .size:           8
        .value_kind:     by_value
      - .offset:         96
        .size:           4
        .value_kind:     by_value
    .group_segment_fixed_size: 4096
    .kernarg_segment_align: 8
    .kernarg_segment_size: 100
    .language:       OpenCL C
    .language_version:
      - 2
      - 0
    .max_flat_workgroup_size: 256
    .name:           _ZL32rocblas_syrkx_herkx_small_kernelIi19rocblas_complex_numIfELi16ELb0ELb1ELc84ELc85EKPKS1_KPS1_EviT_T0_PT6_S7_lSA_S7_lS8_PT7_S7_li
    .private_segment_fixed_size: 0
    .sgpr_count:     24
    .sgpr_spill_count: 0
    .symbol:         _ZL32rocblas_syrkx_herkx_small_kernelIi19rocblas_complex_numIfELi16ELb0ELb1ELc84ELc85EKPKS1_KPS1_EviT_T0_PT6_S7_lSA_S7_lS8_PT7_S7_li.kd
    .uniform_work_group_size: 1
    .uses_dynamic_stack: false
    .vgpr_count:     68
    .vgpr_spill_count: 0
    .wavefront_size: 32
    .workgroup_processor_mode: 1
  - .args:
      - .offset:         0
        .size:           4
        .value_kind:     by_value
      - .offset:         4
        .size:           4
        .value_kind:     by_value
      - .offset:         8
        .size:           8
        .value_kind:     by_value
      - .address_space:  global
        .offset:         16
        .size:           8
        .value_kind:     global_buffer
      - .offset:         24
        .size:           4
        .value_kind:     by_value
      - .offset:         32
        .size:           8
        .value_kind:     by_value
      - .address_space:  global
        .offset:         40
        .size:           8
        .value_kind:     global_buffer
      - .offset:         48
        .size:           4
        .value_kind:     by_value
      - .offset:         56
        .size:           8
        .value_kind:     by_value
      - .offset:         64
        .size:           8
        .value_kind:     by_value
      - .address_space:  global
        .offset:         72
        .size:           8
        .value_kind:     global_buffer
      - .offset:         80
        .size:           4
        .value_kind:     by_value
      - .offset:         88
        .size:           8
        .value_kind:     by_value
      - .offset:         96
        .size:           4
        .value_kind:     by_value
    .group_segment_fixed_size: 4096
    .kernarg_segment_align: 8
    .kernarg_segment_size: 100
    .language:       OpenCL C
    .language_version:
      - 2
      - 0
    .max_flat_workgroup_size: 256
    .name:           _ZL32rocblas_syrkx_herkx_small_kernelIi19rocblas_complex_numIfELi16ELb0ELb1ELc67ELc85EKPKS1_KPS1_EviT_T0_PT6_S7_lSA_S7_lS8_PT7_S7_li
    .private_segment_fixed_size: 0
    .sgpr_count:     24
    .sgpr_spill_count: 0
    .symbol:         _ZL32rocblas_syrkx_herkx_small_kernelIi19rocblas_complex_numIfELi16ELb0ELb1ELc67ELc85EKPKS1_KPS1_EviT_T0_PT6_S7_lSA_S7_lS8_PT7_S7_li.kd
    .uniform_work_group_size: 1
    .uses_dynamic_stack: false
    .vgpr_count:     69
    .vgpr_spill_count: 0
    .wavefront_size: 32
    .workgroup_processor_mode: 1
  - .args:
      - .offset:         0
        .size:           4
        .value_kind:     by_value
      - .offset:         4
        .size:           4
        .value_kind:     by_value
      - .offset:         8
        .size:           8
        .value_kind:     by_value
      - .address_space:  global
        .offset:         16
        .size:           8
        .value_kind:     global_buffer
      - .offset:         24
        .size:           4
        .value_kind:     by_value
      - .offset:         32
        .size:           8
        .value_kind:     by_value
      - .address_space:  global
        .offset:         40
        .size:           8
        .value_kind:     global_buffer
      - .offset:         48
        .size:           4
        .value_kind:     by_value
      - .offset:         56
        .size:           8
        .value_kind:     by_value
      - .offset:         64
        .size:           8
        .value_kind:     by_value
      - .address_space:  global
        .offset:         72
        .size:           8
        .value_kind:     global_buffer
      - .offset:         80
        .size:           4
        .value_kind:     by_value
      - .offset:         88
        .size:           8
        .value_kind:     by_value
      - .offset:         96
        .size:           4
        .value_kind:     by_value
    .group_segment_fixed_size: 4096
    .kernarg_segment_align: 8
    .kernarg_segment_size: 100
    .language:       OpenCL C
    .language_version:
      - 2
      - 0
    .max_flat_workgroup_size: 256
    .name:           _ZL32rocblas_syrkx_herkx_small_kernelIi19rocblas_complex_numIfELi16ELb0ELb1ELc78ELc85EKPKS1_KPS1_EviT_T0_PT6_S7_lSA_S7_lS8_PT7_S7_li
    .private_segment_fixed_size: 0
    .sgpr_count:     26
    .sgpr_spill_count: 0
    .symbol:         _ZL32rocblas_syrkx_herkx_small_kernelIi19rocblas_complex_numIfELi16ELb0ELb1ELc78ELc85EKPKS1_KPS1_EviT_T0_PT6_S7_lSA_S7_lS8_PT7_S7_li.kd
    .uniform_work_group_size: 1
    .uses_dynamic_stack: false
    .vgpr_count:     70
    .vgpr_spill_count: 0
    .wavefront_size: 32
    .workgroup_processor_mode: 1
  - .args:
      - .offset:         0
        .size:           4
        .value_kind:     by_value
      - .offset:         4
        .size:           4
        .value_kind:     by_value
      - .offset:         8
        .size:           8
        .value_kind:     by_value
      - .address_space:  global
        .offset:         16
        .size:           8
        .value_kind:     global_buffer
      - .offset:         24
        .size:           4
        .value_kind:     by_value
      - .offset:         32
        .size:           8
        .value_kind:     by_value
      - .address_space:  global
        .offset:         40
        .size:           8
        .value_kind:     global_buffer
      - .offset:         48
        .size:           4
        .value_kind:     by_value
      - .offset:         56
        .size:           8
        .value_kind:     by_value
      - .offset:         64
        .size:           8
        .value_kind:     by_value
      - .address_space:  global
        .offset:         72
        .size:           8
        .value_kind:     global_buffer
      - .offset:         80
        .size:           4
        .value_kind:     by_value
      - .offset:         88
        .size:           8
        .value_kind:     by_value
      - .offset:         96
        .size:           4
        .value_kind:     by_value
    .group_segment_fixed_size: 4096
    .kernarg_segment_align: 8
    .kernarg_segment_size: 100
    .language:       OpenCL C
    .language_version:
      - 2
      - 0
    .max_flat_workgroup_size: 256
    .name:           _ZL34rocblas_syrkx_herkx_general_kernelIi19rocblas_complex_numIfELi16ELi32ELi8ELb1ELb1ELc84ELc76EKPKS1_KPS1_EviT_T0_PT8_S7_lSA_S7_lS8_PT9_S7_li
    .private_segment_fixed_size: 0
    .sgpr_count:     21
    .sgpr_spill_count: 0
    .symbol:         _ZL34rocblas_syrkx_herkx_general_kernelIi19rocblas_complex_numIfELi16ELi32ELi8ELb1ELb1ELc84ELc76EKPKS1_KPS1_EviT_T0_PT8_S7_lSA_S7_lS8_PT9_S7_li.kd
    .uniform_work_group_size: 1
    .uses_dynamic_stack: false
    .vgpr_count:     59
    .vgpr_spill_count: 0
    .wavefront_size: 32
    .workgroup_processor_mode: 1
  - .args:
      - .offset:         0
        .size:           4
        .value_kind:     by_value
      - .offset:         4
        .size:           4
        .value_kind:     by_value
      - .offset:         8
        .size:           8
        .value_kind:     by_value
      - .address_space:  global
        .offset:         16
        .size:           8
        .value_kind:     global_buffer
      - .offset:         24
        .size:           4
        .value_kind:     by_value
      - .offset:         32
        .size:           8
        .value_kind:     by_value
      - .address_space:  global
        .offset:         40
        .size:           8
        .value_kind:     global_buffer
      - .offset:         48
        .size:           4
        .value_kind:     by_value
      - .offset:         56
        .size:           8
        .value_kind:     by_value
      - .offset:         64
        .size:           8
        .value_kind:     by_value
      - .address_space:  global
        .offset:         72
        .size:           8
        .value_kind:     global_buffer
      - .offset:         80
        .size:           4
        .value_kind:     by_value
      - .offset:         88
        .size:           8
        .value_kind:     by_value
      - .offset:         96
        .size:           4
        .value_kind:     by_value
    .group_segment_fixed_size: 4096
    .kernarg_segment_align: 8
    .kernarg_segment_size: 100
    .language:       OpenCL C
    .language_version:
      - 2
      - 0
    .max_flat_workgroup_size: 256
    .name:           _ZL34rocblas_syrkx_herkx_general_kernelIi19rocblas_complex_numIfELi16ELi32ELi8ELb1ELb1ELc67ELc76EKPKS1_KPS1_EviT_T0_PT8_S7_lSA_S7_lS8_PT9_S7_li
    .private_segment_fixed_size: 0
    .sgpr_count:     21
    .sgpr_spill_count: 0
    .symbol:         _ZL34rocblas_syrkx_herkx_general_kernelIi19rocblas_complex_numIfELi16ELi32ELi8ELb1ELb1ELc67ELc76EKPKS1_KPS1_EviT_T0_PT8_S7_lSA_S7_lS8_PT9_S7_li.kd
    .uniform_work_group_size: 1
    .uses_dynamic_stack: false
    .vgpr_count:     60
    .vgpr_spill_count: 0
    .wavefront_size: 32
    .workgroup_processor_mode: 1
  - .args:
      - .offset:         0
        .size:           4
        .value_kind:     by_value
      - .offset:         4
        .size:           4
        .value_kind:     by_value
      - .offset:         8
        .size:           8
        .value_kind:     by_value
      - .address_space:  global
        .offset:         16
        .size:           8
        .value_kind:     global_buffer
      - .offset:         24
        .size:           4
        .value_kind:     by_value
      - .offset:         32
        .size:           8
        .value_kind:     by_value
      - .address_space:  global
        .offset:         40
        .size:           8
        .value_kind:     global_buffer
      - .offset:         48
        .size:           4
        .value_kind:     by_value
      - .offset:         56
        .size:           8
        .value_kind:     by_value
      - .offset:         64
        .size:           8
        .value_kind:     by_value
      - .address_space:  global
        .offset:         72
        .size:           8
        .value_kind:     global_buffer
      - .offset:         80
        .size:           4
        .value_kind:     by_value
      - .offset:         88
        .size:           8
        .value_kind:     by_value
      - .offset:         96
        .size:           4
        .value_kind:     by_value
    .group_segment_fixed_size: 4096
    .kernarg_segment_align: 8
    .kernarg_segment_size: 100
    .language:       OpenCL C
    .language_version:
      - 2
      - 0
    .max_flat_workgroup_size: 256
    .name:           _ZL34rocblas_syrkx_herkx_general_kernelIi19rocblas_complex_numIfELi16ELi32ELi8ELb1ELb1ELc78ELc76EKPKS1_KPS1_EviT_T0_PT8_S7_lSA_S7_lS8_PT9_S7_li
    .private_segment_fixed_size: 0
    .sgpr_count:     24
    .sgpr_spill_count: 0
    .symbol:         _ZL34rocblas_syrkx_herkx_general_kernelIi19rocblas_complex_numIfELi16ELi32ELi8ELb1ELb1ELc78ELc76EKPKS1_KPS1_EviT_T0_PT8_S7_lSA_S7_lS8_PT9_S7_li.kd
    .uniform_work_group_size: 1
    .uses_dynamic_stack: false
    .vgpr_count:     60
    .vgpr_spill_count: 0
    .wavefront_size: 32
    .workgroup_processor_mode: 1
  - .args:
      - .offset:         0
        .size:           4
        .value_kind:     by_value
      - .offset:         4
        .size:           4
        .value_kind:     by_value
      - .offset:         8
        .size:           8
        .value_kind:     by_value
      - .address_space:  global
        .offset:         16
        .size:           8
        .value_kind:     global_buffer
      - .offset:         24
        .size:           4
        .value_kind:     by_value
      - .offset:         32
        .size:           8
        .value_kind:     by_value
      - .address_space:  global
        .offset:         40
        .size:           8
        .value_kind:     global_buffer
      - .offset:         48
        .size:           4
        .value_kind:     by_value
      - .offset:         56
        .size:           8
        .value_kind:     by_value
      - .offset:         64
        .size:           8
        .value_kind:     by_value
      - .address_space:  global
        .offset:         72
        .size:           8
        .value_kind:     global_buffer
      - .offset:         80
        .size:           4
        .value_kind:     by_value
      - .offset:         88
        .size:           8
        .value_kind:     by_value
      - .offset:         96
        .size:           4
        .value_kind:     by_value
    .group_segment_fixed_size: 4096
    .kernarg_segment_align: 8
    .kernarg_segment_size: 100
    .language:       OpenCL C
    .language_version:
      - 2
      - 0
    .max_flat_workgroup_size: 256
    .name:           _ZL34rocblas_syrkx_herkx_general_kernelIi19rocblas_complex_numIfELi16ELi32ELi8ELb1ELb1ELc84ELc85EKPKS1_KPS1_EviT_T0_PT8_S7_lSA_S7_lS8_PT9_S7_li
    .private_segment_fixed_size: 0
    .sgpr_count:     21
    .sgpr_spill_count: 0
    .symbol:         _ZL34rocblas_syrkx_herkx_general_kernelIi19rocblas_complex_numIfELi16ELi32ELi8ELb1ELb1ELc84ELc85EKPKS1_KPS1_EviT_T0_PT8_S7_lSA_S7_lS8_PT9_S7_li.kd
    .uniform_work_group_size: 1
    .uses_dynamic_stack: false
    .vgpr_count:     59
    .vgpr_spill_count: 0
    .wavefront_size: 32
    .workgroup_processor_mode: 1
  - .args:
      - .offset:         0
        .size:           4
        .value_kind:     by_value
      - .offset:         4
        .size:           4
        .value_kind:     by_value
      - .offset:         8
        .size:           8
        .value_kind:     by_value
      - .address_space:  global
        .offset:         16
        .size:           8
        .value_kind:     global_buffer
      - .offset:         24
        .size:           4
        .value_kind:     by_value
      - .offset:         32
        .size:           8
        .value_kind:     by_value
      - .address_space:  global
        .offset:         40
        .size:           8
        .value_kind:     global_buffer
      - .offset:         48
        .size:           4
        .value_kind:     by_value
      - .offset:         56
        .size:           8
        .value_kind:     by_value
      - .offset:         64
        .size:           8
        .value_kind:     by_value
      - .address_space:  global
        .offset:         72
        .size:           8
        .value_kind:     global_buffer
      - .offset:         80
        .size:           4
        .value_kind:     by_value
      - .offset:         88
        .size:           8
        .value_kind:     by_value
      - .offset:         96
        .size:           4
        .value_kind:     by_value
    .group_segment_fixed_size: 4096
    .kernarg_segment_align: 8
    .kernarg_segment_size: 100
    .language:       OpenCL C
    .language_version:
      - 2
      - 0
    .max_flat_workgroup_size: 256
    .name:           _ZL34rocblas_syrkx_herkx_general_kernelIi19rocblas_complex_numIfELi16ELi32ELi8ELb1ELb1ELc67ELc85EKPKS1_KPS1_EviT_T0_PT8_S7_lSA_S7_lS8_PT9_S7_li
    .private_segment_fixed_size: 0
    .sgpr_count:     21
    .sgpr_spill_count: 0
    .symbol:         _ZL34rocblas_syrkx_herkx_general_kernelIi19rocblas_complex_numIfELi16ELi32ELi8ELb1ELb1ELc67ELc85EKPKS1_KPS1_EviT_T0_PT8_S7_lSA_S7_lS8_PT9_S7_li.kd
    .uniform_work_group_size: 1
    .uses_dynamic_stack: false
    .vgpr_count:     60
    .vgpr_spill_count: 0
    .wavefront_size: 32
    .workgroup_processor_mode: 1
  - .args:
      - .offset:         0
        .size:           4
        .value_kind:     by_value
      - .offset:         4
        .size:           4
        .value_kind:     by_value
      - .offset:         8
        .size:           8
        .value_kind:     by_value
      - .address_space:  global
        .offset:         16
        .size:           8
        .value_kind:     global_buffer
      - .offset:         24
        .size:           4
        .value_kind:     by_value
      - .offset:         32
        .size:           8
        .value_kind:     by_value
      - .address_space:  global
        .offset:         40
        .size:           8
        .value_kind:     global_buffer
      - .offset:         48
        .size:           4
        .value_kind:     by_value
      - .offset:         56
        .size:           8
        .value_kind:     by_value
      - .offset:         64
        .size:           8
        .value_kind:     by_value
      - .address_space:  global
        .offset:         72
        .size:           8
        .value_kind:     global_buffer
      - .offset:         80
        .size:           4
        .value_kind:     by_value
      - .offset:         88
        .size:           8
        .value_kind:     by_value
      - .offset:         96
        .size:           4
        .value_kind:     by_value
    .group_segment_fixed_size: 4096
    .kernarg_segment_align: 8
    .kernarg_segment_size: 100
    .language:       OpenCL C
    .language_version:
      - 2
      - 0
    .max_flat_workgroup_size: 256
    .name:           _ZL34rocblas_syrkx_herkx_general_kernelIi19rocblas_complex_numIfELi16ELi32ELi8ELb1ELb1ELc78ELc85EKPKS1_KPS1_EviT_T0_PT8_S7_lSA_S7_lS8_PT9_S7_li
    .private_segment_fixed_size: 0
    .sgpr_count:     24
    .sgpr_spill_count: 0
    .symbol:         _ZL34rocblas_syrkx_herkx_general_kernelIi19rocblas_complex_numIfELi16ELi32ELi8ELb1ELb1ELc78ELc85EKPKS1_KPS1_EviT_T0_PT8_S7_lSA_S7_lS8_PT9_S7_li.kd
    .uniform_work_group_size: 1
    .uses_dynamic_stack: false
    .vgpr_count:     60
    .vgpr_spill_count: 0
    .wavefront_size: 32
    .workgroup_processor_mode: 1
  - .args:
      - .offset:         0
        .size:           4
        .value_kind:     by_value
      - .offset:         4
        .size:           4
        .value_kind:     by_value
      - .offset:         8
        .size:           8
        .value_kind:     by_value
      - .address_space:  global
        .offset:         16
        .size:           8
        .value_kind:     global_buffer
      - .offset:         24
        .size:           4
        .value_kind:     by_value
      - .offset:         32
        .size:           8
        .value_kind:     by_value
      - .address_space:  global
        .offset:         40
        .size:           8
        .value_kind:     global_buffer
      - .offset:         48
        .size:           4
        .value_kind:     by_value
      - .offset:         56
        .size:           8
        .value_kind:     by_value
      - .offset:         64
        .size:           8
        .value_kind:     by_value
      - .address_space:  global
        .offset:         72
        .size:           8
        .value_kind:     global_buffer
      - .offset:         80
        .size:           4
        .value_kind:     by_value
      - .offset:         88
        .size:           8
        .value_kind:     by_value
      - .offset:         96
        .size:           4
        .value_kind:     by_value
    .group_segment_fixed_size: 4096
    .kernarg_segment_align: 8
    .kernarg_segment_size: 100
    .language:       OpenCL C
    .language_version:
      - 2
      - 0
    .max_flat_workgroup_size: 256
    .name:           _ZL34rocblas_syrkx_herkx_general_kernelIi19rocblas_complex_numIfELi16ELi32ELi8ELb0ELb1ELc84ELc76EKPKS1_KPS1_EviT_T0_PT8_S7_lSA_S7_lS8_PT9_S7_li
    .private_segment_fixed_size: 0
    .sgpr_count:     23
    .sgpr_spill_count: 0
    .symbol:         _ZL34rocblas_syrkx_herkx_general_kernelIi19rocblas_complex_numIfELi16ELi32ELi8ELb0ELb1ELc84ELc76EKPKS1_KPS1_EviT_T0_PT8_S7_lSA_S7_lS8_PT9_S7_li.kd
    .uniform_work_group_size: 1
    .uses_dynamic_stack: false
    .vgpr_count:     59
    .vgpr_spill_count: 0
    .wavefront_size: 32
    .workgroup_processor_mode: 1
  - .args:
      - .offset:         0
        .size:           4
        .value_kind:     by_value
      - .offset:         4
        .size:           4
        .value_kind:     by_value
      - .offset:         8
        .size:           8
        .value_kind:     by_value
      - .address_space:  global
        .offset:         16
        .size:           8
        .value_kind:     global_buffer
      - .offset:         24
        .size:           4
        .value_kind:     by_value
      - .offset:         32
        .size:           8
        .value_kind:     by_value
      - .address_space:  global
        .offset:         40
        .size:           8
        .value_kind:     global_buffer
      - .offset:         48
        .size:           4
        .value_kind:     by_value
      - .offset:         56
        .size:           8
        .value_kind:     by_value
      - .offset:         64
        .size:           8
        .value_kind:     by_value
      - .address_space:  global
        .offset:         72
        .size:           8
        .value_kind:     global_buffer
      - .offset:         80
        .size:           4
        .value_kind:     by_value
      - .offset:         88
        .size:           8
        .value_kind:     by_value
      - .offset:         96
        .size:           4
        .value_kind:     by_value
    .group_segment_fixed_size: 4096
    .kernarg_segment_align: 8
    .kernarg_segment_size: 100
    .language:       OpenCL C
    .language_version:
      - 2
      - 0
    .max_flat_workgroup_size: 256
    .name:           _ZL34rocblas_syrkx_herkx_general_kernelIi19rocblas_complex_numIfELi16ELi32ELi8ELb0ELb1ELc67ELc76EKPKS1_KPS1_EviT_T0_PT8_S7_lSA_S7_lS8_PT9_S7_li
    .private_segment_fixed_size: 0
    .sgpr_count:     23
    .sgpr_spill_count: 0
    .symbol:         _ZL34rocblas_syrkx_herkx_general_kernelIi19rocblas_complex_numIfELi16ELi32ELi8ELb0ELb1ELc67ELc76EKPKS1_KPS1_EviT_T0_PT8_S7_lSA_S7_lS8_PT9_S7_li.kd
    .uniform_work_group_size: 1
    .uses_dynamic_stack: false
    .vgpr_count:     60
    .vgpr_spill_count: 0
    .wavefront_size: 32
    .workgroup_processor_mode: 1
  - .args:
      - .offset:         0
        .size:           4
        .value_kind:     by_value
      - .offset:         4
        .size:           4
        .value_kind:     by_value
      - .offset:         8
        .size:           8
        .value_kind:     by_value
      - .address_space:  global
        .offset:         16
        .size:           8
        .value_kind:     global_buffer
      - .offset:         24
        .size:           4
        .value_kind:     by_value
      - .offset:         32
        .size:           8
        .value_kind:     by_value
      - .address_space:  global
        .offset:         40
        .size:           8
        .value_kind:     global_buffer
      - .offset:         48
        .size:           4
        .value_kind:     by_value
      - .offset:         56
        .size:           8
        .value_kind:     by_value
      - .offset:         64
        .size:           8
        .value_kind:     by_value
      - .address_space:  global
        .offset:         72
        .size:           8
        .value_kind:     global_buffer
      - .offset:         80
        .size:           4
        .value_kind:     by_value
      - .offset:         88
        .size:           8
        .value_kind:     by_value
      - .offset:         96
        .size:           4
        .value_kind:     by_value
    .group_segment_fixed_size: 4096
    .kernarg_segment_align: 8
    .kernarg_segment_size: 100
    .language:       OpenCL C
    .language_version:
      - 2
      - 0
    .max_flat_workgroup_size: 256
    .name:           _ZL34rocblas_syrkx_herkx_general_kernelIi19rocblas_complex_numIfELi16ELi32ELi8ELb0ELb1ELc78ELc76EKPKS1_KPS1_EviT_T0_PT8_S7_lSA_S7_lS8_PT9_S7_li
    .private_segment_fixed_size: 0
    .sgpr_count:     26
    .sgpr_spill_count: 0
    .symbol:         _ZL34rocblas_syrkx_herkx_general_kernelIi19rocblas_complex_numIfELi16ELi32ELi8ELb0ELb1ELc78ELc76EKPKS1_KPS1_EviT_T0_PT8_S7_lSA_S7_lS8_PT9_S7_li.kd
    .uniform_work_group_size: 1
    .uses_dynamic_stack: false
    .vgpr_count:     60
    .vgpr_spill_count: 0
    .wavefront_size: 32
    .workgroup_processor_mode: 1
  - .args:
      - .offset:         0
        .size:           4
        .value_kind:     by_value
      - .offset:         4
        .size:           4
        .value_kind:     by_value
      - .offset:         8
        .size:           8
        .value_kind:     by_value
      - .address_space:  global
        .offset:         16
        .size:           8
        .value_kind:     global_buffer
      - .offset:         24
        .size:           4
        .value_kind:     by_value
      - .offset:         32
        .size:           8
        .value_kind:     by_value
      - .address_space:  global
        .offset:         40
        .size:           8
        .value_kind:     global_buffer
      - .offset:         48
        .size:           4
        .value_kind:     by_value
      - .offset:         56
        .size:           8
        .value_kind:     by_value
      - .offset:         64
        .size:           8
        .value_kind:     by_value
      - .address_space:  global
        .offset:         72
        .size:           8
        .value_kind:     global_buffer
      - .offset:         80
        .size:           4
        .value_kind:     by_value
      - .offset:         88
        .size:           8
        .value_kind:     by_value
      - .offset:         96
        .size:           4
        .value_kind:     by_value
    .group_segment_fixed_size: 4096
    .kernarg_segment_align: 8
    .kernarg_segment_size: 100
    .language:       OpenCL C
    .language_version:
      - 2
      - 0
    .max_flat_workgroup_size: 256
    .name:           _ZL34rocblas_syrkx_herkx_general_kernelIi19rocblas_complex_numIfELi16ELi32ELi8ELb0ELb1ELc84ELc85EKPKS1_KPS1_EviT_T0_PT8_S7_lSA_S7_lS8_PT9_S7_li
    .private_segment_fixed_size: 0
    .sgpr_count:     23
    .sgpr_spill_count: 0
    .symbol:         _ZL34rocblas_syrkx_herkx_general_kernelIi19rocblas_complex_numIfELi16ELi32ELi8ELb0ELb1ELc84ELc85EKPKS1_KPS1_EviT_T0_PT8_S7_lSA_S7_lS8_PT9_S7_li.kd
    .uniform_work_group_size: 1
    .uses_dynamic_stack: false
    .vgpr_count:     59
    .vgpr_spill_count: 0
    .wavefront_size: 32
    .workgroup_processor_mode: 1
  - .args:
      - .offset:         0
        .size:           4
        .value_kind:     by_value
      - .offset:         4
        .size:           4
        .value_kind:     by_value
      - .offset:         8
        .size:           8
        .value_kind:     by_value
      - .address_space:  global
        .offset:         16
        .size:           8
        .value_kind:     global_buffer
      - .offset:         24
        .size:           4
        .value_kind:     by_value
      - .offset:         32
        .size:           8
        .value_kind:     by_value
      - .address_space:  global
        .offset:         40
        .size:           8
        .value_kind:     global_buffer
      - .offset:         48
        .size:           4
        .value_kind:     by_value
      - .offset:         56
        .size:           8
        .value_kind:     by_value
      - .offset:         64
        .size:           8
        .value_kind:     by_value
      - .address_space:  global
        .offset:         72
        .size:           8
        .value_kind:     global_buffer
      - .offset:         80
        .size:           4
        .value_kind:     by_value
      - .offset:         88
        .size:           8
        .value_kind:     by_value
      - .offset:         96
        .size:           4
        .value_kind:     by_value
    .group_segment_fixed_size: 4096
    .kernarg_segment_align: 8
    .kernarg_segment_size: 100
    .language:       OpenCL C
    .language_version:
      - 2
      - 0
    .max_flat_workgroup_size: 256
    .name:           _ZL34rocblas_syrkx_herkx_general_kernelIi19rocblas_complex_numIfELi16ELi32ELi8ELb0ELb1ELc67ELc85EKPKS1_KPS1_EviT_T0_PT8_S7_lSA_S7_lS8_PT9_S7_li
    .private_segment_fixed_size: 0
    .sgpr_count:     23
    .sgpr_spill_count: 0
    .symbol:         _ZL34rocblas_syrkx_herkx_general_kernelIi19rocblas_complex_numIfELi16ELi32ELi8ELb0ELb1ELc67ELc85EKPKS1_KPS1_EviT_T0_PT8_S7_lSA_S7_lS8_PT9_S7_li.kd
    .uniform_work_group_size: 1
    .uses_dynamic_stack: false
    .vgpr_count:     60
    .vgpr_spill_count: 0
    .wavefront_size: 32
    .workgroup_processor_mode: 1
  - .args:
      - .offset:         0
        .size:           4
        .value_kind:     by_value
      - .offset:         4
        .size:           4
        .value_kind:     by_value
      - .offset:         8
        .size:           8
        .value_kind:     by_value
      - .address_space:  global
        .offset:         16
        .size:           8
        .value_kind:     global_buffer
      - .offset:         24
        .size:           4
        .value_kind:     by_value
      - .offset:         32
        .size:           8
        .value_kind:     by_value
      - .address_space:  global
        .offset:         40
        .size:           8
        .value_kind:     global_buffer
      - .offset:         48
        .size:           4
        .value_kind:     by_value
      - .offset:         56
        .size:           8
        .value_kind:     by_value
      - .offset:         64
        .size:           8
        .value_kind:     by_value
      - .address_space:  global
        .offset:         72
        .size:           8
        .value_kind:     global_buffer
      - .offset:         80
        .size:           4
        .value_kind:     by_value
      - .offset:         88
        .size:           8
        .value_kind:     by_value
      - .offset:         96
        .size:           4
        .value_kind:     by_value
    .group_segment_fixed_size: 4096
    .kernarg_segment_align: 8
    .kernarg_segment_size: 100
    .language:       OpenCL C
    .language_version:
      - 2
      - 0
    .max_flat_workgroup_size: 256
    .name:           _ZL34rocblas_syrkx_herkx_general_kernelIi19rocblas_complex_numIfELi16ELi32ELi8ELb0ELb1ELc78ELc85EKPKS1_KPS1_EviT_T0_PT8_S7_lSA_S7_lS8_PT9_S7_li
    .private_segment_fixed_size: 0
    .sgpr_count:     26
    .sgpr_spill_count: 0
    .symbol:         _ZL34rocblas_syrkx_herkx_general_kernelIi19rocblas_complex_numIfELi16ELi32ELi8ELb0ELb1ELc78ELc85EKPKS1_KPS1_EviT_T0_PT8_S7_lSA_S7_lS8_PT9_S7_li.kd
    .uniform_work_group_size: 1
    .uses_dynamic_stack: false
    .vgpr_count:     60
    .vgpr_spill_count: 0
    .wavefront_size: 32
    .workgroup_processor_mode: 1
  - .args:
      - .offset:         0
        .size:           1
        .value_kind:     by_value
      - .offset:         4
        .size:           4
        .value_kind:     by_value
      - .offset:         8
        .size:           4
        .value_kind:     by_value
      - .offset:         12
        .size:           8
        .value_kind:     by_value
      - .offset:         20
        .size:           8
        .value_kind:     by_value
      - .address_space:  global
        .offset:         32
        .size:           8
        .value_kind:     global_buffer
      - .offset:         40
        .size:           4
        .value_kind:     by_value
      - .offset:         48
        .size:           8
        .value_kind:     by_value
      - .offset:         56
        .size:           4
        .value_kind:     by_value
      - .offset:         64
        .size:           4
        .value_kind:     hidden_block_count_x
      - .offset:         68
        .size:           4
        .value_kind:     hidden_block_count_y
      - .offset:         72
        .size:           4
        .value_kind:     hidden_block_count_z
      - .offset:         76
        .size:           2
        .value_kind:     hidden_group_size_x
      - .offset:         78
        .size:           2
        .value_kind:     hidden_group_size_y
      - .offset:         80
        .size:           2
        .value_kind:     hidden_group_size_z
      - .offset:         82
        .size:           2
        .value_kind:     hidden_remainder_x
      - .offset:         84
        .size:           2
        .value_kind:     hidden_remainder_y
      - .offset:         86
        .size:           2
        .value_kind:     hidden_remainder_z
      - .offset:         104
        .size:           8
        .value_kind:     hidden_global_offset_x
      - .offset:         112
        .size:           8
        .value_kind:     hidden_global_offset_y
      - .offset:         120
        .size:           8
        .value_kind:     hidden_global_offset_z
      - .offset:         128
        .size:           2
        .value_kind:     hidden_grid_dims
    .group_segment_fixed_size: 0
    .kernarg_segment_align: 8
    .kernarg_segment_size: 320
    .language:       OpenCL C
    .language_version:
      - 2
      - 0
    .max_flat_workgroup_size: 1024
    .name:           _ZL26rocblas_syr2k_scale_kernelIiLi128ELi8ELb1E19rocblas_complex_numIfES1_PKPS1_EvbiT_T3_T4_T5_S5_li
    .private_segment_fixed_size: 0
    .sgpr_count:     18
    .sgpr_spill_count: 0
    .symbol:         _ZL26rocblas_syr2k_scale_kernelIiLi128ELi8ELb1E19rocblas_complex_numIfES1_PKPS1_EvbiT_T3_T4_T5_S5_li.kd
    .uniform_work_group_size: 1
    .uses_dynamic_stack: false
    .vgpr_count:     8
    .vgpr_spill_count: 0
    .wavefront_size: 32
    .workgroup_processor_mode: 1
  - .args:
      - .offset:         0
        .size:           1
        .value_kind:     by_value
      - .offset:         4
        .size:           4
        .value_kind:     by_value
      - .offset:         8
        .size:           4
        .value_kind:     by_value
      - .address_space:  global
        .offset:         16
        .size:           8
        .value_kind:     global_buffer
      - .address_space:  global
        .offset:         24
        .size:           8
        .value_kind:     global_buffer
      - .offset:         32
        .size:           4
        .value_kind:     by_value
      - .offset:         40
        .size:           8
        .value_kind:     by_value
      - .address_space:  global
        .offset:         48
        .size:           8
        .value_kind:     global_buffer
      - .offset:         56
        .size:           4
        .value_kind:     by_value
      - .offset:         64
        .size:           8
        .value_kind:     by_value
      - .address_space:  global
        .offset:         72
        .size:           8
        .value_kind:     global_buffer
      - .offset:         80
        .size:           4
        .value_kind:     by_value
      - .offset:         88
        .size:           8
        .value_kind:     by_value
      - .offset:         96
        .size:           4
        .value_kind:     by_value
    .group_segment_fixed_size: 16384
    .kernarg_segment_align: 8
    .kernarg_segment_size: 100
    .language:       OpenCL C
    .language_version:
      - 2
      - 0
    .max_flat_workgroup_size: 1024
    .name:           _ZL26rocblas_syr2k_her2k_kernelIiLb0ELb1ELb0ELi32EPK19rocblas_complex_numIfEPKS3_PKPS1_EvbiT_T4_T5_S9_lSB_S9_lT6_S9_li
    .private_segment_fixed_size: 0
    .sgpr_count:     26
    .sgpr_spill_count: 0
    .symbol:         _ZL26rocblas_syr2k_her2k_kernelIiLb0ELb1ELb0ELi32EPK19rocblas_complex_numIfEPKS3_PKPS1_EvbiT_T4_T5_S9_lSB_S9_lT6_S9_li.kd
    .uniform_work_group_size: 1
    .uses_dynamic_stack: false
    .vgpr_count:     110
    .vgpr_spill_count: 0
    .wavefront_size: 32
    .workgroup_processor_mode: 1
  - .args:
      - .offset:         0
        .size:           1
        .value_kind:     by_value
      - .offset:         4
        .size:           4
        .value_kind:     by_value
      - .offset:         8
        .size:           4
        .value_kind:     by_value
      - .address_space:  global
        .offset:         16
        .size:           8
        .value_kind:     global_buffer
      - .address_space:  global
        .offset:         24
        .size:           8
        .value_kind:     global_buffer
      - .offset:         32
        .size:           4
        .value_kind:     by_value
      - .offset:         40
        .size:           8
        .value_kind:     by_value
      - .address_space:  global
        .offset:         48
        .size:           8
        .value_kind:     global_buffer
      - .offset:         56
        .size:           4
        .value_kind:     by_value
      - .offset:         64
        .size:           8
        .value_kind:     by_value
      - .address_space:  global
        .offset:         72
        .size:           8
        .value_kind:     global_buffer
      - .offset:         80
        .size:           4
        .value_kind:     by_value
      - .offset:         88
        .size:           8
        .value_kind:     by_value
      - .offset:         96
        .size:           4
        .value_kind:     by_value
    .group_segment_fixed_size: 16384
    .kernarg_segment_align: 8
    .kernarg_segment_size: 100
    .language:       OpenCL C
    .language_version:
      - 2
      - 0
    .max_flat_workgroup_size: 1024
    .name:           _ZL26rocblas_syr2k_her2k_kernelIiLb0ELb1ELb1ELi32EPK19rocblas_complex_numIfEPKS3_PKPS1_EvbiT_T4_T5_S9_lSB_S9_lT6_S9_li
    .private_segment_fixed_size: 0
    .sgpr_count:     27
    .sgpr_spill_count: 0
    .symbol:         _ZL26rocblas_syr2k_her2k_kernelIiLb0ELb1ELb1ELi32EPK19rocblas_complex_numIfEPKS3_PKPS1_EvbiT_T4_T5_S9_lSB_S9_lT6_S9_li.kd
    .uniform_work_group_size: 1
    .uses_dynamic_stack: false
    .vgpr_count:     108
    .vgpr_spill_count: 0
    .wavefront_size: 32
    .workgroup_processor_mode: 1
  - .args:
      - .offset:         0
        .size:           1
        .value_kind:     by_value
      - .offset:         4
        .size:           4
        .value_kind:     by_value
      - .offset:         8
        .size:           4
        .value_kind:     by_value
      - .offset:         16
        .size:           16
        .value_kind:     by_value
      - .address_space:  global
        .offset:         32
        .size:           8
        .value_kind:     global_buffer
      - .offset:         40
        .size:           4
        .value_kind:     by_value
      - .offset:         48
        .size:           8
        .value_kind:     by_value
      - .address_space:  global
        .offset:         56
        .size:           8
        .value_kind:     global_buffer
      - .offset:         64
        .size:           4
        .value_kind:     by_value
      - .offset:         72
        .size:           8
        .value_kind:     by_value
      - .address_space:  global
        .offset:         80
        .size:           8
        .value_kind:     global_buffer
      - .offset:         88
        .size:           4
        .value_kind:     by_value
      - .offset:         96
        .size:           8
        .value_kind:     by_value
      - .offset:         104
        .size:           4
        .value_kind:     by_value
    .group_segment_fixed_size: 32768
    .kernarg_segment_align: 8
    .kernarg_segment_size: 108
    .language:       OpenCL C
    .language_version:
      - 2
      - 0
    .max_flat_workgroup_size: 1024
    .name:           _ZL26rocblas_syr2k_her2k_kernelIiLb0ELb1ELb0ELi32E19rocblas_complex_numIdEPKPKS1_PKPS1_EvbiT_T4_T5_S9_lSB_S9_lT6_S9_li
    .private_segment_fixed_size: 0
    .sgpr_count:     28
    .sgpr_spill_count: 0
    .symbol:         _ZL26rocblas_syr2k_her2k_kernelIiLb0ELb1ELb0ELi32E19rocblas_complex_numIdEPKPKS1_PKPS1_EvbiT_T4_T5_S9_lSB_S9_lT6_S9_li.kd
    .uniform_work_group_size: 1
    .uses_dynamic_stack: false
    .vgpr_count:     61
    .vgpr_spill_count: 0
    .wavefront_size: 32
    .workgroup_processor_mode: 1
  - .args:
      - .offset:         0
        .size:           1
        .value_kind:     by_value
      - .offset:         4
        .size:           4
        .value_kind:     by_value
      - .offset:         8
        .size:           4
        .value_kind:     by_value
      - .offset:         16
        .size:           16
        .value_kind:     by_value
      - .address_space:  global
        .offset:         32
        .size:           8
        .value_kind:     global_buffer
      - .offset:         40
        .size:           4
        .value_kind:     by_value
      - .offset:         48
        .size:           8
        .value_kind:     by_value
      - .address_space:  global
        .offset:         56
        .size:           8
        .value_kind:     global_buffer
      - .offset:         64
        .size:           4
        .value_kind:     by_value
      - .offset:         72
        .size:           8
        .value_kind:     by_value
      - .address_space:  global
        .offset:         80
        .size:           8
        .value_kind:     global_buffer
      - .offset:         88
        .size:           4
        .value_kind:     by_value
      - .offset:         96
        .size:           8
        .value_kind:     by_value
      - .offset:         104
        .size:           4
        .value_kind:     by_value
    .group_segment_fixed_size: 32768
    .kernarg_segment_align: 8
    .kernarg_segment_size: 108
    .language:       OpenCL C
    .language_version:
      - 2
      - 0
    .max_flat_workgroup_size: 1024
    .name:           _ZL26rocblas_syr2k_her2k_kernelIiLb0ELb1ELb1ELi32E19rocblas_complex_numIdEPKPKS1_PKPS1_EvbiT_T4_T5_S9_lSB_S9_lT6_S9_li
    .private_segment_fixed_size: 0
    .sgpr_count:     27
    .sgpr_spill_count: 0
    .symbol:         _ZL26rocblas_syr2k_her2k_kernelIiLb0ELb1ELb1ELi32E19rocblas_complex_numIdEPKPKS1_PKPS1_EvbiT_T4_T5_S9_lSB_S9_lT6_S9_li.kd
    .uniform_work_group_size: 1
    .uses_dynamic_stack: false
    .vgpr_count:     61
    .vgpr_spill_count: 0
    .wavefront_size: 32
    .workgroup_processor_mode: 1
  - .args:
      - .offset:         0
        .size:           4
        .value_kind:     by_value
      - .offset:         4
        .size:           4
        .value_kind:     by_value
      - .address_space:  global
        .offset:         8
        .size:           8
        .value_kind:     global_buffer
      - .offset:         16
        .size:           4
        .value_kind:     by_value
      - .offset:         24
        .size:           8
        .value_kind:     by_value
      - .address_space:  global
        .offset:         32
        .size:           8
        .value_kind:     global_buffer
      - .offset:         40
        .size:           4
        .value_kind:     by_value
      - .offset:         48
        .size:           8
        .value_kind:     by_value
      - .address_space:  global
        .offset:         56
        .size:           8
        .value_kind:     global_buffer
      - .offset:         64
        .size:           4
        .value_kind:     by_value
      - .offset:         72
        .size:           8
        .value_kind:     by_value
      - .offset:         80
        .size:           4
        .value_kind:     by_value
    .group_segment_fixed_size: 8192
    .kernarg_segment_align: 8
    .kernarg_segment_size: 84
    .language:       OpenCL C
    .language_version:
      - 2
      - 0
    .max_flat_workgroup_size: 256
    .name:           _ZL37rocblas_syrkx_herkx_restricted_kernelIi19rocblas_complex_numIdELi16ELi32ELi8ELi1ELi1ELb1ELc84ELc76EKPKS1_KPS1_EviT_PT9_S7_lS9_S7_lPT10_S7_li
    .private_segment_fixed_size: 0
    .sgpr_count:     19
    .sgpr_spill_count: 0
    .symbol:         _ZL37rocblas_syrkx_herkx_restricted_kernelIi19rocblas_complex_numIdELi16ELi32ELi8ELi1ELi1ELb1ELc84ELc76EKPKS1_KPS1_EviT_PT9_S7_lS9_S7_lPT10_S7_li.kd
    .uniform_work_group_size: 1
    .uses_dynamic_stack: false
    .vgpr_count:     118
    .vgpr_spill_count: 0
    .wavefront_size: 32
    .workgroup_processor_mode: 1
  - .args:
      - .offset:         0
        .size:           4
        .value_kind:     by_value
      - .offset:         4
        .size:           4
        .value_kind:     by_value
      - .address_space:  global
        .offset:         8
        .size:           8
        .value_kind:     global_buffer
      - .offset:         16
        .size:           4
        .value_kind:     by_value
      - .offset:         24
        .size:           8
        .value_kind:     by_value
      - .address_space:  global
        .offset:         32
        .size:           8
        .value_kind:     global_buffer
      - .offset:         40
        .size:           4
        .value_kind:     by_value
      - .offset:         48
        .size:           8
        .value_kind:     by_value
      - .address_space:  global
        .offset:         56
        .size:           8
        .value_kind:     global_buffer
      - .offset:         64
        .size:           4
        .value_kind:     by_value
      - .offset:         72
        .size:           8
        .value_kind:     by_value
      - .offset:         80
        .size:           4
        .value_kind:     by_value
    .group_segment_fixed_size: 8192
    .kernarg_segment_align: 8
    .kernarg_segment_size: 84
    .language:       OpenCL C
    .language_version:
      - 2
      - 0
    .max_flat_workgroup_size: 256
    .name:           _ZL37rocblas_syrkx_herkx_restricted_kernelIi19rocblas_complex_numIdELi16ELi32ELi8ELi1ELi1ELb1ELc67ELc76EKPKS1_KPS1_EviT_PT9_S7_lS9_S7_lPT10_S7_li
    .private_segment_fixed_size: 0
    .sgpr_count:     19
    .sgpr_spill_count: 0
    .symbol:         _ZL37rocblas_syrkx_herkx_restricted_kernelIi19rocblas_complex_numIdELi16ELi32ELi8ELi1ELi1ELb1ELc67ELc76EKPKS1_KPS1_EviT_PT9_S7_lS9_S7_lPT10_S7_li.kd
    .uniform_work_group_size: 1
    .uses_dynamic_stack: false
    .vgpr_count:     118
    .vgpr_spill_count: 0
    .wavefront_size: 32
    .workgroup_processor_mode: 1
  - .args:
      - .offset:         0
        .size:           4
        .value_kind:     by_value
      - .offset:         4
        .size:           4
        .value_kind:     by_value
      - .address_space:  global
        .offset:         8
        .size:           8
        .value_kind:     global_buffer
      - .offset:         16
        .size:           4
        .value_kind:     by_value
      - .offset:         24
        .size:           8
        .value_kind:     by_value
      - .address_space:  global
        .offset:         32
        .size:           8
        .value_kind:     global_buffer
      - .offset:         40
        .size:           4
        .value_kind:     by_value
      - .offset:         48
        .size:           8
        .value_kind:     by_value
      - .address_space:  global
        .offset:         56
        .size:           8
        .value_kind:     global_buffer
      - .offset:         64
        .size:           4
        .value_kind:     by_value
      - .offset:         72
        .size:           8
        .value_kind:     by_value
      - .offset:         80
        .size:           4
        .value_kind:     by_value
    .group_segment_fixed_size: 8192
    .kernarg_segment_align: 8
    .kernarg_segment_size: 84
    .language:       OpenCL C
    .language_version:
      - 2
      - 0
    .max_flat_workgroup_size: 256
    .name:           _ZL37rocblas_syrkx_herkx_restricted_kernelIi19rocblas_complex_numIdELi16ELi32ELi8ELi1ELi1ELb1ELc78ELc76EKPKS1_KPS1_EviT_PT9_S7_lS9_S7_lPT10_S7_li
    .private_segment_fixed_size: 0
    .sgpr_count:     22
    .sgpr_spill_count: 0
    .symbol:         _ZL37rocblas_syrkx_herkx_restricted_kernelIi19rocblas_complex_numIdELi16ELi32ELi8ELi1ELi1ELb1ELc78ELc76EKPKS1_KPS1_EviT_PT9_S7_lS9_S7_lPT10_S7_li.kd
    .uniform_work_group_size: 1
    .uses_dynamic_stack: false
    .vgpr_count:     118
    .vgpr_spill_count: 0
    .wavefront_size: 32
    .workgroup_processor_mode: 1
  - .args:
      - .offset:         0
        .size:           4
        .value_kind:     by_value
      - .offset:         4
        .size:           4
        .value_kind:     by_value
      - .address_space:  global
        .offset:         8
        .size:           8
        .value_kind:     global_buffer
      - .offset:         16
        .size:           4
        .value_kind:     by_value
      - .offset:         24
        .size:           8
        .value_kind:     by_value
      - .address_space:  global
        .offset:         32
        .size:           8
        .value_kind:     global_buffer
      - .offset:         40
        .size:           4
        .value_kind:     by_value
      - .offset:         48
        .size:           8
        .value_kind:     by_value
      - .address_space:  global
        .offset:         56
        .size:           8
        .value_kind:     global_buffer
      - .offset:         64
        .size:           4
        .value_kind:     by_value
      - .offset:         72
        .size:           8
        .value_kind:     by_value
      - .offset:         80
        .size:           4
        .value_kind:     by_value
    .group_segment_fixed_size: 8192
    .kernarg_segment_align: 8
    .kernarg_segment_size: 84
    .language:       OpenCL C
    .language_version:
      - 2
      - 0
    .max_flat_workgroup_size: 256
    .name:           _ZL37rocblas_syrkx_herkx_restricted_kernelIi19rocblas_complex_numIdELi16ELi32ELi8ELi1ELi1ELb1ELc84ELc85EKPKS1_KPS1_EviT_PT9_S7_lS9_S7_lPT10_S7_li
    .private_segment_fixed_size: 0
    .sgpr_count:     19
    .sgpr_spill_count: 0
    .symbol:         _ZL37rocblas_syrkx_herkx_restricted_kernelIi19rocblas_complex_numIdELi16ELi32ELi8ELi1ELi1ELb1ELc84ELc85EKPKS1_KPS1_EviT_PT9_S7_lS9_S7_lPT10_S7_li.kd
    .uniform_work_group_size: 1
    .uses_dynamic_stack: false
    .vgpr_count:     118
    .vgpr_spill_count: 0
    .wavefront_size: 32
    .workgroup_processor_mode: 1
  - .args:
      - .offset:         0
        .size:           4
        .value_kind:     by_value
      - .offset:         4
        .size:           4
        .value_kind:     by_value
      - .address_space:  global
        .offset:         8
        .size:           8
        .value_kind:     global_buffer
      - .offset:         16
        .size:           4
        .value_kind:     by_value
      - .offset:         24
        .size:           8
        .value_kind:     by_value
      - .address_space:  global
        .offset:         32
        .size:           8
        .value_kind:     global_buffer
      - .offset:         40
        .size:           4
        .value_kind:     by_value
      - .offset:         48
        .size:           8
        .value_kind:     by_value
      - .address_space:  global
        .offset:         56
        .size:           8
        .value_kind:     global_buffer
      - .offset:         64
        .size:           4
        .value_kind:     by_value
      - .offset:         72
        .size:           8
        .value_kind:     by_value
      - .offset:         80
        .size:           4
        .value_kind:     by_value
    .group_segment_fixed_size: 8192
    .kernarg_segment_align: 8
    .kernarg_segment_size: 84
    .language:       OpenCL C
    .language_version:
      - 2
      - 0
    .max_flat_workgroup_size: 256
    .name:           _ZL37rocblas_syrkx_herkx_restricted_kernelIi19rocblas_complex_numIdELi16ELi32ELi8ELi1ELi1ELb1ELc67ELc85EKPKS1_KPS1_EviT_PT9_S7_lS9_S7_lPT10_S7_li
    .private_segment_fixed_size: 0
    .sgpr_count:     19
    .sgpr_spill_count: 0
    .symbol:         _ZL37rocblas_syrkx_herkx_restricted_kernelIi19rocblas_complex_numIdELi16ELi32ELi8ELi1ELi1ELb1ELc67ELc85EKPKS1_KPS1_EviT_PT9_S7_lS9_S7_lPT10_S7_li.kd
    .uniform_work_group_size: 1
    .uses_dynamic_stack: false
    .vgpr_count:     118
    .vgpr_spill_count: 0
    .wavefront_size: 32
    .workgroup_processor_mode: 1
  - .args:
      - .offset:         0
        .size:           4
        .value_kind:     by_value
      - .offset:         4
        .size:           4
        .value_kind:     by_value
      - .address_space:  global
        .offset:         8
        .size:           8
        .value_kind:     global_buffer
      - .offset:         16
        .size:           4
        .value_kind:     by_value
      - .offset:         24
        .size:           8
        .value_kind:     by_value
      - .address_space:  global
        .offset:         32
        .size:           8
        .value_kind:     global_buffer
      - .offset:         40
        .size:           4
        .value_kind:     by_value
      - .offset:         48
        .size:           8
        .value_kind:     by_value
      - .address_space:  global
        .offset:         56
        .size:           8
        .value_kind:     global_buffer
      - .offset:         64
        .size:           4
        .value_kind:     by_value
      - .offset:         72
        .size:           8
        .value_kind:     by_value
      - .offset:         80
        .size:           4
        .value_kind:     by_value
    .group_segment_fixed_size: 8192
    .kernarg_segment_align: 8
    .kernarg_segment_size: 84
    .language:       OpenCL C
    .language_version:
      - 2
      - 0
    .max_flat_workgroup_size: 256
    .name:           _ZL37rocblas_syrkx_herkx_restricted_kernelIi19rocblas_complex_numIdELi16ELi32ELi8ELi1ELi1ELb1ELc78ELc85EKPKS1_KPS1_EviT_PT9_S7_lS9_S7_lPT10_S7_li
    .private_segment_fixed_size: 0
    .sgpr_count:     22
    .sgpr_spill_count: 0
    .symbol:         _ZL37rocblas_syrkx_herkx_restricted_kernelIi19rocblas_complex_numIdELi16ELi32ELi8ELi1ELi1ELb1ELc78ELc85EKPKS1_KPS1_EviT_PT9_S7_lS9_S7_lPT10_S7_li.kd
    .uniform_work_group_size: 1
    .uses_dynamic_stack: false
    .vgpr_count:     118
    .vgpr_spill_count: 0
    .wavefront_size: 32
    .workgroup_processor_mode: 1
  - .args:
      - .offset:         0
        .size:           4
        .value_kind:     by_value
      - .offset:         4
        .size:           4
        .value_kind:     by_value
      - .address_space:  global
        .offset:         8
        .size:           8
        .value_kind:     global_buffer
      - .offset:         16
        .size:           4
        .value_kind:     by_value
      - .offset:         24
        .size:           8
        .value_kind:     by_value
      - .address_space:  global
        .offset:         32
        .size:           8
        .value_kind:     global_buffer
      - .offset:         40
        .size:           4
        .value_kind:     by_value
      - .offset:         48
        .size:           8
        .value_kind:     by_value
      - .address_space:  global
        .offset:         56
        .size:           8
        .value_kind:     global_buffer
      - .offset:         64
        .size:           4
        .value_kind:     by_value
      - .offset:         72
        .size:           8
        .value_kind:     by_value
      - .offset:         80
        .size:           4
        .value_kind:     by_value
    .group_segment_fixed_size: 8192
    .kernarg_segment_align: 8
    .kernarg_segment_size: 84
    .language:       OpenCL C
    .language_version:
      - 2
      - 0
    .max_flat_workgroup_size: 256
    .name:           _ZL37rocblas_syrkx_herkx_restricted_kernelIi19rocblas_complex_numIdELi16ELi32ELi8ELi1ELin1ELb1ELc84ELc76EKPKS1_KPS1_EviT_PT9_S7_lS9_S7_lPT10_S7_li
    .private_segment_fixed_size: 0
    .sgpr_count:     19
    .sgpr_spill_count: 0
    .symbol:         _ZL37rocblas_syrkx_herkx_restricted_kernelIi19rocblas_complex_numIdELi16ELi32ELi8ELi1ELin1ELb1ELc84ELc76EKPKS1_KPS1_EviT_PT9_S7_lS9_S7_lPT10_S7_li.kd
    .uniform_work_group_size: 1
    .uses_dynamic_stack: false
    .vgpr_count:     118
    .vgpr_spill_count: 0
    .wavefront_size: 32
    .workgroup_processor_mode: 1
  - .args:
      - .offset:         0
        .size:           4
        .value_kind:     by_value
      - .offset:         4
        .size:           4
        .value_kind:     by_value
      - .address_space:  global
        .offset:         8
        .size:           8
        .value_kind:     global_buffer
      - .offset:         16
        .size:           4
        .value_kind:     by_value
      - .offset:         24
        .size:           8
        .value_kind:     by_value
      - .address_space:  global
        .offset:         32
        .size:           8
        .value_kind:     global_buffer
      - .offset:         40
        .size:           4
        .value_kind:     by_value
      - .offset:         48
        .size:           8
        .value_kind:     by_value
      - .address_space:  global
        .offset:         56
        .size:           8
        .value_kind:     global_buffer
      - .offset:         64
        .size:           4
        .value_kind:     by_value
      - .offset:         72
        .size:           8
        .value_kind:     by_value
      - .offset:         80
        .size:           4
        .value_kind:     by_value
    .group_segment_fixed_size: 8192
    .kernarg_segment_align: 8
    .kernarg_segment_size: 84
    .language:       OpenCL C
    .language_version:
      - 2
      - 0
    .max_flat_workgroup_size: 256
    .name:           _ZL37rocblas_syrkx_herkx_restricted_kernelIi19rocblas_complex_numIdELi16ELi32ELi8ELi1ELin1ELb1ELc67ELc76EKPKS1_KPS1_EviT_PT9_S7_lS9_S7_lPT10_S7_li
    .private_segment_fixed_size: 0
    .sgpr_count:     19
    .sgpr_spill_count: 0
    .symbol:         _ZL37rocblas_syrkx_herkx_restricted_kernelIi19rocblas_complex_numIdELi16ELi32ELi8ELi1ELin1ELb1ELc67ELc76EKPKS1_KPS1_EviT_PT9_S7_lS9_S7_lPT10_S7_li.kd
    .uniform_work_group_size: 1
    .uses_dynamic_stack: false
    .vgpr_count:     118
    .vgpr_spill_count: 0
    .wavefront_size: 32
    .workgroup_processor_mode: 1
  - .args:
      - .offset:         0
        .size:           4
        .value_kind:     by_value
      - .offset:         4
        .size:           4
        .value_kind:     by_value
      - .address_space:  global
        .offset:         8
        .size:           8
        .value_kind:     global_buffer
      - .offset:         16
        .size:           4
        .value_kind:     by_value
      - .offset:         24
        .size:           8
        .value_kind:     by_value
      - .address_space:  global
        .offset:         32
        .size:           8
        .value_kind:     global_buffer
      - .offset:         40
        .size:           4
        .value_kind:     by_value
      - .offset:         48
        .size:           8
        .value_kind:     by_value
      - .address_space:  global
        .offset:         56
        .size:           8
        .value_kind:     global_buffer
      - .offset:         64
        .size:           4
        .value_kind:     by_value
      - .offset:         72
        .size:           8
        .value_kind:     by_value
      - .offset:         80
        .size:           4
        .value_kind:     by_value
    .group_segment_fixed_size: 8192
    .kernarg_segment_align: 8
    .kernarg_segment_size: 84
    .language:       OpenCL C
    .language_version:
      - 2
      - 0
    .max_flat_workgroup_size: 256
    .name:           _ZL37rocblas_syrkx_herkx_restricted_kernelIi19rocblas_complex_numIdELi16ELi32ELi8ELi1ELin1ELb1ELc78ELc76EKPKS1_KPS1_EviT_PT9_S7_lS9_S7_lPT10_S7_li
    .private_segment_fixed_size: 0
    .sgpr_count:     22
    .sgpr_spill_count: 0
    .symbol:         _ZL37rocblas_syrkx_herkx_restricted_kernelIi19rocblas_complex_numIdELi16ELi32ELi8ELi1ELin1ELb1ELc78ELc76EKPKS1_KPS1_EviT_PT9_S7_lS9_S7_lPT10_S7_li.kd
    .uniform_work_group_size: 1
    .uses_dynamic_stack: false
    .vgpr_count:     118
    .vgpr_spill_count: 0
    .wavefront_size: 32
    .workgroup_processor_mode: 1
  - .args:
      - .offset:         0
        .size:           4
        .value_kind:     by_value
      - .offset:         4
        .size:           4
        .value_kind:     by_value
      - .address_space:  global
        .offset:         8
        .size:           8
        .value_kind:     global_buffer
      - .offset:         16
        .size:           4
        .value_kind:     by_value
      - .offset:         24
        .size:           8
        .value_kind:     by_value
      - .address_space:  global
        .offset:         32
        .size:           8
        .value_kind:     global_buffer
      - .offset:         40
        .size:           4
        .value_kind:     by_value
      - .offset:         48
        .size:           8
        .value_kind:     by_value
      - .address_space:  global
        .offset:         56
        .size:           8
        .value_kind:     global_buffer
      - .offset:         64
        .size:           4
        .value_kind:     by_value
      - .offset:         72
        .size:           8
        .value_kind:     by_value
      - .offset:         80
        .size:           4
        .value_kind:     by_value
    .group_segment_fixed_size: 8192
    .kernarg_segment_align: 8
    .kernarg_segment_size: 84
    .language:       OpenCL C
    .language_version:
      - 2
      - 0
    .max_flat_workgroup_size: 256
    .name:           _ZL37rocblas_syrkx_herkx_restricted_kernelIi19rocblas_complex_numIdELi16ELi32ELi8ELi1ELin1ELb1ELc84ELc85EKPKS1_KPS1_EviT_PT9_S7_lS9_S7_lPT10_S7_li
    .private_segment_fixed_size: 0
    .sgpr_count:     19
    .sgpr_spill_count: 0
    .symbol:         _ZL37rocblas_syrkx_herkx_restricted_kernelIi19rocblas_complex_numIdELi16ELi32ELi8ELi1ELin1ELb1ELc84ELc85EKPKS1_KPS1_EviT_PT9_S7_lS9_S7_lPT10_S7_li.kd
    .uniform_work_group_size: 1
    .uses_dynamic_stack: false
    .vgpr_count:     118
    .vgpr_spill_count: 0
    .wavefront_size: 32
    .workgroup_processor_mode: 1
  - .args:
      - .offset:         0
        .size:           4
        .value_kind:     by_value
      - .offset:         4
        .size:           4
        .value_kind:     by_value
      - .address_space:  global
        .offset:         8
        .size:           8
        .value_kind:     global_buffer
      - .offset:         16
        .size:           4
        .value_kind:     by_value
      - .offset:         24
        .size:           8
        .value_kind:     by_value
      - .address_space:  global
        .offset:         32
        .size:           8
        .value_kind:     global_buffer
      - .offset:         40
        .size:           4
        .value_kind:     by_value
      - .offset:         48
        .size:           8
        .value_kind:     by_value
      - .address_space:  global
        .offset:         56
        .size:           8
        .value_kind:     global_buffer
      - .offset:         64
        .size:           4
        .value_kind:     by_value
      - .offset:         72
        .size:           8
        .value_kind:     by_value
      - .offset:         80
        .size:           4
        .value_kind:     by_value
    .group_segment_fixed_size: 8192
    .kernarg_segment_align: 8
    .kernarg_segment_size: 84
    .language:       OpenCL C
    .language_version:
      - 2
      - 0
    .max_flat_workgroup_size: 256
    .name:           _ZL37rocblas_syrkx_herkx_restricted_kernelIi19rocblas_complex_numIdELi16ELi32ELi8ELi1ELin1ELb1ELc67ELc85EKPKS1_KPS1_EviT_PT9_S7_lS9_S7_lPT10_S7_li
    .private_segment_fixed_size: 0
    .sgpr_count:     19
    .sgpr_spill_count: 0
    .symbol:         _ZL37rocblas_syrkx_herkx_restricted_kernelIi19rocblas_complex_numIdELi16ELi32ELi8ELi1ELin1ELb1ELc67ELc85EKPKS1_KPS1_EviT_PT9_S7_lS9_S7_lPT10_S7_li.kd
    .uniform_work_group_size: 1
    .uses_dynamic_stack: false
    .vgpr_count:     118
    .vgpr_spill_count: 0
    .wavefront_size: 32
    .workgroup_processor_mode: 1
  - .args:
      - .offset:         0
        .size:           4
        .value_kind:     by_value
      - .offset:         4
        .size:           4
        .value_kind:     by_value
      - .address_space:  global
        .offset:         8
        .size:           8
        .value_kind:     global_buffer
      - .offset:         16
        .size:           4
        .value_kind:     by_value
      - .offset:         24
        .size:           8
        .value_kind:     by_value
      - .address_space:  global
        .offset:         32
        .size:           8
        .value_kind:     global_buffer
      - .offset:         40
        .size:           4
        .value_kind:     by_value
      - .offset:         48
        .size:           8
        .value_kind:     by_value
      - .address_space:  global
        .offset:         56
        .size:           8
        .value_kind:     global_buffer
      - .offset:         64
        .size:           4
        .value_kind:     by_value
      - .offset:         72
        .size:           8
        .value_kind:     by_value
      - .offset:         80
        .size:           4
        .value_kind:     by_value
    .group_segment_fixed_size: 8192
    .kernarg_segment_align: 8
    .kernarg_segment_size: 84
    .language:       OpenCL C
    .language_version:
      - 2
      - 0
    .max_flat_workgroup_size: 256
    .name:           _ZL37rocblas_syrkx_herkx_restricted_kernelIi19rocblas_complex_numIdELi16ELi32ELi8ELi1ELin1ELb1ELc78ELc85EKPKS1_KPS1_EviT_PT9_S7_lS9_S7_lPT10_S7_li
    .private_segment_fixed_size: 0
    .sgpr_count:     22
    .sgpr_spill_count: 0
    .symbol:         _ZL37rocblas_syrkx_herkx_restricted_kernelIi19rocblas_complex_numIdELi16ELi32ELi8ELi1ELin1ELb1ELc78ELc85EKPKS1_KPS1_EviT_PT9_S7_lS9_S7_lPT10_S7_li.kd
    .uniform_work_group_size: 1
    .uses_dynamic_stack: false
    .vgpr_count:     118
    .vgpr_spill_count: 0
    .wavefront_size: 32
    .workgroup_processor_mode: 1
  - .args:
      - .offset:         0
        .size:           4
        .value_kind:     by_value
      - .offset:         4
        .size:           4
        .value_kind:     by_value
      - .address_space:  global
        .offset:         8
        .size:           8
        .value_kind:     global_buffer
      - .offset:         16
        .size:           4
        .value_kind:     by_value
      - .offset:         24
        .size:           8
        .value_kind:     by_value
      - .address_space:  global
        .offset:         32
        .size:           8
        .value_kind:     global_buffer
      - .offset:         40
        .size:           4
        .value_kind:     by_value
      - .offset:         48
        .size:           8
        .value_kind:     by_value
      - .address_space:  global
        .offset:         56
        .size:           8
        .value_kind:     global_buffer
      - .offset:         64
        .size:           4
        .value_kind:     by_value
      - .offset:         72
        .size:           8
        .value_kind:     by_value
      - .offset:         80
        .size:           4
        .value_kind:     by_value
    .group_segment_fixed_size: 8192
    .kernarg_segment_align: 8
    .kernarg_segment_size: 84
    .language:       OpenCL C
    .language_version:
      - 2
      - 0
    .max_flat_workgroup_size: 256
    .name:           _ZL37rocblas_syrkx_herkx_restricted_kernelIi19rocblas_complex_numIdELi16ELi32ELi8ELi1ELi0ELb1ELc84ELc76EKPKS1_KPS1_EviT_PT9_S7_lS9_S7_lPT10_S7_li
    .private_segment_fixed_size: 0
    .sgpr_count:     19
    .sgpr_spill_count: 0
    .symbol:         _ZL37rocblas_syrkx_herkx_restricted_kernelIi19rocblas_complex_numIdELi16ELi32ELi8ELi1ELi0ELb1ELc84ELc76EKPKS1_KPS1_EviT_PT9_S7_lS9_S7_lPT10_S7_li.kd
    .uniform_work_group_size: 1
    .uses_dynamic_stack: false
    .vgpr_count:     118
    .vgpr_spill_count: 0
    .wavefront_size: 32
    .workgroup_processor_mode: 1
  - .args:
      - .offset:         0
        .size:           4
        .value_kind:     by_value
      - .offset:         4
        .size:           4
        .value_kind:     by_value
      - .address_space:  global
        .offset:         8
        .size:           8
        .value_kind:     global_buffer
      - .offset:         16
        .size:           4
        .value_kind:     by_value
      - .offset:         24
        .size:           8
        .value_kind:     by_value
      - .address_space:  global
        .offset:         32
        .size:           8
        .value_kind:     global_buffer
      - .offset:         40
        .size:           4
        .value_kind:     by_value
      - .offset:         48
        .size:           8
        .value_kind:     by_value
      - .address_space:  global
        .offset:         56
        .size:           8
        .value_kind:     global_buffer
      - .offset:         64
        .size:           4
        .value_kind:     by_value
      - .offset:         72
        .size:           8
        .value_kind:     by_value
      - .offset:         80
        .size:           4
        .value_kind:     by_value
    .group_segment_fixed_size: 8192
    .kernarg_segment_align: 8
    .kernarg_segment_size: 84
    .language:       OpenCL C
    .language_version:
      - 2
      - 0
    .max_flat_workgroup_size: 256
    .name:           _ZL37rocblas_syrkx_herkx_restricted_kernelIi19rocblas_complex_numIdELi16ELi32ELi8ELi1ELi0ELb1ELc67ELc76EKPKS1_KPS1_EviT_PT9_S7_lS9_S7_lPT10_S7_li
    .private_segment_fixed_size: 0
    .sgpr_count:     19
    .sgpr_spill_count: 0
    .symbol:         _ZL37rocblas_syrkx_herkx_restricted_kernelIi19rocblas_complex_numIdELi16ELi32ELi8ELi1ELi0ELb1ELc67ELc76EKPKS1_KPS1_EviT_PT9_S7_lS9_S7_lPT10_S7_li.kd
    .uniform_work_group_size: 1
    .uses_dynamic_stack: false
    .vgpr_count:     118
    .vgpr_spill_count: 0
    .wavefront_size: 32
    .workgroup_processor_mode: 1
  - .args:
      - .offset:         0
        .size:           4
        .value_kind:     by_value
      - .offset:         4
        .size:           4
        .value_kind:     by_value
      - .address_space:  global
        .offset:         8
        .size:           8
        .value_kind:     global_buffer
      - .offset:         16
        .size:           4
        .value_kind:     by_value
      - .offset:         24
        .size:           8
        .value_kind:     by_value
      - .address_space:  global
        .offset:         32
        .size:           8
        .value_kind:     global_buffer
      - .offset:         40
        .size:           4
        .value_kind:     by_value
      - .offset:         48
        .size:           8
        .value_kind:     by_value
      - .address_space:  global
        .offset:         56
        .size:           8
        .value_kind:     global_buffer
      - .offset:         64
        .size:           4
        .value_kind:     by_value
      - .offset:         72
        .size:           8
        .value_kind:     by_value
      - .offset:         80
        .size:           4
        .value_kind:     by_value
    .group_segment_fixed_size: 8192
    .kernarg_segment_align: 8
    .kernarg_segment_size: 84
    .language:       OpenCL C
    .language_version:
      - 2
      - 0
    .max_flat_workgroup_size: 256
    .name:           _ZL37rocblas_syrkx_herkx_restricted_kernelIi19rocblas_complex_numIdELi16ELi32ELi8ELi1ELi0ELb1ELc78ELc76EKPKS1_KPS1_EviT_PT9_S7_lS9_S7_lPT10_S7_li
    .private_segment_fixed_size: 0
    .sgpr_count:     22
    .sgpr_spill_count: 0
    .symbol:         _ZL37rocblas_syrkx_herkx_restricted_kernelIi19rocblas_complex_numIdELi16ELi32ELi8ELi1ELi0ELb1ELc78ELc76EKPKS1_KPS1_EviT_PT9_S7_lS9_S7_lPT10_S7_li.kd
    .uniform_work_group_size: 1
    .uses_dynamic_stack: false
    .vgpr_count:     118
    .vgpr_spill_count: 0
    .wavefront_size: 32
    .workgroup_processor_mode: 1
  - .args:
      - .offset:         0
        .size:           4
        .value_kind:     by_value
      - .offset:         4
        .size:           4
        .value_kind:     by_value
      - .address_space:  global
        .offset:         8
        .size:           8
        .value_kind:     global_buffer
      - .offset:         16
        .size:           4
        .value_kind:     by_value
      - .offset:         24
        .size:           8
        .value_kind:     by_value
      - .address_space:  global
        .offset:         32
        .size:           8
        .value_kind:     global_buffer
      - .offset:         40
        .size:           4
        .value_kind:     by_value
      - .offset:         48
        .size:           8
        .value_kind:     by_value
      - .address_space:  global
        .offset:         56
        .size:           8
        .value_kind:     global_buffer
      - .offset:         64
        .size:           4
        .value_kind:     by_value
      - .offset:         72
        .size:           8
        .value_kind:     by_value
      - .offset:         80
        .size:           4
        .value_kind:     by_value
    .group_segment_fixed_size: 8192
    .kernarg_segment_align: 8
    .kernarg_segment_size: 84
    .language:       OpenCL C
    .language_version:
      - 2
      - 0
    .max_flat_workgroup_size: 256
    .name:           _ZL37rocblas_syrkx_herkx_restricted_kernelIi19rocblas_complex_numIdELi16ELi32ELi8ELi1ELi0ELb1ELc84ELc85EKPKS1_KPS1_EviT_PT9_S7_lS9_S7_lPT10_S7_li
    .private_segment_fixed_size: 0
    .sgpr_count:     19
    .sgpr_spill_count: 0
    .symbol:         _ZL37rocblas_syrkx_herkx_restricted_kernelIi19rocblas_complex_numIdELi16ELi32ELi8ELi1ELi0ELb1ELc84ELc85EKPKS1_KPS1_EviT_PT9_S7_lS9_S7_lPT10_S7_li.kd
    .uniform_work_group_size: 1
    .uses_dynamic_stack: false
    .vgpr_count:     118
    .vgpr_spill_count: 0
    .wavefront_size: 32
    .workgroup_processor_mode: 1
  - .args:
      - .offset:         0
        .size:           4
        .value_kind:     by_value
      - .offset:         4
        .size:           4
        .value_kind:     by_value
      - .address_space:  global
        .offset:         8
        .size:           8
        .value_kind:     global_buffer
      - .offset:         16
        .size:           4
        .value_kind:     by_value
      - .offset:         24
        .size:           8
        .value_kind:     by_value
      - .address_space:  global
        .offset:         32
        .size:           8
        .value_kind:     global_buffer
      - .offset:         40
        .size:           4
        .value_kind:     by_value
      - .offset:         48
        .size:           8
        .value_kind:     by_value
      - .address_space:  global
        .offset:         56
        .size:           8
        .value_kind:     global_buffer
      - .offset:         64
        .size:           4
        .value_kind:     by_value
      - .offset:         72
        .size:           8
        .value_kind:     by_value
      - .offset:         80
        .size:           4
        .value_kind:     by_value
    .group_segment_fixed_size: 8192
    .kernarg_segment_align: 8
    .kernarg_segment_size: 84
    .language:       OpenCL C
    .language_version:
      - 2
      - 0
    .max_flat_workgroup_size: 256
    .name:           _ZL37rocblas_syrkx_herkx_restricted_kernelIi19rocblas_complex_numIdELi16ELi32ELi8ELi1ELi0ELb1ELc67ELc85EKPKS1_KPS1_EviT_PT9_S7_lS9_S7_lPT10_S7_li
    .private_segment_fixed_size: 0
    .sgpr_count:     19
    .sgpr_spill_count: 0
    .symbol:         _ZL37rocblas_syrkx_herkx_restricted_kernelIi19rocblas_complex_numIdELi16ELi32ELi8ELi1ELi0ELb1ELc67ELc85EKPKS1_KPS1_EviT_PT9_S7_lS9_S7_lPT10_S7_li.kd
    .uniform_work_group_size: 1
    .uses_dynamic_stack: false
    .vgpr_count:     118
    .vgpr_spill_count: 0
    .wavefront_size: 32
    .workgroup_processor_mode: 1
  - .args:
      - .offset:         0
        .size:           4
        .value_kind:     by_value
      - .offset:         4
        .size:           4
        .value_kind:     by_value
      - .address_space:  global
        .offset:         8
        .size:           8
        .value_kind:     global_buffer
      - .offset:         16
        .size:           4
        .value_kind:     by_value
      - .offset:         24
        .size:           8
        .value_kind:     by_value
      - .address_space:  global
        .offset:         32
        .size:           8
        .value_kind:     global_buffer
      - .offset:         40
        .size:           4
        .value_kind:     by_value
      - .offset:         48
        .size:           8
        .value_kind:     by_value
      - .address_space:  global
        .offset:         56
        .size:           8
        .value_kind:     global_buffer
      - .offset:         64
        .size:           4
        .value_kind:     by_value
      - .offset:         72
        .size:           8
        .value_kind:     by_value
      - .offset:         80
        .size:           4
        .value_kind:     by_value
    .group_segment_fixed_size: 8192
    .kernarg_segment_align: 8
    .kernarg_segment_size: 84
    .language:       OpenCL C
    .language_version:
      - 2
      - 0
    .max_flat_workgroup_size: 256
    .name:           _ZL37rocblas_syrkx_herkx_restricted_kernelIi19rocblas_complex_numIdELi16ELi32ELi8ELi1ELi0ELb1ELc78ELc85EKPKS1_KPS1_EviT_PT9_S7_lS9_S7_lPT10_S7_li
    .private_segment_fixed_size: 0
    .sgpr_count:     22
    .sgpr_spill_count: 0
    .symbol:         _ZL37rocblas_syrkx_herkx_restricted_kernelIi19rocblas_complex_numIdELi16ELi32ELi8ELi1ELi0ELb1ELc78ELc85EKPKS1_KPS1_EviT_PT9_S7_lS9_S7_lPT10_S7_li.kd
    .uniform_work_group_size: 1
    .uses_dynamic_stack: false
    .vgpr_count:     118
    .vgpr_spill_count: 0
    .wavefront_size: 32
    .workgroup_processor_mode: 1
  - .args:
      - .offset:         0
        .size:           4
        .value_kind:     by_value
      - .offset:         4
        .size:           4
        .value_kind:     by_value
      - .address_space:  global
        .offset:         8
        .size:           8
        .value_kind:     global_buffer
      - .offset:         16
        .size:           4
        .value_kind:     by_value
      - .offset:         24
        .size:           8
        .value_kind:     by_value
      - .address_space:  global
        .offset:         32
        .size:           8
        .value_kind:     global_buffer
      - .offset:         40
        .size:           4
        .value_kind:     by_value
      - .offset:         48
        .size:           8
        .value_kind:     by_value
      - .address_space:  global
        .offset:         56
        .size:           8
        .value_kind:     global_buffer
      - .offset:         64
        .size:           4
        .value_kind:     by_value
      - .offset:         72
        .size:           8
        .value_kind:     by_value
      - .offset:         80
        .size:           4
        .value_kind:     by_value
    .group_segment_fixed_size: 8192
    .kernarg_segment_align: 8
    .kernarg_segment_size: 84
    .language:       OpenCL C
    .language_version:
      - 2
      - 0
    .max_flat_workgroup_size: 256
    .name:           _ZL37rocblas_syrkx_herkx_restricted_kernelIi19rocblas_complex_numIdELi16ELi32ELi8ELin1ELi0ELb1ELc84ELc76EKPKS1_KPS1_EviT_PT9_S7_lS9_S7_lPT10_S7_li
    .private_segment_fixed_size: 0
    .sgpr_count:     19
    .sgpr_spill_count: 0
    .symbol:         _ZL37rocblas_syrkx_herkx_restricted_kernelIi19rocblas_complex_numIdELi16ELi32ELi8ELin1ELi0ELb1ELc84ELc76EKPKS1_KPS1_EviT_PT9_S7_lS9_S7_lPT10_S7_li.kd
    .uniform_work_group_size: 1
    .uses_dynamic_stack: false
    .vgpr_count:     118
    .vgpr_spill_count: 0
    .wavefront_size: 32
    .workgroup_processor_mode: 1
  - .args:
      - .offset:         0
        .size:           4
        .value_kind:     by_value
      - .offset:         4
        .size:           4
        .value_kind:     by_value
      - .address_space:  global
        .offset:         8
        .size:           8
        .value_kind:     global_buffer
      - .offset:         16
        .size:           4
        .value_kind:     by_value
      - .offset:         24
        .size:           8
        .value_kind:     by_value
      - .address_space:  global
        .offset:         32
        .size:           8
        .value_kind:     global_buffer
      - .offset:         40
        .size:           4
        .value_kind:     by_value
      - .offset:         48
        .size:           8
        .value_kind:     by_value
      - .address_space:  global
        .offset:         56
        .size:           8
        .value_kind:     global_buffer
      - .offset:         64
        .size:           4
        .value_kind:     by_value
      - .offset:         72
        .size:           8
        .value_kind:     by_value
      - .offset:         80
        .size:           4
        .value_kind:     by_value
    .group_segment_fixed_size: 8192
    .kernarg_segment_align: 8
    .kernarg_segment_size: 84
    .language:       OpenCL C
    .language_version:
      - 2
      - 0
    .max_flat_workgroup_size: 256
    .name:           _ZL37rocblas_syrkx_herkx_restricted_kernelIi19rocblas_complex_numIdELi16ELi32ELi8ELin1ELi0ELb1ELc67ELc76EKPKS1_KPS1_EviT_PT9_S7_lS9_S7_lPT10_S7_li
    .private_segment_fixed_size: 0
    .sgpr_count:     19
    .sgpr_spill_count: 0
    .symbol:         _ZL37rocblas_syrkx_herkx_restricted_kernelIi19rocblas_complex_numIdELi16ELi32ELi8ELin1ELi0ELb1ELc67ELc76EKPKS1_KPS1_EviT_PT9_S7_lS9_S7_lPT10_S7_li.kd
    .uniform_work_group_size: 1
    .uses_dynamic_stack: false
    .vgpr_count:     118
    .vgpr_spill_count: 0
    .wavefront_size: 32
    .workgroup_processor_mode: 1
  - .args:
      - .offset:         0
        .size:           4
        .value_kind:     by_value
      - .offset:         4
        .size:           4
        .value_kind:     by_value
      - .address_space:  global
        .offset:         8
        .size:           8
        .value_kind:     global_buffer
      - .offset:         16
        .size:           4
        .value_kind:     by_value
      - .offset:         24
        .size:           8
        .value_kind:     by_value
      - .address_space:  global
        .offset:         32
        .size:           8
        .value_kind:     global_buffer
      - .offset:         40
        .size:           4
        .value_kind:     by_value
      - .offset:         48
        .size:           8
        .value_kind:     by_value
      - .address_space:  global
        .offset:         56
        .size:           8
        .value_kind:     global_buffer
      - .offset:         64
        .size:           4
        .value_kind:     by_value
      - .offset:         72
        .size:           8
        .value_kind:     by_value
      - .offset:         80
        .size:           4
        .value_kind:     by_value
    .group_segment_fixed_size: 8192
    .kernarg_segment_align: 8
    .kernarg_segment_size: 84
    .language:       OpenCL C
    .language_version:
      - 2
      - 0
    .max_flat_workgroup_size: 256
    .name:           _ZL37rocblas_syrkx_herkx_restricted_kernelIi19rocblas_complex_numIdELi16ELi32ELi8ELin1ELi0ELb1ELc78ELc76EKPKS1_KPS1_EviT_PT9_S7_lS9_S7_lPT10_S7_li
    .private_segment_fixed_size: 0
    .sgpr_count:     22
    .sgpr_spill_count: 0
    .symbol:         _ZL37rocblas_syrkx_herkx_restricted_kernelIi19rocblas_complex_numIdELi16ELi32ELi8ELin1ELi0ELb1ELc78ELc76EKPKS1_KPS1_EviT_PT9_S7_lS9_S7_lPT10_S7_li.kd
    .uniform_work_group_size: 1
    .uses_dynamic_stack: false
    .vgpr_count:     118
    .vgpr_spill_count: 0
    .wavefront_size: 32
    .workgroup_processor_mode: 1
  - .args:
      - .offset:         0
        .size:           4
        .value_kind:     by_value
      - .offset:         4
        .size:           4
        .value_kind:     by_value
      - .address_space:  global
        .offset:         8
        .size:           8
        .value_kind:     global_buffer
      - .offset:         16
        .size:           4
        .value_kind:     by_value
      - .offset:         24
        .size:           8
        .value_kind:     by_value
      - .address_space:  global
        .offset:         32
        .size:           8
        .value_kind:     global_buffer
      - .offset:         40
        .size:           4
        .value_kind:     by_value
      - .offset:         48
        .size:           8
        .value_kind:     by_value
      - .address_space:  global
        .offset:         56
        .size:           8
        .value_kind:     global_buffer
      - .offset:         64
        .size:           4
        .value_kind:     by_value
      - .offset:         72
        .size:           8
        .value_kind:     by_value
      - .offset:         80
        .size:           4
        .value_kind:     by_value
    .group_segment_fixed_size: 8192
    .kernarg_segment_align: 8
    .kernarg_segment_size: 84
    .language:       OpenCL C
    .language_version:
      - 2
      - 0
    .max_flat_workgroup_size: 256
    .name:           _ZL37rocblas_syrkx_herkx_restricted_kernelIi19rocblas_complex_numIdELi16ELi32ELi8ELin1ELi0ELb1ELc84ELc85EKPKS1_KPS1_EviT_PT9_S7_lS9_S7_lPT10_S7_li
    .private_segment_fixed_size: 0
    .sgpr_count:     19
    .sgpr_spill_count: 0
    .symbol:         _ZL37rocblas_syrkx_herkx_restricted_kernelIi19rocblas_complex_numIdELi16ELi32ELi8ELin1ELi0ELb1ELc84ELc85EKPKS1_KPS1_EviT_PT9_S7_lS9_S7_lPT10_S7_li.kd
    .uniform_work_group_size: 1
    .uses_dynamic_stack: false
    .vgpr_count:     118
    .vgpr_spill_count: 0
    .wavefront_size: 32
    .workgroup_processor_mode: 1
  - .args:
      - .offset:         0
        .size:           4
        .value_kind:     by_value
      - .offset:         4
        .size:           4
        .value_kind:     by_value
      - .address_space:  global
        .offset:         8
        .size:           8
        .value_kind:     global_buffer
      - .offset:         16
        .size:           4
        .value_kind:     by_value
      - .offset:         24
        .size:           8
        .value_kind:     by_value
      - .address_space:  global
        .offset:         32
        .size:           8
        .value_kind:     global_buffer
      - .offset:         40
        .size:           4
        .value_kind:     by_value
      - .offset:         48
        .size:           8
        .value_kind:     by_value
      - .address_space:  global
        .offset:         56
        .size:           8
        .value_kind:     global_buffer
      - .offset:         64
        .size:           4
        .value_kind:     by_value
      - .offset:         72
        .size:           8
        .value_kind:     by_value
      - .offset:         80
        .size:           4
        .value_kind:     by_value
    .group_segment_fixed_size: 8192
    .kernarg_segment_align: 8
    .kernarg_segment_size: 84
    .language:       OpenCL C
    .language_version:
      - 2
      - 0
    .max_flat_workgroup_size: 256
    .name:           _ZL37rocblas_syrkx_herkx_restricted_kernelIi19rocblas_complex_numIdELi16ELi32ELi8ELin1ELi0ELb1ELc67ELc85EKPKS1_KPS1_EviT_PT9_S7_lS9_S7_lPT10_S7_li
    .private_segment_fixed_size: 0
    .sgpr_count:     19
    .sgpr_spill_count: 0
    .symbol:         _ZL37rocblas_syrkx_herkx_restricted_kernelIi19rocblas_complex_numIdELi16ELi32ELi8ELin1ELi0ELb1ELc67ELc85EKPKS1_KPS1_EviT_PT9_S7_lS9_S7_lPT10_S7_li.kd
    .uniform_work_group_size: 1
    .uses_dynamic_stack: false
    .vgpr_count:     118
    .vgpr_spill_count: 0
    .wavefront_size: 32
    .workgroup_processor_mode: 1
  - .args:
      - .offset:         0
        .size:           4
        .value_kind:     by_value
      - .offset:         4
        .size:           4
        .value_kind:     by_value
      - .address_space:  global
        .offset:         8
        .size:           8
        .value_kind:     global_buffer
      - .offset:         16
        .size:           4
        .value_kind:     by_value
      - .offset:         24
        .size:           8
        .value_kind:     by_value
      - .address_space:  global
        .offset:         32
        .size:           8
        .value_kind:     global_buffer
      - .offset:         40
        .size:           4
        .value_kind:     by_value
      - .offset:         48
        .size:           8
        .value_kind:     by_value
      - .address_space:  global
        .offset:         56
        .size:           8
        .value_kind:     global_buffer
      - .offset:         64
        .size:           4
        .value_kind:     by_value
      - .offset:         72
        .size:           8
        .value_kind:     by_value
      - .offset:         80
        .size:           4
        .value_kind:     by_value
    .group_segment_fixed_size: 8192
    .kernarg_segment_align: 8
    .kernarg_segment_size: 84
    .language:       OpenCL C
    .language_version:
      - 2
      - 0
    .max_flat_workgroup_size: 256
    .name:           _ZL37rocblas_syrkx_herkx_restricted_kernelIi19rocblas_complex_numIdELi16ELi32ELi8ELin1ELi0ELb1ELc78ELc85EKPKS1_KPS1_EviT_PT9_S7_lS9_S7_lPT10_S7_li
    .private_segment_fixed_size: 0
    .sgpr_count:     22
    .sgpr_spill_count: 0
    .symbol:         _ZL37rocblas_syrkx_herkx_restricted_kernelIi19rocblas_complex_numIdELi16ELi32ELi8ELin1ELi0ELb1ELc78ELc85EKPKS1_KPS1_EviT_PT9_S7_lS9_S7_lPT10_S7_li.kd
    .uniform_work_group_size: 1
    .uses_dynamic_stack: false
    .vgpr_count:     118
    .vgpr_spill_count: 0
    .wavefront_size: 32
    .workgroup_processor_mode: 1
  - .args:
      - .offset:         0
        .size:           4
        .value_kind:     by_value
      - .offset:         4
        .size:           4
        .value_kind:     by_value
      - .offset:         8
        .size:           16
        .value_kind:     by_value
      - .address_space:  global
        .offset:         24
        .size:           8
        .value_kind:     global_buffer
      - .offset:         32
        .size:           4
        .value_kind:     by_value
      - .offset:         40
        .size:           8
        .value_kind:     by_value
      - .address_space:  global
        .offset:         48
        .size:           8
        .value_kind:     global_buffer
      - .offset:         56
        .size:           4
        .value_kind:     by_value
      - .offset:         64
        .size:           8
        .value_kind:     by_value
      - .offset:         72
        .size:           16
        .value_kind:     by_value
      - .address_space:  global
        .offset:         88
        .size:           8
        .value_kind:     global_buffer
      - .offset:         96
        .size:           4
        .value_kind:     by_value
      - .offset:         104
        .size:           8
        .value_kind:     by_value
      - .offset:         112
        .size:           4
        .value_kind:     by_value
    .group_segment_fixed_size: 8192
    .kernarg_segment_align: 8
    .kernarg_segment_size: 116
    .language:       OpenCL C
    .language_version:
      - 2
      - 0
    .max_flat_workgroup_size: 256
    .name:           _ZL37rocblas_syrkx_herkx_restricted_kernelIi19rocblas_complex_numIdELi16ELi32ELi8ELb1ELb1ELc84ELc76EKPKS1_KPS1_EviT_T0_PT8_S7_lSA_S7_lS8_PT9_S7_li
    .private_segment_fixed_size: 0
    .sgpr_count:     23
    .sgpr_spill_count: 0
    .symbol:         _ZL37rocblas_syrkx_herkx_restricted_kernelIi19rocblas_complex_numIdELi16ELi32ELi8ELb1ELb1ELc84ELc76EKPKS1_KPS1_EviT_T0_PT8_S7_lSA_S7_lS8_PT9_S7_li.kd
    .uniform_work_group_size: 1
    .uses_dynamic_stack: false
    .vgpr_count:     118
    .vgpr_spill_count: 0
    .wavefront_size: 32
    .workgroup_processor_mode: 1
  - .args:
      - .offset:         0
        .size:           4
        .value_kind:     by_value
      - .offset:         4
        .size:           4
        .value_kind:     by_value
      - .offset:         8
        .size:           16
        .value_kind:     by_value
      - .address_space:  global
        .offset:         24
        .size:           8
        .value_kind:     global_buffer
      - .offset:         32
        .size:           4
        .value_kind:     by_value
      - .offset:         40
        .size:           8
        .value_kind:     by_value
      - .address_space:  global
        .offset:         48
        .size:           8
        .value_kind:     global_buffer
      - .offset:         56
        .size:           4
        .value_kind:     by_value
      - .offset:         64
        .size:           8
        .value_kind:     by_value
      - .offset:         72
        .size:           16
        .value_kind:     by_value
      - .address_space:  global
        .offset:         88
        .size:           8
        .value_kind:     global_buffer
      - .offset:         96
        .size:           4
        .value_kind:     by_value
      - .offset:         104
        .size:           8
        .value_kind:     by_value
      - .offset:         112
        .size:           4
        .value_kind:     by_value
    .group_segment_fixed_size: 8192
    .kernarg_segment_align: 8
    .kernarg_segment_size: 116
    .language:       OpenCL C
    .language_version:
      - 2
      - 0
    .max_flat_workgroup_size: 256
    .name:           _ZL37rocblas_syrkx_herkx_restricted_kernelIi19rocblas_complex_numIdELi16ELi32ELi8ELb1ELb1ELc67ELc76EKPKS1_KPS1_EviT_T0_PT8_S7_lSA_S7_lS8_PT9_S7_li
    .private_segment_fixed_size: 0
    .sgpr_count:     23
    .sgpr_spill_count: 0
    .symbol:         _ZL37rocblas_syrkx_herkx_restricted_kernelIi19rocblas_complex_numIdELi16ELi32ELi8ELb1ELb1ELc67ELc76EKPKS1_KPS1_EviT_T0_PT8_S7_lSA_S7_lS8_PT9_S7_li.kd
    .uniform_work_group_size: 1
    .uses_dynamic_stack: false
    .vgpr_count:     118
    .vgpr_spill_count: 0
    .wavefront_size: 32
    .workgroup_processor_mode: 1
  - .args:
      - .offset:         0
        .size:           4
        .value_kind:     by_value
      - .offset:         4
        .size:           4
        .value_kind:     by_value
      - .offset:         8
        .size:           16
        .value_kind:     by_value
      - .address_space:  global
        .offset:         24
        .size:           8
        .value_kind:     global_buffer
      - .offset:         32
        .size:           4
        .value_kind:     by_value
      - .offset:         40
        .size:           8
        .value_kind:     by_value
      - .address_space:  global
        .offset:         48
        .size:           8
        .value_kind:     global_buffer
      - .offset:         56
        .size:           4
        .value_kind:     by_value
      - .offset:         64
        .size:           8
        .value_kind:     by_value
      - .offset:         72
        .size:           16
        .value_kind:     by_value
      - .address_space:  global
        .offset:         88
        .size:           8
        .value_kind:     global_buffer
      - .offset:         96
        .size:           4
        .value_kind:     by_value
      - .offset:         104
        .size:           8
        .value_kind:     by_value
      - .offset:         112
        .size:           4
        .value_kind:     by_value
    .group_segment_fixed_size: 8192
    .kernarg_segment_align: 8
    .kernarg_segment_size: 116
    .language:       OpenCL C
    .language_version:
      - 2
      - 0
    .max_flat_workgroup_size: 256
    .name:           _ZL37rocblas_syrkx_herkx_restricted_kernelIi19rocblas_complex_numIdELi16ELi32ELi8ELb1ELb1ELc78ELc76EKPKS1_KPS1_EviT_T0_PT8_S7_lSA_S7_lS8_PT9_S7_li
    .private_segment_fixed_size: 0
    .sgpr_count:     26
    .sgpr_spill_count: 0
    .symbol:         _ZL37rocblas_syrkx_herkx_restricted_kernelIi19rocblas_complex_numIdELi16ELi32ELi8ELb1ELb1ELc78ELc76EKPKS1_KPS1_EviT_T0_PT8_S7_lSA_S7_lS8_PT9_S7_li.kd
    .uniform_work_group_size: 1
    .uses_dynamic_stack: false
    .vgpr_count:     118
    .vgpr_spill_count: 0
    .wavefront_size: 32
    .workgroup_processor_mode: 1
  - .args:
      - .offset:         0
        .size:           4
        .value_kind:     by_value
      - .offset:         4
        .size:           4
        .value_kind:     by_value
      - .offset:         8
        .size:           16
        .value_kind:     by_value
      - .address_space:  global
        .offset:         24
        .size:           8
        .value_kind:     global_buffer
      - .offset:         32
        .size:           4
        .value_kind:     by_value
      - .offset:         40
        .size:           8
        .value_kind:     by_value
      - .address_space:  global
        .offset:         48
        .size:           8
        .value_kind:     global_buffer
      - .offset:         56
        .size:           4
        .value_kind:     by_value
      - .offset:         64
        .size:           8
        .value_kind:     by_value
      - .offset:         72
        .size:           16
        .value_kind:     by_value
      - .address_space:  global
        .offset:         88
        .size:           8
        .value_kind:     global_buffer
      - .offset:         96
        .size:           4
        .value_kind:     by_value
      - .offset:         104
        .size:           8
        .value_kind:     by_value
      - .offset:         112
        .size:           4
        .value_kind:     by_value
    .group_segment_fixed_size: 8192
    .kernarg_segment_align: 8
    .kernarg_segment_size: 116
    .language:       OpenCL C
    .language_version:
      - 2
      - 0
    .max_flat_workgroup_size: 256
    .name:           _ZL37rocblas_syrkx_herkx_restricted_kernelIi19rocblas_complex_numIdELi16ELi32ELi8ELb1ELb1ELc84ELc85EKPKS1_KPS1_EviT_T0_PT8_S7_lSA_S7_lS8_PT9_S7_li
    .private_segment_fixed_size: 0
    .sgpr_count:     23
    .sgpr_spill_count: 0
    .symbol:         _ZL37rocblas_syrkx_herkx_restricted_kernelIi19rocblas_complex_numIdELi16ELi32ELi8ELb1ELb1ELc84ELc85EKPKS1_KPS1_EviT_T0_PT8_S7_lSA_S7_lS8_PT9_S7_li.kd
    .uniform_work_group_size: 1
    .uses_dynamic_stack: false
    .vgpr_count:     118
    .vgpr_spill_count: 0
    .wavefront_size: 32
    .workgroup_processor_mode: 1
  - .args:
      - .offset:         0
        .size:           4
        .value_kind:     by_value
      - .offset:         4
        .size:           4
        .value_kind:     by_value
      - .offset:         8
        .size:           16
        .value_kind:     by_value
      - .address_space:  global
        .offset:         24
        .size:           8
        .value_kind:     global_buffer
      - .offset:         32
        .size:           4
        .value_kind:     by_value
      - .offset:         40
        .size:           8
        .value_kind:     by_value
      - .address_space:  global
        .offset:         48
        .size:           8
        .value_kind:     global_buffer
      - .offset:         56
        .size:           4
        .value_kind:     by_value
      - .offset:         64
        .size:           8
        .value_kind:     by_value
      - .offset:         72
        .size:           16
        .value_kind:     by_value
      - .address_space:  global
        .offset:         88
        .size:           8
        .value_kind:     global_buffer
      - .offset:         96
        .size:           4
        .value_kind:     by_value
      - .offset:         104
        .size:           8
        .value_kind:     by_value
      - .offset:         112
        .size:           4
        .value_kind:     by_value
    .group_segment_fixed_size: 8192
    .kernarg_segment_align: 8
    .kernarg_segment_size: 116
    .language:       OpenCL C
    .language_version:
      - 2
      - 0
    .max_flat_workgroup_size: 256
    .name:           _ZL37rocblas_syrkx_herkx_restricted_kernelIi19rocblas_complex_numIdELi16ELi32ELi8ELb1ELb1ELc67ELc85EKPKS1_KPS1_EviT_T0_PT8_S7_lSA_S7_lS8_PT9_S7_li
    .private_segment_fixed_size: 0
    .sgpr_count:     23
    .sgpr_spill_count: 0
    .symbol:         _ZL37rocblas_syrkx_herkx_restricted_kernelIi19rocblas_complex_numIdELi16ELi32ELi8ELb1ELb1ELc67ELc85EKPKS1_KPS1_EviT_T0_PT8_S7_lSA_S7_lS8_PT9_S7_li.kd
    .uniform_work_group_size: 1
    .uses_dynamic_stack: false
    .vgpr_count:     118
    .vgpr_spill_count: 0
    .wavefront_size: 32
    .workgroup_processor_mode: 1
  - .args:
      - .offset:         0
        .size:           4
        .value_kind:     by_value
      - .offset:         4
        .size:           4
        .value_kind:     by_value
      - .offset:         8
        .size:           16
        .value_kind:     by_value
      - .address_space:  global
        .offset:         24
        .size:           8
        .value_kind:     global_buffer
      - .offset:         32
        .size:           4
        .value_kind:     by_value
      - .offset:         40
        .size:           8
        .value_kind:     by_value
      - .address_space:  global
        .offset:         48
        .size:           8
        .value_kind:     global_buffer
      - .offset:         56
        .size:           4
        .value_kind:     by_value
      - .offset:         64
        .size:           8
        .value_kind:     by_value
      - .offset:         72
        .size:           16
        .value_kind:     by_value
      - .address_space:  global
        .offset:         88
        .size:           8
        .value_kind:     global_buffer
      - .offset:         96
        .size:           4
        .value_kind:     by_value
      - .offset:         104
        .size:           8
        .value_kind:     by_value
      - .offset:         112
        .size:           4
        .value_kind:     by_value
    .group_segment_fixed_size: 8192
    .kernarg_segment_align: 8
    .kernarg_segment_size: 116
    .language:       OpenCL C
    .language_version:
      - 2
      - 0
    .max_flat_workgroup_size: 256
    .name:           _ZL37rocblas_syrkx_herkx_restricted_kernelIi19rocblas_complex_numIdELi16ELi32ELi8ELb1ELb1ELc78ELc85EKPKS1_KPS1_EviT_T0_PT8_S7_lSA_S7_lS8_PT9_S7_li
    .private_segment_fixed_size: 0
    .sgpr_count:     26
    .sgpr_spill_count: 0
    .symbol:         _ZL37rocblas_syrkx_herkx_restricted_kernelIi19rocblas_complex_numIdELi16ELi32ELi8ELb1ELb1ELc78ELc85EKPKS1_KPS1_EviT_T0_PT8_S7_lSA_S7_lS8_PT9_S7_li.kd
    .uniform_work_group_size: 1
    .uses_dynamic_stack: false
    .vgpr_count:     118
    .vgpr_spill_count: 0
    .wavefront_size: 32
    .workgroup_processor_mode: 1
  - .args:
      - .offset:         0
        .size:           4
        .value_kind:     by_value
      - .offset:         4
        .size:           4
        .value_kind:     by_value
      - .offset:         8
        .size:           16
        .value_kind:     by_value
      - .address_space:  global
        .offset:         24
        .size:           8
        .value_kind:     global_buffer
      - .offset:         32
        .size:           4
        .value_kind:     by_value
      - .offset:         40
        .size:           8
        .value_kind:     by_value
      - .address_space:  global
        .offset:         48
        .size:           8
        .value_kind:     global_buffer
      - .offset:         56
        .size:           4
        .value_kind:     by_value
      - .offset:         64
        .size:           8
        .value_kind:     by_value
      - .offset:         72
        .size:           16
        .value_kind:     by_value
      - .address_space:  global
        .offset:         88
        .size:           8
        .value_kind:     global_buffer
      - .offset:         96
        .size:           4
        .value_kind:     by_value
      - .offset:         104
        .size:           8
        .value_kind:     by_value
      - .offset:         112
        .size:           4
        .value_kind:     by_value
    .group_segment_fixed_size: 8192
    .kernarg_segment_align: 8
    .kernarg_segment_size: 116
    .language:       OpenCL C
    .language_version:
      - 2
      - 0
    .max_flat_workgroup_size: 256
    .name:           _ZL37rocblas_syrkx_herkx_restricted_kernelIi19rocblas_complex_numIdELi16ELi32ELi8ELb0ELb1ELc84ELc76EKPKS1_KPS1_EviT_T0_PT8_S7_lSA_S7_lS8_PT9_S7_li
    .private_segment_fixed_size: 0
    .sgpr_count:     27
    .sgpr_spill_count: 0
    .symbol:         _ZL37rocblas_syrkx_herkx_restricted_kernelIi19rocblas_complex_numIdELi16ELi32ELi8ELb0ELb1ELc84ELc76EKPKS1_KPS1_EviT_T0_PT8_S7_lSA_S7_lS8_PT9_S7_li.kd
    .uniform_work_group_size: 1
    .uses_dynamic_stack: false
    .vgpr_count:     118
    .vgpr_spill_count: 0
    .wavefront_size: 32
    .workgroup_processor_mode: 1
  - .args:
      - .offset:         0
        .size:           4
        .value_kind:     by_value
      - .offset:         4
        .size:           4
        .value_kind:     by_value
      - .offset:         8
        .size:           16
        .value_kind:     by_value
      - .address_space:  global
        .offset:         24
        .size:           8
        .value_kind:     global_buffer
      - .offset:         32
        .size:           4
        .value_kind:     by_value
      - .offset:         40
        .size:           8
        .value_kind:     by_value
      - .address_space:  global
        .offset:         48
        .size:           8
        .value_kind:     global_buffer
      - .offset:         56
        .size:           4
        .value_kind:     by_value
      - .offset:         64
        .size:           8
        .value_kind:     by_value
      - .offset:         72
        .size:           16
        .value_kind:     by_value
      - .address_space:  global
        .offset:         88
        .size:           8
        .value_kind:     global_buffer
      - .offset:         96
        .size:           4
        .value_kind:     by_value
      - .offset:         104
        .size:           8
        .value_kind:     by_value
      - .offset:         112
        .size:           4
        .value_kind:     by_value
    .group_segment_fixed_size: 8192
    .kernarg_segment_align: 8
    .kernarg_segment_size: 116
    .language:       OpenCL C
    .language_version:
      - 2
      - 0
    .max_flat_workgroup_size: 256
    .name:           _ZL37rocblas_syrkx_herkx_restricted_kernelIi19rocblas_complex_numIdELi16ELi32ELi8ELb0ELb1ELc67ELc76EKPKS1_KPS1_EviT_T0_PT8_S7_lSA_S7_lS8_PT9_S7_li
    .private_segment_fixed_size: 0
    .sgpr_count:     27
    .sgpr_spill_count: 0
    .symbol:         _ZL37rocblas_syrkx_herkx_restricted_kernelIi19rocblas_complex_numIdELi16ELi32ELi8ELb0ELb1ELc67ELc76EKPKS1_KPS1_EviT_T0_PT8_S7_lSA_S7_lS8_PT9_S7_li.kd
    .uniform_work_group_size: 1
    .uses_dynamic_stack: false
    .vgpr_count:     118
    .vgpr_spill_count: 0
    .wavefront_size: 32
    .workgroup_processor_mode: 1
  - .args:
      - .offset:         0
        .size:           4
        .value_kind:     by_value
      - .offset:         4
        .size:           4
        .value_kind:     by_value
      - .offset:         8
        .size:           16
        .value_kind:     by_value
      - .address_space:  global
        .offset:         24
        .size:           8
        .value_kind:     global_buffer
      - .offset:         32
        .size:           4
        .value_kind:     by_value
      - .offset:         40
        .size:           8
        .value_kind:     by_value
      - .address_space:  global
        .offset:         48
        .size:           8
        .value_kind:     global_buffer
      - .offset:         56
        .size:           4
        .value_kind:     by_value
      - .offset:         64
        .size:           8
        .value_kind:     by_value
      - .offset:         72
        .size:           16
        .value_kind:     by_value
      - .address_space:  global
        .offset:         88
        .size:           8
        .value_kind:     global_buffer
      - .offset:         96
        .size:           4
        .value_kind:     by_value
      - .offset:         104
        .size:           8
        .value_kind:     by_value
      - .offset:         112
        .size:           4
        .value_kind:     by_value
    .group_segment_fixed_size: 8192
    .kernarg_segment_align: 8
    .kernarg_segment_size: 116
    .language:       OpenCL C
    .language_version:
      - 2
      - 0
    .max_flat_workgroup_size: 256
    .name:           _ZL37rocblas_syrkx_herkx_restricted_kernelIi19rocblas_complex_numIdELi16ELi32ELi8ELb0ELb1ELc78ELc76EKPKS1_KPS1_EviT_T0_PT8_S7_lSA_S7_lS8_PT9_S7_li
    .private_segment_fixed_size: 0
    .sgpr_count:     30
    .sgpr_spill_count: 0
    .symbol:         _ZL37rocblas_syrkx_herkx_restricted_kernelIi19rocblas_complex_numIdELi16ELi32ELi8ELb0ELb1ELc78ELc76EKPKS1_KPS1_EviT_T0_PT8_S7_lSA_S7_lS8_PT9_S7_li.kd
    .uniform_work_group_size: 1
    .uses_dynamic_stack: false
    .vgpr_count:     118
    .vgpr_spill_count: 0
    .wavefront_size: 32
    .workgroup_processor_mode: 1
  - .args:
      - .offset:         0
        .size:           4
        .value_kind:     by_value
      - .offset:         4
        .size:           4
        .value_kind:     by_value
      - .offset:         8
        .size:           16
        .value_kind:     by_value
      - .address_space:  global
        .offset:         24
        .size:           8
        .value_kind:     global_buffer
      - .offset:         32
        .size:           4
        .value_kind:     by_value
      - .offset:         40
        .size:           8
        .value_kind:     by_value
      - .address_space:  global
        .offset:         48
        .size:           8
        .value_kind:     global_buffer
      - .offset:         56
        .size:           4
        .value_kind:     by_value
      - .offset:         64
        .size:           8
        .value_kind:     by_value
      - .offset:         72
        .size:           16
        .value_kind:     by_value
      - .address_space:  global
        .offset:         88
        .size:           8
        .value_kind:     global_buffer
      - .offset:         96
        .size:           4
        .value_kind:     by_value
      - .offset:         104
        .size:           8
        .value_kind:     by_value
      - .offset:         112
        .size:           4
        .value_kind:     by_value
    .group_segment_fixed_size: 8192
    .kernarg_segment_align: 8
    .kernarg_segment_size: 116
    .language:       OpenCL C
    .language_version:
      - 2
      - 0
    .max_flat_workgroup_size: 256
    .name:           _ZL37rocblas_syrkx_herkx_restricted_kernelIi19rocblas_complex_numIdELi16ELi32ELi8ELb0ELb1ELc84ELc85EKPKS1_KPS1_EviT_T0_PT8_S7_lSA_S7_lS8_PT9_S7_li
    .private_segment_fixed_size: 0
    .sgpr_count:     27
    .sgpr_spill_count: 0
    .symbol:         _ZL37rocblas_syrkx_herkx_restricted_kernelIi19rocblas_complex_numIdELi16ELi32ELi8ELb0ELb1ELc84ELc85EKPKS1_KPS1_EviT_T0_PT8_S7_lSA_S7_lS8_PT9_S7_li.kd
    .uniform_work_group_size: 1
    .uses_dynamic_stack: false
    .vgpr_count:     118
    .vgpr_spill_count: 0
    .wavefront_size: 32
    .workgroup_processor_mode: 1
  - .args:
      - .offset:         0
        .size:           4
        .value_kind:     by_value
      - .offset:         4
        .size:           4
        .value_kind:     by_value
      - .offset:         8
        .size:           16
        .value_kind:     by_value
      - .address_space:  global
        .offset:         24
        .size:           8
        .value_kind:     global_buffer
      - .offset:         32
        .size:           4
        .value_kind:     by_value
      - .offset:         40
        .size:           8
        .value_kind:     by_value
      - .address_space:  global
        .offset:         48
        .size:           8
        .value_kind:     global_buffer
      - .offset:         56
        .size:           4
        .value_kind:     by_value
      - .offset:         64
        .size:           8
        .value_kind:     by_value
      - .offset:         72
        .size:           16
        .value_kind:     by_value
      - .address_space:  global
        .offset:         88
        .size:           8
        .value_kind:     global_buffer
      - .offset:         96
        .size:           4
        .value_kind:     by_value
      - .offset:         104
        .size:           8
        .value_kind:     by_value
      - .offset:         112
        .size:           4
        .value_kind:     by_value
    .group_segment_fixed_size: 8192
    .kernarg_segment_align: 8
    .kernarg_segment_size: 116
    .language:       OpenCL C
    .language_version:
      - 2
      - 0
    .max_flat_workgroup_size: 256
    .name:           _ZL37rocblas_syrkx_herkx_restricted_kernelIi19rocblas_complex_numIdELi16ELi32ELi8ELb0ELb1ELc67ELc85EKPKS1_KPS1_EviT_T0_PT8_S7_lSA_S7_lS8_PT9_S7_li
    .private_segment_fixed_size: 0
    .sgpr_count:     27
    .sgpr_spill_count: 0
    .symbol:         _ZL37rocblas_syrkx_herkx_restricted_kernelIi19rocblas_complex_numIdELi16ELi32ELi8ELb0ELb1ELc67ELc85EKPKS1_KPS1_EviT_T0_PT8_S7_lSA_S7_lS8_PT9_S7_li.kd
    .uniform_work_group_size: 1
    .uses_dynamic_stack: false
    .vgpr_count:     118
    .vgpr_spill_count: 0
    .wavefront_size: 32
    .workgroup_processor_mode: 1
  - .args:
      - .offset:         0
        .size:           4
        .value_kind:     by_value
      - .offset:         4
        .size:           4
        .value_kind:     by_value
      - .offset:         8
        .size:           16
        .value_kind:     by_value
      - .address_space:  global
        .offset:         24
        .size:           8
        .value_kind:     global_buffer
      - .offset:         32
        .size:           4
        .value_kind:     by_value
      - .offset:         40
        .size:           8
        .value_kind:     by_value
      - .address_space:  global
        .offset:         48
        .size:           8
        .value_kind:     global_buffer
      - .offset:         56
        .size:           4
        .value_kind:     by_value
      - .offset:         64
        .size:           8
        .value_kind:     by_value
      - .offset:         72
        .size:           16
        .value_kind:     by_value
      - .address_space:  global
        .offset:         88
        .size:           8
        .value_kind:     global_buffer
      - .offset:         96
        .size:           4
        .value_kind:     by_value
      - .offset:         104
        .size:           8
        .value_kind:     by_value
      - .offset:         112
        .size:           4
        .value_kind:     by_value
    .group_segment_fixed_size: 8192
    .kernarg_segment_align: 8
    .kernarg_segment_size: 116
    .language:       OpenCL C
    .language_version:
      - 2
      - 0
    .max_flat_workgroup_size: 256
    .name:           _ZL37rocblas_syrkx_herkx_restricted_kernelIi19rocblas_complex_numIdELi16ELi32ELi8ELb0ELb1ELc78ELc85EKPKS1_KPS1_EviT_T0_PT8_S7_lSA_S7_lS8_PT9_S7_li
    .private_segment_fixed_size: 0
    .sgpr_count:     30
    .sgpr_spill_count: 0
    .symbol:         _ZL37rocblas_syrkx_herkx_restricted_kernelIi19rocblas_complex_numIdELi16ELi32ELi8ELb0ELb1ELc78ELc85EKPKS1_KPS1_EviT_T0_PT8_S7_lSA_S7_lS8_PT9_S7_li.kd
    .uniform_work_group_size: 1
    .uses_dynamic_stack: false
    .vgpr_count:     118
    .vgpr_spill_count: 0
    .wavefront_size: 32
    .workgroup_processor_mode: 1
  - .args:
      - .offset:         0
        .size:           4
        .value_kind:     by_value
      - .offset:         4
        .size:           4
        .value_kind:     by_value
      - .offset:         8
        .size:           16
        .value_kind:     by_value
      - .address_space:  global
        .offset:         24
        .size:           8
        .value_kind:     global_buffer
      - .offset:         32
        .size:           4
        .value_kind:     by_value
      - .offset:         40
        .size:           8
        .value_kind:     by_value
      - .address_space:  global
        .offset:         48
        .size:           8
        .value_kind:     global_buffer
      - .offset:         56
        .size:           4
        .value_kind:     by_value
      - .offset:         64
        .size:           8
        .value_kind:     by_value
      - .offset:         72
        .size:           16
        .value_kind:     by_value
      - .address_space:  global
        .offset:         88
        .size:           8
        .value_kind:     global_buffer
      - .offset:         96
        .size:           4
        .value_kind:     by_value
      - .offset:         104
        .size:           8
        .value_kind:     by_value
      - .offset:         112
        .size:           4
        .value_kind:     by_value
    .group_segment_fixed_size: 8192
    .kernarg_segment_align: 8
    .kernarg_segment_size: 116
    .language:       OpenCL C
    .language_version:
      - 2
      - 0
    .max_flat_workgroup_size: 256
    .name:           _ZL41rocblas_syrkx_herkx_small_restrict_kernelIi19rocblas_complex_numIdELi16ELb1ELb1ELc84ELc76EKPKS1_KPS1_EviT_T0_PT6_S7_lSA_S7_lS8_PT7_S7_li
    .private_segment_fixed_size: 0
    .sgpr_count:     20
    .sgpr_spill_count: 0
    .symbol:         _ZL41rocblas_syrkx_herkx_small_restrict_kernelIi19rocblas_complex_numIdELi16ELb1ELb1ELc84ELc76EKPKS1_KPS1_EviT_T0_PT6_S7_lSA_S7_lS8_PT7_S7_li.kd
    .uniform_work_group_size: 1
    .uses_dynamic_stack: false
    .vgpr_count:     46
    .vgpr_spill_count: 0
    .wavefront_size: 32
    .workgroup_processor_mode: 1
  - .args:
      - .offset:         0
        .size:           4
        .value_kind:     by_value
      - .offset:         4
        .size:           4
        .value_kind:     by_value
      - .offset:         8
        .size:           16
        .value_kind:     by_value
      - .address_space:  global
        .offset:         24
        .size:           8
        .value_kind:     global_buffer
      - .offset:         32
        .size:           4
        .value_kind:     by_value
      - .offset:         40
        .size:           8
        .value_kind:     by_value
      - .address_space:  global
        .offset:         48
        .size:           8
        .value_kind:     global_buffer
      - .offset:         56
        .size:           4
        .value_kind:     by_value
      - .offset:         64
        .size:           8
        .value_kind:     by_value
      - .offset:         72
        .size:           16
        .value_kind:     by_value
      - .address_space:  global
        .offset:         88
        .size:           8
        .value_kind:     global_buffer
      - .offset:         96
        .size:           4
        .value_kind:     by_value
      - .offset:         104
        .size:           8
        .value_kind:     by_value
      - .offset:         112
        .size:           4
        .value_kind:     by_value
    .group_segment_fixed_size: 8192
    .kernarg_segment_align: 8
    .kernarg_segment_size: 116
    .language:       OpenCL C
    .language_version:
      - 2
      - 0
    .max_flat_workgroup_size: 256
    .name:           _ZL41rocblas_syrkx_herkx_small_restrict_kernelIi19rocblas_complex_numIdELi16ELb1ELb1ELc67ELc76EKPKS1_KPS1_EviT_T0_PT6_S7_lSA_S7_lS8_PT7_S7_li
    .private_segment_fixed_size: 0
    .sgpr_count:     20
    .sgpr_spill_count: 0
    .symbol:         _ZL41rocblas_syrkx_herkx_small_restrict_kernelIi19rocblas_complex_numIdELi16ELb1ELb1ELc67ELc76EKPKS1_KPS1_EviT_T0_PT6_S7_lSA_S7_lS8_PT7_S7_li.kd
    .uniform_work_group_size: 1
    .uses_dynamic_stack: false
    .vgpr_count:     46
    .vgpr_spill_count: 0
    .wavefront_size: 32
    .workgroup_processor_mode: 1
  - .args:
      - .offset:         0
        .size:           4
        .value_kind:     by_value
      - .offset:         4
        .size:           4
        .value_kind:     by_value
      - .offset:         8
        .size:           16
        .value_kind:     by_value
      - .address_space:  global
        .offset:         24
        .size:           8
        .value_kind:     global_buffer
      - .offset:         32
        .size:           4
        .value_kind:     by_value
      - .offset:         40
        .size:           8
        .value_kind:     by_value
      - .address_space:  global
        .offset:         48
        .size:           8
        .value_kind:     global_buffer
      - .offset:         56
        .size:           4
        .value_kind:     by_value
      - .offset:         64
        .size:           8
        .value_kind:     by_value
      - .offset:         72
        .size:           16
        .value_kind:     by_value
      - .address_space:  global
        .offset:         88
        .size:           8
        .value_kind:     global_buffer
      - .offset:         96
        .size:           4
        .value_kind:     by_value
      - .offset:         104
        .size:           8
        .value_kind:     by_value
      - .offset:         112
        .size:           4
        .value_kind:     by_value
    .group_segment_fixed_size: 8192
    .kernarg_segment_align: 8
    .kernarg_segment_size: 116
    .language:       OpenCL C
    .language_version:
      - 2
      - 0
    .max_flat_workgroup_size: 256
    .name:           _ZL41rocblas_syrkx_herkx_small_restrict_kernelIi19rocblas_complex_numIdELi16ELb1ELb1ELc78ELc76EKPKS1_KPS1_EviT_T0_PT6_S7_lSA_S7_lS8_PT7_S7_li
    .private_segment_fixed_size: 0
    .sgpr_count:     22
    .sgpr_spill_count: 0
    .symbol:         _ZL41rocblas_syrkx_herkx_small_restrict_kernelIi19rocblas_complex_numIdELi16ELb1ELb1ELc78ELc76EKPKS1_KPS1_EviT_T0_PT6_S7_lSA_S7_lS8_PT7_S7_li.kd
    .uniform_work_group_size: 1
    .uses_dynamic_stack: false
    .vgpr_count:     47
    .vgpr_spill_count: 0
    .wavefront_size: 32
    .workgroup_processor_mode: 1
  - .args:
      - .offset:         0
        .size:           4
        .value_kind:     by_value
      - .offset:         4
        .size:           4
        .value_kind:     by_value
      - .offset:         8
        .size:           16
        .value_kind:     by_value
      - .address_space:  global
        .offset:         24
        .size:           8
        .value_kind:     global_buffer
      - .offset:         32
        .size:           4
        .value_kind:     by_value
      - .offset:         40
        .size:           8
        .value_kind:     by_value
      - .address_space:  global
        .offset:         48
        .size:           8
        .value_kind:     global_buffer
      - .offset:         56
        .size:           4
        .value_kind:     by_value
      - .offset:         64
        .size:           8
        .value_kind:     by_value
      - .offset:         72
        .size:           16
        .value_kind:     by_value
      - .address_space:  global
        .offset:         88
        .size:           8
        .value_kind:     global_buffer
      - .offset:         96
        .size:           4
        .value_kind:     by_value
      - .offset:         104
        .size:           8
        .value_kind:     by_value
      - .offset:         112
        .size:           4
        .value_kind:     by_value
    .group_segment_fixed_size: 8192
    .kernarg_segment_align: 8
    .kernarg_segment_size: 116
    .language:       OpenCL C
    .language_version:
      - 2
      - 0
    .max_flat_workgroup_size: 256
    .name:           _ZL41rocblas_syrkx_herkx_small_restrict_kernelIi19rocblas_complex_numIdELi16ELb1ELb1ELc84ELc85EKPKS1_KPS1_EviT_T0_PT6_S7_lSA_S7_lS8_PT7_S7_li
    .private_segment_fixed_size: 0
    .sgpr_count:     20
    .sgpr_spill_count: 0
    .symbol:         _ZL41rocblas_syrkx_herkx_small_restrict_kernelIi19rocblas_complex_numIdELi16ELb1ELb1ELc84ELc85EKPKS1_KPS1_EviT_T0_PT6_S7_lSA_S7_lS8_PT7_S7_li.kd
    .uniform_work_group_size: 1
    .uses_dynamic_stack: false
    .vgpr_count:     46
    .vgpr_spill_count: 0
    .wavefront_size: 32
    .workgroup_processor_mode: 1
  - .args:
      - .offset:         0
        .size:           4
        .value_kind:     by_value
      - .offset:         4
        .size:           4
        .value_kind:     by_value
      - .offset:         8
        .size:           16
        .value_kind:     by_value
      - .address_space:  global
        .offset:         24
        .size:           8
        .value_kind:     global_buffer
      - .offset:         32
        .size:           4
        .value_kind:     by_value
      - .offset:         40
        .size:           8
        .value_kind:     by_value
      - .address_space:  global
        .offset:         48
        .size:           8
        .value_kind:     global_buffer
      - .offset:         56
        .size:           4
        .value_kind:     by_value
      - .offset:         64
        .size:           8
        .value_kind:     by_value
      - .offset:         72
        .size:           16
        .value_kind:     by_value
      - .address_space:  global
        .offset:         88
        .size:           8
        .value_kind:     global_buffer
      - .offset:         96
        .size:           4
        .value_kind:     by_value
      - .offset:         104
        .size:           8
        .value_kind:     by_value
      - .offset:         112
        .size:           4
        .value_kind:     by_value
    .group_segment_fixed_size: 8192
    .kernarg_segment_align: 8
    .kernarg_segment_size: 116
    .language:       OpenCL C
    .language_version:
      - 2
      - 0
    .max_flat_workgroup_size: 256
    .name:           _ZL41rocblas_syrkx_herkx_small_restrict_kernelIi19rocblas_complex_numIdELi16ELb1ELb1ELc67ELc85EKPKS1_KPS1_EviT_T0_PT6_S7_lSA_S7_lS8_PT7_S7_li
    .private_segment_fixed_size: 0
    .sgpr_count:     20
    .sgpr_spill_count: 0
    .symbol:         _ZL41rocblas_syrkx_herkx_small_restrict_kernelIi19rocblas_complex_numIdELi16ELb1ELb1ELc67ELc85EKPKS1_KPS1_EviT_T0_PT6_S7_lSA_S7_lS8_PT7_S7_li.kd
    .uniform_work_group_size: 1
    .uses_dynamic_stack: false
    .vgpr_count:     46
    .vgpr_spill_count: 0
    .wavefront_size: 32
    .workgroup_processor_mode: 1
  - .args:
      - .offset:         0
        .size:           4
        .value_kind:     by_value
      - .offset:         4
        .size:           4
        .value_kind:     by_value
      - .offset:         8
        .size:           16
        .value_kind:     by_value
      - .address_space:  global
        .offset:         24
        .size:           8
        .value_kind:     global_buffer
      - .offset:         32
        .size:           4
        .value_kind:     by_value
      - .offset:         40
        .size:           8
        .value_kind:     by_value
      - .address_space:  global
        .offset:         48
        .size:           8
        .value_kind:     global_buffer
      - .offset:         56
        .size:           4
        .value_kind:     by_value
      - .offset:         64
        .size:           8
        .value_kind:     by_value
      - .offset:         72
        .size:           16
        .value_kind:     by_value
      - .address_space:  global
        .offset:         88
        .size:           8
        .value_kind:     global_buffer
      - .offset:         96
        .size:           4
        .value_kind:     by_value
      - .offset:         104
        .size:           8
        .value_kind:     by_value
      - .offset:         112
        .size:           4
        .value_kind:     by_value
    .group_segment_fixed_size: 8192
    .kernarg_segment_align: 8
    .kernarg_segment_size: 116
    .language:       OpenCL C
    .language_version:
      - 2
      - 0
    .max_flat_workgroup_size: 256
    .name:           _ZL41rocblas_syrkx_herkx_small_restrict_kernelIi19rocblas_complex_numIdELi16ELb1ELb1ELc78ELc85EKPKS1_KPS1_EviT_T0_PT6_S7_lSA_S7_lS8_PT7_S7_li
    .private_segment_fixed_size: 0
    .sgpr_count:     22
    .sgpr_spill_count: 0
    .symbol:         _ZL41rocblas_syrkx_herkx_small_restrict_kernelIi19rocblas_complex_numIdELi16ELb1ELb1ELc78ELc85EKPKS1_KPS1_EviT_T0_PT6_S7_lSA_S7_lS8_PT7_S7_li.kd
    .uniform_work_group_size: 1
    .uses_dynamic_stack: false
    .vgpr_count:     47
    .vgpr_spill_count: 0
    .wavefront_size: 32
    .workgroup_processor_mode: 1
  - .args:
      - .offset:         0
        .size:           4
        .value_kind:     by_value
      - .offset:         4
        .size:           4
        .value_kind:     by_value
      - .offset:         8
        .size:           16
        .value_kind:     by_value
      - .address_space:  global
        .offset:         24
        .size:           8
        .value_kind:     global_buffer
      - .offset:         32
        .size:           4
        .value_kind:     by_value
      - .offset:         40
        .size:           8
        .value_kind:     by_value
      - .address_space:  global
        .offset:         48
        .size:           8
        .value_kind:     global_buffer
      - .offset:         56
        .size:           4
        .value_kind:     by_value
      - .offset:         64
        .size:           8
        .value_kind:     by_value
      - .offset:         72
        .size:           16
        .value_kind:     by_value
      - .address_space:  global
        .offset:         88
        .size:           8
        .value_kind:     global_buffer
      - .offset:         96
        .size:           4
        .value_kind:     by_value
      - .offset:         104
        .size:           8
        .value_kind:     by_value
      - .offset:         112
        .size:           4
        .value_kind:     by_value
    .group_segment_fixed_size: 8192
    .kernarg_segment_align: 8
    .kernarg_segment_size: 116
    .language:       OpenCL C
    .language_version:
      - 2
      - 0
    .max_flat_workgroup_size: 256
    .name:           _ZL41rocblas_syrkx_herkx_small_restrict_kernelIi19rocblas_complex_numIdELi16ELb0ELb1ELc84ELc76EKPKS1_KPS1_EviT_T0_PT6_S7_lSA_S7_lS8_PT7_S7_li
    .private_segment_fixed_size: 0
    .sgpr_count:     24
    .sgpr_spill_count: 0
    .symbol:         _ZL41rocblas_syrkx_herkx_small_restrict_kernelIi19rocblas_complex_numIdELi16ELb0ELb1ELc84ELc76EKPKS1_KPS1_EviT_T0_PT6_S7_lSA_S7_lS8_PT7_S7_li.kd
    .uniform_work_group_size: 1
    .uses_dynamic_stack: false
    .vgpr_count:     46
    .vgpr_spill_count: 0
    .wavefront_size: 32
    .workgroup_processor_mode: 1
  - .args:
      - .offset:         0
        .size:           4
        .value_kind:     by_value
      - .offset:         4
        .size:           4
        .value_kind:     by_value
      - .offset:         8
        .size:           16
        .value_kind:     by_value
      - .address_space:  global
        .offset:         24
        .size:           8
        .value_kind:     global_buffer
      - .offset:         32
        .size:           4
        .value_kind:     by_value
      - .offset:         40
        .size:           8
        .value_kind:     by_value
      - .address_space:  global
        .offset:         48
        .size:           8
        .value_kind:     global_buffer
      - .offset:         56
        .size:           4
        .value_kind:     by_value
      - .offset:         64
        .size:           8
        .value_kind:     by_value
      - .offset:         72
        .size:           16
        .value_kind:     by_value
      - .address_space:  global
        .offset:         88
        .size:           8
        .value_kind:     global_buffer
      - .offset:         96
        .size:           4
        .value_kind:     by_value
      - .offset:         104
        .size:           8
        .value_kind:     by_value
      - .offset:         112
        .size:           4
        .value_kind:     by_value
    .group_segment_fixed_size: 8192
    .kernarg_segment_align: 8
    .kernarg_segment_size: 116
    .language:       OpenCL C
    .language_version:
      - 2
      - 0
    .max_flat_workgroup_size: 256
    .name:           _ZL41rocblas_syrkx_herkx_small_restrict_kernelIi19rocblas_complex_numIdELi16ELb0ELb1ELc67ELc76EKPKS1_KPS1_EviT_T0_PT6_S7_lSA_S7_lS8_PT7_S7_li
    .private_segment_fixed_size: 0
    .sgpr_count:     24
    .sgpr_spill_count: 0
    .symbol:         _ZL41rocblas_syrkx_herkx_small_restrict_kernelIi19rocblas_complex_numIdELi16ELb0ELb1ELc67ELc76EKPKS1_KPS1_EviT_T0_PT6_S7_lSA_S7_lS8_PT7_S7_li.kd
    .uniform_work_group_size: 1
    .uses_dynamic_stack: false
    .vgpr_count:     46
    .vgpr_spill_count: 0
    .wavefront_size: 32
    .workgroup_processor_mode: 1
  - .args:
      - .offset:         0
        .size:           4
        .value_kind:     by_value
      - .offset:         4
        .size:           4
        .value_kind:     by_value
      - .offset:         8
        .size:           16
        .value_kind:     by_value
      - .address_space:  global
        .offset:         24
        .size:           8
        .value_kind:     global_buffer
      - .offset:         32
        .size:           4
        .value_kind:     by_value
      - .offset:         40
        .size:           8
        .value_kind:     by_value
      - .address_space:  global
        .offset:         48
        .size:           8
        .value_kind:     global_buffer
      - .offset:         56
        .size:           4
        .value_kind:     by_value
      - .offset:         64
        .size:           8
        .value_kind:     by_value
      - .offset:         72
        .size:           16
        .value_kind:     by_value
      - .address_space:  global
        .offset:         88
        .size:           8
        .value_kind:     global_buffer
      - .offset:         96
        .size:           4
        .value_kind:     by_value
      - .offset:         104
        .size:           8
        .value_kind:     by_value
      - .offset:         112
        .size:           4
        .value_kind:     by_value
    .group_segment_fixed_size: 8192
    .kernarg_segment_align: 8
    .kernarg_segment_size: 116
    .language:       OpenCL C
    .language_version:
      - 2
      - 0
    .max_flat_workgroup_size: 256
    .name:           _ZL41rocblas_syrkx_herkx_small_restrict_kernelIi19rocblas_complex_numIdELi16ELb0ELb1ELc78ELc76EKPKS1_KPS1_EviT_T0_PT6_S7_lSA_S7_lS8_PT7_S7_li
    .private_segment_fixed_size: 0
    .sgpr_count:     26
    .sgpr_spill_count: 0
    .symbol:         _ZL41rocblas_syrkx_herkx_small_restrict_kernelIi19rocblas_complex_numIdELi16ELb0ELb1ELc78ELc76EKPKS1_KPS1_EviT_T0_PT6_S7_lSA_S7_lS8_PT7_S7_li.kd
    .uniform_work_group_size: 1
    .uses_dynamic_stack: false
    .vgpr_count:     47
    .vgpr_spill_count: 0
    .wavefront_size: 32
    .workgroup_processor_mode: 1
  - .args:
      - .offset:         0
        .size:           4
        .value_kind:     by_value
      - .offset:         4
        .size:           4
        .value_kind:     by_value
      - .offset:         8
        .size:           16
        .value_kind:     by_value
      - .address_space:  global
        .offset:         24
        .size:           8
        .value_kind:     global_buffer
      - .offset:         32
        .size:           4
        .value_kind:     by_value
      - .offset:         40
        .size:           8
        .value_kind:     by_value
      - .address_space:  global
        .offset:         48
        .size:           8
        .value_kind:     global_buffer
      - .offset:         56
        .size:           4
        .value_kind:     by_value
      - .offset:         64
        .size:           8
        .value_kind:     by_value
      - .offset:         72
        .size:           16
        .value_kind:     by_value
      - .address_space:  global
        .offset:         88
        .size:           8
        .value_kind:     global_buffer
      - .offset:         96
        .size:           4
        .value_kind:     by_value
      - .offset:         104
        .size:           8
        .value_kind:     by_value
      - .offset:         112
        .size:           4
        .value_kind:     by_value
    .group_segment_fixed_size: 8192
    .kernarg_segment_align: 8
    .kernarg_segment_size: 116
    .language:       OpenCL C
    .language_version:
      - 2
      - 0
    .max_flat_workgroup_size: 256
    .name:           _ZL41rocblas_syrkx_herkx_small_restrict_kernelIi19rocblas_complex_numIdELi16ELb0ELb1ELc84ELc85EKPKS1_KPS1_EviT_T0_PT6_S7_lSA_S7_lS8_PT7_S7_li
    .private_segment_fixed_size: 0
    .sgpr_count:     24
    .sgpr_spill_count: 0
    .symbol:         _ZL41rocblas_syrkx_herkx_small_restrict_kernelIi19rocblas_complex_numIdELi16ELb0ELb1ELc84ELc85EKPKS1_KPS1_EviT_T0_PT6_S7_lSA_S7_lS8_PT7_S7_li.kd
    .uniform_work_group_size: 1
    .uses_dynamic_stack: false
    .vgpr_count:     46
    .vgpr_spill_count: 0
    .wavefront_size: 32
    .workgroup_processor_mode: 1
  - .args:
      - .offset:         0
        .size:           4
        .value_kind:     by_value
      - .offset:         4
        .size:           4
        .value_kind:     by_value
      - .offset:         8
        .size:           16
        .value_kind:     by_value
      - .address_space:  global
        .offset:         24
        .size:           8
        .value_kind:     global_buffer
      - .offset:         32
        .size:           4
        .value_kind:     by_value
      - .offset:         40
        .size:           8
        .value_kind:     by_value
      - .address_space:  global
        .offset:         48
        .size:           8
        .value_kind:     global_buffer
      - .offset:         56
        .size:           4
        .value_kind:     by_value
      - .offset:         64
        .size:           8
        .value_kind:     by_value
      - .offset:         72
        .size:           16
        .value_kind:     by_value
      - .address_space:  global
        .offset:         88
        .size:           8
        .value_kind:     global_buffer
      - .offset:         96
        .size:           4
        .value_kind:     by_value
      - .offset:         104
        .size:           8
        .value_kind:     by_value
      - .offset:         112
        .size:           4
        .value_kind:     by_value
    .group_segment_fixed_size: 8192
    .kernarg_segment_align: 8
    .kernarg_segment_size: 116
    .language:       OpenCL C
    .language_version:
      - 2
      - 0
    .max_flat_workgroup_size: 256
    .name:           _ZL41rocblas_syrkx_herkx_small_restrict_kernelIi19rocblas_complex_numIdELi16ELb0ELb1ELc67ELc85EKPKS1_KPS1_EviT_T0_PT6_S7_lSA_S7_lS8_PT7_S7_li
    .private_segment_fixed_size: 0
    .sgpr_count:     24
    .sgpr_spill_count: 0
    .symbol:         _ZL41rocblas_syrkx_herkx_small_restrict_kernelIi19rocblas_complex_numIdELi16ELb0ELb1ELc67ELc85EKPKS1_KPS1_EviT_T0_PT6_S7_lSA_S7_lS8_PT7_S7_li.kd
    .uniform_work_group_size: 1
    .uses_dynamic_stack: false
    .vgpr_count:     46
    .vgpr_spill_count: 0
    .wavefront_size: 32
    .workgroup_processor_mode: 1
  - .args:
      - .offset:         0
        .size:           4
        .value_kind:     by_value
      - .offset:         4
        .size:           4
        .value_kind:     by_value
      - .offset:         8
        .size:           16
        .value_kind:     by_value
      - .address_space:  global
        .offset:         24
        .size:           8
        .value_kind:     global_buffer
      - .offset:         32
        .size:           4
        .value_kind:     by_value
      - .offset:         40
        .size:           8
        .value_kind:     by_value
      - .address_space:  global
        .offset:         48
        .size:           8
        .value_kind:     global_buffer
      - .offset:         56
        .size:           4
        .value_kind:     by_value
      - .offset:         64
        .size:           8
        .value_kind:     by_value
      - .offset:         72
        .size:           16
        .value_kind:     by_value
      - .address_space:  global
        .offset:         88
        .size:           8
        .value_kind:     global_buffer
      - .offset:         96
        .size:           4
        .value_kind:     by_value
      - .offset:         104
        .size:           8
        .value_kind:     by_value
      - .offset:         112
        .size:           4
        .value_kind:     by_value
    .group_segment_fixed_size: 8192
    .kernarg_segment_align: 8
    .kernarg_segment_size: 116
    .language:       OpenCL C
    .language_version:
      - 2
      - 0
    .max_flat_workgroup_size: 256
    .name:           _ZL41rocblas_syrkx_herkx_small_restrict_kernelIi19rocblas_complex_numIdELi16ELb0ELb1ELc78ELc85EKPKS1_KPS1_EviT_T0_PT6_S7_lSA_S7_lS8_PT7_S7_li
    .private_segment_fixed_size: 0
    .sgpr_count:     26
    .sgpr_spill_count: 0
    .symbol:         _ZL41rocblas_syrkx_herkx_small_restrict_kernelIi19rocblas_complex_numIdELi16ELb0ELb1ELc78ELc85EKPKS1_KPS1_EviT_T0_PT6_S7_lSA_S7_lS8_PT7_S7_li.kd
    .uniform_work_group_size: 1
    .uses_dynamic_stack: false
    .vgpr_count:     47
    .vgpr_spill_count: 0
    .wavefront_size: 32
    .workgroup_processor_mode: 1
  - .args:
      - .offset:         0
        .size:           4
        .value_kind:     by_value
      - .offset:         4
        .size:           4
        .value_kind:     by_value
      - .offset:         8
        .size:           16
        .value_kind:     by_value
      - .address_space:  global
        .offset:         24
        .size:           8
        .value_kind:     global_buffer
      - .offset:         32
        .size:           4
        .value_kind:     by_value
      - .offset:         40
        .size:           8
        .value_kind:     by_value
      - .address_space:  global
        .offset:         48
        .size:           8
        .value_kind:     global_buffer
      - .offset:         56
        .size:           4
        .value_kind:     by_value
      - .offset:         64
        .size:           8
        .value_kind:     by_value
      - .offset:         72
        .size:           16
        .value_kind:     by_value
      - .address_space:  global
        .offset:         88
        .size:           8
        .value_kind:     global_buffer
      - .offset:         96
        .size:           4
        .value_kind:     by_value
      - .offset:         104
        .size:           8
        .value_kind:     by_value
      - .offset:         112
        .size:           4
        .value_kind:     by_value
    .group_segment_fixed_size: 8192
    .kernarg_segment_align: 8
    .kernarg_segment_size: 116
    .language:       OpenCL C
    .language_version:
      - 2
      - 0
    .max_flat_workgroup_size: 256
    .name:           _ZL32rocblas_syrkx_herkx_small_kernelIi19rocblas_complex_numIdELi16ELb1ELb1ELc84ELc76EKPKS1_KPS1_EviT_T0_PT6_S7_lSA_S7_lS8_PT7_S7_li
    .private_segment_fixed_size: 0
    .sgpr_count:     24
    .sgpr_spill_count: 0
    .symbol:         _ZL32rocblas_syrkx_herkx_small_kernelIi19rocblas_complex_numIdELi16ELb1ELb1ELc84ELc76EKPKS1_KPS1_EviT_T0_PT6_S7_lSA_S7_lS8_PT7_S7_li.kd
    .uniform_work_group_size: 1
    .uses_dynamic_stack: false
    .vgpr_count:     50
    .vgpr_spill_count: 0
    .wavefront_size: 32
    .workgroup_processor_mode: 1
  - .args:
      - .offset:         0
        .size:           4
        .value_kind:     by_value
      - .offset:         4
        .size:           4
        .value_kind:     by_value
      - .offset:         8
        .size:           16
        .value_kind:     by_value
      - .address_space:  global
        .offset:         24
        .size:           8
        .value_kind:     global_buffer
      - .offset:         32
        .size:           4
        .value_kind:     by_value
      - .offset:         40
        .size:           8
        .value_kind:     by_value
      - .address_space:  global
        .offset:         48
        .size:           8
        .value_kind:     global_buffer
      - .offset:         56
        .size:           4
        .value_kind:     by_value
      - .offset:         64
        .size:           8
        .value_kind:     by_value
      - .offset:         72
        .size:           16
        .value_kind:     by_value
      - .address_space:  global
        .offset:         88
        .size:           8
        .value_kind:     global_buffer
      - .offset:         96
        .size:           4
        .value_kind:     by_value
      - .offset:         104
        .size:           8
        .value_kind:     by_value
      - .offset:         112
        .size:           4
        .value_kind:     by_value
    .group_segment_fixed_size: 8192
    .kernarg_segment_align: 8
    .kernarg_segment_size: 116
    .language:       OpenCL C
    .language_version:
      - 2
      - 0
    .max_flat_workgroup_size: 256
    .name:           _ZL32rocblas_syrkx_herkx_small_kernelIi19rocblas_complex_numIdELi16ELb1ELb1ELc67ELc76EKPKS1_KPS1_EviT_T0_PT6_S7_lSA_S7_lS8_PT7_S7_li
    .private_segment_fixed_size: 0
    .sgpr_count:     24
    .sgpr_spill_count: 0
    .symbol:         _ZL32rocblas_syrkx_herkx_small_kernelIi19rocblas_complex_numIdELi16ELb1ELb1ELc67ELc76EKPKS1_KPS1_EviT_T0_PT6_S7_lSA_S7_lS8_PT7_S7_li.kd
    .uniform_work_group_size: 1
    .uses_dynamic_stack: false
    .vgpr_count:     51
    .vgpr_spill_count: 0
    .wavefront_size: 32
    .workgroup_processor_mode: 1
  - .args:
      - .offset:         0
        .size:           4
        .value_kind:     by_value
      - .offset:         4
        .size:           4
        .value_kind:     by_value
      - .offset:         8
        .size:           16
        .value_kind:     by_value
      - .address_space:  global
        .offset:         24
        .size:           8
        .value_kind:     global_buffer
      - .offset:         32
        .size:           4
        .value_kind:     by_value
      - .offset:         40
        .size:           8
        .value_kind:     by_value
      - .address_space:  global
        .offset:         48
        .size:           8
        .value_kind:     global_buffer
      - .offset:         56
        .size:           4
        .value_kind:     by_value
      - .offset:         64
        .size:           8
        .value_kind:     by_value
      - .offset:         72
        .size:           16
        .value_kind:     by_value
      - .address_space:  global
        .offset:         88
        .size:           8
        .value_kind:     global_buffer
      - .offset:         96
        .size:           4
        .value_kind:     by_value
      - .offset:         104
        .size:           8
        .value_kind:     by_value
      - .offset:         112
        .size:           4
        .value_kind:     by_value
    .group_segment_fixed_size: 8192
    .kernarg_segment_align: 8
    .kernarg_segment_size: 116
    .language:       OpenCL C
    .language_version:
      - 2
      - 0
    .max_flat_workgroup_size: 256
    .name:           _ZL32rocblas_syrkx_herkx_small_kernelIi19rocblas_complex_numIdELi16ELb1ELb1ELc78ELc76EKPKS1_KPS1_EviT_T0_PT6_S7_lSA_S7_lS8_PT7_S7_li
    .private_segment_fixed_size: 0
    .sgpr_count:     26
    .sgpr_spill_count: 0
    .symbol:         _ZL32rocblas_syrkx_herkx_small_kernelIi19rocblas_complex_numIdELi16ELb1ELb1ELc78ELc76EKPKS1_KPS1_EviT_T0_PT6_S7_lSA_S7_lS8_PT7_S7_li.kd
    .uniform_work_group_size: 1
    .uses_dynamic_stack: false
    .vgpr_count:     50
    .vgpr_spill_count: 0
    .wavefront_size: 32
    .workgroup_processor_mode: 1
  - .args:
      - .offset:         0
        .size:           4
        .value_kind:     by_value
      - .offset:         4
        .size:           4
        .value_kind:     by_value
      - .offset:         8
        .size:           16
        .value_kind:     by_value
      - .address_space:  global
        .offset:         24
        .size:           8
        .value_kind:     global_buffer
      - .offset:         32
        .size:           4
        .value_kind:     by_value
      - .offset:         40
        .size:           8
        .value_kind:     by_value
      - .address_space:  global
        .offset:         48
        .size:           8
        .value_kind:     global_buffer
      - .offset:         56
        .size:           4
        .value_kind:     by_value
      - .offset:         64
        .size:           8
        .value_kind:     by_value
      - .offset:         72
        .size:           16
        .value_kind:     by_value
      - .address_space:  global
        .offset:         88
        .size:           8
        .value_kind:     global_buffer
      - .offset:         96
        .size:           4
        .value_kind:     by_value
      - .offset:         104
        .size:           8
        .value_kind:     by_value
      - .offset:         112
        .size:           4
        .value_kind:     by_value
    .group_segment_fixed_size: 8192
    .kernarg_segment_align: 8
    .kernarg_segment_size: 116
    .language:       OpenCL C
    .language_version:
      - 2
      - 0
    .max_flat_workgroup_size: 256
    .name:           _ZL32rocblas_syrkx_herkx_small_kernelIi19rocblas_complex_numIdELi16ELb1ELb1ELc84ELc85EKPKS1_KPS1_EviT_T0_PT6_S7_lSA_S7_lS8_PT7_S7_li
    .private_segment_fixed_size: 0
    .sgpr_count:     24
    .sgpr_spill_count: 0
    .symbol:         _ZL32rocblas_syrkx_herkx_small_kernelIi19rocblas_complex_numIdELi16ELb1ELb1ELc84ELc85EKPKS1_KPS1_EviT_T0_PT6_S7_lSA_S7_lS8_PT7_S7_li.kd
    .uniform_work_group_size: 1
    .uses_dynamic_stack: false
    .vgpr_count:     50
    .vgpr_spill_count: 0
    .wavefront_size: 32
    .workgroup_processor_mode: 1
  - .args:
      - .offset:         0
        .size:           4
        .value_kind:     by_value
      - .offset:         4
        .size:           4
        .value_kind:     by_value
      - .offset:         8
        .size:           16
        .value_kind:     by_value
      - .address_space:  global
        .offset:         24
        .size:           8
        .value_kind:     global_buffer
      - .offset:         32
        .size:           4
        .value_kind:     by_value
      - .offset:         40
        .size:           8
        .value_kind:     by_value
      - .address_space:  global
        .offset:         48
        .size:           8
        .value_kind:     global_buffer
      - .offset:         56
        .size:           4
        .value_kind:     by_value
      - .offset:         64
        .size:           8
        .value_kind:     by_value
      - .offset:         72
        .size:           16
        .value_kind:     by_value
      - .address_space:  global
        .offset:         88
        .size:           8
        .value_kind:     global_buffer
      - .offset:         96
        .size:           4
        .value_kind:     by_value
      - .offset:         104
        .size:           8
        .value_kind:     by_value
      - .offset:         112
        .size:           4
        .value_kind:     by_value
    .group_segment_fixed_size: 8192
    .kernarg_segment_align: 8
    .kernarg_segment_size: 116
    .language:       OpenCL C
    .language_version:
      - 2
      - 0
    .max_flat_workgroup_size: 256
    .name:           _ZL32rocblas_syrkx_herkx_small_kernelIi19rocblas_complex_numIdELi16ELb1ELb1ELc67ELc85EKPKS1_KPS1_EviT_T0_PT6_S7_lSA_S7_lS8_PT7_S7_li
    .private_segment_fixed_size: 0
    .sgpr_count:     24
    .sgpr_spill_count: 0
    .symbol:         _ZL32rocblas_syrkx_herkx_small_kernelIi19rocblas_complex_numIdELi16ELb1ELb1ELc67ELc85EKPKS1_KPS1_EviT_T0_PT6_S7_lSA_S7_lS8_PT7_S7_li.kd
    .uniform_work_group_size: 1
    .uses_dynamic_stack: false
    .vgpr_count:     51
    .vgpr_spill_count: 0
    .wavefront_size: 32
    .workgroup_processor_mode: 1
  - .args:
      - .offset:         0
        .size:           4
        .value_kind:     by_value
      - .offset:         4
        .size:           4
        .value_kind:     by_value
      - .offset:         8
        .size:           16
        .value_kind:     by_value
      - .address_space:  global
        .offset:         24
        .size:           8
        .value_kind:     global_buffer
      - .offset:         32
        .size:           4
        .value_kind:     by_value
      - .offset:         40
        .size:           8
        .value_kind:     by_value
      - .address_space:  global
        .offset:         48
        .size:           8
        .value_kind:     global_buffer
      - .offset:         56
        .size:           4
        .value_kind:     by_value
      - .offset:         64
        .size:           8
        .value_kind:     by_value
      - .offset:         72
        .size:           16
        .value_kind:     by_value
      - .address_space:  global
        .offset:         88
        .size:           8
        .value_kind:     global_buffer
      - .offset:         96
        .size:           4
        .value_kind:     by_value
      - .offset:         104
        .size:           8
        .value_kind:     by_value
      - .offset:         112
        .size:           4
        .value_kind:     by_value
    .group_segment_fixed_size: 8192
    .kernarg_segment_align: 8
    .kernarg_segment_size: 116
    .language:       OpenCL C
    .language_version:
      - 2
      - 0
    .max_flat_workgroup_size: 256
    .name:           _ZL32rocblas_syrkx_herkx_small_kernelIi19rocblas_complex_numIdELi16ELb1ELb1ELc78ELc85EKPKS1_KPS1_EviT_T0_PT6_S7_lSA_S7_lS8_PT7_S7_li
    .private_segment_fixed_size: 0
    .sgpr_count:     26
    .sgpr_spill_count: 0
    .symbol:         _ZL32rocblas_syrkx_herkx_small_kernelIi19rocblas_complex_numIdELi16ELb1ELb1ELc78ELc85EKPKS1_KPS1_EviT_T0_PT6_S7_lSA_S7_lS8_PT7_S7_li.kd
    .uniform_work_group_size: 1
    .uses_dynamic_stack: false
    .vgpr_count:     50
    .vgpr_spill_count: 0
    .wavefront_size: 32
    .workgroup_processor_mode: 1
  - .args:
      - .offset:         0
        .size:           4
        .value_kind:     by_value
      - .offset:         4
        .size:           4
        .value_kind:     by_value
      - .offset:         8
        .size:           16
        .value_kind:     by_value
      - .address_space:  global
        .offset:         24
        .size:           8
        .value_kind:     global_buffer
      - .offset:         32
        .size:           4
        .value_kind:     by_value
      - .offset:         40
        .size:           8
        .value_kind:     by_value
      - .address_space:  global
        .offset:         48
        .size:           8
        .value_kind:     global_buffer
      - .offset:         56
        .size:           4
        .value_kind:     by_value
      - .offset:         64
        .size:           8
        .value_kind:     by_value
      - .offset:         72
        .size:           16
        .value_kind:     by_value
      - .address_space:  global
        .offset:         88
        .size:           8
        .value_kind:     global_buffer
      - .offset:         96
        .size:           4
        .value_kind:     by_value
      - .offset:         104
        .size:           8
        .value_kind:     by_value
      - .offset:         112
        .size:           4
        .value_kind:     by_value
    .group_segment_fixed_size: 8192
    .kernarg_segment_align: 8
    .kernarg_segment_size: 116
    .language:       OpenCL C
    .language_version:
      - 2
      - 0
    .max_flat_workgroup_size: 256
    .name:           _ZL32rocblas_syrkx_herkx_small_kernelIi19rocblas_complex_numIdELi16ELb0ELb1ELc84ELc76EKPKS1_KPS1_EviT_T0_PT6_S7_lSA_S7_lS8_PT7_S7_li
    .private_segment_fixed_size: 0
    .sgpr_count:     28
    .sgpr_spill_count: 0
    .symbol:         _ZL32rocblas_syrkx_herkx_small_kernelIi19rocblas_complex_numIdELi16ELb0ELb1ELc84ELc76EKPKS1_KPS1_EviT_T0_PT6_S7_lSA_S7_lS8_PT7_S7_li.kd
    .uniform_work_group_size: 1
    .uses_dynamic_stack: false
    .vgpr_count:     50
    .vgpr_spill_count: 0
    .wavefront_size: 32
    .workgroup_processor_mode: 1
  - .args:
      - .offset:         0
        .size:           4
        .value_kind:     by_value
      - .offset:         4
        .size:           4
        .value_kind:     by_value
      - .offset:         8
        .size:           16
        .value_kind:     by_value
      - .address_space:  global
        .offset:         24
        .size:           8
        .value_kind:     global_buffer
      - .offset:         32
        .size:           4
        .value_kind:     by_value
      - .offset:         40
        .size:           8
        .value_kind:     by_value
      - .address_space:  global
        .offset:         48
        .size:           8
        .value_kind:     global_buffer
      - .offset:         56
        .size:           4
        .value_kind:     by_value
      - .offset:         64
        .size:           8
        .value_kind:     by_value
      - .offset:         72
        .size:           16
        .value_kind:     by_value
      - .address_space:  global
        .offset:         88
        .size:           8
        .value_kind:     global_buffer
      - .offset:         96
        .size:           4
        .value_kind:     by_value
      - .offset:         104
        .size:           8
        .value_kind:     by_value
      - .offset:         112
        .size:           4
        .value_kind:     by_value
    .group_segment_fixed_size: 8192
    .kernarg_segment_align: 8
    .kernarg_segment_size: 116
    .language:       OpenCL C
    .language_version:
      - 2
      - 0
    .max_flat_workgroup_size: 256
    .name:           _ZL32rocblas_syrkx_herkx_small_kernelIi19rocblas_complex_numIdELi16ELb0ELb1ELc67ELc76EKPKS1_KPS1_EviT_T0_PT6_S7_lSA_S7_lS8_PT7_S7_li
    .private_segment_fixed_size: 0
    .sgpr_count:     28
    .sgpr_spill_count: 0
    .symbol:         _ZL32rocblas_syrkx_herkx_small_kernelIi19rocblas_complex_numIdELi16ELb0ELb1ELc67ELc76EKPKS1_KPS1_EviT_T0_PT6_S7_lSA_S7_lS8_PT7_S7_li.kd
    .uniform_work_group_size: 1
    .uses_dynamic_stack: false
    .vgpr_count:     51
    .vgpr_spill_count: 0
    .wavefront_size: 32
    .workgroup_processor_mode: 1
  - .args:
      - .offset:         0
        .size:           4
        .value_kind:     by_value
      - .offset:         4
        .size:           4
        .value_kind:     by_value
      - .offset:         8
        .size:           16
        .value_kind:     by_value
      - .address_space:  global
        .offset:         24
        .size:           8
        .value_kind:     global_buffer
      - .offset:         32
        .size:           4
        .value_kind:     by_value
      - .offset:         40
        .size:           8
        .value_kind:     by_value
      - .address_space:  global
        .offset:         48
        .size:           8
        .value_kind:     global_buffer
      - .offset:         56
        .size:           4
        .value_kind:     by_value
      - .offset:         64
        .size:           8
        .value_kind:     by_value
      - .offset:         72
        .size:           16
        .value_kind:     by_value
      - .address_space:  global
        .offset:         88
        .size:           8
        .value_kind:     global_buffer
      - .offset:         96
        .size:           4
        .value_kind:     by_value
      - .offset:         104
        .size:           8
        .value_kind:     by_value
      - .offset:         112
        .size:           4
        .value_kind:     by_value
    .group_segment_fixed_size: 8192
    .kernarg_segment_align: 8
    .kernarg_segment_size: 116
    .language:       OpenCL C
    .language_version:
      - 2
      - 0
    .max_flat_workgroup_size: 256
    .name:           _ZL32rocblas_syrkx_herkx_small_kernelIi19rocblas_complex_numIdELi16ELb0ELb1ELc78ELc76EKPKS1_KPS1_EviT_T0_PT6_S7_lSA_S7_lS8_PT7_S7_li
    .private_segment_fixed_size: 0
    .sgpr_count:     30
    .sgpr_spill_count: 0
    .symbol:         _ZL32rocblas_syrkx_herkx_small_kernelIi19rocblas_complex_numIdELi16ELb0ELb1ELc78ELc76EKPKS1_KPS1_EviT_T0_PT6_S7_lSA_S7_lS8_PT7_S7_li.kd
    .uniform_work_group_size: 1
    .uses_dynamic_stack: false
    .vgpr_count:     50
    .vgpr_spill_count: 0
    .wavefront_size: 32
    .workgroup_processor_mode: 1
  - .args:
      - .offset:         0
        .size:           4
        .value_kind:     by_value
      - .offset:         4
        .size:           4
        .value_kind:     by_value
      - .offset:         8
        .size:           16
        .value_kind:     by_value
      - .address_space:  global
        .offset:         24
        .size:           8
        .value_kind:     global_buffer
      - .offset:         32
        .size:           4
        .value_kind:     by_value
      - .offset:         40
        .size:           8
        .value_kind:     by_value
      - .address_space:  global
        .offset:         48
        .size:           8
        .value_kind:     global_buffer
      - .offset:         56
        .size:           4
        .value_kind:     by_value
      - .offset:         64
        .size:           8
        .value_kind:     by_value
      - .offset:         72
        .size:           16
        .value_kind:     by_value
      - .address_space:  global
        .offset:         88
        .size:           8
        .value_kind:     global_buffer
      - .offset:         96
        .size:           4
        .value_kind:     by_value
      - .offset:         104
        .size:           8
        .value_kind:     by_value
      - .offset:         112
        .size:           4
        .value_kind:     by_value
    .group_segment_fixed_size: 8192
    .kernarg_segment_align: 8
    .kernarg_segment_size: 116
    .language:       OpenCL C
    .language_version:
      - 2
      - 0
    .max_flat_workgroup_size: 256
    .name:           _ZL32rocblas_syrkx_herkx_small_kernelIi19rocblas_complex_numIdELi16ELb0ELb1ELc84ELc85EKPKS1_KPS1_EviT_T0_PT6_S7_lSA_S7_lS8_PT7_S7_li
    .private_segment_fixed_size: 0
    .sgpr_count:     28
    .sgpr_spill_count: 0
    .symbol:         _ZL32rocblas_syrkx_herkx_small_kernelIi19rocblas_complex_numIdELi16ELb0ELb1ELc84ELc85EKPKS1_KPS1_EviT_T0_PT6_S7_lSA_S7_lS8_PT7_S7_li.kd
    .uniform_work_group_size: 1
    .uses_dynamic_stack: false
    .vgpr_count:     50
    .vgpr_spill_count: 0
    .wavefront_size: 32
    .workgroup_processor_mode: 1
  - .args:
      - .offset:         0
        .size:           4
        .value_kind:     by_value
      - .offset:         4
        .size:           4
        .value_kind:     by_value
      - .offset:         8
        .size:           16
        .value_kind:     by_value
      - .address_space:  global
        .offset:         24
        .size:           8
        .value_kind:     global_buffer
      - .offset:         32
        .size:           4
        .value_kind:     by_value
      - .offset:         40
        .size:           8
        .value_kind:     by_value
      - .address_space:  global
        .offset:         48
        .size:           8
        .value_kind:     global_buffer
      - .offset:         56
        .size:           4
        .value_kind:     by_value
      - .offset:         64
        .size:           8
        .value_kind:     by_value
      - .offset:         72
        .size:           16
        .value_kind:     by_value
      - .address_space:  global
        .offset:         88
        .size:           8
        .value_kind:     global_buffer
      - .offset:         96
        .size:           4
        .value_kind:     by_value
      - .offset:         104
        .size:           8
        .value_kind:     by_value
      - .offset:         112
        .size:           4
        .value_kind:     by_value
    .group_segment_fixed_size: 8192
    .kernarg_segment_align: 8
    .kernarg_segment_size: 116
    .language:       OpenCL C
    .language_version:
      - 2
      - 0
    .max_flat_workgroup_size: 256
    .name:           _ZL32rocblas_syrkx_herkx_small_kernelIi19rocblas_complex_numIdELi16ELb0ELb1ELc67ELc85EKPKS1_KPS1_EviT_T0_PT6_S7_lSA_S7_lS8_PT7_S7_li
    .private_segment_fixed_size: 0
    .sgpr_count:     28
    .sgpr_spill_count: 0
    .symbol:         _ZL32rocblas_syrkx_herkx_small_kernelIi19rocblas_complex_numIdELi16ELb0ELb1ELc67ELc85EKPKS1_KPS1_EviT_T0_PT6_S7_lSA_S7_lS8_PT7_S7_li.kd
    .uniform_work_group_size: 1
    .uses_dynamic_stack: false
    .vgpr_count:     51
    .vgpr_spill_count: 0
    .wavefront_size: 32
    .workgroup_processor_mode: 1
  - .args:
      - .offset:         0
        .size:           4
        .value_kind:     by_value
      - .offset:         4
        .size:           4
        .value_kind:     by_value
      - .offset:         8
        .size:           16
        .value_kind:     by_value
      - .address_space:  global
        .offset:         24
        .size:           8
        .value_kind:     global_buffer
      - .offset:         32
        .size:           4
        .value_kind:     by_value
      - .offset:         40
        .size:           8
        .value_kind:     by_value
      - .address_space:  global
        .offset:         48
        .size:           8
        .value_kind:     global_buffer
      - .offset:         56
        .size:           4
        .value_kind:     by_value
      - .offset:         64
        .size:           8
        .value_kind:     by_value
      - .offset:         72
        .size:           16
        .value_kind:     by_value
      - .address_space:  global
        .offset:         88
        .size:           8
        .value_kind:     global_buffer
      - .offset:         96
        .size:           4
        .value_kind:     by_value
      - .offset:         104
        .size:           8
        .value_kind:     by_value
      - .offset:         112
        .size:           4
        .value_kind:     by_value
    .group_segment_fixed_size: 8192
    .kernarg_segment_align: 8
    .kernarg_segment_size: 116
    .language:       OpenCL C
    .language_version:
      - 2
      - 0
    .max_flat_workgroup_size: 256
    .name:           _ZL32rocblas_syrkx_herkx_small_kernelIi19rocblas_complex_numIdELi16ELb0ELb1ELc78ELc85EKPKS1_KPS1_EviT_T0_PT6_S7_lSA_S7_lS8_PT7_S7_li
    .private_segment_fixed_size: 0
    .sgpr_count:     30
    .sgpr_spill_count: 0
    .symbol:         _ZL32rocblas_syrkx_herkx_small_kernelIi19rocblas_complex_numIdELi16ELb0ELb1ELc78ELc85EKPKS1_KPS1_EviT_T0_PT6_S7_lSA_S7_lS8_PT7_S7_li.kd
    .uniform_work_group_size: 1
    .uses_dynamic_stack: false
    .vgpr_count:     50
    .vgpr_spill_count: 0
    .wavefront_size: 32
    .workgroup_processor_mode: 1
  - .args:
      - .offset:         0
        .size:           4
        .value_kind:     by_value
      - .offset:         4
        .size:           4
        .value_kind:     by_value
      - .offset:         8
        .size:           16
        .value_kind:     by_value
      - .address_space:  global
        .offset:         24
        .size:           8
        .value_kind:     global_buffer
      - .offset:         32
        .size:           4
        .value_kind:     by_value
      - .offset:         40
        .size:           8
        .value_kind:     by_value
      - .address_space:  global
        .offset:         48
        .size:           8
        .value_kind:     global_buffer
      - .offset:         56
        .size:           4
        .value_kind:     by_value
      - .offset:         64
        .size:           8
        .value_kind:     by_value
      - .offset:         72
        .size:           16
        .value_kind:     by_value
      - .address_space:  global
        .offset:         88
        .size:           8
        .value_kind:     global_buffer
      - .offset:         96
        .size:           4
        .value_kind:     by_value
      - .offset:         104
        .size:           8
        .value_kind:     by_value
      - .offset:         112
        .size:           4
        .value_kind:     by_value
    .group_segment_fixed_size: 8192
    .kernarg_segment_align: 8
    .kernarg_segment_size: 116
    .language:       OpenCL C
    .language_version:
      - 2
      - 0
    .max_flat_workgroup_size: 256
    .name:           _ZL34rocblas_syrkx_herkx_general_kernelIi19rocblas_complex_numIdELi16ELi32ELi8ELb1ELb1ELc84ELc76EKPKS1_KPS1_EviT_T0_PT8_S7_lSA_S7_lS8_PT9_S7_li
    .private_segment_fixed_size: 0
    .sgpr_count:     23
    .sgpr_spill_count: 0
    .symbol:         _ZL34rocblas_syrkx_herkx_general_kernelIi19rocblas_complex_numIdELi16ELi32ELi8ELb1ELb1ELc84ELc76EKPKS1_KPS1_EviT_T0_PT8_S7_lSA_S7_lS8_PT9_S7_li.kd
    .uniform_work_group_size: 1
    .uses_dynamic_stack: false
    .vgpr_count:     120
    .vgpr_spill_count: 0
    .wavefront_size: 32
    .workgroup_processor_mode: 1
  - .args:
      - .offset:         0
        .size:           4
        .value_kind:     by_value
      - .offset:         4
        .size:           4
        .value_kind:     by_value
      - .offset:         8
        .size:           16
        .value_kind:     by_value
      - .address_space:  global
        .offset:         24
        .size:           8
        .value_kind:     global_buffer
      - .offset:         32
        .size:           4
        .value_kind:     by_value
      - .offset:         40
        .size:           8
        .value_kind:     by_value
      - .address_space:  global
        .offset:         48
        .size:           8
        .value_kind:     global_buffer
      - .offset:         56
        .size:           4
        .value_kind:     by_value
      - .offset:         64
        .size:           8
        .value_kind:     by_value
      - .offset:         72
        .size:           16
        .value_kind:     by_value
      - .address_space:  global
        .offset:         88
        .size:           8
        .value_kind:     global_buffer
      - .offset:         96
        .size:           4
        .value_kind:     by_value
      - .offset:         104
        .size:           8
        .value_kind:     by_value
      - .offset:         112
        .size:           4
        .value_kind:     by_value
    .group_segment_fixed_size: 8192
    .kernarg_segment_align: 8
    .kernarg_segment_size: 116
    .language:       OpenCL C
    .language_version:
      - 2
      - 0
    .max_flat_workgroup_size: 256
    .name:           _ZL34rocblas_syrkx_herkx_general_kernelIi19rocblas_complex_numIdELi16ELi32ELi8ELb1ELb1ELc67ELc76EKPKS1_KPS1_EviT_T0_PT8_S7_lSA_S7_lS8_PT9_S7_li
    .private_segment_fixed_size: 0
    .sgpr_count:     23
    .sgpr_spill_count: 0
    .symbol:         _ZL34rocblas_syrkx_herkx_general_kernelIi19rocblas_complex_numIdELi16ELi32ELi8ELb1ELb1ELc67ELc76EKPKS1_KPS1_EviT_T0_PT8_S7_lSA_S7_lS8_PT9_S7_li.kd
    .uniform_work_group_size: 1
    .uses_dynamic_stack: false
    .vgpr_count:     121
    .vgpr_spill_count: 0
    .wavefront_size: 32
    .workgroup_processor_mode: 1
  - .args:
      - .offset:         0
        .size:           4
        .value_kind:     by_value
      - .offset:         4
        .size:           4
        .value_kind:     by_value
      - .offset:         8
        .size:           16
        .value_kind:     by_value
      - .address_space:  global
        .offset:         24
        .size:           8
        .value_kind:     global_buffer
      - .offset:         32
        .size:           4
        .value_kind:     by_value
      - .offset:         40
        .size:           8
        .value_kind:     by_value
      - .address_space:  global
        .offset:         48
        .size:           8
        .value_kind:     global_buffer
      - .offset:         56
        .size:           4
        .value_kind:     by_value
      - .offset:         64
        .size:           8
        .value_kind:     by_value
      - .offset:         72
        .size:           16
        .value_kind:     by_value
      - .address_space:  global
        .offset:         88
        .size:           8
        .value_kind:     global_buffer
      - .offset:         96
        .size:           4
        .value_kind:     by_value
      - .offset:         104
        .size:           8
        .value_kind:     by_value
      - .offset:         112
        .size:           4
        .value_kind:     by_value
    .group_segment_fixed_size: 8192
    .kernarg_segment_align: 8
    .kernarg_segment_size: 116
    .language:       OpenCL C
    .language_version:
      - 2
      - 0
    .max_flat_workgroup_size: 256
    .name:           _ZL34rocblas_syrkx_herkx_general_kernelIi19rocblas_complex_numIdELi16ELi32ELi8ELb1ELb1ELc78ELc76EKPKS1_KPS1_EviT_T0_PT8_S7_lSA_S7_lS8_PT9_S7_li
    .private_segment_fixed_size: 0
    .sgpr_count:     28
    .sgpr_spill_count: 0
    .symbol:         _ZL34rocblas_syrkx_herkx_general_kernelIi19rocblas_complex_numIdELi16ELi32ELi8ELb1ELb1ELc78ELc76EKPKS1_KPS1_EviT_T0_PT8_S7_lSA_S7_lS8_PT9_S7_li.kd
    .uniform_work_group_size: 1
    .uses_dynamic_stack: false
    .vgpr_count:     119
    .vgpr_spill_count: 0
    .wavefront_size: 32
    .workgroup_processor_mode: 1
  - .args:
      - .offset:         0
        .size:           4
        .value_kind:     by_value
      - .offset:         4
        .size:           4
        .value_kind:     by_value
      - .offset:         8
        .size:           16
        .value_kind:     by_value
      - .address_space:  global
        .offset:         24
        .size:           8
        .value_kind:     global_buffer
      - .offset:         32
        .size:           4
        .value_kind:     by_value
      - .offset:         40
        .size:           8
        .value_kind:     by_value
      - .address_space:  global
        .offset:         48
        .size:           8
        .value_kind:     global_buffer
      - .offset:         56
        .size:           4
        .value_kind:     by_value
      - .offset:         64
        .size:           8
        .value_kind:     by_value
      - .offset:         72
        .size:           16
        .value_kind:     by_value
      - .address_space:  global
        .offset:         88
        .size:           8
        .value_kind:     global_buffer
      - .offset:         96
        .size:           4
        .value_kind:     by_value
      - .offset:         104
        .size:           8
        .value_kind:     by_value
      - .offset:         112
        .size:           4
        .value_kind:     by_value
    .group_segment_fixed_size: 8192
    .kernarg_segment_align: 8
    .kernarg_segment_size: 116
    .language:       OpenCL C
    .language_version:
      - 2
      - 0
    .max_flat_workgroup_size: 256
    .name:           _ZL34rocblas_syrkx_herkx_general_kernelIi19rocblas_complex_numIdELi16ELi32ELi8ELb1ELb1ELc84ELc85EKPKS1_KPS1_EviT_T0_PT8_S7_lSA_S7_lS8_PT9_S7_li
    .private_segment_fixed_size: 0
    .sgpr_count:     23
    .sgpr_spill_count: 0
    .symbol:         _ZL34rocblas_syrkx_herkx_general_kernelIi19rocblas_complex_numIdELi16ELi32ELi8ELb1ELb1ELc84ELc85EKPKS1_KPS1_EviT_T0_PT8_S7_lSA_S7_lS8_PT9_S7_li.kd
    .uniform_work_group_size: 1
    .uses_dynamic_stack: false
    .vgpr_count:     120
    .vgpr_spill_count: 0
    .wavefront_size: 32
    .workgroup_processor_mode: 1
  - .args:
      - .offset:         0
        .size:           4
        .value_kind:     by_value
      - .offset:         4
        .size:           4
        .value_kind:     by_value
      - .offset:         8
        .size:           16
        .value_kind:     by_value
      - .address_space:  global
        .offset:         24
        .size:           8
        .value_kind:     global_buffer
      - .offset:         32
        .size:           4
        .value_kind:     by_value
      - .offset:         40
        .size:           8
        .value_kind:     by_value
      - .address_space:  global
        .offset:         48
        .size:           8
        .value_kind:     global_buffer
      - .offset:         56
        .size:           4
        .value_kind:     by_value
      - .offset:         64
        .size:           8
        .value_kind:     by_value
      - .offset:         72
        .size:           16
        .value_kind:     by_value
      - .address_space:  global
        .offset:         88
        .size:           8
        .value_kind:     global_buffer
      - .offset:         96
        .size:           4
        .value_kind:     by_value
      - .offset:         104
        .size:           8
        .value_kind:     by_value
      - .offset:         112
        .size:           4
        .value_kind:     by_value
    .group_segment_fixed_size: 8192
    .kernarg_segment_align: 8
    .kernarg_segment_size: 116
    .language:       OpenCL C
    .language_version:
      - 2
      - 0
    .max_flat_workgroup_size: 256
    .name:           _ZL34rocblas_syrkx_herkx_general_kernelIi19rocblas_complex_numIdELi16ELi32ELi8ELb1ELb1ELc67ELc85EKPKS1_KPS1_EviT_T0_PT8_S7_lSA_S7_lS8_PT9_S7_li
    .private_segment_fixed_size: 0
    .sgpr_count:     23
    .sgpr_spill_count: 0
    .symbol:         _ZL34rocblas_syrkx_herkx_general_kernelIi19rocblas_complex_numIdELi16ELi32ELi8ELb1ELb1ELc67ELc85EKPKS1_KPS1_EviT_T0_PT8_S7_lSA_S7_lS8_PT9_S7_li.kd
    .uniform_work_group_size: 1
    .uses_dynamic_stack: false
    .vgpr_count:     121
    .vgpr_spill_count: 0
    .wavefront_size: 32
    .workgroup_processor_mode: 1
  - .args:
      - .offset:         0
        .size:           4
        .value_kind:     by_value
      - .offset:         4
        .size:           4
        .value_kind:     by_value
      - .offset:         8
        .size:           16
        .value_kind:     by_value
      - .address_space:  global
        .offset:         24
        .size:           8
        .value_kind:     global_buffer
      - .offset:         32
        .size:           4
        .value_kind:     by_value
      - .offset:         40
        .size:           8
        .value_kind:     by_value
      - .address_space:  global
        .offset:         48
        .size:           8
        .value_kind:     global_buffer
      - .offset:         56
        .size:           4
        .value_kind:     by_value
      - .offset:         64
        .size:           8
        .value_kind:     by_value
      - .offset:         72
        .size:           16
        .value_kind:     by_value
      - .address_space:  global
        .offset:         88
        .size:           8
        .value_kind:     global_buffer
      - .offset:         96
        .size:           4
        .value_kind:     by_value
      - .offset:         104
        .size:           8
        .value_kind:     by_value
      - .offset:         112
        .size:           4
        .value_kind:     by_value
    .group_segment_fixed_size: 8192
    .kernarg_segment_align: 8
    .kernarg_segment_size: 116
    .language:       OpenCL C
    .language_version:
      - 2
      - 0
    .max_flat_workgroup_size: 256
    .name:           _ZL34rocblas_syrkx_herkx_general_kernelIi19rocblas_complex_numIdELi16ELi32ELi8ELb1ELb1ELc78ELc85EKPKS1_KPS1_EviT_T0_PT8_S7_lSA_S7_lS8_PT9_S7_li
    .private_segment_fixed_size: 0
    .sgpr_count:     28
    .sgpr_spill_count: 0
    .symbol:         _ZL34rocblas_syrkx_herkx_general_kernelIi19rocblas_complex_numIdELi16ELi32ELi8ELb1ELb1ELc78ELc85EKPKS1_KPS1_EviT_T0_PT8_S7_lSA_S7_lS8_PT9_S7_li.kd
    .uniform_work_group_size: 1
    .uses_dynamic_stack: false
    .vgpr_count:     119
    .vgpr_spill_count: 0
    .wavefront_size: 32
    .workgroup_processor_mode: 1
  - .args:
      - .offset:         0
        .size:           4
        .value_kind:     by_value
      - .offset:         4
        .size:           4
        .value_kind:     by_value
      - .offset:         8
        .size:           16
        .value_kind:     by_value
      - .address_space:  global
        .offset:         24
        .size:           8
        .value_kind:     global_buffer
      - .offset:         32
        .size:           4
        .value_kind:     by_value
      - .offset:         40
        .size:           8
        .value_kind:     by_value
      - .address_space:  global
        .offset:         48
        .size:           8
        .value_kind:     global_buffer
      - .offset:         56
        .size:           4
        .value_kind:     by_value
      - .offset:         64
        .size:           8
        .value_kind:     by_value
      - .offset:         72
        .size:           16
        .value_kind:     by_value
      - .address_space:  global
        .offset:         88
        .size:           8
        .value_kind:     global_buffer
      - .offset:         96
        .size:           4
        .value_kind:     by_value
      - .offset:         104
        .size:           8
        .value_kind:     by_value
      - .offset:         112
        .size:           4
        .value_kind:     by_value
    .group_segment_fixed_size: 8192
    .kernarg_segment_align: 8
    .kernarg_segment_size: 116
    .language:       OpenCL C
    .language_version:
      - 2
      - 0
    .max_flat_workgroup_size: 256
    .name:           _ZL34rocblas_syrkx_herkx_general_kernelIi19rocblas_complex_numIdELi16ELi32ELi8ELb0ELb1ELc84ELc76EKPKS1_KPS1_EviT_T0_PT8_S7_lSA_S7_lS8_PT9_S7_li
    .private_segment_fixed_size: 0
    .sgpr_count:     27
    .sgpr_spill_count: 0
    .symbol:         _ZL34rocblas_syrkx_herkx_general_kernelIi19rocblas_complex_numIdELi16ELi32ELi8ELb0ELb1ELc84ELc76EKPKS1_KPS1_EviT_T0_PT8_S7_lSA_S7_lS8_PT9_S7_li.kd
    .uniform_work_group_size: 1
    .uses_dynamic_stack: false
    .vgpr_count:     120
    .vgpr_spill_count: 0
    .wavefront_size: 32
    .workgroup_processor_mode: 1
  - .args:
      - .offset:         0
        .size:           4
        .value_kind:     by_value
      - .offset:         4
        .size:           4
        .value_kind:     by_value
      - .offset:         8
        .size:           16
        .value_kind:     by_value
      - .address_space:  global
        .offset:         24
        .size:           8
        .value_kind:     global_buffer
      - .offset:         32
        .size:           4
        .value_kind:     by_value
      - .offset:         40
        .size:           8
        .value_kind:     by_value
      - .address_space:  global
        .offset:         48
        .size:           8
        .value_kind:     global_buffer
      - .offset:         56
        .size:           4
        .value_kind:     by_value
      - .offset:         64
        .size:           8
        .value_kind:     by_value
      - .offset:         72
        .size:           16
        .value_kind:     by_value
      - .address_space:  global
        .offset:         88
        .size:           8
        .value_kind:     global_buffer
      - .offset:         96
        .size:           4
        .value_kind:     by_value
      - .offset:         104
        .size:           8
        .value_kind:     by_value
      - .offset:         112
        .size:           4
        .value_kind:     by_value
    .group_segment_fixed_size: 8192
    .kernarg_segment_align: 8
    .kernarg_segment_size: 116
    .language:       OpenCL C
    .language_version:
      - 2
      - 0
    .max_flat_workgroup_size: 256
    .name:           _ZL34rocblas_syrkx_herkx_general_kernelIi19rocblas_complex_numIdELi16ELi32ELi8ELb0ELb1ELc67ELc76EKPKS1_KPS1_EviT_T0_PT8_S7_lSA_S7_lS8_PT9_S7_li
    .private_segment_fixed_size: 0
    .sgpr_count:     27
    .sgpr_spill_count: 0
    .symbol:         _ZL34rocblas_syrkx_herkx_general_kernelIi19rocblas_complex_numIdELi16ELi32ELi8ELb0ELb1ELc67ELc76EKPKS1_KPS1_EviT_T0_PT8_S7_lSA_S7_lS8_PT9_S7_li.kd
    .uniform_work_group_size: 1
    .uses_dynamic_stack: false
    .vgpr_count:     121
    .vgpr_spill_count: 0
    .wavefront_size: 32
    .workgroup_processor_mode: 1
  - .args:
      - .offset:         0
        .size:           4
        .value_kind:     by_value
      - .offset:         4
        .size:           4
        .value_kind:     by_value
      - .offset:         8
        .size:           16
        .value_kind:     by_value
      - .address_space:  global
        .offset:         24
        .size:           8
        .value_kind:     global_buffer
      - .offset:         32
        .size:           4
        .value_kind:     by_value
      - .offset:         40
        .size:           8
        .value_kind:     by_value
      - .address_space:  global
        .offset:         48
        .size:           8
        .value_kind:     global_buffer
      - .offset:         56
        .size:           4
        .value_kind:     by_value
      - .offset:         64
        .size:           8
        .value_kind:     by_value
      - .offset:         72
        .size:           16
        .value_kind:     by_value
      - .address_space:  global
        .offset:         88
        .size:           8
        .value_kind:     global_buffer
      - .offset:         96
        .size:           4
        .value_kind:     by_value
      - .offset:         104
        .size:           8
        .value_kind:     by_value
      - .offset:         112
        .size:           4
        .value_kind:     by_value
    .group_segment_fixed_size: 8192
    .kernarg_segment_align: 8
    .kernarg_segment_size: 116
    .language:       OpenCL C
    .language_version:
      - 2
      - 0
    .max_flat_workgroup_size: 256
    .name:           _ZL34rocblas_syrkx_herkx_general_kernelIi19rocblas_complex_numIdELi16ELi32ELi8ELb0ELb1ELc78ELc76EKPKS1_KPS1_EviT_T0_PT8_S7_lSA_S7_lS8_PT9_S7_li
    .private_segment_fixed_size: 0
    .sgpr_count:     32
    .sgpr_spill_count: 0
    .symbol:         _ZL34rocblas_syrkx_herkx_general_kernelIi19rocblas_complex_numIdELi16ELi32ELi8ELb0ELb1ELc78ELc76EKPKS1_KPS1_EviT_T0_PT8_S7_lSA_S7_lS8_PT9_S7_li.kd
    .uniform_work_group_size: 1
    .uses_dynamic_stack: false
    .vgpr_count:     119
    .vgpr_spill_count: 0
    .wavefront_size: 32
    .workgroup_processor_mode: 1
  - .args:
      - .offset:         0
        .size:           4
        .value_kind:     by_value
      - .offset:         4
        .size:           4
        .value_kind:     by_value
      - .offset:         8
        .size:           16
        .value_kind:     by_value
      - .address_space:  global
        .offset:         24
        .size:           8
        .value_kind:     global_buffer
      - .offset:         32
        .size:           4
        .value_kind:     by_value
      - .offset:         40
        .size:           8
        .value_kind:     by_value
      - .address_space:  global
        .offset:         48
        .size:           8
        .value_kind:     global_buffer
      - .offset:         56
        .size:           4
        .value_kind:     by_value
      - .offset:         64
        .size:           8
        .value_kind:     by_value
      - .offset:         72
        .size:           16
        .value_kind:     by_value
      - .address_space:  global
        .offset:         88
        .size:           8
        .value_kind:     global_buffer
      - .offset:         96
        .size:           4
        .value_kind:     by_value
      - .offset:         104
        .size:           8
        .value_kind:     by_value
      - .offset:         112
        .size:           4
        .value_kind:     by_value
    .group_segment_fixed_size: 8192
    .kernarg_segment_align: 8
    .kernarg_segment_size: 116
    .language:       OpenCL C
    .language_version:
      - 2
      - 0
    .max_flat_workgroup_size: 256
    .name:           _ZL34rocblas_syrkx_herkx_general_kernelIi19rocblas_complex_numIdELi16ELi32ELi8ELb0ELb1ELc84ELc85EKPKS1_KPS1_EviT_T0_PT8_S7_lSA_S7_lS8_PT9_S7_li
    .private_segment_fixed_size: 0
    .sgpr_count:     27
    .sgpr_spill_count: 0
    .symbol:         _ZL34rocblas_syrkx_herkx_general_kernelIi19rocblas_complex_numIdELi16ELi32ELi8ELb0ELb1ELc84ELc85EKPKS1_KPS1_EviT_T0_PT8_S7_lSA_S7_lS8_PT9_S7_li.kd
    .uniform_work_group_size: 1
    .uses_dynamic_stack: false
    .vgpr_count:     120
    .vgpr_spill_count: 0
    .wavefront_size: 32
    .workgroup_processor_mode: 1
  - .args:
      - .offset:         0
        .size:           4
        .value_kind:     by_value
      - .offset:         4
        .size:           4
        .value_kind:     by_value
      - .offset:         8
        .size:           16
        .value_kind:     by_value
      - .address_space:  global
        .offset:         24
        .size:           8
        .value_kind:     global_buffer
      - .offset:         32
        .size:           4
        .value_kind:     by_value
      - .offset:         40
        .size:           8
        .value_kind:     by_value
      - .address_space:  global
        .offset:         48
        .size:           8
        .value_kind:     global_buffer
      - .offset:         56
        .size:           4
        .value_kind:     by_value
      - .offset:         64
        .size:           8
        .value_kind:     by_value
      - .offset:         72
        .size:           16
        .value_kind:     by_value
      - .address_space:  global
        .offset:         88
        .size:           8
        .value_kind:     global_buffer
      - .offset:         96
        .size:           4
        .value_kind:     by_value
      - .offset:         104
        .size:           8
        .value_kind:     by_value
      - .offset:         112
        .size:           4
        .value_kind:     by_value
    .group_segment_fixed_size: 8192
    .kernarg_segment_align: 8
    .kernarg_segment_size: 116
    .language:       OpenCL C
    .language_version:
      - 2
      - 0
    .max_flat_workgroup_size: 256
    .name:           _ZL34rocblas_syrkx_herkx_general_kernelIi19rocblas_complex_numIdELi16ELi32ELi8ELb0ELb1ELc67ELc85EKPKS1_KPS1_EviT_T0_PT8_S7_lSA_S7_lS8_PT9_S7_li
    .private_segment_fixed_size: 0
    .sgpr_count:     27
    .sgpr_spill_count: 0
    .symbol:         _ZL34rocblas_syrkx_herkx_general_kernelIi19rocblas_complex_numIdELi16ELi32ELi8ELb0ELb1ELc67ELc85EKPKS1_KPS1_EviT_T0_PT8_S7_lSA_S7_lS8_PT9_S7_li.kd
    .uniform_work_group_size: 1
    .uses_dynamic_stack: false
    .vgpr_count:     121
    .vgpr_spill_count: 0
    .wavefront_size: 32
    .workgroup_processor_mode: 1
  - .args:
      - .offset:         0
        .size:           4
        .value_kind:     by_value
      - .offset:         4
        .size:           4
        .value_kind:     by_value
      - .offset:         8
        .size:           16
        .value_kind:     by_value
      - .address_space:  global
        .offset:         24
        .size:           8
        .value_kind:     global_buffer
      - .offset:         32
        .size:           4
        .value_kind:     by_value
      - .offset:         40
        .size:           8
        .value_kind:     by_value
      - .address_space:  global
        .offset:         48
        .size:           8
        .value_kind:     global_buffer
      - .offset:         56
        .size:           4
        .value_kind:     by_value
      - .offset:         64
        .size:           8
        .value_kind:     by_value
      - .offset:         72
        .size:           16
        .value_kind:     by_value
      - .address_space:  global
        .offset:         88
        .size:           8
        .value_kind:     global_buffer
      - .offset:         96
        .size:           4
        .value_kind:     by_value
      - .offset:         104
        .size:           8
        .value_kind:     by_value
      - .offset:         112
        .size:           4
        .value_kind:     by_value
    .group_segment_fixed_size: 8192
    .kernarg_segment_align: 8
    .kernarg_segment_size: 116
    .language:       OpenCL C
    .language_version:
      - 2
      - 0
    .max_flat_workgroup_size: 256
    .name:           _ZL34rocblas_syrkx_herkx_general_kernelIi19rocblas_complex_numIdELi16ELi32ELi8ELb0ELb1ELc78ELc85EKPKS1_KPS1_EviT_T0_PT8_S7_lSA_S7_lS8_PT9_S7_li
    .private_segment_fixed_size: 0
    .sgpr_count:     32
    .sgpr_spill_count: 0
    .symbol:         _ZL34rocblas_syrkx_herkx_general_kernelIi19rocblas_complex_numIdELi16ELi32ELi8ELb0ELb1ELc78ELc85EKPKS1_KPS1_EviT_T0_PT8_S7_lSA_S7_lS8_PT9_S7_li.kd
    .uniform_work_group_size: 1
    .uses_dynamic_stack: false
    .vgpr_count:     119
    .vgpr_spill_count: 0
    .wavefront_size: 32
    .workgroup_processor_mode: 1
  - .args:
      - .offset:         0
        .size:           1
        .value_kind:     by_value
      - .offset:         4
        .size:           4
        .value_kind:     by_value
      - .offset:         8
        .size:           4
        .value_kind:     by_value
      - .offset:         16
        .size:           16
        .value_kind:     by_value
      - .offset:         32
        .size:           16
        .value_kind:     by_value
      - .address_space:  global
        .offset:         48
        .size:           8
        .value_kind:     global_buffer
      - .offset:         56
        .size:           4
        .value_kind:     by_value
      - .offset:         64
        .size:           8
        .value_kind:     by_value
      - .offset:         72
        .size:           4
        .value_kind:     by_value
      - .offset:         80
        .size:           4
        .value_kind:     hidden_block_count_x
      - .offset:         84
        .size:           4
        .value_kind:     hidden_block_count_y
      - .offset:         88
        .size:           4
        .value_kind:     hidden_block_count_z
      - .offset:         92
        .size:           2
        .value_kind:     hidden_group_size_x
      - .offset:         94
        .size:           2
        .value_kind:     hidden_group_size_y
      - .offset:         96
        .size:           2
        .value_kind:     hidden_group_size_z
      - .offset:         98
        .size:           2
        .value_kind:     hidden_remainder_x
      - .offset:         100
        .size:           2
        .value_kind:     hidden_remainder_y
      - .offset:         102
        .size:           2
        .value_kind:     hidden_remainder_z
      - .offset:         120
        .size:           8
        .value_kind:     hidden_global_offset_x
      - .offset:         128
        .size:           8
        .value_kind:     hidden_global_offset_y
      - .offset:         136
        .size:           8
        .value_kind:     hidden_global_offset_z
      - .offset:         144
        .size:           2
        .value_kind:     hidden_grid_dims
    .group_segment_fixed_size: 0
    .kernarg_segment_align: 8
    .kernarg_segment_size: 336
    .language:       OpenCL C
    .language_version:
      - 2
      - 0
    .max_flat_workgroup_size: 1024
    .name:           _ZL26rocblas_syr2k_scale_kernelIiLi128ELi8ELb1E19rocblas_complex_numIdES1_PKPS1_EvbiT_T3_T4_T5_S5_li
    .private_segment_fixed_size: 0
    .sgpr_count:     24
    .sgpr_spill_count: 0
    .symbol:         _ZL26rocblas_syr2k_scale_kernelIiLi128ELi8ELb1E19rocblas_complex_numIdES1_PKPS1_EvbiT_T3_T4_T5_S5_li.kd
    .uniform_work_group_size: 1
    .uses_dynamic_stack: false
    .vgpr_count:     11
    .vgpr_spill_count: 0
    .wavefront_size: 32
    .workgroup_processor_mode: 1
  - .args:
      - .offset:         0
        .size:           1
        .value_kind:     by_value
      - .offset:         4
        .size:           4
        .value_kind:     by_value
      - .offset:         8
        .size:           4
        .value_kind:     by_value
      - .address_space:  global
        .offset:         16
        .size:           8
        .value_kind:     global_buffer
      - .address_space:  global
        .offset:         24
        .size:           8
        .value_kind:     global_buffer
      - .offset:         32
        .size:           4
        .value_kind:     by_value
      - .offset:         40
        .size:           8
        .value_kind:     by_value
      - .address_space:  global
        .offset:         48
        .size:           8
        .value_kind:     global_buffer
      - .offset:         56
        .size:           4
        .value_kind:     by_value
      - .offset:         64
        .size:           8
        .value_kind:     by_value
      - .address_space:  global
        .offset:         72
        .size:           8
        .value_kind:     global_buffer
      - .offset:         80
        .size:           4
        .value_kind:     by_value
      - .offset:         88
        .size:           8
        .value_kind:     by_value
      - .offset:         96
        .size:           4
        .value_kind:     by_value
    .group_segment_fixed_size: 32768
    .kernarg_segment_align: 8
    .kernarg_segment_size: 100
    .language:       OpenCL C
    .language_version:
      - 2
      - 0
    .max_flat_workgroup_size: 1024
    .name:           _ZL26rocblas_syr2k_her2k_kernelIiLb0ELb1ELb0ELi32EPK19rocblas_complex_numIdEPKS3_PKPS1_EvbiT_T4_T5_S9_lSB_S9_lT6_S9_li
    .private_segment_fixed_size: 0
    .sgpr_count:     28
    .sgpr_spill_count: 0
    .symbol:         _ZL26rocblas_syr2k_her2k_kernelIiLb0ELb1ELb0ELi32EPK19rocblas_complex_numIdEPKS3_PKPS1_EvbiT_T4_T5_S9_lSB_S9_lT6_S9_li.kd
    .uniform_work_group_size: 1
    .uses_dynamic_stack: false
    .vgpr_count:     61
    .vgpr_spill_count: 0
    .wavefront_size: 32
    .workgroup_processor_mode: 1
  - .args:
      - .offset:         0
        .size:           1
        .value_kind:     by_value
      - .offset:         4
        .size:           4
        .value_kind:     by_value
      - .offset:         8
        .size:           4
        .value_kind:     by_value
      - .address_space:  global
        .offset:         16
        .size:           8
        .value_kind:     global_buffer
      - .address_space:  global
        .offset:         24
        .size:           8
        .value_kind:     global_buffer
      - .offset:         32
        .size:           4
        .value_kind:     by_value
      - .offset:         40
        .size:           8
        .value_kind:     by_value
      - .address_space:  global
        .offset:         48
        .size:           8
        .value_kind:     global_buffer
      - .offset:         56
        .size:           4
        .value_kind:     by_value
      - .offset:         64
        .size:           8
        .value_kind:     by_value
      - .address_space:  global
        .offset:         72
        .size:           8
        .value_kind:     global_buffer
      - .offset:         80
        .size:           4
        .value_kind:     by_value
      - .offset:         88
        .size:           8
        .value_kind:     by_value
      - .offset:         96
        .size:           4
        .value_kind:     by_value
    .group_segment_fixed_size: 32768
    .kernarg_segment_align: 8
    .kernarg_segment_size: 100
    .language:       OpenCL C
    .language_version:
      - 2
      - 0
    .max_flat_workgroup_size: 1024
    .name:           _ZL26rocblas_syr2k_her2k_kernelIiLb0ELb1ELb1ELi32EPK19rocblas_complex_numIdEPKS3_PKPS1_EvbiT_T4_T5_S9_lSB_S9_lT6_S9_li
    .private_segment_fixed_size: 0
    .sgpr_count:     29
    .sgpr_spill_count: 0
    .symbol:         _ZL26rocblas_syr2k_her2k_kernelIiLb0ELb1ELb1ELi32EPK19rocblas_complex_numIdEPKS3_PKPS1_EvbiT_T4_T5_S9_lSB_S9_lT6_S9_li.kd
    .uniform_work_group_size: 1
    .uses_dynamic_stack: false
    .vgpr_count:     61
    .vgpr_spill_count: 0
    .wavefront_size: 32
    .workgroup_processor_mode: 1
  - .args:
      - .offset:         0
        .size:           1
        .value_kind:     by_value
      - .offset:         4
        .size:           4
        .value_kind:     by_value
      - .offset:         8
        .size:           8
        .value_kind:     by_value
      - .offset:         16
        .size:           4
        .value_kind:     by_value
      - .address_space:  global
        .offset:         24
        .size:           8
        .value_kind:     global_buffer
      - .offset:         32
        .size:           8
        .value_kind:     by_value
      - .offset:         40
        .size:           8
        .value_kind:     by_value
      - .address_space:  global
        .offset:         48
        .size:           8
        .value_kind:     global_buffer
      - .offset:         56
        .size:           8
        .value_kind:     by_value
      - .offset:         64
        .size:           8
        .value_kind:     by_value
      - .address_space:  global
        .offset:         72
        .size:           8
        .value_kind:     global_buffer
      - .offset:         80
        .size:           8
        .value_kind:     by_value
      - .offset:         88
        .size:           8
        .value_kind:     by_value
      - .offset:         96
        .size:           4
        .value_kind:     by_value
    .group_segment_fixed_size: 8192
    .kernarg_segment_align: 8
    .kernarg_segment_size: 100
    .language:       OpenCL C
    .language_version:
      - 2
      - 0
    .max_flat_workgroup_size: 1024
    .name:           _ZL26rocblas_syr2k_her2k_kernelIlLb0ELb0ELb0ELi32EfPKfPfEvbiT_T4_T5_S3_lS5_S3_lT6_S3_li
    .private_segment_fixed_size: 0
    .sgpr_count:     34
    .sgpr_spill_count: 0
    .symbol:         _ZL26rocblas_syr2k_her2k_kernelIlLb0ELb0ELb0ELi32EfPKfPfEvbiT_T4_T5_S3_lS5_S3_lT6_S3_li.kd
    .uniform_work_group_size: 1
    .uses_dynamic_stack: false
    .vgpr_count:     31
    .vgpr_spill_count: 0
    .wavefront_size: 32
    .workgroup_processor_mode: 1
  - .args:
      - .offset:         0
        .size:           1
        .value_kind:     by_value
      - .offset:         4
        .size:           4
        .value_kind:     by_value
      - .offset:         8
        .size:           8
        .value_kind:     by_value
      - .offset:         16
        .size:           4
        .value_kind:     by_value
      - .address_space:  global
        .offset:         24
        .size:           8
        .value_kind:     global_buffer
      - .offset:         32
        .size:           8
        .value_kind:     by_value
      - .offset:         40
        .size:           8
        .value_kind:     by_value
      - .address_space:  global
        .offset:         48
        .size:           8
        .value_kind:     global_buffer
      - .offset:         56
        .size:           8
        .value_kind:     by_value
      - .offset:         64
        .size:           8
        .value_kind:     by_value
      - .address_space:  global
        .offset:         72
        .size:           8
        .value_kind:     global_buffer
      - .offset:         80
        .size:           8
        .value_kind:     by_value
      - .offset:         88
        .size:           8
        .value_kind:     by_value
      - .offset:         96
        .size:           4
        .value_kind:     by_value
    .group_segment_fixed_size: 8192
    .kernarg_segment_align: 8
    .kernarg_segment_size: 100
    .language:       OpenCL C
    .language_version:
      - 2
      - 0
    .max_flat_workgroup_size: 1024
    .name:           _ZL26rocblas_syr2k_her2k_kernelIlLb0ELb0ELb1ELi32EfPKfPfEvbiT_T4_T5_S3_lS5_S3_lT6_S3_li
    .private_segment_fixed_size: 0
    .sgpr_count:     34
    .sgpr_spill_count: 0
    .symbol:         _ZL26rocblas_syr2k_her2k_kernelIlLb0ELb0ELb1ELi32EfPKfPfEvbiT_T4_T5_S3_lS5_S3_lT6_S3_li.kd
    .uniform_work_group_size: 1
    .uses_dynamic_stack: false
    .vgpr_count:     31
    .vgpr_spill_count: 0
    .wavefront_size: 32
    .workgroup_processor_mode: 1
  - .args:
      - .offset:         0
        .size:           4
        .value_kind:     by_value
      - .offset:         8
        .size:           8
        .value_kind:     by_value
      - .address_space:  global
        .offset:         16
        .size:           8
        .value_kind:     global_buffer
      - .offset:         24
        .size:           8
        .value_kind:     by_value
      - .offset:         32
        .size:           8
        .value_kind:     by_value
      - .address_space:  global
        .offset:         40
        .size:           8
        .value_kind:     global_buffer
      - .offset:         48
        .size:           8
        .value_kind:     by_value
      - .offset:         56
        .size:           8
        .value_kind:     by_value
      - .address_space:  global
        .offset:         64
        .size:           8
        .value_kind:     global_buffer
      - .offset:         72
        .size:           8
        .value_kind:     by_value
      - .offset:         80
        .size:           8
        .value_kind:     by_value
      - .offset:         88
        .size:           4
        .value_kind:     by_value
    .group_segment_fixed_size: 2048
    .kernarg_segment_align: 8
    .kernarg_segment_size: 92
    .language:       OpenCL C
    .language_version:
      - 2
      - 0
    .max_flat_workgroup_size: 256
    .name:           _ZL37rocblas_syrkx_herkx_restricted_kernelIlfLi16ELi32ELi8ELi1ELi1ELb0ELc84ELc76EKffEviT_PT9_S1_lS3_S1_lPT10_S1_li
    .private_segment_fixed_size: 0
    .sgpr_count:     34
    .sgpr_spill_count: 0
    .symbol:         _ZL37rocblas_syrkx_herkx_restricted_kernelIlfLi16ELi32ELi8ELi1ELi1ELb0ELc84ELc76EKffEviT_PT9_S1_lS3_S1_lPT10_S1_li.kd
    .uniform_work_group_size: 1
    .uses_dynamic_stack: false
    .vgpr_count:     46
    .vgpr_spill_count: 0
    .wavefront_size: 32
    .workgroup_processor_mode: 1
  - .args:
      - .offset:         0
        .size:           4
        .value_kind:     by_value
      - .offset:         8
        .size:           8
        .value_kind:     by_value
      - .address_space:  global
        .offset:         16
        .size:           8
        .value_kind:     global_buffer
      - .offset:         24
        .size:           8
        .value_kind:     by_value
      - .offset:         32
        .size:           8
        .value_kind:     by_value
      - .address_space:  global
        .offset:         40
        .size:           8
        .value_kind:     global_buffer
      - .offset:         48
        .size:           8
        .value_kind:     by_value
      - .offset:         56
        .size:           8
        .value_kind:     by_value
      - .address_space:  global
        .offset:         64
        .size:           8
        .value_kind:     global_buffer
      - .offset:         72
        .size:           8
        .value_kind:     by_value
      - .offset:         80
        .size:           8
        .value_kind:     by_value
      - .offset:         88
        .size:           4
        .value_kind:     by_value
    .group_segment_fixed_size: 2048
    .kernarg_segment_align: 8
    .kernarg_segment_size: 92
    .language:       OpenCL C
    .language_version:
      - 2
      - 0
    .max_flat_workgroup_size: 256
    .name:           _ZL37rocblas_syrkx_herkx_restricted_kernelIlfLi16ELi32ELi8ELi1ELi1ELb0ELc67ELc76EKffEviT_PT9_S1_lS3_S1_lPT10_S1_li
    .private_segment_fixed_size: 0
    .sgpr_count:     34
    .sgpr_spill_count: 0
    .symbol:         _ZL37rocblas_syrkx_herkx_restricted_kernelIlfLi16ELi32ELi8ELi1ELi1ELb0ELc67ELc76EKffEviT_PT9_S1_lS3_S1_lPT10_S1_li.kd
    .uniform_work_group_size: 1
    .uses_dynamic_stack: false
    .vgpr_count:     46
    .vgpr_spill_count: 0
    .wavefront_size: 32
    .workgroup_processor_mode: 1
  - .args:
      - .offset:         0
        .size:           4
        .value_kind:     by_value
      - .offset:         8
        .size:           8
        .value_kind:     by_value
      - .address_space:  global
        .offset:         16
        .size:           8
        .value_kind:     global_buffer
      - .offset:         24
        .size:           8
        .value_kind:     by_value
      - .offset:         32
        .size:           8
        .value_kind:     by_value
      - .address_space:  global
        .offset:         40
        .size:           8
        .value_kind:     global_buffer
      - .offset:         48
        .size:           8
        .value_kind:     by_value
      - .offset:         56
        .size:           8
        .value_kind:     by_value
      - .address_space:  global
        .offset:         64
        .size:           8
        .value_kind:     global_buffer
      - .offset:         72
        .size:           8
        .value_kind:     by_value
      - .offset:         80
        .size:           8
        .value_kind:     by_value
      - .offset:         88
        .size:           4
        .value_kind:     by_value
    .group_segment_fixed_size: 2048
    .kernarg_segment_align: 8
    .kernarg_segment_size: 92
    .language:       OpenCL C
    .language_version:
      - 2
      - 0
    .max_flat_workgroup_size: 256
    .name:           _ZL37rocblas_syrkx_herkx_restricted_kernelIlfLi16ELi32ELi8ELi1ELi1ELb0ELc78ELc76EKffEviT_PT9_S1_lS3_S1_lPT10_S1_li
    .private_segment_fixed_size: 0
    .sgpr_count:     34
    .sgpr_spill_count: 0
    .symbol:         _ZL37rocblas_syrkx_herkx_restricted_kernelIlfLi16ELi32ELi8ELi1ELi1ELb0ELc78ELc76EKffEviT_PT9_S1_lS3_S1_lPT10_S1_li.kd
    .uniform_work_group_size: 1
    .uses_dynamic_stack: false
    .vgpr_count:     46
    .vgpr_spill_count: 0
    .wavefront_size: 32
    .workgroup_processor_mode: 1
  - .args:
      - .offset:         0
        .size:           4
        .value_kind:     by_value
      - .offset:         8
        .size:           8
        .value_kind:     by_value
      - .address_space:  global
        .offset:         16
        .size:           8
        .value_kind:     global_buffer
      - .offset:         24
        .size:           8
        .value_kind:     by_value
      - .offset:         32
        .size:           8
        .value_kind:     by_value
      - .address_space:  global
        .offset:         40
        .size:           8
        .value_kind:     global_buffer
      - .offset:         48
        .size:           8
        .value_kind:     by_value
      - .offset:         56
        .size:           8
        .value_kind:     by_value
      - .address_space:  global
        .offset:         64
        .size:           8
        .value_kind:     global_buffer
      - .offset:         72
        .size:           8
        .value_kind:     by_value
      - .offset:         80
        .size:           8
        .value_kind:     by_value
      - .offset:         88
        .size:           4
        .value_kind:     by_value
    .group_segment_fixed_size: 2048
    .kernarg_segment_align: 8
    .kernarg_segment_size: 92
    .language:       OpenCL C
    .language_version:
      - 2
      - 0
    .max_flat_workgroup_size: 256
    .name:           _ZL37rocblas_syrkx_herkx_restricted_kernelIlfLi16ELi32ELi8ELi1ELi1ELb0ELc84ELc85EKffEviT_PT9_S1_lS3_S1_lPT10_S1_li
    .private_segment_fixed_size: 0
    .sgpr_count:     34
    .sgpr_spill_count: 0
    .symbol:         _ZL37rocblas_syrkx_herkx_restricted_kernelIlfLi16ELi32ELi8ELi1ELi1ELb0ELc84ELc85EKffEviT_PT9_S1_lS3_S1_lPT10_S1_li.kd
    .uniform_work_group_size: 1
    .uses_dynamic_stack: false
    .vgpr_count:     46
    .vgpr_spill_count: 0
    .wavefront_size: 32
    .workgroup_processor_mode: 1
  - .args:
      - .offset:         0
        .size:           4
        .value_kind:     by_value
      - .offset:         8
        .size:           8
        .value_kind:     by_value
      - .address_space:  global
        .offset:         16
        .size:           8
        .value_kind:     global_buffer
      - .offset:         24
        .size:           8
        .value_kind:     by_value
      - .offset:         32
        .size:           8
        .value_kind:     by_value
      - .address_space:  global
        .offset:         40
        .size:           8
        .value_kind:     global_buffer
      - .offset:         48
        .size:           8
        .value_kind:     by_value
      - .offset:         56
        .size:           8
        .value_kind:     by_value
      - .address_space:  global
        .offset:         64
        .size:           8
        .value_kind:     global_buffer
      - .offset:         72
        .size:           8
        .value_kind:     by_value
      - .offset:         80
        .size:           8
        .value_kind:     by_value
      - .offset:         88
        .size:           4
        .value_kind:     by_value
    .group_segment_fixed_size: 2048
    .kernarg_segment_align: 8
    .kernarg_segment_size: 92
    .language:       OpenCL C
    .language_version:
      - 2
      - 0
    .max_flat_workgroup_size: 256
    .name:           _ZL37rocblas_syrkx_herkx_restricted_kernelIlfLi16ELi32ELi8ELi1ELi1ELb0ELc67ELc85EKffEviT_PT9_S1_lS3_S1_lPT10_S1_li
    .private_segment_fixed_size: 0
    .sgpr_count:     34
    .sgpr_spill_count: 0
    .symbol:         _ZL37rocblas_syrkx_herkx_restricted_kernelIlfLi16ELi32ELi8ELi1ELi1ELb0ELc67ELc85EKffEviT_PT9_S1_lS3_S1_lPT10_S1_li.kd
    .uniform_work_group_size: 1
    .uses_dynamic_stack: false
    .vgpr_count:     46
    .vgpr_spill_count: 0
    .wavefront_size: 32
    .workgroup_processor_mode: 1
  - .args:
      - .offset:         0
        .size:           4
        .value_kind:     by_value
      - .offset:         8
        .size:           8
        .value_kind:     by_value
      - .address_space:  global
        .offset:         16
        .size:           8
        .value_kind:     global_buffer
      - .offset:         24
        .size:           8
        .value_kind:     by_value
      - .offset:         32
        .size:           8
        .value_kind:     by_value
      - .address_space:  global
        .offset:         40
        .size:           8
        .value_kind:     global_buffer
      - .offset:         48
        .size:           8
        .value_kind:     by_value
      - .offset:         56
        .size:           8
        .value_kind:     by_value
      - .address_space:  global
        .offset:         64
        .size:           8
        .value_kind:     global_buffer
      - .offset:         72
        .size:           8
        .value_kind:     by_value
      - .offset:         80
        .size:           8
        .value_kind:     by_value
      - .offset:         88
        .size:           4
        .value_kind:     by_value
    .group_segment_fixed_size: 2048
    .kernarg_segment_align: 8
    .kernarg_segment_size: 92
    .language:       OpenCL C
    .language_version:
      - 2
      - 0
    .max_flat_workgroup_size: 256
    .name:           _ZL37rocblas_syrkx_herkx_restricted_kernelIlfLi16ELi32ELi8ELi1ELi1ELb0ELc78ELc85EKffEviT_PT9_S1_lS3_S1_lPT10_S1_li
    .private_segment_fixed_size: 0
    .sgpr_count:     34
    .sgpr_spill_count: 0
    .symbol:         _ZL37rocblas_syrkx_herkx_restricted_kernelIlfLi16ELi32ELi8ELi1ELi1ELb0ELc78ELc85EKffEviT_PT9_S1_lS3_S1_lPT10_S1_li.kd
    .uniform_work_group_size: 1
    .uses_dynamic_stack: false
    .vgpr_count:     46
    .vgpr_spill_count: 0
    .wavefront_size: 32
    .workgroup_processor_mode: 1
  - .args:
      - .offset:         0
        .size:           4
        .value_kind:     by_value
      - .offset:         8
        .size:           8
        .value_kind:     by_value
      - .address_space:  global
        .offset:         16
        .size:           8
        .value_kind:     global_buffer
      - .offset:         24
        .size:           8
        .value_kind:     by_value
      - .offset:         32
        .size:           8
        .value_kind:     by_value
      - .address_space:  global
        .offset:         40
        .size:           8
        .value_kind:     global_buffer
      - .offset:         48
        .size:           8
        .value_kind:     by_value
      - .offset:         56
        .size:           8
        .value_kind:     by_value
      - .address_space:  global
        .offset:         64
        .size:           8
        .value_kind:     global_buffer
      - .offset:         72
        .size:           8
        .value_kind:     by_value
      - .offset:         80
        .size:           8
        .value_kind:     by_value
      - .offset:         88
        .size:           4
        .value_kind:     by_value
    .group_segment_fixed_size: 2048
    .kernarg_segment_align: 8
    .kernarg_segment_size: 92
    .language:       OpenCL C
    .language_version:
      - 2
      - 0
    .max_flat_workgroup_size: 256
    .name:           _ZL37rocblas_syrkx_herkx_restricted_kernelIlfLi16ELi32ELi8ELi1ELin1ELb0ELc84ELc76EKffEviT_PT9_S1_lS3_S1_lPT10_S1_li
    .private_segment_fixed_size: 0
    .sgpr_count:     34
    .sgpr_spill_count: 0
    .symbol:         _ZL37rocblas_syrkx_herkx_restricted_kernelIlfLi16ELi32ELi8ELi1ELin1ELb0ELc84ELc76EKffEviT_PT9_S1_lS3_S1_lPT10_S1_li.kd
    .uniform_work_group_size: 1
    .uses_dynamic_stack: false
    .vgpr_count:     46
    .vgpr_spill_count: 0
    .wavefront_size: 32
    .workgroup_processor_mode: 1
  - .args:
      - .offset:         0
        .size:           4
        .value_kind:     by_value
      - .offset:         8
        .size:           8
        .value_kind:     by_value
      - .address_space:  global
        .offset:         16
        .size:           8
        .value_kind:     global_buffer
      - .offset:         24
        .size:           8
        .value_kind:     by_value
      - .offset:         32
        .size:           8
        .value_kind:     by_value
      - .address_space:  global
        .offset:         40
        .size:           8
        .value_kind:     global_buffer
      - .offset:         48
        .size:           8
        .value_kind:     by_value
      - .offset:         56
        .size:           8
        .value_kind:     by_value
      - .address_space:  global
        .offset:         64
        .size:           8
        .value_kind:     global_buffer
      - .offset:         72
        .size:           8
        .value_kind:     by_value
      - .offset:         80
        .size:           8
        .value_kind:     by_value
      - .offset:         88
        .size:           4
        .value_kind:     by_value
    .group_segment_fixed_size: 2048
    .kernarg_segment_align: 8
    .kernarg_segment_size: 92
    .language:       OpenCL C
    .language_version:
      - 2
      - 0
    .max_flat_workgroup_size: 256
    .name:           _ZL37rocblas_syrkx_herkx_restricted_kernelIlfLi16ELi32ELi8ELi1ELin1ELb0ELc67ELc76EKffEviT_PT9_S1_lS3_S1_lPT10_S1_li
    .private_segment_fixed_size: 0
    .sgpr_count:     34
    .sgpr_spill_count: 0
    .symbol:         _ZL37rocblas_syrkx_herkx_restricted_kernelIlfLi16ELi32ELi8ELi1ELin1ELb0ELc67ELc76EKffEviT_PT9_S1_lS3_S1_lPT10_S1_li.kd
    .uniform_work_group_size: 1
    .uses_dynamic_stack: false
    .vgpr_count:     46
    .vgpr_spill_count: 0
    .wavefront_size: 32
    .workgroup_processor_mode: 1
  - .args:
      - .offset:         0
        .size:           4
        .value_kind:     by_value
      - .offset:         8
        .size:           8
        .value_kind:     by_value
      - .address_space:  global
        .offset:         16
        .size:           8
        .value_kind:     global_buffer
      - .offset:         24
        .size:           8
        .value_kind:     by_value
      - .offset:         32
        .size:           8
        .value_kind:     by_value
      - .address_space:  global
        .offset:         40
        .size:           8
        .value_kind:     global_buffer
      - .offset:         48
        .size:           8
        .value_kind:     by_value
      - .offset:         56
        .size:           8
        .value_kind:     by_value
      - .address_space:  global
        .offset:         64
        .size:           8
        .value_kind:     global_buffer
      - .offset:         72
        .size:           8
        .value_kind:     by_value
      - .offset:         80
        .size:           8
        .value_kind:     by_value
      - .offset:         88
        .size:           4
        .value_kind:     by_value
    .group_segment_fixed_size: 2048
    .kernarg_segment_align: 8
    .kernarg_segment_size: 92
    .language:       OpenCL C
    .language_version:
      - 2
      - 0
    .max_flat_workgroup_size: 256
    .name:           _ZL37rocblas_syrkx_herkx_restricted_kernelIlfLi16ELi32ELi8ELi1ELin1ELb0ELc78ELc76EKffEviT_PT9_S1_lS3_S1_lPT10_S1_li
    .private_segment_fixed_size: 0
    .sgpr_count:     34
    .sgpr_spill_count: 0
    .symbol:         _ZL37rocblas_syrkx_herkx_restricted_kernelIlfLi16ELi32ELi8ELi1ELin1ELb0ELc78ELc76EKffEviT_PT9_S1_lS3_S1_lPT10_S1_li.kd
    .uniform_work_group_size: 1
    .uses_dynamic_stack: false
    .vgpr_count:     46
    .vgpr_spill_count: 0
    .wavefront_size: 32
    .workgroup_processor_mode: 1
  - .args:
      - .offset:         0
        .size:           4
        .value_kind:     by_value
      - .offset:         8
        .size:           8
        .value_kind:     by_value
      - .address_space:  global
        .offset:         16
        .size:           8
        .value_kind:     global_buffer
      - .offset:         24
        .size:           8
        .value_kind:     by_value
      - .offset:         32
        .size:           8
        .value_kind:     by_value
      - .address_space:  global
        .offset:         40
        .size:           8
        .value_kind:     global_buffer
      - .offset:         48
        .size:           8
        .value_kind:     by_value
      - .offset:         56
        .size:           8
        .value_kind:     by_value
      - .address_space:  global
        .offset:         64
        .size:           8
        .value_kind:     global_buffer
      - .offset:         72
        .size:           8
        .value_kind:     by_value
      - .offset:         80
        .size:           8
        .value_kind:     by_value
      - .offset:         88
        .size:           4
        .value_kind:     by_value
    .group_segment_fixed_size: 2048
    .kernarg_segment_align: 8
    .kernarg_segment_size: 92
    .language:       OpenCL C
    .language_version:
      - 2
      - 0
    .max_flat_workgroup_size: 256
    .name:           _ZL37rocblas_syrkx_herkx_restricted_kernelIlfLi16ELi32ELi8ELi1ELin1ELb0ELc84ELc85EKffEviT_PT9_S1_lS3_S1_lPT10_S1_li
    .private_segment_fixed_size: 0
    .sgpr_count:     34
    .sgpr_spill_count: 0
    .symbol:         _ZL37rocblas_syrkx_herkx_restricted_kernelIlfLi16ELi32ELi8ELi1ELin1ELb0ELc84ELc85EKffEviT_PT9_S1_lS3_S1_lPT10_S1_li.kd
    .uniform_work_group_size: 1
    .uses_dynamic_stack: false
    .vgpr_count:     46
    .vgpr_spill_count: 0
    .wavefront_size: 32
    .workgroup_processor_mode: 1
  - .args:
      - .offset:         0
        .size:           4
        .value_kind:     by_value
      - .offset:         8
        .size:           8
        .value_kind:     by_value
      - .address_space:  global
        .offset:         16
        .size:           8
        .value_kind:     global_buffer
      - .offset:         24
        .size:           8
        .value_kind:     by_value
      - .offset:         32
        .size:           8
        .value_kind:     by_value
      - .address_space:  global
        .offset:         40
        .size:           8
        .value_kind:     global_buffer
      - .offset:         48
        .size:           8
        .value_kind:     by_value
      - .offset:         56
        .size:           8
        .value_kind:     by_value
      - .address_space:  global
        .offset:         64
        .size:           8
        .value_kind:     global_buffer
      - .offset:         72
        .size:           8
        .value_kind:     by_value
      - .offset:         80
        .size:           8
        .value_kind:     by_value
      - .offset:         88
        .size:           4
        .value_kind:     by_value
    .group_segment_fixed_size: 2048
    .kernarg_segment_align: 8
    .kernarg_segment_size: 92
    .language:       OpenCL C
    .language_version:
      - 2
      - 0
    .max_flat_workgroup_size: 256
    .name:           _ZL37rocblas_syrkx_herkx_restricted_kernelIlfLi16ELi32ELi8ELi1ELin1ELb0ELc67ELc85EKffEviT_PT9_S1_lS3_S1_lPT10_S1_li
    .private_segment_fixed_size: 0
    .sgpr_count:     34
    .sgpr_spill_count: 0
    .symbol:         _ZL37rocblas_syrkx_herkx_restricted_kernelIlfLi16ELi32ELi8ELi1ELin1ELb0ELc67ELc85EKffEviT_PT9_S1_lS3_S1_lPT10_S1_li.kd
    .uniform_work_group_size: 1
    .uses_dynamic_stack: false
    .vgpr_count:     46
    .vgpr_spill_count: 0
    .wavefront_size: 32
    .workgroup_processor_mode: 1
  - .args:
      - .offset:         0
        .size:           4
        .value_kind:     by_value
      - .offset:         8
        .size:           8
        .value_kind:     by_value
      - .address_space:  global
        .offset:         16
        .size:           8
        .value_kind:     global_buffer
      - .offset:         24
        .size:           8
        .value_kind:     by_value
      - .offset:         32
        .size:           8
        .value_kind:     by_value
      - .address_space:  global
        .offset:         40
        .size:           8
        .value_kind:     global_buffer
      - .offset:         48
        .size:           8
        .value_kind:     by_value
      - .offset:         56
        .size:           8
        .value_kind:     by_value
      - .address_space:  global
        .offset:         64
        .size:           8
        .value_kind:     global_buffer
      - .offset:         72
        .size:           8
        .value_kind:     by_value
      - .offset:         80
        .size:           8
        .value_kind:     by_value
      - .offset:         88
        .size:           4
        .value_kind:     by_value
    .group_segment_fixed_size: 2048
    .kernarg_segment_align: 8
    .kernarg_segment_size: 92
    .language:       OpenCL C
    .language_version:
      - 2
      - 0
    .max_flat_workgroup_size: 256
    .name:           _ZL37rocblas_syrkx_herkx_restricted_kernelIlfLi16ELi32ELi8ELi1ELin1ELb0ELc78ELc85EKffEviT_PT9_S1_lS3_S1_lPT10_S1_li
    .private_segment_fixed_size: 0
    .sgpr_count:     34
    .sgpr_spill_count: 0
    .symbol:         _ZL37rocblas_syrkx_herkx_restricted_kernelIlfLi16ELi32ELi8ELi1ELin1ELb0ELc78ELc85EKffEviT_PT9_S1_lS3_S1_lPT10_S1_li.kd
    .uniform_work_group_size: 1
    .uses_dynamic_stack: false
    .vgpr_count:     46
    .vgpr_spill_count: 0
    .wavefront_size: 32
    .workgroup_processor_mode: 1
  - .args:
      - .offset:         0
        .size:           4
        .value_kind:     by_value
      - .offset:         8
        .size:           8
        .value_kind:     by_value
      - .address_space:  global
        .offset:         16
        .size:           8
        .value_kind:     global_buffer
      - .offset:         24
        .size:           8
        .value_kind:     by_value
      - .offset:         32
        .size:           8
        .value_kind:     by_value
      - .address_space:  global
        .offset:         40
        .size:           8
        .value_kind:     global_buffer
      - .offset:         48
        .size:           8
        .value_kind:     by_value
      - .offset:         56
        .size:           8
        .value_kind:     by_value
      - .address_space:  global
        .offset:         64
        .size:           8
        .value_kind:     global_buffer
      - .offset:         72
        .size:           8
        .value_kind:     by_value
      - .offset:         80
        .size:           8
        .value_kind:     by_value
      - .offset:         88
        .size:           4
        .value_kind:     by_value
    .group_segment_fixed_size: 2048
    .kernarg_segment_align: 8
    .kernarg_segment_size: 92
    .language:       OpenCL C
    .language_version:
      - 2
      - 0
    .max_flat_workgroup_size: 256
    .name:           _ZL37rocblas_syrkx_herkx_restricted_kernelIlfLi16ELi32ELi8ELi1ELi0ELb0ELc84ELc76EKffEviT_PT9_S1_lS3_S1_lPT10_S1_li
    .private_segment_fixed_size: 0
    .sgpr_count:     34
    .sgpr_spill_count: 0
    .symbol:         _ZL37rocblas_syrkx_herkx_restricted_kernelIlfLi16ELi32ELi8ELi1ELi0ELb0ELc84ELc76EKffEviT_PT9_S1_lS3_S1_lPT10_S1_li.kd
    .uniform_work_group_size: 1
    .uses_dynamic_stack: false
    .vgpr_count:     46
    .vgpr_spill_count: 0
    .wavefront_size: 32
    .workgroup_processor_mode: 1
  - .args:
      - .offset:         0
        .size:           4
        .value_kind:     by_value
      - .offset:         8
        .size:           8
        .value_kind:     by_value
      - .address_space:  global
        .offset:         16
        .size:           8
        .value_kind:     global_buffer
      - .offset:         24
        .size:           8
        .value_kind:     by_value
      - .offset:         32
        .size:           8
        .value_kind:     by_value
      - .address_space:  global
        .offset:         40
        .size:           8
        .value_kind:     global_buffer
      - .offset:         48
        .size:           8
        .value_kind:     by_value
      - .offset:         56
        .size:           8
        .value_kind:     by_value
      - .address_space:  global
        .offset:         64
        .size:           8
        .value_kind:     global_buffer
      - .offset:         72
        .size:           8
        .value_kind:     by_value
      - .offset:         80
        .size:           8
        .value_kind:     by_value
      - .offset:         88
        .size:           4
        .value_kind:     by_value
    .group_segment_fixed_size: 2048
    .kernarg_segment_align: 8
    .kernarg_segment_size: 92
    .language:       OpenCL C
    .language_version:
      - 2
      - 0
    .max_flat_workgroup_size: 256
    .name:           _ZL37rocblas_syrkx_herkx_restricted_kernelIlfLi16ELi32ELi8ELi1ELi0ELb0ELc67ELc76EKffEviT_PT9_S1_lS3_S1_lPT10_S1_li
    .private_segment_fixed_size: 0
    .sgpr_count:     34
    .sgpr_spill_count: 0
    .symbol:         _ZL37rocblas_syrkx_herkx_restricted_kernelIlfLi16ELi32ELi8ELi1ELi0ELb0ELc67ELc76EKffEviT_PT9_S1_lS3_S1_lPT10_S1_li.kd
    .uniform_work_group_size: 1
    .uses_dynamic_stack: false
    .vgpr_count:     46
    .vgpr_spill_count: 0
    .wavefront_size: 32
    .workgroup_processor_mode: 1
  - .args:
      - .offset:         0
        .size:           4
        .value_kind:     by_value
      - .offset:         8
        .size:           8
        .value_kind:     by_value
      - .address_space:  global
        .offset:         16
        .size:           8
        .value_kind:     global_buffer
      - .offset:         24
        .size:           8
        .value_kind:     by_value
      - .offset:         32
        .size:           8
        .value_kind:     by_value
      - .address_space:  global
        .offset:         40
        .size:           8
        .value_kind:     global_buffer
      - .offset:         48
        .size:           8
        .value_kind:     by_value
      - .offset:         56
        .size:           8
        .value_kind:     by_value
      - .address_space:  global
        .offset:         64
        .size:           8
        .value_kind:     global_buffer
      - .offset:         72
        .size:           8
        .value_kind:     by_value
      - .offset:         80
        .size:           8
        .value_kind:     by_value
      - .offset:         88
        .size:           4
        .value_kind:     by_value
    .group_segment_fixed_size: 2048
    .kernarg_segment_align: 8
    .kernarg_segment_size: 92
    .language:       OpenCL C
    .language_version:
      - 2
      - 0
    .max_flat_workgroup_size: 256
    .name:           _ZL37rocblas_syrkx_herkx_restricted_kernelIlfLi16ELi32ELi8ELi1ELi0ELb0ELc78ELc76EKffEviT_PT9_S1_lS3_S1_lPT10_S1_li
    .private_segment_fixed_size: 0
    .sgpr_count:     34
    .sgpr_spill_count: 0
    .symbol:         _ZL37rocblas_syrkx_herkx_restricted_kernelIlfLi16ELi32ELi8ELi1ELi0ELb0ELc78ELc76EKffEviT_PT9_S1_lS3_S1_lPT10_S1_li.kd
    .uniform_work_group_size: 1
    .uses_dynamic_stack: false
    .vgpr_count:     46
    .vgpr_spill_count: 0
    .wavefront_size: 32
    .workgroup_processor_mode: 1
  - .args:
      - .offset:         0
        .size:           4
        .value_kind:     by_value
      - .offset:         8
        .size:           8
        .value_kind:     by_value
      - .address_space:  global
        .offset:         16
        .size:           8
        .value_kind:     global_buffer
      - .offset:         24
        .size:           8
        .value_kind:     by_value
      - .offset:         32
        .size:           8
        .value_kind:     by_value
      - .address_space:  global
        .offset:         40
        .size:           8
        .value_kind:     global_buffer
      - .offset:         48
        .size:           8
        .value_kind:     by_value
      - .offset:         56
        .size:           8
        .value_kind:     by_value
      - .address_space:  global
        .offset:         64
        .size:           8
        .value_kind:     global_buffer
      - .offset:         72
        .size:           8
        .value_kind:     by_value
      - .offset:         80
        .size:           8
        .value_kind:     by_value
      - .offset:         88
        .size:           4
        .value_kind:     by_value
    .group_segment_fixed_size: 2048
    .kernarg_segment_align: 8
    .kernarg_segment_size: 92
    .language:       OpenCL C
    .language_version:
      - 2
      - 0
    .max_flat_workgroup_size: 256
    .name:           _ZL37rocblas_syrkx_herkx_restricted_kernelIlfLi16ELi32ELi8ELi1ELi0ELb0ELc84ELc85EKffEviT_PT9_S1_lS3_S1_lPT10_S1_li
    .private_segment_fixed_size: 0
    .sgpr_count:     34
    .sgpr_spill_count: 0
    .symbol:         _ZL37rocblas_syrkx_herkx_restricted_kernelIlfLi16ELi32ELi8ELi1ELi0ELb0ELc84ELc85EKffEviT_PT9_S1_lS3_S1_lPT10_S1_li.kd
    .uniform_work_group_size: 1
    .uses_dynamic_stack: false
    .vgpr_count:     46
    .vgpr_spill_count: 0
    .wavefront_size: 32
    .workgroup_processor_mode: 1
  - .args:
      - .offset:         0
        .size:           4
        .value_kind:     by_value
      - .offset:         8
        .size:           8
        .value_kind:     by_value
      - .address_space:  global
        .offset:         16
        .size:           8
        .value_kind:     global_buffer
      - .offset:         24
        .size:           8
        .value_kind:     by_value
      - .offset:         32
        .size:           8
        .value_kind:     by_value
      - .address_space:  global
        .offset:         40
        .size:           8
        .value_kind:     global_buffer
      - .offset:         48
        .size:           8
        .value_kind:     by_value
      - .offset:         56
        .size:           8
        .value_kind:     by_value
      - .address_space:  global
        .offset:         64
        .size:           8
        .value_kind:     global_buffer
      - .offset:         72
        .size:           8
        .value_kind:     by_value
      - .offset:         80
        .size:           8
        .value_kind:     by_value
      - .offset:         88
        .size:           4
        .value_kind:     by_value
    .group_segment_fixed_size: 2048
    .kernarg_segment_align: 8
    .kernarg_segment_size: 92
    .language:       OpenCL C
    .language_version:
      - 2
      - 0
    .max_flat_workgroup_size: 256
    .name:           _ZL37rocblas_syrkx_herkx_restricted_kernelIlfLi16ELi32ELi8ELi1ELi0ELb0ELc67ELc85EKffEviT_PT9_S1_lS3_S1_lPT10_S1_li
    .private_segment_fixed_size: 0
    .sgpr_count:     34
    .sgpr_spill_count: 0
    .symbol:         _ZL37rocblas_syrkx_herkx_restricted_kernelIlfLi16ELi32ELi8ELi1ELi0ELb0ELc67ELc85EKffEviT_PT9_S1_lS3_S1_lPT10_S1_li.kd
    .uniform_work_group_size: 1
    .uses_dynamic_stack: false
    .vgpr_count:     46
    .vgpr_spill_count: 0
    .wavefront_size: 32
    .workgroup_processor_mode: 1
  - .args:
      - .offset:         0
        .size:           4
        .value_kind:     by_value
      - .offset:         8
        .size:           8
        .value_kind:     by_value
      - .address_space:  global
        .offset:         16
        .size:           8
        .value_kind:     global_buffer
      - .offset:         24
        .size:           8
        .value_kind:     by_value
      - .offset:         32
        .size:           8
        .value_kind:     by_value
      - .address_space:  global
        .offset:         40
        .size:           8
        .value_kind:     global_buffer
      - .offset:         48
        .size:           8
        .value_kind:     by_value
      - .offset:         56
        .size:           8
        .value_kind:     by_value
      - .address_space:  global
        .offset:         64
        .size:           8
        .value_kind:     global_buffer
      - .offset:         72
        .size:           8
        .value_kind:     by_value
      - .offset:         80
        .size:           8
        .value_kind:     by_value
      - .offset:         88
        .size:           4
        .value_kind:     by_value
    .group_segment_fixed_size: 2048
    .kernarg_segment_align: 8
    .kernarg_segment_size: 92
    .language:       OpenCL C
    .language_version:
      - 2
      - 0
    .max_flat_workgroup_size: 256
    .name:           _ZL37rocblas_syrkx_herkx_restricted_kernelIlfLi16ELi32ELi8ELi1ELi0ELb0ELc78ELc85EKffEviT_PT9_S1_lS3_S1_lPT10_S1_li
    .private_segment_fixed_size: 0
    .sgpr_count:     34
    .sgpr_spill_count: 0
    .symbol:         _ZL37rocblas_syrkx_herkx_restricted_kernelIlfLi16ELi32ELi8ELi1ELi0ELb0ELc78ELc85EKffEviT_PT9_S1_lS3_S1_lPT10_S1_li.kd
    .uniform_work_group_size: 1
    .uses_dynamic_stack: false
    .vgpr_count:     46
    .vgpr_spill_count: 0
    .wavefront_size: 32
    .workgroup_processor_mode: 1
  - .args:
      - .offset:         0
        .size:           4
        .value_kind:     by_value
      - .offset:         8
        .size:           8
        .value_kind:     by_value
      - .address_space:  global
        .offset:         16
        .size:           8
        .value_kind:     global_buffer
      - .offset:         24
        .size:           8
        .value_kind:     by_value
      - .offset:         32
        .size:           8
        .value_kind:     by_value
      - .address_space:  global
        .offset:         40
        .size:           8
        .value_kind:     global_buffer
      - .offset:         48
        .size:           8
        .value_kind:     by_value
      - .offset:         56
        .size:           8
        .value_kind:     by_value
      - .address_space:  global
        .offset:         64
        .size:           8
        .value_kind:     global_buffer
      - .offset:         72
        .size:           8
        .value_kind:     by_value
      - .offset:         80
        .size:           8
        .value_kind:     by_value
      - .offset:         88
        .size:           4
        .value_kind:     by_value
    .group_segment_fixed_size: 2048
    .kernarg_segment_align: 8
    .kernarg_segment_size: 92
    .language:       OpenCL C
    .language_version:
      - 2
      - 0
    .max_flat_workgroup_size: 256
    .name:           _ZL37rocblas_syrkx_herkx_restricted_kernelIlfLi16ELi32ELi8ELin1ELi0ELb0ELc84ELc76EKffEviT_PT9_S1_lS3_S1_lPT10_S1_li
    .private_segment_fixed_size: 0
    .sgpr_count:     34
    .sgpr_spill_count: 0
    .symbol:         _ZL37rocblas_syrkx_herkx_restricted_kernelIlfLi16ELi32ELi8ELin1ELi0ELb0ELc84ELc76EKffEviT_PT9_S1_lS3_S1_lPT10_S1_li.kd
    .uniform_work_group_size: 1
    .uses_dynamic_stack: false
    .vgpr_count:     46
    .vgpr_spill_count: 0
    .wavefront_size: 32
    .workgroup_processor_mode: 1
  - .args:
      - .offset:         0
        .size:           4
        .value_kind:     by_value
      - .offset:         8
        .size:           8
        .value_kind:     by_value
      - .address_space:  global
        .offset:         16
        .size:           8
        .value_kind:     global_buffer
      - .offset:         24
        .size:           8
        .value_kind:     by_value
      - .offset:         32
        .size:           8
        .value_kind:     by_value
      - .address_space:  global
        .offset:         40
        .size:           8
        .value_kind:     global_buffer
      - .offset:         48
        .size:           8
        .value_kind:     by_value
      - .offset:         56
        .size:           8
        .value_kind:     by_value
      - .address_space:  global
        .offset:         64
        .size:           8
        .value_kind:     global_buffer
      - .offset:         72
        .size:           8
        .value_kind:     by_value
      - .offset:         80
        .size:           8
        .value_kind:     by_value
      - .offset:         88
        .size:           4
        .value_kind:     by_value
    .group_segment_fixed_size: 2048
    .kernarg_segment_align: 8
    .kernarg_segment_size: 92
    .language:       OpenCL C
    .language_version:
      - 2
      - 0
    .max_flat_workgroup_size: 256
    .name:           _ZL37rocblas_syrkx_herkx_restricted_kernelIlfLi16ELi32ELi8ELin1ELi0ELb0ELc67ELc76EKffEviT_PT9_S1_lS3_S1_lPT10_S1_li
    .private_segment_fixed_size: 0
    .sgpr_count:     34
    .sgpr_spill_count: 0
    .symbol:         _ZL37rocblas_syrkx_herkx_restricted_kernelIlfLi16ELi32ELi8ELin1ELi0ELb0ELc67ELc76EKffEviT_PT9_S1_lS3_S1_lPT10_S1_li.kd
    .uniform_work_group_size: 1
    .uses_dynamic_stack: false
    .vgpr_count:     46
    .vgpr_spill_count: 0
    .wavefront_size: 32
    .workgroup_processor_mode: 1
  - .args:
      - .offset:         0
        .size:           4
        .value_kind:     by_value
      - .offset:         8
        .size:           8
        .value_kind:     by_value
      - .address_space:  global
        .offset:         16
        .size:           8
        .value_kind:     global_buffer
      - .offset:         24
        .size:           8
        .value_kind:     by_value
      - .offset:         32
        .size:           8
        .value_kind:     by_value
      - .address_space:  global
        .offset:         40
        .size:           8
        .value_kind:     global_buffer
      - .offset:         48
        .size:           8
        .value_kind:     by_value
      - .offset:         56
        .size:           8
        .value_kind:     by_value
      - .address_space:  global
        .offset:         64
        .size:           8
        .value_kind:     global_buffer
      - .offset:         72
        .size:           8
        .value_kind:     by_value
      - .offset:         80
        .size:           8
        .value_kind:     by_value
      - .offset:         88
        .size:           4
        .value_kind:     by_value
    .group_segment_fixed_size: 2048
    .kernarg_segment_align: 8
    .kernarg_segment_size: 92
    .language:       OpenCL C
    .language_version:
      - 2
      - 0
    .max_flat_workgroup_size: 256
    .name:           _ZL37rocblas_syrkx_herkx_restricted_kernelIlfLi16ELi32ELi8ELin1ELi0ELb0ELc78ELc76EKffEviT_PT9_S1_lS3_S1_lPT10_S1_li
    .private_segment_fixed_size: 0
    .sgpr_count:     34
    .sgpr_spill_count: 0
    .symbol:         _ZL37rocblas_syrkx_herkx_restricted_kernelIlfLi16ELi32ELi8ELin1ELi0ELb0ELc78ELc76EKffEviT_PT9_S1_lS3_S1_lPT10_S1_li.kd
    .uniform_work_group_size: 1
    .uses_dynamic_stack: false
    .vgpr_count:     46
    .vgpr_spill_count: 0
    .wavefront_size: 32
    .workgroup_processor_mode: 1
  - .args:
      - .offset:         0
        .size:           4
        .value_kind:     by_value
      - .offset:         8
        .size:           8
        .value_kind:     by_value
      - .address_space:  global
        .offset:         16
        .size:           8
        .value_kind:     global_buffer
      - .offset:         24
        .size:           8
        .value_kind:     by_value
      - .offset:         32
        .size:           8
        .value_kind:     by_value
      - .address_space:  global
        .offset:         40
        .size:           8
        .value_kind:     global_buffer
      - .offset:         48
        .size:           8
        .value_kind:     by_value
      - .offset:         56
        .size:           8
        .value_kind:     by_value
      - .address_space:  global
        .offset:         64
        .size:           8
        .value_kind:     global_buffer
      - .offset:         72
        .size:           8
        .value_kind:     by_value
      - .offset:         80
        .size:           8
        .value_kind:     by_value
      - .offset:         88
        .size:           4
        .value_kind:     by_value
    .group_segment_fixed_size: 2048
    .kernarg_segment_align: 8
    .kernarg_segment_size: 92
    .language:       OpenCL C
    .language_version:
      - 2
      - 0
    .max_flat_workgroup_size: 256
    .name:           _ZL37rocblas_syrkx_herkx_restricted_kernelIlfLi16ELi32ELi8ELin1ELi0ELb0ELc84ELc85EKffEviT_PT9_S1_lS3_S1_lPT10_S1_li
    .private_segment_fixed_size: 0
    .sgpr_count:     34
    .sgpr_spill_count: 0
    .symbol:         _ZL37rocblas_syrkx_herkx_restricted_kernelIlfLi16ELi32ELi8ELin1ELi0ELb0ELc84ELc85EKffEviT_PT9_S1_lS3_S1_lPT10_S1_li.kd
    .uniform_work_group_size: 1
    .uses_dynamic_stack: false
    .vgpr_count:     46
    .vgpr_spill_count: 0
    .wavefront_size: 32
    .workgroup_processor_mode: 1
  - .args:
      - .offset:         0
        .size:           4
        .value_kind:     by_value
      - .offset:         8
        .size:           8
        .value_kind:     by_value
      - .address_space:  global
        .offset:         16
        .size:           8
        .value_kind:     global_buffer
      - .offset:         24
        .size:           8
        .value_kind:     by_value
      - .offset:         32
        .size:           8
        .value_kind:     by_value
      - .address_space:  global
        .offset:         40
        .size:           8
        .value_kind:     global_buffer
      - .offset:         48
        .size:           8
        .value_kind:     by_value
      - .offset:         56
        .size:           8
        .value_kind:     by_value
      - .address_space:  global
        .offset:         64
        .size:           8
        .value_kind:     global_buffer
      - .offset:         72
        .size:           8
        .value_kind:     by_value
      - .offset:         80
        .size:           8
        .value_kind:     by_value
      - .offset:         88
        .size:           4
        .value_kind:     by_value
    .group_segment_fixed_size: 2048
    .kernarg_segment_align: 8
    .kernarg_segment_size: 92
    .language:       OpenCL C
    .language_version:
      - 2
      - 0
    .max_flat_workgroup_size: 256
    .name:           _ZL37rocblas_syrkx_herkx_restricted_kernelIlfLi16ELi32ELi8ELin1ELi0ELb0ELc67ELc85EKffEviT_PT9_S1_lS3_S1_lPT10_S1_li
    .private_segment_fixed_size: 0
    .sgpr_count:     34
    .sgpr_spill_count: 0
    .symbol:         _ZL37rocblas_syrkx_herkx_restricted_kernelIlfLi16ELi32ELi8ELin1ELi0ELb0ELc67ELc85EKffEviT_PT9_S1_lS3_S1_lPT10_S1_li.kd
    .uniform_work_group_size: 1
    .uses_dynamic_stack: false
    .vgpr_count:     46
    .vgpr_spill_count: 0
    .wavefront_size: 32
    .workgroup_processor_mode: 1
  - .args:
      - .offset:         0
        .size:           4
        .value_kind:     by_value
      - .offset:         8
        .size:           8
        .value_kind:     by_value
      - .address_space:  global
        .offset:         16
        .size:           8
        .value_kind:     global_buffer
      - .offset:         24
        .size:           8
        .value_kind:     by_value
      - .offset:         32
        .size:           8
        .value_kind:     by_value
      - .address_space:  global
        .offset:         40
        .size:           8
        .value_kind:     global_buffer
      - .offset:         48
        .size:           8
        .value_kind:     by_value
      - .offset:         56
        .size:           8
        .value_kind:     by_value
      - .address_space:  global
        .offset:         64
        .size:           8
        .value_kind:     global_buffer
      - .offset:         72
        .size:           8
        .value_kind:     by_value
      - .offset:         80
        .size:           8
        .value_kind:     by_value
      - .offset:         88
        .size:           4
        .value_kind:     by_value
    .group_segment_fixed_size: 2048
    .kernarg_segment_align: 8
    .kernarg_segment_size: 92
    .language:       OpenCL C
    .language_version:
      - 2
      - 0
    .max_flat_workgroup_size: 256
    .name:           _ZL37rocblas_syrkx_herkx_restricted_kernelIlfLi16ELi32ELi8ELin1ELi0ELb0ELc78ELc85EKffEviT_PT9_S1_lS3_S1_lPT10_S1_li
    .private_segment_fixed_size: 0
    .sgpr_count:     34
    .sgpr_spill_count: 0
    .symbol:         _ZL37rocblas_syrkx_herkx_restricted_kernelIlfLi16ELi32ELi8ELin1ELi0ELb0ELc78ELc85EKffEviT_PT9_S1_lS3_S1_lPT10_S1_li.kd
    .uniform_work_group_size: 1
    .uses_dynamic_stack: false
    .vgpr_count:     46
    .vgpr_spill_count: 0
    .wavefront_size: 32
    .workgroup_processor_mode: 1
  - .args:
      - .offset:         0
        .size:           4
        .value_kind:     by_value
      - .offset:         8
        .size:           8
        .value_kind:     by_value
      - .offset:         16
        .size:           4
        .value_kind:     by_value
      - .address_space:  global
        .offset:         24
        .size:           8
        .value_kind:     global_buffer
      - .offset:         32
        .size:           8
        .value_kind:     by_value
      - .offset:         40
        .size:           8
        .value_kind:     by_value
      - .address_space:  global
        .offset:         48
        .size:           8
        .value_kind:     global_buffer
      - .offset:         56
        .size:           8
        .value_kind:     by_value
      - .offset:         64
        .size:           8
        .value_kind:     by_value
      - .offset:         72
        .size:           4
        .value_kind:     by_value
      - .address_space:  global
        .offset:         80
        .size:           8
        .value_kind:     global_buffer
      - .offset:         88
        .size:           8
        .value_kind:     by_value
      - .offset:         96
        .size:           8
        .value_kind:     by_value
      - .offset:         104
        .size:           4
        .value_kind:     by_value
    .group_segment_fixed_size: 2048
    .kernarg_segment_align: 8
    .kernarg_segment_size: 108
    .language:       OpenCL C
    .language_version:
      - 2
      - 0
    .max_flat_workgroup_size: 256
    .name:           _ZL37rocblas_syrkx_herkx_restricted_kernelIlfLi16ELi32ELi8ELb1ELb0ELc84ELc76EKffEviT_T0_PT8_S1_lS4_S1_lS2_PT9_S1_li
    .private_segment_fixed_size: 0
    .sgpr_count:     22
    .sgpr_spill_count: 0
    .symbol:         _ZL37rocblas_syrkx_herkx_restricted_kernelIlfLi16ELi32ELi8ELb1ELb0ELc84ELc76EKffEviT_T0_PT8_S1_lS4_S1_lS2_PT9_S1_li.kd
    .uniform_work_group_size: 1
    .uses_dynamic_stack: false
    .vgpr_count:     46
    .vgpr_spill_count: 0
    .wavefront_size: 32
    .workgroup_processor_mode: 1
  - .args:
      - .offset:         0
        .size:           4
        .value_kind:     by_value
      - .offset:         8
        .size:           8
        .value_kind:     by_value
      - .offset:         16
        .size:           4
        .value_kind:     by_value
      - .address_space:  global
        .offset:         24
        .size:           8
        .value_kind:     global_buffer
      - .offset:         32
        .size:           8
        .value_kind:     by_value
      - .offset:         40
        .size:           8
        .value_kind:     by_value
      - .address_space:  global
        .offset:         48
        .size:           8
        .value_kind:     global_buffer
      - .offset:         56
        .size:           8
        .value_kind:     by_value
      - .offset:         64
        .size:           8
        .value_kind:     by_value
      - .offset:         72
        .size:           4
        .value_kind:     by_value
      - .address_space:  global
        .offset:         80
        .size:           8
        .value_kind:     global_buffer
      - .offset:         88
        .size:           8
        .value_kind:     by_value
      - .offset:         96
        .size:           8
        .value_kind:     by_value
      - .offset:         104
        .size:           4
        .value_kind:     by_value
    .group_segment_fixed_size: 2048
    .kernarg_segment_align: 8
    .kernarg_segment_size: 108
    .language:       OpenCL C
    .language_version:
      - 2
      - 0
    .max_flat_workgroup_size: 256
    .name:           _ZL37rocblas_syrkx_herkx_restricted_kernelIlfLi16ELi32ELi8ELb1ELb0ELc67ELc76EKffEviT_T0_PT8_S1_lS4_S1_lS2_PT9_S1_li
    .private_segment_fixed_size: 0
    .sgpr_count:     22
    .sgpr_spill_count: 0
    .symbol:         _ZL37rocblas_syrkx_herkx_restricted_kernelIlfLi16ELi32ELi8ELb1ELb0ELc67ELc76EKffEviT_T0_PT8_S1_lS4_S1_lS2_PT9_S1_li.kd
    .uniform_work_group_size: 1
    .uses_dynamic_stack: false
    .vgpr_count:     46
    .vgpr_spill_count: 0
    .wavefront_size: 32
    .workgroup_processor_mode: 1
  - .args:
      - .offset:         0
        .size:           4
        .value_kind:     by_value
      - .offset:         8
        .size:           8
        .value_kind:     by_value
      - .offset:         16
        .size:           4
        .value_kind:     by_value
      - .address_space:  global
        .offset:         24
        .size:           8
        .value_kind:     global_buffer
      - .offset:         32
        .size:           8
        .value_kind:     by_value
      - .offset:         40
        .size:           8
        .value_kind:     by_value
      - .address_space:  global
        .offset:         48
        .size:           8
        .value_kind:     global_buffer
      - .offset:         56
        .size:           8
        .value_kind:     by_value
      - .offset:         64
        .size:           8
        .value_kind:     by_value
      - .offset:         72
        .size:           4
        .value_kind:     by_value
      - .address_space:  global
        .offset:         80
        .size:           8
        .value_kind:     global_buffer
      - .offset:         88
        .size:           8
        .value_kind:     by_value
      - .offset:         96
        .size:           8
        .value_kind:     by_value
      - .offset:         104
        .size:           4
        .value_kind:     by_value
    .group_segment_fixed_size: 2048
    .kernarg_segment_align: 8
    .kernarg_segment_size: 108
    .language:       OpenCL C
    .language_version:
      - 2
      - 0
    .max_flat_workgroup_size: 256
    .name:           _ZL37rocblas_syrkx_herkx_restricted_kernelIlfLi16ELi32ELi8ELb1ELb0ELc78ELc76EKffEviT_T0_PT8_S1_lS4_S1_lS2_PT9_S1_li
    .private_segment_fixed_size: 0
    .sgpr_count:     22
    .sgpr_spill_count: 0
    .symbol:         _ZL37rocblas_syrkx_herkx_restricted_kernelIlfLi16ELi32ELi8ELb1ELb0ELc78ELc76EKffEviT_T0_PT8_S1_lS4_S1_lS2_PT9_S1_li.kd
    .uniform_work_group_size: 1
    .uses_dynamic_stack: false
    .vgpr_count:     46
    .vgpr_spill_count: 0
    .wavefront_size: 32
    .workgroup_processor_mode: 1
  - .args:
      - .offset:         0
        .size:           4
        .value_kind:     by_value
      - .offset:         8
        .size:           8
        .value_kind:     by_value
      - .offset:         16
        .size:           4
        .value_kind:     by_value
      - .address_space:  global
        .offset:         24
        .size:           8
        .value_kind:     global_buffer
      - .offset:         32
        .size:           8
        .value_kind:     by_value
      - .offset:         40
        .size:           8
        .value_kind:     by_value
      - .address_space:  global
        .offset:         48
        .size:           8
        .value_kind:     global_buffer
      - .offset:         56
        .size:           8
        .value_kind:     by_value
      - .offset:         64
        .size:           8
        .value_kind:     by_value
      - .offset:         72
        .size:           4
        .value_kind:     by_value
      - .address_space:  global
        .offset:         80
        .size:           8
        .value_kind:     global_buffer
      - .offset:         88
        .size:           8
        .value_kind:     by_value
      - .offset:         96
        .size:           8
        .value_kind:     by_value
      - .offset:         104
        .size:           4
        .value_kind:     by_value
    .group_segment_fixed_size: 2048
    .kernarg_segment_align: 8
    .kernarg_segment_size: 108
    .language:       OpenCL C
    .language_version:
      - 2
      - 0
    .max_flat_workgroup_size: 256
    .name:           _ZL37rocblas_syrkx_herkx_restricted_kernelIlfLi16ELi32ELi8ELb1ELb0ELc84ELc85EKffEviT_T0_PT8_S1_lS4_S1_lS2_PT9_S1_li
    .private_segment_fixed_size: 0
    .sgpr_count:     22
    .sgpr_spill_count: 0
    .symbol:         _ZL37rocblas_syrkx_herkx_restricted_kernelIlfLi16ELi32ELi8ELb1ELb0ELc84ELc85EKffEviT_T0_PT8_S1_lS4_S1_lS2_PT9_S1_li.kd
    .uniform_work_group_size: 1
    .uses_dynamic_stack: false
    .vgpr_count:     46
    .vgpr_spill_count: 0
    .wavefront_size: 32
    .workgroup_processor_mode: 1
  - .args:
      - .offset:         0
        .size:           4
        .value_kind:     by_value
      - .offset:         8
        .size:           8
        .value_kind:     by_value
      - .offset:         16
        .size:           4
        .value_kind:     by_value
      - .address_space:  global
        .offset:         24
        .size:           8
        .value_kind:     global_buffer
      - .offset:         32
        .size:           8
        .value_kind:     by_value
      - .offset:         40
        .size:           8
        .value_kind:     by_value
      - .address_space:  global
        .offset:         48
        .size:           8
        .value_kind:     global_buffer
      - .offset:         56
        .size:           8
        .value_kind:     by_value
      - .offset:         64
        .size:           8
        .value_kind:     by_value
      - .offset:         72
        .size:           4
        .value_kind:     by_value
      - .address_space:  global
        .offset:         80
        .size:           8
        .value_kind:     global_buffer
      - .offset:         88
        .size:           8
        .value_kind:     by_value
      - .offset:         96
        .size:           8
        .value_kind:     by_value
      - .offset:         104
        .size:           4
        .value_kind:     by_value
    .group_segment_fixed_size: 2048
    .kernarg_segment_align: 8
    .kernarg_segment_size: 108
    .language:       OpenCL C
    .language_version:
      - 2
      - 0
    .max_flat_workgroup_size: 256
    .name:           _ZL37rocblas_syrkx_herkx_restricted_kernelIlfLi16ELi32ELi8ELb1ELb0ELc67ELc85EKffEviT_T0_PT8_S1_lS4_S1_lS2_PT9_S1_li
    .private_segment_fixed_size: 0
    .sgpr_count:     22
    .sgpr_spill_count: 0
    .symbol:         _ZL37rocblas_syrkx_herkx_restricted_kernelIlfLi16ELi32ELi8ELb1ELb0ELc67ELc85EKffEviT_T0_PT8_S1_lS4_S1_lS2_PT9_S1_li.kd
    .uniform_work_group_size: 1
    .uses_dynamic_stack: false
    .vgpr_count:     46
    .vgpr_spill_count: 0
    .wavefront_size: 32
    .workgroup_processor_mode: 1
  - .args:
      - .offset:         0
        .size:           4
        .value_kind:     by_value
      - .offset:         8
        .size:           8
        .value_kind:     by_value
      - .offset:         16
        .size:           4
        .value_kind:     by_value
      - .address_space:  global
        .offset:         24
        .size:           8
        .value_kind:     global_buffer
      - .offset:         32
        .size:           8
        .value_kind:     by_value
      - .offset:         40
        .size:           8
        .value_kind:     by_value
      - .address_space:  global
        .offset:         48
        .size:           8
        .value_kind:     global_buffer
      - .offset:         56
        .size:           8
        .value_kind:     by_value
      - .offset:         64
        .size:           8
        .value_kind:     by_value
      - .offset:         72
        .size:           4
        .value_kind:     by_value
      - .address_space:  global
        .offset:         80
        .size:           8
        .value_kind:     global_buffer
      - .offset:         88
        .size:           8
        .value_kind:     by_value
      - .offset:         96
        .size:           8
        .value_kind:     by_value
      - .offset:         104
        .size:           4
        .value_kind:     by_value
    .group_segment_fixed_size: 2048
    .kernarg_segment_align: 8
    .kernarg_segment_size: 108
    .language:       OpenCL C
    .language_version:
      - 2
      - 0
    .max_flat_workgroup_size: 256
    .name:           _ZL37rocblas_syrkx_herkx_restricted_kernelIlfLi16ELi32ELi8ELb1ELb0ELc78ELc85EKffEviT_T0_PT8_S1_lS4_S1_lS2_PT9_S1_li
    .private_segment_fixed_size: 0
    .sgpr_count:     22
    .sgpr_spill_count: 0
    .symbol:         _ZL37rocblas_syrkx_herkx_restricted_kernelIlfLi16ELi32ELi8ELb1ELb0ELc78ELc85EKffEviT_T0_PT8_S1_lS4_S1_lS2_PT9_S1_li.kd
    .uniform_work_group_size: 1
    .uses_dynamic_stack: false
    .vgpr_count:     46
    .vgpr_spill_count: 0
    .wavefront_size: 32
    .workgroup_processor_mode: 1
  - .args:
      - .offset:         0
        .size:           4
        .value_kind:     by_value
      - .offset:         8
        .size:           8
        .value_kind:     by_value
      - .offset:         16
        .size:           4
        .value_kind:     by_value
      - .address_space:  global
        .offset:         24
        .size:           8
        .value_kind:     global_buffer
      - .offset:         32
        .size:           8
        .value_kind:     by_value
      - .offset:         40
        .size:           8
        .value_kind:     by_value
      - .address_space:  global
        .offset:         48
        .size:           8
        .value_kind:     global_buffer
      - .offset:         56
        .size:           8
        .value_kind:     by_value
      - .offset:         64
        .size:           8
        .value_kind:     by_value
      - .offset:         72
        .size:           4
        .value_kind:     by_value
      - .address_space:  global
        .offset:         80
        .size:           8
        .value_kind:     global_buffer
      - .offset:         88
        .size:           8
        .value_kind:     by_value
      - .offset:         96
        .size:           8
        .value_kind:     by_value
      - .offset:         104
        .size:           4
        .value_kind:     by_value
    .group_segment_fixed_size: 2048
    .kernarg_segment_align: 8
    .kernarg_segment_size: 108
    .language:       OpenCL C
    .language_version:
      - 2
      - 0
    .max_flat_workgroup_size: 256
    .name:           _ZL37rocblas_syrkx_herkx_restricted_kernelIlfLi16ELi32ELi8ELb0ELb0ELc84ELc76EKffEviT_T0_PT8_S1_lS4_S1_lS2_PT9_S1_li
    .private_segment_fixed_size: 0
    .sgpr_count:     22
    .sgpr_spill_count: 0
    .symbol:         _ZL37rocblas_syrkx_herkx_restricted_kernelIlfLi16ELi32ELi8ELb0ELb0ELc84ELc76EKffEviT_T0_PT8_S1_lS4_S1_lS2_PT9_S1_li.kd
    .uniform_work_group_size: 1
    .uses_dynamic_stack: false
    .vgpr_count:     46
    .vgpr_spill_count: 0
    .wavefront_size: 32
    .workgroup_processor_mode: 1
  - .args:
      - .offset:         0
        .size:           4
        .value_kind:     by_value
      - .offset:         8
        .size:           8
        .value_kind:     by_value
      - .offset:         16
        .size:           4
        .value_kind:     by_value
      - .address_space:  global
        .offset:         24
        .size:           8
        .value_kind:     global_buffer
      - .offset:         32
        .size:           8
        .value_kind:     by_value
      - .offset:         40
        .size:           8
        .value_kind:     by_value
      - .address_space:  global
        .offset:         48
        .size:           8
        .value_kind:     global_buffer
      - .offset:         56
        .size:           8
        .value_kind:     by_value
      - .offset:         64
        .size:           8
        .value_kind:     by_value
      - .offset:         72
        .size:           4
        .value_kind:     by_value
      - .address_space:  global
        .offset:         80
        .size:           8
        .value_kind:     global_buffer
      - .offset:         88
        .size:           8
        .value_kind:     by_value
      - .offset:         96
        .size:           8
        .value_kind:     by_value
      - .offset:         104
        .size:           4
        .value_kind:     by_value
    .group_segment_fixed_size: 2048
    .kernarg_segment_align: 8
    .kernarg_segment_size: 108
    .language:       OpenCL C
    .language_version:
      - 2
      - 0
    .max_flat_workgroup_size: 256
    .name:           _ZL37rocblas_syrkx_herkx_restricted_kernelIlfLi16ELi32ELi8ELb0ELb0ELc67ELc76EKffEviT_T0_PT8_S1_lS4_S1_lS2_PT9_S1_li
    .private_segment_fixed_size: 0
    .sgpr_count:     22
    .sgpr_spill_count: 0
    .symbol:         _ZL37rocblas_syrkx_herkx_restricted_kernelIlfLi16ELi32ELi8ELb0ELb0ELc67ELc76EKffEviT_T0_PT8_S1_lS4_S1_lS2_PT9_S1_li.kd
    .uniform_work_group_size: 1
    .uses_dynamic_stack: false
    .vgpr_count:     46
    .vgpr_spill_count: 0
    .wavefront_size: 32
    .workgroup_processor_mode: 1
  - .args:
      - .offset:         0
        .size:           4
        .value_kind:     by_value
      - .offset:         8
        .size:           8
        .value_kind:     by_value
      - .offset:         16
        .size:           4
        .value_kind:     by_value
      - .address_space:  global
        .offset:         24
        .size:           8
        .value_kind:     global_buffer
      - .offset:         32
        .size:           8
        .value_kind:     by_value
      - .offset:         40
        .size:           8
        .value_kind:     by_value
      - .address_space:  global
        .offset:         48
        .size:           8
        .value_kind:     global_buffer
      - .offset:         56
        .size:           8
        .value_kind:     by_value
      - .offset:         64
        .size:           8
        .value_kind:     by_value
      - .offset:         72
        .size:           4
        .value_kind:     by_value
      - .address_space:  global
        .offset:         80
        .size:           8
        .value_kind:     global_buffer
      - .offset:         88
        .size:           8
        .value_kind:     by_value
      - .offset:         96
        .size:           8
        .value_kind:     by_value
      - .offset:         104
        .size:           4
        .value_kind:     by_value
    .group_segment_fixed_size: 2048
    .kernarg_segment_align: 8
    .kernarg_segment_size: 108
    .language:       OpenCL C
    .language_version:
      - 2
      - 0
    .max_flat_workgroup_size: 256
    .name:           _ZL37rocblas_syrkx_herkx_restricted_kernelIlfLi16ELi32ELi8ELb0ELb0ELc78ELc76EKffEviT_T0_PT8_S1_lS4_S1_lS2_PT9_S1_li
    .private_segment_fixed_size: 0
    .sgpr_count:     22
    .sgpr_spill_count: 0
    .symbol:         _ZL37rocblas_syrkx_herkx_restricted_kernelIlfLi16ELi32ELi8ELb0ELb0ELc78ELc76EKffEviT_T0_PT8_S1_lS4_S1_lS2_PT9_S1_li.kd
    .uniform_work_group_size: 1
    .uses_dynamic_stack: false
    .vgpr_count:     46
    .vgpr_spill_count: 0
    .wavefront_size: 32
    .workgroup_processor_mode: 1
  - .args:
      - .offset:         0
        .size:           4
        .value_kind:     by_value
      - .offset:         8
        .size:           8
        .value_kind:     by_value
      - .offset:         16
        .size:           4
        .value_kind:     by_value
      - .address_space:  global
        .offset:         24
        .size:           8
        .value_kind:     global_buffer
      - .offset:         32
        .size:           8
        .value_kind:     by_value
      - .offset:         40
        .size:           8
        .value_kind:     by_value
      - .address_space:  global
        .offset:         48
        .size:           8
        .value_kind:     global_buffer
      - .offset:         56
        .size:           8
        .value_kind:     by_value
      - .offset:         64
        .size:           8
        .value_kind:     by_value
      - .offset:         72
        .size:           4
        .value_kind:     by_value
      - .address_space:  global
        .offset:         80
        .size:           8
        .value_kind:     global_buffer
      - .offset:         88
        .size:           8
        .value_kind:     by_value
      - .offset:         96
        .size:           8
        .value_kind:     by_value
      - .offset:         104
        .size:           4
        .value_kind:     by_value
    .group_segment_fixed_size: 2048
    .kernarg_segment_align: 8
    .kernarg_segment_size: 108
    .language:       OpenCL C
    .language_version:
      - 2
      - 0
    .max_flat_workgroup_size: 256
    .name:           _ZL37rocblas_syrkx_herkx_restricted_kernelIlfLi16ELi32ELi8ELb0ELb0ELc84ELc85EKffEviT_T0_PT8_S1_lS4_S1_lS2_PT9_S1_li
    .private_segment_fixed_size: 0
    .sgpr_count:     22
    .sgpr_spill_count: 0
    .symbol:         _ZL37rocblas_syrkx_herkx_restricted_kernelIlfLi16ELi32ELi8ELb0ELb0ELc84ELc85EKffEviT_T0_PT8_S1_lS4_S1_lS2_PT9_S1_li.kd
    .uniform_work_group_size: 1
    .uses_dynamic_stack: false
    .vgpr_count:     46
    .vgpr_spill_count: 0
    .wavefront_size: 32
    .workgroup_processor_mode: 1
  - .args:
      - .offset:         0
        .size:           4
        .value_kind:     by_value
      - .offset:         8
        .size:           8
        .value_kind:     by_value
      - .offset:         16
        .size:           4
        .value_kind:     by_value
      - .address_space:  global
        .offset:         24
        .size:           8
        .value_kind:     global_buffer
      - .offset:         32
        .size:           8
        .value_kind:     by_value
      - .offset:         40
        .size:           8
        .value_kind:     by_value
      - .address_space:  global
        .offset:         48
        .size:           8
        .value_kind:     global_buffer
      - .offset:         56
        .size:           8
        .value_kind:     by_value
      - .offset:         64
        .size:           8
        .value_kind:     by_value
      - .offset:         72
        .size:           4
        .value_kind:     by_value
      - .address_space:  global
        .offset:         80
        .size:           8
        .value_kind:     global_buffer
      - .offset:         88
        .size:           8
        .value_kind:     by_value
      - .offset:         96
        .size:           8
        .value_kind:     by_value
      - .offset:         104
        .size:           4
        .value_kind:     by_value
    .group_segment_fixed_size: 2048
    .kernarg_segment_align: 8
    .kernarg_segment_size: 108
    .language:       OpenCL C
    .language_version:
      - 2
      - 0
    .max_flat_workgroup_size: 256
    .name:           _ZL37rocblas_syrkx_herkx_restricted_kernelIlfLi16ELi32ELi8ELb0ELb0ELc67ELc85EKffEviT_T0_PT8_S1_lS4_S1_lS2_PT9_S1_li
    .private_segment_fixed_size: 0
    .sgpr_count:     22
    .sgpr_spill_count: 0
    .symbol:         _ZL37rocblas_syrkx_herkx_restricted_kernelIlfLi16ELi32ELi8ELb0ELb0ELc67ELc85EKffEviT_T0_PT8_S1_lS4_S1_lS2_PT9_S1_li.kd
    .uniform_work_group_size: 1
    .uses_dynamic_stack: false
    .vgpr_count:     46
    .vgpr_spill_count: 0
    .wavefront_size: 32
    .workgroup_processor_mode: 1
  - .args:
      - .offset:         0
        .size:           4
        .value_kind:     by_value
      - .offset:         8
        .size:           8
        .value_kind:     by_value
      - .offset:         16
        .size:           4
        .value_kind:     by_value
      - .address_space:  global
        .offset:         24
        .size:           8
        .value_kind:     global_buffer
      - .offset:         32
        .size:           8
        .value_kind:     by_value
      - .offset:         40
        .size:           8
        .value_kind:     by_value
      - .address_space:  global
        .offset:         48
        .size:           8
        .value_kind:     global_buffer
      - .offset:         56
        .size:           8
        .value_kind:     by_value
      - .offset:         64
        .size:           8
        .value_kind:     by_value
      - .offset:         72
        .size:           4
        .value_kind:     by_value
      - .address_space:  global
        .offset:         80
        .size:           8
        .value_kind:     global_buffer
      - .offset:         88
        .size:           8
        .value_kind:     by_value
      - .offset:         96
        .size:           8
        .value_kind:     by_value
      - .offset:         104
        .size:           4
        .value_kind:     by_value
    .group_segment_fixed_size: 2048
    .kernarg_segment_align: 8
    .kernarg_segment_size: 108
    .language:       OpenCL C
    .language_version:
      - 2
      - 0
    .max_flat_workgroup_size: 256
    .name:           _ZL37rocblas_syrkx_herkx_restricted_kernelIlfLi16ELi32ELi8ELb0ELb0ELc78ELc85EKffEviT_T0_PT8_S1_lS4_S1_lS2_PT9_S1_li
    .private_segment_fixed_size: 0
    .sgpr_count:     22
    .sgpr_spill_count: 0
    .symbol:         _ZL37rocblas_syrkx_herkx_restricted_kernelIlfLi16ELi32ELi8ELb0ELb0ELc78ELc85EKffEviT_T0_PT8_S1_lS4_S1_lS2_PT9_S1_li.kd
    .uniform_work_group_size: 1
    .uses_dynamic_stack: false
    .vgpr_count:     46
    .vgpr_spill_count: 0
    .wavefront_size: 32
    .workgroup_processor_mode: 1
  - .args:
      - .offset:         0
        .size:           4
        .value_kind:     by_value
      - .offset:         8
        .size:           8
        .value_kind:     by_value
      - .offset:         16
        .size:           4
        .value_kind:     by_value
      - .address_space:  global
        .offset:         24
        .size:           8
        .value_kind:     global_buffer
      - .offset:         32
        .size:           8
        .value_kind:     by_value
      - .offset:         40
        .size:           8
        .value_kind:     by_value
      - .address_space:  global
        .offset:         48
        .size:           8
        .value_kind:     global_buffer
      - .offset:         56
        .size:           8
        .value_kind:     by_value
      - .offset:         64
        .size:           8
        .value_kind:     by_value
      - .offset:         72
        .size:           4
        .value_kind:     by_value
      - .address_space:  global
        .offset:         80
        .size:           8
        .value_kind:     global_buffer
      - .offset:         88
        .size:           8
        .value_kind:     by_value
      - .offset:         96
        .size:           8
        .value_kind:     by_value
      - .offset:         104
        .size:           4
        .value_kind:     by_value
    .group_segment_fixed_size: 2048
    .kernarg_segment_align: 8
    .kernarg_segment_size: 108
    .language:       OpenCL C
    .language_version:
      - 2
      - 0
    .max_flat_workgroup_size: 256
    .name:           _ZL41rocblas_syrkx_herkx_small_restrict_kernelIlfLi16ELb1ELb0ELc84ELc76EKffEviT_T0_PT6_S1_lS4_S1_lS2_PT7_S1_li
    .private_segment_fixed_size: 0
    .sgpr_count:     22
    .sgpr_spill_count: 0
    .symbol:         _ZL41rocblas_syrkx_herkx_small_restrict_kernelIlfLi16ELb1ELb0ELc84ELc76EKffEviT_T0_PT6_S1_lS4_S1_lS2_PT7_S1_li.kd
    .uniform_work_group_size: 1
    .uses_dynamic_stack: false
    .vgpr_count:     27
    .vgpr_spill_count: 0
    .wavefront_size: 32
    .workgroup_processor_mode: 1
  - .args:
      - .offset:         0
        .size:           4
        .value_kind:     by_value
      - .offset:         8
        .size:           8
        .value_kind:     by_value
      - .offset:         16
        .size:           4
        .value_kind:     by_value
      - .address_space:  global
        .offset:         24
        .size:           8
        .value_kind:     global_buffer
      - .offset:         32
        .size:           8
        .value_kind:     by_value
      - .offset:         40
        .size:           8
        .value_kind:     by_value
      - .address_space:  global
        .offset:         48
        .size:           8
        .value_kind:     global_buffer
      - .offset:         56
        .size:           8
        .value_kind:     by_value
      - .offset:         64
        .size:           8
        .value_kind:     by_value
      - .offset:         72
        .size:           4
        .value_kind:     by_value
      - .address_space:  global
        .offset:         80
        .size:           8
        .value_kind:     global_buffer
      - .offset:         88
        .size:           8
        .value_kind:     by_value
      - .offset:         96
        .size:           8
        .value_kind:     by_value
      - .offset:         104
        .size:           4
        .value_kind:     by_value
    .group_segment_fixed_size: 2048
    .kernarg_segment_align: 8
    .kernarg_segment_size: 108
    .language:       OpenCL C
    .language_version:
      - 2
      - 0
    .max_flat_workgroup_size: 256
    .name:           _ZL41rocblas_syrkx_herkx_small_restrict_kernelIlfLi16ELb1ELb0ELc67ELc76EKffEviT_T0_PT6_S1_lS4_S1_lS2_PT7_S1_li
    .private_segment_fixed_size: 0
    .sgpr_count:     22
    .sgpr_spill_count: 0
    .symbol:         _ZL41rocblas_syrkx_herkx_small_restrict_kernelIlfLi16ELb1ELb0ELc67ELc76EKffEviT_T0_PT6_S1_lS4_S1_lS2_PT7_S1_li.kd
    .uniform_work_group_size: 1
    .uses_dynamic_stack: false
    .vgpr_count:     27
    .vgpr_spill_count: 0
    .wavefront_size: 32
    .workgroup_processor_mode: 1
  - .args:
      - .offset:         0
        .size:           4
        .value_kind:     by_value
      - .offset:         8
        .size:           8
        .value_kind:     by_value
      - .offset:         16
        .size:           4
        .value_kind:     by_value
      - .address_space:  global
        .offset:         24
        .size:           8
        .value_kind:     global_buffer
      - .offset:         32
        .size:           8
        .value_kind:     by_value
      - .offset:         40
        .size:           8
        .value_kind:     by_value
      - .address_space:  global
        .offset:         48
        .size:           8
        .value_kind:     global_buffer
      - .offset:         56
        .size:           8
        .value_kind:     by_value
      - .offset:         64
        .size:           8
        .value_kind:     by_value
      - .offset:         72
        .size:           4
        .value_kind:     by_value
      - .address_space:  global
        .offset:         80
        .size:           8
        .value_kind:     global_buffer
      - .offset:         88
        .size:           8
        .value_kind:     by_value
      - .offset:         96
        .size:           8
        .value_kind:     by_value
      - .offset:         104
        .size:           4
        .value_kind:     by_value
    .group_segment_fixed_size: 2048
    .kernarg_segment_align: 8
    .kernarg_segment_size: 108
    .language:       OpenCL C
    .language_version:
      - 2
      - 0
    .max_flat_workgroup_size: 256
    .name:           _ZL41rocblas_syrkx_herkx_small_restrict_kernelIlfLi16ELb1ELb0ELc78ELc76EKffEviT_T0_PT6_S1_lS4_S1_lS2_PT7_S1_li
    .private_segment_fixed_size: 0
    .sgpr_count:     22
    .sgpr_spill_count: 0
    .symbol:         _ZL41rocblas_syrkx_herkx_small_restrict_kernelIlfLi16ELb1ELb0ELc78ELc76EKffEviT_T0_PT6_S1_lS4_S1_lS2_PT7_S1_li.kd
    .uniform_work_group_size: 1
    .uses_dynamic_stack: false
    .vgpr_count:     27
    .vgpr_spill_count: 0
    .wavefront_size: 32
    .workgroup_processor_mode: 1
  - .args:
      - .offset:         0
        .size:           4
        .value_kind:     by_value
      - .offset:         8
        .size:           8
        .value_kind:     by_value
      - .offset:         16
        .size:           4
        .value_kind:     by_value
      - .address_space:  global
        .offset:         24
        .size:           8
        .value_kind:     global_buffer
      - .offset:         32
        .size:           8
        .value_kind:     by_value
      - .offset:         40
        .size:           8
        .value_kind:     by_value
      - .address_space:  global
        .offset:         48
        .size:           8
        .value_kind:     global_buffer
      - .offset:         56
        .size:           8
        .value_kind:     by_value
      - .offset:         64
        .size:           8
        .value_kind:     by_value
      - .offset:         72
        .size:           4
        .value_kind:     by_value
      - .address_space:  global
        .offset:         80
        .size:           8
        .value_kind:     global_buffer
      - .offset:         88
        .size:           8
        .value_kind:     by_value
      - .offset:         96
        .size:           8
        .value_kind:     by_value
      - .offset:         104
        .size:           4
        .value_kind:     by_value
    .group_segment_fixed_size: 2048
    .kernarg_segment_align: 8
    .kernarg_segment_size: 108
    .language:       OpenCL C
    .language_version:
      - 2
      - 0
    .max_flat_workgroup_size: 256
    .name:           _ZL41rocblas_syrkx_herkx_small_restrict_kernelIlfLi16ELb1ELb0ELc84ELc85EKffEviT_T0_PT6_S1_lS4_S1_lS2_PT7_S1_li
    .private_segment_fixed_size: 0
    .sgpr_count:     22
    .sgpr_spill_count: 0
    .symbol:         _ZL41rocblas_syrkx_herkx_small_restrict_kernelIlfLi16ELb1ELb0ELc84ELc85EKffEviT_T0_PT6_S1_lS4_S1_lS2_PT7_S1_li.kd
    .uniform_work_group_size: 1
    .uses_dynamic_stack: false
    .vgpr_count:     27
    .vgpr_spill_count: 0
    .wavefront_size: 32
    .workgroup_processor_mode: 1
  - .args:
      - .offset:         0
        .size:           4
        .value_kind:     by_value
      - .offset:         8
        .size:           8
        .value_kind:     by_value
      - .offset:         16
        .size:           4
        .value_kind:     by_value
      - .address_space:  global
        .offset:         24
        .size:           8
        .value_kind:     global_buffer
      - .offset:         32
        .size:           8
        .value_kind:     by_value
      - .offset:         40
        .size:           8
        .value_kind:     by_value
      - .address_space:  global
        .offset:         48
        .size:           8
        .value_kind:     global_buffer
      - .offset:         56
        .size:           8
        .value_kind:     by_value
      - .offset:         64
        .size:           8
        .value_kind:     by_value
      - .offset:         72
        .size:           4
        .value_kind:     by_value
      - .address_space:  global
        .offset:         80
        .size:           8
        .value_kind:     global_buffer
      - .offset:         88
        .size:           8
        .value_kind:     by_value
      - .offset:         96
        .size:           8
        .value_kind:     by_value
      - .offset:         104
        .size:           4
        .value_kind:     by_value
    .group_segment_fixed_size: 2048
    .kernarg_segment_align: 8
    .kernarg_segment_size: 108
    .language:       OpenCL C
    .language_version:
      - 2
      - 0
    .max_flat_workgroup_size: 256
    .name:           _ZL41rocblas_syrkx_herkx_small_restrict_kernelIlfLi16ELb1ELb0ELc67ELc85EKffEviT_T0_PT6_S1_lS4_S1_lS2_PT7_S1_li
    .private_segment_fixed_size: 0
    .sgpr_count:     22
    .sgpr_spill_count: 0
    .symbol:         _ZL41rocblas_syrkx_herkx_small_restrict_kernelIlfLi16ELb1ELb0ELc67ELc85EKffEviT_T0_PT6_S1_lS4_S1_lS2_PT7_S1_li.kd
    .uniform_work_group_size: 1
    .uses_dynamic_stack: false
    .vgpr_count:     27
    .vgpr_spill_count: 0
    .wavefront_size: 32
    .workgroup_processor_mode: 1
  - .args:
      - .offset:         0
        .size:           4
        .value_kind:     by_value
      - .offset:         8
        .size:           8
        .value_kind:     by_value
      - .offset:         16
        .size:           4
        .value_kind:     by_value
      - .address_space:  global
        .offset:         24
        .size:           8
        .value_kind:     global_buffer
      - .offset:         32
        .size:           8
        .value_kind:     by_value
      - .offset:         40
        .size:           8
        .value_kind:     by_value
      - .address_space:  global
        .offset:         48
        .size:           8
        .value_kind:     global_buffer
      - .offset:         56
        .size:           8
        .value_kind:     by_value
      - .offset:         64
        .size:           8
        .value_kind:     by_value
      - .offset:         72
        .size:           4
        .value_kind:     by_value
      - .address_space:  global
        .offset:         80
        .size:           8
        .value_kind:     global_buffer
      - .offset:         88
        .size:           8
        .value_kind:     by_value
      - .offset:         96
        .size:           8
        .value_kind:     by_value
      - .offset:         104
        .size:           4
        .value_kind:     by_value
    .group_segment_fixed_size: 2048
    .kernarg_segment_align: 8
    .kernarg_segment_size: 108
    .language:       OpenCL C
    .language_version:
      - 2
      - 0
    .max_flat_workgroup_size: 256
    .name:           _ZL41rocblas_syrkx_herkx_small_restrict_kernelIlfLi16ELb1ELb0ELc78ELc85EKffEviT_T0_PT6_S1_lS4_S1_lS2_PT7_S1_li
    .private_segment_fixed_size: 0
    .sgpr_count:     22
    .sgpr_spill_count: 0
    .symbol:         _ZL41rocblas_syrkx_herkx_small_restrict_kernelIlfLi16ELb1ELb0ELc78ELc85EKffEviT_T0_PT6_S1_lS4_S1_lS2_PT7_S1_li.kd
    .uniform_work_group_size: 1
    .uses_dynamic_stack: false
    .vgpr_count:     27
    .vgpr_spill_count: 0
    .wavefront_size: 32
    .workgroup_processor_mode: 1
  - .args:
      - .offset:         0
        .size:           4
        .value_kind:     by_value
      - .offset:         8
        .size:           8
        .value_kind:     by_value
      - .offset:         16
        .size:           4
        .value_kind:     by_value
      - .address_space:  global
        .offset:         24
        .size:           8
        .value_kind:     global_buffer
      - .offset:         32
        .size:           8
        .value_kind:     by_value
      - .offset:         40
        .size:           8
        .value_kind:     by_value
      - .address_space:  global
        .offset:         48
        .size:           8
        .value_kind:     global_buffer
      - .offset:         56
        .size:           8
        .value_kind:     by_value
      - .offset:         64
        .size:           8
        .value_kind:     by_value
      - .offset:         72
        .size:           4
        .value_kind:     by_value
      - .address_space:  global
        .offset:         80
        .size:           8
        .value_kind:     global_buffer
      - .offset:         88
        .size:           8
        .value_kind:     by_value
      - .offset:         96
        .size:           8
        .value_kind:     by_value
      - .offset:         104
        .size:           4
        .value_kind:     by_value
    .group_segment_fixed_size: 2048
    .kernarg_segment_align: 8
    .kernarg_segment_size: 108
    .language:       OpenCL C
    .language_version:
      - 2
      - 0
    .max_flat_workgroup_size: 256
    .name:           _ZL41rocblas_syrkx_herkx_small_restrict_kernelIlfLi16ELb0ELb0ELc84ELc76EKffEviT_T0_PT6_S1_lS4_S1_lS2_PT7_S1_li
    .private_segment_fixed_size: 0
    .sgpr_count:     22
    .sgpr_spill_count: 0
    .symbol:         _ZL41rocblas_syrkx_herkx_small_restrict_kernelIlfLi16ELb0ELb0ELc84ELc76EKffEviT_T0_PT6_S1_lS4_S1_lS2_PT7_S1_li.kd
    .uniform_work_group_size: 1
    .uses_dynamic_stack: false
    .vgpr_count:     27
    .vgpr_spill_count: 0
    .wavefront_size: 32
    .workgroup_processor_mode: 1
  - .args:
      - .offset:         0
        .size:           4
        .value_kind:     by_value
      - .offset:         8
        .size:           8
        .value_kind:     by_value
      - .offset:         16
        .size:           4
        .value_kind:     by_value
      - .address_space:  global
        .offset:         24
        .size:           8
        .value_kind:     global_buffer
      - .offset:         32
        .size:           8
        .value_kind:     by_value
      - .offset:         40
        .size:           8
        .value_kind:     by_value
      - .address_space:  global
        .offset:         48
        .size:           8
        .value_kind:     global_buffer
      - .offset:         56
        .size:           8
        .value_kind:     by_value
      - .offset:         64
        .size:           8
        .value_kind:     by_value
      - .offset:         72
        .size:           4
        .value_kind:     by_value
      - .address_space:  global
        .offset:         80
        .size:           8
        .value_kind:     global_buffer
      - .offset:         88
        .size:           8
        .value_kind:     by_value
      - .offset:         96
        .size:           8
        .value_kind:     by_value
      - .offset:         104
        .size:           4
        .value_kind:     by_value
    .group_segment_fixed_size: 2048
    .kernarg_segment_align: 8
    .kernarg_segment_size: 108
    .language:       OpenCL C
    .language_version:
      - 2
      - 0
    .max_flat_workgroup_size: 256
    .name:           _ZL41rocblas_syrkx_herkx_small_restrict_kernelIlfLi16ELb0ELb0ELc67ELc76EKffEviT_T0_PT6_S1_lS4_S1_lS2_PT7_S1_li
    .private_segment_fixed_size: 0
    .sgpr_count:     22
    .sgpr_spill_count: 0
    .symbol:         _ZL41rocblas_syrkx_herkx_small_restrict_kernelIlfLi16ELb0ELb0ELc67ELc76EKffEviT_T0_PT6_S1_lS4_S1_lS2_PT7_S1_li.kd
    .uniform_work_group_size: 1
    .uses_dynamic_stack: false
    .vgpr_count:     27
    .vgpr_spill_count: 0
    .wavefront_size: 32
    .workgroup_processor_mode: 1
  - .args:
      - .offset:         0
        .size:           4
        .value_kind:     by_value
      - .offset:         8
        .size:           8
        .value_kind:     by_value
      - .offset:         16
        .size:           4
        .value_kind:     by_value
      - .address_space:  global
        .offset:         24
        .size:           8
        .value_kind:     global_buffer
      - .offset:         32
        .size:           8
        .value_kind:     by_value
      - .offset:         40
        .size:           8
        .value_kind:     by_value
      - .address_space:  global
        .offset:         48
        .size:           8
        .value_kind:     global_buffer
      - .offset:         56
        .size:           8
        .value_kind:     by_value
      - .offset:         64
        .size:           8
        .value_kind:     by_value
      - .offset:         72
        .size:           4
        .value_kind:     by_value
      - .address_space:  global
        .offset:         80
        .size:           8
        .value_kind:     global_buffer
      - .offset:         88
        .size:           8
        .value_kind:     by_value
      - .offset:         96
        .size:           8
        .value_kind:     by_value
      - .offset:         104
        .size:           4
        .value_kind:     by_value
    .group_segment_fixed_size: 2048
    .kernarg_segment_align: 8
    .kernarg_segment_size: 108
    .language:       OpenCL C
    .language_version:
      - 2
      - 0
    .max_flat_workgroup_size: 256
    .name:           _ZL41rocblas_syrkx_herkx_small_restrict_kernelIlfLi16ELb0ELb0ELc78ELc76EKffEviT_T0_PT6_S1_lS4_S1_lS2_PT7_S1_li
    .private_segment_fixed_size: 0
    .sgpr_count:     22
    .sgpr_spill_count: 0
    .symbol:         _ZL41rocblas_syrkx_herkx_small_restrict_kernelIlfLi16ELb0ELb0ELc78ELc76EKffEviT_T0_PT6_S1_lS4_S1_lS2_PT7_S1_li.kd
    .uniform_work_group_size: 1
    .uses_dynamic_stack: false
    .vgpr_count:     27
    .vgpr_spill_count: 0
    .wavefront_size: 32
    .workgroup_processor_mode: 1
  - .args:
      - .offset:         0
        .size:           4
        .value_kind:     by_value
      - .offset:         8
        .size:           8
        .value_kind:     by_value
      - .offset:         16
        .size:           4
        .value_kind:     by_value
      - .address_space:  global
        .offset:         24
        .size:           8
        .value_kind:     global_buffer
      - .offset:         32
        .size:           8
        .value_kind:     by_value
      - .offset:         40
        .size:           8
        .value_kind:     by_value
      - .address_space:  global
        .offset:         48
        .size:           8
        .value_kind:     global_buffer
      - .offset:         56
        .size:           8
        .value_kind:     by_value
      - .offset:         64
        .size:           8
        .value_kind:     by_value
      - .offset:         72
        .size:           4
        .value_kind:     by_value
      - .address_space:  global
        .offset:         80
        .size:           8
        .value_kind:     global_buffer
      - .offset:         88
        .size:           8
        .value_kind:     by_value
      - .offset:         96
        .size:           8
        .value_kind:     by_value
      - .offset:         104
        .size:           4
        .value_kind:     by_value
    .group_segment_fixed_size: 2048
    .kernarg_segment_align: 8
    .kernarg_segment_size: 108
    .language:       OpenCL C
    .language_version:
      - 2
      - 0
    .max_flat_workgroup_size: 256
    .name:           _ZL41rocblas_syrkx_herkx_small_restrict_kernelIlfLi16ELb0ELb0ELc84ELc85EKffEviT_T0_PT6_S1_lS4_S1_lS2_PT7_S1_li
    .private_segment_fixed_size: 0
    .sgpr_count:     22
    .sgpr_spill_count: 0
    .symbol:         _ZL41rocblas_syrkx_herkx_small_restrict_kernelIlfLi16ELb0ELb0ELc84ELc85EKffEviT_T0_PT6_S1_lS4_S1_lS2_PT7_S1_li.kd
    .uniform_work_group_size: 1
    .uses_dynamic_stack: false
    .vgpr_count:     27
    .vgpr_spill_count: 0
    .wavefront_size: 32
    .workgroup_processor_mode: 1
  - .args:
      - .offset:         0
        .size:           4
        .value_kind:     by_value
      - .offset:         8
        .size:           8
        .value_kind:     by_value
      - .offset:         16
        .size:           4
        .value_kind:     by_value
      - .address_space:  global
        .offset:         24
        .size:           8
        .value_kind:     global_buffer
      - .offset:         32
        .size:           8
        .value_kind:     by_value
      - .offset:         40
        .size:           8
        .value_kind:     by_value
      - .address_space:  global
        .offset:         48
        .size:           8
        .value_kind:     global_buffer
      - .offset:         56
        .size:           8
        .value_kind:     by_value
      - .offset:         64
        .size:           8
        .value_kind:     by_value
      - .offset:         72
        .size:           4
        .value_kind:     by_value
      - .address_space:  global
        .offset:         80
        .size:           8
        .value_kind:     global_buffer
      - .offset:         88
        .size:           8
        .value_kind:     by_value
      - .offset:         96
        .size:           8
        .value_kind:     by_value
      - .offset:         104
        .size:           4
        .value_kind:     by_value
    .group_segment_fixed_size: 2048
    .kernarg_segment_align: 8
    .kernarg_segment_size: 108
    .language:       OpenCL C
    .language_version:
      - 2
      - 0
    .max_flat_workgroup_size: 256
    .name:           _ZL41rocblas_syrkx_herkx_small_restrict_kernelIlfLi16ELb0ELb0ELc67ELc85EKffEviT_T0_PT6_S1_lS4_S1_lS2_PT7_S1_li
    .private_segment_fixed_size: 0
    .sgpr_count:     22
    .sgpr_spill_count: 0
    .symbol:         _ZL41rocblas_syrkx_herkx_small_restrict_kernelIlfLi16ELb0ELb0ELc67ELc85EKffEviT_T0_PT6_S1_lS4_S1_lS2_PT7_S1_li.kd
    .uniform_work_group_size: 1
    .uses_dynamic_stack: false
    .vgpr_count:     27
    .vgpr_spill_count: 0
    .wavefront_size: 32
    .workgroup_processor_mode: 1
  - .args:
      - .offset:         0
        .size:           4
        .value_kind:     by_value
      - .offset:         8
        .size:           8
        .value_kind:     by_value
      - .offset:         16
        .size:           4
        .value_kind:     by_value
      - .address_space:  global
        .offset:         24
        .size:           8
        .value_kind:     global_buffer
      - .offset:         32
        .size:           8
        .value_kind:     by_value
      - .offset:         40
        .size:           8
        .value_kind:     by_value
      - .address_space:  global
        .offset:         48
        .size:           8
        .value_kind:     global_buffer
      - .offset:         56
        .size:           8
        .value_kind:     by_value
      - .offset:         64
        .size:           8
        .value_kind:     by_value
      - .offset:         72
        .size:           4
        .value_kind:     by_value
      - .address_space:  global
        .offset:         80
        .size:           8
        .value_kind:     global_buffer
      - .offset:         88
        .size:           8
        .value_kind:     by_value
      - .offset:         96
        .size:           8
        .value_kind:     by_value
      - .offset:         104
        .size:           4
        .value_kind:     by_value
    .group_segment_fixed_size: 2048
    .kernarg_segment_align: 8
    .kernarg_segment_size: 108
    .language:       OpenCL C
    .language_version:
      - 2
      - 0
    .max_flat_workgroup_size: 256
    .name:           _ZL41rocblas_syrkx_herkx_small_restrict_kernelIlfLi16ELb0ELb0ELc78ELc85EKffEviT_T0_PT6_S1_lS4_S1_lS2_PT7_S1_li
    .private_segment_fixed_size: 0
    .sgpr_count:     22
    .sgpr_spill_count: 0
    .symbol:         _ZL41rocblas_syrkx_herkx_small_restrict_kernelIlfLi16ELb0ELb0ELc78ELc85EKffEviT_T0_PT6_S1_lS4_S1_lS2_PT7_S1_li.kd
    .uniform_work_group_size: 1
    .uses_dynamic_stack: false
    .vgpr_count:     27
    .vgpr_spill_count: 0
    .wavefront_size: 32
    .workgroup_processor_mode: 1
  - .args:
      - .offset:         0
        .size:           4
        .value_kind:     by_value
      - .offset:         8
        .size:           8
        .value_kind:     by_value
      - .offset:         16
        .size:           4
        .value_kind:     by_value
      - .address_space:  global
        .offset:         24
        .size:           8
        .value_kind:     global_buffer
      - .offset:         32
        .size:           8
        .value_kind:     by_value
      - .offset:         40
        .size:           8
        .value_kind:     by_value
      - .address_space:  global
        .offset:         48
        .size:           8
        .value_kind:     global_buffer
      - .offset:         56
        .size:           8
        .value_kind:     by_value
      - .offset:         64
        .size:           8
        .value_kind:     by_value
      - .offset:         72
        .size:           4
        .value_kind:     by_value
      - .address_space:  global
        .offset:         80
        .size:           8
        .value_kind:     global_buffer
      - .offset:         88
        .size:           8
        .value_kind:     by_value
      - .offset:         96
        .size:           8
        .value_kind:     by_value
      - .offset:         104
        .size:           4
        .value_kind:     by_value
    .group_segment_fixed_size: 2048
    .kernarg_segment_align: 8
    .kernarg_segment_size: 108
    .language:       OpenCL C
    .language_version:
      - 2
      - 0
    .max_flat_workgroup_size: 256
    .name:           _ZL32rocblas_syrkx_herkx_small_kernelIlfLi16ELb1ELb0ELc84ELc76EKffEviT_T0_PT6_S1_lS4_S1_lS2_PT7_S1_li
    .private_segment_fixed_size: 0
    .sgpr_count:     24
    .sgpr_spill_count: 0
    .symbol:         _ZL32rocblas_syrkx_herkx_small_kernelIlfLi16ELb1ELb0ELc84ELc76EKffEviT_T0_PT6_S1_lS4_S1_lS2_PT7_S1_li.kd
    .uniform_work_group_size: 1
    .uses_dynamic_stack: false
    .vgpr_count:     29
    .vgpr_spill_count: 0
    .wavefront_size: 32
    .workgroup_processor_mode: 1
  - .args:
      - .offset:         0
        .size:           4
        .value_kind:     by_value
      - .offset:         8
        .size:           8
        .value_kind:     by_value
      - .offset:         16
        .size:           4
        .value_kind:     by_value
      - .address_space:  global
        .offset:         24
        .size:           8
        .value_kind:     global_buffer
      - .offset:         32
        .size:           8
        .value_kind:     by_value
      - .offset:         40
        .size:           8
        .value_kind:     by_value
      - .address_space:  global
        .offset:         48
        .size:           8
        .value_kind:     global_buffer
      - .offset:         56
        .size:           8
        .value_kind:     by_value
      - .offset:         64
        .size:           8
        .value_kind:     by_value
      - .offset:         72
        .size:           4
        .value_kind:     by_value
      - .address_space:  global
        .offset:         80
        .size:           8
        .value_kind:     global_buffer
      - .offset:         88
        .size:           8
        .value_kind:     by_value
      - .offset:         96
        .size:           8
        .value_kind:     by_value
      - .offset:         104
        .size:           4
        .value_kind:     by_value
    .group_segment_fixed_size: 2048
    .kernarg_segment_align: 8
    .kernarg_segment_size: 108
    .language:       OpenCL C
    .language_version:
      - 2
      - 0
    .max_flat_workgroup_size: 256
    .name:           _ZL32rocblas_syrkx_herkx_small_kernelIlfLi16ELb1ELb0ELc67ELc76EKffEviT_T0_PT6_S1_lS4_S1_lS2_PT7_S1_li
    .private_segment_fixed_size: 0
    .sgpr_count:     24
    .sgpr_spill_count: 0
    .symbol:         _ZL32rocblas_syrkx_herkx_small_kernelIlfLi16ELb1ELb0ELc67ELc76EKffEviT_T0_PT6_S1_lS4_S1_lS2_PT7_S1_li.kd
    .uniform_work_group_size: 1
    .uses_dynamic_stack: false
    .vgpr_count:     29
    .vgpr_spill_count: 0
    .wavefront_size: 32
    .workgroup_processor_mode: 1
  - .args:
      - .offset:         0
        .size:           4
        .value_kind:     by_value
      - .offset:         8
        .size:           8
        .value_kind:     by_value
      - .offset:         16
        .size:           4
        .value_kind:     by_value
      - .address_space:  global
        .offset:         24
        .size:           8
        .value_kind:     global_buffer
      - .offset:         32
        .size:           8
        .value_kind:     by_value
      - .offset:         40
        .size:           8
        .value_kind:     by_value
      - .address_space:  global
        .offset:         48
        .size:           8
        .value_kind:     global_buffer
      - .offset:         56
        .size:           8
        .value_kind:     by_value
      - .offset:         64
        .size:           8
        .value_kind:     by_value
      - .offset:         72
        .size:           4
        .value_kind:     by_value
      - .address_space:  global
        .offset:         80
        .size:           8
        .value_kind:     global_buffer
      - .offset:         88
        .size:           8
        .value_kind:     by_value
      - .offset:         96
        .size:           8
        .value_kind:     by_value
      - .offset:         104
        .size:           4
        .value_kind:     by_value
    .group_segment_fixed_size: 2048
    .kernarg_segment_align: 8
    .kernarg_segment_size: 108
    .language:       OpenCL C
    .language_version:
      - 2
      - 0
    .max_flat_workgroup_size: 256
    .name:           _ZL32rocblas_syrkx_herkx_small_kernelIlfLi16ELb1ELb0ELc78ELc76EKffEviT_T0_PT6_S1_lS4_S1_lS2_PT7_S1_li
    .private_segment_fixed_size: 0
    .sgpr_count:     25
    .sgpr_spill_count: 0
    .symbol:         _ZL32rocblas_syrkx_herkx_small_kernelIlfLi16ELb1ELb0ELc78ELc76EKffEviT_T0_PT6_S1_lS4_S1_lS2_PT7_S1_li.kd
    .uniform_work_group_size: 1
    .uses_dynamic_stack: false
    .vgpr_count:     29
    .vgpr_spill_count: 0
    .wavefront_size: 32
    .workgroup_processor_mode: 1
  - .args:
      - .offset:         0
        .size:           4
        .value_kind:     by_value
      - .offset:         8
        .size:           8
        .value_kind:     by_value
      - .offset:         16
        .size:           4
        .value_kind:     by_value
      - .address_space:  global
        .offset:         24
        .size:           8
        .value_kind:     global_buffer
      - .offset:         32
        .size:           8
        .value_kind:     by_value
      - .offset:         40
        .size:           8
        .value_kind:     by_value
      - .address_space:  global
        .offset:         48
        .size:           8
        .value_kind:     global_buffer
      - .offset:         56
        .size:           8
        .value_kind:     by_value
      - .offset:         64
        .size:           8
        .value_kind:     by_value
      - .offset:         72
        .size:           4
        .value_kind:     by_value
      - .address_space:  global
        .offset:         80
        .size:           8
        .value_kind:     global_buffer
      - .offset:         88
        .size:           8
        .value_kind:     by_value
      - .offset:         96
        .size:           8
        .value_kind:     by_value
      - .offset:         104
        .size:           4
        .value_kind:     by_value
    .group_segment_fixed_size: 2048
    .kernarg_segment_align: 8
    .kernarg_segment_size: 108
    .language:       OpenCL C
    .language_version:
      - 2
      - 0
    .max_flat_workgroup_size: 256
    .name:           _ZL32rocblas_syrkx_herkx_small_kernelIlfLi16ELb1ELb0ELc84ELc85EKffEviT_T0_PT6_S1_lS4_S1_lS2_PT7_S1_li
    .private_segment_fixed_size: 0
    .sgpr_count:     24
    .sgpr_spill_count: 0
    .symbol:         _ZL32rocblas_syrkx_herkx_small_kernelIlfLi16ELb1ELb0ELc84ELc85EKffEviT_T0_PT6_S1_lS4_S1_lS2_PT7_S1_li.kd
    .uniform_work_group_size: 1
    .uses_dynamic_stack: false
    .vgpr_count:     29
    .vgpr_spill_count: 0
    .wavefront_size: 32
    .workgroup_processor_mode: 1
  - .args:
      - .offset:         0
        .size:           4
        .value_kind:     by_value
      - .offset:         8
        .size:           8
        .value_kind:     by_value
      - .offset:         16
        .size:           4
        .value_kind:     by_value
      - .address_space:  global
        .offset:         24
        .size:           8
        .value_kind:     global_buffer
      - .offset:         32
        .size:           8
        .value_kind:     by_value
      - .offset:         40
        .size:           8
        .value_kind:     by_value
      - .address_space:  global
        .offset:         48
        .size:           8
        .value_kind:     global_buffer
      - .offset:         56
        .size:           8
        .value_kind:     by_value
      - .offset:         64
        .size:           8
        .value_kind:     by_value
      - .offset:         72
        .size:           4
        .value_kind:     by_value
      - .address_space:  global
        .offset:         80
        .size:           8
        .value_kind:     global_buffer
      - .offset:         88
        .size:           8
        .value_kind:     by_value
      - .offset:         96
        .size:           8
        .value_kind:     by_value
      - .offset:         104
        .size:           4
        .value_kind:     by_value
    .group_segment_fixed_size: 2048
    .kernarg_segment_align: 8
    .kernarg_segment_size: 108
    .language:       OpenCL C
    .language_version:
      - 2
      - 0
    .max_flat_workgroup_size: 256
    .name:           _ZL32rocblas_syrkx_herkx_small_kernelIlfLi16ELb1ELb0ELc67ELc85EKffEviT_T0_PT6_S1_lS4_S1_lS2_PT7_S1_li
    .private_segment_fixed_size: 0
    .sgpr_count:     24
    .sgpr_spill_count: 0
    .symbol:         _ZL32rocblas_syrkx_herkx_small_kernelIlfLi16ELb1ELb0ELc67ELc85EKffEviT_T0_PT6_S1_lS4_S1_lS2_PT7_S1_li.kd
    .uniform_work_group_size: 1
    .uses_dynamic_stack: false
    .vgpr_count:     29
    .vgpr_spill_count: 0
    .wavefront_size: 32
    .workgroup_processor_mode: 1
  - .args:
      - .offset:         0
        .size:           4
        .value_kind:     by_value
      - .offset:         8
        .size:           8
        .value_kind:     by_value
      - .offset:         16
        .size:           4
        .value_kind:     by_value
      - .address_space:  global
        .offset:         24
        .size:           8
        .value_kind:     global_buffer
      - .offset:         32
        .size:           8
        .value_kind:     by_value
      - .offset:         40
        .size:           8
        .value_kind:     by_value
      - .address_space:  global
        .offset:         48
        .size:           8
        .value_kind:     global_buffer
      - .offset:         56
        .size:           8
        .value_kind:     by_value
      - .offset:         64
        .size:           8
        .value_kind:     by_value
      - .offset:         72
        .size:           4
        .value_kind:     by_value
      - .address_space:  global
        .offset:         80
        .size:           8
        .value_kind:     global_buffer
      - .offset:         88
        .size:           8
        .value_kind:     by_value
      - .offset:         96
        .size:           8
        .value_kind:     by_value
      - .offset:         104
        .size:           4
        .value_kind:     by_value
    .group_segment_fixed_size: 2048
    .kernarg_segment_align: 8
    .kernarg_segment_size: 108
    .language:       OpenCL C
    .language_version:
      - 2
      - 0
    .max_flat_workgroup_size: 256
    .name:           _ZL32rocblas_syrkx_herkx_small_kernelIlfLi16ELb1ELb0ELc78ELc85EKffEviT_T0_PT6_S1_lS4_S1_lS2_PT7_S1_li
    .private_segment_fixed_size: 0
    .sgpr_count:     25
    .sgpr_spill_count: 0
    .symbol:         _ZL32rocblas_syrkx_herkx_small_kernelIlfLi16ELb1ELb0ELc78ELc85EKffEviT_T0_PT6_S1_lS4_S1_lS2_PT7_S1_li.kd
    .uniform_work_group_size: 1
    .uses_dynamic_stack: false
    .vgpr_count:     29
    .vgpr_spill_count: 0
    .wavefront_size: 32
    .workgroup_processor_mode: 1
  - .args:
      - .offset:         0
        .size:           4
        .value_kind:     by_value
      - .offset:         8
        .size:           8
        .value_kind:     by_value
      - .offset:         16
        .size:           4
        .value_kind:     by_value
      - .address_space:  global
        .offset:         24
        .size:           8
        .value_kind:     global_buffer
      - .offset:         32
        .size:           8
        .value_kind:     by_value
      - .offset:         40
        .size:           8
        .value_kind:     by_value
      - .address_space:  global
        .offset:         48
        .size:           8
        .value_kind:     global_buffer
      - .offset:         56
        .size:           8
        .value_kind:     by_value
      - .offset:         64
        .size:           8
        .value_kind:     by_value
      - .offset:         72
        .size:           4
        .value_kind:     by_value
      - .address_space:  global
        .offset:         80
        .size:           8
        .value_kind:     global_buffer
      - .offset:         88
        .size:           8
        .value_kind:     by_value
      - .offset:         96
        .size:           8
        .value_kind:     by_value
      - .offset:         104
        .size:           4
        .value_kind:     by_value
    .group_segment_fixed_size: 2048
    .kernarg_segment_align: 8
    .kernarg_segment_size: 108
    .language:       OpenCL C
    .language_version:
      - 2
      - 0
    .max_flat_workgroup_size: 256
    .name:           _ZL32rocblas_syrkx_herkx_small_kernelIlfLi16ELb0ELb0ELc84ELc76EKffEviT_T0_PT6_S1_lS4_S1_lS2_PT7_S1_li
    .private_segment_fixed_size: 0
    .sgpr_count:     24
    .sgpr_spill_count: 0
    .symbol:         _ZL32rocblas_syrkx_herkx_small_kernelIlfLi16ELb0ELb0ELc84ELc76EKffEviT_T0_PT6_S1_lS4_S1_lS2_PT7_S1_li.kd
    .uniform_work_group_size: 1
    .uses_dynamic_stack: false
    .vgpr_count:     29
    .vgpr_spill_count: 0
    .wavefront_size: 32
    .workgroup_processor_mode: 1
  - .args:
      - .offset:         0
        .size:           4
        .value_kind:     by_value
      - .offset:         8
        .size:           8
        .value_kind:     by_value
      - .offset:         16
        .size:           4
        .value_kind:     by_value
      - .address_space:  global
        .offset:         24
        .size:           8
        .value_kind:     global_buffer
      - .offset:         32
        .size:           8
        .value_kind:     by_value
      - .offset:         40
        .size:           8
        .value_kind:     by_value
      - .address_space:  global
        .offset:         48
        .size:           8
        .value_kind:     global_buffer
      - .offset:         56
        .size:           8
        .value_kind:     by_value
      - .offset:         64
        .size:           8
        .value_kind:     by_value
      - .offset:         72
        .size:           4
        .value_kind:     by_value
      - .address_space:  global
        .offset:         80
        .size:           8
        .value_kind:     global_buffer
      - .offset:         88
        .size:           8
        .value_kind:     by_value
      - .offset:         96
        .size:           8
        .value_kind:     by_value
      - .offset:         104
        .size:           4
        .value_kind:     by_value
    .group_segment_fixed_size: 2048
    .kernarg_segment_align: 8
    .kernarg_segment_size: 108
    .language:       OpenCL C
    .language_version:
      - 2
      - 0
    .max_flat_workgroup_size: 256
    .name:           _ZL32rocblas_syrkx_herkx_small_kernelIlfLi16ELb0ELb0ELc67ELc76EKffEviT_T0_PT6_S1_lS4_S1_lS2_PT7_S1_li
    .private_segment_fixed_size: 0
    .sgpr_count:     24
    .sgpr_spill_count: 0
    .symbol:         _ZL32rocblas_syrkx_herkx_small_kernelIlfLi16ELb0ELb0ELc67ELc76EKffEviT_T0_PT6_S1_lS4_S1_lS2_PT7_S1_li.kd
    .uniform_work_group_size: 1
    .uses_dynamic_stack: false
    .vgpr_count:     29
    .vgpr_spill_count: 0
    .wavefront_size: 32
    .workgroup_processor_mode: 1
  - .args:
      - .offset:         0
        .size:           4
        .value_kind:     by_value
      - .offset:         8
        .size:           8
        .value_kind:     by_value
      - .offset:         16
        .size:           4
        .value_kind:     by_value
      - .address_space:  global
        .offset:         24
        .size:           8
        .value_kind:     global_buffer
      - .offset:         32
        .size:           8
        .value_kind:     by_value
      - .offset:         40
        .size:           8
        .value_kind:     by_value
      - .address_space:  global
        .offset:         48
        .size:           8
        .value_kind:     global_buffer
      - .offset:         56
        .size:           8
        .value_kind:     by_value
      - .offset:         64
        .size:           8
        .value_kind:     by_value
      - .offset:         72
        .size:           4
        .value_kind:     by_value
      - .address_space:  global
        .offset:         80
        .size:           8
        .value_kind:     global_buffer
      - .offset:         88
        .size:           8
        .value_kind:     by_value
      - .offset:         96
        .size:           8
        .value_kind:     by_value
      - .offset:         104
        .size:           4
        .value_kind:     by_value
    .group_segment_fixed_size: 2048
    .kernarg_segment_align: 8
    .kernarg_segment_size: 108
    .language:       OpenCL C
    .language_version:
      - 2
      - 0
    .max_flat_workgroup_size: 256
    .name:           _ZL32rocblas_syrkx_herkx_small_kernelIlfLi16ELb0ELb0ELc78ELc76EKffEviT_T0_PT6_S1_lS4_S1_lS2_PT7_S1_li
    .private_segment_fixed_size: 0
    .sgpr_count:     25
    .sgpr_spill_count: 0
    .symbol:         _ZL32rocblas_syrkx_herkx_small_kernelIlfLi16ELb0ELb0ELc78ELc76EKffEviT_T0_PT6_S1_lS4_S1_lS2_PT7_S1_li.kd
    .uniform_work_group_size: 1
    .uses_dynamic_stack: false
    .vgpr_count:     29
    .vgpr_spill_count: 0
    .wavefront_size: 32
    .workgroup_processor_mode: 1
  - .args:
      - .offset:         0
        .size:           4
        .value_kind:     by_value
      - .offset:         8
        .size:           8
        .value_kind:     by_value
      - .offset:         16
        .size:           4
        .value_kind:     by_value
      - .address_space:  global
        .offset:         24
        .size:           8
        .value_kind:     global_buffer
      - .offset:         32
        .size:           8
        .value_kind:     by_value
      - .offset:         40
        .size:           8
        .value_kind:     by_value
      - .address_space:  global
        .offset:         48
        .size:           8
        .value_kind:     global_buffer
      - .offset:         56
        .size:           8
        .value_kind:     by_value
      - .offset:         64
        .size:           8
        .value_kind:     by_value
      - .offset:         72
        .size:           4
        .value_kind:     by_value
      - .address_space:  global
        .offset:         80
        .size:           8
        .value_kind:     global_buffer
      - .offset:         88
        .size:           8
        .value_kind:     by_value
      - .offset:         96
        .size:           8
        .value_kind:     by_value
      - .offset:         104
        .size:           4
        .value_kind:     by_value
    .group_segment_fixed_size: 2048
    .kernarg_segment_align: 8
    .kernarg_segment_size: 108
    .language:       OpenCL C
    .language_version:
      - 2
      - 0
    .max_flat_workgroup_size: 256
    .name:           _ZL32rocblas_syrkx_herkx_small_kernelIlfLi16ELb0ELb0ELc84ELc85EKffEviT_T0_PT6_S1_lS4_S1_lS2_PT7_S1_li
    .private_segment_fixed_size: 0
    .sgpr_count:     24
    .sgpr_spill_count: 0
    .symbol:         _ZL32rocblas_syrkx_herkx_small_kernelIlfLi16ELb0ELb0ELc84ELc85EKffEviT_T0_PT6_S1_lS4_S1_lS2_PT7_S1_li.kd
    .uniform_work_group_size: 1
    .uses_dynamic_stack: false
    .vgpr_count:     29
    .vgpr_spill_count: 0
    .wavefront_size: 32
    .workgroup_processor_mode: 1
  - .args:
      - .offset:         0
        .size:           4
        .value_kind:     by_value
      - .offset:         8
        .size:           8
        .value_kind:     by_value
      - .offset:         16
        .size:           4
        .value_kind:     by_value
      - .address_space:  global
        .offset:         24
        .size:           8
        .value_kind:     global_buffer
      - .offset:         32
        .size:           8
        .value_kind:     by_value
      - .offset:         40
        .size:           8
        .value_kind:     by_value
      - .address_space:  global
        .offset:         48
        .size:           8
        .value_kind:     global_buffer
      - .offset:         56
        .size:           8
        .value_kind:     by_value
      - .offset:         64
        .size:           8
        .value_kind:     by_value
      - .offset:         72
        .size:           4
        .value_kind:     by_value
      - .address_space:  global
        .offset:         80
        .size:           8
        .value_kind:     global_buffer
      - .offset:         88
        .size:           8
        .value_kind:     by_value
      - .offset:         96
        .size:           8
        .value_kind:     by_value
      - .offset:         104
        .size:           4
        .value_kind:     by_value
    .group_segment_fixed_size: 2048
    .kernarg_segment_align: 8
    .kernarg_segment_size: 108
    .language:       OpenCL C
    .language_version:
      - 2
      - 0
    .max_flat_workgroup_size: 256
    .name:           _ZL32rocblas_syrkx_herkx_small_kernelIlfLi16ELb0ELb0ELc67ELc85EKffEviT_T0_PT6_S1_lS4_S1_lS2_PT7_S1_li
    .private_segment_fixed_size: 0
    .sgpr_count:     24
    .sgpr_spill_count: 0
    .symbol:         _ZL32rocblas_syrkx_herkx_small_kernelIlfLi16ELb0ELb0ELc67ELc85EKffEviT_T0_PT6_S1_lS4_S1_lS2_PT7_S1_li.kd
    .uniform_work_group_size: 1
    .uses_dynamic_stack: false
    .vgpr_count:     29
    .vgpr_spill_count: 0
    .wavefront_size: 32
    .workgroup_processor_mode: 1
  - .args:
      - .offset:         0
        .size:           4
        .value_kind:     by_value
      - .offset:         8
        .size:           8
        .value_kind:     by_value
      - .offset:         16
        .size:           4
        .value_kind:     by_value
      - .address_space:  global
        .offset:         24
        .size:           8
        .value_kind:     global_buffer
      - .offset:         32
        .size:           8
        .value_kind:     by_value
      - .offset:         40
        .size:           8
        .value_kind:     by_value
      - .address_space:  global
        .offset:         48
        .size:           8
        .value_kind:     global_buffer
      - .offset:         56
        .size:           8
        .value_kind:     by_value
      - .offset:         64
        .size:           8
        .value_kind:     by_value
      - .offset:         72
        .size:           4
        .value_kind:     by_value
      - .address_space:  global
        .offset:         80
        .size:           8
        .value_kind:     global_buffer
      - .offset:         88
        .size:           8
        .value_kind:     by_value
      - .offset:         96
        .size:           8
        .value_kind:     by_value
      - .offset:         104
        .size:           4
        .value_kind:     by_value
    .group_segment_fixed_size: 2048
    .kernarg_segment_align: 8
    .kernarg_segment_size: 108
    .language:       OpenCL C
    .language_version:
      - 2
      - 0
    .max_flat_workgroup_size: 256
    .name:           _ZL32rocblas_syrkx_herkx_small_kernelIlfLi16ELb0ELb0ELc78ELc85EKffEviT_T0_PT6_S1_lS4_S1_lS2_PT7_S1_li
    .private_segment_fixed_size: 0
    .sgpr_count:     25
    .sgpr_spill_count: 0
    .symbol:         _ZL32rocblas_syrkx_herkx_small_kernelIlfLi16ELb0ELb0ELc78ELc85EKffEviT_T0_PT6_S1_lS4_S1_lS2_PT7_S1_li.kd
    .uniform_work_group_size: 1
    .uses_dynamic_stack: false
    .vgpr_count:     29
    .vgpr_spill_count: 0
    .wavefront_size: 32
    .workgroup_processor_mode: 1
  - .args:
      - .offset:         0
        .size:           4
        .value_kind:     by_value
      - .offset:         8
        .size:           8
        .value_kind:     by_value
      - .offset:         16
        .size:           4
        .value_kind:     by_value
      - .address_space:  global
        .offset:         24
        .size:           8
        .value_kind:     global_buffer
      - .offset:         32
        .size:           8
        .value_kind:     by_value
      - .offset:         40
        .size:           8
        .value_kind:     by_value
      - .address_space:  global
        .offset:         48
        .size:           8
        .value_kind:     global_buffer
      - .offset:         56
        .size:           8
        .value_kind:     by_value
      - .offset:         64
        .size:           8
        .value_kind:     by_value
      - .offset:         72
        .size:           4
        .value_kind:     by_value
      - .address_space:  global
        .offset:         80
        .size:           8
        .value_kind:     global_buffer
      - .offset:         88
        .size:           8
        .value_kind:     by_value
      - .offset:         96
        .size:           8
        .value_kind:     by_value
      - .offset:         104
        .size:           4
        .value_kind:     by_value
    .group_segment_fixed_size: 2048
    .kernarg_segment_align: 8
    .kernarg_segment_size: 108
    .language:       OpenCL C
    .language_version:
      - 2
      - 0
    .max_flat_workgroup_size: 256
    .name:           _ZL34rocblas_syrkx_herkx_general_kernelIlfLi16ELi32ELi8ELb1ELb0ELc84ELc76EKffEviT_T0_PT8_S1_lS4_S1_lS2_PT9_S1_li
    .private_segment_fixed_size: 0
    .sgpr_count:     24
    .sgpr_spill_count: 0
    .symbol:         _ZL34rocblas_syrkx_herkx_general_kernelIlfLi16ELi32ELi8ELb1ELb0ELc84ELc76EKffEviT_T0_PT8_S1_lS4_S1_lS2_PT9_S1_li.kd
    .uniform_work_group_size: 1
    .uses_dynamic_stack: false
    .vgpr_count:     44
    .vgpr_spill_count: 0
    .wavefront_size: 32
    .workgroup_processor_mode: 1
  - .args:
      - .offset:         0
        .size:           4
        .value_kind:     by_value
      - .offset:         8
        .size:           8
        .value_kind:     by_value
      - .offset:         16
        .size:           4
        .value_kind:     by_value
      - .address_space:  global
        .offset:         24
        .size:           8
        .value_kind:     global_buffer
      - .offset:         32
        .size:           8
        .value_kind:     by_value
      - .offset:         40
        .size:           8
        .value_kind:     by_value
      - .address_space:  global
        .offset:         48
        .size:           8
        .value_kind:     global_buffer
      - .offset:         56
        .size:           8
        .value_kind:     by_value
      - .offset:         64
        .size:           8
        .value_kind:     by_value
      - .offset:         72
        .size:           4
        .value_kind:     by_value
      - .address_space:  global
        .offset:         80
        .size:           8
        .value_kind:     global_buffer
      - .offset:         88
        .size:           8
        .value_kind:     by_value
      - .offset:         96
        .size:           8
        .value_kind:     by_value
      - .offset:         104
        .size:           4
        .value_kind:     by_value
    .group_segment_fixed_size: 2048
    .kernarg_segment_align: 8
    .kernarg_segment_size: 108
    .language:       OpenCL C
    .language_version:
      - 2
      - 0
    .max_flat_workgroup_size: 256
    .name:           _ZL34rocblas_syrkx_herkx_general_kernelIlfLi16ELi32ELi8ELb1ELb0ELc67ELc76EKffEviT_T0_PT8_S1_lS4_S1_lS2_PT9_S1_li
    .private_segment_fixed_size: 0
    .sgpr_count:     24
    .sgpr_spill_count: 0
    .symbol:         _ZL34rocblas_syrkx_herkx_general_kernelIlfLi16ELi32ELi8ELb1ELb0ELc67ELc76EKffEviT_T0_PT8_S1_lS4_S1_lS2_PT9_S1_li.kd
    .uniform_work_group_size: 1
    .uses_dynamic_stack: false
    .vgpr_count:     44
    .vgpr_spill_count: 0
    .wavefront_size: 32
    .workgroup_processor_mode: 1
  - .args:
      - .offset:         0
        .size:           4
        .value_kind:     by_value
      - .offset:         8
        .size:           8
        .value_kind:     by_value
      - .offset:         16
        .size:           4
        .value_kind:     by_value
      - .address_space:  global
        .offset:         24
        .size:           8
        .value_kind:     global_buffer
      - .offset:         32
        .size:           8
        .value_kind:     by_value
      - .offset:         40
        .size:           8
        .value_kind:     by_value
      - .address_space:  global
        .offset:         48
        .size:           8
        .value_kind:     global_buffer
      - .offset:         56
        .size:           8
        .value_kind:     by_value
      - .offset:         64
        .size:           8
        .value_kind:     by_value
      - .offset:         72
        .size:           4
        .value_kind:     by_value
      - .address_space:  global
        .offset:         80
        .size:           8
        .value_kind:     global_buffer
      - .offset:         88
        .size:           8
        .value_kind:     by_value
      - .offset:         96
        .size:           8
        .value_kind:     by_value
      - .offset:         104
        .size:           4
        .value_kind:     by_value
    .group_segment_fixed_size: 2048
    .kernarg_segment_align: 8
    .kernarg_segment_size: 108
    .language:       OpenCL C
    .language_version:
      - 2
      - 0
    .max_flat_workgroup_size: 256
    .name:           _ZL34rocblas_syrkx_herkx_general_kernelIlfLi16ELi32ELi8ELb1ELb0ELc78ELc76EKffEviT_T0_PT8_S1_lS4_S1_lS2_PT9_S1_li
    .private_segment_fixed_size: 0
    .sgpr_count:     26
    .sgpr_spill_count: 0
    .symbol:         _ZL34rocblas_syrkx_herkx_general_kernelIlfLi16ELi32ELi8ELb1ELb0ELc78ELc76EKffEviT_T0_PT8_S1_lS4_S1_lS2_PT9_S1_li.kd
    .uniform_work_group_size: 1
    .uses_dynamic_stack: false
    .vgpr_count:     44
    .vgpr_spill_count: 0
    .wavefront_size: 32
    .workgroup_processor_mode: 1
  - .args:
      - .offset:         0
        .size:           4
        .value_kind:     by_value
      - .offset:         8
        .size:           8
        .value_kind:     by_value
      - .offset:         16
        .size:           4
        .value_kind:     by_value
      - .address_space:  global
        .offset:         24
        .size:           8
        .value_kind:     global_buffer
      - .offset:         32
        .size:           8
        .value_kind:     by_value
      - .offset:         40
        .size:           8
        .value_kind:     by_value
      - .address_space:  global
        .offset:         48
        .size:           8
        .value_kind:     global_buffer
      - .offset:         56
        .size:           8
        .value_kind:     by_value
      - .offset:         64
        .size:           8
        .value_kind:     by_value
      - .offset:         72
        .size:           4
        .value_kind:     by_value
      - .address_space:  global
        .offset:         80
        .size:           8
        .value_kind:     global_buffer
      - .offset:         88
        .size:           8
        .value_kind:     by_value
      - .offset:         96
        .size:           8
        .value_kind:     by_value
      - .offset:         104
        .size:           4
        .value_kind:     by_value
    .group_segment_fixed_size: 2048
    .kernarg_segment_align: 8
    .kernarg_segment_size: 108
    .language:       OpenCL C
    .language_version:
      - 2
      - 0
    .max_flat_workgroup_size: 256
    .name:           _ZL34rocblas_syrkx_herkx_general_kernelIlfLi16ELi32ELi8ELb1ELb0ELc84ELc85EKffEviT_T0_PT8_S1_lS4_S1_lS2_PT9_S1_li
    .private_segment_fixed_size: 0
    .sgpr_count:     24
    .sgpr_spill_count: 0
    .symbol:         _ZL34rocblas_syrkx_herkx_general_kernelIlfLi16ELi32ELi8ELb1ELb0ELc84ELc85EKffEviT_T0_PT8_S1_lS4_S1_lS2_PT9_S1_li.kd
    .uniform_work_group_size: 1
    .uses_dynamic_stack: false
    .vgpr_count:     44
    .vgpr_spill_count: 0
    .wavefront_size: 32
    .workgroup_processor_mode: 1
  - .args:
      - .offset:         0
        .size:           4
        .value_kind:     by_value
      - .offset:         8
        .size:           8
        .value_kind:     by_value
      - .offset:         16
        .size:           4
        .value_kind:     by_value
      - .address_space:  global
        .offset:         24
        .size:           8
        .value_kind:     global_buffer
      - .offset:         32
        .size:           8
        .value_kind:     by_value
      - .offset:         40
        .size:           8
        .value_kind:     by_value
      - .address_space:  global
        .offset:         48
        .size:           8
        .value_kind:     global_buffer
      - .offset:         56
        .size:           8
        .value_kind:     by_value
      - .offset:         64
        .size:           8
        .value_kind:     by_value
      - .offset:         72
        .size:           4
        .value_kind:     by_value
      - .address_space:  global
        .offset:         80
        .size:           8
        .value_kind:     global_buffer
      - .offset:         88
        .size:           8
        .value_kind:     by_value
      - .offset:         96
        .size:           8
        .value_kind:     by_value
      - .offset:         104
        .size:           4
        .value_kind:     by_value
    .group_segment_fixed_size: 2048
    .kernarg_segment_align: 8
    .kernarg_segment_size: 108
    .language:       OpenCL C
    .language_version:
      - 2
      - 0
    .max_flat_workgroup_size: 256
    .name:           _ZL34rocblas_syrkx_herkx_general_kernelIlfLi16ELi32ELi8ELb1ELb0ELc67ELc85EKffEviT_T0_PT8_S1_lS4_S1_lS2_PT9_S1_li
    .private_segment_fixed_size: 0
    .sgpr_count:     24
    .sgpr_spill_count: 0
    .symbol:         _ZL34rocblas_syrkx_herkx_general_kernelIlfLi16ELi32ELi8ELb1ELb0ELc67ELc85EKffEviT_T0_PT8_S1_lS4_S1_lS2_PT9_S1_li.kd
    .uniform_work_group_size: 1
    .uses_dynamic_stack: false
    .vgpr_count:     44
    .vgpr_spill_count: 0
    .wavefront_size: 32
    .workgroup_processor_mode: 1
  - .args:
      - .offset:         0
        .size:           4
        .value_kind:     by_value
      - .offset:         8
        .size:           8
        .value_kind:     by_value
      - .offset:         16
        .size:           4
        .value_kind:     by_value
      - .address_space:  global
        .offset:         24
        .size:           8
        .value_kind:     global_buffer
      - .offset:         32
        .size:           8
        .value_kind:     by_value
      - .offset:         40
        .size:           8
        .value_kind:     by_value
      - .address_space:  global
        .offset:         48
        .size:           8
        .value_kind:     global_buffer
      - .offset:         56
        .size:           8
        .value_kind:     by_value
      - .offset:         64
        .size:           8
        .value_kind:     by_value
      - .offset:         72
        .size:           4
        .value_kind:     by_value
      - .address_space:  global
        .offset:         80
        .size:           8
        .value_kind:     global_buffer
      - .offset:         88
        .size:           8
        .value_kind:     by_value
      - .offset:         96
        .size:           8
        .value_kind:     by_value
      - .offset:         104
        .size:           4
        .value_kind:     by_value
    .group_segment_fixed_size: 2048
    .kernarg_segment_align: 8
    .kernarg_segment_size: 108
    .language:       OpenCL C
    .language_version:
      - 2
      - 0
    .max_flat_workgroup_size: 256
    .name:           _ZL34rocblas_syrkx_herkx_general_kernelIlfLi16ELi32ELi8ELb1ELb0ELc78ELc85EKffEviT_T0_PT8_S1_lS4_S1_lS2_PT9_S1_li
    .private_segment_fixed_size: 0
    .sgpr_count:     26
    .sgpr_spill_count: 0
    .symbol:         _ZL34rocblas_syrkx_herkx_general_kernelIlfLi16ELi32ELi8ELb1ELb0ELc78ELc85EKffEviT_T0_PT8_S1_lS4_S1_lS2_PT9_S1_li.kd
    .uniform_work_group_size: 1
    .uses_dynamic_stack: false
    .vgpr_count:     44
    .vgpr_spill_count: 0
    .wavefront_size: 32
    .workgroup_processor_mode: 1
  - .args:
      - .offset:         0
        .size:           4
        .value_kind:     by_value
      - .offset:         8
        .size:           8
        .value_kind:     by_value
      - .offset:         16
        .size:           4
        .value_kind:     by_value
      - .address_space:  global
        .offset:         24
        .size:           8
        .value_kind:     global_buffer
      - .offset:         32
        .size:           8
        .value_kind:     by_value
      - .offset:         40
        .size:           8
        .value_kind:     by_value
      - .address_space:  global
        .offset:         48
        .size:           8
        .value_kind:     global_buffer
      - .offset:         56
        .size:           8
        .value_kind:     by_value
      - .offset:         64
        .size:           8
        .value_kind:     by_value
      - .offset:         72
        .size:           4
        .value_kind:     by_value
      - .address_space:  global
        .offset:         80
        .size:           8
        .value_kind:     global_buffer
      - .offset:         88
        .size:           8
        .value_kind:     by_value
      - .offset:         96
        .size:           8
        .value_kind:     by_value
      - .offset:         104
        .size:           4
        .value_kind:     by_value
    .group_segment_fixed_size: 2048
    .kernarg_segment_align: 8
    .kernarg_segment_size: 108
    .language:       OpenCL C
    .language_version:
      - 2
      - 0
    .max_flat_workgroup_size: 256
    .name:           _ZL34rocblas_syrkx_herkx_general_kernelIlfLi16ELi32ELi8ELb0ELb0ELc84ELc76EKffEviT_T0_PT8_S1_lS4_S1_lS2_PT9_S1_li
    .private_segment_fixed_size: 0
    .sgpr_count:     24
    .sgpr_spill_count: 0
    .symbol:         _ZL34rocblas_syrkx_herkx_general_kernelIlfLi16ELi32ELi8ELb0ELb0ELc84ELc76EKffEviT_T0_PT8_S1_lS4_S1_lS2_PT9_S1_li.kd
    .uniform_work_group_size: 1
    .uses_dynamic_stack: false
    .vgpr_count:     44
    .vgpr_spill_count: 0
    .wavefront_size: 32
    .workgroup_processor_mode: 1
  - .args:
      - .offset:         0
        .size:           4
        .value_kind:     by_value
      - .offset:         8
        .size:           8
        .value_kind:     by_value
      - .offset:         16
        .size:           4
        .value_kind:     by_value
      - .address_space:  global
        .offset:         24
        .size:           8
        .value_kind:     global_buffer
      - .offset:         32
        .size:           8
        .value_kind:     by_value
      - .offset:         40
        .size:           8
        .value_kind:     by_value
      - .address_space:  global
        .offset:         48
        .size:           8
        .value_kind:     global_buffer
      - .offset:         56
        .size:           8
        .value_kind:     by_value
      - .offset:         64
        .size:           8
        .value_kind:     by_value
      - .offset:         72
        .size:           4
        .value_kind:     by_value
      - .address_space:  global
        .offset:         80
        .size:           8
        .value_kind:     global_buffer
      - .offset:         88
        .size:           8
        .value_kind:     by_value
      - .offset:         96
        .size:           8
        .value_kind:     by_value
      - .offset:         104
        .size:           4
        .value_kind:     by_value
    .group_segment_fixed_size: 2048
    .kernarg_segment_align: 8
    .kernarg_segment_size: 108
    .language:       OpenCL C
    .language_version:
      - 2
      - 0
    .max_flat_workgroup_size: 256
    .name:           _ZL34rocblas_syrkx_herkx_general_kernelIlfLi16ELi32ELi8ELb0ELb0ELc67ELc76EKffEviT_T0_PT8_S1_lS4_S1_lS2_PT9_S1_li
    .private_segment_fixed_size: 0
    .sgpr_count:     24
    .sgpr_spill_count: 0
    .symbol:         _ZL34rocblas_syrkx_herkx_general_kernelIlfLi16ELi32ELi8ELb0ELb0ELc67ELc76EKffEviT_T0_PT8_S1_lS4_S1_lS2_PT9_S1_li.kd
    .uniform_work_group_size: 1
    .uses_dynamic_stack: false
    .vgpr_count:     44
    .vgpr_spill_count: 0
    .wavefront_size: 32
    .workgroup_processor_mode: 1
  - .args:
      - .offset:         0
        .size:           4
        .value_kind:     by_value
      - .offset:         8
        .size:           8
        .value_kind:     by_value
      - .offset:         16
        .size:           4
        .value_kind:     by_value
      - .address_space:  global
        .offset:         24
        .size:           8
        .value_kind:     global_buffer
      - .offset:         32
        .size:           8
        .value_kind:     by_value
      - .offset:         40
        .size:           8
        .value_kind:     by_value
      - .address_space:  global
        .offset:         48
        .size:           8
        .value_kind:     global_buffer
      - .offset:         56
        .size:           8
        .value_kind:     by_value
      - .offset:         64
        .size:           8
        .value_kind:     by_value
      - .offset:         72
        .size:           4
        .value_kind:     by_value
      - .address_space:  global
        .offset:         80
        .size:           8
        .value_kind:     global_buffer
      - .offset:         88
        .size:           8
        .value_kind:     by_value
      - .offset:         96
        .size:           8
        .value_kind:     by_value
      - .offset:         104
        .size:           4
        .value_kind:     by_value
    .group_segment_fixed_size: 2048
    .kernarg_segment_align: 8
    .kernarg_segment_size: 108
    .language:       OpenCL C
    .language_version:
      - 2
      - 0
    .max_flat_workgroup_size: 256
    .name:           _ZL34rocblas_syrkx_herkx_general_kernelIlfLi16ELi32ELi8ELb0ELb0ELc78ELc76EKffEviT_T0_PT8_S1_lS4_S1_lS2_PT9_S1_li
    .private_segment_fixed_size: 0
    .sgpr_count:     26
    .sgpr_spill_count: 0
    .symbol:         _ZL34rocblas_syrkx_herkx_general_kernelIlfLi16ELi32ELi8ELb0ELb0ELc78ELc76EKffEviT_T0_PT8_S1_lS4_S1_lS2_PT9_S1_li.kd
    .uniform_work_group_size: 1
    .uses_dynamic_stack: false
    .vgpr_count:     44
    .vgpr_spill_count: 0
    .wavefront_size: 32
    .workgroup_processor_mode: 1
  - .args:
      - .offset:         0
        .size:           4
        .value_kind:     by_value
      - .offset:         8
        .size:           8
        .value_kind:     by_value
      - .offset:         16
        .size:           4
        .value_kind:     by_value
      - .address_space:  global
        .offset:         24
        .size:           8
        .value_kind:     global_buffer
      - .offset:         32
        .size:           8
        .value_kind:     by_value
      - .offset:         40
        .size:           8
        .value_kind:     by_value
      - .address_space:  global
        .offset:         48
        .size:           8
        .value_kind:     global_buffer
      - .offset:         56
        .size:           8
        .value_kind:     by_value
      - .offset:         64
        .size:           8
        .value_kind:     by_value
      - .offset:         72
        .size:           4
        .value_kind:     by_value
      - .address_space:  global
        .offset:         80
        .size:           8
        .value_kind:     global_buffer
      - .offset:         88
        .size:           8
        .value_kind:     by_value
      - .offset:         96
        .size:           8
        .value_kind:     by_value
      - .offset:         104
        .size:           4
        .value_kind:     by_value
    .group_segment_fixed_size: 2048
    .kernarg_segment_align: 8
    .kernarg_segment_size: 108
    .language:       OpenCL C
    .language_version:
      - 2
      - 0
    .max_flat_workgroup_size: 256
    .name:           _ZL34rocblas_syrkx_herkx_general_kernelIlfLi16ELi32ELi8ELb0ELb0ELc84ELc85EKffEviT_T0_PT8_S1_lS4_S1_lS2_PT9_S1_li
    .private_segment_fixed_size: 0
    .sgpr_count:     24
    .sgpr_spill_count: 0
    .symbol:         _ZL34rocblas_syrkx_herkx_general_kernelIlfLi16ELi32ELi8ELb0ELb0ELc84ELc85EKffEviT_T0_PT8_S1_lS4_S1_lS2_PT9_S1_li.kd
    .uniform_work_group_size: 1
    .uses_dynamic_stack: false
    .vgpr_count:     44
    .vgpr_spill_count: 0
    .wavefront_size: 32
    .workgroup_processor_mode: 1
  - .args:
      - .offset:         0
        .size:           4
        .value_kind:     by_value
      - .offset:         8
        .size:           8
        .value_kind:     by_value
      - .offset:         16
        .size:           4
        .value_kind:     by_value
      - .address_space:  global
        .offset:         24
        .size:           8
        .value_kind:     global_buffer
      - .offset:         32
        .size:           8
        .value_kind:     by_value
      - .offset:         40
        .size:           8
        .value_kind:     by_value
      - .address_space:  global
        .offset:         48
        .size:           8
        .value_kind:     global_buffer
      - .offset:         56
        .size:           8
        .value_kind:     by_value
      - .offset:         64
        .size:           8
        .value_kind:     by_value
      - .offset:         72
        .size:           4
        .value_kind:     by_value
      - .address_space:  global
        .offset:         80
        .size:           8
        .value_kind:     global_buffer
      - .offset:         88
        .size:           8
        .value_kind:     by_value
      - .offset:         96
        .size:           8
        .value_kind:     by_value
      - .offset:         104
        .size:           4
        .value_kind:     by_value
    .group_segment_fixed_size: 2048
    .kernarg_segment_align: 8
    .kernarg_segment_size: 108
    .language:       OpenCL C
    .language_version:
      - 2
      - 0
    .max_flat_workgroup_size: 256
    .name:           _ZL34rocblas_syrkx_herkx_general_kernelIlfLi16ELi32ELi8ELb0ELb0ELc67ELc85EKffEviT_T0_PT8_S1_lS4_S1_lS2_PT9_S1_li
    .private_segment_fixed_size: 0
    .sgpr_count:     24
    .sgpr_spill_count: 0
    .symbol:         _ZL34rocblas_syrkx_herkx_general_kernelIlfLi16ELi32ELi8ELb0ELb0ELc67ELc85EKffEviT_T0_PT8_S1_lS4_S1_lS2_PT9_S1_li.kd
    .uniform_work_group_size: 1
    .uses_dynamic_stack: false
    .vgpr_count:     44
    .vgpr_spill_count: 0
    .wavefront_size: 32
    .workgroup_processor_mode: 1
  - .args:
      - .offset:         0
        .size:           4
        .value_kind:     by_value
      - .offset:         8
        .size:           8
        .value_kind:     by_value
      - .offset:         16
        .size:           4
        .value_kind:     by_value
      - .address_space:  global
        .offset:         24
        .size:           8
        .value_kind:     global_buffer
      - .offset:         32
        .size:           8
        .value_kind:     by_value
      - .offset:         40
        .size:           8
        .value_kind:     by_value
      - .address_space:  global
        .offset:         48
        .size:           8
        .value_kind:     global_buffer
      - .offset:         56
        .size:           8
        .value_kind:     by_value
      - .offset:         64
        .size:           8
        .value_kind:     by_value
      - .offset:         72
        .size:           4
        .value_kind:     by_value
      - .address_space:  global
        .offset:         80
        .size:           8
        .value_kind:     global_buffer
      - .offset:         88
        .size:           8
        .value_kind:     by_value
      - .offset:         96
        .size:           8
        .value_kind:     by_value
      - .offset:         104
        .size:           4
        .value_kind:     by_value
    .group_segment_fixed_size: 2048
    .kernarg_segment_align: 8
    .kernarg_segment_size: 108
    .language:       OpenCL C
    .language_version:
      - 2
      - 0
    .max_flat_workgroup_size: 256
    .name:           _ZL34rocblas_syrkx_herkx_general_kernelIlfLi16ELi32ELi8ELb0ELb0ELc78ELc85EKffEviT_T0_PT8_S1_lS4_S1_lS2_PT9_S1_li
    .private_segment_fixed_size: 0
    .sgpr_count:     26
    .sgpr_spill_count: 0
    .symbol:         _ZL34rocblas_syrkx_herkx_general_kernelIlfLi16ELi32ELi8ELb0ELb0ELc78ELc85EKffEviT_T0_PT8_S1_lS4_S1_lS2_PT9_S1_li.kd
    .uniform_work_group_size: 1
    .uses_dynamic_stack: false
    .vgpr_count:     44
    .vgpr_spill_count: 0
    .wavefront_size: 32
    .workgroup_processor_mode: 1
  - .args:
      - .offset:         0
        .size:           1
        .value_kind:     by_value
      - .offset:         4
        .size:           4
        .value_kind:     by_value
      - .offset:         8
        .size:           8
        .value_kind:     by_value
      - .offset:         16
        .size:           4
        .value_kind:     by_value
      - .offset:         20
        .size:           4
        .value_kind:     by_value
      - .address_space:  global
        .offset:         24
        .size:           8
        .value_kind:     global_buffer
      - .offset:         32
        .size:           8
        .value_kind:     by_value
      - .offset:         40
        .size:           8
        .value_kind:     by_value
      - .offset:         48
        .size:           4
        .value_kind:     by_value
      - .offset:         56
        .size:           4
        .value_kind:     hidden_block_count_x
      - .offset:         60
        .size:           4
        .value_kind:     hidden_block_count_y
      - .offset:         64
        .size:           4
        .value_kind:     hidden_block_count_z
      - .offset:         68
        .size:           2
        .value_kind:     hidden_group_size_x
      - .offset:         70
        .size:           2
        .value_kind:     hidden_group_size_y
      - .offset:         72
        .size:           2
        .value_kind:     hidden_group_size_z
      - .offset:         74
        .size:           2
        .value_kind:     hidden_remainder_x
      - .offset:         76
        .size:           2
        .value_kind:     hidden_remainder_y
      - .offset:         78
        .size:           2
        .value_kind:     hidden_remainder_z
      - .offset:         96
        .size:           8
        .value_kind:     hidden_global_offset_x
      - .offset:         104
        .size:           8
        .value_kind:     hidden_global_offset_y
      - .offset:         112
        .size:           8
        .value_kind:     hidden_global_offset_z
      - .offset:         120
        .size:           2
        .value_kind:     hidden_grid_dims
    .group_segment_fixed_size: 0
    .kernarg_segment_align: 8
    .kernarg_segment_size: 312
    .language:       OpenCL C
    .language_version:
      - 2
      - 0
    .max_flat_workgroup_size: 1024
    .name:           _ZL26rocblas_syr2k_scale_kernelIlLi128ELi8ELb0EffPfEvbiT_T3_T4_T5_S1_li
    .private_segment_fixed_size: 0
    .sgpr_count:     18
    .sgpr_spill_count: 0
    .symbol:         _ZL26rocblas_syr2k_scale_kernelIlLi128ELi8ELb0EffPfEvbiT_T3_T4_T5_S1_li.kd
    .uniform_work_group_size: 1
    .uses_dynamic_stack: false
    .vgpr_count:     6
    .vgpr_spill_count: 0
    .wavefront_size: 32
    .workgroup_processor_mode: 1
  - .args:
      - .offset:         0
        .size:           1
        .value_kind:     by_value
      - .offset:         4
        .size:           4
        .value_kind:     by_value
      - .offset:         8
        .size:           8
        .value_kind:     by_value
      - .address_space:  global
        .offset:         16
        .size:           8
        .value_kind:     global_buffer
      - .address_space:  global
        .offset:         24
        .size:           8
        .value_kind:     global_buffer
      - .offset:         32
        .size:           8
        .value_kind:     by_value
      - .offset:         40
        .size:           8
        .value_kind:     by_value
      - .address_space:  global
        .offset:         48
        .size:           8
        .value_kind:     global_buffer
      - .offset:         56
        .size:           8
        .value_kind:     by_value
      - .offset:         64
        .size:           8
        .value_kind:     by_value
      - .address_space:  global
        .offset:         72
        .size:           8
        .value_kind:     global_buffer
      - .offset:         80
        .size:           8
        .value_kind:     by_value
      - .offset:         88
        .size:           8
        .value_kind:     by_value
      - .offset:         96
        .size:           4
        .value_kind:     by_value
    .group_segment_fixed_size: 8192
    .kernarg_segment_align: 8
    .kernarg_segment_size: 100
    .language:       OpenCL C
    .language_version:
      - 2
      - 0
    .max_flat_workgroup_size: 1024
    .name:           _ZL26rocblas_syr2k_her2k_kernelIlLb0ELb0ELb0ELi32EPKfS1_PfEvbiT_T4_T5_S3_lS5_S3_lT6_S3_li
    .private_segment_fixed_size: 0
    .sgpr_count:     34
    .sgpr_spill_count: 0
    .symbol:         _ZL26rocblas_syr2k_her2k_kernelIlLb0ELb0ELb0ELi32EPKfS1_PfEvbiT_T4_T5_S3_lS5_S3_lT6_S3_li.kd
    .uniform_work_group_size: 1
    .uses_dynamic_stack: false
    .vgpr_count:     31
    .vgpr_spill_count: 0
    .wavefront_size: 32
    .workgroup_processor_mode: 1
  - .args:
      - .offset:         0
        .size:           1
        .value_kind:     by_value
      - .offset:         4
        .size:           4
        .value_kind:     by_value
      - .offset:         8
        .size:           8
        .value_kind:     by_value
      - .address_space:  global
        .offset:         16
        .size:           8
        .value_kind:     global_buffer
      - .address_space:  global
        .offset:         24
        .size:           8
        .value_kind:     global_buffer
      - .offset:         32
        .size:           8
        .value_kind:     by_value
      - .offset:         40
        .size:           8
        .value_kind:     by_value
      - .address_space:  global
        .offset:         48
        .size:           8
        .value_kind:     global_buffer
      - .offset:         56
        .size:           8
        .value_kind:     by_value
      - .offset:         64
        .size:           8
        .value_kind:     by_value
      - .address_space:  global
        .offset:         72
        .size:           8
        .value_kind:     global_buffer
      - .offset:         80
        .size:           8
        .value_kind:     by_value
      - .offset:         88
        .size:           8
        .value_kind:     by_value
      - .offset:         96
        .size:           4
        .value_kind:     by_value
    .group_segment_fixed_size: 8192
    .kernarg_segment_align: 8
    .kernarg_segment_size: 100
    .language:       OpenCL C
    .language_version:
      - 2
      - 0
    .max_flat_workgroup_size: 1024
    .name:           _ZL26rocblas_syr2k_her2k_kernelIlLb0ELb0ELb1ELi32EPKfS1_PfEvbiT_T4_T5_S3_lS5_S3_lT6_S3_li
    .private_segment_fixed_size: 0
    .sgpr_count:     34
    .sgpr_spill_count: 0
    .symbol:         _ZL26rocblas_syr2k_her2k_kernelIlLb0ELb0ELb1ELi32EPKfS1_PfEvbiT_T4_T5_S3_lS5_S3_lT6_S3_li.kd
    .uniform_work_group_size: 1
    .uses_dynamic_stack: false
    .vgpr_count:     31
    .vgpr_spill_count: 0
    .wavefront_size: 32
    .workgroup_processor_mode: 1
  - .args:
      - .offset:         0
        .size:           1
        .value_kind:     by_value
      - .offset:         4
        .size:           4
        .value_kind:     by_value
      - .offset:         8
        .size:           8
        .value_kind:     by_value
      - .offset:         16
        .size:           8
        .value_kind:     by_value
      - .address_space:  global
        .offset:         24
        .size:           8
        .value_kind:     global_buffer
      - .offset:         32
        .size:           8
        .value_kind:     by_value
      - .offset:         40
        .size:           8
        .value_kind:     by_value
      - .address_space:  global
        .offset:         48
        .size:           8
        .value_kind:     global_buffer
      - .offset:         56
        .size:           8
        .value_kind:     by_value
      - .offset:         64
        .size:           8
        .value_kind:     by_value
      - .address_space:  global
        .offset:         72
        .size:           8
        .value_kind:     global_buffer
      - .offset:         80
        .size:           8
        .value_kind:     by_value
      - .offset:         88
        .size:           8
        .value_kind:     by_value
      - .offset:         96
        .size:           4
        .value_kind:     by_value
    .group_segment_fixed_size: 16384
    .kernarg_segment_align: 8
    .kernarg_segment_size: 100
    .language:       OpenCL C
    .language_version:
      - 2
      - 0
    .max_flat_workgroup_size: 1024
    .name:           _ZL26rocblas_syr2k_her2k_kernelIlLb0ELb0ELb0ELi32EdPKdPdEvbiT_T4_T5_S3_lS5_S3_lT6_S3_li
    .private_segment_fixed_size: 0
    .sgpr_count:     34
    .sgpr_spill_count: 0
    .symbol:         _ZL26rocblas_syr2k_her2k_kernelIlLb0ELb0ELb0ELi32EdPKdPdEvbiT_T4_T5_S3_lS5_S3_lT6_S3_li.kd
    .uniform_work_group_size: 1
    .uses_dynamic_stack: false
    .vgpr_count:     31
    .vgpr_spill_count: 0
    .wavefront_size: 32
    .workgroup_processor_mode: 1
  - .args:
      - .offset:         0
        .size:           1
        .value_kind:     by_value
      - .offset:         4
        .size:           4
        .value_kind:     by_value
      - .offset:         8
        .size:           8
        .value_kind:     by_value
      - .offset:         16
        .size:           8
        .value_kind:     by_value
      - .address_space:  global
        .offset:         24
        .size:           8
        .value_kind:     global_buffer
      - .offset:         32
        .size:           8
        .value_kind:     by_value
      - .offset:         40
        .size:           8
        .value_kind:     by_value
      - .address_space:  global
        .offset:         48
        .size:           8
        .value_kind:     global_buffer
      - .offset:         56
        .size:           8
        .value_kind:     by_value
      - .offset:         64
        .size:           8
        .value_kind:     by_value
      - .address_space:  global
        .offset:         72
        .size:           8
        .value_kind:     global_buffer
      - .offset:         80
        .size:           8
        .value_kind:     by_value
      - .offset:         88
        .size:           8
        .value_kind:     by_value
      - .offset:         96
        .size:           4
        .value_kind:     by_value
    .group_segment_fixed_size: 16384
    .kernarg_segment_align: 8
    .kernarg_segment_size: 100
    .language:       OpenCL C
    .language_version:
      - 2
      - 0
    .max_flat_workgroup_size: 1024
    .name:           _ZL26rocblas_syr2k_her2k_kernelIlLb0ELb0ELb1ELi32EdPKdPdEvbiT_T4_T5_S3_lS5_S3_lT6_S3_li
    .private_segment_fixed_size: 0
    .sgpr_count:     34
    .sgpr_spill_count: 0
    .symbol:         _ZL26rocblas_syr2k_her2k_kernelIlLb0ELb0ELb1ELi32EdPKdPdEvbiT_T4_T5_S3_lS5_S3_lT6_S3_li.kd
    .uniform_work_group_size: 1
    .uses_dynamic_stack: false
    .vgpr_count:     31
    .vgpr_spill_count: 0
    .wavefront_size: 32
    .workgroup_processor_mode: 1
  - .args:
      - .offset:         0
        .size:           4
        .value_kind:     by_value
      - .offset:         8
        .size:           8
        .value_kind:     by_value
      - .address_space:  global
        .offset:         16
        .size:           8
        .value_kind:     global_buffer
      - .offset:         24
        .size:           8
        .value_kind:     by_value
      - .offset:         32
        .size:           8
        .value_kind:     by_value
      - .address_space:  global
        .offset:         40
        .size:           8
        .value_kind:     global_buffer
      - .offset:         48
        .size:           8
        .value_kind:     by_value
      - .offset:         56
        .size:           8
        .value_kind:     by_value
      - .address_space:  global
        .offset:         64
        .size:           8
        .value_kind:     global_buffer
      - .offset:         72
        .size:           8
        .value_kind:     by_value
      - .offset:         80
        .size:           8
        .value_kind:     by_value
      - .offset:         88
        .size:           4
        .value_kind:     by_value
    .group_segment_fixed_size: 4096
    .kernarg_segment_align: 8
    .kernarg_segment_size: 92
    .language:       OpenCL C
    .language_version:
      - 2
      - 0
    .max_flat_workgroup_size: 256
    .name:           _ZL37rocblas_syrkx_herkx_restricted_kernelIldLi16ELi32ELi8ELi1ELi1ELb0ELc84ELc76EKddEviT_PT9_S1_lS3_S1_lPT10_S1_li
    .private_segment_fixed_size: 0
    .sgpr_count:     34
    .sgpr_spill_count: 0
    .symbol:         _ZL37rocblas_syrkx_herkx_restricted_kernelIldLi16ELi32ELi8ELi1ELi1ELb0ELc84ELc76EKddEviT_PT9_S1_lS3_S1_lPT10_S1_li.kd
    .uniform_work_group_size: 1
    .uses_dynamic_stack: false
    .vgpr_count:     38
    .vgpr_spill_count: 0
    .wavefront_size: 32
    .workgroup_processor_mode: 1
  - .args:
      - .offset:         0
        .size:           4
        .value_kind:     by_value
      - .offset:         8
        .size:           8
        .value_kind:     by_value
      - .address_space:  global
        .offset:         16
        .size:           8
        .value_kind:     global_buffer
      - .offset:         24
        .size:           8
        .value_kind:     by_value
      - .offset:         32
        .size:           8
        .value_kind:     by_value
      - .address_space:  global
        .offset:         40
        .size:           8
        .value_kind:     global_buffer
      - .offset:         48
        .size:           8
        .value_kind:     by_value
      - .offset:         56
        .size:           8
        .value_kind:     by_value
      - .address_space:  global
        .offset:         64
        .size:           8
        .value_kind:     global_buffer
      - .offset:         72
        .size:           8
        .value_kind:     by_value
      - .offset:         80
        .size:           8
        .value_kind:     by_value
      - .offset:         88
        .size:           4
        .value_kind:     by_value
    .group_segment_fixed_size: 4096
    .kernarg_segment_align: 8
    .kernarg_segment_size: 92
    .language:       OpenCL C
    .language_version:
      - 2
      - 0
    .max_flat_workgroup_size: 256
    .name:           _ZL37rocblas_syrkx_herkx_restricted_kernelIldLi16ELi32ELi8ELi1ELi1ELb0ELc67ELc76EKddEviT_PT9_S1_lS3_S1_lPT10_S1_li
    .private_segment_fixed_size: 0
    .sgpr_count:     34
    .sgpr_spill_count: 0
    .symbol:         _ZL37rocblas_syrkx_herkx_restricted_kernelIldLi16ELi32ELi8ELi1ELi1ELb0ELc67ELc76EKddEviT_PT9_S1_lS3_S1_lPT10_S1_li.kd
    .uniform_work_group_size: 1
    .uses_dynamic_stack: false
    .vgpr_count:     38
    .vgpr_spill_count: 0
    .wavefront_size: 32
    .workgroup_processor_mode: 1
  - .args:
      - .offset:         0
        .size:           4
        .value_kind:     by_value
      - .offset:         8
        .size:           8
        .value_kind:     by_value
      - .address_space:  global
        .offset:         16
        .size:           8
        .value_kind:     global_buffer
      - .offset:         24
        .size:           8
        .value_kind:     by_value
      - .offset:         32
        .size:           8
        .value_kind:     by_value
      - .address_space:  global
        .offset:         40
        .size:           8
        .value_kind:     global_buffer
      - .offset:         48
        .size:           8
        .value_kind:     by_value
      - .offset:         56
        .size:           8
        .value_kind:     by_value
      - .address_space:  global
        .offset:         64
        .size:           8
        .value_kind:     global_buffer
      - .offset:         72
        .size:           8
        .value_kind:     by_value
      - .offset:         80
        .size:           8
        .value_kind:     by_value
      - .offset:         88
        .size:           4
        .value_kind:     by_value
    .group_segment_fixed_size: 4096
    .kernarg_segment_align: 8
    .kernarg_segment_size: 92
    .language:       OpenCL C
    .language_version:
      - 2
      - 0
    .max_flat_workgroup_size: 256
    .name:           _ZL37rocblas_syrkx_herkx_restricted_kernelIldLi16ELi32ELi8ELi1ELi1ELb0ELc78ELc76EKddEviT_PT9_S1_lS3_S1_lPT10_S1_li
    .private_segment_fixed_size: 0
    .sgpr_count:     34
    .sgpr_spill_count: 0
    .symbol:         _ZL37rocblas_syrkx_herkx_restricted_kernelIldLi16ELi32ELi8ELi1ELi1ELb0ELc78ELc76EKddEviT_PT9_S1_lS3_S1_lPT10_S1_li.kd
    .uniform_work_group_size: 1
    .uses_dynamic_stack: false
    .vgpr_count:     38
    .vgpr_spill_count: 0
    .wavefront_size: 32
    .workgroup_processor_mode: 1
  - .args:
      - .offset:         0
        .size:           4
        .value_kind:     by_value
      - .offset:         8
        .size:           8
        .value_kind:     by_value
      - .address_space:  global
        .offset:         16
        .size:           8
        .value_kind:     global_buffer
      - .offset:         24
        .size:           8
        .value_kind:     by_value
      - .offset:         32
        .size:           8
        .value_kind:     by_value
      - .address_space:  global
        .offset:         40
        .size:           8
        .value_kind:     global_buffer
      - .offset:         48
        .size:           8
        .value_kind:     by_value
      - .offset:         56
        .size:           8
        .value_kind:     by_value
      - .address_space:  global
        .offset:         64
        .size:           8
        .value_kind:     global_buffer
      - .offset:         72
        .size:           8
        .value_kind:     by_value
      - .offset:         80
        .size:           8
        .value_kind:     by_value
      - .offset:         88
        .size:           4
        .value_kind:     by_value
    .group_segment_fixed_size: 4096
    .kernarg_segment_align: 8
    .kernarg_segment_size: 92
    .language:       OpenCL C
    .language_version:
      - 2
      - 0
    .max_flat_workgroup_size: 256
    .name:           _ZL37rocblas_syrkx_herkx_restricted_kernelIldLi16ELi32ELi8ELi1ELi1ELb0ELc84ELc85EKddEviT_PT9_S1_lS3_S1_lPT10_S1_li
    .private_segment_fixed_size: 0
    .sgpr_count:     34
    .sgpr_spill_count: 0
    .symbol:         _ZL37rocblas_syrkx_herkx_restricted_kernelIldLi16ELi32ELi8ELi1ELi1ELb0ELc84ELc85EKddEviT_PT9_S1_lS3_S1_lPT10_S1_li.kd
    .uniform_work_group_size: 1
    .uses_dynamic_stack: false
    .vgpr_count:     38
    .vgpr_spill_count: 0
    .wavefront_size: 32
    .workgroup_processor_mode: 1
  - .args:
      - .offset:         0
        .size:           4
        .value_kind:     by_value
      - .offset:         8
        .size:           8
        .value_kind:     by_value
      - .address_space:  global
        .offset:         16
        .size:           8
        .value_kind:     global_buffer
      - .offset:         24
        .size:           8
        .value_kind:     by_value
      - .offset:         32
        .size:           8
        .value_kind:     by_value
      - .address_space:  global
        .offset:         40
        .size:           8
        .value_kind:     global_buffer
      - .offset:         48
        .size:           8
        .value_kind:     by_value
      - .offset:         56
        .size:           8
        .value_kind:     by_value
      - .address_space:  global
        .offset:         64
        .size:           8
        .value_kind:     global_buffer
      - .offset:         72
        .size:           8
        .value_kind:     by_value
      - .offset:         80
        .size:           8
        .value_kind:     by_value
      - .offset:         88
        .size:           4
        .value_kind:     by_value
    .group_segment_fixed_size: 4096
    .kernarg_segment_align: 8
    .kernarg_segment_size: 92
    .language:       OpenCL C
    .language_version:
      - 2
      - 0
    .max_flat_workgroup_size: 256
    .name:           _ZL37rocblas_syrkx_herkx_restricted_kernelIldLi16ELi32ELi8ELi1ELi1ELb0ELc67ELc85EKddEviT_PT9_S1_lS3_S1_lPT10_S1_li
    .private_segment_fixed_size: 0
    .sgpr_count:     34
    .sgpr_spill_count: 0
    .symbol:         _ZL37rocblas_syrkx_herkx_restricted_kernelIldLi16ELi32ELi8ELi1ELi1ELb0ELc67ELc85EKddEviT_PT9_S1_lS3_S1_lPT10_S1_li.kd
    .uniform_work_group_size: 1
    .uses_dynamic_stack: false
    .vgpr_count:     38
    .vgpr_spill_count: 0
    .wavefront_size: 32
    .workgroup_processor_mode: 1
  - .args:
      - .offset:         0
        .size:           4
        .value_kind:     by_value
      - .offset:         8
        .size:           8
        .value_kind:     by_value
      - .address_space:  global
        .offset:         16
        .size:           8
        .value_kind:     global_buffer
      - .offset:         24
        .size:           8
        .value_kind:     by_value
      - .offset:         32
        .size:           8
        .value_kind:     by_value
      - .address_space:  global
        .offset:         40
        .size:           8
        .value_kind:     global_buffer
      - .offset:         48
        .size:           8
        .value_kind:     by_value
      - .offset:         56
        .size:           8
        .value_kind:     by_value
      - .address_space:  global
        .offset:         64
        .size:           8
        .value_kind:     global_buffer
      - .offset:         72
        .size:           8
        .value_kind:     by_value
      - .offset:         80
        .size:           8
        .value_kind:     by_value
      - .offset:         88
        .size:           4
        .value_kind:     by_value
    .group_segment_fixed_size: 4096
    .kernarg_segment_align: 8
    .kernarg_segment_size: 92
    .language:       OpenCL C
    .language_version:
      - 2
      - 0
    .max_flat_workgroup_size: 256
    .name:           _ZL37rocblas_syrkx_herkx_restricted_kernelIldLi16ELi32ELi8ELi1ELi1ELb0ELc78ELc85EKddEviT_PT9_S1_lS3_S1_lPT10_S1_li
    .private_segment_fixed_size: 0
    .sgpr_count:     34
    .sgpr_spill_count: 0
    .symbol:         _ZL37rocblas_syrkx_herkx_restricted_kernelIldLi16ELi32ELi8ELi1ELi1ELb0ELc78ELc85EKddEviT_PT9_S1_lS3_S1_lPT10_S1_li.kd
    .uniform_work_group_size: 1
    .uses_dynamic_stack: false
    .vgpr_count:     38
    .vgpr_spill_count: 0
    .wavefront_size: 32
    .workgroup_processor_mode: 1
  - .args:
      - .offset:         0
        .size:           4
        .value_kind:     by_value
      - .offset:         8
        .size:           8
        .value_kind:     by_value
      - .address_space:  global
        .offset:         16
        .size:           8
        .value_kind:     global_buffer
      - .offset:         24
        .size:           8
        .value_kind:     by_value
      - .offset:         32
        .size:           8
        .value_kind:     by_value
      - .address_space:  global
        .offset:         40
        .size:           8
        .value_kind:     global_buffer
      - .offset:         48
        .size:           8
        .value_kind:     by_value
      - .offset:         56
        .size:           8
        .value_kind:     by_value
      - .address_space:  global
        .offset:         64
        .size:           8
        .value_kind:     global_buffer
      - .offset:         72
        .size:           8
        .value_kind:     by_value
      - .offset:         80
        .size:           8
        .value_kind:     by_value
      - .offset:         88
        .size:           4
        .value_kind:     by_value
    .group_segment_fixed_size: 4096
    .kernarg_segment_align: 8
    .kernarg_segment_size: 92
    .language:       OpenCL C
    .language_version:
      - 2
      - 0
    .max_flat_workgroup_size: 256
    .name:           _ZL37rocblas_syrkx_herkx_restricted_kernelIldLi16ELi32ELi8ELi1ELin1ELb0ELc84ELc76EKddEviT_PT9_S1_lS3_S1_lPT10_S1_li
    .private_segment_fixed_size: 0
    .sgpr_count:     34
    .sgpr_spill_count: 0
    .symbol:         _ZL37rocblas_syrkx_herkx_restricted_kernelIldLi16ELi32ELi8ELi1ELin1ELb0ELc84ELc76EKddEviT_PT9_S1_lS3_S1_lPT10_S1_li.kd
    .uniform_work_group_size: 1
    .uses_dynamic_stack: false
    .vgpr_count:     38
    .vgpr_spill_count: 0
    .wavefront_size: 32
    .workgroup_processor_mode: 1
  - .args:
      - .offset:         0
        .size:           4
        .value_kind:     by_value
      - .offset:         8
        .size:           8
        .value_kind:     by_value
      - .address_space:  global
        .offset:         16
        .size:           8
        .value_kind:     global_buffer
      - .offset:         24
        .size:           8
        .value_kind:     by_value
      - .offset:         32
        .size:           8
        .value_kind:     by_value
      - .address_space:  global
        .offset:         40
        .size:           8
        .value_kind:     global_buffer
      - .offset:         48
        .size:           8
        .value_kind:     by_value
      - .offset:         56
        .size:           8
        .value_kind:     by_value
      - .address_space:  global
        .offset:         64
        .size:           8
        .value_kind:     global_buffer
      - .offset:         72
        .size:           8
        .value_kind:     by_value
      - .offset:         80
        .size:           8
        .value_kind:     by_value
      - .offset:         88
        .size:           4
        .value_kind:     by_value
    .group_segment_fixed_size: 4096
    .kernarg_segment_align: 8
    .kernarg_segment_size: 92
    .language:       OpenCL C
    .language_version:
      - 2
      - 0
    .max_flat_workgroup_size: 256
    .name:           _ZL37rocblas_syrkx_herkx_restricted_kernelIldLi16ELi32ELi8ELi1ELin1ELb0ELc67ELc76EKddEviT_PT9_S1_lS3_S1_lPT10_S1_li
    .private_segment_fixed_size: 0
    .sgpr_count:     34
    .sgpr_spill_count: 0
    .symbol:         _ZL37rocblas_syrkx_herkx_restricted_kernelIldLi16ELi32ELi8ELi1ELin1ELb0ELc67ELc76EKddEviT_PT9_S1_lS3_S1_lPT10_S1_li.kd
    .uniform_work_group_size: 1
    .uses_dynamic_stack: false
    .vgpr_count:     38
    .vgpr_spill_count: 0
    .wavefront_size: 32
    .workgroup_processor_mode: 1
  - .args:
      - .offset:         0
        .size:           4
        .value_kind:     by_value
      - .offset:         8
        .size:           8
        .value_kind:     by_value
      - .address_space:  global
        .offset:         16
        .size:           8
        .value_kind:     global_buffer
      - .offset:         24
        .size:           8
        .value_kind:     by_value
      - .offset:         32
        .size:           8
        .value_kind:     by_value
      - .address_space:  global
        .offset:         40
        .size:           8
        .value_kind:     global_buffer
      - .offset:         48
        .size:           8
        .value_kind:     by_value
      - .offset:         56
        .size:           8
        .value_kind:     by_value
      - .address_space:  global
        .offset:         64
        .size:           8
        .value_kind:     global_buffer
      - .offset:         72
        .size:           8
        .value_kind:     by_value
      - .offset:         80
        .size:           8
        .value_kind:     by_value
      - .offset:         88
        .size:           4
        .value_kind:     by_value
    .group_segment_fixed_size: 4096
    .kernarg_segment_align: 8
    .kernarg_segment_size: 92
    .language:       OpenCL C
    .language_version:
      - 2
      - 0
    .max_flat_workgroup_size: 256
    .name:           _ZL37rocblas_syrkx_herkx_restricted_kernelIldLi16ELi32ELi8ELi1ELin1ELb0ELc78ELc76EKddEviT_PT9_S1_lS3_S1_lPT10_S1_li
    .private_segment_fixed_size: 0
    .sgpr_count:     34
    .sgpr_spill_count: 0
    .symbol:         _ZL37rocblas_syrkx_herkx_restricted_kernelIldLi16ELi32ELi8ELi1ELin1ELb0ELc78ELc76EKddEviT_PT9_S1_lS3_S1_lPT10_S1_li.kd
    .uniform_work_group_size: 1
    .uses_dynamic_stack: false
    .vgpr_count:     38
    .vgpr_spill_count: 0
    .wavefront_size: 32
    .workgroup_processor_mode: 1
  - .args:
      - .offset:         0
        .size:           4
        .value_kind:     by_value
      - .offset:         8
        .size:           8
        .value_kind:     by_value
      - .address_space:  global
        .offset:         16
        .size:           8
        .value_kind:     global_buffer
      - .offset:         24
        .size:           8
        .value_kind:     by_value
      - .offset:         32
        .size:           8
        .value_kind:     by_value
      - .address_space:  global
        .offset:         40
        .size:           8
        .value_kind:     global_buffer
      - .offset:         48
        .size:           8
        .value_kind:     by_value
      - .offset:         56
        .size:           8
        .value_kind:     by_value
      - .address_space:  global
        .offset:         64
        .size:           8
        .value_kind:     global_buffer
      - .offset:         72
        .size:           8
        .value_kind:     by_value
      - .offset:         80
        .size:           8
        .value_kind:     by_value
      - .offset:         88
        .size:           4
        .value_kind:     by_value
    .group_segment_fixed_size: 4096
    .kernarg_segment_align: 8
    .kernarg_segment_size: 92
    .language:       OpenCL C
    .language_version:
      - 2
      - 0
    .max_flat_workgroup_size: 256
    .name:           _ZL37rocblas_syrkx_herkx_restricted_kernelIldLi16ELi32ELi8ELi1ELin1ELb0ELc84ELc85EKddEviT_PT9_S1_lS3_S1_lPT10_S1_li
    .private_segment_fixed_size: 0
    .sgpr_count:     34
    .sgpr_spill_count: 0
    .symbol:         _ZL37rocblas_syrkx_herkx_restricted_kernelIldLi16ELi32ELi8ELi1ELin1ELb0ELc84ELc85EKddEviT_PT9_S1_lS3_S1_lPT10_S1_li.kd
    .uniform_work_group_size: 1
    .uses_dynamic_stack: false
    .vgpr_count:     38
    .vgpr_spill_count: 0
    .wavefront_size: 32
    .workgroup_processor_mode: 1
  - .args:
      - .offset:         0
        .size:           4
        .value_kind:     by_value
      - .offset:         8
        .size:           8
        .value_kind:     by_value
      - .address_space:  global
        .offset:         16
        .size:           8
        .value_kind:     global_buffer
      - .offset:         24
        .size:           8
        .value_kind:     by_value
      - .offset:         32
        .size:           8
        .value_kind:     by_value
      - .address_space:  global
        .offset:         40
        .size:           8
        .value_kind:     global_buffer
      - .offset:         48
        .size:           8
        .value_kind:     by_value
      - .offset:         56
        .size:           8
        .value_kind:     by_value
      - .address_space:  global
        .offset:         64
        .size:           8
        .value_kind:     global_buffer
      - .offset:         72
        .size:           8
        .value_kind:     by_value
      - .offset:         80
        .size:           8
        .value_kind:     by_value
      - .offset:         88
        .size:           4
        .value_kind:     by_value
    .group_segment_fixed_size: 4096
    .kernarg_segment_align: 8
    .kernarg_segment_size: 92
    .language:       OpenCL C
    .language_version:
      - 2
      - 0
    .max_flat_workgroup_size: 256
    .name:           _ZL37rocblas_syrkx_herkx_restricted_kernelIldLi16ELi32ELi8ELi1ELin1ELb0ELc67ELc85EKddEviT_PT9_S1_lS3_S1_lPT10_S1_li
    .private_segment_fixed_size: 0
    .sgpr_count:     34
    .sgpr_spill_count: 0
    .symbol:         _ZL37rocblas_syrkx_herkx_restricted_kernelIldLi16ELi32ELi8ELi1ELin1ELb0ELc67ELc85EKddEviT_PT9_S1_lS3_S1_lPT10_S1_li.kd
    .uniform_work_group_size: 1
    .uses_dynamic_stack: false
    .vgpr_count:     38
    .vgpr_spill_count: 0
    .wavefront_size: 32
    .workgroup_processor_mode: 1
  - .args:
      - .offset:         0
        .size:           4
        .value_kind:     by_value
      - .offset:         8
        .size:           8
        .value_kind:     by_value
      - .address_space:  global
        .offset:         16
        .size:           8
        .value_kind:     global_buffer
      - .offset:         24
        .size:           8
        .value_kind:     by_value
      - .offset:         32
        .size:           8
        .value_kind:     by_value
      - .address_space:  global
        .offset:         40
        .size:           8
        .value_kind:     global_buffer
      - .offset:         48
        .size:           8
        .value_kind:     by_value
      - .offset:         56
        .size:           8
        .value_kind:     by_value
      - .address_space:  global
        .offset:         64
        .size:           8
        .value_kind:     global_buffer
      - .offset:         72
        .size:           8
        .value_kind:     by_value
      - .offset:         80
        .size:           8
        .value_kind:     by_value
      - .offset:         88
        .size:           4
        .value_kind:     by_value
    .group_segment_fixed_size: 4096
    .kernarg_segment_align: 8
    .kernarg_segment_size: 92
    .language:       OpenCL C
    .language_version:
      - 2
      - 0
    .max_flat_workgroup_size: 256
    .name:           _ZL37rocblas_syrkx_herkx_restricted_kernelIldLi16ELi32ELi8ELi1ELin1ELb0ELc78ELc85EKddEviT_PT9_S1_lS3_S1_lPT10_S1_li
    .private_segment_fixed_size: 0
    .sgpr_count:     34
    .sgpr_spill_count: 0
    .symbol:         _ZL37rocblas_syrkx_herkx_restricted_kernelIldLi16ELi32ELi8ELi1ELin1ELb0ELc78ELc85EKddEviT_PT9_S1_lS3_S1_lPT10_S1_li.kd
    .uniform_work_group_size: 1
    .uses_dynamic_stack: false
    .vgpr_count:     38
    .vgpr_spill_count: 0
    .wavefront_size: 32
    .workgroup_processor_mode: 1
  - .args:
      - .offset:         0
        .size:           4
        .value_kind:     by_value
      - .offset:         8
        .size:           8
        .value_kind:     by_value
      - .address_space:  global
        .offset:         16
        .size:           8
        .value_kind:     global_buffer
      - .offset:         24
        .size:           8
        .value_kind:     by_value
      - .offset:         32
        .size:           8
        .value_kind:     by_value
      - .address_space:  global
        .offset:         40
        .size:           8
        .value_kind:     global_buffer
      - .offset:         48
        .size:           8
        .value_kind:     by_value
      - .offset:         56
        .size:           8
        .value_kind:     by_value
      - .address_space:  global
        .offset:         64
        .size:           8
        .value_kind:     global_buffer
      - .offset:         72
        .size:           8
        .value_kind:     by_value
      - .offset:         80
        .size:           8
        .value_kind:     by_value
      - .offset:         88
        .size:           4
        .value_kind:     by_value
    .group_segment_fixed_size: 4096
    .kernarg_segment_align: 8
    .kernarg_segment_size: 92
    .language:       OpenCL C
    .language_version:
      - 2
      - 0
    .max_flat_workgroup_size: 256
    .name:           _ZL37rocblas_syrkx_herkx_restricted_kernelIldLi16ELi32ELi8ELi1ELi0ELb0ELc84ELc76EKddEviT_PT9_S1_lS3_S1_lPT10_S1_li
    .private_segment_fixed_size: 0
    .sgpr_count:     34
    .sgpr_spill_count: 0
    .symbol:         _ZL37rocblas_syrkx_herkx_restricted_kernelIldLi16ELi32ELi8ELi1ELi0ELb0ELc84ELc76EKddEviT_PT9_S1_lS3_S1_lPT10_S1_li.kd
    .uniform_work_group_size: 1
    .uses_dynamic_stack: false
    .vgpr_count:     38
    .vgpr_spill_count: 0
    .wavefront_size: 32
    .workgroup_processor_mode: 1
  - .args:
      - .offset:         0
        .size:           4
        .value_kind:     by_value
      - .offset:         8
        .size:           8
        .value_kind:     by_value
      - .address_space:  global
        .offset:         16
        .size:           8
        .value_kind:     global_buffer
      - .offset:         24
        .size:           8
        .value_kind:     by_value
      - .offset:         32
        .size:           8
        .value_kind:     by_value
      - .address_space:  global
        .offset:         40
        .size:           8
        .value_kind:     global_buffer
      - .offset:         48
        .size:           8
        .value_kind:     by_value
      - .offset:         56
        .size:           8
        .value_kind:     by_value
      - .address_space:  global
        .offset:         64
        .size:           8
        .value_kind:     global_buffer
      - .offset:         72
        .size:           8
        .value_kind:     by_value
      - .offset:         80
        .size:           8
        .value_kind:     by_value
      - .offset:         88
        .size:           4
        .value_kind:     by_value
    .group_segment_fixed_size: 4096
    .kernarg_segment_align: 8
    .kernarg_segment_size: 92
    .language:       OpenCL C
    .language_version:
      - 2
      - 0
    .max_flat_workgroup_size: 256
    .name:           _ZL37rocblas_syrkx_herkx_restricted_kernelIldLi16ELi32ELi8ELi1ELi0ELb0ELc67ELc76EKddEviT_PT9_S1_lS3_S1_lPT10_S1_li
    .private_segment_fixed_size: 0
    .sgpr_count:     34
    .sgpr_spill_count: 0
    .symbol:         _ZL37rocblas_syrkx_herkx_restricted_kernelIldLi16ELi32ELi8ELi1ELi0ELb0ELc67ELc76EKddEviT_PT9_S1_lS3_S1_lPT10_S1_li.kd
    .uniform_work_group_size: 1
    .uses_dynamic_stack: false
    .vgpr_count:     38
    .vgpr_spill_count: 0
    .wavefront_size: 32
    .workgroup_processor_mode: 1
  - .args:
      - .offset:         0
        .size:           4
        .value_kind:     by_value
      - .offset:         8
        .size:           8
        .value_kind:     by_value
      - .address_space:  global
        .offset:         16
        .size:           8
        .value_kind:     global_buffer
      - .offset:         24
        .size:           8
        .value_kind:     by_value
      - .offset:         32
        .size:           8
        .value_kind:     by_value
      - .address_space:  global
        .offset:         40
        .size:           8
        .value_kind:     global_buffer
      - .offset:         48
        .size:           8
        .value_kind:     by_value
      - .offset:         56
        .size:           8
        .value_kind:     by_value
      - .address_space:  global
        .offset:         64
        .size:           8
        .value_kind:     global_buffer
      - .offset:         72
        .size:           8
        .value_kind:     by_value
      - .offset:         80
        .size:           8
        .value_kind:     by_value
      - .offset:         88
        .size:           4
        .value_kind:     by_value
    .group_segment_fixed_size: 4096
    .kernarg_segment_align: 8
    .kernarg_segment_size: 92
    .language:       OpenCL C
    .language_version:
      - 2
      - 0
    .max_flat_workgroup_size: 256
    .name:           _ZL37rocblas_syrkx_herkx_restricted_kernelIldLi16ELi32ELi8ELi1ELi0ELb0ELc78ELc76EKddEviT_PT9_S1_lS3_S1_lPT10_S1_li
    .private_segment_fixed_size: 0
    .sgpr_count:     34
    .sgpr_spill_count: 0
    .symbol:         _ZL37rocblas_syrkx_herkx_restricted_kernelIldLi16ELi32ELi8ELi1ELi0ELb0ELc78ELc76EKddEviT_PT9_S1_lS3_S1_lPT10_S1_li.kd
    .uniform_work_group_size: 1
    .uses_dynamic_stack: false
    .vgpr_count:     38
    .vgpr_spill_count: 0
    .wavefront_size: 32
    .workgroup_processor_mode: 1
  - .args:
      - .offset:         0
        .size:           4
        .value_kind:     by_value
      - .offset:         8
        .size:           8
        .value_kind:     by_value
      - .address_space:  global
        .offset:         16
        .size:           8
        .value_kind:     global_buffer
      - .offset:         24
        .size:           8
        .value_kind:     by_value
      - .offset:         32
        .size:           8
        .value_kind:     by_value
      - .address_space:  global
        .offset:         40
        .size:           8
        .value_kind:     global_buffer
      - .offset:         48
        .size:           8
        .value_kind:     by_value
      - .offset:         56
        .size:           8
        .value_kind:     by_value
      - .address_space:  global
        .offset:         64
        .size:           8
        .value_kind:     global_buffer
      - .offset:         72
        .size:           8
        .value_kind:     by_value
      - .offset:         80
        .size:           8
        .value_kind:     by_value
      - .offset:         88
        .size:           4
        .value_kind:     by_value
    .group_segment_fixed_size: 4096
    .kernarg_segment_align: 8
    .kernarg_segment_size: 92
    .language:       OpenCL C
    .language_version:
      - 2
      - 0
    .max_flat_workgroup_size: 256
    .name:           _ZL37rocblas_syrkx_herkx_restricted_kernelIldLi16ELi32ELi8ELi1ELi0ELb0ELc84ELc85EKddEviT_PT9_S1_lS3_S1_lPT10_S1_li
    .private_segment_fixed_size: 0
    .sgpr_count:     34
    .sgpr_spill_count: 0
    .symbol:         _ZL37rocblas_syrkx_herkx_restricted_kernelIldLi16ELi32ELi8ELi1ELi0ELb0ELc84ELc85EKddEviT_PT9_S1_lS3_S1_lPT10_S1_li.kd
    .uniform_work_group_size: 1
    .uses_dynamic_stack: false
    .vgpr_count:     38
    .vgpr_spill_count: 0
    .wavefront_size: 32
    .workgroup_processor_mode: 1
  - .args:
      - .offset:         0
        .size:           4
        .value_kind:     by_value
      - .offset:         8
        .size:           8
        .value_kind:     by_value
      - .address_space:  global
        .offset:         16
        .size:           8
        .value_kind:     global_buffer
      - .offset:         24
        .size:           8
        .value_kind:     by_value
      - .offset:         32
        .size:           8
        .value_kind:     by_value
      - .address_space:  global
        .offset:         40
        .size:           8
        .value_kind:     global_buffer
      - .offset:         48
        .size:           8
        .value_kind:     by_value
      - .offset:         56
        .size:           8
        .value_kind:     by_value
      - .address_space:  global
        .offset:         64
        .size:           8
        .value_kind:     global_buffer
      - .offset:         72
        .size:           8
        .value_kind:     by_value
      - .offset:         80
        .size:           8
        .value_kind:     by_value
      - .offset:         88
        .size:           4
        .value_kind:     by_value
    .group_segment_fixed_size: 4096
    .kernarg_segment_align: 8
    .kernarg_segment_size: 92
    .language:       OpenCL C
    .language_version:
      - 2
      - 0
    .max_flat_workgroup_size: 256
    .name:           _ZL37rocblas_syrkx_herkx_restricted_kernelIldLi16ELi32ELi8ELi1ELi0ELb0ELc67ELc85EKddEviT_PT9_S1_lS3_S1_lPT10_S1_li
    .private_segment_fixed_size: 0
    .sgpr_count:     34
    .sgpr_spill_count: 0
    .symbol:         _ZL37rocblas_syrkx_herkx_restricted_kernelIldLi16ELi32ELi8ELi1ELi0ELb0ELc67ELc85EKddEviT_PT9_S1_lS3_S1_lPT10_S1_li.kd
    .uniform_work_group_size: 1
    .uses_dynamic_stack: false
    .vgpr_count:     38
    .vgpr_spill_count: 0
    .wavefront_size: 32
    .workgroup_processor_mode: 1
  - .args:
      - .offset:         0
        .size:           4
        .value_kind:     by_value
      - .offset:         8
        .size:           8
        .value_kind:     by_value
      - .address_space:  global
        .offset:         16
        .size:           8
        .value_kind:     global_buffer
      - .offset:         24
        .size:           8
        .value_kind:     by_value
      - .offset:         32
        .size:           8
        .value_kind:     by_value
      - .address_space:  global
        .offset:         40
        .size:           8
        .value_kind:     global_buffer
      - .offset:         48
        .size:           8
        .value_kind:     by_value
      - .offset:         56
        .size:           8
        .value_kind:     by_value
      - .address_space:  global
        .offset:         64
        .size:           8
        .value_kind:     global_buffer
      - .offset:         72
        .size:           8
        .value_kind:     by_value
      - .offset:         80
        .size:           8
        .value_kind:     by_value
      - .offset:         88
        .size:           4
        .value_kind:     by_value
    .group_segment_fixed_size: 4096
    .kernarg_segment_align: 8
    .kernarg_segment_size: 92
    .language:       OpenCL C
    .language_version:
      - 2
      - 0
    .max_flat_workgroup_size: 256
    .name:           _ZL37rocblas_syrkx_herkx_restricted_kernelIldLi16ELi32ELi8ELi1ELi0ELb0ELc78ELc85EKddEviT_PT9_S1_lS3_S1_lPT10_S1_li
    .private_segment_fixed_size: 0
    .sgpr_count:     34
    .sgpr_spill_count: 0
    .symbol:         _ZL37rocblas_syrkx_herkx_restricted_kernelIldLi16ELi32ELi8ELi1ELi0ELb0ELc78ELc85EKddEviT_PT9_S1_lS3_S1_lPT10_S1_li.kd
    .uniform_work_group_size: 1
    .uses_dynamic_stack: false
    .vgpr_count:     38
    .vgpr_spill_count: 0
    .wavefront_size: 32
    .workgroup_processor_mode: 1
  - .args:
      - .offset:         0
        .size:           4
        .value_kind:     by_value
      - .offset:         8
        .size:           8
        .value_kind:     by_value
      - .address_space:  global
        .offset:         16
        .size:           8
        .value_kind:     global_buffer
      - .offset:         24
        .size:           8
        .value_kind:     by_value
      - .offset:         32
        .size:           8
        .value_kind:     by_value
      - .address_space:  global
        .offset:         40
        .size:           8
        .value_kind:     global_buffer
      - .offset:         48
        .size:           8
        .value_kind:     by_value
      - .offset:         56
        .size:           8
        .value_kind:     by_value
      - .address_space:  global
        .offset:         64
        .size:           8
        .value_kind:     global_buffer
      - .offset:         72
        .size:           8
        .value_kind:     by_value
      - .offset:         80
        .size:           8
        .value_kind:     by_value
      - .offset:         88
        .size:           4
        .value_kind:     by_value
    .group_segment_fixed_size: 4096
    .kernarg_segment_align: 8
    .kernarg_segment_size: 92
    .language:       OpenCL C
    .language_version:
      - 2
      - 0
    .max_flat_workgroup_size: 256
    .name:           _ZL37rocblas_syrkx_herkx_restricted_kernelIldLi16ELi32ELi8ELin1ELi0ELb0ELc84ELc76EKddEviT_PT9_S1_lS3_S1_lPT10_S1_li
    .private_segment_fixed_size: 0
    .sgpr_count:     34
    .sgpr_spill_count: 0
    .symbol:         _ZL37rocblas_syrkx_herkx_restricted_kernelIldLi16ELi32ELi8ELin1ELi0ELb0ELc84ELc76EKddEviT_PT9_S1_lS3_S1_lPT10_S1_li.kd
    .uniform_work_group_size: 1
    .uses_dynamic_stack: false
    .vgpr_count:     38
    .vgpr_spill_count: 0
    .wavefront_size: 32
    .workgroup_processor_mode: 1
  - .args:
      - .offset:         0
        .size:           4
        .value_kind:     by_value
      - .offset:         8
        .size:           8
        .value_kind:     by_value
      - .address_space:  global
        .offset:         16
        .size:           8
        .value_kind:     global_buffer
      - .offset:         24
        .size:           8
        .value_kind:     by_value
      - .offset:         32
        .size:           8
        .value_kind:     by_value
      - .address_space:  global
        .offset:         40
        .size:           8
        .value_kind:     global_buffer
      - .offset:         48
        .size:           8
        .value_kind:     by_value
      - .offset:         56
        .size:           8
        .value_kind:     by_value
      - .address_space:  global
        .offset:         64
        .size:           8
        .value_kind:     global_buffer
      - .offset:         72
        .size:           8
        .value_kind:     by_value
      - .offset:         80
        .size:           8
        .value_kind:     by_value
      - .offset:         88
        .size:           4
        .value_kind:     by_value
    .group_segment_fixed_size: 4096
    .kernarg_segment_align: 8
    .kernarg_segment_size: 92
    .language:       OpenCL C
    .language_version:
      - 2
      - 0
    .max_flat_workgroup_size: 256
    .name:           _ZL37rocblas_syrkx_herkx_restricted_kernelIldLi16ELi32ELi8ELin1ELi0ELb0ELc67ELc76EKddEviT_PT9_S1_lS3_S1_lPT10_S1_li
    .private_segment_fixed_size: 0
    .sgpr_count:     34
    .sgpr_spill_count: 0
    .symbol:         _ZL37rocblas_syrkx_herkx_restricted_kernelIldLi16ELi32ELi8ELin1ELi0ELb0ELc67ELc76EKddEviT_PT9_S1_lS3_S1_lPT10_S1_li.kd
    .uniform_work_group_size: 1
    .uses_dynamic_stack: false
    .vgpr_count:     38
    .vgpr_spill_count: 0
    .wavefront_size: 32
    .workgroup_processor_mode: 1
  - .args:
      - .offset:         0
        .size:           4
        .value_kind:     by_value
      - .offset:         8
        .size:           8
        .value_kind:     by_value
      - .address_space:  global
        .offset:         16
        .size:           8
        .value_kind:     global_buffer
      - .offset:         24
        .size:           8
        .value_kind:     by_value
      - .offset:         32
        .size:           8
        .value_kind:     by_value
      - .address_space:  global
        .offset:         40
        .size:           8
        .value_kind:     global_buffer
      - .offset:         48
        .size:           8
        .value_kind:     by_value
      - .offset:         56
        .size:           8
        .value_kind:     by_value
      - .address_space:  global
        .offset:         64
        .size:           8
        .value_kind:     global_buffer
      - .offset:         72
        .size:           8
        .value_kind:     by_value
      - .offset:         80
        .size:           8
        .value_kind:     by_value
      - .offset:         88
        .size:           4
        .value_kind:     by_value
    .group_segment_fixed_size: 4096
    .kernarg_segment_align: 8
    .kernarg_segment_size: 92
    .language:       OpenCL C
    .language_version:
      - 2
      - 0
    .max_flat_workgroup_size: 256
    .name:           _ZL37rocblas_syrkx_herkx_restricted_kernelIldLi16ELi32ELi8ELin1ELi0ELb0ELc78ELc76EKddEviT_PT9_S1_lS3_S1_lPT10_S1_li
    .private_segment_fixed_size: 0
    .sgpr_count:     34
    .sgpr_spill_count: 0
    .symbol:         _ZL37rocblas_syrkx_herkx_restricted_kernelIldLi16ELi32ELi8ELin1ELi0ELb0ELc78ELc76EKddEviT_PT9_S1_lS3_S1_lPT10_S1_li.kd
    .uniform_work_group_size: 1
    .uses_dynamic_stack: false
    .vgpr_count:     38
    .vgpr_spill_count: 0
    .wavefront_size: 32
    .workgroup_processor_mode: 1
  - .args:
      - .offset:         0
        .size:           4
        .value_kind:     by_value
      - .offset:         8
        .size:           8
        .value_kind:     by_value
      - .address_space:  global
        .offset:         16
        .size:           8
        .value_kind:     global_buffer
      - .offset:         24
        .size:           8
        .value_kind:     by_value
      - .offset:         32
        .size:           8
        .value_kind:     by_value
      - .address_space:  global
        .offset:         40
        .size:           8
        .value_kind:     global_buffer
      - .offset:         48
        .size:           8
        .value_kind:     by_value
      - .offset:         56
        .size:           8
        .value_kind:     by_value
      - .address_space:  global
        .offset:         64
        .size:           8
        .value_kind:     global_buffer
      - .offset:         72
        .size:           8
        .value_kind:     by_value
      - .offset:         80
        .size:           8
        .value_kind:     by_value
      - .offset:         88
        .size:           4
        .value_kind:     by_value
    .group_segment_fixed_size: 4096
    .kernarg_segment_align: 8
    .kernarg_segment_size: 92
    .language:       OpenCL C
    .language_version:
      - 2
      - 0
    .max_flat_workgroup_size: 256
    .name:           _ZL37rocblas_syrkx_herkx_restricted_kernelIldLi16ELi32ELi8ELin1ELi0ELb0ELc84ELc85EKddEviT_PT9_S1_lS3_S1_lPT10_S1_li
    .private_segment_fixed_size: 0
    .sgpr_count:     34
    .sgpr_spill_count: 0
    .symbol:         _ZL37rocblas_syrkx_herkx_restricted_kernelIldLi16ELi32ELi8ELin1ELi0ELb0ELc84ELc85EKddEviT_PT9_S1_lS3_S1_lPT10_S1_li.kd
    .uniform_work_group_size: 1
    .uses_dynamic_stack: false
    .vgpr_count:     38
    .vgpr_spill_count: 0
    .wavefront_size: 32
    .workgroup_processor_mode: 1
  - .args:
      - .offset:         0
        .size:           4
        .value_kind:     by_value
      - .offset:         8
        .size:           8
        .value_kind:     by_value
      - .address_space:  global
        .offset:         16
        .size:           8
        .value_kind:     global_buffer
      - .offset:         24
        .size:           8
        .value_kind:     by_value
      - .offset:         32
        .size:           8
        .value_kind:     by_value
      - .address_space:  global
        .offset:         40
        .size:           8
        .value_kind:     global_buffer
      - .offset:         48
        .size:           8
        .value_kind:     by_value
      - .offset:         56
        .size:           8
        .value_kind:     by_value
      - .address_space:  global
        .offset:         64
        .size:           8
        .value_kind:     global_buffer
      - .offset:         72
        .size:           8
        .value_kind:     by_value
      - .offset:         80
        .size:           8
        .value_kind:     by_value
      - .offset:         88
        .size:           4
        .value_kind:     by_value
    .group_segment_fixed_size: 4096
    .kernarg_segment_align: 8
    .kernarg_segment_size: 92
    .language:       OpenCL C
    .language_version:
      - 2
      - 0
    .max_flat_workgroup_size: 256
    .name:           _ZL37rocblas_syrkx_herkx_restricted_kernelIldLi16ELi32ELi8ELin1ELi0ELb0ELc67ELc85EKddEviT_PT9_S1_lS3_S1_lPT10_S1_li
    .private_segment_fixed_size: 0
    .sgpr_count:     34
    .sgpr_spill_count: 0
    .symbol:         _ZL37rocblas_syrkx_herkx_restricted_kernelIldLi16ELi32ELi8ELin1ELi0ELb0ELc67ELc85EKddEviT_PT9_S1_lS3_S1_lPT10_S1_li.kd
    .uniform_work_group_size: 1
    .uses_dynamic_stack: false
    .vgpr_count:     38
    .vgpr_spill_count: 0
    .wavefront_size: 32
    .workgroup_processor_mode: 1
  - .args:
      - .offset:         0
        .size:           4
        .value_kind:     by_value
      - .offset:         8
        .size:           8
        .value_kind:     by_value
      - .address_space:  global
        .offset:         16
        .size:           8
        .value_kind:     global_buffer
      - .offset:         24
        .size:           8
        .value_kind:     by_value
      - .offset:         32
        .size:           8
        .value_kind:     by_value
      - .address_space:  global
        .offset:         40
        .size:           8
        .value_kind:     global_buffer
      - .offset:         48
        .size:           8
        .value_kind:     by_value
      - .offset:         56
        .size:           8
        .value_kind:     by_value
      - .address_space:  global
        .offset:         64
        .size:           8
        .value_kind:     global_buffer
      - .offset:         72
        .size:           8
        .value_kind:     by_value
      - .offset:         80
        .size:           8
        .value_kind:     by_value
      - .offset:         88
        .size:           4
        .value_kind:     by_value
    .group_segment_fixed_size: 4096
    .kernarg_segment_align: 8
    .kernarg_segment_size: 92
    .language:       OpenCL C
    .language_version:
      - 2
      - 0
    .max_flat_workgroup_size: 256
    .name:           _ZL37rocblas_syrkx_herkx_restricted_kernelIldLi16ELi32ELi8ELin1ELi0ELb0ELc78ELc85EKddEviT_PT9_S1_lS3_S1_lPT10_S1_li
    .private_segment_fixed_size: 0
    .sgpr_count:     34
    .sgpr_spill_count: 0
    .symbol:         _ZL37rocblas_syrkx_herkx_restricted_kernelIldLi16ELi32ELi8ELin1ELi0ELb0ELc78ELc85EKddEviT_PT9_S1_lS3_S1_lPT10_S1_li.kd
    .uniform_work_group_size: 1
    .uses_dynamic_stack: false
    .vgpr_count:     38
    .vgpr_spill_count: 0
    .wavefront_size: 32
    .workgroup_processor_mode: 1
  - .args:
      - .offset:         0
        .size:           4
        .value_kind:     by_value
      - .offset:         8
        .size:           8
        .value_kind:     by_value
      - .offset:         16
        .size:           8
        .value_kind:     by_value
      - .address_space:  global
        .offset:         24
        .size:           8
        .value_kind:     global_buffer
      - .offset:         32
        .size:           8
        .value_kind:     by_value
      - .offset:         40
        .size:           8
        .value_kind:     by_value
      - .address_space:  global
        .offset:         48
        .size:           8
        .value_kind:     global_buffer
      - .offset:         56
        .size:           8
        .value_kind:     by_value
      - .offset:         64
        .size:           8
        .value_kind:     by_value
      - .offset:         72
        .size:           8
        .value_kind:     by_value
      - .address_space:  global
        .offset:         80
        .size:           8
        .value_kind:     global_buffer
      - .offset:         88
        .size:           8
        .value_kind:     by_value
      - .offset:         96
        .size:           8
        .value_kind:     by_value
      - .offset:         104
        .size:           4
        .value_kind:     by_value
    .group_segment_fixed_size: 4096
    .kernarg_segment_align: 8
    .kernarg_segment_size: 108
    .language:       OpenCL C
    .language_version:
      - 2
      - 0
    .max_flat_workgroup_size: 256
    .name:           _ZL37rocblas_syrkx_herkx_restricted_kernelIldLi16ELi32ELi8ELb1ELb0ELc84ELc76EKddEviT_T0_PT8_S1_lS4_S1_lS2_PT9_S1_li
    .private_segment_fixed_size: 0
    .sgpr_count:     34
    .sgpr_spill_count: 0
    .symbol:         _ZL37rocblas_syrkx_herkx_restricted_kernelIldLi16ELi32ELi8ELb1ELb0ELc84ELc76EKddEviT_T0_PT8_S1_lS4_S1_lS2_PT9_S1_li.kd
    .uniform_work_group_size: 1
    .uses_dynamic_stack: false
    .vgpr_count:     38
    .vgpr_spill_count: 0
    .wavefront_size: 32
    .workgroup_processor_mode: 1
  - .args:
      - .offset:         0
        .size:           4
        .value_kind:     by_value
      - .offset:         8
        .size:           8
        .value_kind:     by_value
      - .offset:         16
        .size:           8
        .value_kind:     by_value
      - .address_space:  global
        .offset:         24
        .size:           8
        .value_kind:     global_buffer
      - .offset:         32
        .size:           8
        .value_kind:     by_value
      - .offset:         40
        .size:           8
        .value_kind:     by_value
      - .address_space:  global
        .offset:         48
        .size:           8
        .value_kind:     global_buffer
      - .offset:         56
        .size:           8
        .value_kind:     by_value
      - .offset:         64
        .size:           8
        .value_kind:     by_value
      - .offset:         72
        .size:           8
        .value_kind:     by_value
      - .address_space:  global
        .offset:         80
        .size:           8
        .value_kind:     global_buffer
      - .offset:         88
        .size:           8
        .value_kind:     by_value
      - .offset:         96
        .size:           8
        .value_kind:     by_value
      - .offset:         104
        .size:           4
        .value_kind:     by_value
    .group_segment_fixed_size: 4096
    .kernarg_segment_align: 8
    .kernarg_segment_size: 108
    .language:       OpenCL C
    .language_version:
      - 2
      - 0
    .max_flat_workgroup_size: 256
    .name:           _ZL37rocblas_syrkx_herkx_restricted_kernelIldLi16ELi32ELi8ELb1ELb0ELc67ELc76EKddEviT_T0_PT8_S1_lS4_S1_lS2_PT9_S1_li
    .private_segment_fixed_size: 0
    .sgpr_count:     34
    .sgpr_spill_count: 0
    .symbol:         _ZL37rocblas_syrkx_herkx_restricted_kernelIldLi16ELi32ELi8ELb1ELb0ELc67ELc76EKddEviT_T0_PT8_S1_lS4_S1_lS2_PT9_S1_li.kd
    .uniform_work_group_size: 1
    .uses_dynamic_stack: false
    .vgpr_count:     38
    .vgpr_spill_count: 0
    .wavefront_size: 32
    .workgroup_processor_mode: 1
  - .args:
      - .offset:         0
        .size:           4
        .value_kind:     by_value
      - .offset:         8
        .size:           8
        .value_kind:     by_value
      - .offset:         16
        .size:           8
        .value_kind:     by_value
      - .address_space:  global
        .offset:         24
        .size:           8
        .value_kind:     global_buffer
      - .offset:         32
        .size:           8
        .value_kind:     by_value
      - .offset:         40
        .size:           8
        .value_kind:     by_value
      - .address_space:  global
        .offset:         48
        .size:           8
        .value_kind:     global_buffer
      - .offset:         56
        .size:           8
        .value_kind:     by_value
      - .offset:         64
        .size:           8
        .value_kind:     by_value
      - .offset:         72
        .size:           8
        .value_kind:     by_value
      - .address_space:  global
        .offset:         80
        .size:           8
        .value_kind:     global_buffer
      - .offset:         88
        .size:           8
        .value_kind:     by_value
      - .offset:         96
        .size:           8
        .value_kind:     by_value
      - .offset:         104
        .size:           4
        .value_kind:     by_value
    .group_segment_fixed_size: 4096
    .kernarg_segment_align: 8
    .kernarg_segment_size: 108
    .language:       OpenCL C
    .language_version:
      - 2
      - 0
    .max_flat_workgroup_size: 256
    .name:           _ZL37rocblas_syrkx_herkx_restricted_kernelIldLi16ELi32ELi8ELb1ELb0ELc78ELc76EKddEviT_T0_PT8_S1_lS4_S1_lS2_PT9_S1_li
    .private_segment_fixed_size: 0
    .sgpr_count:     34
    .sgpr_spill_count: 0
    .symbol:         _ZL37rocblas_syrkx_herkx_restricted_kernelIldLi16ELi32ELi8ELb1ELb0ELc78ELc76EKddEviT_T0_PT8_S1_lS4_S1_lS2_PT9_S1_li.kd
    .uniform_work_group_size: 1
    .uses_dynamic_stack: false
    .vgpr_count:     38
    .vgpr_spill_count: 0
    .wavefront_size: 32
    .workgroup_processor_mode: 1
  - .args:
      - .offset:         0
        .size:           4
        .value_kind:     by_value
      - .offset:         8
        .size:           8
        .value_kind:     by_value
      - .offset:         16
        .size:           8
        .value_kind:     by_value
      - .address_space:  global
        .offset:         24
        .size:           8
        .value_kind:     global_buffer
      - .offset:         32
        .size:           8
        .value_kind:     by_value
      - .offset:         40
        .size:           8
        .value_kind:     by_value
      - .address_space:  global
        .offset:         48
        .size:           8
        .value_kind:     global_buffer
      - .offset:         56
        .size:           8
        .value_kind:     by_value
      - .offset:         64
        .size:           8
        .value_kind:     by_value
      - .offset:         72
        .size:           8
        .value_kind:     by_value
      - .address_space:  global
        .offset:         80
        .size:           8
        .value_kind:     global_buffer
      - .offset:         88
        .size:           8
        .value_kind:     by_value
      - .offset:         96
        .size:           8
        .value_kind:     by_value
      - .offset:         104
        .size:           4
        .value_kind:     by_value
    .group_segment_fixed_size: 4096
    .kernarg_segment_align: 8
    .kernarg_segment_size: 108
    .language:       OpenCL C
    .language_version:
      - 2
      - 0
    .max_flat_workgroup_size: 256
    .name:           _ZL37rocblas_syrkx_herkx_restricted_kernelIldLi16ELi32ELi8ELb1ELb0ELc84ELc85EKddEviT_T0_PT8_S1_lS4_S1_lS2_PT9_S1_li
    .private_segment_fixed_size: 0
    .sgpr_count:     34
    .sgpr_spill_count: 0
    .symbol:         _ZL37rocblas_syrkx_herkx_restricted_kernelIldLi16ELi32ELi8ELb1ELb0ELc84ELc85EKddEviT_T0_PT8_S1_lS4_S1_lS2_PT9_S1_li.kd
    .uniform_work_group_size: 1
    .uses_dynamic_stack: false
    .vgpr_count:     38
    .vgpr_spill_count: 0
    .wavefront_size: 32
    .workgroup_processor_mode: 1
  - .args:
      - .offset:         0
        .size:           4
        .value_kind:     by_value
      - .offset:         8
        .size:           8
        .value_kind:     by_value
      - .offset:         16
        .size:           8
        .value_kind:     by_value
      - .address_space:  global
        .offset:         24
        .size:           8
        .value_kind:     global_buffer
      - .offset:         32
        .size:           8
        .value_kind:     by_value
      - .offset:         40
        .size:           8
        .value_kind:     by_value
      - .address_space:  global
        .offset:         48
        .size:           8
        .value_kind:     global_buffer
      - .offset:         56
        .size:           8
        .value_kind:     by_value
      - .offset:         64
        .size:           8
        .value_kind:     by_value
      - .offset:         72
        .size:           8
        .value_kind:     by_value
      - .address_space:  global
        .offset:         80
        .size:           8
        .value_kind:     global_buffer
      - .offset:         88
        .size:           8
        .value_kind:     by_value
      - .offset:         96
        .size:           8
        .value_kind:     by_value
      - .offset:         104
        .size:           4
        .value_kind:     by_value
    .group_segment_fixed_size: 4096
    .kernarg_segment_align: 8
    .kernarg_segment_size: 108
    .language:       OpenCL C
    .language_version:
      - 2
      - 0
    .max_flat_workgroup_size: 256
    .name:           _ZL37rocblas_syrkx_herkx_restricted_kernelIldLi16ELi32ELi8ELb1ELb0ELc67ELc85EKddEviT_T0_PT8_S1_lS4_S1_lS2_PT9_S1_li
    .private_segment_fixed_size: 0
    .sgpr_count:     34
    .sgpr_spill_count: 0
    .symbol:         _ZL37rocblas_syrkx_herkx_restricted_kernelIldLi16ELi32ELi8ELb1ELb0ELc67ELc85EKddEviT_T0_PT8_S1_lS4_S1_lS2_PT9_S1_li.kd
    .uniform_work_group_size: 1
    .uses_dynamic_stack: false
    .vgpr_count:     38
    .vgpr_spill_count: 0
    .wavefront_size: 32
    .workgroup_processor_mode: 1
  - .args:
      - .offset:         0
        .size:           4
        .value_kind:     by_value
      - .offset:         8
        .size:           8
        .value_kind:     by_value
      - .offset:         16
        .size:           8
        .value_kind:     by_value
      - .address_space:  global
        .offset:         24
        .size:           8
        .value_kind:     global_buffer
      - .offset:         32
        .size:           8
        .value_kind:     by_value
      - .offset:         40
        .size:           8
        .value_kind:     by_value
      - .address_space:  global
        .offset:         48
        .size:           8
        .value_kind:     global_buffer
      - .offset:         56
        .size:           8
        .value_kind:     by_value
      - .offset:         64
        .size:           8
        .value_kind:     by_value
      - .offset:         72
        .size:           8
        .value_kind:     by_value
      - .address_space:  global
        .offset:         80
        .size:           8
        .value_kind:     global_buffer
      - .offset:         88
        .size:           8
        .value_kind:     by_value
      - .offset:         96
        .size:           8
        .value_kind:     by_value
      - .offset:         104
        .size:           4
        .value_kind:     by_value
    .group_segment_fixed_size: 4096
    .kernarg_segment_align: 8
    .kernarg_segment_size: 108
    .language:       OpenCL C
    .language_version:
      - 2
      - 0
    .max_flat_workgroup_size: 256
    .name:           _ZL37rocblas_syrkx_herkx_restricted_kernelIldLi16ELi32ELi8ELb1ELb0ELc78ELc85EKddEviT_T0_PT8_S1_lS4_S1_lS2_PT9_S1_li
    .private_segment_fixed_size: 0
    .sgpr_count:     34
    .sgpr_spill_count: 0
    .symbol:         _ZL37rocblas_syrkx_herkx_restricted_kernelIldLi16ELi32ELi8ELb1ELb0ELc78ELc85EKddEviT_T0_PT8_S1_lS4_S1_lS2_PT9_S1_li.kd
    .uniform_work_group_size: 1
    .uses_dynamic_stack: false
    .vgpr_count:     38
    .vgpr_spill_count: 0
    .wavefront_size: 32
    .workgroup_processor_mode: 1
  - .args:
      - .offset:         0
        .size:           4
        .value_kind:     by_value
      - .offset:         8
        .size:           8
        .value_kind:     by_value
      - .offset:         16
        .size:           8
        .value_kind:     by_value
      - .address_space:  global
        .offset:         24
        .size:           8
        .value_kind:     global_buffer
      - .offset:         32
        .size:           8
        .value_kind:     by_value
      - .offset:         40
        .size:           8
        .value_kind:     by_value
      - .address_space:  global
        .offset:         48
        .size:           8
        .value_kind:     global_buffer
      - .offset:         56
        .size:           8
        .value_kind:     by_value
      - .offset:         64
        .size:           8
        .value_kind:     by_value
      - .offset:         72
        .size:           8
        .value_kind:     by_value
      - .address_space:  global
        .offset:         80
        .size:           8
        .value_kind:     global_buffer
      - .offset:         88
        .size:           8
        .value_kind:     by_value
      - .offset:         96
        .size:           8
        .value_kind:     by_value
      - .offset:         104
        .size:           4
        .value_kind:     by_value
    .group_segment_fixed_size: 4096
    .kernarg_segment_align: 8
    .kernarg_segment_size: 108
    .language:       OpenCL C
    .language_version:
      - 2
      - 0
    .max_flat_workgroup_size: 256
    .name:           _ZL37rocblas_syrkx_herkx_restricted_kernelIldLi16ELi32ELi8ELb0ELb0ELc84ELc76EKddEviT_T0_PT8_S1_lS4_S1_lS2_PT9_S1_li
    .private_segment_fixed_size: 0
    .sgpr_count:     34
    .sgpr_spill_count: 0
    .symbol:         _ZL37rocblas_syrkx_herkx_restricted_kernelIldLi16ELi32ELi8ELb0ELb0ELc84ELc76EKddEviT_T0_PT8_S1_lS4_S1_lS2_PT9_S1_li.kd
    .uniform_work_group_size: 1
    .uses_dynamic_stack: false
    .vgpr_count:     38
    .vgpr_spill_count: 0
    .wavefront_size: 32
    .workgroup_processor_mode: 1
  - .args:
      - .offset:         0
        .size:           4
        .value_kind:     by_value
      - .offset:         8
        .size:           8
        .value_kind:     by_value
      - .offset:         16
        .size:           8
        .value_kind:     by_value
      - .address_space:  global
        .offset:         24
        .size:           8
        .value_kind:     global_buffer
      - .offset:         32
        .size:           8
        .value_kind:     by_value
      - .offset:         40
        .size:           8
        .value_kind:     by_value
      - .address_space:  global
        .offset:         48
        .size:           8
        .value_kind:     global_buffer
      - .offset:         56
        .size:           8
        .value_kind:     by_value
      - .offset:         64
        .size:           8
        .value_kind:     by_value
      - .offset:         72
        .size:           8
        .value_kind:     by_value
      - .address_space:  global
        .offset:         80
        .size:           8
        .value_kind:     global_buffer
      - .offset:         88
        .size:           8
        .value_kind:     by_value
      - .offset:         96
        .size:           8
        .value_kind:     by_value
      - .offset:         104
        .size:           4
        .value_kind:     by_value
    .group_segment_fixed_size: 4096
    .kernarg_segment_align: 8
    .kernarg_segment_size: 108
    .language:       OpenCL C
    .language_version:
      - 2
      - 0
    .max_flat_workgroup_size: 256
    .name:           _ZL37rocblas_syrkx_herkx_restricted_kernelIldLi16ELi32ELi8ELb0ELb0ELc67ELc76EKddEviT_T0_PT8_S1_lS4_S1_lS2_PT9_S1_li
    .private_segment_fixed_size: 0
    .sgpr_count:     34
    .sgpr_spill_count: 0
    .symbol:         _ZL37rocblas_syrkx_herkx_restricted_kernelIldLi16ELi32ELi8ELb0ELb0ELc67ELc76EKddEviT_T0_PT8_S1_lS4_S1_lS2_PT9_S1_li.kd
    .uniform_work_group_size: 1
    .uses_dynamic_stack: false
    .vgpr_count:     38
    .vgpr_spill_count: 0
    .wavefront_size: 32
    .workgroup_processor_mode: 1
  - .args:
      - .offset:         0
        .size:           4
        .value_kind:     by_value
      - .offset:         8
        .size:           8
        .value_kind:     by_value
      - .offset:         16
        .size:           8
        .value_kind:     by_value
      - .address_space:  global
        .offset:         24
        .size:           8
        .value_kind:     global_buffer
      - .offset:         32
        .size:           8
        .value_kind:     by_value
      - .offset:         40
        .size:           8
        .value_kind:     by_value
      - .address_space:  global
        .offset:         48
        .size:           8
        .value_kind:     global_buffer
      - .offset:         56
        .size:           8
        .value_kind:     by_value
      - .offset:         64
        .size:           8
        .value_kind:     by_value
      - .offset:         72
        .size:           8
        .value_kind:     by_value
      - .address_space:  global
        .offset:         80
        .size:           8
        .value_kind:     global_buffer
      - .offset:         88
        .size:           8
        .value_kind:     by_value
      - .offset:         96
        .size:           8
        .value_kind:     by_value
      - .offset:         104
        .size:           4
        .value_kind:     by_value
    .group_segment_fixed_size: 4096
    .kernarg_segment_align: 8
    .kernarg_segment_size: 108
    .language:       OpenCL C
    .language_version:
      - 2
      - 0
    .max_flat_workgroup_size: 256
    .name:           _ZL37rocblas_syrkx_herkx_restricted_kernelIldLi16ELi32ELi8ELb0ELb0ELc78ELc76EKddEviT_T0_PT8_S1_lS4_S1_lS2_PT9_S1_li
    .private_segment_fixed_size: 0
    .sgpr_count:     34
    .sgpr_spill_count: 0
    .symbol:         _ZL37rocblas_syrkx_herkx_restricted_kernelIldLi16ELi32ELi8ELb0ELb0ELc78ELc76EKddEviT_T0_PT8_S1_lS4_S1_lS2_PT9_S1_li.kd
    .uniform_work_group_size: 1
    .uses_dynamic_stack: false
    .vgpr_count:     38
    .vgpr_spill_count: 0
    .wavefront_size: 32
    .workgroup_processor_mode: 1
  - .args:
      - .offset:         0
        .size:           4
        .value_kind:     by_value
      - .offset:         8
        .size:           8
        .value_kind:     by_value
      - .offset:         16
        .size:           8
        .value_kind:     by_value
      - .address_space:  global
        .offset:         24
        .size:           8
        .value_kind:     global_buffer
      - .offset:         32
        .size:           8
        .value_kind:     by_value
      - .offset:         40
        .size:           8
        .value_kind:     by_value
      - .address_space:  global
        .offset:         48
        .size:           8
        .value_kind:     global_buffer
      - .offset:         56
        .size:           8
        .value_kind:     by_value
      - .offset:         64
        .size:           8
        .value_kind:     by_value
      - .offset:         72
        .size:           8
        .value_kind:     by_value
      - .address_space:  global
        .offset:         80
        .size:           8
        .value_kind:     global_buffer
      - .offset:         88
        .size:           8
        .value_kind:     by_value
      - .offset:         96
        .size:           8
        .value_kind:     by_value
      - .offset:         104
        .size:           4
        .value_kind:     by_value
    .group_segment_fixed_size: 4096
    .kernarg_segment_align: 8
    .kernarg_segment_size: 108
    .language:       OpenCL C
    .language_version:
      - 2
      - 0
    .max_flat_workgroup_size: 256
    .name:           _ZL37rocblas_syrkx_herkx_restricted_kernelIldLi16ELi32ELi8ELb0ELb0ELc84ELc85EKddEviT_T0_PT8_S1_lS4_S1_lS2_PT9_S1_li
    .private_segment_fixed_size: 0
    .sgpr_count:     34
    .sgpr_spill_count: 0
    .symbol:         _ZL37rocblas_syrkx_herkx_restricted_kernelIldLi16ELi32ELi8ELb0ELb0ELc84ELc85EKddEviT_T0_PT8_S1_lS4_S1_lS2_PT9_S1_li.kd
    .uniform_work_group_size: 1
    .uses_dynamic_stack: false
    .vgpr_count:     38
    .vgpr_spill_count: 0
    .wavefront_size: 32
    .workgroup_processor_mode: 1
  - .args:
      - .offset:         0
        .size:           4
        .value_kind:     by_value
      - .offset:         8
        .size:           8
        .value_kind:     by_value
      - .offset:         16
        .size:           8
        .value_kind:     by_value
      - .address_space:  global
        .offset:         24
        .size:           8
        .value_kind:     global_buffer
      - .offset:         32
        .size:           8
        .value_kind:     by_value
      - .offset:         40
        .size:           8
        .value_kind:     by_value
      - .address_space:  global
        .offset:         48
        .size:           8
        .value_kind:     global_buffer
      - .offset:         56
        .size:           8
        .value_kind:     by_value
      - .offset:         64
        .size:           8
        .value_kind:     by_value
      - .offset:         72
        .size:           8
        .value_kind:     by_value
      - .address_space:  global
        .offset:         80
        .size:           8
        .value_kind:     global_buffer
      - .offset:         88
        .size:           8
        .value_kind:     by_value
      - .offset:         96
        .size:           8
        .value_kind:     by_value
      - .offset:         104
        .size:           4
        .value_kind:     by_value
    .group_segment_fixed_size: 4096
    .kernarg_segment_align: 8
    .kernarg_segment_size: 108
    .language:       OpenCL C
    .language_version:
      - 2
      - 0
    .max_flat_workgroup_size: 256
    .name:           _ZL37rocblas_syrkx_herkx_restricted_kernelIldLi16ELi32ELi8ELb0ELb0ELc67ELc85EKddEviT_T0_PT8_S1_lS4_S1_lS2_PT9_S1_li
    .private_segment_fixed_size: 0
    .sgpr_count:     34
    .sgpr_spill_count: 0
    .symbol:         _ZL37rocblas_syrkx_herkx_restricted_kernelIldLi16ELi32ELi8ELb0ELb0ELc67ELc85EKddEviT_T0_PT8_S1_lS4_S1_lS2_PT9_S1_li.kd
    .uniform_work_group_size: 1
    .uses_dynamic_stack: false
    .vgpr_count:     38
    .vgpr_spill_count: 0
    .wavefront_size: 32
    .workgroup_processor_mode: 1
  - .args:
      - .offset:         0
        .size:           4
        .value_kind:     by_value
      - .offset:         8
        .size:           8
        .value_kind:     by_value
      - .offset:         16
        .size:           8
        .value_kind:     by_value
      - .address_space:  global
        .offset:         24
        .size:           8
        .value_kind:     global_buffer
      - .offset:         32
        .size:           8
        .value_kind:     by_value
      - .offset:         40
        .size:           8
        .value_kind:     by_value
      - .address_space:  global
        .offset:         48
        .size:           8
        .value_kind:     global_buffer
      - .offset:         56
        .size:           8
        .value_kind:     by_value
      - .offset:         64
        .size:           8
        .value_kind:     by_value
      - .offset:         72
        .size:           8
        .value_kind:     by_value
      - .address_space:  global
        .offset:         80
        .size:           8
        .value_kind:     global_buffer
      - .offset:         88
        .size:           8
        .value_kind:     by_value
      - .offset:         96
        .size:           8
        .value_kind:     by_value
      - .offset:         104
        .size:           4
        .value_kind:     by_value
    .group_segment_fixed_size: 4096
    .kernarg_segment_align: 8
    .kernarg_segment_size: 108
    .language:       OpenCL C
    .language_version:
      - 2
      - 0
    .max_flat_workgroup_size: 256
    .name:           _ZL37rocblas_syrkx_herkx_restricted_kernelIldLi16ELi32ELi8ELb0ELb0ELc78ELc85EKddEviT_T0_PT8_S1_lS4_S1_lS2_PT9_S1_li
    .private_segment_fixed_size: 0
    .sgpr_count:     34
    .sgpr_spill_count: 0
    .symbol:         _ZL37rocblas_syrkx_herkx_restricted_kernelIldLi16ELi32ELi8ELb0ELb0ELc78ELc85EKddEviT_T0_PT8_S1_lS4_S1_lS2_PT9_S1_li.kd
    .uniform_work_group_size: 1
    .uses_dynamic_stack: false
    .vgpr_count:     38
    .vgpr_spill_count: 0
    .wavefront_size: 32
    .workgroup_processor_mode: 1
  - .args:
      - .offset:         0
        .size:           4
        .value_kind:     by_value
      - .offset:         8
        .size:           8
        .value_kind:     by_value
      - .offset:         16
        .size:           8
        .value_kind:     by_value
      - .address_space:  global
        .offset:         24
        .size:           8
        .value_kind:     global_buffer
      - .offset:         32
        .size:           8
        .value_kind:     by_value
      - .offset:         40
        .size:           8
        .value_kind:     by_value
      - .address_space:  global
        .offset:         48
        .size:           8
        .value_kind:     global_buffer
      - .offset:         56
        .size:           8
        .value_kind:     by_value
      - .offset:         64
        .size:           8
        .value_kind:     by_value
      - .offset:         72
        .size:           8
        .value_kind:     by_value
      - .address_space:  global
        .offset:         80
        .size:           8
        .value_kind:     global_buffer
      - .offset:         88
        .size:           8
        .value_kind:     by_value
      - .offset:         96
        .size:           8
        .value_kind:     by_value
      - .offset:         104
        .size:           4
        .value_kind:     by_value
    .group_segment_fixed_size: 4096
    .kernarg_segment_align: 8
    .kernarg_segment_size: 108
    .language:       OpenCL C
    .language_version:
      - 2
      - 0
    .max_flat_workgroup_size: 256
    .name:           _ZL41rocblas_syrkx_herkx_small_restrict_kernelIldLi16ELb1ELb0ELc84ELc76EKddEviT_T0_PT6_S1_lS4_S1_lS2_PT7_S1_li
    .private_segment_fixed_size: 0
    .sgpr_count:     34
    .sgpr_spill_count: 0
    .symbol:         _ZL41rocblas_syrkx_herkx_small_restrict_kernelIldLi16ELb1ELb0ELc84ELc76EKddEviT_T0_PT6_S1_lS4_S1_lS2_PT7_S1_li.kd
    .uniform_work_group_size: 1
    .uses_dynamic_stack: false
    .vgpr_count:     26
    .vgpr_spill_count: 0
    .wavefront_size: 32
    .workgroup_processor_mode: 1
  - .args:
      - .offset:         0
        .size:           4
        .value_kind:     by_value
      - .offset:         8
        .size:           8
        .value_kind:     by_value
      - .offset:         16
        .size:           8
        .value_kind:     by_value
      - .address_space:  global
        .offset:         24
        .size:           8
        .value_kind:     global_buffer
      - .offset:         32
        .size:           8
        .value_kind:     by_value
      - .offset:         40
        .size:           8
        .value_kind:     by_value
      - .address_space:  global
        .offset:         48
        .size:           8
        .value_kind:     global_buffer
      - .offset:         56
        .size:           8
        .value_kind:     by_value
      - .offset:         64
        .size:           8
        .value_kind:     by_value
      - .offset:         72
        .size:           8
        .value_kind:     by_value
      - .address_space:  global
        .offset:         80
        .size:           8
        .value_kind:     global_buffer
      - .offset:         88
        .size:           8
        .value_kind:     by_value
      - .offset:         96
        .size:           8
        .value_kind:     by_value
      - .offset:         104
        .size:           4
        .value_kind:     by_value
    .group_segment_fixed_size: 4096
    .kernarg_segment_align: 8
    .kernarg_segment_size: 108
    .language:       OpenCL C
    .language_version:
      - 2
      - 0
    .max_flat_workgroup_size: 256
    .name:           _ZL41rocblas_syrkx_herkx_small_restrict_kernelIldLi16ELb1ELb0ELc67ELc76EKddEviT_T0_PT6_S1_lS4_S1_lS2_PT7_S1_li
    .private_segment_fixed_size: 0
    .sgpr_count:     34
    .sgpr_spill_count: 0
    .symbol:         _ZL41rocblas_syrkx_herkx_small_restrict_kernelIldLi16ELb1ELb0ELc67ELc76EKddEviT_T0_PT6_S1_lS4_S1_lS2_PT7_S1_li.kd
    .uniform_work_group_size: 1
    .uses_dynamic_stack: false
    .vgpr_count:     26
    .vgpr_spill_count: 0
    .wavefront_size: 32
    .workgroup_processor_mode: 1
  - .args:
      - .offset:         0
        .size:           4
        .value_kind:     by_value
      - .offset:         8
        .size:           8
        .value_kind:     by_value
      - .offset:         16
        .size:           8
        .value_kind:     by_value
      - .address_space:  global
        .offset:         24
        .size:           8
        .value_kind:     global_buffer
      - .offset:         32
        .size:           8
        .value_kind:     by_value
      - .offset:         40
        .size:           8
        .value_kind:     by_value
      - .address_space:  global
        .offset:         48
        .size:           8
        .value_kind:     global_buffer
      - .offset:         56
        .size:           8
        .value_kind:     by_value
      - .offset:         64
        .size:           8
        .value_kind:     by_value
      - .offset:         72
        .size:           8
        .value_kind:     by_value
      - .address_space:  global
        .offset:         80
        .size:           8
        .value_kind:     global_buffer
      - .offset:         88
        .size:           8
        .value_kind:     by_value
      - .offset:         96
        .size:           8
        .value_kind:     by_value
      - .offset:         104
        .size:           4
        .value_kind:     by_value
    .group_segment_fixed_size: 4096
    .kernarg_segment_align: 8
    .kernarg_segment_size: 108
    .language:       OpenCL C
    .language_version:
      - 2
      - 0
    .max_flat_workgroup_size: 256
    .name:           _ZL41rocblas_syrkx_herkx_small_restrict_kernelIldLi16ELb1ELb0ELc78ELc76EKddEviT_T0_PT6_S1_lS4_S1_lS2_PT7_S1_li
    .private_segment_fixed_size: 0
    .sgpr_count:     34
    .sgpr_spill_count: 0
    .symbol:         _ZL41rocblas_syrkx_herkx_small_restrict_kernelIldLi16ELb1ELb0ELc78ELc76EKddEviT_T0_PT6_S1_lS4_S1_lS2_PT7_S1_li.kd
    .uniform_work_group_size: 1
    .uses_dynamic_stack: false
    .vgpr_count:     26
    .vgpr_spill_count: 0
    .wavefront_size: 32
    .workgroup_processor_mode: 1
  - .args:
      - .offset:         0
        .size:           4
        .value_kind:     by_value
      - .offset:         8
        .size:           8
        .value_kind:     by_value
      - .offset:         16
        .size:           8
        .value_kind:     by_value
      - .address_space:  global
        .offset:         24
        .size:           8
        .value_kind:     global_buffer
      - .offset:         32
        .size:           8
        .value_kind:     by_value
      - .offset:         40
        .size:           8
        .value_kind:     by_value
      - .address_space:  global
        .offset:         48
        .size:           8
        .value_kind:     global_buffer
      - .offset:         56
        .size:           8
        .value_kind:     by_value
      - .offset:         64
        .size:           8
        .value_kind:     by_value
      - .offset:         72
        .size:           8
        .value_kind:     by_value
      - .address_space:  global
        .offset:         80
        .size:           8
        .value_kind:     global_buffer
      - .offset:         88
        .size:           8
        .value_kind:     by_value
      - .offset:         96
        .size:           8
        .value_kind:     by_value
      - .offset:         104
        .size:           4
        .value_kind:     by_value
    .group_segment_fixed_size: 4096
    .kernarg_segment_align: 8
    .kernarg_segment_size: 108
    .language:       OpenCL C
    .language_version:
      - 2
      - 0
    .max_flat_workgroup_size: 256
    .name:           _ZL41rocblas_syrkx_herkx_small_restrict_kernelIldLi16ELb1ELb0ELc84ELc85EKddEviT_T0_PT6_S1_lS4_S1_lS2_PT7_S1_li
    .private_segment_fixed_size: 0
    .sgpr_count:     34
    .sgpr_spill_count: 0
    .symbol:         _ZL41rocblas_syrkx_herkx_small_restrict_kernelIldLi16ELb1ELb0ELc84ELc85EKddEviT_T0_PT6_S1_lS4_S1_lS2_PT7_S1_li.kd
    .uniform_work_group_size: 1
    .uses_dynamic_stack: false
    .vgpr_count:     26
    .vgpr_spill_count: 0
    .wavefront_size: 32
    .workgroup_processor_mode: 1
  - .args:
      - .offset:         0
        .size:           4
        .value_kind:     by_value
      - .offset:         8
        .size:           8
        .value_kind:     by_value
      - .offset:         16
        .size:           8
        .value_kind:     by_value
      - .address_space:  global
        .offset:         24
        .size:           8
        .value_kind:     global_buffer
      - .offset:         32
        .size:           8
        .value_kind:     by_value
      - .offset:         40
        .size:           8
        .value_kind:     by_value
      - .address_space:  global
        .offset:         48
        .size:           8
        .value_kind:     global_buffer
      - .offset:         56
        .size:           8
        .value_kind:     by_value
      - .offset:         64
        .size:           8
        .value_kind:     by_value
      - .offset:         72
        .size:           8
        .value_kind:     by_value
      - .address_space:  global
        .offset:         80
        .size:           8
        .value_kind:     global_buffer
      - .offset:         88
        .size:           8
        .value_kind:     by_value
      - .offset:         96
        .size:           8
        .value_kind:     by_value
      - .offset:         104
        .size:           4
        .value_kind:     by_value
    .group_segment_fixed_size: 4096
    .kernarg_segment_align: 8
    .kernarg_segment_size: 108
    .language:       OpenCL C
    .language_version:
      - 2
      - 0
    .max_flat_workgroup_size: 256
    .name:           _ZL41rocblas_syrkx_herkx_small_restrict_kernelIldLi16ELb1ELb0ELc67ELc85EKddEviT_T0_PT6_S1_lS4_S1_lS2_PT7_S1_li
    .private_segment_fixed_size: 0
    .sgpr_count:     34
    .sgpr_spill_count: 0
    .symbol:         _ZL41rocblas_syrkx_herkx_small_restrict_kernelIldLi16ELb1ELb0ELc67ELc85EKddEviT_T0_PT6_S1_lS4_S1_lS2_PT7_S1_li.kd
    .uniform_work_group_size: 1
    .uses_dynamic_stack: false
    .vgpr_count:     26
    .vgpr_spill_count: 0
    .wavefront_size: 32
    .workgroup_processor_mode: 1
  - .args:
      - .offset:         0
        .size:           4
        .value_kind:     by_value
      - .offset:         8
        .size:           8
        .value_kind:     by_value
      - .offset:         16
        .size:           8
        .value_kind:     by_value
      - .address_space:  global
        .offset:         24
        .size:           8
        .value_kind:     global_buffer
      - .offset:         32
        .size:           8
        .value_kind:     by_value
      - .offset:         40
        .size:           8
        .value_kind:     by_value
      - .address_space:  global
        .offset:         48
        .size:           8
        .value_kind:     global_buffer
      - .offset:         56
        .size:           8
        .value_kind:     by_value
      - .offset:         64
        .size:           8
        .value_kind:     by_value
      - .offset:         72
        .size:           8
        .value_kind:     by_value
      - .address_space:  global
        .offset:         80
        .size:           8
        .value_kind:     global_buffer
      - .offset:         88
        .size:           8
        .value_kind:     by_value
      - .offset:         96
        .size:           8
        .value_kind:     by_value
      - .offset:         104
        .size:           4
        .value_kind:     by_value
    .group_segment_fixed_size: 4096
    .kernarg_segment_align: 8
    .kernarg_segment_size: 108
    .language:       OpenCL C
    .language_version:
      - 2
      - 0
    .max_flat_workgroup_size: 256
    .name:           _ZL41rocblas_syrkx_herkx_small_restrict_kernelIldLi16ELb1ELb0ELc78ELc85EKddEviT_T0_PT6_S1_lS4_S1_lS2_PT7_S1_li
    .private_segment_fixed_size: 0
    .sgpr_count:     34
    .sgpr_spill_count: 0
    .symbol:         _ZL41rocblas_syrkx_herkx_small_restrict_kernelIldLi16ELb1ELb0ELc78ELc85EKddEviT_T0_PT6_S1_lS4_S1_lS2_PT7_S1_li.kd
    .uniform_work_group_size: 1
    .uses_dynamic_stack: false
    .vgpr_count:     26
    .vgpr_spill_count: 0
    .wavefront_size: 32
    .workgroup_processor_mode: 1
  - .args:
      - .offset:         0
        .size:           4
        .value_kind:     by_value
      - .offset:         8
        .size:           8
        .value_kind:     by_value
      - .offset:         16
        .size:           8
        .value_kind:     by_value
      - .address_space:  global
        .offset:         24
        .size:           8
        .value_kind:     global_buffer
      - .offset:         32
        .size:           8
        .value_kind:     by_value
      - .offset:         40
        .size:           8
        .value_kind:     by_value
      - .address_space:  global
        .offset:         48
        .size:           8
        .value_kind:     global_buffer
      - .offset:         56
        .size:           8
        .value_kind:     by_value
      - .offset:         64
        .size:           8
        .value_kind:     by_value
      - .offset:         72
        .size:           8
        .value_kind:     by_value
      - .address_space:  global
        .offset:         80
        .size:           8
        .value_kind:     global_buffer
      - .offset:         88
        .size:           8
        .value_kind:     by_value
      - .offset:         96
        .size:           8
        .value_kind:     by_value
      - .offset:         104
        .size:           4
        .value_kind:     by_value
    .group_segment_fixed_size: 4096
    .kernarg_segment_align: 8
    .kernarg_segment_size: 108
    .language:       OpenCL C
    .language_version:
      - 2
      - 0
    .max_flat_workgroup_size: 256
    .name:           _ZL41rocblas_syrkx_herkx_small_restrict_kernelIldLi16ELb0ELb0ELc84ELc76EKddEviT_T0_PT6_S1_lS4_S1_lS2_PT7_S1_li
    .private_segment_fixed_size: 0
    .sgpr_count:     34
    .sgpr_spill_count: 0
    .symbol:         _ZL41rocblas_syrkx_herkx_small_restrict_kernelIldLi16ELb0ELb0ELc84ELc76EKddEviT_T0_PT6_S1_lS4_S1_lS2_PT7_S1_li.kd
    .uniform_work_group_size: 1
    .uses_dynamic_stack: false
    .vgpr_count:     26
    .vgpr_spill_count: 0
    .wavefront_size: 32
    .workgroup_processor_mode: 1
  - .args:
      - .offset:         0
        .size:           4
        .value_kind:     by_value
      - .offset:         8
        .size:           8
        .value_kind:     by_value
      - .offset:         16
        .size:           8
        .value_kind:     by_value
      - .address_space:  global
        .offset:         24
        .size:           8
        .value_kind:     global_buffer
      - .offset:         32
        .size:           8
        .value_kind:     by_value
      - .offset:         40
        .size:           8
        .value_kind:     by_value
      - .address_space:  global
        .offset:         48
        .size:           8
        .value_kind:     global_buffer
      - .offset:         56
        .size:           8
        .value_kind:     by_value
      - .offset:         64
        .size:           8
        .value_kind:     by_value
      - .offset:         72
        .size:           8
        .value_kind:     by_value
      - .address_space:  global
        .offset:         80
        .size:           8
        .value_kind:     global_buffer
      - .offset:         88
        .size:           8
        .value_kind:     by_value
      - .offset:         96
        .size:           8
        .value_kind:     by_value
      - .offset:         104
        .size:           4
        .value_kind:     by_value
    .group_segment_fixed_size: 4096
    .kernarg_segment_align: 8
    .kernarg_segment_size: 108
    .language:       OpenCL C
    .language_version:
      - 2
      - 0
    .max_flat_workgroup_size: 256
    .name:           _ZL41rocblas_syrkx_herkx_small_restrict_kernelIldLi16ELb0ELb0ELc67ELc76EKddEviT_T0_PT6_S1_lS4_S1_lS2_PT7_S1_li
    .private_segment_fixed_size: 0
    .sgpr_count:     34
    .sgpr_spill_count: 0
    .symbol:         _ZL41rocblas_syrkx_herkx_small_restrict_kernelIldLi16ELb0ELb0ELc67ELc76EKddEviT_T0_PT6_S1_lS4_S1_lS2_PT7_S1_li.kd
    .uniform_work_group_size: 1
    .uses_dynamic_stack: false
    .vgpr_count:     26
    .vgpr_spill_count: 0
    .wavefront_size: 32
    .workgroup_processor_mode: 1
  - .args:
      - .offset:         0
        .size:           4
        .value_kind:     by_value
      - .offset:         8
        .size:           8
        .value_kind:     by_value
      - .offset:         16
        .size:           8
        .value_kind:     by_value
      - .address_space:  global
        .offset:         24
        .size:           8
        .value_kind:     global_buffer
      - .offset:         32
        .size:           8
        .value_kind:     by_value
      - .offset:         40
        .size:           8
        .value_kind:     by_value
      - .address_space:  global
        .offset:         48
        .size:           8
        .value_kind:     global_buffer
      - .offset:         56
        .size:           8
        .value_kind:     by_value
      - .offset:         64
        .size:           8
        .value_kind:     by_value
      - .offset:         72
        .size:           8
        .value_kind:     by_value
      - .address_space:  global
        .offset:         80
        .size:           8
        .value_kind:     global_buffer
      - .offset:         88
        .size:           8
        .value_kind:     by_value
      - .offset:         96
        .size:           8
        .value_kind:     by_value
      - .offset:         104
        .size:           4
        .value_kind:     by_value
    .group_segment_fixed_size: 4096
    .kernarg_segment_align: 8
    .kernarg_segment_size: 108
    .language:       OpenCL C
    .language_version:
      - 2
      - 0
    .max_flat_workgroup_size: 256
    .name:           _ZL41rocblas_syrkx_herkx_small_restrict_kernelIldLi16ELb0ELb0ELc78ELc76EKddEviT_T0_PT6_S1_lS4_S1_lS2_PT7_S1_li
    .private_segment_fixed_size: 0
    .sgpr_count:     34
    .sgpr_spill_count: 0
    .symbol:         _ZL41rocblas_syrkx_herkx_small_restrict_kernelIldLi16ELb0ELb0ELc78ELc76EKddEviT_T0_PT6_S1_lS4_S1_lS2_PT7_S1_li.kd
    .uniform_work_group_size: 1
    .uses_dynamic_stack: false
    .vgpr_count:     26
    .vgpr_spill_count: 0
    .wavefront_size: 32
    .workgroup_processor_mode: 1
  - .args:
      - .offset:         0
        .size:           4
        .value_kind:     by_value
      - .offset:         8
        .size:           8
        .value_kind:     by_value
      - .offset:         16
        .size:           8
        .value_kind:     by_value
      - .address_space:  global
        .offset:         24
        .size:           8
        .value_kind:     global_buffer
      - .offset:         32
        .size:           8
        .value_kind:     by_value
      - .offset:         40
        .size:           8
        .value_kind:     by_value
      - .address_space:  global
        .offset:         48
        .size:           8
        .value_kind:     global_buffer
      - .offset:         56
        .size:           8
        .value_kind:     by_value
      - .offset:         64
        .size:           8
        .value_kind:     by_value
      - .offset:         72
        .size:           8
        .value_kind:     by_value
      - .address_space:  global
        .offset:         80
        .size:           8
        .value_kind:     global_buffer
      - .offset:         88
        .size:           8
        .value_kind:     by_value
      - .offset:         96
        .size:           8
        .value_kind:     by_value
      - .offset:         104
        .size:           4
        .value_kind:     by_value
    .group_segment_fixed_size: 4096
    .kernarg_segment_align: 8
    .kernarg_segment_size: 108
    .language:       OpenCL C
    .language_version:
      - 2
      - 0
    .max_flat_workgroup_size: 256
    .name:           _ZL41rocblas_syrkx_herkx_small_restrict_kernelIldLi16ELb0ELb0ELc84ELc85EKddEviT_T0_PT6_S1_lS4_S1_lS2_PT7_S1_li
    .private_segment_fixed_size: 0
    .sgpr_count:     34
    .sgpr_spill_count: 0
    .symbol:         _ZL41rocblas_syrkx_herkx_small_restrict_kernelIldLi16ELb0ELb0ELc84ELc85EKddEviT_T0_PT6_S1_lS4_S1_lS2_PT7_S1_li.kd
    .uniform_work_group_size: 1
    .uses_dynamic_stack: false
    .vgpr_count:     26
    .vgpr_spill_count: 0
    .wavefront_size: 32
    .workgroup_processor_mode: 1
  - .args:
      - .offset:         0
        .size:           4
        .value_kind:     by_value
      - .offset:         8
        .size:           8
        .value_kind:     by_value
      - .offset:         16
        .size:           8
        .value_kind:     by_value
      - .address_space:  global
        .offset:         24
        .size:           8
        .value_kind:     global_buffer
      - .offset:         32
        .size:           8
        .value_kind:     by_value
      - .offset:         40
        .size:           8
        .value_kind:     by_value
      - .address_space:  global
        .offset:         48
        .size:           8
        .value_kind:     global_buffer
      - .offset:         56
        .size:           8
        .value_kind:     by_value
      - .offset:         64
        .size:           8
        .value_kind:     by_value
      - .offset:         72
        .size:           8
        .value_kind:     by_value
      - .address_space:  global
        .offset:         80
        .size:           8
        .value_kind:     global_buffer
      - .offset:         88
        .size:           8
        .value_kind:     by_value
      - .offset:         96
        .size:           8
        .value_kind:     by_value
      - .offset:         104
        .size:           4
        .value_kind:     by_value
    .group_segment_fixed_size: 4096
    .kernarg_segment_align: 8
    .kernarg_segment_size: 108
    .language:       OpenCL C
    .language_version:
      - 2
      - 0
    .max_flat_workgroup_size: 256
    .name:           _ZL41rocblas_syrkx_herkx_small_restrict_kernelIldLi16ELb0ELb0ELc67ELc85EKddEviT_T0_PT6_S1_lS4_S1_lS2_PT7_S1_li
    .private_segment_fixed_size: 0
    .sgpr_count:     34
    .sgpr_spill_count: 0
    .symbol:         _ZL41rocblas_syrkx_herkx_small_restrict_kernelIldLi16ELb0ELb0ELc67ELc85EKddEviT_T0_PT6_S1_lS4_S1_lS2_PT7_S1_li.kd
    .uniform_work_group_size: 1
    .uses_dynamic_stack: false
    .vgpr_count:     26
    .vgpr_spill_count: 0
    .wavefront_size: 32
    .workgroup_processor_mode: 1
  - .args:
      - .offset:         0
        .size:           4
        .value_kind:     by_value
      - .offset:         8
        .size:           8
        .value_kind:     by_value
      - .offset:         16
        .size:           8
        .value_kind:     by_value
      - .address_space:  global
        .offset:         24
        .size:           8
        .value_kind:     global_buffer
      - .offset:         32
        .size:           8
        .value_kind:     by_value
      - .offset:         40
        .size:           8
        .value_kind:     by_value
      - .address_space:  global
        .offset:         48
        .size:           8
        .value_kind:     global_buffer
      - .offset:         56
        .size:           8
        .value_kind:     by_value
      - .offset:         64
        .size:           8
        .value_kind:     by_value
      - .offset:         72
        .size:           8
        .value_kind:     by_value
      - .address_space:  global
        .offset:         80
        .size:           8
        .value_kind:     global_buffer
      - .offset:         88
        .size:           8
        .value_kind:     by_value
      - .offset:         96
        .size:           8
        .value_kind:     by_value
      - .offset:         104
        .size:           4
        .value_kind:     by_value
    .group_segment_fixed_size: 4096
    .kernarg_segment_align: 8
    .kernarg_segment_size: 108
    .language:       OpenCL C
    .language_version:
      - 2
      - 0
    .max_flat_workgroup_size: 256
    .name:           _ZL41rocblas_syrkx_herkx_small_restrict_kernelIldLi16ELb0ELb0ELc78ELc85EKddEviT_T0_PT6_S1_lS4_S1_lS2_PT7_S1_li
    .private_segment_fixed_size: 0
    .sgpr_count:     34
    .sgpr_spill_count: 0
    .symbol:         _ZL41rocblas_syrkx_herkx_small_restrict_kernelIldLi16ELb0ELb0ELc78ELc85EKddEviT_T0_PT6_S1_lS4_S1_lS2_PT7_S1_li.kd
    .uniform_work_group_size: 1
    .uses_dynamic_stack: false
    .vgpr_count:     26
    .vgpr_spill_count: 0
    .wavefront_size: 32
    .workgroup_processor_mode: 1
  - .args:
      - .offset:         0
        .size:           4
        .value_kind:     by_value
      - .offset:         8
        .size:           8
        .value_kind:     by_value
      - .offset:         16
        .size:           8
        .value_kind:     by_value
      - .address_space:  global
        .offset:         24
        .size:           8
        .value_kind:     global_buffer
      - .offset:         32
        .size:           8
        .value_kind:     by_value
      - .offset:         40
        .size:           8
        .value_kind:     by_value
      - .address_space:  global
        .offset:         48
        .size:           8
        .value_kind:     global_buffer
      - .offset:         56
        .size:           8
        .value_kind:     by_value
      - .offset:         64
        .size:           8
        .value_kind:     by_value
      - .offset:         72
        .size:           8
        .value_kind:     by_value
      - .address_space:  global
        .offset:         80
        .size:           8
        .value_kind:     global_buffer
      - .offset:         88
        .size:           8
        .value_kind:     by_value
      - .offset:         96
        .size:           8
        .value_kind:     by_value
      - .offset:         104
        .size:           4
        .value_kind:     by_value
    .group_segment_fixed_size: 4096
    .kernarg_segment_align: 8
    .kernarg_segment_size: 108
    .language:       OpenCL C
    .language_version:
      - 2
      - 0
    .max_flat_workgroup_size: 256
    .name:           _ZL32rocblas_syrkx_herkx_small_kernelIldLi16ELb1ELb0ELc84ELc76EKddEviT_T0_PT6_S1_lS4_S1_lS2_PT7_S1_li
    .private_segment_fixed_size: 0
    .sgpr_count:     34
    .sgpr_spill_count: 0
    .symbol:         _ZL32rocblas_syrkx_herkx_small_kernelIldLi16ELb1ELb0ELc84ELc76EKddEviT_T0_PT6_S1_lS4_S1_lS2_PT7_S1_li.kd
    .uniform_work_group_size: 1
    .uses_dynamic_stack: false
    .vgpr_count:     30
    .vgpr_spill_count: 0
    .wavefront_size: 32
    .workgroup_processor_mode: 1
  - .args:
      - .offset:         0
        .size:           4
        .value_kind:     by_value
      - .offset:         8
        .size:           8
        .value_kind:     by_value
      - .offset:         16
        .size:           8
        .value_kind:     by_value
      - .address_space:  global
        .offset:         24
        .size:           8
        .value_kind:     global_buffer
      - .offset:         32
        .size:           8
        .value_kind:     by_value
      - .offset:         40
        .size:           8
        .value_kind:     by_value
      - .address_space:  global
        .offset:         48
        .size:           8
        .value_kind:     global_buffer
      - .offset:         56
        .size:           8
        .value_kind:     by_value
      - .offset:         64
        .size:           8
        .value_kind:     by_value
      - .offset:         72
        .size:           8
        .value_kind:     by_value
      - .address_space:  global
        .offset:         80
        .size:           8
        .value_kind:     global_buffer
      - .offset:         88
        .size:           8
        .value_kind:     by_value
      - .offset:         96
        .size:           8
        .value_kind:     by_value
      - .offset:         104
        .size:           4
        .value_kind:     by_value
    .group_segment_fixed_size: 4096
    .kernarg_segment_align: 8
    .kernarg_segment_size: 108
    .language:       OpenCL C
    .language_version:
      - 2
      - 0
    .max_flat_workgroup_size: 256
    .name:           _ZL32rocblas_syrkx_herkx_small_kernelIldLi16ELb1ELb0ELc67ELc76EKddEviT_T0_PT6_S1_lS4_S1_lS2_PT7_S1_li
    .private_segment_fixed_size: 0
    .sgpr_count:     34
    .sgpr_spill_count: 0
    .symbol:         _ZL32rocblas_syrkx_herkx_small_kernelIldLi16ELb1ELb0ELc67ELc76EKddEviT_T0_PT6_S1_lS4_S1_lS2_PT7_S1_li.kd
    .uniform_work_group_size: 1
    .uses_dynamic_stack: false
    .vgpr_count:     30
    .vgpr_spill_count: 0
    .wavefront_size: 32
    .workgroup_processor_mode: 1
  - .args:
      - .offset:         0
        .size:           4
        .value_kind:     by_value
      - .offset:         8
        .size:           8
        .value_kind:     by_value
      - .offset:         16
        .size:           8
        .value_kind:     by_value
      - .address_space:  global
        .offset:         24
        .size:           8
        .value_kind:     global_buffer
      - .offset:         32
        .size:           8
        .value_kind:     by_value
      - .offset:         40
        .size:           8
        .value_kind:     by_value
      - .address_space:  global
        .offset:         48
        .size:           8
        .value_kind:     global_buffer
      - .offset:         56
        .size:           8
        .value_kind:     by_value
      - .offset:         64
        .size:           8
        .value_kind:     by_value
      - .offset:         72
        .size:           8
        .value_kind:     by_value
      - .address_space:  global
        .offset:         80
        .size:           8
        .value_kind:     global_buffer
      - .offset:         88
        .size:           8
        .value_kind:     by_value
      - .offset:         96
        .size:           8
        .value_kind:     by_value
      - .offset:         104
        .size:           4
        .value_kind:     by_value
    .group_segment_fixed_size: 4096
    .kernarg_segment_align: 8
    .kernarg_segment_size: 108
    .language:       OpenCL C
    .language_version:
      - 2
      - 0
    .max_flat_workgroup_size: 256
    .name:           _ZL32rocblas_syrkx_herkx_small_kernelIldLi16ELb1ELb0ELc78ELc76EKddEviT_T0_PT6_S1_lS4_S1_lS2_PT7_S1_li
    .private_segment_fixed_size: 0
    .sgpr_count:     34
    .sgpr_spill_count: 0
    .symbol:         _ZL32rocblas_syrkx_herkx_small_kernelIldLi16ELb1ELb0ELc78ELc76EKddEviT_T0_PT6_S1_lS4_S1_lS2_PT7_S1_li.kd
    .uniform_work_group_size: 1
    .uses_dynamic_stack: false
    .vgpr_count:     30
    .vgpr_spill_count: 0
    .wavefront_size: 32
    .workgroup_processor_mode: 1
  - .args:
      - .offset:         0
        .size:           4
        .value_kind:     by_value
      - .offset:         8
        .size:           8
        .value_kind:     by_value
      - .offset:         16
        .size:           8
        .value_kind:     by_value
      - .address_space:  global
        .offset:         24
        .size:           8
        .value_kind:     global_buffer
      - .offset:         32
        .size:           8
        .value_kind:     by_value
      - .offset:         40
        .size:           8
        .value_kind:     by_value
      - .address_space:  global
        .offset:         48
        .size:           8
        .value_kind:     global_buffer
      - .offset:         56
        .size:           8
        .value_kind:     by_value
      - .offset:         64
        .size:           8
        .value_kind:     by_value
      - .offset:         72
        .size:           8
        .value_kind:     by_value
      - .address_space:  global
        .offset:         80
        .size:           8
        .value_kind:     global_buffer
      - .offset:         88
        .size:           8
        .value_kind:     by_value
      - .offset:         96
        .size:           8
        .value_kind:     by_value
      - .offset:         104
        .size:           4
        .value_kind:     by_value
    .group_segment_fixed_size: 4096
    .kernarg_segment_align: 8
    .kernarg_segment_size: 108
    .language:       OpenCL C
    .language_version:
      - 2
      - 0
    .max_flat_workgroup_size: 256
    .name:           _ZL32rocblas_syrkx_herkx_small_kernelIldLi16ELb1ELb0ELc84ELc85EKddEviT_T0_PT6_S1_lS4_S1_lS2_PT7_S1_li
    .private_segment_fixed_size: 0
    .sgpr_count:     34
    .sgpr_spill_count: 0
    .symbol:         _ZL32rocblas_syrkx_herkx_small_kernelIldLi16ELb1ELb0ELc84ELc85EKddEviT_T0_PT6_S1_lS4_S1_lS2_PT7_S1_li.kd
    .uniform_work_group_size: 1
    .uses_dynamic_stack: false
    .vgpr_count:     30
    .vgpr_spill_count: 0
    .wavefront_size: 32
    .workgroup_processor_mode: 1
  - .args:
      - .offset:         0
        .size:           4
        .value_kind:     by_value
      - .offset:         8
        .size:           8
        .value_kind:     by_value
      - .offset:         16
        .size:           8
        .value_kind:     by_value
      - .address_space:  global
        .offset:         24
        .size:           8
        .value_kind:     global_buffer
      - .offset:         32
        .size:           8
        .value_kind:     by_value
      - .offset:         40
        .size:           8
        .value_kind:     by_value
      - .address_space:  global
        .offset:         48
        .size:           8
        .value_kind:     global_buffer
      - .offset:         56
        .size:           8
        .value_kind:     by_value
      - .offset:         64
        .size:           8
        .value_kind:     by_value
      - .offset:         72
        .size:           8
        .value_kind:     by_value
      - .address_space:  global
        .offset:         80
        .size:           8
        .value_kind:     global_buffer
      - .offset:         88
        .size:           8
        .value_kind:     by_value
      - .offset:         96
        .size:           8
        .value_kind:     by_value
      - .offset:         104
        .size:           4
        .value_kind:     by_value
    .group_segment_fixed_size: 4096
    .kernarg_segment_align: 8
    .kernarg_segment_size: 108
    .language:       OpenCL C
    .language_version:
      - 2
      - 0
    .max_flat_workgroup_size: 256
    .name:           _ZL32rocblas_syrkx_herkx_small_kernelIldLi16ELb1ELb0ELc67ELc85EKddEviT_T0_PT6_S1_lS4_S1_lS2_PT7_S1_li
    .private_segment_fixed_size: 0
    .sgpr_count:     34
    .sgpr_spill_count: 0
    .symbol:         _ZL32rocblas_syrkx_herkx_small_kernelIldLi16ELb1ELb0ELc67ELc85EKddEviT_T0_PT6_S1_lS4_S1_lS2_PT7_S1_li.kd
    .uniform_work_group_size: 1
    .uses_dynamic_stack: false
    .vgpr_count:     30
    .vgpr_spill_count: 0
    .wavefront_size: 32
    .workgroup_processor_mode: 1
  - .args:
      - .offset:         0
        .size:           4
        .value_kind:     by_value
      - .offset:         8
        .size:           8
        .value_kind:     by_value
      - .offset:         16
        .size:           8
        .value_kind:     by_value
      - .address_space:  global
        .offset:         24
        .size:           8
        .value_kind:     global_buffer
      - .offset:         32
        .size:           8
        .value_kind:     by_value
      - .offset:         40
        .size:           8
        .value_kind:     by_value
      - .address_space:  global
        .offset:         48
        .size:           8
        .value_kind:     global_buffer
      - .offset:         56
        .size:           8
        .value_kind:     by_value
      - .offset:         64
        .size:           8
        .value_kind:     by_value
      - .offset:         72
        .size:           8
        .value_kind:     by_value
      - .address_space:  global
        .offset:         80
        .size:           8
        .value_kind:     global_buffer
      - .offset:         88
        .size:           8
        .value_kind:     by_value
      - .offset:         96
        .size:           8
        .value_kind:     by_value
      - .offset:         104
        .size:           4
        .value_kind:     by_value
    .group_segment_fixed_size: 4096
    .kernarg_segment_align: 8
    .kernarg_segment_size: 108
    .language:       OpenCL C
    .language_version:
      - 2
      - 0
    .max_flat_workgroup_size: 256
    .name:           _ZL32rocblas_syrkx_herkx_small_kernelIldLi16ELb1ELb0ELc78ELc85EKddEviT_T0_PT6_S1_lS4_S1_lS2_PT7_S1_li
    .private_segment_fixed_size: 0
    .sgpr_count:     34
    .sgpr_spill_count: 0
    .symbol:         _ZL32rocblas_syrkx_herkx_small_kernelIldLi16ELb1ELb0ELc78ELc85EKddEviT_T0_PT6_S1_lS4_S1_lS2_PT7_S1_li.kd
    .uniform_work_group_size: 1
    .uses_dynamic_stack: false
    .vgpr_count:     30
    .vgpr_spill_count: 0
    .wavefront_size: 32
    .workgroup_processor_mode: 1
  - .args:
      - .offset:         0
        .size:           4
        .value_kind:     by_value
      - .offset:         8
        .size:           8
        .value_kind:     by_value
      - .offset:         16
        .size:           8
        .value_kind:     by_value
      - .address_space:  global
        .offset:         24
        .size:           8
        .value_kind:     global_buffer
      - .offset:         32
        .size:           8
        .value_kind:     by_value
      - .offset:         40
        .size:           8
        .value_kind:     by_value
      - .address_space:  global
        .offset:         48
        .size:           8
        .value_kind:     global_buffer
      - .offset:         56
        .size:           8
        .value_kind:     by_value
      - .offset:         64
        .size:           8
        .value_kind:     by_value
      - .offset:         72
        .size:           8
        .value_kind:     by_value
      - .address_space:  global
        .offset:         80
        .size:           8
        .value_kind:     global_buffer
      - .offset:         88
        .size:           8
        .value_kind:     by_value
      - .offset:         96
        .size:           8
        .value_kind:     by_value
      - .offset:         104
        .size:           4
        .value_kind:     by_value
    .group_segment_fixed_size: 4096
    .kernarg_segment_align: 8
    .kernarg_segment_size: 108
    .language:       OpenCL C
    .language_version:
      - 2
      - 0
    .max_flat_workgroup_size: 256
    .name:           _ZL32rocblas_syrkx_herkx_small_kernelIldLi16ELb0ELb0ELc84ELc76EKddEviT_T0_PT6_S1_lS4_S1_lS2_PT7_S1_li
    .private_segment_fixed_size: 0
    .sgpr_count:     34
    .sgpr_spill_count: 0
    .symbol:         _ZL32rocblas_syrkx_herkx_small_kernelIldLi16ELb0ELb0ELc84ELc76EKddEviT_T0_PT6_S1_lS4_S1_lS2_PT7_S1_li.kd
    .uniform_work_group_size: 1
    .uses_dynamic_stack: false
    .vgpr_count:     30
    .vgpr_spill_count: 0
    .wavefront_size: 32
    .workgroup_processor_mode: 1
  - .args:
      - .offset:         0
        .size:           4
        .value_kind:     by_value
      - .offset:         8
        .size:           8
        .value_kind:     by_value
      - .offset:         16
        .size:           8
        .value_kind:     by_value
      - .address_space:  global
        .offset:         24
        .size:           8
        .value_kind:     global_buffer
      - .offset:         32
        .size:           8
        .value_kind:     by_value
      - .offset:         40
        .size:           8
        .value_kind:     by_value
      - .address_space:  global
        .offset:         48
        .size:           8
        .value_kind:     global_buffer
      - .offset:         56
        .size:           8
        .value_kind:     by_value
      - .offset:         64
        .size:           8
        .value_kind:     by_value
      - .offset:         72
        .size:           8
        .value_kind:     by_value
      - .address_space:  global
        .offset:         80
        .size:           8
        .value_kind:     global_buffer
      - .offset:         88
        .size:           8
        .value_kind:     by_value
      - .offset:         96
        .size:           8
        .value_kind:     by_value
      - .offset:         104
        .size:           4
        .value_kind:     by_value
    .group_segment_fixed_size: 4096
    .kernarg_segment_align: 8
    .kernarg_segment_size: 108
    .language:       OpenCL C
    .language_version:
      - 2
      - 0
    .max_flat_workgroup_size: 256
    .name:           _ZL32rocblas_syrkx_herkx_small_kernelIldLi16ELb0ELb0ELc67ELc76EKddEviT_T0_PT6_S1_lS4_S1_lS2_PT7_S1_li
    .private_segment_fixed_size: 0
    .sgpr_count:     34
    .sgpr_spill_count: 0
    .symbol:         _ZL32rocblas_syrkx_herkx_small_kernelIldLi16ELb0ELb0ELc67ELc76EKddEviT_T0_PT6_S1_lS4_S1_lS2_PT7_S1_li.kd
    .uniform_work_group_size: 1
    .uses_dynamic_stack: false
    .vgpr_count:     30
    .vgpr_spill_count: 0
    .wavefront_size: 32
    .workgroup_processor_mode: 1
  - .args:
      - .offset:         0
        .size:           4
        .value_kind:     by_value
      - .offset:         8
        .size:           8
        .value_kind:     by_value
      - .offset:         16
        .size:           8
        .value_kind:     by_value
      - .address_space:  global
        .offset:         24
        .size:           8
        .value_kind:     global_buffer
      - .offset:         32
        .size:           8
        .value_kind:     by_value
      - .offset:         40
        .size:           8
        .value_kind:     by_value
      - .address_space:  global
        .offset:         48
        .size:           8
        .value_kind:     global_buffer
      - .offset:         56
        .size:           8
        .value_kind:     by_value
      - .offset:         64
        .size:           8
        .value_kind:     by_value
      - .offset:         72
        .size:           8
        .value_kind:     by_value
      - .address_space:  global
        .offset:         80
        .size:           8
        .value_kind:     global_buffer
      - .offset:         88
        .size:           8
        .value_kind:     by_value
      - .offset:         96
        .size:           8
        .value_kind:     by_value
      - .offset:         104
        .size:           4
        .value_kind:     by_value
    .group_segment_fixed_size: 4096
    .kernarg_segment_align: 8
    .kernarg_segment_size: 108
    .language:       OpenCL C
    .language_version:
      - 2
      - 0
    .max_flat_workgroup_size: 256
    .name:           _ZL32rocblas_syrkx_herkx_small_kernelIldLi16ELb0ELb0ELc78ELc76EKddEviT_T0_PT6_S1_lS4_S1_lS2_PT7_S1_li
    .private_segment_fixed_size: 0
    .sgpr_count:     34
    .sgpr_spill_count: 0
    .symbol:         _ZL32rocblas_syrkx_herkx_small_kernelIldLi16ELb0ELb0ELc78ELc76EKddEviT_T0_PT6_S1_lS4_S1_lS2_PT7_S1_li.kd
    .uniform_work_group_size: 1
    .uses_dynamic_stack: false
    .vgpr_count:     30
    .vgpr_spill_count: 0
    .wavefront_size: 32
    .workgroup_processor_mode: 1
  - .args:
      - .offset:         0
        .size:           4
        .value_kind:     by_value
      - .offset:         8
        .size:           8
        .value_kind:     by_value
      - .offset:         16
        .size:           8
        .value_kind:     by_value
      - .address_space:  global
        .offset:         24
        .size:           8
        .value_kind:     global_buffer
      - .offset:         32
        .size:           8
        .value_kind:     by_value
      - .offset:         40
        .size:           8
        .value_kind:     by_value
      - .address_space:  global
        .offset:         48
        .size:           8
        .value_kind:     global_buffer
      - .offset:         56
        .size:           8
        .value_kind:     by_value
      - .offset:         64
        .size:           8
        .value_kind:     by_value
      - .offset:         72
        .size:           8
        .value_kind:     by_value
      - .address_space:  global
        .offset:         80
        .size:           8
        .value_kind:     global_buffer
      - .offset:         88
        .size:           8
        .value_kind:     by_value
      - .offset:         96
        .size:           8
        .value_kind:     by_value
      - .offset:         104
        .size:           4
        .value_kind:     by_value
    .group_segment_fixed_size: 4096
    .kernarg_segment_align: 8
    .kernarg_segment_size: 108
    .language:       OpenCL C
    .language_version:
      - 2
      - 0
    .max_flat_workgroup_size: 256
    .name:           _ZL32rocblas_syrkx_herkx_small_kernelIldLi16ELb0ELb0ELc84ELc85EKddEviT_T0_PT6_S1_lS4_S1_lS2_PT7_S1_li
    .private_segment_fixed_size: 0
    .sgpr_count:     34
    .sgpr_spill_count: 0
    .symbol:         _ZL32rocblas_syrkx_herkx_small_kernelIldLi16ELb0ELb0ELc84ELc85EKddEviT_T0_PT6_S1_lS4_S1_lS2_PT7_S1_li.kd
    .uniform_work_group_size: 1
    .uses_dynamic_stack: false
    .vgpr_count:     30
    .vgpr_spill_count: 0
    .wavefront_size: 32
    .workgroup_processor_mode: 1
  - .args:
      - .offset:         0
        .size:           4
        .value_kind:     by_value
      - .offset:         8
        .size:           8
        .value_kind:     by_value
      - .offset:         16
        .size:           8
        .value_kind:     by_value
      - .address_space:  global
        .offset:         24
        .size:           8
        .value_kind:     global_buffer
      - .offset:         32
        .size:           8
        .value_kind:     by_value
      - .offset:         40
        .size:           8
        .value_kind:     by_value
      - .address_space:  global
        .offset:         48
        .size:           8
        .value_kind:     global_buffer
      - .offset:         56
        .size:           8
        .value_kind:     by_value
      - .offset:         64
        .size:           8
        .value_kind:     by_value
      - .offset:         72
        .size:           8
        .value_kind:     by_value
      - .address_space:  global
        .offset:         80
        .size:           8
        .value_kind:     global_buffer
      - .offset:         88
        .size:           8
        .value_kind:     by_value
      - .offset:         96
        .size:           8
        .value_kind:     by_value
      - .offset:         104
        .size:           4
        .value_kind:     by_value
    .group_segment_fixed_size: 4096
    .kernarg_segment_align: 8
    .kernarg_segment_size: 108
    .language:       OpenCL C
    .language_version:
      - 2
      - 0
    .max_flat_workgroup_size: 256
    .name:           _ZL32rocblas_syrkx_herkx_small_kernelIldLi16ELb0ELb0ELc67ELc85EKddEviT_T0_PT6_S1_lS4_S1_lS2_PT7_S1_li
    .private_segment_fixed_size: 0
    .sgpr_count:     34
    .sgpr_spill_count: 0
    .symbol:         _ZL32rocblas_syrkx_herkx_small_kernelIldLi16ELb0ELb0ELc67ELc85EKddEviT_T0_PT6_S1_lS4_S1_lS2_PT7_S1_li.kd
    .uniform_work_group_size: 1
    .uses_dynamic_stack: false
    .vgpr_count:     30
    .vgpr_spill_count: 0
    .wavefront_size: 32
    .workgroup_processor_mode: 1
  - .args:
      - .offset:         0
        .size:           4
        .value_kind:     by_value
      - .offset:         8
        .size:           8
        .value_kind:     by_value
      - .offset:         16
        .size:           8
        .value_kind:     by_value
      - .address_space:  global
        .offset:         24
        .size:           8
        .value_kind:     global_buffer
      - .offset:         32
        .size:           8
        .value_kind:     by_value
      - .offset:         40
        .size:           8
        .value_kind:     by_value
      - .address_space:  global
        .offset:         48
        .size:           8
        .value_kind:     global_buffer
      - .offset:         56
        .size:           8
        .value_kind:     by_value
      - .offset:         64
        .size:           8
        .value_kind:     by_value
      - .offset:         72
        .size:           8
        .value_kind:     by_value
      - .address_space:  global
        .offset:         80
        .size:           8
        .value_kind:     global_buffer
      - .offset:         88
        .size:           8
        .value_kind:     by_value
      - .offset:         96
        .size:           8
        .value_kind:     by_value
      - .offset:         104
        .size:           4
        .value_kind:     by_value
    .group_segment_fixed_size: 4096
    .kernarg_segment_align: 8
    .kernarg_segment_size: 108
    .language:       OpenCL C
    .language_version:
      - 2
      - 0
    .max_flat_workgroup_size: 256
    .name:           _ZL32rocblas_syrkx_herkx_small_kernelIldLi16ELb0ELb0ELc78ELc85EKddEviT_T0_PT6_S1_lS4_S1_lS2_PT7_S1_li
    .private_segment_fixed_size: 0
    .sgpr_count:     34
    .sgpr_spill_count: 0
    .symbol:         _ZL32rocblas_syrkx_herkx_small_kernelIldLi16ELb0ELb0ELc78ELc85EKddEviT_T0_PT6_S1_lS4_S1_lS2_PT7_S1_li.kd
    .uniform_work_group_size: 1
    .uses_dynamic_stack: false
    .vgpr_count:     30
    .vgpr_spill_count: 0
    .wavefront_size: 32
    .workgroup_processor_mode: 1
  - .args:
      - .offset:         0
        .size:           4
        .value_kind:     by_value
      - .offset:         8
        .size:           8
        .value_kind:     by_value
      - .offset:         16
        .size:           8
        .value_kind:     by_value
      - .address_space:  global
        .offset:         24
        .size:           8
        .value_kind:     global_buffer
      - .offset:         32
        .size:           8
        .value_kind:     by_value
      - .offset:         40
        .size:           8
        .value_kind:     by_value
      - .address_space:  global
        .offset:         48
        .size:           8
        .value_kind:     global_buffer
      - .offset:         56
        .size:           8
        .value_kind:     by_value
      - .offset:         64
        .size:           8
        .value_kind:     by_value
      - .offset:         72
        .size:           8
        .value_kind:     by_value
      - .address_space:  global
        .offset:         80
        .size:           8
        .value_kind:     global_buffer
      - .offset:         88
        .size:           8
        .value_kind:     by_value
      - .offset:         96
        .size:           8
        .value_kind:     by_value
      - .offset:         104
        .size:           4
        .value_kind:     by_value
    .group_segment_fixed_size: 4096
    .kernarg_segment_align: 8
    .kernarg_segment_size: 108
    .language:       OpenCL C
    .language_version:
      - 2
      - 0
    .max_flat_workgroup_size: 256
    .name:           _ZL34rocblas_syrkx_herkx_general_kernelIldLi16ELi32ELi8ELb1ELb0ELc84ELc76EKddEviT_T0_PT8_S1_lS4_S1_lS2_PT9_S1_li
    .private_segment_fixed_size: 0
    .sgpr_count:     34
    .sgpr_spill_count: 0
    .symbol:         _ZL34rocblas_syrkx_herkx_general_kernelIldLi16ELi32ELi8ELb1ELb0ELc84ELc76EKddEviT_T0_PT8_S1_lS4_S1_lS2_PT9_S1_li.kd
    .uniform_work_group_size: 1
    .uses_dynamic_stack: false
    .vgpr_count:     42
    .vgpr_spill_count: 0
    .wavefront_size: 32
    .workgroup_processor_mode: 1
  - .args:
      - .offset:         0
        .size:           4
        .value_kind:     by_value
      - .offset:         8
        .size:           8
        .value_kind:     by_value
      - .offset:         16
        .size:           8
        .value_kind:     by_value
      - .address_space:  global
        .offset:         24
        .size:           8
        .value_kind:     global_buffer
      - .offset:         32
        .size:           8
        .value_kind:     by_value
      - .offset:         40
        .size:           8
        .value_kind:     by_value
      - .address_space:  global
        .offset:         48
        .size:           8
        .value_kind:     global_buffer
      - .offset:         56
        .size:           8
        .value_kind:     by_value
      - .offset:         64
        .size:           8
        .value_kind:     by_value
      - .offset:         72
        .size:           8
        .value_kind:     by_value
      - .address_space:  global
        .offset:         80
        .size:           8
        .value_kind:     global_buffer
      - .offset:         88
        .size:           8
        .value_kind:     by_value
      - .offset:         96
        .size:           8
        .value_kind:     by_value
      - .offset:         104
        .size:           4
        .value_kind:     by_value
    .group_segment_fixed_size: 4096
    .kernarg_segment_align: 8
    .kernarg_segment_size: 108
    .language:       OpenCL C
    .language_version:
      - 2
      - 0
    .max_flat_workgroup_size: 256
    .name:           _ZL34rocblas_syrkx_herkx_general_kernelIldLi16ELi32ELi8ELb1ELb0ELc67ELc76EKddEviT_T0_PT8_S1_lS4_S1_lS2_PT9_S1_li
    .private_segment_fixed_size: 0
    .sgpr_count:     34
    .sgpr_spill_count: 0
    .symbol:         _ZL34rocblas_syrkx_herkx_general_kernelIldLi16ELi32ELi8ELb1ELb0ELc67ELc76EKddEviT_T0_PT8_S1_lS4_S1_lS2_PT9_S1_li.kd
    .uniform_work_group_size: 1
    .uses_dynamic_stack: false
    .vgpr_count:     42
    .vgpr_spill_count: 0
    .wavefront_size: 32
    .workgroup_processor_mode: 1
  - .args:
      - .offset:         0
        .size:           4
        .value_kind:     by_value
      - .offset:         8
        .size:           8
        .value_kind:     by_value
      - .offset:         16
        .size:           8
        .value_kind:     by_value
      - .address_space:  global
        .offset:         24
        .size:           8
        .value_kind:     global_buffer
      - .offset:         32
        .size:           8
        .value_kind:     by_value
      - .offset:         40
        .size:           8
        .value_kind:     by_value
      - .address_space:  global
        .offset:         48
        .size:           8
        .value_kind:     global_buffer
      - .offset:         56
        .size:           8
        .value_kind:     by_value
      - .offset:         64
        .size:           8
        .value_kind:     by_value
      - .offset:         72
        .size:           8
        .value_kind:     by_value
      - .address_space:  global
        .offset:         80
        .size:           8
        .value_kind:     global_buffer
      - .offset:         88
        .size:           8
        .value_kind:     by_value
      - .offset:         96
        .size:           8
        .value_kind:     by_value
      - .offset:         104
        .size:           4
        .value_kind:     by_value
    .group_segment_fixed_size: 4096
    .kernarg_segment_align: 8
    .kernarg_segment_size: 108
    .language:       OpenCL C
    .language_version:
      - 2
      - 0
    .max_flat_workgroup_size: 256
    .name:           _ZL34rocblas_syrkx_herkx_general_kernelIldLi16ELi32ELi8ELb1ELb0ELc78ELc76EKddEviT_T0_PT8_S1_lS4_S1_lS2_PT9_S1_li
    .private_segment_fixed_size: 0
    .sgpr_count:     34
    .sgpr_spill_count: 0
    .symbol:         _ZL34rocblas_syrkx_herkx_general_kernelIldLi16ELi32ELi8ELb1ELb0ELc78ELc76EKddEviT_T0_PT8_S1_lS4_S1_lS2_PT9_S1_li.kd
    .uniform_work_group_size: 1
    .uses_dynamic_stack: false
    .vgpr_count:     42
    .vgpr_spill_count: 0
    .wavefront_size: 32
    .workgroup_processor_mode: 1
  - .args:
      - .offset:         0
        .size:           4
        .value_kind:     by_value
      - .offset:         8
        .size:           8
        .value_kind:     by_value
      - .offset:         16
        .size:           8
        .value_kind:     by_value
      - .address_space:  global
        .offset:         24
        .size:           8
        .value_kind:     global_buffer
      - .offset:         32
        .size:           8
        .value_kind:     by_value
      - .offset:         40
        .size:           8
        .value_kind:     by_value
      - .address_space:  global
        .offset:         48
        .size:           8
        .value_kind:     global_buffer
      - .offset:         56
        .size:           8
        .value_kind:     by_value
      - .offset:         64
        .size:           8
        .value_kind:     by_value
      - .offset:         72
        .size:           8
        .value_kind:     by_value
      - .address_space:  global
        .offset:         80
        .size:           8
        .value_kind:     global_buffer
      - .offset:         88
        .size:           8
        .value_kind:     by_value
      - .offset:         96
        .size:           8
        .value_kind:     by_value
      - .offset:         104
        .size:           4
        .value_kind:     by_value
    .group_segment_fixed_size: 4096
    .kernarg_segment_align: 8
    .kernarg_segment_size: 108
    .language:       OpenCL C
    .language_version:
      - 2
      - 0
    .max_flat_workgroup_size: 256
    .name:           _ZL34rocblas_syrkx_herkx_general_kernelIldLi16ELi32ELi8ELb1ELb0ELc84ELc85EKddEviT_T0_PT8_S1_lS4_S1_lS2_PT9_S1_li
    .private_segment_fixed_size: 0
    .sgpr_count:     34
    .sgpr_spill_count: 0
    .symbol:         _ZL34rocblas_syrkx_herkx_general_kernelIldLi16ELi32ELi8ELb1ELb0ELc84ELc85EKddEviT_T0_PT8_S1_lS4_S1_lS2_PT9_S1_li.kd
    .uniform_work_group_size: 1
    .uses_dynamic_stack: false
    .vgpr_count:     42
    .vgpr_spill_count: 0
    .wavefront_size: 32
    .workgroup_processor_mode: 1
  - .args:
      - .offset:         0
        .size:           4
        .value_kind:     by_value
      - .offset:         8
        .size:           8
        .value_kind:     by_value
      - .offset:         16
        .size:           8
        .value_kind:     by_value
      - .address_space:  global
        .offset:         24
        .size:           8
        .value_kind:     global_buffer
      - .offset:         32
        .size:           8
        .value_kind:     by_value
      - .offset:         40
        .size:           8
        .value_kind:     by_value
      - .address_space:  global
        .offset:         48
        .size:           8
        .value_kind:     global_buffer
      - .offset:         56
        .size:           8
        .value_kind:     by_value
      - .offset:         64
        .size:           8
        .value_kind:     by_value
      - .offset:         72
        .size:           8
        .value_kind:     by_value
      - .address_space:  global
        .offset:         80
        .size:           8
        .value_kind:     global_buffer
      - .offset:         88
        .size:           8
        .value_kind:     by_value
      - .offset:         96
        .size:           8
        .value_kind:     by_value
      - .offset:         104
        .size:           4
        .value_kind:     by_value
    .group_segment_fixed_size: 4096
    .kernarg_segment_align: 8
    .kernarg_segment_size: 108
    .language:       OpenCL C
    .language_version:
      - 2
      - 0
    .max_flat_workgroup_size: 256
    .name:           _ZL34rocblas_syrkx_herkx_general_kernelIldLi16ELi32ELi8ELb1ELb0ELc67ELc85EKddEviT_T0_PT8_S1_lS4_S1_lS2_PT9_S1_li
    .private_segment_fixed_size: 0
    .sgpr_count:     34
    .sgpr_spill_count: 0
    .symbol:         _ZL34rocblas_syrkx_herkx_general_kernelIldLi16ELi32ELi8ELb1ELb0ELc67ELc85EKddEviT_T0_PT8_S1_lS4_S1_lS2_PT9_S1_li.kd
    .uniform_work_group_size: 1
    .uses_dynamic_stack: false
    .vgpr_count:     42
    .vgpr_spill_count: 0
    .wavefront_size: 32
    .workgroup_processor_mode: 1
  - .args:
      - .offset:         0
        .size:           4
        .value_kind:     by_value
      - .offset:         8
        .size:           8
        .value_kind:     by_value
      - .offset:         16
        .size:           8
        .value_kind:     by_value
      - .address_space:  global
        .offset:         24
        .size:           8
        .value_kind:     global_buffer
      - .offset:         32
        .size:           8
        .value_kind:     by_value
      - .offset:         40
        .size:           8
        .value_kind:     by_value
      - .address_space:  global
        .offset:         48
        .size:           8
        .value_kind:     global_buffer
      - .offset:         56
        .size:           8
        .value_kind:     by_value
      - .offset:         64
        .size:           8
        .value_kind:     by_value
      - .offset:         72
        .size:           8
        .value_kind:     by_value
      - .address_space:  global
        .offset:         80
        .size:           8
        .value_kind:     global_buffer
      - .offset:         88
        .size:           8
        .value_kind:     by_value
      - .offset:         96
        .size:           8
        .value_kind:     by_value
      - .offset:         104
        .size:           4
        .value_kind:     by_value
    .group_segment_fixed_size: 4096
    .kernarg_segment_align: 8
    .kernarg_segment_size: 108
    .language:       OpenCL C
    .language_version:
      - 2
      - 0
    .max_flat_workgroup_size: 256
    .name:           _ZL34rocblas_syrkx_herkx_general_kernelIldLi16ELi32ELi8ELb1ELb0ELc78ELc85EKddEviT_T0_PT8_S1_lS4_S1_lS2_PT9_S1_li
    .private_segment_fixed_size: 0
    .sgpr_count:     34
    .sgpr_spill_count: 0
    .symbol:         _ZL34rocblas_syrkx_herkx_general_kernelIldLi16ELi32ELi8ELb1ELb0ELc78ELc85EKddEviT_T0_PT8_S1_lS4_S1_lS2_PT9_S1_li.kd
    .uniform_work_group_size: 1
    .uses_dynamic_stack: false
    .vgpr_count:     42
    .vgpr_spill_count: 0
    .wavefront_size: 32
    .workgroup_processor_mode: 1
  - .args:
      - .offset:         0
        .size:           4
        .value_kind:     by_value
      - .offset:         8
        .size:           8
        .value_kind:     by_value
      - .offset:         16
        .size:           8
        .value_kind:     by_value
      - .address_space:  global
        .offset:         24
        .size:           8
        .value_kind:     global_buffer
      - .offset:         32
        .size:           8
        .value_kind:     by_value
      - .offset:         40
        .size:           8
        .value_kind:     by_value
      - .address_space:  global
        .offset:         48
        .size:           8
        .value_kind:     global_buffer
      - .offset:         56
        .size:           8
        .value_kind:     by_value
      - .offset:         64
        .size:           8
        .value_kind:     by_value
      - .offset:         72
        .size:           8
        .value_kind:     by_value
      - .address_space:  global
        .offset:         80
        .size:           8
        .value_kind:     global_buffer
      - .offset:         88
        .size:           8
        .value_kind:     by_value
      - .offset:         96
        .size:           8
        .value_kind:     by_value
      - .offset:         104
        .size:           4
        .value_kind:     by_value
    .group_segment_fixed_size: 4096
    .kernarg_segment_align: 8
    .kernarg_segment_size: 108
    .language:       OpenCL C
    .language_version:
      - 2
      - 0
    .max_flat_workgroup_size: 256
    .name:           _ZL34rocblas_syrkx_herkx_general_kernelIldLi16ELi32ELi8ELb0ELb0ELc84ELc76EKddEviT_T0_PT8_S1_lS4_S1_lS2_PT9_S1_li
    .private_segment_fixed_size: 0
    .sgpr_count:     34
    .sgpr_spill_count: 0
    .symbol:         _ZL34rocblas_syrkx_herkx_general_kernelIldLi16ELi32ELi8ELb0ELb0ELc84ELc76EKddEviT_T0_PT8_S1_lS4_S1_lS2_PT9_S1_li.kd
    .uniform_work_group_size: 1
    .uses_dynamic_stack: false
    .vgpr_count:     44
    .vgpr_spill_count: 0
    .wavefront_size: 32
    .workgroup_processor_mode: 1
  - .args:
      - .offset:         0
        .size:           4
        .value_kind:     by_value
      - .offset:         8
        .size:           8
        .value_kind:     by_value
      - .offset:         16
        .size:           8
        .value_kind:     by_value
      - .address_space:  global
        .offset:         24
        .size:           8
        .value_kind:     global_buffer
      - .offset:         32
        .size:           8
        .value_kind:     by_value
      - .offset:         40
        .size:           8
        .value_kind:     by_value
      - .address_space:  global
        .offset:         48
        .size:           8
        .value_kind:     global_buffer
      - .offset:         56
        .size:           8
        .value_kind:     by_value
      - .offset:         64
        .size:           8
        .value_kind:     by_value
      - .offset:         72
        .size:           8
        .value_kind:     by_value
      - .address_space:  global
        .offset:         80
        .size:           8
        .value_kind:     global_buffer
      - .offset:         88
        .size:           8
        .value_kind:     by_value
      - .offset:         96
        .size:           8
        .value_kind:     by_value
      - .offset:         104
        .size:           4
        .value_kind:     by_value
    .group_segment_fixed_size: 4096
    .kernarg_segment_align: 8
    .kernarg_segment_size: 108
    .language:       OpenCL C
    .language_version:
      - 2
      - 0
    .max_flat_workgroup_size: 256
    .name:           _ZL34rocblas_syrkx_herkx_general_kernelIldLi16ELi32ELi8ELb0ELb0ELc67ELc76EKddEviT_T0_PT8_S1_lS4_S1_lS2_PT9_S1_li
    .private_segment_fixed_size: 0
    .sgpr_count:     34
    .sgpr_spill_count: 0
    .symbol:         _ZL34rocblas_syrkx_herkx_general_kernelIldLi16ELi32ELi8ELb0ELb0ELc67ELc76EKddEviT_T0_PT8_S1_lS4_S1_lS2_PT9_S1_li.kd
    .uniform_work_group_size: 1
    .uses_dynamic_stack: false
    .vgpr_count:     44
    .vgpr_spill_count: 0
    .wavefront_size: 32
    .workgroup_processor_mode: 1
  - .args:
      - .offset:         0
        .size:           4
        .value_kind:     by_value
      - .offset:         8
        .size:           8
        .value_kind:     by_value
      - .offset:         16
        .size:           8
        .value_kind:     by_value
      - .address_space:  global
        .offset:         24
        .size:           8
        .value_kind:     global_buffer
      - .offset:         32
        .size:           8
        .value_kind:     by_value
      - .offset:         40
        .size:           8
        .value_kind:     by_value
      - .address_space:  global
        .offset:         48
        .size:           8
        .value_kind:     global_buffer
      - .offset:         56
        .size:           8
        .value_kind:     by_value
      - .offset:         64
        .size:           8
        .value_kind:     by_value
      - .offset:         72
        .size:           8
        .value_kind:     by_value
      - .address_space:  global
        .offset:         80
        .size:           8
        .value_kind:     global_buffer
      - .offset:         88
        .size:           8
        .value_kind:     by_value
      - .offset:         96
        .size:           8
        .value_kind:     by_value
      - .offset:         104
        .size:           4
        .value_kind:     by_value
    .group_segment_fixed_size: 4096
    .kernarg_segment_align: 8
    .kernarg_segment_size: 108
    .language:       OpenCL C
    .language_version:
      - 2
      - 0
    .max_flat_workgroup_size: 256
    .name:           _ZL34rocblas_syrkx_herkx_general_kernelIldLi16ELi32ELi8ELb0ELb0ELc78ELc76EKddEviT_T0_PT8_S1_lS4_S1_lS2_PT9_S1_li
    .private_segment_fixed_size: 0
    .sgpr_count:     34
    .sgpr_spill_count: 0
    .symbol:         _ZL34rocblas_syrkx_herkx_general_kernelIldLi16ELi32ELi8ELb0ELb0ELc78ELc76EKddEviT_T0_PT8_S1_lS4_S1_lS2_PT9_S1_li.kd
    .uniform_work_group_size: 1
    .uses_dynamic_stack: false
    .vgpr_count:     44
    .vgpr_spill_count: 0
    .wavefront_size: 32
    .workgroup_processor_mode: 1
  - .args:
      - .offset:         0
        .size:           4
        .value_kind:     by_value
      - .offset:         8
        .size:           8
        .value_kind:     by_value
      - .offset:         16
        .size:           8
        .value_kind:     by_value
      - .address_space:  global
        .offset:         24
        .size:           8
        .value_kind:     global_buffer
      - .offset:         32
        .size:           8
        .value_kind:     by_value
      - .offset:         40
        .size:           8
        .value_kind:     by_value
      - .address_space:  global
        .offset:         48
        .size:           8
        .value_kind:     global_buffer
      - .offset:         56
        .size:           8
        .value_kind:     by_value
      - .offset:         64
        .size:           8
        .value_kind:     by_value
      - .offset:         72
        .size:           8
        .value_kind:     by_value
      - .address_space:  global
        .offset:         80
        .size:           8
        .value_kind:     global_buffer
      - .offset:         88
        .size:           8
        .value_kind:     by_value
      - .offset:         96
        .size:           8
        .value_kind:     by_value
      - .offset:         104
        .size:           4
        .value_kind:     by_value
    .group_segment_fixed_size: 4096
    .kernarg_segment_align: 8
    .kernarg_segment_size: 108
    .language:       OpenCL C
    .language_version:
      - 2
      - 0
    .max_flat_workgroup_size: 256
    .name:           _ZL34rocblas_syrkx_herkx_general_kernelIldLi16ELi32ELi8ELb0ELb0ELc84ELc85EKddEviT_T0_PT8_S1_lS4_S1_lS2_PT9_S1_li
    .private_segment_fixed_size: 0
    .sgpr_count:     34
    .sgpr_spill_count: 0
    .symbol:         _ZL34rocblas_syrkx_herkx_general_kernelIldLi16ELi32ELi8ELb0ELb0ELc84ELc85EKddEviT_T0_PT8_S1_lS4_S1_lS2_PT9_S1_li.kd
    .uniform_work_group_size: 1
    .uses_dynamic_stack: false
    .vgpr_count:     44
    .vgpr_spill_count: 0
    .wavefront_size: 32
    .workgroup_processor_mode: 1
  - .args:
      - .offset:         0
        .size:           4
        .value_kind:     by_value
      - .offset:         8
        .size:           8
        .value_kind:     by_value
      - .offset:         16
        .size:           8
        .value_kind:     by_value
      - .address_space:  global
        .offset:         24
        .size:           8
        .value_kind:     global_buffer
      - .offset:         32
        .size:           8
        .value_kind:     by_value
      - .offset:         40
        .size:           8
        .value_kind:     by_value
      - .address_space:  global
        .offset:         48
        .size:           8
        .value_kind:     global_buffer
      - .offset:         56
        .size:           8
        .value_kind:     by_value
      - .offset:         64
        .size:           8
        .value_kind:     by_value
      - .offset:         72
        .size:           8
        .value_kind:     by_value
      - .address_space:  global
        .offset:         80
        .size:           8
        .value_kind:     global_buffer
      - .offset:         88
        .size:           8
        .value_kind:     by_value
      - .offset:         96
        .size:           8
        .value_kind:     by_value
      - .offset:         104
        .size:           4
        .value_kind:     by_value
    .group_segment_fixed_size: 4096
    .kernarg_segment_align: 8
    .kernarg_segment_size: 108
    .language:       OpenCL C
    .language_version:
      - 2
      - 0
    .max_flat_workgroup_size: 256
    .name:           _ZL34rocblas_syrkx_herkx_general_kernelIldLi16ELi32ELi8ELb0ELb0ELc67ELc85EKddEviT_T0_PT8_S1_lS4_S1_lS2_PT9_S1_li
    .private_segment_fixed_size: 0
    .sgpr_count:     34
    .sgpr_spill_count: 0
    .symbol:         _ZL34rocblas_syrkx_herkx_general_kernelIldLi16ELi32ELi8ELb0ELb0ELc67ELc85EKddEviT_T0_PT8_S1_lS4_S1_lS2_PT9_S1_li.kd
    .uniform_work_group_size: 1
    .uses_dynamic_stack: false
    .vgpr_count:     44
    .vgpr_spill_count: 0
    .wavefront_size: 32
    .workgroup_processor_mode: 1
  - .args:
      - .offset:         0
        .size:           4
        .value_kind:     by_value
      - .offset:         8
        .size:           8
        .value_kind:     by_value
      - .offset:         16
        .size:           8
        .value_kind:     by_value
      - .address_space:  global
        .offset:         24
        .size:           8
        .value_kind:     global_buffer
      - .offset:         32
        .size:           8
        .value_kind:     by_value
      - .offset:         40
        .size:           8
        .value_kind:     by_value
      - .address_space:  global
        .offset:         48
        .size:           8
        .value_kind:     global_buffer
      - .offset:         56
        .size:           8
        .value_kind:     by_value
      - .offset:         64
        .size:           8
        .value_kind:     by_value
      - .offset:         72
        .size:           8
        .value_kind:     by_value
      - .address_space:  global
        .offset:         80
        .size:           8
        .value_kind:     global_buffer
      - .offset:         88
        .size:           8
        .value_kind:     by_value
      - .offset:         96
        .size:           8
        .value_kind:     by_value
      - .offset:         104
        .size:           4
        .value_kind:     by_value
    .group_segment_fixed_size: 4096
    .kernarg_segment_align: 8
    .kernarg_segment_size: 108
    .language:       OpenCL C
    .language_version:
      - 2
      - 0
    .max_flat_workgroup_size: 256
    .name:           _ZL34rocblas_syrkx_herkx_general_kernelIldLi16ELi32ELi8ELb0ELb0ELc78ELc85EKddEviT_T0_PT8_S1_lS4_S1_lS2_PT9_S1_li
    .private_segment_fixed_size: 0
    .sgpr_count:     34
    .sgpr_spill_count: 0
    .symbol:         _ZL34rocblas_syrkx_herkx_general_kernelIldLi16ELi32ELi8ELb0ELb0ELc78ELc85EKddEviT_T0_PT8_S1_lS4_S1_lS2_PT9_S1_li.kd
    .uniform_work_group_size: 1
    .uses_dynamic_stack: false
    .vgpr_count:     44
    .vgpr_spill_count: 0
    .wavefront_size: 32
    .workgroup_processor_mode: 1
  - .args:
      - .offset:         0
        .size:           1
        .value_kind:     by_value
      - .offset:         4
        .size:           4
        .value_kind:     by_value
      - .offset:         8
        .size:           8
        .value_kind:     by_value
      - .offset:         16
        .size:           8
        .value_kind:     by_value
      - .offset:         24
        .size:           8
        .value_kind:     by_value
      - .address_space:  global
        .offset:         32
        .size:           8
        .value_kind:     global_buffer
      - .offset:         40
        .size:           8
        .value_kind:     by_value
      - .offset:         48
        .size:           8
        .value_kind:     by_value
      - .offset:         56
        .size:           4
        .value_kind:     by_value
      - .offset:         64
        .size:           4
        .value_kind:     hidden_block_count_x
      - .offset:         68
        .size:           4
        .value_kind:     hidden_block_count_y
      - .offset:         72
        .size:           4
        .value_kind:     hidden_block_count_z
      - .offset:         76
        .size:           2
        .value_kind:     hidden_group_size_x
      - .offset:         78
        .size:           2
        .value_kind:     hidden_group_size_y
      - .offset:         80
        .size:           2
        .value_kind:     hidden_group_size_z
      - .offset:         82
        .size:           2
        .value_kind:     hidden_remainder_x
      - .offset:         84
        .size:           2
        .value_kind:     hidden_remainder_y
      - .offset:         86
        .size:           2
        .value_kind:     hidden_remainder_z
      - .offset:         104
        .size:           8
        .value_kind:     hidden_global_offset_x
      - .offset:         112
        .size:           8
        .value_kind:     hidden_global_offset_y
      - .offset:         120
        .size:           8
        .value_kind:     hidden_global_offset_z
      - .offset:         128
        .size:           2
        .value_kind:     hidden_grid_dims
    .group_segment_fixed_size: 0
    .kernarg_segment_align: 8
    .kernarg_segment_size: 320
    .language:       OpenCL C
    .language_version:
      - 2
      - 0
    .max_flat_workgroup_size: 1024
    .name:           _ZL26rocblas_syr2k_scale_kernelIlLi128ELi8ELb0EddPdEvbiT_T3_T4_T5_S1_li
    .private_segment_fixed_size: 0
    .sgpr_count:     18
    .sgpr_spill_count: 0
    .symbol:         _ZL26rocblas_syr2k_scale_kernelIlLi128ELi8ELb0EddPdEvbiT_T3_T4_T5_S1_li.kd
    .uniform_work_group_size: 1
    .uses_dynamic_stack: false
    .vgpr_count:     6
    .vgpr_spill_count: 0
    .wavefront_size: 32
    .workgroup_processor_mode: 1
  - .args:
      - .offset:         0
        .size:           1
        .value_kind:     by_value
      - .offset:         4
        .size:           4
        .value_kind:     by_value
      - .offset:         8
        .size:           8
        .value_kind:     by_value
      - .address_space:  global
        .offset:         16
        .size:           8
        .value_kind:     global_buffer
      - .address_space:  global
        .offset:         24
        .size:           8
        .value_kind:     global_buffer
      - .offset:         32
        .size:           8
        .value_kind:     by_value
      - .offset:         40
        .size:           8
        .value_kind:     by_value
      - .address_space:  global
        .offset:         48
        .size:           8
        .value_kind:     global_buffer
      - .offset:         56
        .size:           8
        .value_kind:     by_value
      - .offset:         64
        .size:           8
        .value_kind:     by_value
      - .address_space:  global
        .offset:         72
        .size:           8
        .value_kind:     global_buffer
      - .offset:         80
        .size:           8
        .value_kind:     by_value
      - .offset:         88
        .size:           8
        .value_kind:     by_value
      - .offset:         96
        .size:           4
        .value_kind:     by_value
    .group_segment_fixed_size: 16384
    .kernarg_segment_align: 8
    .kernarg_segment_size: 100
    .language:       OpenCL C
    .language_version:
      - 2
      - 0
    .max_flat_workgroup_size: 1024
    .name:           _ZL26rocblas_syr2k_her2k_kernelIlLb0ELb0ELb0ELi32EPKdS1_PdEvbiT_T4_T5_S3_lS5_S3_lT6_S3_li
    .private_segment_fixed_size: 0
    .sgpr_count:     34
    .sgpr_spill_count: 0
    .symbol:         _ZL26rocblas_syr2k_her2k_kernelIlLb0ELb0ELb0ELi32EPKdS1_PdEvbiT_T4_T5_S3_lS5_S3_lT6_S3_li.kd
    .uniform_work_group_size: 1
    .uses_dynamic_stack: false
    .vgpr_count:     31
    .vgpr_spill_count: 0
    .wavefront_size: 32
    .workgroup_processor_mode: 1
  - .args:
      - .offset:         0
        .size:           1
        .value_kind:     by_value
      - .offset:         4
        .size:           4
        .value_kind:     by_value
      - .offset:         8
        .size:           8
        .value_kind:     by_value
      - .address_space:  global
        .offset:         16
        .size:           8
        .value_kind:     global_buffer
      - .address_space:  global
        .offset:         24
        .size:           8
        .value_kind:     global_buffer
      - .offset:         32
        .size:           8
        .value_kind:     by_value
      - .offset:         40
        .size:           8
        .value_kind:     by_value
      - .address_space:  global
        .offset:         48
        .size:           8
        .value_kind:     global_buffer
      - .offset:         56
        .size:           8
        .value_kind:     by_value
      - .offset:         64
        .size:           8
        .value_kind:     by_value
      - .address_space:  global
        .offset:         72
        .size:           8
        .value_kind:     global_buffer
      - .offset:         80
        .size:           8
        .value_kind:     by_value
      - .offset:         88
        .size:           8
        .value_kind:     by_value
      - .offset:         96
        .size:           4
        .value_kind:     by_value
    .group_segment_fixed_size: 16384
    .kernarg_segment_align: 8
    .kernarg_segment_size: 100
    .language:       OpenCL C
    .language_version:
      - 2
      - 0
    .max_flat_workgroup_size: 1024
    .name:           _ZL26rocblas_syr2k_her2k_kernelIlLb0ELb0ELb1ELi32EPKdS1_PdEvbiT_T4_T5_S3_lS5_S3_lT6_S3_li
    .private_segment_fixed_size: 0
    .sgpr_count:     34
    .sgpr_spill_count: 0
    .symbol:         _ZL26rocblas_syr2k_her2k_kernelIlLb0ELb0ELb1ELi32EPKdS1_PdEvbiT_T4_T5_S3_lS5_S3_lT6_S3_li.kd
    .uniform_work_group_size: 1
    .uses_dynamic_stack: false
    .vgpr_count:     31
    .vgpr_spill_count: 0
    .wavefront_size: 32
    .workgroup_processor_mode: 1
  - .args:
      - .offset:         0
        .size:           1
        .value_kind:     by_value
      - .offset:         4
        .size:           4
        .value_kind:     by_value
      - .offset:         8
        .size:           8
        .value_kind:     by_value
      - .offset:         16
        .size:           8
        .value_kind:     by_value
      - .address_space:  global
        .offset:         24
        .size:           8
        .value_kind:     global_buffer
      - .offset:         32
        .size:           8
        .value_kind:     by_value
      - .offset:         40
        .size:           8
        .value_kind:     by_value
      - .address_space:  global
        .offset:         48
        .size:           8
        .value_kind:     global_buffer
      - .offset:         56
        .size:           8
        .value_kind:     by_value
      - .offset:         64
        .size:           8
        .value_kind:     by_value
      - .address_space:  global
        .offset:         72
        .size:           8
        .value_kind:     global_buffer
      - .offset:         80
        .size:           8
        .value_kind:     by_value
      - .offset:         88
        .size:           8
        .value_kind:     by_value
      - .offset:         96
        .size:           4
        .value_kind:     by_value
    .group_segment_fixed_size: 16384
    .kernarg_segment_align: 8
    .kernarg_segment_size: 100
    .language:       OpenCL C
    .language_version:
      - 2
      - 0
    .max_flat_workgroup_size: 1024
    .name:           _ZL26rocblas_syr2k_her2k_kernelIlLb0ELb0ELb0ELi32E19rocblas_complex_numIfEPKS1_PS1_EvbiT_T4_T5_S5_lS7_S5_lT6_S5_li
    .private_segment_fixed_size: 0
    .sgpr_count:     34
    .sgpr_spill_count: 0
    .symbol:         _ZL26rocblas_syr2k_her2k_kernelIlLb0ELb0ELb0ELi32E19rocblas_complex_numIfEPKS1_PS1_EvbiT_T4_T5_S5_lS7_S5_lT6_S5_li.kd
    .uniform_work_group_size: 1
    .uses_dynamic_stack: false
    .vgpr_count:     36
    .vgpr_spill_count: 0
    .wavefront_size: 32
    .workgroup_processor_mode: 1
  - .args:
      - .offset:         0
        .size:           1
        .value_kind:     by_value
      - .offset:         4
        .size:           4
        .value_kind:     by_value
      - .offset:         8
        .size:           8
        .value_kind:     by_value
      - .offset:         16
        .size:           8
        .value_kind:     by_value
      - .address_space:  global
        .offset:         24
        .size:           8
        .value_kind:     global_buffer
      - .offset:         32
        .size:           8
        .value_kind:     by_value
      - .offset:         40
        .size:           8
        .value_kind:     by_value
      - .address_space:  global
        .offset:         48
        .size:           8
        .value_kind:     global_buffer
      - .offset:         56
        .size:           8
        .value_kind:     by_value
      - .offset:         64
        .size:           8
        .value_kind:     by_value
      - .address_space:  global
        .offset:         72
        .size:           8
        .value_kind:     global_buffer
      - .offset:         80
        .size:           8
        .value_kind:     by_value
      - .offset:         88
        .size:           8
        .value_kind:     by_value
      - .offset:         96
        .size:           4
        .value_kind:     by_value
    .group_segment_fixed_size: 16384
    .kernarg_segment_align: 8
    .kernarg_segment_size: 100
    .language:       OpenCL C
    .language_version:
      - 2
      - 0
    .max_flat_workgroup_size: 1024
    .name:           _ZL26rocblas_syr2k_her2k_kernelIlLb0ELb0ELb1ELi32E19rocblas_complex_numIfEPKS1_PS1_EvbiT_T4_T5_S5_lS7_S5_lT6_S5_li
    .private_segment_fixed_size: 0
    .sgpr_count:     34
    .sgpr_spill_count: 0
    .symbol:         _ZL26rocblas_syr2k_her2k_kernelIlLb0ELb0ELb1ELi32E19rocblas_complex_numIfEPKS1_PS1_EvbiT_T4_T5_S5_lS7_S5_lT6_S5_li.kd
    .uniform_work_group_size: 1
    .uses_dynamic_stack: false
    .vgpr_count:     36
    .vgpr_spill_count: 0
    .wavefront_size: 32
    .workgroup_processor_mode: 1
  - .args:
      - .offset:         0
        .size:           4
        .value_kind:     by_value
      - .offset:         8
        .size:           8
        .value_kind:     by_value
      - .address_space:  global
        .offset:         16
        .size:           8
        .value_kind:     global_buffer
      - .offset:         24
        .size:           8
        .value_kind:     by_value
      - .offset:         32
        .size:           8
        .value_kind:     by_value
      - .address_space:  global
        .offset:         40
        .size:           8
        .value_kind:     global_buffer
      - .offset:         48
        .size:           8
        .value_kind:     by_value
      - .offset:         56
        .size:           8
        .value_kind:     by_value
      - .address_space:  global
        .offset:         64
        .size:           8
        .value_kind:     global_buffer
      - .offset:         72
        .size:           8
        .value_kind:     by_value
      - .offset:         80
        .size:           8
        .value_kind:     by_value
      - .offset:         88
        .size:           4
        .value_kind:     by_value
    .group_segment_fixed_size: 4096
    .kernarg_segment_align: 8
    .kernarg_segment_size: 92
    .language:       OpenCL C
    .language_version:
      - 2
      - 0
    .max_flat_workgroup_size: 256
    .name:           _ZL37rocblas_syrkx_herkx_restricted_kernelIl19rocblas_complex_numIfELi16ELi32ELi8ELi1ELi1ELb0ELc84ELc76EKS1_S1_EviT_PT9_S3_lS5_S3_lPT10_S3_li
    .private_segment_fixed_size: 0
    .sgpr_count:     34
    .sgpr_spill_count: 0
    .symbol:         _ZL37rocblas_syrkx_herkx_restricted_kernelIl19rocblas_complex_numIfELi16ELi32ELi8ELi1ELi1ELb0ELc84ELc76EKS1_S1_EviT_PT9_S3_lS5_S3_lPT10_S3_li.kd
    .uniform_work_group_size: 1
    .uses_dynamic_stack: false
    .vgpr_count:     91
    .vgpr_spill_count: 0
    .wavefront_size: 32
    .workgroup_processor_mode: 1
  - .args:
      - .offset:         0
        .size:           4
        .value_kind:     by_value
      - .offset:         8
        .size:           8
        .value_kind:     by_value
      - .address_space:  global
        .offset:         16
        .size:           8
        .value_kind:     global_buffer
      - .offset:         24
        .size:           8
        .value_kind:     by_value
      - .offset:         32
        .size:           8
        .value_kind:     by_value
      - .address_space:  global
        .offset:         40
        .size:           8
        .value_kind:     global_buffer
      - .offset:         48
        .size:           8
        .value_kind:     by_value
      - .offset:         56
        .size:           8
        .value_kind:     by_value
      - .address_space:  global
        .offset:         64
        .size:           8
        .value_kind:     global_buffer
      - .offset:         72
        .size:           8
        .value_kind:     by_value
      - .offset:         80
        .size:           8
        .value_kind:     by_value
      - .offset:         88
        .size:           4
        .value_kind:     by_value
    .group_segment_fixed_size: 4096
    .kernarg_segment_align: 8
    .kernarg_segment_size: 92
    .language:       OpenCL C
    .language_version:
      - 2
      - 0
    .max_flat_workgroup_size: 256
    .name:           _ZL37rocblas_syrkx_herkx_restricted_kernelIl19rocblas_complex_numIfELi16ELi32ELi8ELi1ELi1ELb0ELc67ELc76EKS1_S1_EviT_PT9_S3_lS5_S3_lPT10_S3_li
    .private_segment_fixed_size: 0
    .sgpr_count:     34
    .sgpr_spill_count: 0
    .symbol:         _ZL37rocblas_syrkx_herkx_restricted_kernelIl19rocblas_complex_numIfELi16ELi32ELi8ELi1ELi1ELb0ELc67ELc76EKS1_S1_EviT_PT9_S3_lS5_S3_lPT10_S3_li.kd
    .uniform_work_group_size: 1
    .uses_dynamic_stack: false
    .vgpr_count:     91
    .vgpr_spill_count: 0
    .wavefront_size: 32
    .workgroup_processor_mode: 1
  - .args:
      - .offset:         0
        .size:           4
        .value_kind:     by_value
      - .offset:         8
        .size:           8
        .value_kind:     by_value
      - .address_space:  global
        .offset:         16
        .size:           8
        .value_kind:     global_buffer
      - .offset:         24
        .size:           8
        .value_kind:     by_value
      - .offset:         32
        .size:           8
        .value_kind:     by_value
      - .address_space:  global
        .offset:         40
        .size:           8
        .value_kind:     global_buffer
      - .offset:         48
        .size:           8
        .value_kind:     by_value
      - .offset:         56
        .size:           8
        .value_kind:     by_value
      - .address_space:  global
        .offset:         64
        .size:           8
        .value_kind:     global_buffer
      - .offset:         72
        .size:           8
        .value_kind:     by_value
      - .offset:         80
        .size:           8
        .value_kind:     by_value
      - .offset:         88
        .size:           4
        .value_kind:     by_value
    .group_segment_fixed_size: 4096
    .kernarg_segment_align: 8
    .kernarg_segment_size: 92
    .language:       OpenCL C
    .language_version:
      - 2
      - 0
    .max_flat_workgroup_size: 256
    .name:           _ZL37rocblas_syrkx_herkx_restricted_kernelIl19rocblas_complex_numIfELi16ELi32ELi8ELi1ELi1ELb0ELc78ELc76EKS1_S1_EviT_PT9_S3_lS5_S3_lPT10_S3_li
    .private_segment_fixed_size: 0
    .sgpr_count:     34
    .sgpr_spill_count: 0
    .symbol:         _ZL37rocblas_syrkx_herkx_restricted_kernelIl19rocblas_complex_numIfELi16ELi32ELi8ELi1ELi1ELb0ELc78ELc76EKS1_S1_EviT_PT9_S3_lS5_S3_lPT10_S3_li.kd
    .uniform_work_group_size: 1
    .uses_dynamic_stack: false
    .vgpr_count:     92
    .vgpr_spill_count: 0
    .wavefront_size: 32
    .workgroup_processor_mode: 1
  - .args:
      - .offset:         0
        .size:           4
        .value_kind:     by_value
      - .offset:         8
        .size:           8
        .value_kind:     by_value
      - .address_space:  global
        .offset:         16
        .size:           8
        .value_kind:     global_buffer
      - .offset:         24
        .size:           8
        .value_kind:     by_value
      - .offset:         32
        .size:           8
        .value_kind:     by_value
      - .address_space:  global
        .offset:         40
        .size:           8
        .value_kind:     global_buffer
      - .offset:         48
        .size:           8
        .value_kind:     by_value
      - .offset:         56
        .size:           8
        .value_kind:     by_value
      - .address_space:  global
        .offset:         64
        .size:           8
        .value_kind:     global_buffer
      - .offset:         72
        .size:           8
        .value_kind:     by_value
      - .offset:         80
        .size:           8
        .value_kind:     by_value
      - .offset:         88
        .size:           4
        .value_kind:     by_value
    .group_segment_fixed_size: 4096
    .kernarg_segment_align: 8
    .kernarg_segment_size: 92
    .language:       OpenCL C
    .language_version:
      - 2
      - 0
    .max_flat_workgroup_size: 256
    .name:           _ZL37rocblas_syrkx_herkx_restricted_kernelIl19rocblas_complex_numIfELi16ELi32ELi8ELi1ELi1ELb0ELc84ELc85EKS1_S1_EviT_PT9_S3_lS5_S3_lPT10_S3_li
    .private_segment_fixed_size: 0
    .sgpr_count:     34
    .sgpr_spill_count: 0
    .symbol:         _ZL37rocblas_syrkx_herkx_restricted_kernelIl19rocblas_complex_numIfELi16ELi32ELi8ELi1ELi1ELb0ELc84ELc85EKS1_S1_EviT_PT9_S3_lS5_S3_lPT10_S3_li.kd
    .uniform_work_group_size: 1
    .uses_dynamic_stack: false
    .vgpr_count:     91
    .vgpr_spill_count: 0
    .wavefront_size: 32
    .workgroup_processor_mode: 1
  - .args:
      - .offset:         0
        .size:           4
        .value_kind:     by_value
      - .offset:         8
        .size:           8
        .value_kind:     by_value
      - .address_space:  global
        .offset:         16
        .size:           8
        .value_kind:     global_buffer
      - .offset:         24
        .size:           8
        .value_kind:     by_value
      - .offset:         32
        .size:           8
        .value_kind:     by_value
      - .address_space:  global
        .offset:         40
        .size:           8
        .value_kind:     global_buffer
      - .offset:         48
        .size:           8
        .value_kind:     by_value
      - .offset:         56
        .size:           8
        .value_kind:     by_value
      - .address_space:  global
        .offset:         64
        .size:           8
        .value_kind:     global_buffer
      - .offset:         72
        .size:           8
        .value_kind:     by_value
      - .offset:         80
        .size:           8
        .value_kind:     by_value
      - .offset:         88
        .size:           4
        .value_kind:     by_value
    .group_segment_fixed_size: 4096
    .kernarg_segment_align: 8
    .kernarg_segment_size: 92
    .language:       OpenCL C
    .language_version:
      - 2
      - 0
    .max_flat_workgroup_size: 256
    .name:           _ZL37rocblas_syrkx_herkx_restricted_kernelIl19rocblas_complex_numIfELi16ELi32ELi8ELi1ELi1ELb0ELc67ELc85EKS1_S1_EviT_PT9_S3_lS5_S3_lPT10_S3_li
    .private_segment_fixed_size: 0
    .sgpr_count:     34
    .sgpr_spill_count: 0
    .symbol:         _ZL37rocblas_syrkx_herkx_restricted_kernelIl19rocblas_complex_numIfELi16ELi32ELi8ELi1ELi1ELb0ELc67ELc85EKS1_S1_EviT_PT9_S3_lS5_S3_lPT10_S3_li.kd
    .uniform_work_group_size: 1
    .uses_dynamic_stack: false
    .vgpr_count:     91
    .vgpr_spill_count: 0
    .wavefront_size: 32
    .workgroup_processor_mode: 1
  - .args:
      - .offset:         0
        .size:           4
        .value_kind:     by_value
      - .offset:         8
        .size:           8
        .value_kind:     by_value
      - .address_space:  global
        .offset:         16
        .size:           8
        .value_kind:     global_buffer
      - .offset:         24
        .size:           8
        .value_kind:     by_value
      - .offset:         32
        .size:           8
        .value_kind:     by_value
      - .address_space:  global
        .offset:         40
        .size:           8
        .value_kind:     global_buffer
      - .offset:         48
        .size:           8
        .value_kind:     by_value
      - .offset:         56
        .size:           8
        .value_kind:     by_value
      - .address_space:  global
        .offset:         64
        .size:           8
        .value_kind:     global_buffer
      - .offset:         72
        .size:           8
        .value_kind:     by_value
      - .offset:         80
        .size:           8
        .value_kind:     by_value
      - .offset:         88
        .size:           4
        .value_kind:     by_value
    .group_segment_fixed_size: 4096
    .kernarg_segment_align: 8
    .kernarg_segment_size: 92
    .language:       OpenCL C
    .language_version:
      - 2
      - 0
    .max_flat_workgroup_size: 256
    .name:           _ZL37rocblas_syrkx_herkx_restricted_kernelIl19rocblas_complex_numIfELi16ELi32ELi8ELi1ELi1ELb0ELc78ELc85EKS1_S1_EviT_PT9_S3_lS5_S3_lPT10_S3_li
    .private_segment_fixed_size: 0
    .sgpr_count:     34
    .sgpr_spill_count: 0
    .symbol:         _ZL37rocblas_syrkx_herkx_restricted_kernelIl19rocblas_complex_numIfELi16ELi32ELi8ELi1ELi1ELb0ELc78ELc85EKS1_S1_EviT_PT9_S3_lS5_S3_lPT10_S3_li.kd
    .uniform_work_group_size: 1
    .uses_dynamic_stack: false
    .vgpr_count:     92
    .vgpr_spill_count: 0
    .wavefront_size: 32
    .workgroup_processor_mode: 1
  - .args:
      - .offset:         0
        .size:           4
        .value_kind:     by_value
      - .offset:         8
        .size:           8
        .value_kind:     by_value
      - .address_space:  global
        .offset:         16
        .size:           8
        .value_kind:     global_buffer
      - .offset:         24
        .size:           8
        .value_kind:     by_value
      - .offset:         32
        .size:           8
        .value_kind:     by_value
      - .address_space:  global
        .offset:         40
        .size:           8
        .value_kind:     global_buffer
      - .offset:         48
        .size:           8
        .value_kind:     by_value
      - .offset:         56
        .size:           8
        .value_kind:     by_value
      - .address_space:  global
        .offset:         64
        .size:           8
        .value_kind:     global_buffer
      - .offset:         72
        .size:           8
        .value_kind:     by_value
      - .offset:         80
        .size:           8
        .value_kind:     by_value
      - .offset:         88
        .size:           4
        .value_kind:     by_value
    .group_segment_fixed_size: 4096
    .kernarg_segment_align: 8
    .kernarg_segment_size: 92
    .language:       OpenCL C
    .language_version:
      - 2
      - 0
    .max_flat_workgroup_size: 256
    .name:           _ZL37rocblas_syrkx_herkx_restricted_kernelIl19rocblas_complex_numIfELi16ELi32ELi8ELi1ELin1ELb0ELc84ELc76EKS1_S1_EviT_PT9_S3_lS5_S3_lPT10_S3_li
    .private_segment_fixed_size: 0
    .sgpr_count:     34
    .sgpr_spill_count: 0
    .symbol:         _ZL37rocblas_syrkx_herkx_restricted_kernelIl19rocblas_complex_numIfELi16ELi32ELi8ELi1ELin1ELb0ELc84ELc76EKS1_S1_EviT_PT9_S3_lS5_S3_lPT10_S3_li.kd
    .uniform_work_group_size: 1
    .uses_dynamic_stack: false
    .vgpr_count:     91
    .vgpr_spill_count: 0
    .wavefront_size: 32
    .workgroup_processor_mode: 1
  - .args:
      - .offset:         0
        .size:           4
        .value_kind:     by_value
      - .offset:         8
        .size:           8
        .value_kind:     by_value
      - .address_space:  global
        .offset:         16
        .size:           8
        .value_kind:     global_buffer
      - .offset:         24
        .size:           8
        .value_kind:     by_value
      - .offset:         32
        .size:           8
        .value_kind:     by_value
      - .address_space:  global
        .offset:         40
        .size:           8
        .value_kind:     global_buffer
      - .offset:         48
        .size:           8
        .value_kind:     by_value
      - .offset:         56
        .size:           8
        .value_kind:     by_value
      - .address_space:  global
        .offset:         64
        .size:           8
        .value_kind:     global_buffer
      - .offset:         72
        .size:           8
        .value_kind:     by_value
      - .offset:         80
        .size:           8
        .value_kind:     by_value
      - .offset:         88
        .size:           4
        .value_kind:     by_value
    .group_segment_fixed_size: 4096
    .kernarg_segment_align: 8
    .kernarg_segment_size: 92
    .language:       OpenCL C
    .language_version:
      - 2
      - 0
    .max_flat_workgroup_size: 256
    .name:           _ZL37rocblas_syrkx_herkx_restricted_kernelIl19rocblas_complex_numIfELi16ELi32ELi8ELi1ELin1ELb0ELc67ELc76EKS1_S1_EviT_PT9_S3_lS5_S3_lPT10_S3_li
    .private_segment_fixed_size: 0
    .sgpr_count:     34
    .sgpr_spill_count: 0
    .symbol:         _ZL37rocblas_syrkx_herkx_restricted_kernelIl19rocblas_complex_numIfELi16ELi32ELi8ELi1ELin1ELb0ELc67ELc76EKS1_S1_EviT_PT9_S3_lS5_S3_lPT10_S3_li.kd
    .uniform_work_group_size: 1
    .uses_dynamic_stack: false
    .vgpr_count:     91
    .vgpr_spill_count: 0
    .wavefront_size: 32
    .workgroup_processor_mode: 1
  - .args:
      - .offset:         0
        .size:           4
        .value_kind:     by_value
      - .offset:         8
        .size:           8
        .value_kind:     by_value
      - .address_space:  global
        .offset:         16
        .size:           8
        .value_kind:     global_buffer
      - .offset:         24
        .size:           8
        .value_kind:     by_value
      - .offset:         32
        .size:           8
        .value_kind:     by_value
      - .address_space:  global
        .offset:         40
        .size:           8
        .value_kind:     global_buffer
      - .offset:         48
        .size:           8
        .value_kind:     by_value
      - .offset:         56
        .size:           8
        .value_kind:     by_value
      - .address_space:  global
        .offset:         64
        .size:           8
        .value_kind:     global_buffer
      - .offset:         72
        .size:           8
        .value_kind:     by_value
      - .offset:         80
        .size:           8
        .value_kind:     by_value
      - .offset:         88
        .size:           4
        .value_kind:     by_value
    .group_segment_fixed_size: 4096
    .kernarg_segment_align: 8
    .kernarg_segment_size: 92
    .language:       OpenCL C
    .language_version:
      - 2
      - 0
    .max_flat_workgroup_size: 256
    .name:           _ZL37rocblas_syrkx_herkx_restricted_kernelIl19rocblas_complex_numIfELi16ELi32ELi8ELi1ELin1ELb0ELc78ELc76EKS1_S1_EviT_PT9_S3_lS5_S3_lPT10_S3_li
    .private_segment_fixed_size: 0
    .sgpr_count:     34
    .sgpr_spill_count: 0
    .symbol:         _ZL37rocblas_syrkx_herkx_restricted_kernelIl19rocblas_complex_numIfELi16ELi32ELi8ELi1ELin1ELb0ELc78ELc76EKS1_S1_EviT_PT9_S3_lS5_S3_lPT10_S3_li.kd
    .uniform_work_group_size: 1
    .uses_dynamic_stack: false
    .vgpr_count:     92
    .vgpr_spill_count: 0
    .wavefront_size: 32
    .workgroup_processor_mode: 1
  - .args:
      - .offset:         0
        .size:           4
        .value_kind:     by_value
      - .offset:         8
        .size:           8
        .value_kind:     by_value
      - .address_space:  global
        .offset:         16
        .size:           8
        .value_kind:     global_buffer
      - .offset:         24
        .size:           8
        .value_kind:     by_value
      - .offset:         32
        .size:           8
        .value_kind:     by_value
      - .address_space:  global
        .offset:         40
        .size:           8
        .value_kind:     global_buffer
      - .offset:         48
        .size:           8
        .value_kind:     by_value
      - .offset:         56
        .size:           8
        .value_kind:     by_value
      - .address_space:  global
        .offset:         64
        .size:           8
        .value_kind:     global_buffer
      - .offset:         72
        .size:           8
        .value_kind:     by_value
      - .offset:         80
        .size:           8
        .value_kind:     by_value
      - .offset:         88
        .size:           4
        .value_kind:     by_value
    .group_segment_fixed_size: 4096
    .kernarg_segment_align: 8
    .kernarg_segment_size: 92
    .language:       OpenCL C
    .language_version:
      - 2
      - 0
    .max_flat_workgroup_size: 256
    .name:           _ZL37rocblas_syrkx_herkx_restricted_kernelIl19rocblas_complex_numIfELi16ELi32ELi8ELi1ELin1ELb0ELc84ELc85EKS1_S1_EviT_PT9_S3_lS5_S3_lPT10_S3_li
    .private_segment_fixed_size: 0
    .sgpr_count:     34
    .sgpr_spill_count: 0
    .symbol:         _ZL37rocblas_syrkx_herkx_restricted_kernelIl19rocblas_complex_numIfELi16ELi32ELi8ELi1ELin1ELb0ELc84ELc85EKS1_S1_EviT_PT9_S3_lS5_S3_lPT10_S3_li.kd
    .uniform_work_group_size: 1
    .uses_dynamic_stack: false
    .vgpr_count:     91
    .vgpr_spill_count: 0
    .wavefront_size: 32
    .workgroup_processor_mode: 1
  - .args:
      - .offset:         0
        .size:           4
        .value_kind:     by_value
      - .offset:         8
        .size:           8
        .value_kind:     by_value
      - .address_space:  global
        .offset:         16
        .size:           8
        .value_kind:     global_buffer
      - .offset:         24
        .size:           8
        .value_kind:     by_value
      - .offset:         32
        .size:           8
        .value_kind:     by_value
      - .address_space:  global
        .offset:         40
        .size:           8
        .value_kind:     global_buffer
      - .offset:         48
        .size:           8
        .value_kind:     by_value
      - .offset:         56
        .size:           8
        .value_kind:     by_value
      - .address_space:  global
        .offset:         64
        .size:           8
        .value_kind:     global_buffer
      - .offset:         72
        .size:           8
        .value_kind:     by_value
      - .offset:         80
        .size:           8
        .value_kind:     by_value
      - .offset:         88
        .size:           4
        .value_kind:     by_value
    .group_segment_fixed_size: 4096
    .kernarg_segment_align: 8
    .kernarg_segment_size: 92
    .language:       OpenCL C
    .language_version:
      - 2
      - 0
    .max_flat_workgroup_size: 256
    .name:           _ZL37rocblas_syrkx_herkx_restricted_kernelIl19rocblas_complex_numIfELi16ELi32ELi8ELi1ELin1ELb0ELc67ELc85EKS1_S1_EviT_PT9_S3_lS5_S3_lPT10_S3_li
    .private_segment_fixed_size: 0
    .sgpr_count:     34
    .sgpr_spill_count: 0
    .symbol:         _ZL37rocblas_syrkx_herkx_restricted_kernelIl19rocblas_complex_numIfELi16ELi32ELi8ELi1ELin1ELb0ELc67ELc85EKS1_S1_EviT_PT9_S3_lS5_S3_lPT10_S3_li.kd
    .uniform_work_group_size: 1
    .uses_dynamic_stack: false
    .vgpr_count:     91
    .vgpr_spill_count: 0
    .wavefront_size: 32
    .workgroup_processor_mode: 1
  - .args:
      - .offset:         0
        .size:           4
        .value_kind:     by_value
      - .offset:         8
        .size:           8
        .value_kind:     by_value
      - .address_space:  global
        .offset:         16
        .size:           8
        .value_kind:     global_buffer
      - .offset:         24
        .size:           8
        .value_kind:     by_value
      - .offset:         32
        .size:           8
        .value_kind:     by_value
      - .address_space:  global
        .offset:         40
        .size:           8
        .value_kind:     global_buffer
      - .offset:         48
        .size:           8
        .value_kind:     by_value
      - .offset:         56
        .size:           8
        .value_kind:     by_value
      - .address_space:  global
        .offset:         64
        .size:           8
        .value_kind:     global_buffer
      - .offset:         72
        .size:           8
        .value_kind:     by_value
      - .offset:         80
        .size:           8
        .value_kind:     by_value
      - .offset:         88
        .size:           4
        .value_kind:     by_value
    .group_segment_fixed_size: 4096
    .kernarg_segment_align: 8
    .kernarg_segment_size: 92
    .language:       OpenCL C
    .language_version:
      - 2
      - 0
    .max_flat_workgroup_size: 256
    .name:           _ZL37rocblas_syrkx_herkx_restricted_kernelIl19rocblas_complex_numIfELi16ELi32ELi8ELi1ELin1ELb0ELc78ELc85EKS1_S1_EviT_PT9_S3_lS5_S3_lPT10_S3_li
    .private_segment_fixed_size: 0
    .sgpr_count:     34
    .sgpr_spill_count: 0
    .symbol:         _ZL37rocblas_syrkx_herkx_restricted_kernelIl19rocblas_complex_numIfELi16ELi32ELi8ELi1ELin1ELb0ELc78ELc85EKS1_S1_EviT_PT9_S3_lS5_S3_lPT10_S3_li.kd
    .uniform_work_group_size: 1
    .uses_dynamic_stack: false
    .vgpr_count:     92
    .vgpr_spill_count: 0
    .wavefront_size: 32
    .workgroup_processor_mode: 1
  - .args:
      - .offset:         0
        .size:           4
        .value_kind:     by_value
      - .offset:         8
        .size:           8
        .value_kind:     by_value
      - .address_space:  global
        .offset:         16
        .size:           8
        .value_kind:     global_buffer
      - .offset:         24
        .size:           8
        .value_kind:     by_value
      - .offset:         32
        .size:           8
        .value_kind:     by_value
      - .address_space:  global
        .offset:         40
        .size:           8
        .value_kind:     global_buffer
      - .offset:         48
        .size:           8
        .value_kind:     by_value
      - .offset:         56
        .size:           8
        .value_kind:     by_value
      - .address_space:  global
        .offset:         64
        .size:           8
        .value_kind:     global_buffer
      - .offset:         72
        .size:           8
        .value_kind:     by_value
      - .offset:         80
        .size:           8
        .value_kind:     by_value
      - .offset:         88
        .size:           4
        .value_kind:     by_value
    .group_segment_fixed_size: 4096
    .kernarg_segment_align: 8
    .kernarg_segment_size: 92
    .language:       OpenCL C
    .language_version:
      - 2
      - 0
    .max_flat_workgroup_size: 256
    .name:           _ZL37rocblas_syrkx_herkx_restricted_kernelIl19rocblas_complex_numIfELi16ELi32ELi8ELi1ELi0ELb0ELc84ELc76EKS1_S1_EviT_PT9_S3_lS5_S3_lPT10_S3_li
    .private_segment_fixed_size: 0
    .sgpr_count:     34
    .sgpr_spill_count: 0
    .symbol:         _ZL37rocblas_syrkx_herkx_restricted_kernelIl19rocblas_complex_numIfELi16ELi32ELi8ELi1ELi0ELb0ELc84ELc76EKS1_S1_EviT_PT9_S3_lS5_S3_lPT10_S3_li.kd
    .uniform_work_group_size: 1
    .uses_dynamic_stack: false
    .vgpr_count:     92
    .vgpr_spill_count: 0
    .wavefront_size: 32
    .workgroup_processor_mode: 1
  - .args:
      - .offset:         0
        .size:           4
        .value_kind:     by_value
      - .offset:         8
        .size:           8
        .value_kind:     by_value
      - .address_space:  global
        .offset:         16
        .size:           8
        .value_kind:     global_buffer
      - .offset:         24
        .size:           8
        .value_kind:     by_value
      - .offset:         32
        .size:           8
        .value_kind:     by_value
      - .address_space:  global
        .offset:         40
        .size:           8
        .value_kind:     global_buffer
      - .offset:         48
        .size:           8
        .value_kind:     by_value
      - .offset:         56
        .size:           8
        .value_kind:     by_value
      - .address_space:  global
        .offset:         64
        .size:           8
        .value_kind:     global_buffer
      - .offset:         72
        .size:           8
        .value_kind:     by_value
      - .offset:         80
        .size:           8
        .value_kind:     by_value
      - .offset:         88
        .size:           4
        .value_kind:     by_value
    .group_segment_fixed_size: 4096
    .kernarg_segment_align: 8
    .kernarg_segment_size: 92
    .language:       OpenCL C
    .language_version:
      - 2
      - 0
    .max_flat_workgroup_size: 256
    .name:           _ZL37rocblas_syrkx_herkx_restricted_kernelIl19rocblas_complex_numIfELi16ELi32ELi8ELi1ELi0ELb0ELc67ELc76EKS1_S1_EviT_PT9_S3_lS5_S3_lPT10_S3_li
    .private_segment_fixed_size: 0
    .sgpr_count:     34
    .sgpr_spill_count: 0
    .symbol:         _ZL37rocblas_syrkx_herkx_restricted_kernelIl19rocblas_complex_numIfELi16ELi32ELi8ELi1ELi0ELb0ELc67ELc76EKS1_S1_EviT_PT9_S3_lS5_S3_lPT10_S3_li.kd
    .uniform_work_group_size: 1
    .uses_dynamic_stack: false
    .vgpr_count:     92
    .vgpr_spill_count: 0
    .wavefront_size: 32
    .workgroup_processor_mode: 1
  - .args:
      - .offset:         0
        .size:           4
        .value_kind:     by_value
      - .offset:         8
        .size:           8
        .value_kind:     by_value
      - .address_space:  global
        .offset:         16
        .size:           8
        .value_kind:     global_buffer
      - .offset:         24
        .size:           8
        .value_kind:     by_value
      - .offset:         32
        .size:           8
        .value_kind:     by_value
      - .address_space:  global
        .offset:         40
        .size:           8
        .value_kind:     global_buffer
      - .offset:         48
        .size:           8
        .value_kind:     by_value
      - .offset:         56
        .size:           8
        .value_kind:     by_value
      - .address_space:  global
        .offset:         64
        .size:           8
        .value_kind:     global_buffer
      - .offset:         72
        .size:           8
        .value_kind:     by_value
      - .offset:         80
        .size:           8
        .value_kind:     by_value
      - .offset:         88
        .size:           4
        .value_kind:     by_value
    .group_segment_fixed_size: 4096
    .kernarg_segment_align: 8
    .kernarg_segment_size: 92
    .language:       OpenCL C
    .language_version:
      - 2
      - 0
    .max_flat_workgroup_size: 256
    .name:           _ZL37rocblas_syrkx_herkx_restricted_kernelIl19rocblas_complex_numIfELi16ELi32ELi8ELi1ELi0ELb0ELc78ELc76EKS1_S1_EviT_PT9_S3_lS5_S3_lPT10_S3_li
    .private_segment_fixed_size: 0
    .sgpr_count:     34
    .sgpr_spill_count: 0
    .symbol:         _ZL37rocblas_syrkx_herkx_restricted_kernelIl19rocblas_complex_numIfELi16ELi32ELi8ELi1ELi0ELb0ELc78ELc76EKS1_S1_EviT_PT9_S3_lS5_S3_lPT10_S3_li.kd
    .uniform_work_group_size: 1
    .uses_dynamic_stack: false
    .vgpr_count:     92
    .vgpr_spill_count: 0
    .wavefront_size: 32
    .workgroup_processor_mode: 1
  - .args:
      - .offset:         0
        .size:           4
        .value_kind:     by_value
      - .offset:         8
        .size:           8
        .value_kind:     by_value
      - .address_space:  global
        .offset:         16
        .size:           8
        .value_kind:     global_buffer
      - .offset:         24
        .size:           8
        .value_kind:     by_value
      - .offset:         32
        .size:           8
        .value_kind:     by_value
      - .address_space:  global
        .offset:         40
        .size:           8
        .value_kind:     global_buffer
      - .offset:         48
        .size:           8
        .value_kind:     by_value
      - .offset:         56
        .size:           8
        .value_kind:     by_value
      - .address_space:  global
        .offset:         64
        .size:           8
        .value_kind:     global_buffer
      - .offset:         72
        .size:           8
        .value_kind:     by_value
      - .offset:         80
        .size:           8
        .value_kind:     by_value
      - .offset:         88
        .size:           4
        .value_kind:     by_value
    .group_segment_fixed_size: 4096
    .kernarg_segment_align: 8
    .kernarg_segment_size: 92
    .language:       OpenCL C
    .language_version:
      - 2
      - 0
    .max_flat_workgroup_size: 256
    .name:           _ZL37rocblas_syrkx_herkx_restricted_kernelIl19rocblas_complex_numIfELi16ELi32ELi8ELi1ELi0ELb0ELc84ELc85EKS1_S1_EviT_PT9_S3_lS5_S3_lPT10_S3_li
    .private_segment_fixed_size: 0
    .sgpr_count:     34
    .sgpr_spill_count: 0
    .symbol:         _ZL37rocblas_syrkx_herkx_restricted_kernelIl19rocblas_complex_numIfELi16ELi32ELi8ELi1ELi0ELb0ELc84ELc85EKS1_S1_EviT_PT9_S3_lS5_S3_lPT10_S3_li.kd
    .uniform_work_group_size: 1
    .uses_dynamic_stack: false
    .vgpr_count:     92
    .vgpr_spill_count: 0
    .wavefront_size: 32
    .workgroup_processor_mode: 1
  - .args:
      - .offset:         0
        .size:           4
        .value_kind:     by_value
      - .offset:         8
        .size:           8
        .value_kind:     by_value
      - .address_space:  global
        .offset:         16
        .size:           8
        .value_kind:     global_buffer
      - .offset:         24
        .size:           8
        .value_kind:     by_value
      - .offset:         32
        .size:           8
        .value_kind:     by_value
      - .address_space:  global
        .offset:         40
        .size:           8
        .value_kind:     global_buffer
      - .offset:         48
        .size:           8
        .value_kind:     by_value
      - .offset:         56
        .size:           8
        .value_kind:     by_value
      - .address_space:  global
        .offset:         64
        .size:           8
        .value_kind:     global_buffer
      - .offset:         72
        .size:           8
        .value_kind:     by_value
      - .offset:         80
        .size:           8
        .value_kind:     by_value
      - .offset:         88
        .size:           4
        .value_kind:     by_value
    .group_segment_fixed_size: 4096
    .kernarg_segment_align: 8
    .kernarg_segment_size: 92
    .language:       OpenCL C
    .language_version:
      - 2
      - 0
    .max_flat_workgroup_size: 256
    .name:           _ZL37rocblas_syrkx_herkx_restricted_kernelIl19rocblas_complex_numIfELi16ELi32ELi8ELi1ELi0ELb0ELc67ELc85EKS1_S1_EviT_PT9_S3_lS5_S3_lPT10_S3_li
    .private_segment_fixed_size: 0
    .sgpr_count:     34
    .sgpr_spill_count: 0
    .symbol:         _ZL37rocblas_syrkx_herkx_restricted_kernelIl19rocblas_complex_numIfELi16ELi32ELi8ELi1ELi0ELb0ELc67ELc85EKS1_S1_EviT_PT9_S3_lS5_S3_lPT10_S3_li.kd
    .uniform_work_group_size: 1
    .uses_dynamic_stack: false
    .vgpr_count:     92
    .vgpr_spill_count: 0
    .wavefront_size: 32
    .workgroup_processor_mode: 1
  - .args:
      - .offset:         0
        .size:           4
        .value_kind:     by_value
      - .offset:         8
        .size:           8
        .value_kind:     by_value
      - .address_space:  global
        .offset:         16
        .size:           8
        .value_kind:     global_buffer
      - .offset:         24
        .size:           8
        .value_kind:     by_value
      - .offset:         32
        .size:           8
        .value_kind:     by_value
      - .address_space:  global
        .offset:         40
        .size:           8
        .value_kind:     global_buffer
      - .offset:         48
        .size:           8
        .value_kind:     by_value
      - .offset:         56
        .size:           8
        .value_kind:     by_value
      - .address_space:  global
        .offset:         64
        .size:           8
        .value_kind:     global_buffer
      - .offset:         72
        .size:           8
        .value_kind:     by_value
      - .offset:         80
        .size:           8
        .value_kind:     by_value
      - .offset:         88
        .size:           4
        .value_kind:     by_value
    .group_segment_fixed_size: 4096
    .kernarg_segment_align: 8
    .kernarg_segment_size: 92
    .language:       OpenCL C
    .language_version:
      - 2
      - 0
    .max_flat_workgroup_size: 256
    .name:           _ZL37rocblas_syrkx_herkx_restricted_kernelIl19rocblas_complex_numIfELi16ELi32ELi8ELi1ELi0ELb0ELc78ELc85EKS1_S1_EviT_PT9_S3_lS5_S3_lPT10_S3_li
    .private_segment_fixed_size: 0
    .sgpr_count:     34
    .sgpr_spill_count: 0
    .symbol:         _ZL37rocblas_syrkx_herkx_restricted_kernelIl19rocblas_complex_numIfELi16ELi32ELi8ELi1ELi0ELb0ELc78ELc85EKS1_S1_EviT_PT9_S3_lS5_S3_lPT10_S3_li.kd
    .uniform_work_group_size: 1
    .uses_dynamic_stack: false
    .vgpr_count:     92
    .vgpr_spill_count: 0
    .wavefront_size: 32
    .workgroup_processor_mode: 1
  - .args:
      - .offset:         0
        .size:           4
        .value_kind:     by_value
      - .offset:         8
        .size:           8
        .value_kind:     by_value
      - .address_space:  global
        .offset:         16
        .size:           8
        .value_kind:     global_buffer
      - .offset:         24
        .size:           8
        .value_kind:     by_value
      - .offset:         32
        .size:           8
        .value_kind:     by_value
      - .address_space:  global
        .offset:         40
        .size:           8
        .value_kind:     global_buffer
      - .offset:         48
        .size:           8
        .value_kind:     by_value
      - .offset:         56
        .size:           8
        .value_kind:     by_value
      - .address_space:  global
        .offset:         64
        .size:           8
        .value_kind:     global_buffer
      - .offset:         72
        .size:           8
        .value_kind:     by_value
      - .offset:         80
        .size:           8
        .value_kind:     by_value
      - .offset:         88
        .size:           4
        .value_kind:     by_value
    .group_segment_fixed_size: 4096
    .kernarg_segment_align: 8
    .kernarg_segment_size: 92
    .language:       OpenCL C
    .language_version:
      - 2
      - 0
    .max_flat_workgroup_size: 256
    .name:           _ZL37rocblas_syrkx_herkx_restricted_kernelIl19rocblas_complex_numIfELi16ELi32ELi8ELin1ELi0ELb0ELc84ELc76EKS1_S1_EviT_PT9_S3_lS5_S3_lPT10_S3_li
    .private_segment_fixed_size: 0
    .sgpr_count:     34
    .sgpr_spill_count: 0
    .symbol:         _ZL37rocblas_syrkx_herkx_restricted_kernelIl19rocblas_complex_numIfELi16ELi32ELi8ELin1ELi0ELb0ELc84ELc76EKS1_S1_EviT_PT9_S3_lS5_S3_lPT10_S3_li.kd
    .uniform_work_group_size: 1
    .uses_dynamic_stack: false
    .vgpr_count:     91
    .vgpr_spill_count: 0
    .wavefront_size: 32
    .workgroup_processor_mode: 1
  - .args:
      - .offset:         0
        .size:           4
        .value_kind:     by_value
      - .offset:         8
        .size:           8
        .value_kind:     by_value
      - .address_space:  global
        .offset:         16
        .size:           8
        .value_kind:     global_buffer
      - .offset:         24
        .size:           8
        .value_kind:     by_value
      - .offset:         32
        .size:           8
        .value_kind:     by_value
      - .address_space:  global
        .offset:         40
        .size:           8
        .value_kind:     global_buffer
      - .offset:         48
        .size:           8
        .value_kind:     by_value
      - .offset:         56
        .size:           8
        .value_kind:     by_value
      - .address_space:  global
        .offset:         64
        .size:           8
        .value_kind:     global_buffer
      - .offset:         72
        .size:           8
        .value_kind:     by_value
      - .offset:         80
        .size:           8
        .value_kind:     by_value
      - .offset:         88
        .size:           4
        .value_kind:     by_value
    .group_segment_fixed_size: 4096
    .kernarg_segment_align: 8
    .kernarg_segment_size: 92
    .language:       OpenCL C
    .language_version:
      - 2
      - 0
    .max_flat_workgroup_size: 256
    .name:           _ZL37rocblas_syrkx_herkx_restricted_kernelIl19rocblas_complex_numIfELi16ELi32ELi8ELin1ELi0ELb0ELc67ELc76EKS1_S1_EviT_PT9_S3_lS5_S3_lPT10_S3_li
    .private_segment_fixed_size: 0
    .sgpr_count:     34
    .sgpr_spill_count: 0
    .symbol:         _ZL37rocblas_syrkx_herkx_restricted_kernelIl19rocblas_complex_numIfELi16ELi32ELi8ELin1ELi0ELb0ELc67ELc76EKS1_S1_EviT_PT9_S3_lS5_S3_lPT10_S3_li.kd
    .uniform_work_group_size: 1
    .uses_dynamic_stack: false
    .vgpr_count:     91
    .vgpr_spill_count: 0
    .wavefront_size: 32
    .workgroup_processor_mode: 1
  - .args:
      - .offset:         0
        .size:           4
        .value_kind:     by_value
      - .offset:         8
        .size:           8
        .value_kind:     by_value
      - .address_space:  global
        .offset:         16
        .size:           8
        .value_kind:     global_buffer
      - .offset:         24
        .size:           8
        .value_kind:     by_value
      - .offset:         32
        .size:           8
        .value_kind:     by_value
      - .address_space:  global
        .offset:         40
        .size:           8
        .value_kind:     global_buffer
      - .offset:         48
        .size:           8
        .value_kind:     by_value
      - .offset:         56
        .size:           8
        .value_kind:     by_value
      - .address_space:  global
        .offset:         64
        .size:           8
        .value_kind:     global_buffer
      - .offset:         72
        .size:           8
        .value_kind:     by_value
      - .offset:         80
        .size:           8
        .value_kind:     by_value
      - .offset:         88
        .size:           4
        .value_kind:     by_value
    .group_segment_fixed_size: 4096
    .kernarg_segment_align: 8
    .kernarg_segment_size: 92
    .language:       OpenCL C
    .language_version:
      - 2
      - 0
    .max_flat_workgroup_size: 256
    .name:           _ZL37rocblas_syrkx_herkx_restricted_kernelIl19rocblas_complex_numIfELi16ELi32ELi8ELin1ELi0ELb0ELc78ELc76EKS1_S1_EviT_PT9_S3_lS5_S3_lPT10_S3_li
    .private_segment_fixed_size: 0
    .sgpr_count:     34
    .sgpr_spill_count: 0
    .symbol:         _ZL37rocblas_syrkx_herkx_restricted_kernelIl19rocblas_complex_numIfELi16ELi32ELi8ELin1ELi0ELb0ELc78ELc76EKS1_S1_EviT_PT9_S3_lS5_S3_lPT10_S3_li.kd
    .uniform_work_group_size: 1
    .uses_dynamic_stack: false
    .vgpr_count:     92
    .vgpr_spill_count: 0
    .wavefront_size: 32
    .workgroup_processor_mode: 1
  - .args:
      - .offset:         0
        .size:           4
        .value_kind:     by_value
      - .offset:         8
        .size:           8
        .value_kind:     by_value
      - .address_space:  global
        .offset:         16
        .size:           8
        .value_kind:     global_buffer
      - .offset:         24
        .size:           8
        .value_kind:     by_value
      - .offset:         32
        .size:           8
        .value_kind:     by_value
      - .address_space:  global
        .offset:         40
        .size:           8
        .value_kind:     global_buffer
      - .offset:         48
        .size:           8
        .value_kind:     by_value
      - .offset:         56
        .size:           8
        .value_kind:     by_value
      - .address_space:  global
        .offset:         64
        .size:           8
        .value_kind:     global_buffer
      - .offset:         72
        .size:           8
        .value_kind:     by_value
      - .offset:         80
        .size:           8
        .value_kind:     by_value
      - .offset:         88
        .size:           4
        .value_kind:     by_value
    .group_segment_fixed_size: 4096
    .kernarg_segment_align: 8
    .kernarg_segment_size: 92
    .language:       OpenCL C
    .language_version:
      - 2
      - 0
    .max_flat_workgroup_size: 256
    .name:           _ZL37rocblas_syrkx_herkx_restricted_kernelIl19rocblas_complex_numIfELi16ELi32ELi8ELin1ELi0ELb0ELc84ELc85EKS1_S1_EviT_PT9_S3_lS5_S3_lPT10_S3_li
    .private_segment_fixed_size: 0
    .sgpr_count:     34
    .sgpr_spill_count: 0
    .symbol:         _ZL37rocblas_syrkx_herkx_restricted_kernelIl19rocblas_complex_numIfELi16ELi32ELi8ELin1ELi0ELb0ELc84ELc85EKS1_S1_EviT_PT9_S3_lS5_S3_lPT10_S3_li.kd
    .uniform_work_group_size: 1
    .uses_dynamic_stack: false
    .vgpr_count:     91
    .vgpr_spill_count: 0
    .wavefront_size: 32
    .workgroup_processor_mode: 1
  - .args:
      - .offset:         0
        .size:           4
        .value_kind:     by_value
      - .offset:         8
        .size:           8
        .value_kind:     by_value
      - .address_space:  global
        .offset:         16
        .size:           8
        .value_kind:     global_buffer
      - .offset:         24
        .size:           8
        .value_kind:     by_value
      - .offset:         32
        .size:           8
        .value_kind:     by_value
      - .address_space:  global
        .offset:         40
        .size:           8
        .value_kind:     global_buffer
      - .offset:         48
        .size:           8
        .value_kind:     by_value
      - .offset:         56
        .size:           8
        .value_kind:     by_value
      - .address_space:  global
        .offset:         64
        .size:           8
        .value_kind:     global_buffer
      - .offset:         72
        .size:           8
        .value_kind:     by_value
      - .offset:         80
        .size:           8
        .value_kind:     by_value
      - .offset:         88
        .size:           4
        .value_kind:     by_value
    .group_segment_fixed_size: 4096
    .kernarg_segment_align: 8
    .kernarg_segment_size: 92
    .language:       OpenCL C
    .language_version:
      - 2
      - 0
    .max_flat_workgroup_size: 256
    .name:           _ZL37rocblas_syrkx_herkx_restricted_kernelIl19rocblas_complex_numIfELi16ELi32ELi8ELin1ELi0ELb0ELc67ELc85EKS1_S1_EviT_PT9_S3_lS5_S3_lPT10_S3_li
    .private_segment_fixed_size: 0
    .sgpr_count:     34
    .sgpr_spill_count: 0
    .symbol:         _ZL37rocblas_syrkx_herkx_restricted_kernelIl19rocblas_complex_numIfELi16ELi32ELi8ELin1ELi0ELb0ELc67ELc85EKS1_S1_EviT_PT9_S3_lS5_S3_lPT10_S3_li.kd
    .uniform_work_group_size: 1
    .uses_dynamic_stack: false
    .vgpr_count:     91
    .vgpr_spill_count: 0
    .wavefront_size: 32
    .workgroup_processor_mode: 1
  - .args:
      - .offset:         0
        .size:           4
        .value_kind:     by_value
      - .offset:         8
        .size:           8
        .value_kind:     by_value
      - .address_space:  global
        .offset:         16
        .size:           8
        .value_kind:     global_buffer
      - .offset:         24
        .size:           8
        .value_kind:     by_value
      - .offset:         32
        .size:           8
        .value_kind:     by_value
      - .address_space:  global
        .offset:         40
        .size:           8
        .value_kind:     global_buffer
      - .offset:         48
        .size:           8
        .value_kind:     by_value
      - .offset:         56
        .size:           8
        .value_kind:     by_value
      - .address_space:  global
        .offset:         64
        .size:           8
        .value_kind:     global_buffer
      - .offset:         72
        .size:           8
        .value_kind:     by_value
      - .offset:         80
        .size:           8
        .value_kind:     by_value
      - .offset:         88
        .size:           4
        .value_kind:     by_value
    .group_segment_fixed_size: 4096
    .kernarg_segment_align: 8
    .kernarg_segment_size: 92
    .language:       OpenCL C
    .language_version:
      - 2
      - 0
    .max_flat_workgroup_size: 256
    .name:           _ZL37rocblas_syrkx_herkx_restricted_kernelIl19rocblas_complex_numIfELi16ELi32ELi8ELin1ELi0ELb0ELc78ELc85EKS1_S1_EviT_PT9_S3_lS5_S3_lPT10_S3_li
    .private_segment_fixed_size: 0
    .sgpr_count:     34
    .sgpr_spill_count: 0
    .symbol:         _ZL37rocblas_syrkx_herkx_restricted_kernelIl19rocblas_complex_numIfELi16ELi32ELi8ELin1ELi0ELb0ELc78ELc85EKS1_S1_EviT_PT9_S3_lS5_S3_lPT10_S3_li.kd
    .uniform_work_group_size: 1
    .uses_dynamic_stack: false
    .vgpr_count:     92
    .vgpr_spill_count: 0
    .wavefront_size: 32
    .workgroup_processor_mode: 1
  - .args:
      - .offset:         0
        .size:           4
        .value_kind:     by_value
      - .offset:         8
        .size:           8
        .value_kind:     by_value
      - .offset:         16
        .size:           8
        .value_kind:     by_value
      - .address_space:  global
        .offset:         24
        .size:           8
        .value_kind:     global_buffer
      - .offset:         32
        .size:           8
        .value_kind:     by_value
      - .offset:         40
        .size:           8
        .value_kind:     by_value
      - .address_space:  global
        .offset:         48
        .size:           8
        .value_kind:     global_buffer
      - .offset:         56
        .size:           8
        .value_kind:     by_value
      - .offset:         64
        .size:           8
        .value_kind:     by_value
      - .offset:         72
        .size:           8
        .value_kind:     by_value
      - .address_space:  global
        .offset:         80
        .size:           8
        .value_kind:     global_buffer
      - .offset:         88
        .size:           8
        .value_kind:     by_value
      - .offset:         96
        .size:           8
        .value_kind:     by_value
      - .offset:         104
        .size:           4
        .value_kind:     by_value
    .group_segment_fixed_size: 4096
    .kernarg_segment_align: 8
    .kernarg_segment_size: 108
    .language:       OpenCL C
    .language_version:
      - 2
      - 0
    .max_flat_workgroup_size: 256
    .name:           _ZL37rocblas_syrkx_herkx_restricted_kernelIl19rocblas_complex_numIfELi16ELi32ELi8ELb1ELb0ELc84ELc76EKS1_S1_EviT_T0_PT8_S3_lS6_S3_lS4_PT9_S3_li
    .private_segment_fixed_size: 0
    .sgpr_count:     34
    .sgpr_spill_count: 0
    .symbol:         _ZL37rocblas_syrkx_herkx_restricted_kernelIl19rocblas_complex_numIfELi16ELi32ELi8ELb1ELb0ELc84ELc76EKS1_S1_EviT_T0_PT8_S3_lS6_S3_lS4_PT9_S3_li.kd
    .uniform_work_group_size: 1
    .uses_dynamic_stack: false
    .vgpr_count:     91
    .vgpr_spill_count: 0
    .wavefront_size: 32
    .workgroup_processor_mode: 1
  - .args:
      - .offset:         0
        .size:           4
        .value_kind:     by_value
      - .offset:         8
        .size:           8
        .value_kind:     by_value
      - .offset:         16
        .size:           8
        .value_kind:     by_value
      - .address_space:  global
        .offset:         24
        .size:           8
        .value_kind:     global_buffer
      - .offset:         32
        .size:           8
        .value_kind:     by_value
      - .offset:         40
        .size:           8
        .value_kind:     by_value
      - .address_space:  global
        .offset:         48
        .size:           8
        .value_kind:     global_buffer
      - .offset:         56
        .size:           8
        .value_kind:     by_value
      - .offset:         64
        .size:           8
        .value_kind:     by_value
      - .offset:         72
        .size:           8
        .value_kind:     by_value
      - .address_space:  global
        .offset:         80
        .size:           8
        .value_kind:     global_buffer
      - .offset:         88
        .size:           8
        .value_kind:     by_value
      - .offset:         96
        .size:           8
        .value_kind:     by_value
      - .offset:         104
        .size:           4
        .value_kind:     by_value
    .group_segment_fixed_size: 4096
    .kernarg_segment_align: 8
    .kernarg_segment_size: 108
    .language:       OpenCL C
    .language_version:
      - 2
      - 0
    .max_flat_workgroup_size: 256
    .name:           _ZL37rocblas_syrkx_herkx_restricted_kernelIl19rocblas_complex_numIfELi16ELi32ELi8ELb1ELb0ELc67ELc76EKS1_S1_EviT_T0_PT8_S3_lS6_S3_lS4_PT9_S3_li
    .private_segment_fixed_size: 0
    .sgpr_count:     34
    .sgpr_spill_count: 0
    .symbol:         _ZL37rocblas_syrkx_herkx_restricted_kernelIl19rocblas_complex_numIfELi16ELi32ELi8ELb1ELb0ELc67ELc76EKS1_S1_EviT_T0_PT8_S3_lS6_S3_lS4_PT9_S3_li.kd
    .uniform_work_group_size: 1
    .uses_dynamic_stack: false
    .vgpr_count:     91
    .vgpr_spill_count: 0
    .wavefront_size: 32
    .workgroup_processor_mode: 1
  - .args:
      - .offset:         0
        .size:           4
        .value_kind:     by_value
      - .offset:         8
        .size:           8
        .value_kind:     by_value
      - .offset:         16
        .size:           8
        .value_kind:     by_value
      - .address_space:  global
        .offset:         24
        .size:           8
        .value_kind:     global_buffer
      - .offset:         32
        .size:           8
        .value_kind:     by_value
      - .offset:         40
        .size:           8
        .value_kind:     by_value
      - .address_space:  global
        .offset:         48
        .size:           8
        .value_kind:     global_buffer
      - .offset:         56
        .size:           8
        .value_kind:     by_value
      - .offset:         64
        .size:           8
        .value_kind:     by_value
      - .offset:         72
        .size:           8
        .value_kind:     by_value
      - .address_space:  global
        .offset:         80
        .size:           8
        .value_kind:     global_buffer
      - .offset:         88
        .size:           8
        .value_kind:     by_value
      - .offset:         96
        .size:           8
        .value_kind:     by_value
      - .offset:         104
        .size:           4
        .value_kind:     by_value
    .group_segment_fixed_size: 4096
    .kernarg_segment_align: 8
    .kernarg_segment_size: 108
    .language:       OpenCL C
    .language_version:
      - 2
      - 0
    .max_flat_workgroup_size: 256
    .name:           _ZL37rocblas_syrkx_herkx_restricted_kernelIl19rocblas_complex_numIfELi16ELi32ELi8ELb1ELb0ELc78ELc76EKS1_S1_EviT_T0_PT8_S3_lS6_S3_lS4_PT9_S3_li
    .private_segment_fixed_size: 0
    .sgpr_count:     34
    .sgpr_spill_count: 0
    .symbol:         _ZL37rocblas_syrkx_herkx_restricted_kernelIl19rocblas_complex_numIfELi16ELi32ELi8ELb1ELb0ELc78ELc76EKS1_S1_EviT_T0_PT8_S3_lS6_S3_lS4_PT9_S3_li.kd
    .uniform_work_group_size: 1
    .uses_dynamic_stack: false
    .vgpr_count:     92
    .vgpr_spill_count: 0
    .wavefront_size: 32
    .workgroup_processor_mode: 1
  - .args:
      - .offset:         0
        .size:           4
        .value_kind:     by_value
      - .offset:         8
        .size:           8
        .value_kind:     by_value
      - .offset:         16
        .size:           8
        .value_kind:     by_value
      - .address_space:  global
        .offset:         24
        .size:           8
        .value_kind:     global_buffer
      - .offset:         32
        .size:           8
        .value_kind:     by_value
      - .offset:         40
        .size:           8
        .value_kind:     by_value
      - .address_space:  global
        .offset:         48
        .size:           8
        .value_kind:     global_buffer
      - .offset:         56
        .size:           8
        .value_kind:     by_value
      - .offset:         64
        .size:           8
        .value_kind:     by_value
      - .offset:         72
        .size:           8
        .value_kind:     by_value
      - .address_space:  global
        .offset:         80
        .size:           8
        .value_kind:     global_buffer
      - .offset:         88
        .size:           8
        .value_kind:     by_value
      - .offset:         96
        .size:           8
        .value_kind:     by_value
      - .offset:         104
        .size:           4
        .value_kind:     by_value
    .group_segment_fixed_size: 4096
    .kernarg_segment_align: 8
    .kernarg_segment_size: 108
    .language:       OpenCL C
    .language_version:
      - 2
      - 0
    .max_flat_workgroup_size: 256
    .name:           _ZL37rocblas_syrkx_herkx_restricted_kernelIl19rocblas_complex_numIfELi16ELi32ELi8ELb1ELb0ELc84ELc85EKS1_S1_EviT_T0_PT8_S3_lS6_S3_lS4_PT9_S3_li
    .private_segment_fixed_size: 0
    .sgpr_count:     34
    .sgpr_spill_count: 0
    .symbol:         _ZL37rocblas_syrkx_herkx_restricted_kernelIl19rocblas_complex_numIfELi16ELi32ELi8ELb1ELb0ELc84ELc85EKS1_S1_EviT_T0_PT8_S3_lS6_S3_lS4_PT9_S3_li.kd
    .uniform_work_group_size: 1
    .uses_dynamic_stack: false
    .vgpr_count:     91
    .vgpr_spill_count: 0
    .wavefront_size: 32
    .workgroup_processor_mode: 1
  - .args:
      - .offset:         0
        .size:           4
        .value_kind:     by_value
      - .offset:         8
        .size:           8
        .value_kind:     by_value
      - .offset:         16
        .size:           8
        .value_kind:     by_value
      - .address_space:  global
        .offset:         24
        .size:           8
        .value_kind:     global_buffer
      - .offset:         32
        .size:           8
        .value_kind:     by_value
      - .offset:         40
        .size:           8
        .value_kind:     by_value
      - .address_space:  global
        .offset:         48
        .size:           8
        .value_kind:     global_buffer
      - .offset:         56
        .size:           8
        .value_kind:     by_value
      - .offset:         64
        .size:           8
        .value_kind:     by_value
      - .offset:         72
        .size:           8
        .value_kind:     by_value
      - .address_space:  global
        .offset:         80
        .size:           8
        .value_kind:     global_buffer
      - .offset:         88
        .size:           8
        .value_kind:     by_value
      - .offset:         96
        .size:           8
        .value_kind:     by_value
      - .offset:         104
        .size:           4
        .value_kind:     by_value
    .group_segment_fixed_size: 4096
    .kernarg_segment_align: 8
    .kernarg_segment_size: 108
    .language:       OpenCL C
    .language_version:
      - 2
      - 0
    .max_flat_workgroup_size: 256
    .name:           _ZL37rocblas_syrkx_herkx_restricted_kernelIl19rocblas_complex_numIfELi16ELi32ELi8ELb1ELb0ELc67ELc85EKS1_S1_EviT_T0_PT8_S3_lS6_S3_lS4_PT9_S3_li
    .private_segment_fixed_size: 0
    .sgpr_count:     34
    .sgpr_spill_count: 0
    .symbol:         _ZL37rocblas_syrkx_herkx_restricted_kernelIl19rocblas_complex_numIfELi16ELi32ELi8ELb1ELb0ELc67ELc85EKS1_S1_EviT_T0_PT8_S3_lS6_S3_lS4_PT9_S3_li.kd
    .uniform_work_group_size: 1
    .uses_dynamic_stack: false
    .vgpr_count:     91
    .vgpr_spill_count: 0
    .wavefront_size: 32
    .workgroup_processor_mode: 1
  - .args:
      - .offset:         0
        .size:           4
        .value_kind:     by_value
      - .offset:         8
        .size:           8
        .value_kind:     by_value
      - .offset:         16
        .size:           8
        .value_kind:     by_value
      - .address_space:  global
        .offset:         24
        .size:           8
        .value_kind:     global_buffer
      - .offset:         32
        .size:           8
        .value_kind:     by_value
      - .offset:         40
        .size:           8
        .value_kind:     by_value
      - .address_space:  global
        .offset:         48
        .size:           8
        .value_kind:     global_buffer
      - .offset:         56
        .size:           8
        .value_kind:     by_value
      - .offset:         64
        .size:           8
        .value_kind:     by_value
      - .offset:         72
        .size:           8
        .value_kind:     by_value
      - .address_space:  global
        .offset:         80
        .size:           8
        .value_kind:     global_buffer
      - .offset:         88
        .size:           8
        .value_kind:     by_value
      - .offset:         96
        .size:           8
        .value_kind:     by_value
      - .offset:         104
        .size:           4
        .value_kind:     by_value
    .group_segment_fixed_size: 4096
    .kernarg_segment_align: 8
    .kernarg_segment_size: 108
    .language:       OpenCL C
    .language_version:
      - 2
      - 0
    .max_flat_workgroup_size: 256
    .name:           _ZL37rocblas_syrkx_herkx_restricted_kernelIl19rocblas_complex_numIfELi16ELi32ELi8ELb1ELb0ELc78ELc85EKS1_S1_EviT_T0_PT8_S3_lS6_S3_lS4_PT9_S3_li
    .private_segment_fixed_size: 0
    .sgpr_count:     34
    .sgpr_spill_count: 0
    .symbol:         _ZL37rocblas_syrkx_herkx_restricted_kernelIl19rocblas_complex_numIfELi16ELi32ELi8ELb1ELb0ELc78ELc85EKS1_S1_EviT_T0_PT8_S3_lS6_S3_lS4_PT9_S3_li.kd
    .uniform_work_group_size: 1
    .uses_dynamic_stack: false
    .vgpr_count:     92
    .vgpr_spill_count: 0
    .wavefront_size: 32
    .workgroup_processor_mode: 1
  - .args:
      - .offset:         0
        .size:           4
        .value_kind:     by_value
      - .offset:         8
        .size:           8
        .value_kind:     by_value
      - .offset:         16
        .size:           8
        .value_kind:     by_value
      - .address_space:  global
        .offset:         24
        .size:           8
        .value_kind:     global_buffer
      - .offset:         32
        .size:           8
        .value_kind:     by_value
      - .offset:         40
        .size:           8
        .value_kind:     by_value
      - .address_space:  global
        .offset:         48
        .size:           8
        .value_kind:     global_buffer
      - .offset:         56
        .size:           8
        .value_kind:     by_value
      - .offset:         64
        .size:           8
        .value_kind:     by_value
      - .offset:         72
        .size:           8
        .value_kind:     by_value
      - .address_space:  global
        .offset:         80
        .size:           8
        .value_kind:     global_buffer
      - .offset:         88
        .size:           8
        .value_kind:     by_value
      - .offset:         96
        .size:           8
        .value_kind:     by_value
      - .offset:         104
        .size:           4
        .value_kind:     by_value
    .group_segment_fixed_size: 4096
    .kernarg_segment_align: 8
    .kernarg_segment_size: 108
    .language:       OpenCL C
    .language_version:
      - 2
      - 0
    .max_flat_workgroup_size: 256
    .name:           _ZL37rocblas_syrkx_herkx_restricted_kernelIl19rocblas_complex_numIfELi16ELi32ELi8ELb0ELb0ELc84ELc76EKS1_S1_EviT_T0_PT8_S3_lS6_S3_lS4_PT9_S3_li
    .private_segment_fixed_size: 0
    .sgpr_count:     34
    .sgpr_spill_count: 0
    .symbol:         _ZL37rocblas_syrkx_herkx_restricted_kernelIl19rocblas_complex_numIfELi16ELi32ELi8ELb0ELb0ELc84ELc76EKS1_S1_EviT_T0_PT8_S3_lS6_S3_lS4_PT9_S3_li.kd
    .uniform_work_group_size: 1
    .uses_dynamic_stack: false
    .vgpr_count:     91
    .vgpr_spill_count: 0
    .wavefront_size: 32
    .workgroup_processor_mode: 1
  - .args:
      - .offset:         0
        .size:           4
        .value_kind:     by_value
      - .offset:         8
        .size:           8
        .value_kind:     by_value
      - .offset:         16
        .size:           8
        .value_kind:     by_value
      - .address_space:  global
        .offset:         24
        .size:           8
        .value_kind:     global_buffer
      - .offset:         32
        .size:           8
        .value_kind:     by_value
      - .offset:         40
        .size:           8
        .value_kind:     by_value
      - .address_space:  global
        .offset:         48
        .size:           8
        .value_kind:     global_buffer
      - .offset:         56
        .size:           8
        .value_kind:     by_value
      - .offset:         64
        .size:           8
        .value_kind:     by_value
      - .offset:         72
        .size:           8
        .value_kind:     by_value
      - .address_space:  global
        .offset:         80
        .size:           8
        .value_kind:     global_buffer
      - .offset:         88
        .size:           8
        .value_kind:     by_value
      - .offset:         96
        .size:           8
        .value_kind:     by_value
      - .offset:         104
        .size:           4
        .value_kind:     by_value
    .group_segment_fixed_size: 4096
    .kernarg_segment_align: 8
    .kernarg_segment_size: 108
    .language:       OpenCL C
    .language_version:
      - 2
      - 0
    .max_flat_workgroup_size: 256
    .name:           _ZL37rocblas_syrkx_herkx_restricted_kernelIl19rocblas_complex_numIfELi16ELi32ELi8ELb0ELb0ELc67ELc76EKS1_S1_EviT_T0_PT8_S3_lS6_S3_lS4_PT9_S3_li
    .private_segment_fixed_size: 0
    .sgpr_count:     34
    .sgpr_spill_count: 0
    .symbol:         _ZL37rocblas_syrkx_herkx_restricted_kernelIl19rocblas_complex_numIfELi16ELi32ELi8ELb0ELb0ELc67ELc76EKS1_S1_EviT_T0_PT8_S3_lS6_S3_lS4_PT9_S3_li.kd
    .uniform_work_group_size: 1
    .uses_dynamic_stack: false
    .vgpr_count:     91
    .vgpr_spill_count: 0
    .wavefront_size: 32
    .workgroup_processor_mode: 1
  - .args:
      - .offset:         0
        .size:           4
        .value_kind:     by_value
      - .offset:         8
        .size:           8
        .value_kind:     by_value
      - .offset:         16
        .size:           8
        .value_kind:     by_value
      - .address_space:  global
        .offset:         24
        .size:           8
        .value_kind:     global_buffer
      - .offset:         32
        .size:           8
        .value_kind:     by_value
      - .offset:         40
        .size:           8
        .value_kind:     by_value
      - .address_space:  global
        .offset:         48
        .size:           8
        .value_kind:     global_buffer
      - .offset:         56
        .size:           8
        .value_kind:     by_value
      - .offset:         64
        .size:           8
        .value_kind:     by_value
      - .offset:         72
        .size:           8
        .value_kind:     by_value
      - .address_space:  global
        .offset:         80
        .size:           8
        .value_kind:     global_buffer
      - .offset:         88
        .size:           8
        .value_kind:     by_value
      - .offset:         96
        .size:           8
        .value_kind:     by_value
      - .offset:         104
        .size:           4
        .value_kind:     by_value
    .group_segment_fixed_size: 4096
    .kernarg_segment_align: 8
    .kernarg_segment_size: 108
    .language:       OpenCL C
    .language_version:
      - 2
      - 0
    .max_flat_workgroup_size: 256
    .name:           _ZL37rocblas_syrkx_herkx_restricted_kernelIl19rocblas_complex_numIfELi16ELi32ELi8ELb0ELb0ELc78ELc76EKS1_S1_EviT_T0_PT8_S3_lS6_S3_lS4_PT9_S3_li
    .private_segment_fixed_size: 0
    .sgpr_count:     34
    .sgpr_spill_count: 0
    .symbol:         _ZL37rocblas_syrkx_herkx_restricted_kernelIl19rocblas_complex_numIfELi16ELi32ELi8ELb0ELb0ELc78ELc76EKS1_S1_EviT_T0_PT8_S3_lS6_S3_lS4_PT9_S3_li.kd
    .uniform_work_group_size: 1
    .uses_dynamic_stack: false
    .vgpr_count:     92
    .vgpr_spill_count: 0
    .wavefront_size: 32
    .workgroup_processor_mode: 1
  - .args:
      - .offset:         0
        .size:           4
        .value_kind:     by_value
      - .offset:         8
        .size:           8
        .value_kind:     by_value
      - .offset:         16
        .size:           8
        .value_kind:     by_value
      - .address_space:  global
        .offset:         24
        .size:           8
        .value_kind:     global_buffer
      - .offset:         32
        .size:           8
        .value_kind:     by_value
      - .offset:         40
        .size:           8
        .value_kind:     by_value
      - .address_space:  global
        .offset:         48
        .size:           8
        .value_kind:     global_buffer
      - .offset:         56
        .size:           8
        .value_kind:     by_value
      - .offset:         64
        .size:           8
        .value_kind:     by_value
      - .offset:         72
        .size:           8
        .value_kind:     by_value
      - .address_space:  global
        .offset:         80
        .size:           8
        .value_kind:     global_buffer
      - .offset:         88
        .size:           8
        .value_kind:     by_value
      - .offset:         96
        .size:           8
        .value_kind:     by_value
      - .offset:         104
        .size:           4
        .value_kind:     by_value
    .group_segment_fixed_size: 4096
    .kernarg_segment_align: 8
    .kernarg_segment_size: 108
    .language:       OpenCL C
    .language_version:
      - 2
      - 0
    .max_flat_workgroup_size: 256
    .name:           _ZL37rocblas_syrkx_herkx_restricted_kernelIl19rocblas_complex_numIfELi16ELi32ELi8ELb0ELb0ELc84ELc85EKS1_S1_EviT_T0_PT8_S3_lS6_S3_lS4_PT9_S3_li
    .private_segment_fixed_size: 0
    .sgpr_count:     34
    .sgpr_spill_count: 0
    .symbol:         _ZL37rocblas_syrkx_herkx_restricted_kernelIl19rocblas_complex_numIfELi16ELi32ELi8ELb0ELb0ELc84ELc85EKS1_S1_EviT_T0_PT8_S3_lS6_S3_lS4_PT9_S3_li.kd
    .uniform_work_group_size: 1
    .uses_dynamic_stack: false
    .vgpr_count:     91
    .vgpr_spill_count: 0
    .wavefront_size: 32
    .workgroup_processor_mode: 1
  - .args:
      - .offset:         0
        .size:           4
        .value_kind:     by_value
      - .offset:         8
        .size:           8
        .value_kind:     by_value
      - .offset:         16
        .size:           8
        .value_kind:     by_value
      - .address_space:  global
        .offset:         24
        .size:           8
        .value_kind:     global_buffer
      - .offset:         32
        .size:           8
        .value_kind:     by_value
      - .offset:         40
        .size:           8
        .value_kind:     by_value
      - .address_space:  global
        .offset:         48
        .size:           8
        .value_kind:     global_buffer
      - .offset:         56
        .size:           8
        .value_kind:     by_value
      - .offset:         64
        .size:           8
        .value_kind:     by_value
      - .offset:         72
        .size:           8
        .value_kind:     by_value
      - .address_space:  global
        .offset:         80
        .size:           8
        .value_kind:     global_buffer
      - .offset:         88
        .size:           8
        .value_kind:     by_value
      - .offset:         96
        .size:           8
        .value_kind:     by_value
      - .offset:         104
        .size:           4
        .value_kind:     by_value
    .group_segment_fixed_size: 4096
    .kernarg_segment_align: 8
    .kernarg_segment_size: 108
    .language:       OpenCL C
    .language_version:
      - 2
      - 0
    .max_flat_workgroup_size: 256
    .name:           _ZL37rocblas_syrkx_herkx_restricted_kernelIl19rocblas_complex_numIfELi16ELi32ELi8ELb0ELb0ELc67ELc85EKS1_S1_EviT_T0_PT8_S3_lS6_S3_lS4_PT9_S3_li
    .private_segment_fixed_size: 0
    .sgpr_count:     34
    .sgpr_spill_count: 0
    .symbol:         _ZL37rocblas_syrkx_herkx_restricted_kernelIl19rocblas_complex_numIfELi16ELi32ELi8ELb0ELb0ELc67ELc85EKS1_S1_EviT_T0_PT8_S3_lS6_S3_lS4_PT9_S3_li.kd
    .uniform_work_group_size: 1
    .uses_dynamic_stack: false
    .vgpr_count:     91
    .vgpr_spill_count: 0
    .wavefront_size: 32
    .workgroup_processor_mode: 1
  - .args:
      - .offset:         0
        .size:           4
        .value_kind:     by_value
      - .offset:         8
        .size:           8
        .value_kind:     by_value
      - .offset:         16
        .size:           8
        .value_kind:     by_value
      - .address_space:  global
        .offset:         24
        .size:           8
        .value_kind:     global_buffer
      - .offset:         32
        .size:           8
        .value_kind:     by_value
      - .offset:         40
        .size:           8
        .value_kind:     by_value
      - .address_space:  global
        .offset:         48
        .size:           8
        .value_kind:     global_buffer
      - .offset:         56
        .size:           8
        .value_kind:     by_value
      - .offset:         64
        .size:           8
        .value_kind:     by_value
      - .offset:         72
        .size:           8
        .value_kind:     by_value
      - .address_space:  global
        .offset:         80
        .size:           8
        .value_kind:     global_buffer
      - .offset:         88
        .size:           8
        .value_kind:     by_value
      - .offset:         96
        .size:           8
        .value_kind:     by_value
      - .offset:         104
        .size:           4
        .value_kind:     by_value
    .group_segment_fixed_size: 4096
    .kernarg_segment_align: 8
    .kernarg_segment_size: 108
    .language:       OpenCL C
    .language_version:
      - 2
      - 0
    .max_flat_workgroup_size: 256
    .name:           _ZL37rocblas_syrkx_herkx_restricted_kernelIl19rocblas_complex_numIfELi16ELi32ELi8ELb0ELb0ELc78ELc85EKS1_S1_EviT_T0_PT8_S3_lS6_S3_lS4_PT9_S3_li
    .private_segment_fixed_size: 0
    .sgpr_count:     34
    .sgpr_spill_count: 0
    .symbol:         _ZL37rocblas_syrkx_herkx_restricted_kernelIl19rocblas_complex_numIfELi16ELi32ELi8ELb0ELb0ELc78ELc85EKS1_S1_EviT_T0_PT8_S3_lS6_S3_lS4_PT9_S3_li.kd
    .uniform_work_group_size: 1
    .uses_dynamic_stack: false
    .vgpr_count:     92
    .vgpr_spill_count: 0
    .wavefront_size: 32
    .workgroup_processor_mode: 1
  - .args:
      - .offset:         0
        .size:           4
        .value_kind:     by_value
      - .offset:         8
        .size:           8
        .value_kind:     by_value
      - .offset:         16
        .size:           8
        .value_kind:     by_value
      - .address_space:  global
        .offset:         24
        .size:           8
        .value_kind:     global_buffer
      - .offset:         32
        .size:           8
        .value_kind:     by_value
      - .offset:         40
        .size:           8
        .value_kind:     by_value
      - .address_space:  global
        .offset:         48
        .size:           8
        .value_kind:     global_buffer
      - .offset:         56
        .size:           8
        .value_kind:     by_value
      - .offset:         64
        .size:           8
        .value_kind:     by_value
      - .offset:         72
        .size:           8
        .value_kind:     by_value
      - .address_space:  global
        .offset:         80
        .size:           8
        .value_kind:     global_buffer
      - .offset:         88
        .size:           8
        .value_kind:     by_value
      - .offset:         96
        .size:           8
        .value_kind:     by_value
      - .offset:         104
        .size:           4
        .value_kind:     by_value
    .group_segment_fixed_size: 4096
    .kernarg_segment_align: 8
    .kernarg_segment_size: 108
    .language:       OpenCL C
    .language_version:
      - 2
      - 0
    .max_flat_workgroup_size: 256
    .name:           _ZL41rocblas_syrkx_herkx_small_restrict_kernelIl19rocblas_complex_numIfELi16ELb1ELb0ELc84ELc76EKS1_S1_EviT_T0_PT6_S3_lS6_S3_lS4_PT7_S3_li
    .private_segment_fixed_size: 0
    .sgpr_count:     34
    .sgpr_spill_count: 0
    .symbol:         _ZL41rocblas_syrkx_herkx_small_restrict_kernelIl19rocblas_complex_numIfELi16ELb1ELb0ELc84ELc76EKS1_S1_EviT_T0_PT6_S3_lS6_S3_lS4_PT7_S3_li.kd
    .uniform_work_group_size: 1
    .uses_dynamic_stack: false
    .vgpr_count:     87
    .vgpr_spill_count: 0
    .wavefront_size: 32
    .workgroup_processor_mode: 1
  - .args:
      - .offset:         0
        .size:           4
        .value_kind:     by_value
      - .offset:         8
        .size:           8
        .value_kind:     by_value
      - .offset:         16
        .size:           8
        .value_kind:     by_value
      - .address_space:  global
        .offset:         24
        .size:           8
        .value_kind:     global_buffer
      - .offset:         32
        .size:           8
        .value_kind:     by_value
      - .offset:         40
        .size:           8
        .value_kind:     by_value
      - .address_space:  global
        .offset:         48
        .size:           8
        .value_kind:     global_buffer
      - .offset:         56
        .size:           8
        .value_kind:     by_value
      - .offset:         64
        .size:           8
        .value_kind:     by_value
      - .offset:         72
        .size:           8
        .value_kind:     by_value
      - .address_space:  global
        .offset:         80
        .size:           8
        .value_kind:     global_buffer
      - .offset:         88
        .size:           8
        .value_kind:     by_value
      - .offset:         96
        .size:           8
        .value_kind:     by_value
      - .offset:         104
        .size:           4
        .value_kind:     by_value
    .group_segment_fixed_size: 4096
    .kernarg_segment_align: 8
    .kernarg_segment_size: 108
    .language:       OpenCL C
    .language_version:
      - 2
      - 0
    .max_flat_workgroup_size: 256
    .name:           _ZL41rocblas_syrkx_herkx_small_restrict_kernelIl19rocblas_complex_numIfELi16ELb1ELb0ELc67ELc76EKS1_S1_EviT_T0_PT6_S3_lS6_S3_lS4_PT7_S3_li
    .private_segment_fixed_size: 0
    .sgpr_count:     34
    .sgpr_spill_count: 0
    .symbol:         _ZL41rocblas_syrkx_herkx_small_restrict_kernelIl19rocblas_complex_numIfELi16ELb1ELb0ELc67ELc76EKS1_S1_EviT_T0_PT6_S3_lS6_S3_lS4_PT7_S3_li.kd
    .uniform_work_group_size: 1
    .uses_dynamic_stack: false
    .vgpr_count:     87
    .vgpr_spill_count: 0
    .wavefront_size: 32
    .workgroup_processor_mode: 1
  - .args:
      - .offset:         0
        .size:           4
        .value_kind:     by_value
      - .offset:         8
        .size:           8
        .value_kind:     by_value
      - .offset:         16
        .size:           8
        .value_kind:     by_value
      - .address_space:  global
        .offset:         24
        .size:           8
        .value_kind:     global_buffer
      - .offset:         32
        .size:           8
        .value_kind:     by_value
      - .offset:         40
        .size:           8
        .value_kind:     by_value
      - .address_space:  global
        .offset:         48
        .size:           8
        .value_kind:     global_buffer
      - .offset:         56
        .size:           8
        .value_kind:     by_value
      - .offset:         64
        .size:           8
        .value_kind:     by_value
      - .offset:         72
        .size:           8
        .value_kind:     by_value
      - .address_space:  global
        .offset:         80
        .size:           8
        .value_kind:     global_buffer
      - .offset:         88
        .size:           8
        .value_kind:     by_value
      - .offset:         96
        .size:           8
        .value_kind:     by_value
      - .offset:         104
        .size:           4
        .value_kind:     by_value
    .group_segment_fixed_size: 4096
    .kernarg_segment_align: 8
    .kernarg_segment_size: 108
    .language:       OpenCL C
    .language_version:
      - 2
      - 0
    .max_flat_workgroup_size: 256
    .name:           _ZL41rocblas_syrkx_herkx_small_restrict_kernelIl19rocblas_complex_numIfELi16ELb1ELb0ELc78ELc76EKS1_S1_EviT_T0_PT6_S3_lS6_S3_lS4_PT7_S3_li
    .private_segment_fixed_size: 0
    .sgpr_count:     34
    .sgpr_spill_count: 0
    .symbol:         _ZL41rocblas_syrkx_herkx_small_restrict_kernelIl19rocblas_complex_numIfELi16ELb1ELb0ELc78ELc76EKS1_S1_EviT_T0_PT6_S3_lS6_S3_lS4_PT7_S3_li.kd
    .uniform_work_group_size: 1
    .uses_dynamic_stack: false
    .vgpr_count:     87
    .vgpr_spill_count: 0
    .wavefront_size: 32
    .workgroup_processor_mode: 1
  - .args:
      - .offset:         0
        .size:           4
        .value_kind:     by_value
      - .offset:         8
        .size:           8
        .value_kind:     by_value
      - .offset:         16
        .size:           8
        .value_kind:     by_value
      - .address_space:  global
        .offset:         24
        .size:           8
        .value_kind:     global_buffer
      - .offset:         32
        .size:           8
        .value_kind:     by_value
      - .offset:         40
        .size:           8
        .value_kind:     by_value
      - .address_space:  global
        .offset:         48
        .size:           8
        .value_kind:     global_buffer
      - .offset:         56
        .size:           8
        .value_kind:     by_value
      - .offset:         64
        .size:           8
        .value_kind:     by_value
      - .offset:         72
        .size:           8
        .value_kind:     by_value
      - .address_space:  global
        .offset:         80
        .size:           8
        .value_kind:     global_buffer
      - .offset:         88
        .size:           8
        .value_kind:     by_value
      - .offset:         96
        .size:           8
        .value_kind:     by_value
      - .offset:         104
        .size:           4
        .value_kind:     by_value
    .group_segment_fixed_size: 4096
    .kernarg_segment_align: 8
    .kernarg_segment_size: 108
    .language:       OpenCL C
    .language_version:
      - 2
      - 0
    .max_flat_workgroup_size: 256
    .name:           _ZL41rocblas_syrkx_herkx_small_restrict_kernelIl19rocblas_complex_numIfELi16ELb1ELb0ELc84ELc85EKS1_S1_EviT_T0_PT6_S3_lS6_S3_lS4_PT7_S3_li
    .private_segment_fixed_size: 0
    .sgpr_count:     34
    .sgpr_spill_count: 0
    .symbol:         _ZL41rocblas_syrkx_herkx_small_restrict_kernelIl19rocblas_complex_numIfELi16ELb1ELb0ELc84ELc85EKS1_S1_EviT_T0_PT6_S3_lS6_S3_lS4_PT7_S3_li.kd
    .uniform_work_group_size: 1
    .uses_dynamic_stack: false
    .vgpr_count:     87
    .vgpr_spill_count: 0
    .wavefront_size: 32
    .workgroup_processor_mode: 1
  - .args:
      - .offset:         0
        .size:           4
        .value_kind:     by_value
      - .offset:         8
        .size:           8
        .value_kind:     by_value
      - .offset:         16
        .size:           8
        .value_kind:     by_value
      - .address_space:  global
        .offset:         24
        .size:           8
        .value_kind:     global_buffer
      - .offset:         32
        .size:           8
        .value_kind:     by_value
      - .offset:         40
        .size:           8
        .value_kind:     by_value
      - .address_space:  global
        .offset:         48
        .size:           8
        .value_kind:     global_buffer
      - .offset:         56
        .size:           8
        .value_kind:     by_value
      - .offset:         64
        .size:           8
        .value_kind:     by_value
      - .offset:         72
        .size:           8
        .value_kind:     by_value
      - .address_space:  global
        .offset:         80
        .size:           8
        .value_kind:     global_buffer
      - .offset:         88
        .size:           8
        .value_kind:     by_value
      - .offset:         96
        .size:           8
        .value_kind:     by_value
      - .offset:         104
        .size:           4
        .value_kind:     by_value
    .group_segment_fixed_size: 4096
    .kernarg_segment_align: 8
    .kernarg_segment_size: 108
    .language:       OpenCL C
    .language_version:
      - 2
      - 0
    .max_flat_workgroup_size: 256
    .name:           _ZL41rocblas_syrkx_herkx_small_restrict_kernelIl19rocblas_complex_numIfELi16ELb1ELb0ELc67ELc85EKS1_S1_EviT_T0_PT6_S3_lS6_S3_lS4_PT7_S3_li
    .private_segment_fixed_size: 0
    .sgpr_count:     34
    .sgpr_spill_count: 0
    .symbol:         _ZL41rocblas_syrkx_herkx_small_restrict_kernelIl19rocblas_complex_numIfELi16ELb1ELb0ELc67ELc85EKS1_S1_EviT_T0_PT6_S3_lS6_S3_lS4_PT7_S3_li.kd
    .uniform_work_group_size: 1
    .uses_dynamic_stack: false
    .vgpr_count:     87
    .vgpr_spill_count: 0
    .wavefront_size: 32
    .workgroup_processor_mode: 1
  - .args:
      - .offset:         0
        .size:           4
        .value_kind:     by_value
      - .offset:         8
        .size:           8
        .value_kind:     by_value
      - .offset:         16
        .size:           8
        .value_kind:     by_value
      - .address_space:  global
        .offset:         24
        .size:           8
        .value_kind:     global_buffer
      - .offset:         32
        .size:           8
        .value_kind:     by_value
      - .offset:         40
        .size:           8
        .value_kind:     by_value
      - .address_space:  global
        .offset:         48
        .size:           8
        .value_kind:     global_buffer
      - .offset:         56
        .size:           8
        .value_kind:     by_value
      - .offset:         64
        .size:           8
        .value_kind:     by_value
      - .offset:         72
        .size:           8
        .value_kind:     by_value
      - .address_space:  global
        .offset:         80
        .size:           8
        .value_kind:     global_buffer
      - .offset:         88
        .size:           8
        .value_kind:     by_value
      - .offset:         96
        .size:           8
        .value_kind:     by_value
      - .offset:         104
        .size:           4
        .value_kind:     by_value
    .group_segment_fixed_size: 4096
    .kernarg_segment_align: 8
    .kernarg_segment_size: 108
    .language:       OpenCL C
    .language_version:
      - 2
      - 0
    .max_flat_workgroup_size: 256
    .name:           _ZL41rocblas_syrkx_herkx_small_restrict_kernelIl19rocblas_complex_numIfELi16ELb1ELb0ELc78ELc85EKS1_S1_EviT_T0_PT6_S3_lS6_S3_lS4_PT7_S3_li
    .private_segment_fixed_size: 0
    .sgpr_count:     34
    .sgpr_spill_count: 0
    .symbol:         _ZL41rocblas_syrkx_herkx_small_restrict_kernelIl19rocblas_complex_numIfELi16ELb1ELb0ELc78ELc85EKS1_S1_EviT_T0_PT6_S3_lS6_S3_lS4_PT7_S3_li.kd
    .uniform_work_group_size: 1
    .uses_dynamic_stack: false
    .vgpr_count:     87
    .vgpr_spill_count: 0
    .wavefront_size: 32
    .workgroup_processor_mode: 1
  - .args:
      - .offset:         0
        .size:           4
        .value_kind:     by_value
      - .offset:         8
        .size:           8
        .value_kind:     by_value
      - .offset:         16
        .size:           8
        .value_kind:     by_value
      - .address_space:  global
        .offset:         24
        .size:           8
        .value_kind:     global_buffer
      - .offset:         32
        .size:           8
        .value_kind:     by_value
      - .offset:         40
        .size:           8
        .value_kind:     by_value
      - .address_space:  global
        .offset:         48
        .size:           8
        .value_kind:     global_buffer
      - .offset:         56
        .size:           8
        .value_kind:     by_value
      - .offset:         64
        .size:           8
        .value_kind:     by_value
      - .offset:         72
        .size:           8
        .value_kind:     by_value
      - .address_space:  global
        .offset:         80
        .size:           8
        .value_kind:     global_buffer
      - .offset:         88
        .size:           8
        .value_kind:     by_value
      - .offset:         96
        .size:           8
        .value_kind:     by_value
      - .offset:         104
        .size:           4
        .value_kind:     by_value
    .group_segment_fixed_size: 4096
    .kernarg_segment_align: 8
    .kernarg_segment_size: 108
    .language:       OpenCL C
    .language_version:
      - 2
      - 0
    .max_flat_workgroup_size: 256
    .name:           _ZL41rocblas_syrkx_herkx_small_restrict_kernelIl19rocblas_complex_numIfELi16ELb0ELb0ELc84ELc76EKS1_S1_EviT_T0_PT6_S3_lS6_S3_lS4_PT7_S3_li
    .private_segment_fixed_size: 0
    .sgpr_count:     34
    .sgpr_spill_count: 0
    .symbol:         _ZL41rocblas_syrkx_herkx_small_restrict_kernelIl19rocblas_complex_numIfELi16ELb0ELb0ELc84ELc76EKS1_S1_EviT_T0_PT6_S3_lS6_S3_lS4_PT7_S3_li.kd
    .uniform_work_group_size: 1
    .uses_dynamic_stack: false
    .vgpr_count:     87
    .vgpr_spill_count: 0
    .wavefront_size: 32
    .workgroup_processor_mode: 1
  - .args:
      - .offset:         0
        .size:           4
        .value_kind:     by_value
      - .offset:         8
        .size:           8
        .value_kind:     by_value
      - .offset:         16
        .size:           8
        .value_kind:     by_value
      - .address_space:  global
        .offset:         24
        .size:           8
        .value_kind:     global_buffer
      - .offset:         32
        .size:           8
        .value_kind:     by_value
      - .offset:         40
        .size:           8
        .value_kind:     by_value
      - .address_space:  global
        .offset:         48
        .size:           8
        .value_kind:     global_buffer
      - .offset:         56
        .size:           8
        .value_kind:     by_value
      - .offset:         64
        .size:           8
        .value_kind:     by_value
      - .offset:         72
        .size:           8
        .value_kind:     by_value
      - .address_space:  global
        .offset:         80
        .size:           8
        .value_kind:     global_buffer
      - .offset:         88
        .size:           8
        .value_kind:     by_value
      - .offset:         96
        .size:           8
        .value_kind:     by_value
      - .offset:         104
        .size:           4
        .value_kind:     by_value
    .group_segment_fixed_size: 4096
    .kernarg_segment_align: 8
    .kernarg_segment_size: 108
    .language:       OpenCL C
    .language_version:
      - 2
      - 0
    .max_flat_workgroup_size: 256
    .name:           _ZL41rocblas_syrkx_herkx_small_restrict_kernelIl19rocblas_complex_numIfELi16ELb0ELb0ELc67ELc76EKS1_S1_EviT_T0_PT6_S3_lS6_S3_lS4_PT7_S3_li
    .private_segment_fixed_size: 0
    .sgpr_count:     34
    .sgpr_spill_count: 0
    .symbol:         _ZL41rocblas_syrkx_herkx_small_restrict_kernelIl19rocblas_complex_numIfELi16ELb0ELb0ELc67ELc76EKS1_S1_EviT_T0_PT6_S3_lS6_S3_lS4_PT7_S3_li.kd
    .uniform_work_group_size: 1
    .uses_dynamic_stack: false
    .vgpr_count:     87
    .vgpr_spill_count: 0
    .wavefront_size: 32
    .workgroup_processor_mode: 1
  - .args:
      - .offset:         0
        .size:           4
        .value_kind:     by_value
      - .offset:         8
        .size:           8
        .value_kind:     by_value
      - .offset:         16
        .size:           8
        .value_kind:     by_value
      - .address_space:  global
        .offset:         24
        .size:           8
        .value_kind:     global_buffer
      - .offset:         32
        .size:           8
        .value_kind:     by_value
      - .offset:         40
        .size:           8
        .value_kind:     by_value
      - .address_space:  global
        .offset:         48
        .size:           8
        .value_kind:     global_buffer
      - .offset:         56
        .size:           8
        .value_kind:     by_value
      - .offset:         64
        .size:           8
        .value_kind:     by_value
      - .offset:         72
        .size:           8
        .value_kind:     by_value
      - .address_space:  global
        .offset:         80
        .size:           8
        .value_kind:     global_buffer
      - .offset:         88
        .size:           8
        .value_kind:     by_value
      - .offset:         96
        .size:           8
        .value_kind:     by_value
      - .offset:         104
        .size:           4
        .value_kind:     by_value
    .group_segment_fixed_size: 4096
    .kernarg_segment_align: 8
    .kernarg_segment_size: 108
    .language:       OpenCL C
    .language_version:
      - 2
      - 0
    .max_flat_workgroup_size: 256
    .name:           _ZL41rocblas_syrkx_herkx_small_restrict_kernelIl19rocblas_complex_numIfELi16ELb0ELb0ELc78ELc76EKS1_S1_EviT_T0_PT6_S3_lS6_S3_lS4_PT7_S3_li
    .private_segment_fixed_size: 0
    .sgpr_count:     34
    .sgpr_spill_count: 0
    .symbol:         _ZL41rocblas_syrkx_herkx_small_restrict_kernelIl19rocblas_complex_numIfELi16ELb0ELb0ELc78ELc76EKS1_S1_EviT_T0_PT6_S3_lS6_S3_lS4_PT7_S3_li.kd
    .uniform_work_group_size: 1
    .uses_dynamic_stack: false
    .vgpr_count:     87
    .vgpr_spill_count: 0
    .wavefront_size: 32
    .workgroup_processor_mode: 1
  - .args:
      - .offset:         0
        .size:           4
        .value_kind:     by_value
      - .offset:         8
        .size:           8
        .value_kind:     by_value
      - .offset:         16
        .size:           8
        .value_kind:     by_value
      - .address_space:  global
        .offset:         24
        .size:           8
        .value_kind:     global_buffer
      - .offset:         32
        .size:           8
        .value_kind:     by_value
      - .offset:         40
        .size:           8
        .value_kind:     by_value
      - .address_space:  global
        .offset:         48
        .size:           8
        .value_kind:     global_buffer
      - .offset:         56
        .size:           8
        .value_kind:     by_value
      - .offset:         64
        .size:           8
        .value_kind:     by_value
      - .offset:         72
        .size:           8
        .value_kind:     by_value
      - .address_space:  global
        .offset:         80
        .size:           8
        .value_kind:     global_buffer
      - .offset:         88
        .size:           8
        .value_kind:     by_value
      - .offset:         96
        .size:           8
        .value_kind:     by_value
      - .offset:         104
        .size:           4
        .value_kind:     by_value
    .group_segment_fixed_size: 4096
    .kernarg_segment_align: 8
    .kernarg_segment_size: 108
    .language:       OpenCL C
    .language_version:
      - 2
      - 0
    .max_flat_workgroup_size: 256
    .name:           _ZL41rocblas_syrkx_herkx_small_restrict_kernelIl19rocblas_complex_numIfELi16ELb0ELb0ELc84ELc85EKS1_S1_EviT_T0_PT6_S3_lS6_S3_lS4_PT7_S3_li
    .private_segment_fixed_size: 0
    .sgpr_count:     34
    .sgpr_spill_count: 0
    .symbol:         _ZL41rocblas_syrkx_herkx_small_restrict_kernelIl19rocblas_complex_numIfELi16ELb0ELb0ELc84ELc85EKS1_S1_EviT_T0_PT6_S3_lS6_S3_lS4_PT7_S3_li.kd
    .uniform_work_group_size: 1
    .uses_dynamic_stack: false
    .vgpr_count:     87
    .vgpr_spill_count: 0
    .wavefront_size: 32
    .workgroup_processor_mode: 1
  - .args:
      - .offset:         0
        .size:           4
        .value_kind:     by_value
      - .offset:         8
        .size:           8
        .value_kind:     by_value
      - .offset:         16
        .size:           8
        .value_kind:     by_value
      - .address_space:  global
        .offset:         24
        .size:           8
        .value_kind:     global_buffer
      - .offset:         32
        .size:           8
        .value_kind:     by_value
      - .offset:         40
        .size:           8
        .value_kind:     by_value
      - .address_space:  global
        .offset:         48
        .size:           8
        .value_kind:     global_buffer
      - .offset:         56
        .size:           8
        .value_kind:     by_value
      - .offset:         64
        .size:           8
        .value_kind:     by_value
      - .offset:         72
        .size:           8
        .value_kind:     by_value
      - .address_space:  global
        .offset:         80
        .size:           8
        .value_kind:     global_buffer
      - .offset:         88
        .size:           8
        .value_kind:     by_value
      - .offset:         96
        .size:           8
        .value_kind:     by_value
      - .offset:         104
        .size:           4
        .value_kind:     by_value
    .group_segment_fixed_size: 4096
    .kernarg_segment_align: 8
    .kernarg_segment_size: 108
    .language:       OpenCL C
    .language_version:
      - 2
      - 0
    .max_flat_workgroup_size: 256
    .name:           _ZL41rocblas_syrkx_herkx_small_restrict_kernelIl19rocblas_complex_numIfELi16ELb0ELb0ELc67ELc85EKS1_S1_EviT_T0_PT6_S3_lS6_S3_lS4_PT7_S3_li
    .private_segment_fixed_size: 0
    .sgpr_count:     34
    .sgpr_spill_count: 0
    .symbol:         _ZL41rocblas_syrkx_herkx_small_restrict_kernelIl19rocblas_complex_numIfELi16ELb0ELb0ELc67ELc85EKS1_S1_EviT_T0_PT6_S3_lS6_S3_lS4_PT7_S3_li.kd
    .uniform_work_group_size: 1
    .uses_dynamic_stack: false
    .vgpr_count:     87
    .vgpr_spill_count: 0
    .wavefront_size: 32
    .workgroup_processor_mode: 1
  - .args:
      - .offset:         0
        .size:           4
        .value_kind:     by_value
      - .offset:         8
        .size:           8
        .value_kind:     by_value
      - .offset:         16
        .size:           8
        .value_kind:     by_value
      - .address_space:  global
        .offset:         24
        .size:           8
        .value_kind:     global_buffer
      - .offset:         32
        .size:           8
        .value_kind:     by_value
      - .offset:         40
        .size:           8
        .value_kind:     by_value
      - .address_space:  global
        .offset:         48
        .size:           8
        .value_kind:     global_buffer
      - .offset:         56
        .size:           8
        .value_kind:     by_value
      - .offset:         64
        .size:           8
        .value_kind:     by_value
      - .offset:         72
        .size:           8
        .value_kind:     by_value
      - .address_space:  global
        .offset:         80
        .size:           8
        .value_kind:     global_buffer
      - .offset:         88
        .size:           8
        .value_kind:     by_value
      - .offset:         96
        .size:           8
        .value_kind:     by_value
      - .offset:         104
        .size:           4
        .value_kind:     by_value
    .group_segment_fixed_size: 4096
    .kernarg_segment_align: 8
    .kernarg_segment_size: 108
    .language:       OpenCL C
    .language_version:
      - 2
      - 0
    .max_flat_workgroup_size: 256
    .name:           _ZL41rocblas_syrkx_herkx_small_restrict_kernelIl19rocblas_complex_numIfELi16ELb0ELb0ELc78ELc85EKS1_S1_EviT_T0_PT6_S3_lS6_S3_lS4_PT7_S3_li
    .private_segment_fixed_size: 0
    .sgpr_count:     34
    .sgpr_spill_count: 0
    .symbol:         _ZL41rocblas_syrkx_herkx_small_restrict_kernelIl19rocblas_complex_numIfELi16ELb0ELb0ELc78ELc85EKS1_S1_EviT_T0_PT6_S3_lS6_S3_lS4_PT7_S3_li.kd
    .uniform_work_group_size: 1
    .uses_dynamic_stack: false
    .vgpr_count:     87
    .vgpr_spill_count: 0
    .wavefront_size: 32
    .workgroup_processor_mode: 1
  - .args:
      - .offset:         0
        .size:           4
        .value_kind:     by_value
      - .offset:         8
        .size:           8
        .value_kind:     by_value
      - .offset:         16
        .size:           8
        .value_kind:     by_value
      - .address_space:  global
        .offset:         24
        .size:           8
        .value_kind:     global_buffer
      - .offset:         32
        .size:           8
        .value_kind:     by_value
      - .offset:         40
        .size:           8
        .value_kind:     by_value
      - .address_space:  global
        .offset:         48
        .size:           8
        .value_kind:     global_buffer
      - .offset:         56
        .size:           8
        .value_kind:     by_value
      - .offset:         64
        .size:           8
        .value_kind:     by_value
      - .offset:         72
        .size:           8
        .value_kind:     by_value
      - .address_space:  global
        .offset:         80
        .size:           8
        .value_kind:     global_buffer
      - .offset:         88
        .size:           8
        .value_kind:     by_value
      - .offset:         96
        .size:           8
        .value_kind:     by_value
      - .offset:         104
        .size:           4
        .value_kind:     by_value
    .group_segment_fixed_size: 4096
    .kernarg_segment_align: 8
    .kernarg_segment_size: 108
    .language:       OpenCL C
    .language_version:
      - 2
      - 0
    .max_flat_workgroup_size: 256
    .name:           _ZL32rocblas_syrkx_herkx_small_kernelIl19rocblas_complex_numIfELi16ELb1ELb0ELc84ELc76EKS1_S1_EviT_T0_PT6_S3_lS6_S3_lS4_PT7_S3_li
    .private_segment_fixed_size: 0
    .sgpr_count:     34
    .sgpr_spill_count: 0
    .symbol:         _ZL32rocblas_syrkx_herkx_small_kernelIl19rocblas_complex_numIfELi16ELb1ELb0ELc84ELc76EKS1_S1_EviT_T0_PT6_S3_lS6_S3_lS4_PT7_S3_li.kd
    .uniform_work_group_size: 1
    .uses_dynamic_stack: false
    .vgpr_count:     70
    .vgpr_spill_count: 0
    .wavefront_size: 32
    .workgroup_processor_mode: 1
  - .args:
      - .offset:         0
        .size:           4
        .value_kind:     by_value
      - .offset:         8
        .size:           8
        .value_kind:     by_value
      - .offset:         16
        .size:           8
        .value_kind:     by_value
      - .address_space:  global
        .offset:         24
        .size:           8
        .value_kind:     global_buffer
      - .offset:         32
        .size:           8
        .value_kind:     by_value
      - .offset:         40
        .size:           8
        .value_kind:     by_value
      - .address_space:  global
        .offset:         48
        .size:           8
        .value_kind:     global_buffer
      - .offset:         56
        .size:           8
        .value_kind:     by_value
      - .offset:         64
        .size:           8
        .value_kind:     by_value
      - .offset:         72
        .size:           8
        .value_kind:     by_value
      - .address_space:  global
        .offset:         80
        .size:           8
        .value_kind:     global_buffer
      - .offset:         88
        .size:           8
        .value_kind:     by_value
      - .offset:         96
        .size:           8
        .value_kind:     by_value
      - .offset:         104
        .size:           4
        .value_kind:     by_value
    .group_segment_fixed_size: 4096
    .kernarg_segment_align: 8
    .kernarg_segment_size: 108
    .language:       OpenCL C
    .language_version:
      - 2
      - 0
    .max_flat_workgroup_size: 256
    .name:           _ZL32rocblas_syrkx_herkx_small_kernelIl19rocblas_complex_numIfELi16ELb1ELb0ELc67ELc76EKS1_S1_EviT_T0_PT6_S3_lS6_S3_lS4_PT7_S3_li
    .private_segment_fixed_size: 0
    .sgpr_count:     34
    .sgpr_spill_count: 0
    .symbol:         _ZL32rocblas_syrkx_herkx_small_kernelIl19rocblas_complex_numIfELi16ELb1ELb0ELc67ELc76EKS1_S1_EviT_T0_PT6_S3_lS6_S3_lS4_PT7_S3_li.kd
    .uniform_work_group_size: 1
    .uses_dynamic_stack: false
    .vgpr_count:     70
    .vgpr_spill_count: 0
    .wavefront_size: 32
    .workgroup_processor_mode: 1
  - .args:
      - .offset:         0
        .size:           4
        .value_kind:     by_value
      - .offset:         8
        .size:           8
        .value_kind:     by_value
      - .offset:         16
        .size:           8
        .value_kind:     by_value
      - .address_space:  global
        .offset:         24
        .size:           8
        .value_kind:     global_buffer
      - .offset:         32
        .size:           8
        .value_kind:     by_value
      - .offset:         40
        .size:           8
        .value_kind:     by_value
      - .address_space:  global
        .offset:         48
        .size:           8
        .value_kind:     global_buffer
      - .offset:         56
        .size:           8
        .value_kind:     by_value
      - .offset:         64
        .size:           8
        .value_kind:     by_value
      - .offset:         72
        .size:           8
        .value_kind:     by_value
      - .address_space:  global
        .offset:         80
        .size:           8
        .value_kind:     global_buffer
      - .offset:         88
        .size:           8
        .value_kind:     by_value
      - .offset:         96
        .size:           8
        .value_kind:     by_value
      - .offset:         104
        .size:           4
        .value_kind:     by_value
    .group_segment_fixed_size: 4096
    .kernarg_segment_align: 8
    .kernarg_segment_size: 108
    .language:       OpenCL C
    .language_version:
      - 2
      - 0
    .max_flat_workgroup_size: 256
    .name:           _ZL32rocblas_syrkx_herkx_small_kernelIl19rocblas_complex_numIfELi16ELb1ELb0ELc78ELc76EKS1_S1_EviT_T0_PT6_S3_lS6_S3_lS4_PT7_S3_li
    .private_segment_fixed_size: 0
    .sgpr_count:     34
    .sgpr_spill_count: 0
    .symbol:         _ZL32rocblas_syrkx_herkx_small_kernelIl19rocblas_complex_numIfELi16ELb1ELb0ELc78ELc76EKS1_S1_EviT_T0_PT6_S3_lS6_S3_lS4_PT7_S3_li.kd
    .uniform_work_group_size: 1
    .uses_dynamic_stack: false
    .vgpr_count:     70
    .vgpr_spill_count: 0
    .wavefront_size: 32
    .workgroup_processor_mode: 1
  - .args:
      - .offset:         0
        .size:           4
        .value_kind:     by_value
      - .offset:         8
        .size:           8
        .value_kind:     by_value
      - .offset:         16
        .size:           8
        .value_kind:     by_value
      - .address_space:  global
        .offset:         24
        .size:           8
        .value_kind:     global_buffer
      - .offset:         32
        .size:           8
        .value_kind:     by_value
      - .offset:         40
        .size:           8
        .value_kind:     by_value
      - .address_space:  global
        .offset:         48
        .size:           8
        .value_kind:     global_buffer
      - .offset:         56
        .size:           8
        .value_kind:     by_value
      - .offset:         64
        .size:           8
        .value_kind:     by_value
      - .offset:         72
        .size:           8
        .value_kind:     by_value
      - .address_space:  global
        .offset:         80
        .size:           8
        .value_kind:     global_buffer
      - .offset:         88
        .size:           8
        .value_kind:     by_value
      - .offset:         96
        .size:           8
        .value_kind:     by_value
      - .offset:         104
        .size:           4
        .value_kind:     by_value
    .group_segment_fixed_size: 4096
    .kernarg_segment_align: 8
    .kernarg_segment_size: 108
    .language:       OpenCL C
    .language_version:
      - 2
      - 0
    .max_flat_workgroup_size: 256
    .name:           _ZL32rocblas_syrkx_herkx_small_kernelIl19rocblas_complex_numIfELi16ELb1ELb0ELc84ELc85EKS1_S1_EviT_T0_PT6_S3_lS6_S3_lS4_PT7_S3_li
    .private_segment_fixed_size: 0
    .sgpr_count:     34
    .sgpr_spill_count: 0
    .symbol:         _ZL32rocblas_syrkx_herkx_small_kernelIl19rocblas_complex_numIfELi16ELb1ELb0ELc84ELc85EKS1_S1_EviT_T0_PT6_S3_lS6_S3_lS4_PT7_S3_li.kd
    .uniform_work_group_size: 1
    .uses_dynamic_stack: false
    .vgpr_count:     70
    .vgpr_spill_count: 0
    .wavefront_size: 32
    .workgroup_processor_mode: 1
  - .args:
      - .offset:         0
        .size:           4
        .value_kind:     by_value
      - .offset:         8
        .size:           8
        .value_kind:     by_value
      - .offset:         16
        .size:           8
        .value_kind:     by_value
      - .address_space:  global
        .offset:         24
        .size:           8
        .value_kind:     global_buffer
      - .offset:         32
        .size:           8
        .value_kind:     by_value
      - .offset:         40
        .size:           8
        .value_kind:     by_value
      - .address_space:  global
        .offset:         48
        .size:           8
        .value_kind:     global_buffer
      - .offset:         56
        .size:           8
        .value_kind:     by_value
      - .offset:         64
        .size:           8
        .value_kind:     by_value
      - .offset:         72
        .size:           8
        .value_kind:     by_value
      - .address_space:  global
        .offset:         80
        .size:           8
        .value_kind:     global_buffer
      - .offset:         88
        .size:           8
        .value_kind:     by_value
      - .offset:         96
        .size:           8
        .value_kind:     by_value
      - .offset:         104
        .size:           4
        .value_kind:     by_value
    .group_segment_fixed_size: 4096
    .kernarg_segment_align: 8
    .kernarg_segment_size: 108
    .language:       OpenCL C
    .language_version:
      - 2
      - 0
    .max_flat_workgroup_size: 256
    .name:           _ZL32rocblas_syrkx_herkx_small_kernelIl19rocblas_complex_numIfELi16ELb1ELb0ELc67ELc85EKS1_S1_EviT_T0_PT6_S3_lS6_S3_lS4_PT7_S3_li
    .private_segment_fixed_size: 0
    .sgpr_count:     34
    .sgpr_spill_count: 0
    .symbol:         _ZL32rocblas_syrkx_herkx_small_kernelIl19rocblas_complex_numIfELi16ELb1ELb0ELc67ELc85EKS1_S1_EviT_T0_PT6_S3_lS6_S3_lS4_PT7_S3_li.kd
    .uniform_work_group_size: 1
    .uses_dynamic_stack: false
    .vgpr_count:     70
    .vgpr_spill_count: 0
    .wavefront_size: 32
    .workgroup_processor_mode: 1
  - .args:
      - .offset:         0
        .size:           4
        .value_kind:     by_value
      - .offset:         8
        .size:           8
        .value_kind:     by_value
      - .offset:         16
        .size:           8
        .value_kind:     by_value
      - .address_space:  global
        .offset:         24
        .size:           8
        .value_kind:     global_buffer
      - .offset:         32
        .size:           8
        .value_kind:     by_value
      - .offset:         40
        .size:           8
        .value_kind:     by_value
      - .address_space:  global
        .offset:         48
        .size:           8
        .value_kind:     global_buffer
      - .offset:         56
        .size:           8
        .value_kind:     by_value
      - .offset:         64
        .size:           8
        .value_kind:     by_value
      - .offset:         72
        .size:           8
        .value_kind:     by_value
      - .address_space:  global
        .offset:         80
        .size:           8
        .value_kind:     global_buffer
      - .offset:         88
        .size:           8
        .value_kind:     by_value
      - .offset:         96
        .size:           8
        .value_kind:     by_value
      - .offset:         104
        .size:           4
        .value_kind:     by_value
    .group_segment_fixed_size: 4096
    .kernarg_segment_align: 8
    .kernarg_segment_size: 108
    .language:       OpenCL C
    .language_version:
      - 2
      - 0
    .max_flat_workgroup_size: 256
    .name:           _ZL32rocblas_syrkx_herkx_small_kernelIl19rocblas_complex_numIfELi16ELb1ELb0ELc78ELc85EKS1_S1_EviT_T0_PT6_S3_lS6_S3_lS4_PT7_S3_li
    .private_segment_fixed_size: 0
    .sgpr_count:     34
    .sgpr_spill_count: 0
    .symbol:         _ZL32rocblas_syrkx_herkx_small_kernelIl19rocblas_complex_numIfELi16ELb1ELb0ELc78ELc85EKS1_S1_EviT_T0_PT6_S3_lS6_S3_lS4_PT7_S3_li.kd
    .uniform_work_group_size: 1
    .uses_dynamic_stack: false
    .vgpr_count:     70
    .vgpr_spill_count: 0
    .wavefront_size: 32
    .workgroup_processor_mode: 1
  - .args:
      - .offset:         0
        .size:           4
        .value_kind:     by_value
      - .offset:         8
        .size:           8
        .value_kind:     by_value
      - .offset:         16
        .size:           8
        .value_kind:     by_value
      - .address_space:  global
        .offset:         24
        .size:           8
        .value_kind:     global_buffer
      - .offset:         32
        .size:           8
        .value_kind:     by_value
      - .offset:         40
        .size:           8
        .value_kind:     by_value
      - .address_space:  global
        .offset:         48
        .size:           8
        .value_kind:     global_buffer
      - .offset:         56
        .size:           8
        .value_kind:     by_value
      - .offset:         64
        .size:           8
        .value_kind:     by_value
      - .offset:         72
        .size:           8
        .value_kind:     by_value
      - .address_space:  global
        .offset:         80
        .size:           8
        .value_kind:     global_buffer
      - .offset:         88
        .size:           8
        .value_kind:     by_value
      - .offset:         96
        .size:           8
        .value_kind:     by_value
      - .offset:         104
        .size:           4
        .value_kind:     by_value
    .group_segment_fixed_size: 4096
    .kernarg_segment_align: 8
    .kernarg_segment_size: 108
    .language:       OpenCL C
    .language_version:
      - 2
      - 0
    .max_flat_workgroup_size: 256
    .name:           _ZL32rocblas_syrkx_herkx_small_kernelIl19rocblas_complex_numIfELi16ELb0ELb0ELc84ELc76EKS1_S1_EviT_T0_PT6_S3_lS6_S3_lS4_PT7_S3_li
    .private_segment_fixed_size: 0
    .sgpr_count:     34
    .sgpr_spill_count: 0
    .symbol:         _ZL32rocblas_syrkx_herkx_small_kernelIl19rocblas_complex_numIfELi16ELb0ELb0ELc84ELc76EKS1_S1_EviT_T0_PT6_S3_lS6_S3_lS4_PT7_S3_li.kd
    .uniform_work_group_size: 1
    .uses_dynamic_stack: false
    .vgpr_count:     70
    .vgpr_spill_count: 0
    .wavefront_size: 32
    .workgroup_processor_mode: 1
  - .args:
      - .offset:         0
        .size:           4
        .value_kind:     by_value
      - .offset:         8
        .size:           8
        .value_kind:     by_value
      - .offset:         16
        .size:           8
        .value_kind:     by_value
      - .address_space:  global
        .offset:         24
        .size:           8
        .value_kind:     global_buffer
      - .offset:         32
        .size:           8
        .value_kind:     by_value
      - .offset:         40
        .size:           8
        .value_kind:     by_value
      - .address_space:  global
        .offset:         48
        .size:           8
        .value_kind:     global_buffer
      - .offset:         56
        .size:           8
        .value_kind:     by_value
      - .offset:         64
        .size:           8
        .value_kind:     by_value
      - .offset:         72
        .size:           8
        .value_kind:     by_value
      - .address_space:  global
        .offset:         80
        .size:           8
        .value_kind:     global_buffer
      - .offset:         88
        .size:           8
        .value_kind:     by_value
      - .offset:         96
        .size:           8
        .value_kind:     by_value
      - .offset:         104
        .size:           4
        .value_kind:     by_value
    .group_segment_fixed_size: 4096
    .kernarg_segment_align: 8
    .kernarg_segment_size: 108
    .language:       OpenCL C
    .language_version:
      - 2
      - 0
    .max_flat_workgroup_size: 256
    .name:           _ZL32rocblas_syrkx_herkx_small_kernelIl19rocblas_complex_numIfELi16ELb0ELb0ELc67ELc76EKS1_S1_EviT_T0_PT6_S3_lS6_S3_lS4_PT7_S3_li
    .private_segment_fixed_size: 0
    .sgpr_count:     34
    .sgpr_spill_count: 0
    .symbol:         _ZL32rocblas_syrkx_herkx_small_kernelIl19rocblas_complex_numIfELi16ELb0ELb0ELc67ELc76EKS1_S1_EviT_T0_PT6_S3_lS6_S3_lS4_PT7_S3_li.kd
    .uniform_work_group_size: 1
    .uses_dynamic_stack: false
    .vgpr_count:     70
    .vgpr_spill_count: 0
    .wavefront_size: 32
    .workgroup_processor_mode: 1
  - .args:
      - .offset:         0
        .size:           4
        .value_kind:     by_value
      - .offset:         8
        .size:           8
        .value_kind:     by_value
      - .offset:         16
        .size:           8
        .value_kind:     by_value
      - .address_space:  global
        .offset:         24
        .size:           8
        .value_kind:     global_buffer
      - .offset:         32
        .size:           8
        .value_kind:     by_value
      - .offset:         40
        .size:           8
        .value_kind:     by_value
      - .address_space:  global
        .offset:         48
        .size:           8
        .value_kind:     global_buffer
      - .offset:         56
        .size:           8
        .value_kind:     by_value
      - .offset:         64
        .size:           8
        .value_kind:     by_value
      - .offset:         72
        .size:           8
        .value_kind:     by_value
      - .address_space:  global
        .offset:         80
        .size:           8
        .value_kind:     global_buffer
      - .offset:         88
        .size:           8
        .value_kind:     by_value
      - .offset:         96
        .size:           8
        .value_kind:     by_value
      - .offset:         104
        .size:           4
        .value_kind:     by_value
    .group_segment_fixed_size: 4096
    .kernarg_segment_align: 8
    .kernarg_segment_size: 108
    .language:       OpenCL C
    .language_version:
      - 2
      - 0
    .max_flat_workgroup_size: 256
    .name:           _ZL32rocblas_syrkx_herkx_small_kernelIl19rocblas_complex_numIfELi16ELb0ELb0ELc78ELc76EKS1_S1_EviT_T0_PT6_S3_lS6_S3_lS4_PT7_S3_li
    .private_segment_fixed_size: 0
    .sgpr_count:     34
    .sgpr_spill_count: 0
    .symbol:         _ZL32rocblas_syrkx_herkx_small_kernelIl19rocblas_complex_numIfELi16ELb0ELb0ELc78ELc76EKS1_S1_EviT_T0_PT6_S3_lS6_S3_lS4_PT7_S3_li.kd
    .uniform_work_group_size: 1
    .uses_dynamic_stack: false
    .vgpr_count:     70
    .vgpr_spill_count: 0
    .wavefront_size: 32
    .workgroup_processor_mode: 1
  - .args:
      - .offset:         0
        .size:           4
        .value_kind:     by_value
      - .offset:         8
        .size:           8
        .value_kind:     by_value
      - .offset:         16
        .size:           8
        .value_kind:     by_value
      - .address_space:  global
        .offset:         24
        .size:           8
        .value_kind:     global_buffer
      - .offset:         32
        .size:           8
        .value_kind:     by_value
      - .offset:         40
        .size:           8
        .value_kind:     by_value
      - .address_space:  global
        .offset:         48
        .size:           8
        .value_kind:     global_buffer
      - .offset:         56
        .size:           8
        .value_kind:     by_value
      - .offset:         64
        .size:           8
        .value_kind:     by_value
      - .offset:         72
        .size:           8
        .value_kind:     by_value
      - .address_space:  global
        .offset:         80
        .size:           8
        .value_kind:     global_buffer
      - .offset:         88
        .size:           8
        .value_kind:     by_value
      - .offset:         96
        .size:           8
        .value_kind:     by_value
      - .offset:         104
        .size:           4
        .value_kind:     by_value
    .group_segment_fixed_size: 4096
    .kernarg_segment_align: 8
    .kernarg_segment_size: 108
    .language:       OpenCL C
    .language_version:
      - 2
      - 0
    .max_flat_workgroup_size: 256
    .name:           _ZL32rocblas_syrkx_herkx_small_kernelIl19rocblas_complex_numIfELi16ELb0ELb0ELc84ELc85EKS1_S1_EviT_T0_PT6_S3_lS6_S3_lS4_PT7_S3_li
    .private_segment_fixed_size: 0
    .sgpr_count:     34
    .sgpr_spill_count: 0
    .symbol:         _ZL32rocblas_syrkx_herkx_small_kernelIl19rocblas_complex_numIfELi16ELb0ELb0ELc84ELc85EKS1_S1_EviT_T0_PT6_S3_lS6_S3_lS4_PT7_S3_li.kd
    .uniform_work_group_size: 1
    .uses_dynamic_stack: false
    .vgpr_count:     70
    .vgpr_spill_count: 0
    .wavefront_size: 32
    .workgroup_processor_mode: 1
  - .args:
      - .offset:         0
        .size:           4
        .value_kind:     by_value
      - .offset:         8
        .size:           8
        .value_kind:     by_value
      - .offset:         16
        .size:           8
        .value_kind:     by_value
      - .address_space:  global
        .offset:         24
        .size:           8
        .value_kind:     global_buffer
      - .offset:         32
        .size:           8
        .value_kind:     by_value
      - .offset:         40
        .size:           8
        .value_kind:     by_value
      - .address_space:  global
        .offset:         48
        .size:           8
        .value_kind:     global_buffer
      - .offset:         56
        .size:           8
        .value_kind:     by_value
      - .offset:         64
        .size:           8
        .value_kind:     by_value
      - .offset:         72
        .size:           8
        .value_kind:     by_value
      - .address_space:  global
        .offset:         80
        .size:           8
        .value_kind:     global_buffer
      - .offset:         88
        .size:           8
        .value_kind:     by_value
      - .offset:         96
        .size:           8
        .value_kind:     by_value
      - .offset:         104
        .size:           4
        .value_kind:     by_value
    .group_segment_fixed_size: 4096
    .kernarg_segment_align: 8
    .kernarg_segment_size: 108
    .language:       OpenCL C
    .language_version:
      - 2
      - 0
    .max_flat_workgroup_size: 256
    .name:           _ZL32rocblas_syrkx_herkx_small_kernelIl19rocblas_complex_numIfELi16ELb0ELb0ELc67ELc85EKS1_S1_EviT_T0_PT6_S3_lS6_S3_lS4_PT7_S3_li
    .private_segment_fixed_size: 0
    .sgpr_count:     34
    .sgpr_spill_count: 0
    .symbol:         _ZL32rocblas_syrkx_herkx_small_kernelIl19rocblas_complex_numIfELi16ELb0ELb0ELc67ELc85EKS1_S1_EviT_T0_PT6_S3_lS6_S3_lS4_PT7_S3_li.kd
    .uniform_work_group_size: 1
    .uses_dynamic_stack: false
    .vgpr_count:     70
    .vgpr_spill_count: 0
    .wavefront_size: 32
    .workgroup_processor_mode: 1
  - .args:
      - .offset:         0
        .size:           4
        .value_kind:     by_value
      - .offset:         8
        .size:           8
        .value_kind:     by_value
      - .offset:         16
        .size:           8
        .value_kind:     by_value
      - .address_space:  global
        .offset:         24
        .size:           8
        .value_kind:     global_buffer
      - .offset:         32
        .size:           8
        .value_kind:     by_value
      - .offset:         40
        .size:           8
        .value_kind:     by_value
      - .address_space:  global
        .offset:         48
        .size:           8
        .value_kind:     global_buffer
      - .offset:         56
        .size:           8
        .value_kind:     by_value
      - .offset:         64
        .size:           8
        .value_kind:     by_value
      - .offset:         72
        .size:           8
        .value_kind:     by_value
      - .address_space:  global
        .offset:         80
        .size:           8
        .value_kind:     global_buffer
      - .offset:         88
        .size:           8
        .value_kind:     by_value
      - .offset:         96
        .size:           8
        .value_kind:     by_value
      - .offset:         104
        .size:           4
        .value_kind:     by_value
    .group_segment_fixed_size: 4096
    .kernarg_segment_align: 8
    .kernarg_segment_size: 108
    .language:       OpenCL C
    .language_version:
      - 2
      - 0
    .max_flat_workgroup_size: 256
    .name:           _ZL32rocblas_syrkx_herkx_small_kernelIl19rocblas_complex_numIfELi16ELb0ELb0ELc78ELc85EKS1_S1_EviT_T0_PT6_S3_lS6_S3_lS4_PT7_S3_li
    .private_segment_fixed_size: 0
    .sgpr_count:     34
    .sgpr_spill_count: 0
    .symbol:         _ZL32rocblas_syrkx_herkx_small_kernelIl19rocblas_complex_numIfELi16ELb0ELb0ELc78ELc85EKS1_S1_EviT_T0_PT6_S3_lS6_S3_lS4_PT7_S3_li.kd
    .uniform_work_group_size: 1
    .uses_dynamic_stack: false
    .vgpr_count:     70
    .vgpr_spill_count: 0
    .wavefront_size: 32
    .workgroup_processor_mode: 1
  - .args:
      - .offset:         0
        .size:           4
        .value_kind:     by_value
      - .offset:         8
        .size:           8
        .value_kind:     by_value
      - .offset:         16
        .size:           8
        .value_kind:     by_value
      - .address_space:  global
        .offset:         24
        .size:           8
        .value_kind:     global_buffer
      - .offset:         32
        .size:           8
        .value_kind:     by_value
      - .offset:         40
        .size:           8
        .value_kind:     by_value
      - .address_space:  global
        .offset:         48
        .size:           8
        .value_kind:     global_buffer
      - .offset:         56
        .size:           8
        .value_kind:     by_value
      - .offset:         64
        .size:           8
        .value_kind:     by_value
      - .offset:         72
        .size:           8
        .value_kind:     by_value
      - .address_space:  global
        .offset:         80
        .size:           8
        .value_kind:     global_buffer
      - .offset:         88
        .size:           8
        .value_kind:     by_value
      - .offset:         96
        .size:           8
        .value_kind:     by_value
      - .offset:         104
        .size:           4
        .value_kind:     by_value
    .group_segment_fixed_size: 4096
    .kernarg_segment_align: 8
    .kernarg_segment_size: 108
    .language:       OpenCL C
    .language_version:
      - 2
      - 0
    .max_flat_workgroup_size: 256
    .name:           _ZL34rocblas_syrkx_herkx_general_kernelIl19rocblas_complex_numIfELi16ELi32ELi8ELb1ELb0ELc84ELc76EKS1_S1_EviT_T0_PT8_S3_lS6_S3_lS4_PT9_S3_li
    .private_segment_fixed_size: 0
    .sgpr_count:     34
    .sgpr_spill_count: 0
    .symbol:         _ZL34rocblas_syrkx_herkx_general_kernelIl19rocblas_complex_numIfELi16ELi32ELi8ELb1ELb0ELc84ELc76EKS1_S1_EviT_T0_PT8_S3_lS6_S3_lS4_PT9_S3_li.kd
    .uniform_work_group_size: 1
    .uses_dynamic_stack: false
    .vgpr_count:     59
    .vgpr_spill_count: 0
    .wavefront_size: 32
    .workgroup_processor_mode: 1
  - .args:
      - .offset:         0
        .size:           4
        .value_kind:     by_value
      - .offset:         8
        .size:           8
        .value_kind:     by_value
      - .offset:         16
        .size:           8
        .value_kind:     by_value
      - .address_space:  global
        .offset:         24
        .size:           8
        .value_kind:     global_buffer
      - .offset:         32
        .size:           8
        .value_kind:     by_value
      - .offset:         40
        .size:           8
        .value_kind:     by_value
      - .address_space:  global
        .offset:         48
        .size:           8
        .value_kind:     global_buffer
      - .offset:         56
        .size:           8
        .value_kind:     by_value
      - .offset:         64
        .size:           8
        .value_kind:     by_value
      - .offset:         72
        .size:           8
        .value_kind:     by_value
      - .address_space:  global
        .offset:         80
        .size:           8
        .value_kind:     global_buffer
      - .offset:         88
        .size:           8
        .value_kind:     by_value
      - .offset:         96
        .size:           8
        .value_kind:     by_value
      - .offset:         104
        .size:           4
        .value_kind:     by_value
    .group_segment_fixed_size: 4096
    .kernarg_segment_align: 8
    .kernarg_segment_size: 108
    .language:       OpenCL C
    .language_version:
      - 2
      - 0
    .max_flat_workgroup_size: 256
    .name:           _ZL34rocblas_syrkx_herkx_general_kernelIl19rocblas_complex_numIfELi16ELi32ELi8ELb1ELb0ELc67ELc76EKS1_S1_EviT_T0_PT8_S3_lS6_S3_lS4_PT9_S3_li
    .private_segment_fixed_size: 0
    .sgpr_count:     34
    .sgpr_spill_count: 0
    .symbol:         _ZL34rocblas_syrkx_herkx_general_kernelIl19rocblas_complex_numIfELi16ELi32ELi8ELb1ELb0ELc67ELc76EKS1_S1_EviT_T0_PT8_S3_lS6_S3_lS4_PT9_S3_li.kd
    .uniform_work_group_size: 1
    .uses_dynamic_stack: false
    .vgpr_count:     59
    .vgpr_spill_count: 0
    .wavefront_size: 32
    .workgroup_processor_mode: 1
  - .args:
      - .offset:         0
        .size:           4
        .value_kind:     by_value
      - .offset:         8
        .size:           8
        .value_kind:     by_value
      - .offset:         16
        .size:           8
        .value_kind:     by_value
      - .address_space:  global
        .offset:         24
        .size:           8
        .value_kind:     global_buffer
      - .offset:         32
        .size:           8
        .value_kind:     by_value
      - .offset:         40
        .size:           8
        .value_kind:     by_value
      - .address_space:  global
        .offset:         48
        .size:           8
        .value_kind:     global_buffer
      - .offset:         56
        .size:           8
        .value_kind:     by_value
      - .offset:         64
        .size:           8
        .value_kind:     by_value
      - .offset:         72
        .size:           8
        .value_kind:     by_value
      - .address_space:  global
        .offset:         80
        .size:           8
        .value_kind:     global_buffer
      - .offset:         88
        .size:           8
        .value_kind:     by_value
      - .offset:         96
        .size:           8
        .value_kind:     by_value
      - .offset:         104
        .size:           4
        .value_kind:     by_value
    .group_segment_fixed_size: 4096
    .kernarg_segment_align: 8
    .kernarg_segment_size: 108
    .language:       OpenCL C
    .language_version:
      - 2
      - 0
    .max_flat_workgroup_size: 256
    .name:           _ZL34rocblas_syrkx_herkx_general_kernelIl19rocblas_complex_numIfELi16ELi32ELi8ELb1ELb0ELc78ELc76EKS1_S1_EviT_T0_PT8_S3_lS6_S3_lS4_PT9_S3_li
    .private_segment_fixed_size: 0
    .sgpr_count:     34
    .sgpr_spill_count: 0
    .symbol:         _ZL34rocblas_syrkx_herkx_general_kernelIl19rocblas_complex_numIfELi16ELi32ELi8ELb1ELb0ELc78ELc76EKS1_S1_EviT_T0_PT8_S3_lS6_S3_lS4_PT9_S3_li.kd
    .uniform_work_group_size: 1
    .uses_dynamic_stack: false
    .vgpr_count:     59
    .vgpr_spill_count: 0
    .wavefront_size: 32
    .workgroup_processor_mode: 1
  - .args:
      - .offset:         0
        .size:           4
        .value_kind:     by_value
      - .offset:         8
        .size:           8
        .value_kind:     by_value
      - .offset:         16
        .size:           8
        .value_kind:     by_value
      - .address_space:  global
        .offset:         24
        .size:           8
        .value_kind:     global_buffer
      - .offset:         32
        .size:           8
        .value_kind:     by_value
      - .offset:         40
        .size:           8
        .value_kind:     by_value
      - .address_space:  global
        .offset:         48
        .size:           8
        .value_kind:     global_buffer
      - .offset:         56
        .size:           8
        .value_kind:     by_value
      - .offset:         64
        .size:           8
        .value_kind:     by_value
      - .offset:         72
        .size:           8
        .value_kind:     by_value
      - .address_space:  global
        .offset:         80
        .size:           8
        .value_kind:     global_buffer
      - .offset:         88
        .size:           8
        .value_kind:     by_value
      - .offset:         96
        .size:           8
        .value_kind:     by_value
      - .offset:         104
        .size:           4
        .value_kind:     by_value
    .group_segment_fixed_size: 4096
    .kernarg_segment_align: 8
    .kernarg_segment_size: 108
    .language:       OpenCL C
    .language_version:
      - 2
      - 0
    .max_flat_workgroup_size: 256
    .name:           _ZL34rocblas_syrkx_herkx_general_kernelIl19rocblas_complex_numIfELi16ELi32ELi8ELb1ELb0ELc84ELc85EKS1_S1_EviT_T0_PT8_S3_lS6_S3_lS4_PT9_S3_li
    .private_segment_fixed_size: 0
    .sgpr_count:     34
    .sgpr_spill_count: 0
    .symbol:         _ZL34rocblas_syrkx_herkx_general_kernelIl19rocblas_complex_numIfELi16ELi32ELi8ELb1ELb0ELc84ELc85EKS1_S1_EviT_T0_PT8_S3_lS6_S3_lS4_PT9_S3_li.kd
    .uniform_work_group_size: 1
    .uses_dynamic_stack: false
    .vgpr_count:     59
    .vgpr_spill_count: 0
    .wavefront_size: 32
    .workgroup_processor_mode: 1
  - .args:
      - .offset:         0
        .size:           4
        .value_kind:     by_value
      - .offset:         8
        .size:           8
        .value_kind:     by_value
      - .offset:         16
        .size:           8
        .value_kind:     by_value
      - .address_space:  global
        .offset:         24
        .size:           8
        .value_kind:     global_buffer
      - .offset:         32
        .size:           8
        .value_kind:     by_value
      - .offset:         40
        .size:           8
        .value_kind:     by_value
      - .address_space:  global
        .offset:         48
        .size:           8
        .value_kind:     global_buffer
      - .offset:         56
        .size:           8
        .value_kind:     by_value
      - .offset:         64
        .size:           8
        .value_kind:     by_value
      - .offset:         72
        .size:           8
        .value_kind:     by_value
      - .address_space:  global
        .offset:         80
        .size:           8
        .value_kind:     global_buffer
      - .offset:         88
        .size:           8
        .value_kind:     by_value
      - .offset:         96
        .size:           8
        .value_kind:     by_value
      - .offset:         104
        .size:           4
        .value_kind:     by_value
    .group_segment_fixed_size: 4096
    .kernarg_segment_align: 8
    .kernarg_segment_size: 108
    .language:       OpenCL C
    .language_version:
      - 2
      - 0
    .max_flat_workgroup_size: 256
    .name:           _ZL34rocblas_syrkx_herkx_general_kernelIl19rocblas_complex_numIfELi16ELi32ELi8ELb1ELb0ELc67ELc85EKS1_S1_EviT_T0_PT8_S3_lS6_S3_lS4_PT9_S3_li
    .private_segment_fixed_size: 0
    .sgpr_count:     34
    .sgpr_spill_count: 0
    .symbol:         _ZL34rocblas_syrkx_herkx_general_kernelIl19rocblas_complex_numIfELi16ELi32ELi8ELb1ELb0ELc67ELc85EKS1_S1_EviT_T0_PT8_S3_lS6_S3_lS4_PT9_S3_li.kd
    .uniform_work_group_size: 1
    .uses_dynamic_stack: false
    .vgpr_count:     59
    .vgpr_spill_count: 0
    .wavefront_size: 32
    .workgroup_processor_mode: 1
  - .args:
      - .offset:         0
        .size:           4
        .value_kind:     by_value
      - .offset:         8
        .size:           8
        .value_kind:     by_value
      - .offset:         16
        .size:           8
        .value_kind:     by_value
      - .address_space:  global
        .offset:         24
        .size:           8
        .value_kind:     global_buffer
      - .offset:         32
        .size:           8
        .value_kind:     by_value
      - .offset:         40
        .size:           8
        .value_kind:     by_value
      - .address_space:  global
        .offset:         48
        .size:           8
        .value_kind:     global_buffer
      - .offset:         56
        .size:           8
        .value_kind:     by_value
      - .offset:         64
        .size:           8
        .value_kind:     by_value
      - .offset:         72
        .size:           8
        .value_kind:     by_value
      - .address_space:  global
        .offset:         80
        .size:           8
        .value_kind:     global_buffer
      - .offset:         88
        .size:           8
        .value_kind:     by_value
      - .offset:         96
        .size:           8
        .value_kind:     by_value
      - .offset:         104
        .size:           4
        .value_kind:     by_value
    .group_segment_fixed_size: 4096
    .kernarg_segment_align: 8
    .kernarg_segment_size: 108
    .language:       OpenCL C
    .language_version:
      - 2
      - 0
    .max_flat_workgroup_size: 256
    .name:           _ZL34rocblas_syrkx_herkx_general_kernelIl19rocblas_complex_numIfELi16ELi32ELi8ELb1ELb0ELc78ELc85EKS1_S1_EviT_T0_PT8_S3_lS6_S3_lS4_PT9_S3_li
    .private_segment_fixed_size: 0
    .sgpr_count:     34
    .sgpr_spill_count: 0
    .symbol:         _ZL34rocblas_syrkx_herkx_general_kernelIl19rocblas_complex_numIfELi16ELi32ELi8ELb1ELb0ELc78ELc85EKS1_S1_EviT_T0_PT8_S3_lS6_S3_lS4_PT9_S3_li.kd
    .uniform_work_group_size: 1
    .uses_dynamic_stack: false
    .vgpr_count:     59
    .vgpr_spill_count: 0
    .wavefront_size: 32
    .workgroup_processor_mode: 1
  - .args:
      - .offset:         0
        .size:           4
        .value_kind:     by_value
      - .offset:         8
        .size:           8
        .value_kind:     by_value
      - .offset:         16
        .size:           8
        .value_kind:     by_value
      - .address_space:  global
        .offset:         24
        .size:           8
        .value_kind:     global_buffer
      - .offset:         32
        .size:           8
        .value_kind:     by_value
      - .offset:         40
        .size:           8
        .value_kind:     by_value
      - .address_space:  global
        .offset:         48
        .size:           8
        .value_kind:     global_buffer
      - .offset:         56
        .size:           8
        .value_kind:     by_value
      - .offset:         64
        .size:           8
        .value_kind:     by_value
      - .offset:         72
        .size:           8
        .value_kind:     by_value
      - .address_space:  global
        .offset:         80
        .size:           8
        .value_kind:     global_buffer
      - .offset:         88
        .size:           8
        .value_kind:     by_value
      - .offset:         96
        .size:           8
        .value_kind:     by_value
      - .offset:         104
        .size:           4
        .value_kind:     by_value
    .group_segment_fixed_size: 4096
    .kernarg_segment_align: 8
    .kernarg_segment_size: 108
    .language:       OpenCL C
    .language_version:
      - 2
      - 0
    .max_flat_workgroup_size: 256
    .name:           _ZL34rocblas_syrkx_herkx_general_kernelIl19rocblas_complex_numIfELi16ELi32ELi8ELb0ELb0ELc84ELc76EKS1_S1_EviT_T0_PT8_S3_lS6_S3_lS4_PT9_S3_li
    .private_segment_fixed_size: 0
    .sgpr_count:     34
    .sgpr_spill_count: 0
    .symbol:         _ZL34rocblas_syrkx_herkx_general_kernelIl19rocblas_complex_numIfELi16ELi32ELi8ELb0ELb0ELc84ELc76EKS1_S1_EviT_T0_PT8_S3_lS6_S3_lS4_PT9_S3_li.kd
    .uniform_work_group_size: 1
    .uses_dynamic_stack: false
    .vgpr_count:     59
    .vgpr_spill_count: 0
    .wavefront_size: 32
    .workgroup_processor_mode: 1
  - .args:
      - .offset:         0
        .size:           4
        .value_kind:     by_value
      - .offset:         8
        .size:           8
        .value_kind:     by_value
      - .offset:         16
        .size:           8
        .value_kind:     by_value
      - .address_space:  global
        .offset:         24
        .size:           8
        .value_kind:     global_buffer
      - .offset:         32
        .size:           8
        .value_kind:     by_value
      - .offset:         40
        .size:           8
        .value_kind:     by_value
      - .address_space:  global
        .offset:         48
        .size:           8
        .value_kind:     global_buffer
      - .offset:         56
        .size:           8
        .value_kind:     by_value
      - .offset:         64
        .size:           8
        .value_kind:     by_value
      - .offset:         72
        .size:           8
        .value_kind:     by_value
      - .address_space:  global
        .offset:         80
        .size:           8
        .value_kind:     global_buffer
      - .offset:         88
        .size:           8
        .value_kind:     by_value
      - .offset:         96
        .size:           8
        .value_kind:     by_value
      - .offset:         104
        .size:           4
        .value_kind:     by_value
    .group_segment_fixed_size: 4096
    .kernarg_segment_align: 8
    .kernarg_segment_size: 108
    .language:       OpenCL C
    .language_version:
      - 2
      - 0
    .max_flat_workgroup_size: 256
    .name:           _ZL34rocblas_syrkx_herkx_general_kernelIl19rocblas_complex_numIfELi16ELi32ELi8ELb0ELb0ELc67ELc76EKS1_S1_EviT_T0_PT8_S3_lS6_S3_lS4_PT9_S3_li
    .private_segment_fixed_size: 0
    .sgpr_count:     34
    .sgpr_spill_count: 0
    .symbol:         _ZL34rocblas_syrkx_herkx_general_kernelIl19rocblas_complex_numIfELi16ELi32ELi8ELb0ELb0ELc67ELc76EKS1_S1_EviT_T0_PT8_S3_lS6_S3_lS4_PT9_S3_li.kd
    .uniform_work_group_size: 1
    .uses_dynamic_stack: false
    .vgpr_count:     59
    .vgpr_spill_count: 0
    .wavefront_size: 32
    .workgroup_processor_mode: 1
  - .args:
      - .offset:         0
        .size:           4
        .value_kind:     by_value
      - .offset:         8
        .size:           8
        .value_kind:     by_value
      - .offset:         16
        .size:           8
        .value_kind:     by_value
      - .address_space:  global
        .offset:         24
        .size:           8
        .value_kind:     global_buffer
      - .offset:         32
        .size:           8
        .value_kind:     by_value
      - .offset:         40
        .size:           8
        .value_kind:     by_value
      - .address_space:  global
        .offset:         48
        .size:           8
        .value_kind:     global_buffer
      - .offset:         56
        .size:           8
        .value_kind:     by_value
      - .offset:         64
        .size:           8
        .value_kind:     by_value
      - .offset:         72
        .size:           8
        .value_kind:     by_value
      - .address_space:  global
        .offset:         80
        .size:           8
        .value_kind:     global_buffer
      - .offset:         88
        .size:           8
        .value_kind:     by_value
      - .offset:         96
        .size:           8
        .value_kind:     by_value
      - .offset:         104
        .size:           4
        .value_kind:     by_value
    .group_segment_fixed_size: 4096
    .kernarg_segment_align: 8
    .kernarg_segment_size: 108
    .language:       OpenCL C
    .language_version:
      - 2
      - 0
    .max_flat_workgroup_size: 256
    .name:           _ZL34rocblas_syrkx_herkx_general_kernelIl19rocblas_complex_numIfELi16ELi32ELi8ELb0ELb0ELc78ELc76EKS1_S1_EviT_T0_PT8_S3_lS6_S3_lS4_PT9_S3_li
    .private_segment_fixed_size: 0
    .sgpr_count:     34
    .sgpr_spill_count: 0
    .symbol:         _ZL34rocblas_syrkx_herkx_general_kernelIl19rocblas_complex_numIfELi16ELi32ELi8ELb0ELb0ELc78ELc76EKS1_S1_EviT_T0_PT8_S3_lS6_S3_lS4_PT9_S3_li.kd
    .uniform_work_group_size: 1
    .uses_dynamic_stack: false
    .vgpr_count:     59
    .vgpr_spill_count: 0
    .wavefront_size: 32
    .workgroup_processor_mode: 1
  - .args:
      - .offset:         0
        .size:           4
        .value_kind:     by_value
      - .offset:         8
        .size:           8
        .value_kind:     by_value
      - .offset:         16
        .size:           8
        .value_kind:     by_value
      - .address_space:  global
        .offset:         24
        .size:           8
        .value_kind:     global_buffer
      - .offset:         32
        .size:           8
        .value_kind:     by_value
      - .offset:         40
        .size:           8
        .value_kind:     by_value
      - .address_space:  global
        .offset:         48
        .size:           8
        .value_kind:     global_buffer
      - .offset:         56
        .size:           8
        .value_kind:     by_value
      - .offset:         64
        .size:           8
        .value_kind:     by_value
      - .offset:         72
        .size:           8
        .value_kind:     by_value
      - .address_space:  global
        .offset:         80
        .size:           8
        .value_kind:     global_buffer
      - .offset:         88
        .size:           8
        .value_kind:     by_value
      - .offset:         96
        .size:           8
        .value_kind:     by_value
      - .offset:         104
        .size:           4
        .value_kind:     by_value
    .group_segment_fixed_size: 4096
    .kernarg_segment_align: 8
    .kernarg_segment_size: 108
    .language:       OpenCL C
    .language_version:
      - 2
      - 0
    .max_flat_workgroup_size: 256
    .name:           _ZL34rocblas_syrkx_herkx_general_kernelIl19rocblas_complex_numIfELi16ELi32ELi8ELb0ELb0ELc84ELc85EKS1_S1_EviT_T0_PT8_S3_lS6_S3_lS4_PT9_S3_li
    .private_segment_fixed_size: 0
    .sgpr_count:     34
    .sgpr_spill_count: 0
    .symbol:         _ZL34rocblas_syrkx_herkx_general_kernelIl19rocblas_complex_numIfELi16ELi32ELi8ELb0ELb0ELc84ELc85EKS1_S1_EviT_T0_PT8_S3_lS6_S3_lS4_PT9_S3_li.kd
    .uniform_work_group_size: 1
    .uses_dynamic_stack: false
    .vgpr_count:     59
    .vgpr_spill_count: 0
    .wavefront_size: 32
    .workgroup_processor_mode: 1
  - .args:
      - .offset:         0
        .size:           4
        .value_kind:     by_value
      - .offset:         8
        .size:           8
        .value_kind:     by_value
      - .offset:         16
        .size:           8
        .value_kind:     by_value
      - .address_space:  global
        .offset:         24
        .size:           8
        .value_kind:     global_buffer
      - .offset:         32
        .size:           8
        .value_kind:     by_value
      - .offset:         40
        .size:           8
        .value_kind:     by_value
      - .address_space:  global
        .offset:         48
        .size:           8
        .value_kind:     global_buffer
      - .offset:         56
        .size:           8
        .value_kind:     by_value
      - .offset:         64
        .size:           8
        .value_kind:     by_value
      - .offset:         72
        .size:           8
        .value_kind:     by_value
      - .address_space:  global
        .offset:         80
        .size:           8
        .value_kind:     global_buffer
      - .offset:         88
        .size:           8
        .value_kind:     by_value
      - .offset:         96
        .size:           8
        .value_kind:     by_value
      - .offset:         104
        .size:           4
        .value_kind:     by_value
    .group_segment_fixed_size: 4096
    .kernarg_segment_align: 8
    .kernarg_segment_size: 108
    .language:       OpenCL C
    .language_version:
      - 2
      - 0
    .max_flat_workgroup_size: 256
    .name:           _ZL34rocblas_syrkx_herkx_general_kernelIl19rocblas_complex_numIfELi16ELi32ELi8ELb0ELb0ELc67ELc85EKS1_S1_EviT_T0_PT8_S3_lS6_S3_lS4_PT9_S3_li
    .private_segment_fixed_size: 0
    .sgpr_count:     34
    .sgpr_spill_count: 0
    .symbol:         _ZL34rocblas_syrkx_herkx_general_kernelIl19rocblas_complex_numIfELi16ELi32ELi8ELb0ELb0ELc67ELc85EKS1_S1_EviT_T0_PT8_S3_lS6_S3_lS4_PT9_S3_li.kd
    .uniform_work_group_size: 1
    .uses_dynamic_stack: false
    .vgpr_count:     59
    .vgpr_spill_count: 0
    .wavefront_size: 32
    .workgroup_processor_mode: 1
  - .args:
      - .offset:         0
        .size:           4
        .value_kind:     by_value
      - .offset:         8
        .size:           8
        .value_kind:     by_value
      - .offset:         16
        .size:           8
        .value_kind:     by_value
      - .address_space:  global
        .offset:         24
        .size:           8
        .value_kind:     global_buffer
      - .offset:         32
        .size:           8
        .value_kind:     by_value
      - .offset:         40
        .size:           8
        .value_kind:     by_value
      - .address_space:  global
        .offset:         48
        .size:           8
        .value_kind:     global_buffer
      - .offset:         56
        .size:           8
        .value_kind:     by_value
      - .offset:         64
        .size:           8
        .value_kind:     by_value
      - .offset:         72
        .size:           8
        .value_kind:     by_value
      - .address_space:  global
        .offset:         80
        .size:           8
        .value_kind:     global_buffer
      - .offset:         88
        .size:           8
        .value_kind:     by_value
      - .offset:         96
        .size:           8
        .value_kind:     by_value
      - .offset:         104
        .size:           4
        .value_kind:     by_value
    .group_segment_fixed_size: 4096
    .kernarg_segment_align: 8
    .kernarg_segment_size: 108
    .language:       OpenCL C
    .language_version:
      - 2
      - 0
    .max_flat_workgroup_size: 256
    .name:           _ZL34rocblas_syrkx_herkx_general_kernelIl19rocblas_complex_numIfELi16ELi32ELi8ELb0ELb0ELc78ELc85EKS1_S1_EviT_T0_PT8_S3_lS6_S3_lS4_PT9_S3_li
    .private_segment_fixed_size: 0
    .sgpr_count:     34
    .sgpr_spill_count: 0
    .symbol:         _ZL34rocblas_syrkx_herkx_general_kernelIl19rocblas_complex_numIfELi16ELi32ELi8ELb0ELb0ELc78ELc85EKS1_S1_EviT_T0_PT8_S3_lS6_S3_lS4_PT9_S3_li.kd
    .uniform_work_group_size: 1
    .uses_dynamic_stack: false
    .vgpr_count:     59
    .vgpr_spill_count: 0
    .wavefront_size: 32
    .workgroup_processor_mode: 1
  - .args:
      - .offset:         0
        .size:           1
        .value_kind:     by_value
      - .offset:         4
        .size:           4
        .value_kind:     by_value
      - .offset:         8
        .size:           8
        .value_kind:     by_value
      - .offset:         16
        .size:           8
        .value_kind:     by_value
      - .offset:         24
        .size:           8
        .value_kind:     by_value
      - .address_space:  global
        .offset:         32
        .size:           8
        .value_kind:     global_buffer
      - .offset:         40
        .size:           8
        .value_kind:     by_value
      - .offset:         48
        .size:           8
        .value_kind:     by_value
      - .offset:         56
        .size:           4
        .value_kind:     by_value
      - .offset:         64
        .size:           4
        .value_kind:     hidden_block_count_x
      - .offset:         68
        .size:           4
        .value_kind:     hidden_block_count_y
      - .offset:         72
        .size:           4
        .value_kind:     hidden_block_count_z
      - .offset:         76
        .size:           2
        .value_kind:     hidden_group_size_x
      - .offset:         78
        .size:           2
        .value_kind:     hidden_group_size_y
      - .offset:         80
        .size:           2
        .value_kind:     hidden_group_size_z
      - .offset:         82
        .size:           2
        .value_kind:     hidden_remainder_x
      - .offset:         84
        .size:           2
        .value_kind:     hidden_remainder_y
      - .offset:         86
        .size:           2
        .value_kind:     hidden_remainder_z
      - .offset:         104
        .size:           8
        .value_kind:     hidden_global_offset_x
      - .offset:         112
        .size:           8
        .value_kind:     hidden_global_offset_y
      - .offset:         120
        .size:           8
        .value_kind:     hidden_global_offset_z
      - .offset:         128
        .size:           2
        .value_kind:     hidden_grid_dims
    .group_segment_fixed_size: 0
    .kernarg_segment_align: 8
    .kernarg_segment_size: 320
    .language:       OpenCL C
    .language_version:
      - 2
      - 0
    .max_flat_workgroup_size: 1024
    .name:           _ZL26rocblas_syr2k_scale_kernelIlLi128ELi8ELb0E19rocblas_complex_numIfES1_PS1_EvbiT_T3_T4_T5_S3_li
    .private_segment_fixed_size: 0
    .sgpr_count:     18
    .sgpr_spill_count: 0
    .symbol:         _ZL26rocblas_syr2k_scale_kernelIlLi128ELi8ELb0E19rocblas_complex_numIfES1_PS1_EvbiT_T3_T4_T5_S3_li.kd
    .uniform_work_group_size: 1
    .uses_dynamic_stack: false
    .vgpr_count:     6
    .vgpr_spill_count: 0
    .wavefront_size: 32
    .workgroup_processor_mode: 1
  - .args:
      - .offset:         0
        .size:           1
        .value_kind:     by_value
      - .offset:         4
        .size:           4
        .value_kind:     by_value
      - .offset:         8
        .size:           8
        .value_kind:     by_value
      - .address_space:  global
        .offset:         16
        .size:           8
        .value_kind:     global_buffer
      - .address_space:  global
        .offset:         24
        .size:           8
        .value_kind:     global_buffer
      - .offset:         32
        .size:           8
        .value_kind:     by_value
      - .offset:         40
        .size:           8
        .value_kind:     by_value
      - .address_space:  global
        .offset:         48
        .size:           8
        .value_kind:     global_buffer
      - .offset:         56
        .size:           8
        .value_kind:     by_value
      - .offset:         64
        .size:           8
        .value_kind:     by_value
      - .address_space:  global
        .offset:         72
        .size:           8
        .value_kind:     global_buffer
      - .offset:         80
        .size:           8
        .value_kind:     by_value
      - .offset:         88
        .size:           8
        .value_kind:     by_value
      - .offset:         96
        .size:           4
        .value_kind:     by_value
    .group_segment_fixed_size: 16384
    .kernarg_segment_align: 8
    .kernarg_segment_size: 100
    .language:       OpenCL C
    .language_version:
      - 2
      - 0
    .max_flat_workgroup_size: 1024
    .name:           _ZL26rocblas_syr2k_her2k_kernelIlLb0ELb0ELb0ELi32EPK19rocblas_complex_numIfES3_PS1_EvbiT_T4_T5_S5_lS7_S5_lT6_S5_li
    .private_segment_fixed_size: 0
    .sgpr_count:     34
    .sgpr_spill_count: 0
    .symbol:         _ZL26rocblas_syr2k_her2k_kernelIlLb0ELb0ELb0ELi32EPK19rocblas_complex_numIfES3_PS1_EvbiT_T4_T5_S5_lS7_S5_lT6_S5_li.kd
    .uniform_work_group_size: 1
    .uses_dynamic_stack: false
    .vgpr_count:     36
    .vgpr_spill_count: 0
    .wavefront_size: 32
    .workgroup_processor_mode: 1
  - .args:
      - .offset:         0
        .size:           1
        .value_kind:     by_value
      - .offset:         4
        .size:           4
        .value_kind:     by_value
      - .offset:         8
        .size:           8
        .value_kind:     by_value
      - .address_space:  global
        .offset:         16
        .size:           8
        .value_kind:     global_buffer
      - .address_space:  global
        .offset:         24
        .size:           8
        .value_kind:     global_buffer
      - .offset:         32
        .size:           8
        .value_kind:     by_value
      - .offset:         40
        .size:           8
        .value_kind:     by_value
      - .address_space:  global
        .offset:         48
        .size:           8
        .value_kind:     global_buffer
      - .offset:         56
        .size:           8
        .value_kind:     by_value
      - .offset:         64
        .size:           8
        .value_kind:     by_value
      - .address_space:  global
        .offset:         72
        .size:           8
        .value_kind:     global_buffer
      - .offset:         80
        .size:           8
        .value_kind:     by_value
      - .offset:         88
        .size:           8
        .value_kind:     by_value
      - .offset:         96
        .size:           4
        .value_kind:     by_value
    .group_segment_fixed_size: 16384
    .kernarg_segment_align: 8
    .kernarg_segment_size: 100
    .language:       OpenCL C
    .language_version:
      - 2
      - 0
    .max_flat_workgroup_size: 1024
    .name:           _ZL26rocblas_syr2k_her2k_kernelIlLb0ELb0ELb1ELi32EPK19rocblas_complex_numIfES3_PS1_EvbiT_T4_T5_S5_lS7_S5_lT6_S5_li
    .private_segment_fixed_size: 0
    .sgpr_count:     34
    .sgpr_spill_count: 0
    .symbol:         _ZL26rocblas_syr2k_her2k_kernelIlLb0ELb0ELb1ELi32EPK19rocblas_complex_numIfES3_PS1_EvbiT_T4_T5_S5_lS7_S5_lT6_S5_li.kd
    .uniform_work_group_size: 1
    .uses_dynamic_stack: false
    .vgpr_count:     36
    .vgpr_spill_count: 0
    .wavefront_size: 32
    .workgroup_processor_mode: 1
  - .args:
      - .offset:         0
        .size:           1
        .value_kind:     by_value
      - .offset:         4
        .size:           4
        .value_kind:     by_value
      - .offset:         8
        .size:           8
        .value_kind:     by_value
      - .offset:         16
        .size:           16
        .value_kind:     by_value
      - .address_space:  global
        .offset:         32
        .size:           8
        .value_kind:     global_buffer
      - .offset:         40
        .size:           8
        .value_kind:     by_value
      - .offset:         48
        .size:           8
        .value_kind:     by_value
      - .address_space:  global
        .offset:         56
        .size:           8
        .value_kind:     global_buffer
      - .offset:         64
        .size:           8
        .value_kind:     by_value
      - .offset:         72
        .size:           8
        .value_kind:     by_value
      - .address_space:  global
        .offset:         80
        .size:           8
        .value_kind:     global_buffer
      - .offset:         88
        .size:           8
        .value_kind:     by_value
      - .offset:         96
        .size:           8
        .value_kind:     by_value
      - .offset:         104
        .size:           4
        .value_kind:     by_value
    .group_segment_fixed_size: 32768
    .kernarg_segment_align: 8
    .kernarg_segment_size: 108
    .language:       OpenCL C
    .language_version:
      - 2
      - 0
    .max_flat_workgroup_size: 1024
    .name:           _ZL26rocblas_syr2k_her2k_kernelIlLb0ELb0ELb0ELi32E19rocblas_complex_numIdEPKS1_PS1_EvbiT_T4_T5_S5_lS7_S5_lT6_S5_li
    .private_segment_fixed_size: 0
    .sgpr_count:     34
    .sgpr_spill_count: 0
    .symbol:         _ZL26rocblas_syr2k_her2k_kernelIlLb0ELb0ELb0ELi32E19rocblas_complex_numIdEPKS1_PS1_EvbiT_T4_T5_S5_lS7_S5_lT6_S5_li.kd
    .uniform_work_group_size: 1
    .uses_dynamic_stack: false
    .vgpr_count:     52
    .vgpr_spill_count: 0
    .wavefront_size: 32
    .workgroup_processor_mode: 1
  - .args:
      - .offset:         0
        .size:           1
        .value_kind:     by_value
      - .offset:         4
        .size:           4
        .value_kind:     by_value
      - .offset:         8
        .size:           8
        .value_kind:     by_value
      - .offset:         16
        .size:           16
        .value_kind:     by_value
      - .address_space:  global
        .offset:         32
        .size:           8
        .value_kind:     global_buffer
      - .offset:         40
        .size:           8
        .value_kind:     by_value
      - .offset:         48
        .size:           8
        .value_kind:     by_value
      - .address_space:  global
        .offset:         56
        .size:           8
        .value_kind:     global_buffer
      - .offset:         64
        .size:           8
        .value_kind:     by_value
      - .offset:         72
        .size:           8
        .value_kind:     by_value
      - .address_space:  global
        .offset:         80
        .size:           8
        .value_kind:     global_buffer
      - .offset:         88
        .size:           8
        .value_kind:     by_value
      - .offset:         96
        .size:           8
        .value_kind:     by_value
      - .offset:         104
        .size:           4
        .value_kind:     by_value
    .group_segment_fixed_size: 32768
    .kernarg_segment_align: 8
    .kernarg_segment_size: 108
    .language:       OpenCL C
    .language_version:
      - 2
      - 0
    .max_flat_workgroup_size: 1024
    .name:           _ZL26rocblas_syr2k_her2k_kernelIlLb0ELb0ELb1ELi32E19rocblas_complex_numIdEPKS1_PS1_EvbiT_T4_T5_S5_lS7_S5_lT6_S5_li
    .private_segment_fixed_size: 0
    .sgpr_count:     34
    .sgpr_spill_count: 0
    .symbol:         _ZL26rocblas_syr2k_her2k_kernelIlLb0ELb0ELb1ELi32E19rocblas_complex_numIdEPKS1_PS1_EvbiT_T4_T5_S5_lS7_S5_lT6_S5_li.kd
    .uniform_work_group_size: 1
    .uses_dynamic_stack: false
    .vgpr_count:     52
    .vgpr_spill_count: 0
    .wavefront_size: 32
    .workgroup_processor_mode: 1
  - .args:
      - .offset:         0
        .size:           4
        .value_kind:     by_value
      - .offset:         8
        .size:           8
        .value_kind:     by_value
      - .address_space:  global
        .offset:         16
        .size:           8
        .value_kind:     global_buffer
      - .offset:         24
        .size:           8
        .value_kind:     by_value
      - .offset:         32
        .size:           8
        .value_kind:     by_value
      - .address_space:  global
        .offset:         40
        .size:           8
        .value_kind:     global_buffer
      - .offset:         48
        .size:           8
        .value_kind:     by_value
      - .offset:         56
        .size:           8
        .value_kind:     by_value
      - .address_space:  global
        .offset:         64
        .size:           8
        .value_kind:     global_buffer
      - .offset:         72
        .size:           8
        .value_kind:     by_value
      - .offset:         80
        .size:           8
        .value_kind:     by_value
      - .offset:         88
        .size:           4
        .value_kind:     by_value
    .group_segment_fixed_size: 8192
    .kernarg_segment_align: 8
    .kernarg_segment_size: 92
    .language:       OpenCL C
    .language_version:
      - 2
      - 0
    .max_flat_workgroup_size: 256
    .name:           _ZL37rocblas_syrkx_herkx_restricted_kernelIl19rocblas_complex_numIdELi16ELi32ELi8ELi1ELi1ELb0ELc84ELc76EKS1_S1_EviT_PT9_S3_lS5_S3_lPT10_S3_li
    .private_segment_fixed_size: 0
    .sgpr_count:     34
    .sgpr_spill_count: 0
    .symbol:         _ZL37rocblas_syrkx_herkx_restricted_kernelIl19rocblas_complex_numIdELi16ELi32ELi8ELi1ELi1ELb0ELc84ELc76EKS1_S1_EviT_PT9_S3_lS5_S3_lPT10_S3_li.kd
    .uniform_work_group_size: 1
    .uses_dynamic_stack: false
    .vgpr_count:     118
    .vgpr_spill_count: 0
    .wavefront_size: 32
    .workgroup_processor_mode: 1
  - .args:
      - .offset:         0
        .size:           4
        .value_kind:     by_value
      - .offset:         8
        .size:           8
        .value_kind:     by_value
      - .address_space:  global
        .offset:         16
        .size:           8
        .value_kind:     global_buffer
      - .offset:         24
        .size:           8
        .value_kind:     by_value
      - .offset:         32
        .size:           8
        .value_kind:     by_value
      - .address_space:  global
        .offset:         40
        .size:           8
        .value_kind:     global_buffer
      - .offset:         48
        .size:           8
        .value_kind:     by_value
      - .offset:         56
        .size:           8
        .value_kind:     by_value
      - .address_space:  global
        .offset:         64
        .size:           8
        .value_kind:     global_buffer
      - .offset:         72
        .size:           8
        .value_kind:     by_value
      - .offset:         80
        .size:           8
        .value_kind:     by_value
      - .offset:         88
        .size:           4
        .value_kind:     by_value
    .group_segment_fixed_size: 8192
    .kernarg_segment_align: 8
    .kernarg_segment_size: 92
    .language:       OpenCL C
    .language_version:
      - 2
      - 0
    .max_flat_workgroup_size: 256
    .name:           _ZL37rocblas_syrkx_herkx_restricted_kernelIl19rocblas_complex_numIdELi16ELi32ELi8ELi1ELi1ELb0ELc67ELc76EKS1_S1_EviT_PT9_S3_lS5_S3_lPT10_S3_li
    .private_segment_fixed_size: 0
    .sgpr_count:     34
    .sgpr_spill_count: 0
    .symbol:         _ZL37rocblas_syrkx_herkx_restricted_kernelIl19rocblas_complex_numIdELi16ELi32ELi8ELi1ELi1ELb0ELc67ELc76EKS1_S1_EviT_PT9_S3_lS5_S3_lPT10_S3_li.kd
    .uniform_work_group_size: 1
    .uses_dynamic_stack: false
    .vgpr_count:     118
    .vgpr_spill_count: 0
    .wavefront_size: 32
    .workgroup_processor_mode: 1
  - .args:
      - .offset:         0
        .size:           4
        .value_kind:     by_value
      - .offset:         8
        .size:           8
        .value_kind:     by_value
      - .address_space:  global
        .offset:         16
        .size:           8
        .value_kind:     global_buffer
      - .offset:         24
        .size:           8
        .value_kind:     by_value
      - .offset:         32
        .size:           8
        .value_kind:     by_value
      - .address_space:  global
        .offset:         40
        .size:           8
        .value_kind:     global_buffer
      - .offset:         48
        .size:           8
        .value_kind:     by_value
      - .offset:         56
        .size:           8
        .value_kind:     by_value
      - .address_space:  global
        .offset:         64
        .size:           8
        .value_kind:     global_buffer
      - .offset:         72
        .size:           8
        .value_kind:     by_value
      - .offset:         80
        .size:           8
        .value_kind:     by_value
      - .offset:         88
        .size:           4
        .value_kind:     by_value
    .group_segment_fixed_size: 8192
    .kernarg_segment_align: 8
    .kernarg_segment_size: 92
    .language:       OpenCL C
    .language_version:
      - 2
      - 0
    .max_flat_workgroup_size: 256
    .name:           _ZL37rocblas_syrkx_herkx_restricted_kernelIl19rocblas_complex_numIdELi16ELi32ELi8ELi1ELi1ELb0ELc78ELc76EKS1_S1_EviT_PT9_S3_lS5_S3_lPT10_S3_li
    .private_segment_fixed_size: 0
    .sgpr_count:     34
    .sgpr_spill_count: 0
    .symbol:         _ZL37rocblas_syrkx_herkx_restricted_kernelIl19rocblas_complex_numIdELi16ELi32ELi8ELi1ELi1ELb0ELc78ELc76EKS1_S1_EviT_PT9_S3_lS5_S3_lPT10_S3_li.kd
    .uniform_work_group_size: 1
    .uses_dynamic_stack: false
    .vgpr_count:     118
    .vgpr_spill_count: 0
    .wavefront_size: 32
    .workgroup_processor_mode: 1
  - .args:
      - .offset:         0
        .size:           4
        .value_kind:     by_value
      - .offset:         8
        .size:           8
        .value_kind:     by_value
      - .address_space:  global
        .offset:         16
        .size:           8
        .value_kind:     global_buffer
      - .offset:         24
        .size:           8
        .value_kind:     by_value
      - .offset:         32
        .size:           8
        .value_kind:     by_value
      - .address_space:  global
        .offset:         40
        .size:           8
        .value_kind:     global_buffer
      - .offset:         48
        .size:           8
        .value_kind:     by_value
      - .offset:         56
        .size:           8
        .value_kind:     by_value
      - .address_space:  global
        .offset:         64
        .size:           8
        .value_kind:     global_buffer
      - .offset:         72
        .size:           8
        .value_kind:     by_value
      - .offset:         80
        .size:           8
        .value_kind:     by_value
      - .offset:         88
        .size:           4
        .value_kind:     by_value
    .group_segment_fixed_size: 8192
    .kernarg_segment_align: 8
    .kernarg_segment_size: 92
    .language:       OpenCL C
    .language_version:
      - 2
      - 0
    .max_flat_workgroup_size: 256
    .name:           _ZL37rocblas_syrkx_herkx_restricted_kernelIl19rocblas_complex_numIdELi16ELi32ELi8ELi1ELi1ELb0ELc84ELc85EKS1_S1_EviT_PT9_S3_lS5_S3_lPT10_S3_li
    .private_segment_fixed_size: 0
    .sgpr_count:     34
    .sgpr_spill_count: 0
    .symbol:         _ZL37rocblas_syrkx_herkx_restricted_kernelIl19rocblas_complex_numIdELi16ELi32ELi8ELi1ELi1ELb0ELc84ELc85EKS1_S1_EviT_PT9_S3_lS5_S3_lPT10_S3_li.kd
    .uniform_work_group_size: 1
    .uses_dynamic_stack: false
    .vgpr_count:     118
    .vgpr_spill_count: 0
    .wavefront_size: 32
    .workgroup_processor_mode: 1
  - .args:
      - .offset:         0
        .size:           4
        .value_kind:     by_value
      - .offset:         8
        .size:           8
        .value_kind:     by_value
      - .address_space:  global
        .offset:         16
        .size:           8
        .value_kind:     global_buffer
      - .offset:         24
        .size:           8
        .value_kind:     by_value
      - .offset:         32
        .size:           8
        .value_kind:     by_value
      - .address_space:  global
        .offset:         40
        .size:           8
        .value_kind:     global_buffer
      - .offset:         48
        .size:           8
        .value_kind:     by_value
      - .offset:         56
        .size:           8
        .value_kind:     by_value
      - .address_space:  global
        .offset:         64
        .size:           8
        .value_kind:     global_buffer
      - .offset:         72
        .size:           8
        .value_kind:     by_value
      - .offset:         80
        .size:           8
        .value_kind:     by_value
      - .offset:         88
        .size:           4
        .value_kind:     by_value
    .group_segment_fixed_size: 8192
    .kernarg_segment_align: 8
    .kernarg_segment_size: 92
    .language:       OpenCL C
    .language_version:
      - 2
      - 0
    .max_flat_workgroup_size: 256
    .name:           _ZL37rocblas_syrkx_herkx_restricted_kernelIl19rocblas_complex_numIdELi16ELi32ELi8ELi1ELi1ELb0ELc67ELc85EKS1_S1_EviT_PT9_S3_lS5_S3_lPT10_S3_li
    .private_segment_fixed_size: 0
    .sgpr_count:     34
    .sgpr_spill_count: 0
    .symbol:         _ZL37rocblas_syrkx_herkx_restricted_kernelIl19rocblas_complex_numIdELi16ELi32ELi8ELi1ELi1ELb0ELc67ELc85EKS1_S1_EviT_PT9_S3_lS5_S3_lPT10_S3_li.kd
    .uniform_work_group_size: 1
    .uses_dynamic_stack: false
    .vgpr_count:     118
    .vgpr_spill_count: 0
    .wavefront_size: 32
    .workgroup_processor_mode: 1
  - .args:
      - .offset:         0
        .size:           4
        .value_kind:     by_value
      - .offset:         8
        .size:           8
        .value_kind:     by_value
      - .address_space:  global
        .offset:         16
        .size:           8
        .value_kind:     global_buffer
      - .offset:         24
        .size:           8
        .value_kind:     by_value
      - .offset:         32
        .size:           8
        .value_kind:     by_value
      - .address_space:  global
        .offset:         40
        .size:           8
        .value_kind:     global_buffer
      - .offset:         48
        .size:           8
        .value_kind:     by_value
      - .offset:         56
        .size:           8
        .value_kind:     by_value
      - .address_space:  global
        .offset:         64
        .size:           8
        .value_kind:     global_buffer
      - .offset:         72
        .size:           8
        .value_kind:     by_value
      - .offset:         80
        .size:           8
        .value_kind:     by_value
      - .offset:         88
        .size:           4
        .value_kind:     by_value
    .group_segment_fixed_size: 8192
    .kernarg_segment_align: 8
    .kernarg_segment_size: 92
    .language:       OpenCL C
    .language_version:
      - 2
      - 0
    .max_flat_workgroup_size: 256
    .name:           _ZL37rocblas_syrkx_herkx_restricted_kernelIl19rocblas_complex_numIdELi16ELi32ELi8ELi1ELi1ELb0ELc78ELc85EKS1_S1_EviT_PT9_S3_lS5_S3_lPT10_S3_li
    .private_segment_fixed_size: 0
    .sgpr_count:     34
    .sgpr_spill_count: 0
    .symbol:         _ZL37rocblas_syrkx_herkx_restricted_kernelIl19rocblas_complex_numIdELi16ELi32ELi8ELi1ELi1ELb0ELc78ELc85EKS1_S1_EviT_PT9_S3_lS5_S3_lPT10_S3_li.kd
    .uniform_work_group_size: 1
    .uses_dynamic_stack: false
    .vgpr_count:     118
    .vgpr_spill_count: 0
    .wavefront_size: 32
    .workgroup_processor_mode: 1
  - .args:
      - .offset:         0
        .size:           4
        .value_kind:     by_value
      - .offset:         8
        .size:           8
        .value_kind:     by_value
      - .address_space:  global
        .offset:         16
        .size:           8
        .value_kind:     global_buffer
      - .offset:         24
        .size:           8
        .value_kind:     by_value
      - .offset:         32
        .size:           8
        .value_kind:     by_value
      - .address_space:  global
        .offset:         40
        .size:           8
        .value_kind:     global_buffer
      - .offset:         48
        .size:           8
        .value_kind:     by_value
      - .offset:         56
        .size:           8
        .value_kind:     by_value
      - .address_space:  global
        .offset:         64
        .size:           8
        .value_kind:     global_buffer
      - .offset:         72
        .size:           8
        .value_kind:     by_value
      - .offset:         80
        .size:           8
        .value_kind:     by_value
      - .offset:         88
        .size:           4
        .value_kind:     by_value
    .group_segment_fixed_size: 8192
    .kernarg_segment_align: 8
    .kernarg_segment_size: 92
    .language:       OpenCL C
    .language_version:
      - 2
      - 0
    .max_flat_workgroup_size: 256
    .name:           _ZL37rocblas_syrkx_herkx_restricted_kernelIl19rocblas_complex_numIdELi16ELi32ELi8ELi1ELin1ELb0ELc84ELc76EKS1_S1_EviT_PT9_S3_lS5_S3_lPT10_S3_li
    .private_segment_fixed_size: 0
    .sgpr_count:     34
    .sgpr_spill_count: 0
    .symbol:         _ZL37rocblas_syrkx_herkx_restricted_kernelIl19rocblas_complex_numIdELi16ELi32ELi8ELi1ELin1ELb0ELc84ELc76EKS1_S1_EviT_PT9_S3_lS5_S3_lPT10_S3_li.kd
    .uniform_work_group_size: 1
    .uses_dynamic_stack: false
    .vgpr_count:     118
    .vgpr_spill_count: 0
    .wavefront_size: 32
    .workgroup_processor_mode: 1
  - .args:
      - .offset:         0
        .size:           4
        .value_kind:     by_value
      - .offset:         8
        .size:           8
        .value_kind:     by_value
      - .address_space:  global
        .offset:         16
        .size:           8
        .value_kind:     global_buffer
      - .offset:         24
        .size:           8
        .value_kind:     by_value
      - .offset:         32
        .size:           8
        .value_kind:     by_value
      - .address_space:  global
        .offset:         40
        .size:           8
        .value_kind:     global_buffer
      - .offset:         48
        .size:           8
        .value_kind:     by_value
      - .offset:         56
        .size:           8
        .value_kind:     by_value
      - .address_space:  global
        .offset:         64
        .size:           8
        .value_kind:     global_buffer
      - .offset:         72
        .size:           8
        .value_kind:     by_value
      - .offset:         80
        .size:           8
        .value_kind:     by_value
      - .offset:         88
        .size:           4
        .value_kind:     by_value
    .group_segment_fixed_size: 8192
    .kernarg_segment_align: 8
    .kernarg_segment_size: 92
    .language:       OpenCL C
    .language_version:
      - 2
      - 0
    .max_flat_workgroup_size: 256
    .name:           _ZL37rocblas_syrkx_herkx_restricted_kernelIl19rocblas_complex_numIdELi16ELi32ELi8ELi1ELin1ELb0ELc67ELc76EKS1_S1_EviT_PT9_S3_lS5_S3_lPT10_S3_li
    .private_segment_fixed_size: 0
    .sgpr_count:     34
    .sgpr_spill_count: 0
    .symbol:         _ZL37rocblas_syrkx_herkx_restricted_kernelIl19rocblas_complex_numIdELi16ELi32ELi8ELi1ELin1ELb0ELc67ELc76EKS1_S1_EviT_PT9_S3_lS5_S3_lPT10_S3_li.kd
    .uniform_work_group_size: 1
    .uses_dynamic_stack: false
    .vgpr_count:     118
    .vgpr_spill_count: 0
    .wavefront_size: 32
    .workgroup_processor_mode: 1
  - .args:
      - .offset:         0
        .size:           4
        .value_kind:     by_value
      - .offset:         8
        .size:           8
        .value_kind:     by_value
      - .address_space:  global
        .offset:         16
        .size:           8
        .value_kind:     global_buffer
      - .offset:         24
        .size:           8
        .value_kind:     by_value
      - .offset:         32
        .size:           8
        .value_kind:     by_value
      - .address_space:  global
        .offset:         40
        .size:           8
        .value_kind:     global_buffer
      - .offset:         48
        .size:           8
        .value_kind:     by_value
      - .offset:         56
        .size:           8
        .value_kind:     by_value
      - .address_space:  global
        .offset:         64
        .size:           8
        .value_kind:     global_buffer
      - .offset:         72
        .size:           8
        .value_kind:     by_value
      - .offset:         80
        .size:           8
        .value_kind:     by_value
      - .offset:         88
        .size:           4
        .value_kind:     by_value
    .group_segment_fixed_size: 8192
    .kernarg_segment_align: 8
    .kernarg_segment_size: 92
    .language:       OpenCL C
    .language_version:
      - 2
      - 0
    .max_flat_workgroup_size: 256
    .name:           _ZL37rocblas_syrkx_herkx_restricted_kernelIl19rocblas_complex_numIdELi16ELi32ELi8ELi1ELin1ELb0ELc78ELc76EKS1_S1_EviT_PT9_S3_lS5_S3_lPT10_S3_li
    .private_segment_fixed_size: 0
    .sgpr_count:     34
    .sgpr_spill_count: 0
    .symbol:         _ZL37rocblas_syrkx_herkx_restricted_kernelIl19rocblas_complex_numIdELi16ELi32ELi8ELi1ELin1ELb0ELc78ELc76EKS1_S1_EviT_PT9_S3_lS5_S3_lPT10_S3_li.kd
    .uniform_work_group_size: 1
    .uses_dynamic_stack: false
    .vgpr_count:     118
    .vgpr_spill_count: 0
    .wavefront_size: 32
    .workgroup_processor_mode: 1
  - .args:
      - .offset:         0
        .size:           4
        .value_kind:     by_value
      - .offset:         8
        .size:           8
        .value_kind:     by_value
      - .address_space:  global
        .offset:         16
        .size:           8
        .value_kind:     global_buffer
      - .offset:         24
        .size:           8
        .value_kind:     by_value
      - .offset:         32
        .size:           8
        .value_kind:     by_value
      - .address_space:  global
        .offset:         40
        .size:           8
        .value_kind:     global_buffer
      - .offset:         48
        .size:           8
        .value_kind:     by_value
      - .offset:         56
        .size:           8
        .value_kind:     by_value
      - .address_space:  global
        .offset:         64
        .size:           8
        .value_kind:     global_buffer
      - .offset:         72
        .size:           8
        .value_kind:     by_value
      - .offset:         80
        .size:           8
        .value_kind:     by_value
      - .offset:         88
        .size:           4
        .value_kind:     by_value
    .group_segment_fixed_size: 8192
    .kernarg_segment_align: 8
    .kernarg_segment_size: 92
    .language:       OpenCL C
    .language_version:
      - 2
      - 0
    .max_flat_workgroup_size: 256
    .name:           _ZL37rocblas_syrkx_herkx_restricted_kernelIl19rocblas_complex_numIdELi16ELi32ELi8ELi1ELin1ELb0ELc84ELc85EKS1_S1_EviT_PT9_S3_lS5_S3_lPT10_S3_li
    .private_segment_fixed_size: 0
    .sgpr_count:     34
    .sgpr_spill_count: 0
    .symbol:         _ZL37rocblas_syrkx_herkx_restricted_kernelIl19rocblas_complex_numIdELi16ELi32ELi8ELi1ELin1ELb0ELc84ELc85EKS1_S1_EviT_PT9_S3_lS5_S3_lPT10_S3_li.kd
    .uniform_work_group_size: 1
    .uses_dynamic_stack: false
    .vgpr_count:     118
    .vgpr_spill_count: 0
    .wavefront_size: 32
    .workgroup_processor_mode: 1
  - .args:
      - .offset:         0
        .size:           4
        .value_kind:     by_value
      - .offset:         8
        .size:           8
        .value_kind:     by_value
      - .address_space:  global
        .offset:         16
        .size:           8
        .value_kind:     global_buffer
      - .offset:         24
        .size:           8
        .value_kind:     by_value
      - .offset:         32
        .size:           8
        .value_kind:     by_value
      - .address_space:  global
        .offset:         40
        .size:           8
        .value_kind:     global_buffer
      - .offset:         48
        .size:           8
        .value_kind:     by_value
      - .offset:         56
        .size:           8
        .value_kind:     by_value
      - .address_space:  global
        .offset:         64
        .size:           8
        .value_kind:     global_buffer
      - .offset:         72
        .size:           8
        .value_kind:     by_value
      - .offset:         80
        .size:           8
        .value_kind:     by_value
      - .offset:         88
        .size:           4
        .value_kind:     by_value
    .group_segment_fixed_size: 8192
    .kernarg_segment_align: 8
    .kernarg_segment_size: 92
    .language:       OpenCL C
    .language_version:
      - 2
      - 0
    .max_flat_workgroup_size: 256
    .name:           _ZL37rocblas_syrkx_herkx_restricted_kernelIl19rocblas_complex_numIdELi16ELi32ELi8ELi1ELin1ELb0ELc67ELc85EKS1_S1_EviT_PT9_S3_lS5_S3_lPT10_S3_li
    .private_segment_fixed_size: 0
    .sgpr_count:     34
    .sgpr_spill_count: 0
    .symbol:         _ZL37rocblas_syrkx_herkx_restricted_kernelIl19rocblas_complex_numIdELi16ELi32ELi8ELi1ELin1ELb0ELc67ELc85EKS1_S1_EviT_PT9_S3_lS5_S3_lPT10_S3_li.kd
    .uniform_work_group_size: 1
    .uses_dynamic_stack: false
    .vgpr_count:     118
    .vgpr_spill_count: 0
    .wavefront_size: 32
    .workgroup_processor_mode: 1
  - .args:
      - .offset:         0
        .size:           4
        .value_kind:     by_value
      - .offset:         8
        .size:           8
        .value_kind:     by_value
      - .address_space:  global
        .offset:         16
        .size:           8
        .value_kind:     global_buffer
      - .offset:         24
        .size:           8
        .value_kind:     by_value
      - .offset:         32
        .size:           8
        .value_kind:     by_value
      - .address_space:  global
        .offset:         40
        .size:           8
        .value_kind:     global_buffer
      - .offset:         48
        .size:           8
        .value_kind:     by_value
      - .offset:         56
        .size:           8
        .value_kind:     by_value
      - .address_space:  global
        .offset:         64
        .size:           8
        .value_kind:     global_buffer
      - .offset:         72
        .size:           8
        .value_kind:     by_value
      - .offset:         80
        .size:           8
        .value_kind:     by_value
      - .offset:         88
        .size:           4
        .value_kind:     by_value
    .group_segment_fixed_size: 8192
    .kernarg_segment_align: 8
    .kernarg_segment_size: 92
    .language:       OpenCL C
    .language_version:
      - 2
      - 0
    .max_flat_workgroup_size: 256
    .name:           _ZL37rocblas_syrkx_herkx_restricted_kernelIl19rocblas_complex_numIdELi16ELi32ELi8ELi1ELin1ELb0ELc78ELc85EKS1_S1_EviT_PT9_S3_lS5_S3_lPT10_S3_li
    .private_segment_fixed_size: 0
    .sgpr_count:     34
    .sgpr_spill_count: 0
    .symbol:         _ZL37rocblas_syrkx_herkx_restricted_kernelIl19rocblas_complex_numIdELi16ELi32ELi8ELi1ELin1ELb0ELc78ELc85EKS1_S1_EviT_PT9_S3_lS5_S3_lPT10_S3_li.kd
    .uniform_work_group_size: 1
    .uses_dynamic_stack: false
    .vgpr_count:     118
    .vgpr_spill_count: 0
    .wavefront_size: 32
    .workgroup_processor_mode: 1
  - .args:
      - .offset:         0
        .size:           4
        .value_kind:     by_value
      - .offset:         8
        .size:           8
        .value_kind:     by_value
      - .address_space:  global
        .offset:         16
        .size:           8
        .value_kind:     global_buffer
      - .offset:         24
        .size:           8
        .value_kind:     by_value
      - .offset:         32
        .size:           8
        .value_kind:     by_value
      - .address_space:  global
        .offset:         40
        .size:           8
        .value_kind:     global_buffer
      - .offset:         48
        .size:           8
        .value_kind:     by_value
      - .offset:         56
        .size:           8
        .value_kind:     by_value
      - .address_space:  global
        .offset:         64
        .size:           8
        .value_kind:     global_buffer
      - .offset:         72
        .size:           8
        .value_kind:     by_value
      - .offset:         80
        .size:           8
        .value_kind:     by_value
      - .offset:         88
        .size:           4
        .value_kind:     by_value
    .group_segment_fixed_size: 8192
    .kernarg_segment_align: 8
    .kernarg_segment_size: 92
    .language:       OpenCL C
    .language_version:
      - 2
      - 0
    .max_flat_workgroup_size: 256
    .name:           _ZL37rocblas_syrkx_herkx_restricted_kernelIl19rocblas_complex_numIdELi16ELi32ELi8ELi1ELi0ELb0ELc84ELc76EKS1_S1_EviT_PT9_S3_lS5_S3_lPT10_S3_li
    .private_segment_fixed_size: 0
    .sgpr_count:     34
    .sgpr_spill_count: 0
    .symbol:         _ZL37rocblas_syrkx_herkx_restricted_kernelIl19rocblas_complex_numIdELi16ELi32ELi8ELi1ELi0ELb0ELc84ELc76EKS1_S1_EviT_PT9_S3_lS5_S3_lPT10_S3_li.kd
    .uniform_work_group_size: 1
    .uses_dynamic_stack: false
    .vgpr_count:     118
    .vgpr_spill_count: 0
    .wavefront_size: 32
    .workgroup_processor_mode: 1
  - .args:
      - .offset:         0
        .size:           4
        .value_kind:     by_value
      - .offset:         8
        .size:           8
        .value_kind:     by_value
      - .address_space:  global
        .offset:         16
        .size:           8
        .value_kind:     global_buffer
      - .offset:         24
        .size:           8
        .value_kind:     by_value
      - .offset:         32
        .size:           8
        .value_kind:     by_value
      - .address_space:  global
        .offset:         40
        .size:           8
        .value_kind:     global_buffer
      - .offset:         48
        .size:           8
        .value_kind:     by_value
      - .offset:         56
        .size:           8
        .value_kind:     by_value
      - .address_space:  global
        .offset:         64
        .size:           8
        .value_kind:     global_buffer
      - .offset:         72
        .size:           8
        .value_kind:     by_value
      - .offset:         80
        .size:           8
        .value_kind:     by_value
      - .offset:         88
        .size:           4
        .value_kind:     by_value
    .group_segment_fixed_size: 8192
    .kernarg_segment_align: 8
    .kernarg_segment_size: 92
    .language:       OpenCL C
    .language_version:
      - 2
      - 0
    .max_flat_workgroup_size: 256
    .name:           _ZL37rocblas_syrkx_herkx_restricted_kernelIl19rocblas_complex_numIdELi16ELi32ELi8ELi1ELi0ELb0ELc67ELc76EKS1_S1_EviT_PT9_S3_lS5_S3_lPT10_S3_li
    .private_segment_fixed_size: 0
    .sgpr_count:     34
    .sgpr_spill_count: 0
    .symbol:         _ZL37rocblas_syrkx_herkx_restricted_kernelIl19rocblas_complex_numIdELi16ELi32ELi8ELi1ELi0ELb0ELc67ELc76EKS1_S1_EviT_PT9_S3_lS5_S3_lPT10_S3_li.kd
    .uniform_work_group_size: 1
    .uses_dynamic_stack: false
    .vgpr_count:     118
    .vgpr_spill_count: 0
    .wavefront_size: 32
    .workgroup_processor_mode: 1
  - .args:
      - .offset:         0
        .size:           4
        .value_kind:     by_value
      - .offset:         8
        .size:           8
        .value_kind:     by_value
      - .address_space:  global
        .offset:         16
        .size:           8
        .value_kind:     global_buffer
      - .offset:         24
        .size:           8
        .value_kind:     by_value
      - .offset:         32
        .size:           8
        .value_kind:     by_value
      - .address_space:  global
        .offset:         40
        .size:           8
        .value_kind:     global_buffer
      - .offset:         48
        .size:           8
        .value_kind:     by_value
      - .offset:         56
        .size:           8
        .value_kind:     by_value
      - .address_space:  global
        .offset:         64
        .size:           8
        .value_kind:     global_buffer
      - .offset:         72
        .size:           8
        .value_kind:     by_value
      - .offset:         80
        .size:           8
        .value_kind:     by_value
      - .offset:         88
        .size:           4
        .value_kind:     by_value
    .group_segment_fixed_size: 8192
    .kernarg_segment_align: 8
    .kernarg_segment_size: 92
    .language:       OpenCL C
    .language_version:
      - 2
      - 0
    .max_flat_workgroup_size: 256
    .name:           _ZL37rocblas_syrkx_herkx_restricted_kernelIl19rocblas_complex_numIdELi16ELi32ELi8ELi1ELi0ELb0ELc78ELc76EKS1_S1_EviT_PT9_S3_lS5_S3_lPT10_S3_li
    .private_segment_fixed_size: 0
    .sgpr_count:     34
    .sgpr_spill_count: 0
    .symbol:         _ZL37rocblas_syrkx_herkx_restricted_kernelIl19rocblas_complex_numIdELi16ELi32ELi8ELi1ELi0ELb0ELc78ELc76EKS1_S1_EviT_PT9_S3_lS5_S3_lPT10_S3_li.kd
    .uniform_work_group_size: 1
    .uses_dynamic_stack: false
    .vgpr_count:     118
    .vgpr_spill_count: 0
    .wavefront_size: 32
    .workgroup_processor_mode: 1
  - .args:
      - .offset:         0
        .size:           4
        .value_kind:     by_value
      - .offset:         8
        .size:           8
        .value_kind:     by_value
      - .address_space:  global
        .offset:         16
        .size:           8
        .value_kind:     global_buffer
      - .offset:         24
        .size:           8
        .value_kind:     by_value
      - .offset:         32
        .size:           8
        .value_kind:     by_value
      - .address_space:  global
        .offset:         40
        .size:           8
        .value_kind:     global_buffer
      - .offset:         48
        .size:           8
        .value_kind:     by_value
      - .offset:         56
        .size:           8
        .value_kind:     by_value
      - .address_space:  global
        .offset:         64
        .size:           8
        .value_kind:     global_buffer
      - .offset:         72
        .size:           8
        .value_kind:     by_value
      - .offset:         80
        .size:           8
        .value_kind:     by_value
      - .offset:         88
        .size:           4
        .value_kind:     by_value
    .group_segment_fixed_size: 8192
    .kernarg_segment_align: 8
    .kernarg_segment_size: 92
    .language:       OpenCL C
    .language_version:
      - 2
      - 0
    .max_flat_workgroup_size: 256
    .name:           _ZL37rocblas_syrkx_herkx_restricted_kernelIl19rocblas_complex_numIdELi16ELi32ELi8ELi1ELi0ELb0ELc84ELc85EKS1_S1_EviT_PT9_S3_lS5_S3_lPT10_S3_li
    .private_segment_fixed_size: 0
    .sgpr_count:     34
    .sgpr_spill_count: 0
    .symbol:         _ZL37rocblas_syrkx_herkx_restricted_kernelIl19rocblas_complex_numIdELi16ELi32ELi8ELi1ELi0ELb0ELc84ELc85EKS1_S1_EviT_PT9_S3_lS5_S3_lPT10_S3_li.kd
    .uniform_work_group_size: 1
    .uses_dynamic_stack: false
    .vgpr_count:     118
    .vgpr_spill_count: 0
    .wavefront_size: 32
    .workgroup_processor_mode: 1
  - .args:
      - .offset:         0
        .size:           4
        .value_kind:     by_value
      - .offset:         8
        .size:           8
        .value_kind:     by_value
      - .address_space:  global
        .offset:         16
        .size:           8
        .value_kind:     global_buffer
      - .offset:         24
        .size:           8
        .value_kind:     by_value
      - .offset:         32
        .size:           8
        .value_kind:     by_value
      - .address_space:  global
        .offset:         40
        .size:           8
        .value_kind:     global_buffer
      - .offset:         48
        .size:           8
        .value_kind:     by_value
      - .offset:         56
        .size:           8
        .value_kind:     by_value
      - .address_space:  global
        .offset:         64
        .size:           8
        .value_kind:     global_buffer
      - .offset:         72
        .size:           8
        .value_kind:     by_value
      - .offset:         80
        .size:           8
        .value_kind:     by_value
      - .offset:         88
        .size:           4
        .value_kind:     by_value
    .group_segment_fixed_size: 8192
    .kernarg_segment_align: 8
    .kernarg_segment_size: 92
    .language:       OpenCL C
    .language_version:
      - 2
      - 0
    .max_flat_workgroup_size: 256
    .name:           _ZL37rocblas_syrkx_herkx_restricted_kernelIl19rocblas_complex_numIdELi16ELi32ELi8ELi1ELi0ELb0ELc67ELc85EKS1_S1_EviT_PT9_S3_lS5_S3_lPT10_S3_li
    .private_segment_fixed_size: 0
    .sgpr_count:     34
    .sgpr_spill_count: 0
    .symbol:         _ZL37rocblas_syrkx_herkx_restricted_kernelIl19rocblas_complex_numIdELi16ELi32ELi8ELi1ELi0ELb0ELc67ELc85EKS1_S1_EviT_PT9_S3_lS5_S3_lPT10_S3_li.kd
    .uniform_work_group_size: 1
    .uses_dynamic_stack: false
    .vgpr_count:     118
    .vgpr_spill_count: 0
    .wavefront_size: 32
    .workgroup_processor_mode: 1
  - .args:
      - .offset:         0
        .size:           4
        .value_kind:     by_value
      - .offset:         8
        .size:           8
        .value_kind:     by_value
      - .address_space:  global
        .offset:         16
        .size:           8
        .value_kind:     global_buffer
      - .offset:         24
        .size:           8
        .value_kind:     by_value
      - .offset:         32
        .size:           8
        .value_kind:     by_value
      - .address_space:  global
        .offset:         40
        .size:           8
        .value_kind:     global_buffer
      - .offset:         48
        .size:           8
        .value_kind:     by_value
      - .offset:         56
        .size:           8
        .value_kind:     by_value
      - .address_space:  global
        .offset:         64
        .size:           8
        .value_kind:     global_buffer
      - .offset:         72
        .size:           8
        .value_kind:     by_value
      - .offset:         80
        .size:           8
        .value_kind:     by_value
      - .offset:         88
        .size:           4
        .value_kind:     by_value
    .group_segment_fixed_size: 8192
    .kernarg_segment_align: 8
    .kernarg_segment_size: 92
    .language:       OpenCL C
    .language_version:
      - 2
      - 0
    .max_flat_workgroup_size: 256
    .name:           _ZL37rocblas_syrkx_herkx_restricted_kernelIl19rocblas_complex_numIdELi16ELi32ELi8ELi1ELi0ELb0ELc78ELc85EKS1_S1_EviT_PT9_S3_lS5_S3_lPT10_S3_li
    .private_segment_fixed_size: 0
    .sgpr_count:     34
    .sgpr_spill_count: 0
    .symbol:         _ZL37rocblas_syrkx_herkx_restricted_kernelIl19rocblas_complex_numIdELi16ELi32ELi8ELi1ELi0ELb0ELc78ELc85EKS1_S1_EviT_PT9_S3_lS5_S3_lPT10_S3_li.kd
    .uniform_work_group_size: 1
    .uses_dynamic_stack: false
    .vgpr_count:     118
    .vgpr_spill_count: 0
    .wavefront_size: 32
    .workgroup_processor_mode: 1
  - .args:
      - .offset:         0
        .size:           4
        .value_kind:     by_value
      - .offset:         8
        .size:           8
        .value_kind:     by_value
      - .address_space:  global
        .offset:         16
        .size:           8
        .value_kind:     global_buffer
      - .offset:         24
        .size:           8
        .value_kind:     by_value
      - .offset:         32
        .size:           8
        .value_kind:     by_value
      - .address_space:  global
        .offset:         40
        .size:           8
        .value_kind:     global_buffer
      - .offset:         48
        .size:           8
        .value_kind:     by_value
      - .offset:         56
        .size:           8
        .value_kind:     by_value
      - .address_space:  global
        .offset:         64
        .size:           8
        .value_kind:     global_buffer
      - .offset:         72
        .size:           8
        .value_kind:     by_value
      - .offset:         80
        .size:           8
        .value_kind:     by_value
      - .offset:         88
        .size:           4
        .value_kind:     by_value
    .group_segment_fixed_size: 8192
    .kernarg_segment_align: 8
    .kernarg_segment_size: 92
    .language:       OpenCL C
    .language_version:
      - 2
      - 0
    .max_flat_workgroup_size: 256
    .name:           _ZL37rocblas_syrkx_herkx_restricted_kernelIl19rocblas_complex_numIdELi16ELi32ELi8ELin1ELi0ELb0ELc84ELc76EKS1_S1_EviT_PT9_S3_lS5_S3_lPT10_S3_li
    .private_segment_fixed_size: 0
    .sgpr_count:     34
    .sgpr_spill_count: 0
    .symbol:         _ZL37rocblas_syrkx_herkx_restricted_kernelIl19rocblas_complex_numIdELi16ELi32ELi8ELin1ELi0ELb0ELc84ELc76EKS1_S1_EviT_PT9_S3_lS5_S3_lPT10_S3_li.kd
    .uniform_work_group_size: 1
    .uses_dynamic_stack: false
    .vgpr_count:     118
    .vgpr_spill_count: 0
    .wavefront_size: 32
    .workgroup_processor_mode: 1
  - .args:
      - .offset:         0
        .size:           4
        .value_kind:     by_value
      - .offset:         8
        .size:           8
        .value_kind:     by_value
      - .address_space:  global
        .offset:         16
        .size:           8
        .value_kind:     global_buffer
      - .offset:         24
        .size:           8
        .value_kind:     by_value
      - .offset:         32
        .size:           8
        .value_kind:     by_value
      - .address_space:  global
        .offset:         40
        .size:           8
        .value_kind:     global_buffer
      - .offset:         48
        .size:           8
        .value_kind:     by_value
      - .offset:         56
        .size:           8
        .value_kind:     by_value
      - .address_space:  global
        .offset:         64
        .size:           8
        .value_kind:     global_buffer
      - .offset:         72
        .size:           8
        .value_kind:     by_value
      - .offset:         80
        .size:           8
        .value_kind:     by_value
      - .offset:         88
        .size:           4
        .value_kind:     by_value
    .group_segment_fixed_size: 8192
    .kernarg_segment_align: 8
    .kernarg_segment_size: 92
    .language:       OpenCL C
    .language_version:
      - 2
      - 0
    .max_flat_workgroup_size: 256
    .name:           _ZL37rocblas_syrkx_herkx_restricted_kernelIl19rocblas_complex_numIdELi16ELi32ELi8ELin1ELi0ELb0ELc67ELc76EKS1_S1_EviT_PT9_S3_lS5_S3_lPT10_S3_li
    .private_segment_fixed_size: 0
    .sgpr_count:     34
    .sgpr_spill_count: 0
    .symbol:         _ZL37rocblas_syrkx_herkx_restricted_kernelIl19rocblas_complex_numIdELi16ELi32ELi8ELin1ELi0ELb0ELc67ELc76EKS1_S1_EviT_PT9_S3_lS5_S3_lPT10_S3_li.kd
    .uniform_work_group_size: 1
    .uses_dynamic_stack: false
    .vgpr_count:     118
    .vgpr_spill_count: 0
    .wavefront_size: 32
    .workgroup_processor_mode: 1
  - .args:
      - .offset:         0
        .size:           4
        .value_kind:     by_value
      - .offset:         8
        .size:           8
        .value_kind:     by_value
      - .address_space:  global
        .offset:         16
        .size:           8
        .value_kind:     global_buffer
      - .offset:         24
        .size:           8
        .value_kind:     by_value
      - .offset:         32
        .size:           8
        .value_kind:     by_value
      - .address_space:  global
        .offset:         40
        .size:           8
        .value_kind:     global_buffer
      - .offset:         48
        .size:           8
        .value_kind:     by_value
      - .offset:         56
        .size:           8
        .value_kind:     by_value
      - .address_space:  global
        .offset:         64
        .size:           8
        .value_kind:     global_buffer
      - .offset:         72
        .size:           8
        .value_kind:     by_value
      - .offset:         80
        .size:           8
        .value_kind:     by_value
      - .offset:         88
        .size:           4
        .value_kind:     by_value
    .group_segment_fixed_size: 8192
    .kernarg_segment_align: 8
    .kernarg_segment_size: 92
    .language:       OpenCL C
    .language_version:
      - 2
      - 0
    .max_flat_workgroup_size: 256
    .name:           _ZL37rocblas_syrkx_herkx_restricted_kernelIl19rocblas_complex_numIdELi16ELi32ELi8ELin1ELi0ELb0ELc78ELc76EKS1_S1_EviT_PT9_S3_lS5_S3_lPT10_S3_li
    .private_segment_fixed_size: 0
    .sgpr_count:     34
    .sgpr_spill_count: 0
    .symbol:         _ZL37rocblas_syrkx_herkx_restricted_kernelIl19rocblas_complex_numIdELi16ELi32ELi8ELin1ELi0ELb0ELc78ELc76EKS1_S1_EviT_PT9_S3_lS5_S3_lPT10_S3_li.kd
    .uniform_work_group_size: 1
    .uses_dynamic_stack: false
    .vgpr_count:     118
    .vgpr_spill_count: 0
    .wavefront_size: 32
    .workgroup_processor_mode: 1
  - .args:
      - .offset:         0
        .size:           4
        .value_kind:     by_value
      - .offset:         8
        .size:           8
        .value_kind:     by_value
      - .address_space:  global
        .offset:         16
        .size:           8
        .value_kind:     global_buffer
      - .offset:         24
        .size:           8
        .value_kind:     by_value
      - .offset:         32
        .size:           8
        .value_kind:     by_value
      - .address_space:  global
        .offset:         40
        .size:           8
        .value_kind:     global_buffer
      - .offset:         48
        .size:           8
        .value_kind:     by_value
      - .offset:         56
        .size:           8
        .value_kind:     by_value
      - .address_space:  global
        .offset:         64
        .size:           8
        .value_kind:     global_buffer
      - .offset:         72
        .size:           8
        .value_kind:     by_value
      - .offset:         80
        .size:           8
        .value_kind:     by_value
      - .offset:         88
        .size:           4
        .value_kind:     by_value
    .group_segment_fixed_size: 8192
    .kernarg_segment_align: 8
    .kernarg_segment_size: 92
    .language:       OpenCL C
    .language_version:
      - 2
      - 0
    .max_flat_workgroup_size: 256
    .name:           _ZL37rocblas_syrkx_herkx_restricted_kernelIl19rocblas_complex_numIdELi16ELi32ELi8ELin1ELi0ELb0ELc84ELc85EKS1_S1_EviT_PT9_S3_lS5_S3_lPT10_S3_li
    .private_segment_fixed_size: 0
    .sgpr_count:     34
    .sgpr_spill_count: 0
    .symbol:         _ZL37rocblas_syrkx_herkx_restricted_kernelIl19rocblas_complex_numIdELi16ELi32ELi8ELin1ELi0ELb0ELc84ELc85EKS1_S1_EviT_PT9_S3_lS5_S3_lPT10_S3_li.kd
    .uniform_work_group_size: 1
    .uses_dynamic_stack: false
    .vgpr_count:     118
    .vgpr_spill_count: 0
    .wavefront_size: 32
    .workgroup_processor_mode: 1
  - .args:
      - .offset:         0
        .size:           4
        .value_kind:     by_value
      - .offset:         8
        .size:           8
        .value_kind:     by_value
      - .address_space:  global
        .offset:         16
        .size:           8
        .value_kind:     global_buffer
      - .offset:         24
        .size:           8
        .value_kind:     by_value
      - .offset:         32
        .size:           8
        .value_kind:     by_value
      - .address_space:  global
        .offset:         40
        .size:           8
        .value_kind:     global_buffer
      - .offset:         48
        .size:           8
        .value_kind:     by_value
      - .offset:         56
        .size:           8
        .value_kind:     by_value
      - .address_space:  global
        .offset:         64
        .size:           8
        .value_kind:     global_buffer
      - .offset:         72
        .size:           8
        .value_kind:     by_value
      - .offset:         80
        .size:           8
        .value_kind:     by_value
      - .offset:         88
        .size:           4
        .value_kind:     by_value
    .group_segment_fixed_size: 8192
    .kernarg_segment_align: 8
    .kernarg_segment_size: 92
    .language:       OpenCL C
    .language_version:
      - 2
      - 0
    .max_flat_workgroup_size: 256
    .name:           _ZL37rocblas_syrkx_herkx_restricted_kernelIl19rocblas_complex_numIdELi16ELi32ELi8ELin1ELi0ELb0ELc67ELc85EKS1_S1_EviT_PT9_S3_lS5_S3_lPT10_S3_li
    .private_segment_fixed_size: 0
    .sgpr_count:     34
    .sgpr_spill_count: 0
    .symbol:         _ZL37rocblas_syrkx_herkx_restricted_kernelIl19rocblas_complex_numIdELi16ELi32ELi8ELin1ELi0ELb0ELc67ELc85EKS1_S1_EviT_PT9_S3_lS5_S3_lPT10_S3_li.kd
    .uniform_work_group_size: 1
    .uses_dynamic_stack: false
    .vgpr_count:     118
    .vgpr_spill_count: 0
    .wavefront_size: 32
    .workgroup_processor_mode: 1
  - .args:
      - .offset:         0
        .size:           4
        .value_kind:     by_value
      - .offset:         8
        .size:           8
        .value_kind:     by_value
      - .address_space:  global
        .offset:         16
        .size:           8
        .value_kind:     global_buffer
      - .offset:         24
        .size:           8
        .value_kind:     by_value
      - .offset:         32
        .size:           8
        .value_kind:     by_value
      - .address_space:  global
        .offset:         40
        .size:           8
        .value_kind:     global_buffer
      - .offset:         48
        .size:           8
        .value_kind:     by_value
      - .offset:         56
        .size:           8
        .value_kind:     by_value
      - .address_space:  global
        .offset:         64
        .size:           8
        .value_kind:     global_buffer
      - .offset:         72
        .size:           8
        .value_kind:     by_value
      - .offset:         80
        .size:           8
        .value_kind:     by_value
      - .offset:         88
        .size:           4
        .value_kind:     by_value
    .group_segment_fixed_size: 8192
    .kernarg_segment_align: 8
    .kernarg_segment_size: 92
    .language:       OpenCL C
    .language_version:
      - 2
      - 0
    .max_flat_workgroup_size: 256
    .name:           _ZL37rocblas_syrkx_herkx_restricted_kernelIl19rocblas_complex_numIdELi16ELi32ELi8ELin1ELi0ELb0ELc78ELc85EKS1_S1_EviT_PT9_S3_lS5_S3_lPT10_S3_li
    .private_segment_fixed_size: 0
    .sgpr_count:     34
    .sgpr_spill_count: 0
    .symbol:         _ZL37rocblas_syrkx_herkx_restricted_kernelIl19rocblas_complex_numIdELi16ELi32ELi8ELin1ELi0ELb0ELc78ELc85EKS1_S1_EviT_PT9_S3_lS5_S3_lPT10_S3_li.kd
    .uniform_work_group_size: 1
    .uses_dynamic_stack: false
    .vgpr_count:     118
    .vgpr_spill_count: 0
    .wavefront_size: 32
    .workgroup_processor_mode: 1
  - .args:
      - .offset:         0
        .size:           4
        .value_kind:     by_value
      - .offset:         8
        .size:           8
        .value_kind:     by_value
      - .offset:         16
        .size:           16
        .value_kind:     by_value
      - .address_space:  global
        .offset:         32
        .size:           8
        .value_kind:     global_buffer
      - .offset:         40
        .size:           8
        .value_kind:     by_value
      - .offset:         48
        .size:           8
        .value_kind:     by_value
      - .address_space:  global
        .offset:         56
        .size:           8
        .value_kind:     global_buffer
      - .offset:         64
        .size:           8
        .value_kind:     by_value
      - .offset:         72
        .size:           8
        .value_kind:     by_value
      - .offset:         80
        .size:           16
        .value_kind:     by_value
      - .address_space:  global
        .offset:         96
        .size:           8
        .value_kind:     global_buffer
      - .offset:         104
        .size:           8
        .value_kind:     by_value
      - .offset:         112
        .size:           8
        .value_kind:     by_value
      - .offset:         120
        .size:           4
        .value_kind:     by_value
    .group_segment_fixed_size: 8192
    .kernarg_segment_align: 8
    .kernarg_segment_size: 124
    .language:       OpenCL C
    .language_version:
      - 2
      - 0
    .max_flat_workgroup_size: 256
    .name:           _ZL37rocblas_syrkx_herkx_restricted_kernelIl19rocblas_complex_numIdELi16ELi32ELi8ELb1ELb0ELc84ELc76EKS1_S1_EviT_T0_PT8_S3_lS6_S3_lS4_PT9_S3_li
    .private_segment_fixed_size: 0
    .sgpr_count:     34
    .sgpr_spill_count: 0
    .symbol:         _ZL37rocblas_syrkx_herkx_restricted_kernelIl19rocblas_complex_numIdELi16ELi32ELi8ELb1ELb0ELc84ELc76EKS1_S1_EviT_T0_PT8_S3_lS6_S3_lS4_PT9_S3_li.kd
    .uniform_work_group_size: 1
    .uses_dynamic_stack: false
    .vgpr_count:     118
    .vgpr_spill_count: 0
    .wavefront_size: 32
    .workgroup_processor_mode: 1
  - .args:
      - .offset:         0
        .size:           4
        .value_kind:     by_value
      - .offset:         8
        .size:           8
        .value_kind:     by_value
      - .offset:         16
        .size:           16
        .value_kind:     by_value
      - .address_space:  global
        .offset:         32
        .size:           8
        .value_kind:     global_buffer
      - .offset:         40
        .size:           8
        .value_kind:     by_value
      - .offset:         48
        .size:           8
        .value_kind:     by_value
      - .address_space:  global
        .offset:         56
        .size:           8
        .value_kind:     global_buffer
      - .offset:         64
        .size:           8
        .value_kind:     by_value
      - .offset:         72
        .size:           8
        .value_kind:     by_value
      - .offset:         80
        .size:           16
        .value_kind:     by_value
      - .address_space:  global
        .offset:         96
        .size:           8
        .value_kind:     global_buffer
      - .offset:         104
        .size:           8
        .value_kind:     by_value
      - .offset:         112
        .size:           8
        .value_kind:     by_value
      - .offset:         120
        .size:           4
        .value_kind:     by_value
    .group_segment_fixed_size: 8192
    .kernarg_segment_align: 8
    .kernarg_segment_size: 124
    .language:       OpenCL C
    .language_version:
      - 2
      - 0
    .max_flat_workgroup_size: 256
    .name:           _ZL37rocblas_syrkx_herkx_restricted_kernelIl19rocblas_complex_numIdELi16ELi32ELi8ELb1ELb0ELc67ELc76EKS1_S1_EviT_T0_PT8_S3_lS6_S3_lS4_PT9_S3_li
    .private_segment_fixed_size: 0
    .sgpr_count:     34
    .sgpr_spill_count: 0
    .symbol:         _ZL37rocblas_syrkx_herkx_restricted_kernelIl19rocblas_complex_numIdELi16ELi32ELi8ELb1ELb0ELc67ELc76EKS1_S1_EviT_T0_PT8_S3_lS6_S3_lS4_PT9_S3_li.kd
    .uniform_work_group_size: 1
    .uses_dynamic_stack: false
    .vgpr_count:     118
    .vgpr_spill_count: 0
    .wavefront_size: 32
    .workgroup_processor_mode: 1
  - .args:
      - .offset:         0
        .size:           4
        .value_kind:     by_value
      - .offset:         8
        .size:           8
        .value_kind:     by_value
      - .offset:         16
        .size:           16
        .value_kind:     by_value
      - .address_space:  global
        .offset:         32
        .size:           8
        .value_kind:     global_buffer
      - .offset:         40
        .size:           8
        .value_kind:     by_value
      - .offset:         48
        .size:           8
        .value_kind:     by_value
      - .address_space:  global
        .offset:         56
        .size:           8
        .value_kind:     global_buffer
      - .offset:         64
        .size:           8
        .value_kind:     by_value
      - .offset:         72
        .size:           8
        .value_kind:     by_value
      - .offset:         80
        .size:           16
        .value_kind:     by_value
      - .address_space:  global
        .offset:         96
        .size:           8
        .value_kind:     global_buffer
      - .offset:         104
        .size:           8
        .value_kind:     by_value
      - .offset:         112
        .size:           8
        .value_kind:     by_value
      - .offset:         120
        .size:           4
        .value_kind:     by_value
    .group_segment_fixed_size: 8192
    .kernarg_segment_align: 8
    .kernarg_segment_size: 124
    .language:       OpenCL C
    .language_version:
      - 2
      - 0
    .max_flat_workgroup_size: 256
    .name:           _ZL37rocblas_syrkx_herkx_restricted_kernelIl19rocblas_complex_numIdELi16ELi32ELi8ELb1ELb0ELc78ELc76EKS1_S1_EviT_T0_PT8_S3_lS6_S3_lS4_PT9_S3_li
    .private_segment_fixed_size: 0
    .sgpr_count:     34
    .sgpr_spill_count: 0
    .symbol:         _ZL37rocblas_syrkx_herkx_restricted_kernelIl19rocblas_complex_numIdELi16ELi32ELi8ELb1ELb0ELc78ELc76EKS1_S1_EviT_T0_PT8_S3_lS6_S3_lS4_PT9_S3_li.kd
    .uniform_work_group_size: 1
    .uses_dynamic_stack: false
    .vgpr_count:     118
    .vgpr_spill_count: 0
    .wavefront_size: 32
    .workgroup_processor_mode: 1
  - .args:
      - .offset:         0
        .size:           4
        .value_kind:     by_value
      - .offset:         8
        .size:           8
        .value_kind:     by_value
      - .offset:         16
        .size:           16
        .value_kind:     by_value
      - .address_space:  global
        .offset:         32
        .size:           8
        .value_kind:     global_buffer
      - .offset:         40
        .size:           8
        .value_kind:     by_value
      - .offset:         48
        .size:           8
        .value_kind:     by_value
      - .address_space:  global
        .offset:         56
        .size:           8
        .value_kind:     global_buffer
      - .offset:         64
        .size:           8
        .value_kind:     by_value
      - .offset:         72
        .size:           8
        .value_kind:     by_value
      - .offset:         80
        .size:           16
        .value_kind:     by_value
      - .address_space:  global
        .offset:         96
        .size:           8
        .value_kind:     global_buffer
      - .offset:         104
        .size:           8
        .value_kind:     by_value
      - .offset:         112
        .size:           8
        .value_kind:     by_value
      - .offset:         120
        .size:           4
        .value_kind:     by_value
    .group_segment_fixed_size: 8192
    .kernarg_segment_align: 8
    .kernarg_segment_size: 124
    .language:       OpenCL C
    .language_version:
      - 2
      - 0
    .max_flat_workgroup_size: 256
    .name:           _ZL37rocblas_syrkx_herkx_restricted_kernelIl19rocblas_complex_numIdELi16ELi32ELi8ELb1ELb0ELc84ELc85EKS1_S1_EviT_T0_PT8_S3_lS6_S3_lS4_PT9_S3_li
    .private_segment_fixed_size: 0
    .sgpr_count:     34
    .sgpr_spill_count: 0
    .symbol:         _ZL37rocblas_syrkx_herkx_restricted_kernelIl19rocblas_complex_numIdELi16ELi32ELi8ELb1ELb0ELc84ELc85EKS1_S1_EviT_T0_PT8_S3_lS6_S3_lS4_PT9_S3_li.kd
    .uniform_work_group_size: 1
    .uses_dynamic_stack: false
    .vgpr_count:     118
    .vgpr_spill_count: 0
    .wavefront_size: 32
    .workgroup_processor_mode: 1
  - .args:
      - .offset:         0
        .size:           4
        .value_kind:     by_value
      - .offset:         8
        .size:           8
        .value_kind:     by_value
      - .offset:         16
        .size:           16
        .value_kind:     by_value
      - .address_space:  global
        .offset:         32
        .size:           8
        .value_kind:     global_buffer
      - .offset:         40
        .size:           8
        .value_kind:     by_value
      - .offset:         48
        .size:           8
        .value_kind:     by_value
      - .address_space:  global
        .offset:         56
        .size:           8
        .value_kind:     global_buffer
      - .offset:         64
        .size:           8
        .value_kind:     by_value
      - .offset:         72
        .size:           8
        .value_kind:     by_value
      - .offset:         80
        .size:           16
        .value_kind:     by_value
      - .address_space:  global
        .offset:         96
        .size:           8
        .value_kind:     global_buffer
      - .offset:         104
        .size:           8
        .value_kind:     by_value
      - .offset:         112
        .size:           8
        .value_kind:     by_value
      - .offset:         120
        .size:           4
        .value_kind:     by_value
    .group_segment_fixed_size: 8192
    .kernarg_segment_align: 8
    .kernarg_segment_size: 124
    .language:       OpenCL C
    .language_version:
      - 2
      - 0
    .max_flat_workgroup_size: 256
    .name:           _ZL37rocblas_syrkx_herkx_restricted_kernelIl19rocblas_complex_numIdELi16ELi32ELi8ELb1ELb0ELc67ELc85EKS1_S1_EviT_T0_PT8_S3_lS6_S3_lS4_PT9_S3_li
    .private_segment_fixed_size: 0
    .sgpr_count:     34
    .sgpr_spill_count: 0
    .symbol:         _ZL37rocblas_syrkx_herkx_restricted_kernelIl19rocblas_complex_numIdELi16ELi32ELi8ELb1ELb0ELc67ELc85EKS1_S1_EviT_T0_PT8_S3_lS6_S3_lS4_PT9_S3_li.kd
    .uniform_work_group_size: 1
    .uses_dynamic_stack: false
    .vgpr_count:     118
    .vgpr_spill_count: 0
    .wavefront_size: 32
    .workgroup_processor_mode: 1
  - .args:
      - .offset:         0
        .size:           4
        .value_kind:     by_value
      - .offset:         8
        .size:           8
        .value_kind:     by_value
      - .offset:         16
        .size:           16
        .value_kind:     by_value
      - .address_space:  global
        .offset:         32
        .size:           8
        .value_kind:     global_buffer
      - .offset:         40
        .size:           8
        .value_kind:     by_value
      - .offset:         48
        .size:           8
        .value_kind:     by_value
      - .address_space:  global
        .offset:         56
        .size:           8
        .value_kind:     global_buffer
      - .offset:         64
        .size:           8
        .value_kind:     by_value
      - .offset:         72
        .size:           8
        .value_kind:     by_value
      - .offset:         80
        .size:           16
        .value_kind:     by_value
      - .address_space:  global
        .offset:         96
        .size:           8
        .value_kind:     global_buffer
      - .offset:         104
        .size:           8
        .value_kind:     by_value
      - .offset:         112
        .size:           8
        .value_kind:     by_value
      - .offset:         120
        .size:           4
        .value_kind:     by_value
    .group_segment_fixed_size: 8192
    .kernarg_segment_align: 8
    .kernarg_segment_size: 124
    .language:       OpenCL C
    .language_version:
      - 2
      - 0
    .max_flat_workgroup_size: 256
    .name:           _ZL37rocblas_syrkx_herkx_restricted_kernelIl19rocblas_complex_numIdELi16ELi32ELi8ELb1ELb0ELc78ELc85EKS1_S1_EviT_T0_PT8_S3_lS6_S3_lS4_PT9_S3_li
    .private_segment_fixed_size: 0
    .sgpr_count:     34
    .sgpr_spill_count: 0
    .symbol:         _ZL37rocblas_syrkx_herkx_restricted_kernelIl19rocblas_complex_numIdELi16ELi32ELi8ELb1ELb0ELc78ELc85EKS1_S1_EviT_T0_PT8_S3_lS6_S3_lS4_PT9_S3_li.kd
    .uniform_work_group_size: 1
    .uses_dynamic_stack: false
    .vgpr_count:     118
    .vgpr_spill_count: 0
    .wavefront_size: 32
    .workgroup_processor_mode: 1
  - .args:
      - .offset:         0
        .size:           4
        .value_kind:     by_value
      - .offset:         8
        .size:           8
        .value_kind:     by_value
      - .offset:         16
        .size:           16
        .value_kind:     by_value
      - .address_space:  global
        .offset:         32
        .size:           8
        .value_kind:     global_buffer
      - .offset:         40
        .size:           8
        .value_kind:     by_value
      - .offset:         48
        .size:           8
        .value_kind:     by_value
      - .address_space:  global
        .offset:         56
        .size:           8
        .value_kind:     global_buffer
      - .offset:         64
        .size:           8
        .value_kind:     by_value
      - .offset:         72
        .size:           8
        .value_kind:     by_value
      - .offset:         80
        .size:           16
        .value_kind:     by_value
      - .address_space:  global
        .offset:         96
        .size:           8
        .value_kind:     global_buffer
      - .offset:         104
        .size:           8
        .value_kind:     by_value
      - .offset:         112
        .size:           8
        .value_kind:     by_value
      - .offset:         120
        .size:           4
        .value_kind:     by_value
    .group_segment_fixed_size: 8192
    .kernarg_segment_align: 8
    .kernarg_segment_size: 124
    .language:       OpenCL C
    .language_version:
      - 2
      - 0
    .max_flat_workgroup_size: 256
    .name:           _ZL37rocblas_syrkx_herkx_restricted_kernelIl19rocblas_complex_numIdELi16ELi32ELi8ELb0ELb0ELc84ELc76EKS1_S1_EviT_T0_PT8_S3_lS6_S3_lS4_PT9_S3_li
    .private_segment_fixed_size: 0
    .sgpr_count:     42
    .sgpr_spill_count: 0
    .symbol:         _ZL37rocblas_syrkx_herkx_restricted_kernelIl19rocblas_complex_numIdELi16ELi32ELi8ELb0ELb0ELc84ELc76EKS1_S1_EviT_T0_PT8_S3_lS6_S3_lS4_PT9_S3_li.kd
    .uniform_work_group_size: 1
    .uses_dynamic_stack: false
    .vgpr_count:     54
    .vgpr_spill_count: 0
    .wavefront_size: 32
    .workgroup_processor_mode: 1
  - .args:
      - .offset:         0
        .size:           4
        .value_kind:     by_value
      - .offset:         8
        .size:           8
        .value_kind:     by_value
      - .offset:         16
        .size:           16
        .value_kind:     by_value
      - .address_space:  global
        .offset:         32
        .size:           8
        .value_kind:     global_buffer
      - .offset:         40
        .size:           8
        .value_kind:     by_value
      - .offset:         48
        .size:           8
        .value_kind:     by_value
      - .address_space:  global
        .offset:         56
        .size:           8
        .value_kind:     global_buffer
      - .offset:         64
        .size:           8
        .value_kind:     by_value
      - .offset:         72
        .size:           8
        .value_kind:     by_value
      - .offset:         80
        .size:           16
        .value_kind:     by_value
      - .address_space:  global
        .offset:         96
        .size:           8
        .value_kind:     global_buffer
      - .offset:         104
        .size:           8
        .value_kind:     by_value
      - .offset:         112
        .size:           8
        .value_kind:     by_value
      - .offset:         120
        .size:           4
        .value_kind:     by_value
    .group_segment_fixed_size: 8192
    .kernarg_segment_align: 8
    .kernarg_segment_size: 124
    .language:       OpenCL C
    .language_version:
      - 2
      - 0
    .max_flat_workgroup_size: 256
    .name:           _ZL37rocblas_syrkx_herkx_restricted_kernelIl19rocblas_complex_numIdELi16ELi32ELi8ELb0ELb0ELc67ELc76EKS1_S1_EviT_T0_PT8_S3_lS6_S3_lS4_PT9_S3_li
    .private_segment_fixed_size: 0
    .sgpr_count:     42
    .sgpr_spill_count: 0
    .symbol:         _ZL37rocblas_syrkx_herkx_restricted_kernelIl19rocblas_complex_numIdELi16ELi32ELi8ELb0ELb0ELc67ELc76EKS1_S1_EviT_T0_PT8_S3_lS6_S3_lS4_PT9_S3_li.kd
    .uniform_work_group_size: 1
    .uses_dynamic_stack: false
    .vgpr_count:     54
    .vgpr_spill_count: 0
    .wavefront_size: 32
    .workgroup_processor_mode: 1
  - .args:
      - .offset:         0
        .size:           4
        .value_kind:     by_value
      - .offset:         8
        .size:           8
        .value_kind:     by_value
      - .offset:         16
        .size:           16
        .value_kind:     by_value
      - .address_space:  global
        .offset:         32
        .size:           8
        .value_kind:     global_buffer
      - .offset:         40
        .size:           8
        .value_kind:     by_value
      - .offset:         48
        .size:           8
        .value_kind:     by_value
      - .address_space:  global
        .offset:         56
        .size:           8
        .value_kind:     global_buffer
      - .offset:         64
        .size:           8
        .value_kind:     by_value
      - .offset:         72
        .size:           8
        .value_kind:     by_value
      - .offset:         80
        .size:           16
        .value_kind:     by_value
      - .address_space:  global
        .offset:         96
        .size:           8
        .value_kind:     global_buffer
      - .offset:         104
        .size:           8
        .value_kind:     by_value
      - .offset:         112
        .size:           8
        .value_kind:     by_value
      - .offset:         120
        .size:           4
        .value_kind:     by_value
    .group_segment_fixed_size: 8192
    .kernarg_segment_align: 8
    .kernarg_segment_size: 124
    .language:       OpenCL C
    .language_version:
      - 2
      - 0
    .max_flat_workgroup_size: 256
    .name:           _ZL37rocblas_syrkx_herkx_restricted_kernelIl19rocblas_complex_numIdELi16ELi32ELi8ELb0ELb0ELc78ELc76EKS1_S1_EviT_T0_PT8_S3_lS6_S3_lS4_PT9_S3_li
    .private_segment_fixed_size: 0
    .sgpr_count:     42
    .sgpr_spill_count: 0
    .symbol:         _ZL37rocblas_syrkx_herkx_restricted_kernelIl19rocblas_complex_numIdELi16ELi32ELi8ELb0ELb0ELc78ELc76EKS1_S1_EviT_T0_PT8_S3_lS6_S3_lS4_PT9_S3_li.kd
    .uniform_work_group_size: 1
    .uses_dynamic_stack: false
    .vgpr_count:     54
    .vgpr_spill_count: 0
    .wavefront_size: 32
    .workgroup_processor_mode: 1
  - .args:
      - .offset:         0
        .size:           4
        .value_kind:     by_value
      - .offset:         8
        .size:           8
        .value_kind:     by_value
      - .offset:         16
        .size:           16
        .value_kind:     by_value
      - .address_space:  global
        .offset:         32
        .size:           8
        .value_kind:     global_buffer
      - .offset:         40
        .size:           8
        .value_kind:     by_value
      - .offset:         48
        .size:           8
        .value_kind:     by_value
      - .address_space:  global
        .offset:         56
        .size:           8
        .value_kind:     global_buffer
      - .offset:         64
        .size:           8
        .value_kind:     by_value
      - .offset:         72
        .size:           8
        .value_kind:     by_value
      - .offset:         80
        .size:           16
        .value_kind:     by_value
      - .address_space:  global
        .offset:         96
        .size:           8
        .value_kind:     global_buffer
      - .offset:         104
        .size:           8
        .value_kind:     by_value
      - .offset:         112
        .size:           8
        .value_kind:     by_value
      - .offset:         120
        .size:           4
        .value_kind:     by_value
    .group_segment_fixed_size: 8192
    .kernarg_segment_align: 8
    .kernarg_segment_size: 124
    .language:       OpenCL C
    .language_version:
      - 2
      - 0
    .max_flat_workgroup_size: 256
    .name:           _ZL37rocblas_syrkx_herkx_restricted_kernelIl19rocblas_complex_numIdELi16ELi32ELi8ELb0ELb0ELc84ELc85EKS1_S1_EviT_T0_PT8_S3_lS6_S3_lS4_PT9_S3_li
    .private_segment_fixed_size: 0
    .sgpr_count:     42
    .sgpr_spill_count: 0
    .symbol:         _ZL37rocblas_syrkx_herkx_restricted_kernelIl19rocblas_complex_numIdELi16ELi32ELi8ELb0ELb0ELc84ELc85EKS1_S1_EviT_T0_PT8_S3_lS6_S3_lS4_PT9_S3_li.kd
    .uniform_work_group_size: 1
    .uses_dynamic_stack: false
    .vgpr_count:     54
    .vgpr_spill_count: 0
    .wavefront_size: 32
    .workgroup_processor_mode: 1
  - .args:
      - .offset:         0
        .size:           4
        .value_kind:     by_value
      - .offset:         8
        .size:           8
        .value_kind:     by_value
      - .offset:         16
        .size:           16
        .value_kind:     by_value
      - .address_space:  global
        .offset:         32
        .size:           8
        .value_kind:     global_buffer
      - .offset:         40
        .size:           8
        .value_kind:     by_value
      - .offset:         48
        .size:           8
        .value_kind:     by_value
      - .address_space:  global
        .offset:         56
        .size:           8
        .value_kind:     global_buffer
      - .offset:         64
        .size:           8
        .value_kind:     by_value
      - .offset:         72
        .size:           8
        .value_kind:     by_value
      - .offset:         80
        .size:           16
        .value_kind:     by_value
      - .address_space:  global
        .offset:         96
        .size:           8
        .value_kind:     global_buffer
      - .offset:         104
        .size:           8
        .value_kind:     by_value
      - .offset:         112
        .size:           8
        .value_kind:     by_value
      - .offset:         120
        .size:           4
        .value_kind:     by_value
    .group_segment_fixed_size: 8192
    .kernarg_segment_align: 8
    .kernarg_segment_size: 124
    .language:       OpenCL C
    .language_version:
      - 2
      - 0
    .max_flat_workgroup_size: 256
    .name:           _ZL37rocblas_syrkx_herkx_restricted_kernelIl19rocblas_complex_numIdELi16ELi32ELi8ELb0ELb0ELc67ELc85EKS1_S1_EviT_T0_PT8_S3_lS6_S3_lS4_PT9_S3_li
    .private_segment_fixed_size: 0
    .sgpr_count:     42
    .sgpr_spill_count: 0
    .symbol:         _ZL37rocblas_syrkx_herkx_restricted_kernelIl19rocblas_complex_numIdELi16ELi32ELi8ELb0ELb0ELc67ELc85EKS1_S1_EviT_T0_PT8_S3_lS6_S3_lS4_PT9_S3_li.kd
    .uniform_work_group_size: 1
    .uses_dynamic_stack: false
    .vgpr_count:     54
    .vgpr_spill_count: 0
    .wavefront_size: 32
    .workgroup_processor_mode: 1
  - .args:
      - .offset:         0
        .size:           4
        .value_kind:     by_value
      - .offset:         8
        .size:           8
        .value_kind:     by_value
      - .offset:         16
        .size:           16
        .value_kind:     by_value
      - .address_space:  global
        .offset:         32
        .size:           8
        .value_kind:     global_buffer
      - .offset:         40
        .size:           8
        .value_kind:     by_value
      - .offset:         48
        .size:           8
        .value_kind:     by_value
      - .address_space:  global
        .offset:         56
        .size:           8
        .value_kind:     global_buffer
      - .offset:         64
        .size:           8
        .value_kind:     by_value
      - .offset:         72
        .size:           8
        .value_kind:     by_value
      - .offset:         80
        .size:           16
        .value_kind:     by_value
      - .address_space:  global
        .offset:         96
        .size:           8
        .value_kind:     global_buffer
      - .offset:         104
        .size:           8
        .value_kind:     by_value
      - .offset:         112
        .size:           8
        .value_kind:     by_value
      - .offset:         120
        .size:           4
        .value_kind:     by_value
    .group_segment_fixed_size: 8192
    .kernarg_segment_align: 8
    .kernarg_segment_size: 124
    .language:       OpenCL C
    .language_version:
      - 2
      - 0
    .max_flat_workgroup_size: 256
    .name:           _ZL37rocblas_syrkx_herkx_restricted_kernelIl19rocblas_complex_numIdELi16ELi32ELi8ELb0ELb0ELc78ELc85EKS1_S1_EviT_T0_PT8_S3_lS6_S3_lS4_PT9_S3_li
    .private_segment_fixed_size: 0
    .sgpr_count:     42
    .sgpr_spill_count: 0
    .symbol:         _ZL37rocblas_syrkx_herkx_restricted_kernelIl19rocblas_complex_numIdELi16ELi32ELi8ELb0ELb0ELc78ELc85EKS1_S1_EviT_T0_PT8_S3_lS6_S3_lS4_PT9_S3_li.kd
    .uniform_work_group_size: 1
    .uses_dynamic_stack: false
    .vgpr_count:     54
    .vgpr_spill_count: 0
    .wavefront_size: 32
    .workgroup_processor_mode: 1
  - .args:
      - .offset:         0
        .size:           4
        .value_kind:     by_value
      - .offset:         8
        .size:           8
        .value_kind:     by_value
      - .offset:         16
        .size:           16
        .value_kind:     by_value
      - .address_space:  global
        .offset:         32
        .size:           8
        .value_kind:     global_buffer
      - .offset:         40
        .size:           8
        .value_kind:     by_value
      - .offset:         48
        .size:           8
        .value_kind:     by_value
      - .address_space:  global
        .offset:         56
        .size:           8
        .value_kind:     global_buffer
      - .offset:         64
        .size:           8
        .value_kind:     by_value
      - .offset:         72
        .size:           8
        .value_kind:     by_value
      - .offset:         80
        .size:           16
        .value_kind:     by_value
      - .address_space:  global
        .offset:         96
        .size:           8
        .value_kind:     global_buffer
      - .offset:         104
        .size:           8
        .value_kind:     by_value
      - .offset:         112
        .size:           8
        .value_kind:     by_value
      - .offset:         120
        .size:           4
        .value_kind:     by_value
    .group_segment_fixed_size: 8192
    .kernarg_segment_align: 8
    .kernarg_segment_size: 124
    .language:       OpenCL C
    .language_version:
      - 2
      - 0
    .max_flat_workgroup_size: 256
    .name:           _ZL41rocblas_syrkx_herkx_small_restrict_kernelIl19rocblas_complex_numIdELi16ELb1ELb0ELc84ELc76EKS1_S1_EviT_T0_PT6_S3_lS6_S3_lS4_PT7_S3_li
    .private_segment_fixed_size: 0
    .sgpr_count:     34
    .sgpr_spill_count: 0
    .symbol:         _ZL41rocblas_syrkx_herkx_small_restrict_kernelIl19rocblas_complex_numIdELi16ELb1ELb0ELc84ELc76EKS1_S1_EviT_T0_PT6_S3_lS6_S3_lS4_PT7_S3_li.kd
    .uniform_work_group_size: 1
    .uses_dynamic_stack: false
    .vgpr_count:     48
    .vgpr_spill_count: 0
    .wavefront_size: 32
    .workgroup_processor_mode: 1
  - .args:
      - .offset:         0
        .size:           4
        .value_kind:     by_value
      - .offset:         8
        .size:           8
        .value_kind:     by_value
      - .offset:         16
        .size:           16
        .value_kind:     by_value
      - .address_space:  global
        .offset:         32
        .size:           8
        .value_kind:     global_buffer
      - .offset:         40
        .size:           8
        .value_kind:     by_value
      - .offset:         48
        .size:           8
        .value_kind:     by_value
      - .address_space:  global
        .offset:         56
        .size:           8
        .value_kind:     global_buffer
      - .offset:         64
        .size:           8
        .value_kind:     by_value
      - .offset:         72
        .size:           8
        .value_kind:     by_value
      - .offset:         80
        .size:           16
        .value_kind:     by_value
      - .address_space:  global
        .offset:         96
        .size:           8
        .value_kind:     global_buffer
      - .offset:         104
        .size:           8
        .value_kind:     by_value
      - .offset:         112
        .size:           8
        .value_kind:     by_value
      - .offset:         120
        .size:           4
        .value_kind:     by_value
    .group_segment_fixed_size: 8192
    .kernarg_segment_align: 8
    .kernarg_segment_size: 124
    .language:       OpenCL C
    .language_version:
      - 2
      - 0
    .max_flat_workgroup_size: 256
    .name:           _ZL41rocblas_syrkx_herkx_small_restrict_kernelIl19rocblas_complex_numIdELi16ELb1ELb0ELc67ELc76EKS1_S1_EviT_T0_PT6_S3_lS6_S3_lS4_PT7_S3_li
    .private_segment_fixed_size: 0
    .sgpr_count:     34
    .sgpr_spill_count: 0
    .symbol:         _ZL41rocblas_syrkx_herkx_small_restrict_kernelIl19rocblas_complex_numIdELi16ELb1ELb0ELc67ELc76EKS1_S1_EviT_T0_PT6_S3_lS6_S3_lS4_PT7_S3_li.kd
    .uniform_work_group_size: 1
    .uses_dynamic_stack: false
    .vgpr_count:     48
    .vgpr_spill_count: 0
    .wavefront_size: 32
    .workgroup_processor_mode: 1
  - .args:
      - .offset:         0
        .size:           4
        .value_kind:     by_value
      - .offset:         8
        .size:           8
        .value_kind:     by_value
      - .offset:         16
        .size:           16
        .value_kind:     by_value
      - .address_space:  global
        .offset:         32
        .size:           8
        .value_kind:     global_buffer
      - .offset:         40
        .size:           8
        .value_kind:     by_value
      - .offset:         48
        .size:           8
        .value_kind:     by_value
      - .address_space:  global
        .offset:         56
        .size:           8
        .value_kind:     global_buffer
      - .offset:         64
        .size:           8
        .value_kind:     by_value
      - .offset:         72
        .size:           8
        .value_kind:     by_value
      - .offset:         80
        .size:           16
        .value_kind:     by_value
      - .address_space:  global
        .offset:         96
        .size:           8
        .value_kind:     global_buffer
      - .offset:         104
        .size:           8
        .value_kind:     by_value
      - .offset:         112
        .size:           8
        .value_kind:     by_value
      - .offset:         120
        .size:           4
        .value_kind:     by_value
    .group_segment_fixed_size: 8192
    .kernarg_segment_align: 8
    .kernarg_segment_size: 124
    .language:       OpenCL C
    .language_version:
      - 2
      - 0
    .max_flat_workgroup_size: 256
    .name:           _ZL41rocblas_syrkx_herkx_small_restrict_kernelIl19rocblas_complex_numIdELi16ELb1ELb0ELc78ELc76EKS1_S1_EviT_T0_PT6_S3_lS6_S3_lS4_PT7_S3_li
    .private_segment_fixed_size: 0
    .sgpr_count:     34
    .sgpr_spill_count: 0
    .symbol:         _ZL41rocblas_syrkx_herkx_small_restrict_kernelIl19rocblas_complex_numIdELi16ELb1ELb0ELc78ELc76EKS1_S1_EviT_T0_PT6_S3_lS6_S3_lS4_PT7_S3_li.kd
    .uniform_work_group_size: 1
    .uses_dynamic_stack: false
    .vgpr_count:     48
    .vgpr_spill_count: 0
    .wavefront_size: 32
    .workgroup_processor_mode: 1
  - .args:
      - .offset:         0
        .size:           4
        .value_kind:     by_value
      - .offset:         8
        .size:           8
        .value_kind:     by_value
      - .offset:         16
        .size:           16
        .value_kind:     by_value
      - .address_space:  global
        .offset:         32
        .size:           8
        .value_kind:     global_buffer
      - .offset:         40
        .size:           8
        .value_kind:     by_value
      - .offset:         48
        .size:           8
        .value_kind:     by_value
      - .address_space:  global
        .offset:         56
        .size:           8
        .value_kind:     global_buffer
      - .offset:         64
        .size:           8
        .value_kind:     by_value
      - .offset:         72
        .size:           8
        .value_kind:     by_value
      - .offset:         80
        .size:           16
        .value_kind:     by_value
      - .address_space:  global
        .offset:         96
        .size:           8
        .value_kind:     global_buffer
      - .offset:         104
        .size:           8
        .value_kind:     by_value
      - .offset:         112
        .size:           8
        .value_kind:     by_value
      - .offset:         120
        .size:           4
        .value_kind:     by_value
    .group_segment_fixed_size: 8192
    .kernarg_segment_align: 8
    .kernarg_segment_size: 124
    .language:       OpenCL C
    .language_version:
      - 2
      - 0
    .max_flat_workgroup_size: 256
    .name:           _ZL41rocblas_syrkx_herkx_small_restrict_kernelIl19rocblas_complex_numIdELi16ELb1ELb0ELc84ELc85EKS1_S1_EviT_T0_PT6_S3_lS6_S3_lS4_PT7_S3_li
    .private_segment_fixed_size: 0
    .sgpr_count:     34
    .sgpr_spill_count: 0
    .symbol:         _ZL41rocblas_syrkx_herkx_small_restrict_kernelIl19rocblas_complex_numIdELi16ELb1ELb0ELc84ELc85EKS1_S1_EviT_T0_PT6_S3_lS6_S3_lS4_PT7_S3_li.kd
    .uniform_work_group_size: 1
    .uses_dynamic_stack: false
    .vgpr_count:     48
    .vgpr_spill_count: 0
    .wavefront_size: 32
    .workgroup_processor_mode: 1
  - .args:
      - .offset:         0
        .size:           4
        .value_kind:     by_value
      - .offset:         8
        .size:           8
        .value_kind:     by_value
      - .offset:         16
        .size:           16
        .value_kind:     by_value
      - .address_space:  global
        .offset:         32
        .size:           8
        .value_kind:     global_buffer
      - .offset:         40
        .size:           8
        .value_kind:     by_value
      - .offset:         48
        .size:           8
        .value_kind:     by_value
      - .address_space:  global
        .offset:         56
        .size:           8
        .value_kind:     global_buffer
      - .offset:         64
        .size:           8
        .value_kind:     by_value
      - .offset:         72
        .size:           8
        .value_kind:     by_value
      - .offset:         80
        .size:           16
        .value_kind:     by_value
      - .address_space:  global
        .offset:         96
        .size:           8
        .value_kind:     global_buffer
      - .offset:         104
        .size:           8
        .value_kind:     by_value
      - .offset:         112
        .size:           8
        .value_kind:     by_value
      - .offset:         120
        .size:           4
        .value_kind:     by_value
    .group_segment_fixed_size: 8192
    .kernarg_segment_align: 8
    .kernarg_segment_size: 124
    .language:       OpenCL C
    .language_version:
      - 2
      - 0
    .max_flat_workgroup_size: 256
    .name:           _ZL41rocblas_syrkx_herkx_small_restrict_kernelIl19rocblas_complex_numIdELi16ELb1ELb0ELc67ELc85EKS1_S1_EviT_T0_PT6_S3_lS6_S3_lS4_PT7_S3_li
    .private_segment_fixed_size: 0
    .sgpr_count:     34
    .sgpr_spill_count: 0
    .symbol:         _ZL41rocblas_syrkx_herkx_small_restrict_kernelIl19rocblas_complex_numIdELi16ELb1ELb0ELc67ELc85EKS1_S1_EviT_T0_PT6_S3_lS6_S3_lS4_PT7_S3_li.kd
    .uniform_work_group_size: 1
    .uses_dynamic_stack: false
    .vgpr_count:     48
    .vgpr_spill_count: 0
    .wavefront_size: 32
    .workgroup_processor_mode: 1
  - .args:
      - .offset:         0
        .size:           4
        .value_kind:     by_value
      - .offset:         8
        .size:           8
        .value_kind:     by_value
      - .offset:         16
        .size:           16
        .value_kind:     by_value
      - .address_space:  global
        .offset:         32
        .size:           8
        .value_kind:     global_buffer
      - .offset:         40
        .size:           8
        .value_kind:     by_value
      - .offset:         48
        .size:           8
        .value_kind:     by_value
      - .address_space:  global
        .offset:         56
        .size:           8
        .value_kind:     global_buffer
      - .offset:         64
        .size:           8
        .value_kind:     by_value
      - .offset:         72
        .size:           8
        .value_kind:     by_value
      - .offset:         80
        .size:           16
        .value_kind:     by_value
      - .address_space:  global
        .offset:         96
        .size:           8
        .value_kind:     global_buffer
      - .offset:         104
        .size:           8
        .value_kind:     by_value
      - .offset:         112
        .size:           8
        .value_kind:     by_value
      - .offset:         120
        .size:           4
        .value_kind:     by_value
    .group_segment_fixed_size: 8192
    .kernarg_segment_align: 8
    .kernarg_segment_size: 124
    .language:       OpenCL C
    .language_version:
      - 2
      - 0
    .max_flat_workgroup_size: 256
    .name:           _ZL41rocblas_syrkx_herkx_small_restrict_kernelIl19rocblas_complex_numIdELi16ELb1ELb0ELc78ELc85EKS1_S1_EviT_T0_PT6_S3_lS6_S3_lS4_PT7_S3_li
    .private_segment_fixed_size: 0
    .sgpr_count:     34
    .sgpr_spill_count: 0
    .symbol:         _ZL41rocblas_syrkx_herkx_small_restrict_kernelIl19rocblas_complex_numIdELi16ELb1ELb0ELc78ELc85EKS1_S1_EviT_T0_PT6_S3_lS6_S3_lS4_PT7_S3_li.kd
    .uniform_work_group_size: 1
    .uses_dynamic_stack: false
    .vgpr_count:     48
    .vgpr_spill_count: 0
    .wavefront_size: 32
    .workgroup_processor_mode: 1
  - .args:
      - .offset:         0
        .size:           4
        .value_kind:     by_value
      - .offset:         8
        .size:           8
        .value_kind:     by_value
      - .offset:         16
        .size:           16
        .value_kind:     by_value
      - .address_space:  global
        .offset:         32
        .size:           8
        .value_kind:     global_buffer
      - .offset:         40
        .size:           8
        .value_kind:     by_value
      - .offset:         48
        .size:           8
        .value_kind:     by_value
      - .address_space:  global
        .offset:         56
        .size:           8
        .value_kind:     global_buffer
      - .offset:         64
        .size:           8
        .value_kind:     by_value
      - .offset:         72
        .size:           8
        .value_kind:     by_value
      - .offset:         80
        .size:           16
        .value_kind:     by_value
      - .address_space:  global
        .offset:         96
        .size:           8
        .value_kind:     global_buffer
      - .offset:         104
        .size:           8
        .value_kind:     by_value
      - .offset:         112
        .size:           8
        .value_kind:     by_value
      - .offset:         120
        .size:           4
        .value_kind:     by_value
    .group_segment_fixed_size: 8192
    .kernarg_segment_align: 8
    .kernarg_segment_size: 124
    .language:       OpenCL C
    .language_version:
      - 2
      - 0
    .max_flat_workgroup_size: 256
    .name:           _ZL41rocblas_syrkx_herkx_small_restrict_kernelIl19rocblas_complex_numIdELi16ELb0ELb0ELc84ELc76EKS1_S1_EviT_T0_PT6_S3_lS6_S3_lS4_PT7_S3_li
    .private_segment_fixed_size: 0
    .sgpr_count:     34
    .sgpr_spill_count: 0
    .symbol:         _ZL41rocblas_syrkx_herkx_small_restrict_kernelIl19rocblas_complex_numIdELi16ELb0ELb0ELc84ELc76EKS1_S1_EviT_T0_PT6_S3_lS6_S3_lS4_PT7_S3_li.kd
    .uniform_work_group_size: 1
    .uses_dynamic_stack: false
    .vgpr_count:     48
    .vgpr_spill_count: 0
    .wavefront_size: 32
    .workgroup_processor_mode: 1
  - .args:
      - .offset:         0
        .size:           4
        .value_kind:     by_value
      - .offset:         8
        .size:           8
        .value_kind:     by_value
      - .offset:         16
        .size:           16
        .value_kind:     by_value
      - .address_space:  global
        .offset:         32
        .size:           8
        .value_kind:     global_buffer
      - .offset:         40
        .size:           8
        .value_kind:     by_value
      - .offset:         48
        .size:           8
        .value_kind:     by_value
      - .address_space:  global
        .offset:         56
        .size:           8
        .value_kind:     global_buffer
      - .offset:         64
        .size:           8
        .value_kind:     by_value
      - .offset:         72
        .size:           8
        .value_kind:     by_value
      - .offset:         80
        .size:           16
        .value_kind:     by_value
      - .address_space:  global
        .offset:         96
        .size:           8
        .value_kind:     global_buffer
      - .offset:         104
        .size:           8
        .value_kind:     by_value
      - .offset:         112
        .size:           8
        .value_kind:     by_value
      - .offset:         120
        .size:           4
        .value_kind:     by_value
    .group_segment_fixed_size: 8192
    .kernarg_segment_align: 8
    .kernarg_segment_size: 124
    .language:       OpenCL C
    .language_version:
      - 2
      - 0
    .max_flat_workgroup_size: 256
    .name:           _ZL41rocblas_syrkx_herkx_small_restrict_kernelIl19rocblas_complex_numIdELi16ELb0ELb0ELc67ELc76EKS1_S1_EviT_T0_PT6_S3_lS6_S3_lS4_PT7_S3_li
    .private_segment_fixed_size: 0
    .sgpr_count:     34
    .sgpr_spill_count: 0
    .symbol:         _ZL41rocblas_syrkx_herkx_small_restrict_kernelIl19rocblas_complex_numIdELi16ELb0ELb0ELc67ELc76EKS1_S1_EviT_T0_PT6_S3_lS6_S3_lS4_PT7_S3_li.kd
    .uniform_work_group_size: 1
    .uses_dynamic_stack: false
    .vgpr_count:     48
    .vgpr_spill_count: 0
    .wavefront_size: 32
    .workgroup_processor_mode: 1
  - .args:
      - .offset:         0
        .size:           4
        .value_kind:     by_value
      - .offset:         8
        .size:           8
        .value_kind:     by_value
      - .offset:         16
        .size:           16
        .value_kind:     by_value
      - .address_space:  global
        .offset:         32
        .size:           8
        .value_kind:     global_buffer
      - .offset:         40
        .size:           8
        .value_kind:     by_value
      - .offset:         48
        .size:           8
        .value_kind:     by_value
      - .address_space:  global
        .offset:         56
        .size:           8
        .value_kind:     global_buffer
      - .offset:         64
        .size:           8
        .value_kind:     by_value
      - .offset:         72
        .size:           8
        .value_kind:     by_value
      - .offset:         80
        .size:           16
        .value_kind:     by_value
      - .address_space:  global
        .offset:         96
        .size:           8
        .value_kind:     global_buffer
      - .offset:         104
        .size:           8
        .value_kind:     by_value
      - .offset:         112
        .size:           8
        .value_kind:     by_value
      - .offset:         120
        .size:           4
        .value_kind:     by_value
    .group_segment_fixed_size: 8192
    .kernarg_segment_align: 8
    .kernarg_segment_size: 124
    .language:       OpenCL C
    .language_version:
      - 2
      - 0
    .max_flat_workgroup_size: 256
    .name:           _ZL41rocblas_syrkx_herkx_small_restrict_kernelIl19rocblas_complex_numIdELi16ELb0ELb0ELc78ELc76EKS1_S1_EviT_T0_PT6_S3_lS6_S3_lS4_PT7_S3_li
    .private_segment_fixed_size: 0
    .sgpr_count:     34
    .sgpr_spill_count: 0
    .symbol:         _ZL41rocblas_syrkx_herkx_small_restrict_kernelIl19rocblas_complex_numIdELi16ELb0ELb0ELc78ELc76EKS1_S1_EviT_T0_PT6_S3_lS6_S3_lS4_PT7_S3_li.kd
    .uniform_work_group_size: 1
    .uses_dynamic_stack: false
    .vgpr_count:     48
    .vgpr_spill_count: 0
    .wavefront_size: 32
    .workgroup_processor_mode: 1
  - .args:
      - .offset:         0
        .size:           4
        .value_kind:     by_value
      - .offset:         8
        .size:           8
        .value_kind:     by_value
      - .offset:         16
        .size:           16
        .value_kind:     by_value
      - .address_space:  global
        .offset:         32
        .size:           8
        .value_kind:     global_buffer
      - .offset:         40
        .size:           8
        .value_kind:     by_value
      - .offset:         48
        .size:           8
        .value_kind:     by_value
      - .address_space:  global
        .offset:         56
        .size:           8
        .value_kind:     global_buffer
      - .offset:         64
        .size:           8
        .value_kind:     by_value
      - .offset:         72
        .size:           8
        .value_kind:     by_value
      - .offset:         80
        .size:           16
        .value_kind:     by_value
      - .address_space:  global
        .offset:         96
        .size:           8
        .value_kind:     global_buffer
      - .offset:         104
        .size:           8
        .value_kind:     by_value
      - .offset:         112
        .size:           8
        .value_kind:     by_value
      - .offset:         120
        .size:           4
        .value_kind:     by_value
    .group_segment_fixed_size: 8192
    .kernarg_segment_align: 8
    .kernarg_segment_size: 124
    .language:       OpenCL C
    .language_version:
      - 2
      - 0
    .max_flat_workgroup_size: 256
    .name:           _ZL41rocblas_syrkx_herkx_small_restrict_kernelIl19rocblas_complex_numIdELi16ELb0ELb0ELc84ELc85EKS1_S1_EviT_T0_PT6_S3_lS6_S3_lS4_PT7_S3_li
    .private_segment_fixed_size: 0
    .sgpr_count:     34
    .sgpr_spill_count: 0
    .symbol:         _ZL41rocblas_syrkx_herkx_small_restrict_kernelIl19rocblas_complex_numIdELi16ELb0ELb0ELc84ELc85EKS1_S1_EviT_T0_PT6_S3_lS6_S3_lS4_PT7_S3_li.kd
    .uniform_work_group_size: 1
    .uses_dynamic_stack: false
    .vgpr_count:     48
    .vgpr_spill_count: 0
    .wavefront_size: 32
    .workgroup_processor_mode: 1
  - .args:
      - .offset:         0
        .size:           4
        .value_kind:     by_value
      - .offset:         8
        .size:           8
        .value_kind:     by_value
      - .offset:         16
        .size:           16
        .value_kind:     by_value
      - .address_space:  global
        .offset:         32
        .size:           8
        .value_kind:     global_buffer
      - .offset:         40
        .size:           8
        .value_kind:     by_value
      - .offset:         48
        .size:           8
        .value_kind:     by_value
      - .address_space:  global
        .offset:         56
        .size:           8
        .value_kind:     global_buffer
      - .offset:         64
        .size:           8
        .value_kind:     by_value
      - .offset:         72
        .size:           8
        .value_kind:     by_value
      - .offset:         80
        .size:           16
        .value_kind:     by_value
      - .address_space:  global
        .offset:         96
        .size:           8
        .value_kind:     global_buffer
      - .offset:         104
        .size:           8
        .value_kind:     by_value
      - .offset:         112
        .size:           8
        .value_kind:     by_value
      - .offset:         120
        .size:           4
        .value_kind:     by_value
    .group_segment_fixed_size: 8192
    .kernarg_segment_align: 8
    .kernarg_segment_size: 124
    .language:       OpenCL C
    .language_version:
      - 2
      - 0
    .max_flat_workgroup_size: 256
    .name:           _ZL41rocblas_syrkx_herkx_small_restrict_kernelIl19rocblas_complex_numIdELi16ELb0ELb0ELc67ELc85EKS1_S1_EviT_T0_PT6_S3_lS6_S3_lS4_PT7_S3_li
    .private_segment_fixed_size: 0
    .sgpr_count:     34
    .sgpr_spill_count: 0
    .symbol:         _ZL41rocblas_syrkx_herkx_small_restrict_kernelIl19rocblas_complex_numIdELi16ELb0ELb0ELc67ELc85EKS1_S1_EviT_T0_PT6_S3_lS6_S3_lS4_PT7_S3_li.kd
    .uniform_work_group_size: 1
    .uses_dynamic_stack: false
    .vgpr_count:     48
    .vgpr_spill_count: 0
    .wavefront_size: 32
    .workgroup_processor_mode: 1
  - .args:
      - .offset:         0
        .size:           4
        .value_kind:     by_value
      - .offset:         8
        .size:           8
        .value_kind:     by_value
      - .offset:         16
        .size:           16
        .value_kind:     by_value
      - .address_space:  global
        .offset:         32
        .size:           8
        .value_kind:     global_buffer
      - .offset:         40
        .size:           8
        .value_kind:     by_value
      - .offset:         48
        .size:           8
        .value_kind:     by_value
      - .address_space:  global
        .offset:         56
        .size:           8
        .value_kind:     global_buffer
      - .offset:         64
        .size:           8
        .value_kind:     by_value
      - .offset:         72
        .size:           8
        .value_kind:     by_value
      - .offset:         80
        .size:           16
        .value_kind:     by_value
      - .address_space:  global
        .offset:         96
        .size:           8
        .value_kind:     global_buffer
      - .offset:         104
        .size:           8
        .value_kind:     by_value
      - .offset:         112
        .size:           8
        .value_kind:     by_value
      - .offset:         120
        .size:           4
        .value_kind:     by_value
    .group_segment_fixed_size: 8192
    .kernarg_segment_align: 8
    .kernarg_segment_size: 124
    .language:       OpenCL C
    .language_version:
      - 2
      - 0
    .max_flat_workgroup_size: 256
    .name:           _ZL41rocblas_syrkx_herkx_small_restrict_kernelIl19rocblas_complex_numIdELi16ELb0ELb0ELc78ELc85EKS1_S1_EviT_T0_PT6_S3_lS6_S3_lS4_PT7_S3_li
    .private_segment_fixed_size: 0
    .sgpr_count:     34
    .sgpr_spill_count: 0
    .symbol:         _ZL41rocblas_syrkx_herkx_small_restrict_kernelIl19rocblas_complex_numIdELi16ELb0ELb0ELc78ELc85EKS1_S1_EviT_T0_PT6_S3_lS6_S3_lS4_PT7_S3_li.kd
    .uniform_work_group_size: 1
    .uses_dynamic_stack: false
    .vgpr_count:     48
    .vgpr_spill_count: 0
    .wavefront_size: 32
    .workgroup_processor_mode: 1
  - .args:
      - .offset:         0
        .size:           4
        .value_kind:     by_value
      - .offset:         8
        .size:           8
        .value_kind:     by_value
      - .offset:         16
        .size:           16
        .value_kind:     by_value
      - .address_space:  global
        .offset:         32
        .size:           8
        .value_kind:     global_buffer
      - .offset:         40
        .size:           8
        .value_kind:     by_value
      - .offset:         48
        .size:           8
        .value_kind:     by_value
      - .address_space:  global
        .offset:         56
        .size:           8
        .value_kind:     global_buffer
      - .offset:         64
        .size:           8
        .value_kind:     by_value
      - .offset:         72
        .size:           8
        .value_kind:     by_value
      - .offset:         80
        .size:           16
        .value_kind:     by_value
      - .address_space:  global
        .offset:         96
        .size:           8
        .value_kind:     global_buffer
      - .offset:         104
        .size:           8
        .value_kind:     by_value
      - .offset:         112
        .size:           8
        .value_kind:     by_value
      - .offset:         120
        .size:           4
        .value_kind:     by_value
    .group_segment_fixed_size: 8192
    .kernarg_segment_align: 8
    .kernarg_segment_size: 124
    .language:       OpenCL C
    .language_version:
      - 2
      - 0
    .max_flat_workgroup_size: 256
    .name:           _ZL32rocblas_syrkx_herkx_small_kernelIl19rocblas_complex_numIdELi16ELb1ELb0ELc84ELc76EKS1_S1_EviT_T0_PT6_S3_lS6_S3_lS4_PT7_S3_li
    .private_segment_fixed_size: 0
    .sgpr_count:     34
    .sgpr_spill_count: 0
    .symbol:         _ZL32rocblas_syrkx_herkx_small_kernelIl19rocblas_complex_numIdELi16ELb1ELb0ELc84ELc76EKS1_S1_EviT_T0_PT6_S3_lS6_S3_lS4_PT7_S3_li.kd
    .uniform_work_group_size: 1
    .uses_dynamic_stack: false
    .vgpr_count:     52
    .vgpr_spill_count: 0
    .wavefront_size: 32
    .workgroup_processor_mode: 1
  - .args:
      - .offset:         0
        .size:           4
        .value_kind:     by_value
      - .offset:         8
        .size:           8
        .value_kind:     by_value
      - .offset:         16
        .size:           16
        .value_kind:     by_value
      - .address_space:  global
        .offset:         32
        .size:           8
        .value_kind:     global_buffer
      - .offset:         40
        .size:           8
        .value_kind:     by_value
      - .offset:         48
        .size:           8
        .value_kind:     by_value
      - .address_space:  global
        .offset:         56
        .size:           8
        .value_kind:     global_buffer
      - .offset:         64
        .size:           8
        .value_kind:     by_value
      - .offset:         72
        .size:           8
        .value_kind:     by_value
      - .offset:         80
        .size:           16
        .value_kind:     by_value
      - .address_space:  global
        .offset:         96
        .size:           8
        .value_kind:     global_buffer
      - .offset:         104
        .size:           8
        .value_kind:     by_value
      - .offset:         112
        .size:           8
        .value_kind:     by_value
      - .offset:         120
        .size:           4
        .value_kind:     by_value
    .group_segment_fixed_size: 8192
    .kernarg_segment_align: 8
    .kernarg_segment_size: 124
    .language:       OpenCL C
    .language_version:
      - 2
      - 0
    .max_flat_workgroup_size: 256
    .name:           _ZL32rocblas_syrkx_herkx_small_kernelIl19rocblas_complex_numIdELi16ELb1ELb0ELc67ELc76EKS1_S1_EviT_T0_PT6_S3_lS6_S3_lS4_PT7_S3_li
    .private_segment_fixed_size: 0
    .sgpr_count:     34
    .sgpr_spill_count: 0
    .symbol:         _ZL32rocblas_syrkx_herkx_small_kernelIl19rocblas_complex_numIdELi16ELb1ELb0ELc67ELc76EKS1_S1_EviT_T0_PT6_S3_lS6_S3_lS4_PT7_S3_li.kd
    .uniform_work_group_size: 1
    .uses_dynamic_stack: false
    .vgpr_count:     53
    .vgpr_spill_count: 0
    .wavefront_size: 32
    .workgroup_processor_mode: 1
  - .args:
      - .offset:         0
        .size:           4
        .value_kind:     by_value
      - .offset:         8
        .size:           8
        .value_kind:     by_value
      - .offset:         16
        .size:           16
        .value_kind:     by_value
      - .address_space:  global
        .offset:         32
        .size:           8
        .value_kind:     global_buffer
      - .offset:         40
        .size:           8
        .value_kind:     by_value
      - .offset:         48
        .size:           8
        .value_kind:     by_value
      - .address_space:  global
        .offset:         56
        .size:           8
        .value_kind:     global_buffer
      - .offset:         64
        .size:           8
        .value_kind:     by_value
      - .offset:         72
        .size:           8
        .value_kind:     by_value
      - .offset:         80
        .size:           16
        .value_kind:     by_value
      - .address_space:  global
        .offset:         96
        .size:           8
        .value_kind:     global_buffer
      - .offset:         104
        .size:           8
        .value_kind:     by_value
      - .offset:         112
        .size:           8
        .value_kind:     by_value
      - .offset:         120
        .size:           4
        .value_kind:     by_value
    .group_segment_fixed_size: 8192
    .kernarg_segment_align: 8
    .kernarg_segment_size: 124
    .language:       OpenCL C
    .language_version:
      - 2
      - 0
    .max_flat_workgroup_size: 256
    .name:           _ZL32rocblas_syrkx_herkx_small_kernelIl19rocblas_complex_numIdELi16ELb1ELb0ELc78ELc76EKS1_S1_EviT_T0_PT6_S3_lS6_S3_lS4_PT7_S3_li
    .private_segment_fixed_size: 0
    .sgpr_count:     34
    .sgpr_spill_count: 0
    .symbol:         _ZL32rocblas_syrkx_herkx_small_kernelIl19rocblas_complex_numIdELi16ELb1ELb0ELc78ELc76EKS1_S1_EviT_T0_PT6_S3_lS6_S3_lS4_PT7_S3_li.kd
    .uniform_work_group_size: 1
    .uses_dynamic_stack: false
    .vgpr_count:     51
    .vgpr_spill_count: 0
    .wavefront_size: 32
    .workgroup_processor_mode: 1
  - .args:
      - .offset:         0
        .size:           4
        .value_kind:     by_value
      - .offset:         8
        .size:           8
        .value_kind:     by_value
      - .offset:         16
        .size:           16
        .value_kind:     by_value
      - .address_space:  global
        .offset:         32
        .size:           8
        .value_kind:     global_buffer
      - .offset:         40
        .size:           8
        .value_kind:     by_value
      - .offset:         48
        .size:           8
        .value_kind:     by_value
      - .address_space:  global
        .offset:         56
        .size:           8
        .value_kind:     global_buffer
      - .offset:         64
        .size:           8
        .value_kind:     by_value
      - .offset:         72
        .size:           8
        .value_kind:     by_value
      - .offset:         80
        .size:           16
        .value_kind:     by_value
      - .address_space:  global
        .offset:         96
        .size:           8
        .value_kind:     global_buffer
      - .offset:         104
        .size:           8
        .value_kind:     by_value
      - .offset:         112
        .size:           8
        .value_kind:     by_value
      - .offset:         120
        .size:           4
        .value_kind:     by_value
    .group_segment_fixed_size: 8192
    .kernarg_segment_align: 8
    .kernarg_segment_size: 124
    .language:       OpenCL C
    .language_version:
      - 2
      - 0
    .max_flat_workgroup_size: 256
    .name:           _ZL32rocblas_syrkx_herkx_small_kernelIl19rocblas_complex_numIdELi16ELb1ELb0ELc84ELc85EKS1_S1_EviT_T0_PT6_S3_lS6_S3_lS4_PT7_S3_li
    .private_segment_fixed_size: 0
    .sgpr_count:     34
    .sgpr_spill_count: 0
    .symbol:         _ZL32rocblas_syrkx_herkx_small_kernelIl19rocblas_complex_numIdELi16ELb1ELb0ELc84ELc85EKS1_S1_EviT_T0_PT6_S3_lS6_S3_lS4_PT7_S3_li.kd
    .uniform_work_group_size: 1
    .uses_dynamic_stack: false
    .vgpr_count:     52
    .vgpr_spill_count: 0
    .wavefront_size: 32
    .workgroup_processor_mode: 1
  - .args:
      - .offset:         0
        .size:           4
        .value_kind:     by_value
      - .offset:         8
        .size:           8
        .value_kind:     by_value
      - .offset:         16
        .size:           16
        .value_kind:     by_value
      - .address_space:  global
        .offset:         32
        .size:           8
        .value_kind:     global_buffer
      - .offset:         40
        .size:           8
        .value_kind:     by_value
      - .offset:         48
        .size:           8
        .value_kind:     by_value
      - .address_space:  global
        .offset:         56
        .size:           8
        .value_kind:     global_buffer
      - .offset:         64
        .size:           8
        .value_kind:     by_value
      - .offset:         72
        .size:           8
        .value_kind:     by_value
      - .offset:         80
        .size:           16
        .value_kind:     by_value
      - .address_space:  global
        .offset:         96
        .size:           8
        .value_kind:     global_buffer
      - .offset:         104
        .size:           8
        .value_kind:     by_value
      - .offset:         112
        .size:           8
        .value_kind:     by_value
      - .offset:         120
        .size:           4
        .value_kind:     by_value
    .group_segment_fixed_size: 8192
    .kernarg_segment_align: 8
    .kernarg_segment_size: 124
    .language:       OpenCL C
    .language_version:
      - 2
      - 0
    .max_flat_workgroup_size: 256
    .name:           _ZL32rocblas_syrkx_herkx_small_kernelIl19rocblas_complex_numIdELi16ELb1ELb0ELc67ELc85EKS1_S1_EviT_T0_PT6_S3_lS6_S3_lS4_PT7_S3_li
    .private_segment_fixed_size: 0
    .sgpr_count:     34
    .sgpr_spill_count: 0
    .symbol:         _ZL32rocblas_syrkx_herkx_small_kernelIl19rocblas_complex_numIdELi16ELb1ELb0ELc67ELc85EKS1_S1_EviT_T0_PT6_S3_lS6_S3_lS4_PT7_S3_li.kd
    .uniform_work_group_size: 1
    .uses_dynamic_stack: false
    .vgpr_count:     53
    .vgpr_spill_count: 0
    .wavefront_size: 32
    .workgroup_processor_mode: 1
  - .args:
      - .offset:         0
        .size:           4
        .value_kind:     by_value
      - .offset:         8
        .size:           8
        .value_kind:     by_value
      - .offset:         16
        .size:           16
        .value_kind:     by_value
      - .address_space:  global
        .offset:         32
        .size:           8
        .value_kind:     global_buffer
      - .offset:         40
        .size:           8
        .value_kind:     by_value
      - .offset:         48
        .size:           8
        .value_kind:     by_value
      - .address_space:  global
        .offset:         56
        .size:           8
        .value_kind:     global_buffer
      - .offset:         64
        .size:           8
        .value_kind:     by_value
      - .offset:         72
        .size:           8
        .value_kind:     by_value
      - .offset:         80
        .size:           16
        .value_kind:     by_value
      - .address_space:  global
        .offset:         96
        .size:           8
        .value_kind:     global_buffer
      - .offset:         104
        .size:           8
        .value_kind:     by_value
      - .offset:         112
        .size:           8
        .value_kind:     by_value
      - .offset:         120
        .size:           4
        .value_kind:     by_value
    .group_segment_fixed_size: 8192
    .kernarg_segment_align: 8
    .kernarg_segment_size: 124
    .language:       OpenCL C
    .language_version:
      - 2
      - 0
    .max_flat_workgroup_size: 256
    .name:           _ZL32rocblas_syrkx_herkx_small_kernelIl19rocblas_complex_numIdELi16ELb1ELb0ELc78ELc85EKS1_S1_EviT_T0_PT6_S3_lS6_S3_lS4_PT7_S3_li
    .private_segment_fixed_size: 0
    .sgpr_count:     34
    .sgpr_spill_count: 0
    .symbol:         _ZL32rocblas_syrkx_herkx_small_kernelIl19rocblas_complex_numIdELi16ELb1ELb0ELc78ELc85EKS1_S1_EviT_T0_PT6_S3_lS6_S3_lS4_PT7_S3_li.kd
    .uniform_work_group_size: 1
    .uses_dynamic_stack: false
    .vgpr_count:     51
    .vgpr_spill_count: 0
    .wavefront_size: 32
    .workgroup_processor_mode: 1
  - .args:
      - .offset:         0
        .size:           4
        .value_kind:     by_value
      - .offset:         8
        .size:           8
        .value_kind:     by_value
      - .offset:         16
        .size:           16
        .value_kind:     by_value
      - .address_space:  global
        .offset:         32
        .size:           8
        .value_kind:     global_buffer
      - .offset:         40
        .size:           8
        .value_kind:     by_value
      - .offset:         48
        .size:           8
        .value_kind:     by_value
      - .address_space:  global
        .offset:         56
        .size:           8
        .value_kind:     global_buffer
      - .offset:         64
        .size:           8
        .value_kind:     by_value
      - .offset:         72
        .size:           8
        .value_kind:     by_value
      - .offset:         80
        .size:           16
        .value_kind:     by_value
      - .address_space:  global
        .offset:         96
        .size:           8
        .value_kind:     global_buffer
      - .offset:         104
        .size:           8
        .value_kind:     by_value
      - .offset:         112
        .size:           8
        .value_kind:     by_value
      - .offset:         120
        .size:           4
        .value_kind:     by_value
    .group_segment_fixed_size: 8192
    .kernarg_segment_align: 8
    .kernarg_segment_size: 124
    .language:       OpenCL C
    .language_version:
      - 2
      - 0
    .max_flat_workgroup_size: 256
    .name:           _ZL32rocblas_syrkx_herkx_small_kernelIl19rocblas_complex_numIdELi16ELb0ELb0ELc84ELc76EKS1_S1_EviT_T0_PT6_S3_lS6_S3_lS4_PT7_S3_li
    .private_segment_fixed_size: 0
    .sgpr_count:     42
    .sgpr_spill_count: 0
    .symbol:         _ZL32rocblas_syrkx_herkx_small_kernelIl19rocblas_complex_numIdELi16ELb0ELb0ELc84ELc76EKS1_S1_EviT_T0_PT6_S3_lS6_S3_lS4_PT7_S3_li.kd
    .uniform_work_group_size: 1
    .uses_dynamic_stack: false
    .vgpr_count:     52
    .vgpr_spill_count: 0
    .wavefront_size: 32
    .workgroup_processor_mode: 1
  - .args:
      - .offset:         0
        .size:           4
        .value_kind:     by_value
      - .offset:         8
        .size:           8
        .value_kind:     by_value
      - .offset:         16
        .size:           16
        .value_kind:     by_value
      - .address_space:  global
        .offset:         32
        .size:           8
        .value_kind:     global_buffer
      - .offset:         40
        .size:           8
        .value_kind:     by_value
      - .offset:         48
        .size:           8
        .value_kind:     by_value
      - .address_space:  global
        .offset:         56
        .size:           8
        .value_kind:     global_buffer
      - .offset:         64
        .size:           8
        .value_kind:     by_value
      - .offset:         72
        .size:           8
        .value_kind:     by_value
      - .offset:         80
        .size:           16
        .value_kind:     by_value
      - .address_space:  global
        .offset:         96
        .size:           8
        .value_kind:     global_buffer
      - .offset:         104
        .size:           8
        .value_kind:     by_value
      - .offset:         112
        .size:           8
        .value_kind:     by_value
      - .offset:         120
        .size:           4
        .value_kind:     by_value
    .group_segment_fixed_size: 8192
    .kernarg_segment_align: 8
    .kernarg_segment_size: 124
    .language:       OpenCL C
    .language_version:
      - 2
      - 0
    .max_flat_workgroup_size: 256
    .name:           _ZL32rocblas_syrkx_herkx_small_kernelIl19rocblas_complex_numIdELi16ELb0ELb0ELc67ELc76EKS1_S1_EviT_T0_PT6_S3_lS6_S3_lS4_PT7_S3_li
    .private_segment_fixed_size: 0
    .sgpr_count:     42
    .sgpr_spill_count: 0
    .symbol:         _ZL32rocblas_syrkx_herkx_small_kernelIl19rocblas_complex_numIdELi16ELb0ELb0ELc67ELc76EKS1_S1_EviT_T0_PT6_S3_lS6_S3_lS4_PT7_S3_li.kd
    .uniform_work_group_size: 1
    .uses_dynamic_stack: false
    .vgpr_count:     53
    .vgpr_spill_count: 0
    .wavefront_size: 32
    .workgroup_processor_mode: 1
  - .args:
      - .offset:         0
        .size:           4
        .value_kind:     by_value
      - .offset:         8
        .size:           8
        .value_kind:     by_value
      - .offset:         16
        .size:           16
        .value_kind:     by_value
      - .address_space:  global
        .offset:         32
        .size:           8
        .value_kind:     global_buffer
      - .offset:         40
        .size:           8
        .value_kind:     by_value
      - .offset:         48
        .size:           8
        .value_kind:     by_value
      - .address_space:  global
        .offset:         56
        .size:           8
        .value_kind:     global_buffer
      - .offset:         64
        .size:           8
        .value_kind:     by_value
      - .offset:         72
        .size:           8
        .value_kind:     by_value
      - .offset:         80
        .size:           16
        .value_kind:     by_value
      - .address_space:  global
        .offset:         96
        .size:           8
        .value_kind:     global_buffer
      - .offset:         104
        .size:           8
        .value_kind:     by_value
      - .offset:         112
        .size:           8
        .value_kind:     by_value
      - .offset:         120
        .size:           4
        .value_kind:     by_value
    .group_segment_fixed_size: 8192
    .kernarg_segment_align: 8
    .kernarg_segment_size: 124
    .language:       OpenCL C
    .language_version:
      - 2
      - 0
    .max_flat_workgroup_size: 256
    .name:           _ZL32rocblas_syrkx_herkx_small_kernelIl19rocblas_complex_numIdELi16ELb0ELb0ELc78ELc76EKS1_S1_EviT_T0_PT6_S3_lS6_S3_lS4_PT7_S3_li
    .private_segment_fixed_size: 0
    .sgpr_count:     42
    .sgpr_spill_count: 0
    .symbol:         _ZL32rocblas_syrkx_herkx_small_kernelIl19rocblas_complex_numIdELi16ELb0ELb0ELc78ELc76EKS1_S1_EviT_T0_PT6_S3_lS6_S3_lS4_PT7_S3_li.kd
    .uniform_work_group_size: 1
    .uses_dynamic_stack: false
    .vgpr_count:     51
    .vgpr_spill_count: 0
    .wavefront_size: 32
    .workgroup_processor_mode: 1
  - .args:
      - .offset:         0
        .size:           4
        .value_kind:     by_value
      - .offset:         8
        .size:           8
        .value_kind:     by_value
      - .offset:         16
        .size:           16
        .value_kind:     by_value
      - .address_space:  global
        .offset:         32
        .size:           8
        .value_kind:     global_buffer
      - .offset:         40
        .size:           8
        .value_kind:     by_value
      - .offset:         48
        .size:           8
        .value_kind:     by_value
      - .address_space:  global
        .offset:         56
        .size:           8
        .value_kind:     global_buffer
      - .offset:         64
        .size:           8
        .value_kind:     by_value
      - .offset:         72
        .size:           8
        .value_kind:     by_value
      - .offset:         80
        .size:           16
        .value_kind:     by_value
      - .address_space:  global
        .offset:         96
        .size:           8
        .value_kind:     global_buffer
      - .offset:         104
        .size:           8
        .value_kind:     by_value
      - .offset:         112
        .size:           8
        .value_kind:     by_value
      - .offset:         120
        .size:           4
        .value_kind:     by_value
    .group_segment_fixed_size: 8192
    .kernarg_segment_align: 8
    .kernarg_segment_size: 124
    .language:       OpenCL C
    .language_version:
      - 2
      - 0
    .max_flat_workgroup_size: 256
    .name:           _ZL32rocblas_syrkx_herkx_small_kernelIl19rocblas_complex_numIdELi16ELb0ELb0ELc84ELc85EKS1_S1_EviT_T0_PT6_S3_lS6_S3_lS4_PT7_S3_li
    .private_segment_fixed_size: 0
    .sgpr_count:     42
    .sgpr_spill_count: 0
    .symbol:         _ZL32rocblas_syrkx_herkx_small_kernelIl19rocblas_complex_numIdELi16ELb0ELb0ELc84ELc85EKS1_S1_EviT_T0_PT6_S3_lS6_S3_lS4_PT7_S3_li.kd
    .uniform_work_group_size: 1
    .uses_dynamic_stack: false
    .vgpr_count:     52
    .vgpr_spill_count: 0
    .wavefront_size: 32
    .workgroup_processor_mode: 1
  - .args:
      - .offset:         0
        .size:           4
        .value_kind:     by_value
      - .offset:         8
        .size:           8
        .value_kind:     by_value
      - .offset:         16
        .size:           16
        .value_kind:     by_value
      - .address_space:  global
        .offset:         32
        .size:           8
        .value_kind:     global_buffer
      - .offset:         40
        .size:           8
        .value_kind:     by_value
      - .offset:         48
        .size:           8
        .value_kind:     by_value
      - .address_space:  global
        .offset:         56
        .size:           8
        .value_kind:     global_buffer
      - .offset:         64
        .size:           8
        .value_kind:     by_value
      - .offset:         72
        .size:           8
        .value_kind:     by_value
      - .offset:         80
        .size:           16
        .value_kind:     by_value
      - .address_space:  global
        .offset:         96
        .size:           8
        .value_kind:     global_buffer
      - .offset:         104
        .size:           8
        .value_kind:     by_value
      - .offset:         112
        .size:           8
        .value_kind:     by_value
      - .offset:         120
        .size:           4
        .value_kind:     by_value
    .group_segment_fixed_size: 8192
    .kernarg_segment_align: 8
    .kernarg_segment_size: 124
    .language:       OpenCL C
    .language_version:
      - 2
      - 0
    .max_flat_workgroup_size: 256
    .name:           _ZL32rocblas_syrkx_herkx_small_kernelIl19rocblas_complex_numIdELi16ELb0ELb0ELc67ELc85EKS1_S1_EviT_T0_PT6_S3_lS6_S3_lS4_PT7_S3_li
    .private_segment_fixed_size: 0
    .sgpr_count:     42
    .sgpr_spill_count: 0
    .symbol:         _ZL32rocblas_syrkx_herkx_small_kernelIl19rocblas_complex_numIdELi16ELb0ELb0ELc67ELc85EKS1_S1_EviT_T0_PT6_S3_lS6_S3_lS4_PT7_S3_li.kd
    .uniform_work_group_size: 1
    .uses_dynamic_stack: false
    .vgpr_count:     53
    .vgpr_spill_count: 0
    .wavefront_size: 32
    .workgroup_processor_mode: 1
  - .args:
      - .offset:         0
        .size:           4
        .value_kind:     by_value
      - .offset:         8
        .size:           8
        .value_kind:     by_value
      - .offset:         16
        .size:           16
        .value_kind:     by_value
      - .address_space:  global
        .offset:         32
        .size:           8
        .value_kind:     global_buffer
      - .offset:         40
        .size:           8
        .value_kind:     by_value
      - .offset:         48
        .size:           8
        .value_kind:     by_value
      - .address_space:  global
        .offset:         56
        .size:           8
        .value_kind:     global_buffer
      - .offset:         64
        .size:           8
        .value_kind:     by_value
      - .offset:         72
        .size:           8
        .value_kind:     by_value
      - .offset:         80
        .size:           16
        .value_kind:     by_value
      - .address_space:  global
        .offset:         96
        .size:           8
        .value_kind:     global_buffer
      - .offset:         104
        .size:           8
        .value_kind:     by_value
      - .offset:         112
        .size:           8
        .value_kind:     by_value
      - .offset:         120
        .size:           4
        .value_kind:     by_value
    .group_segment_fixed_size: 8192
    .kernarg_segment_align: 8
    .kernarg_segment_size: 124
    .language:       OpenCL C
    .language_version:
      - 2
      - 0
    .max_flat_workgroup_size: 256
    .name:           _ZL32rocblas_syrkx_herkx_small_kernelIl19rocblas_complex_numIdELi16ELb0ELb0ELc78ELc85EKS1_S1_EviT_T0_PT6_S3_lS6_S3_lS4_PT7_S3_li
    .private_segment_fixed_size: 0
    .sgpr_count:     42
    .sgpr_spill_count: 0
    .symbol:         _ZL32rocblas_syrkx_herkx_small_kernelIl19rocblas_complex_numIdELi16ELb0ELb0ELc78ELc85EKS1_S1_EviT_T0_PT6_S3_lS6_S3_lS4_PT7_S3_li.kd
    .uniform_work_group_size: 1
    .uses_dynamic_stack: false
    .vgpr_count:     51
    .vgpr_spill_count: 0
    .wavefront_size: 32
    .workgroup_processor_mode: 1
  - .args:
      - .offset:         0
        .size:           4
        .value_kind:     by_value
      - .offset:         8
        .size:           8
        .value_kind:     by_value
      - .offset:         16
        .size:           16
        .value_kind:     by_value
      - .address_space:  global
        .offset:         32
        .size:           8
        .value_kind:     global_buffer
      - .offset:         40
        .size:           8
        .value_kind:     by_value
      - .offset:         48
        .size:           8
        .value_kind:     by_value
      - .address_space:  global
        .offset:         56
        .size:           8
        .value_kind:     global_buffer
      - .offset:         64
        .size:           8
        .value_kind:     by_value
      - .offset:         72
        .size:           8
        .value_kind:     by_value
      - .offset:         80
        .size:           16
        .value_kind:     by_value
      - .address_space:  global
        .offset:         96
        .size:           8
        .value_kind:     global_buffer
      - .offset:         104
        .size:           8
        .value_kind:     by_value
      - .offset:         112
        .size:           8
        .value_kind:     by_value
      - .offset:         120
        .size:           4
        .value_kind:     by_value
    .group_segment_fixed_size: 8192
    .kernarg_segment_align: 8
    .kernarg_segment_size: 124
    .language:       OpenCL C
    .language_version:
      - 2
      - 0
    .max_flat_workgroup_size: 256
    .name:           _ZL34rocblas_syrkx_herkx_general_kernelIl19rocblas_complex_numIdELi16ELi32ELi8ELb1ELb0ELc84ELc76EKS1_S1_EviT_T0_PT8_S3_lS6_S3_lS4_PT9_S3_li
    .private_segment_fixed_size: 0
    .sgpr_count:     34
    .sgpr_spill_count: 0
    .symbol:         _ZL34rocblas_syrkx_herkx_general_kernelIl19rocblas_complex_numIdELi16ELi32ELi8ELb1ELb0ELc84ELc76EKS1_S1_EviT_T0_PT8_S3_lS6_S3_lS4_PT9_S3_li.kd
    .uniform_work_group_size: 1
    .uses_dynamic_stack: false
    .vgpr_count:     56
    .vgpr_spill_count: 0
    .wavefront_size: 32
    .workgroup_processor_mode: 1
  - .args:
      - .offset:         0
        .size:           4
        .value_kind:     by_value
      - .offset:         8
        .size:           8
        .value_kind:     by_value
      - .offset:         16
        .size:           16
        .value_kind:     by_value
      - .address_space:  global
        .offset:         32
        .size:           8
        .value_kind:     global_buffer
      - .offset:         40
        .size:           8
        .value_kind:     by_value
      - .offset:         48
        .size:           8
        .value_kind:     by_value
      - .address_space:  global
        .offset:         56
        .size:           8
        .value_kind:     global_buffer
      - .offset:         64
        .size:           8
        .value_kind:     by_value
      - .offset:         72
        .size:           8
        .value_kind:     by_value
      - .offset:         80
        .size:           16
        .value_kind:     by_value
      - .address_space:  global
        .offset:         96
        .size:           8
        .value_kind:     global_buffer
      - .offset:         104
        .size:           8
        .value_kind:     by_value
      - .offset:         112
        .size:           8
        .value_kind:     by_value
      - .offset:         120
        .size:           4
        .value_kind:     by_value
    .group_segment_fixed_size: 8192
    .kernarg_segment_align: 8
    .kernarg_segment_size: 124
    .language:       OpenCL C
    .language_version:
      - 2
      - 0
    .max_flat_workgroup_size: 256
    .name:           _ZL34rocblas_syrkx_herkx_general_kernelIl19rocblas_complex_numIdELi16ELi32ELi8ELb1ELb0ELc67ELc76EKS1_S1_EviT_T0_PT8_S3_lS6_S3_lS4_PT9_S3_li
    .private_segment_fixed_size: 0
    .sgpr_count:     34
    .sgpr_spill_count: 0
    .symbol:         _ZL34rocblas_syrkx_herkx_general_kernelIl19rocblas_complex_numIdELi16ELi32ELi8ELb1ELb0ELc67ELc76EKS1_S1_EviT_T0_PT8_S3_lS6_S3_lS4_PT9_S3_li.kd
    .uniform_work_group_size: 1
    .uses_dynamic_stack: false
    .vgpr_count:     121
    .vgpr_spill_count: 0
    .wavefront_size: 32
    .workgroup_processor_mode: 1
  - .args:
      - .offset:         0
        .size:           4
        .value_kind:     by_value
      - .offset:         8
        .size:           8
        .value_kind:     by_value
      - .offset:         16
        .size:           16
        .value_kind:     by_value
      - .address_space:  global
        .offset:         32
        .size:           8
        .value_kind:     global_buffer
      - .offset:         40
        .size:           8
        .value_kind:     by_value
      - .offset:         48
        .size:           8
        .value_kind:     by_value
      - .address_space:  global
        .offset:         56
        .size:           8
        .value_kind:     global_buffer
      - .offset:         64
        .size:           8
        .value_kind:     by_value
      - .offset:         72
        .size:           8
        .value_kind:     by_value
      - .offset:         80
        .size:           16
        .value_kind:     by_value
      - .address_space:  global
        .offset:         96
        .size:           8
        .value_kind:     global_buffer
      - .offset:         104
        .size:           8
        .value_kind:     by_value
      - .offset:         112
        .size:           8
        .value_kind:     by_value
      - .offset:         120
        .size:           4
        .value_kind:     by_value
    .group_segment_fixed_size: 8192
    .kernarg_segment_align: 8
    .kernarg_segment_size: 124
    .language:       OpenCL C
    .language_version:
      - 2
      - 0
    .max_flat_workgroup_size: 256
    .name:           _ZL34rocblas_syrkx_herkx_general_kernelIl19rocblas_complex_numIdELi16ELi32ELi8ELb1ELb0ELc78ELc76EKS1_S1_EviT_T0_PT8_S3_lS6_S3_lS4_PT9_S3_li
    .private_segment_fixed_size: 0
    .sgpr_count:     34
    .sgpr_spill_count: 0
    .symbol:         _ZL34rocblas_syrkx_herkx_general_kernelIl19rocblas_complex_numIdELi16ELi32ELi8ELb1ELb0ELc78ELc76EKS1_S1_EviT_T0_PT8_S3_lS6_S3_lS4_PT9_S3_li.kd
    .uniform_work_group_size: 1
    .uses_dynamic_stack: false
    .vgpr_count:     119
    .vgpr_spill_count: 0
    .wavefront_size: 32
    .workgroup_processor_mode: 1
  - .args:
      - .offset:         0
        .size:           4
        .value_kind:     by_value
      - .offset:         8
        .size:           8
        .value_kind:     by_value
      - .offset:         16
        .size:           16
        .value_kind:     by_value
      - .address_space:  global
        .offset:         32
        .size:           8
        .value_kind:     global_buffer
      - .offset:         40
        .size:           8
        .value_kind:     by_value
      - .offset:         48
        .size:           8
        .value_kind:     by_value
      - .address_space:  global
        .offset:         56
        .size:           8
        .value_kind:     global_buffer
      - .offset:         64
        .size:           8
        .value_kind:     by_value
      - .offset:         72
        .size:           8
        .value_kind:     by_value
      - .offset:         80
        .size:           16
        .value_kind:     by_value
      - .address_space:  global
        .offset:         96
        .size:           8
        .value_kind:     global_buffer
      - .offset:         104
        .size:           8
        .value_kind:     by_value
      - .offset:         112
        .size:           8
        .value_kind:     by_value
      - .offset:         120
        .size:           4
        .value_kind:     by_value
    .group_segment_fixed_size: 8192
    .kernarg_segment_align: 8
    .kernarg_segment_size: 124
    .language:       OpenCL C
    .language_version:
      - 2
      - 0
    .max_flat_workgroup_size: 256
    .name:           _ZL34rocblas_syrkx_herkx_general_kernelIl19rocblas_complex_numIdELi16ELi32ELi8ELb1ELb0ELc84ELc85EKS1_S1_EviT_T0_PT8_S3_lS6_S3_lS4_PT9_S3_li
    .private_segment_fixed_size: 0
    .sgpr_count:     34
    .sgpr_spill_count: 0
    .symbol:         _ZL34rocblas_syrkx_herkx_general_kernelIl19rocblas_complex_numIdELi16ELi32ELi8ELb1ELb0ELc84ELc85EKS1_S1_EviT_T0_PT8_S3_lS6_S3_lS4_PT9_S3_li.kd
    .uniform_work_group_size: 1
    .uses_dynamic_stack: false
    .vgpr_count:     56
    .vgpr_spill_count: 0
    .wavefront_size: 32
    .workgroup_processor_mode: 1
  - .args:
      - .offset:         0
        .size:           4
        .value_kind:     by_value
      - .offset:         8
        .size:           8
        .value_kind:     by_value
      - .offset:         16
        .size:           16
        .value_kind:     by_value
      - .address_space:  global
        .offset:         32
        .size:           8
        .value_kind:     global_buffer
      - .offset:         40
        .size:           8
        .value_kind:     by_value
      - .offset:         48
        .size:           8
        .value_kind:     by_value
      - .address_space:  global
        .offset:         56
        .size:           8
        .value_kind:     global_buffer
      - .offset:         64
        .size:           8
        .value_kind:     by_value
      - .offset:         72
        .size:           8
        .value_kind:     by_value
      - .offset:         80
        .size:           16
        .value_kind:     by_value
      - .address_space:  global
        .offset:         96
        .size:           8
        .value_kind:     global_buffer
      - .offset:         104
        .size:           8
        .value_kind:     by_value
      - .offset:         112
        .size:           8
        .value_kind:     by_value
      - .offset:         120
        .size:           4
        .value_kind:     by_value
    .group_segment_fixed_size: 8192
    .kernarg_segment_align: 8
    .kernarg_segment_size: 124
    .language:       OpenCL C
    .language_version:
      - 2
      - 0
    .max_flat_workgroup_size: 256
    .name:           _ZL34rocblas_syrkx_herkx_general_kernelIl19rocblas_complex_numIdELi16ELi32ELi8ELb1ELb0ELc67ELc85EKS1_S1_EviT_T0_PT8_S3_lS6_S3_lS4_PT9_S3_li
    .private_segment_fixed_size: 0
    .sgpr_count:     34
    .sgpr_spill_count: 0
    .symbol:         _ZL34rocblas_syrkx_herkx_general_kernelIl19rocblas_complex_numIdELi16ELi32ELi8ELb1ELb0ELc67ELc85EKS1_S1_EviT_T0_PT8_S3_lS6_S3_lS4_PT9_S3_li.kd
    .uniform_work_group_size: 1
    .uses_dynamic_stack: false
    .vgpr_count:     121
    .vgpr_spill_count: 0
    .wavefront_size: 32
    .workgroup_processor_mode: 1
  - .args:
      - .offset:         0
        .size:           4
        .value_kind:     by_value
      - .offset:         8
        .size:           8
        .value_kind:     by_value
      - .offset:         16
        .size:           16
        .value_kind:     by_value
      - .address_space:  global
        .offset:         32
        .size:           8
        .value_kind:     global_buffer
      - .offset:         40
        .size:           8
        .value_kind:     by_value
      - .offset:         48
        .size:           8
        .value_kind:     by_value
      - .address_space:  global
        .offset:         56
        .size:           8
        .value_kind:     global_buffer
      - .offset:         64
        .size:           8
        .value_kind:     by_value
      - .offset:         72
        .size:           8
        .value_kind:     by_value
      - .offset:         80
        .size:           16
        .value_kind:     by_value
      - .address_space:  global
        .offset:         96
        .size:           8
        .value_kind:     global_buffer
      - .offset:         104
        .size:           8
        .value_kind:     by_value
      - .offset:         112
        .size:           8
        .value_kind:     by_value
      - .offset:         120
        .size:           4
        .value_kind:     by_value
    .group_segment_fixed_size: 8192
    .kernarg_segment_align: 8
    .kernarg_segment_size: 124
    .language:       OpenCL C
    .language_version:
      - 2
      - 0
    .max_flat_workgroup_size: 256
    .name:           _ZL34rocblas_syrkx_herkx_general_kernelIl19rocblas_complex_numIdELi16ELi32ELi8ELb1ELb0ELc78ELc85EKS1_S1_EviT_T0_PT8_S3_lS6_S3_lS4_PT9_S3_li
    .private_segment_fixed_size: 0
    .sgpr_count:     34
    .sgpr_spill_count: 0
    .symbol:         _ZL34rocblas_syrkx_herkx_general_kernelIl19rocblas_complex_numIdELi16ELi32ELi8ELb1ELb0ELc78ELc85EKS1_S1_EviT_T0_PT8_S3_lS6_S3_lS4_PT9_S3_li.kd
    .uniform_work_group_size: 1
    .uses_dynamic_stack: false
    .vgpr_count:     119
    .vgpr_spill_count: 0
    .wavefront_size: 32
    .workgroup_processor_mode: 1
  - .args:
      - .offset:         0
        .size:           4
        .value_kind:     by_value
      - .offset:         8
        .size:           8
        .value_kind:     by_value
      - .offset:         16
        .size:           16
        .value_kind:     by_value
      - .address_space:  global
        .offset:         32
        .size:           8
        .value_kind:     global_buffer
      - .offset:         40
        .size:           8
        .value_kind:     by_value
      - .offset:         48
        .size:           8
        .value_kind:     by_value
      - .address_space:  global
        .offset:         56
        .size:           8
        .value_kind:     global_buffer
      - .offset:         64
        .size:           8
        .value_kind:     by_value
      - .offset:         72
        .size:           8
        .value_kind:     by_value
      - .offset:         80
        .size:           16
        .value_kind:     by_value
      - .address_space:  global
        .offset:         96
        .size:           8
        .value_kind:     global_buffer
      - .offset:         104
        .size:           8
        .value_kind:     by_value
      - .offset:         112
        .size:           8
        .value_kind:     by_value
      - .offset:         120
        .size:           4
        .value_kind:     by_value
    .group_segment_fixed_size: 8192
    .kernarg_segment_align: 8
    .kernarg_segment_size: 124
    .language:       OpenCL C
    .language_version:
      - 2
      - 0
    .max_flat_workgroup_size: 256
    .name:           _ZL34rocblas_syrkx_herkx_general_kernelIl19rocblas_complex_numIdELi16ELi32ELi8ELb0ELb0ELc84ELc76EKS1_S1_EviT_T0_PT8_S3_lS6_S3_lS4_PT9_S3_li
    .private_segment_fixed_size: 0
    .sgpr_count:     42
    .sgpr_spill_count: 0
    .symbol:         _ZL34rocblas_syrkx_herkx_general_kernelIl19rocblas_complex_numIdELi16ELi32ELi8ELb0ELb0ELc84ELc76EKS1_S1_EviT_T0_PT8_S3_lS6_S3_lS4_PT9_S3_li.kd
    .uniform_work_group_size: 1
    .uses_dynamic_stack: false
    .vgpr_count:     56
    .vgpr_spill_count: 0
    .wavefront_size: 32
    .workgroup_processor_mode: 1
  - .args:
      - .offset:         0
        .size:           4
        .value_kind:     by_value
      - .offset:         8
        .size:           8
        .value_kind:     by_value
      - .offset:         16
        .size:           16
        .value_kind:     by_value
      - .address_space:  global
        .offset:         32
        .size:           8
        .value_kind:     global_buffer
      - .offset:         40
        .size:           8
        .value_kind:     by_value
      - .offset:         48
        .size:           8
        .value_kind:     by_value
      - .address_space:  global
        .offset:         56
        .size:           8
        .value_kind:     global_buffer
      - .offset:         64
        .size:           8
        .value_kind:     by_value
      - .offset:         72
        .size:           8
        .value_kind:     by_value
      - .offset:         80
        .size:           16
        .value_kind:     by_value
      - .address_space:  global
        .offset:         96
        .size:           8
        .value_kind:     global_buffer
      - .offset:         104
        .size:           8
        .value_kind:     by_value
      - .offset:         112
        .size:           8
        .value_kind:     by_value
      - .offset:         120
        .size:           4
        .value_kind:     by_value
    .group_segment_fixed_size: 8192
    .kernarg_segment_align: 8
    .kernarg_segment_size: 124
    .language:       OpenCL C
    .language_version:
      - 2
      - 0
    .max_flat_workgroup_size: 256
    .name:           _ZL34rocblas_syrkx_herkx_general_kernelIl19rocblas_complex_numIdELi16ELi32ELi8ELb0ELb0ELc67ELc76EKS1_S1_EviT_T0_PT8_S3_lS6_S3_lS4_PT9_S3_li
    .private_segment_fixed_size: 0
    .sgpr_count:     42
    .sgpr_spill_count: 0
    .symbol:         _ZL34rocblas_syrkx_herkx_general_kernelIl19rocblas_complex_numIdELi16ELi32ELi8ELb0ELb0ELc67ELc76EKS1_S1_EviT_T0_PT8_S3_lS6_S3_lS4_PT9_S3_li.kd
    .uniform_work_group_size: 1
    .uses_dynamic_stack: false
    .vgpr_count:     121
    .vgpr_spill_count: 0
    .wavefront_size: 32
    .workgroup_processor_mode: 1
  - .args:
      - .offset:         0
        .size:           4
        .value_kind:     by_value
      - .offset:         8
        .size:           8
        .value_kind:     by_value
      - .offset:         16
        .size:           16
        .value_kind:     by_value
      - .address_space:  global
        .offset:         32
        .size:           8
        .value_kind:     global_buffer
      - .offset:         40
        .size:           8
        .value_kind:     by_value
      - .offset:         48
        .size:           8
        .value_kind:     by_value
      - .address_space:  global
        .offset:         56
        .size:           8
        .value_kind:     global_buffer
      - .offset:         64
        .size:           8
        .value_kind:     by_value
      - .offset:         72
        .size:           8
        .value_kind:     by_value
      - .offset:         80
        .size:           16
        .value_kind:     by_value
      - .address_space:  global
        .offset:         96
        .size:           8
        .value_kind:     global_buffer
      - .offset:         104
        .size:           8
        .value_kind:     by_value
      - .offset:         112
        .size:           8
        .value_kind:     by_value
      - .offset:         120
        .size:           4
        .value_kind:     by_value
    .group_segment_fixed_size: 8192
    .kernarg_segment_align: 8
    .kernarg_segment_size: 124
    .language:       OpenCL C
    .language_version:
      - 2
      - 0
    .max_flat_workgroup_size: 256
    .name:           _ZL34rocblas_syrkx_herkx_general_kernelIl19rocblas_complex_numIdELi16ELi32ELi8ELb0ELb0ELc78ELc76EKS1_S1_EviT_T0_PT8_S3_lS6_S3_lS4_PT9_S3_li
    .private_segment_fixed_size: 0
    .sgpr_count:     42
    .sgpr_spill_count: 0
    .symbol:         _ZL34rocblas_syrkx_herkx_general_kernelIl19rocblas_complex_numIdELi16ELi32ELi8ELb0ELb0ELc78ELc76EKS1_S1_EviT_T0_PT8_S3_lS6_S3_lS4_PT9_S3_li.kd
    .uniform_work_group_size: 1
    .uses_dynamic_stack: false
    .vgpr_count:     119
    .vgpr_spill_count: 0
    .wavefront_size: 32
    .workgroup_processor_mode: 1
  - .args:
      - .offset:         0
        .size:           4
        .value_kind:     by_value
      - .offset:         8
        .size:           8
        .value_kind:     by_value
      - .offset:         16
        .size:           16
        .value_kind:     by_value
      - .address_space:  global
        .offset:         32
        .size:           8
        .value_kind:     global_buffer
      - .offset:         40
        .size:           8
        .value_kind:     by_value
      - .offset:         48
        .size:           8
        .value_kind:     by_value
      - .address_space:  global
        .offset:         56
        .size:           8
        .value_kind:     global_buffer
      - .offset:         64
        .size:           8
        .value_kind:     by_value
      - .offset:         72
        .size:           8
        .value_kind:     by_value
      - .offset:         80
        .size:           16
        .value_kind:     by_value
      - .address_space:  global
        .offset:         96
        .size:           8
        .value_kind:     global_buffer
      - .offset:         104
        .size:           8
        .value_kind:     by_value
      - .offset:         112
        .size:           8
        .value_kind:     by_value
      - .offset:         120
        .size:           4
        .value_kind:     by_value
    .group_segment_fixed_size: 8192
    .kernarg_segment_align: 8
    .kernarg_segment_size: 124
    .language:       OpenCL C
    .language_version:
      - 2
      - 0
    .max_flat_workgroup_size: 256
    .name:           _ZL34rocblas_syrkx_herkx_general_kernelIl19rocblas_complex_numIdELi16ELi32ELi8ELb0ELb0ELc84ELc85EKS1_S1_EviT_T0_PT8_S3_lS6_S3_lS4_PT9_S3_li
    .private_segment_fixed_size: 0
    .sgpr_count:     42
    .sgpr_spill_count: 0
    .symbol:         _ZL34rocblas_syrkx_herkx_general_kernelIl19rocblas_complex_numIdELi16ELi32ELi8ELb0ELb0ELc84ELc85EKS1_S1_EviT_T0_PT8_S3_lS6_S3_lS4_PT9_S3_li.kd
    .uniform_work_group_size: 1
    .uses_dynamic_stack: false
    .vgpr_count:     56
    .vgpr_spill_count: 0
    .wavefront_size: 32
    .workgroup_processor_mode: 1
  - .args:
      - .offset:         0
        .size:           4
        .value_kind:     by_value
      - .offset:         8
        .size:           8
        .value_kind:     by_value
      - .offset:         16
        .size:           16
        .value_kind:     by_value
      - .address_space:  global
        .offset:         32
        .size:           8
        .value_kind:     global_buffer
      - .offset:         40
        .size:           8
        .value_kind:     by_value
      - .offset:         48
        .size:           8
        .value_kind:     by_value
      - .address_space:  global
        .offset:         56
        .size:           8
        .value_kind:     global_buffer
      - .offset:         64
        .size:           8
        .value_kind:     by_value
      - .offset:         72
        .size:           8
        .value_kind:     by_value
      - .offset:         80
        .size:           16
        .value_kind:     by_value
      - .address_space:  global
        .offset:         96
        .size:           8
        .value_kind:     global_buffer
      - .offset:         104
        .size:           8
        .value_kind:     by_value
      - .offset:         112
        .size:           8
        .value_kind:     by_value
      - .offset:         120
        .size:           4
        .value_kind:     by_value
    .group_segment_fixed_size: 8192
    .kernarg_segment_align: 8
    .kernarg_segment_size: 124
    .language:       OpenCL C
    .language_version:
      - 2
      - 0
    .max_flat_workgroup_size: 256
    .name:           _ZL34rocblas_syrkx_herkx_general_kernelIl19rocblas_complex_numIdELi16ELi32ELi8ELb0ELb0ELc67ELc85EKS1_S1_EviT_T0_PT8_S3_lS6_S3_lS4_PT9_S3_li
    .private_segment_fixed_size: 0
    .sgpr_count:     42
    .sgpr_spill_count: 0
    .symbol:         _ZL34rocblas_syrkx_herkx_general_kernelIl19rocblas_complex_numIdELi16ELi32ELi8ELb0ELb0ELc67ELc85EKS1_S1_EviT_T0_PT8_S3_lS6_S3_lS4_PT9_S3_li.kd
    .uniform_work_group_size: 1
    .uses_dynamic_stack: false
    .vgpr_count:     121
    .vgpr_spill_count: 0
    .wavefront_size: 32
    .workgroup_processor_mode: 1
  - .args:
      - .offset:         0
        .size:           4
        .value_kind:     by_value
      - .offset:         8
        .size:           8
        .value_kind:     by_value
      - .offset:         16
        .size:           16
        .value_kind:     by_value
      - .address_space:  global
        .offset:         32
        .size:           8
        .value_kind:     global_buffer
      - .offset:         40
        .size:           8
        .value_kind:     by_value
      - .offset:         48
        .size:           8
        .value_kind:     by_value
      - .address_space:  global
        .offset:         56
        .size:           8
        .value_kind:     global_buffer
      - .offset:         64
        .size:           8
        .value_kind:     by_value
      - .offset:         72
        .size:           8
        .value_kind:     by_value
      - .offset:         80
        .size:           16
        .value_kind:     by_value
      - .address_space:  global
        .offset:         96
        .size:           8
        .value_kind:     global_buffer
      - .offset:         104
        .size:           8
        .value_kind:     by_value
      - .offset:         112
        .size:           8
        .value_kind:     by_value
      - .offset:         120
        .size:           4
        .value_kind:     by_value
    .group_segment_fixed_size: 8192
    .kernarg_segment_align: 8
    .kernarg_segment_size: 124
    .language:       OpenCL C
    .language_version:
      - 2
      - 0
    .max_flat_workgroup_size: 256
    .name:           _ZL34rocblas_syrkx_herkx_general_kernelIl19rocblas_complex_numIdELi16ELi32ELi8ELb0ELb0ELc78ELc85EKS1_S1_EviT_T0_PT8_S3_lS6_S3_lS4_PT9_S3_li
    .private_segment_fixed_size: 0
    .sgpr_count:     42
    .sgpr_spill_count: 0
    .symbol:         _ZL34rocblas_syrkx_herkx_general_kernelIl19rocblas_complex_numIdELi16ELi32ELi8ELb0ELb0ELc78ELc85EKS1_S1_EviT_T0_PT8_S3_lS6_S3_lS4_PT9_S3_li.kd
    .uniform_work_group_size: 1
    .uses_dynamic_stack: false
    .vgpr_count:     119
    .vgpr_spill_count: 0
    .wavefront_size: 32
    .workgroup_processor_mode: 1
  - .args:
      - .offset:         0
        .size:           1
        .value_kind:     by_value
      - .offset:         4
        .size:           4
        .value_kind:     by_value
      - .offset:         8
        .size:           8
        .value_kind:     by_value
      - .offset:         16
        .size:           16
        .value_kind:     by_value
      - .offset:         32
        .size:           16
        .value_kind:     by_value
      - .address_space:  global
        .offset:         48
        .size:           8
        .value_kind:     global_buffer
      - .offset:         56
        .size:           8
        .value_kind:     by_value
      - .offset:         64
        .size:           8
        .value_kind:     by_value
      - .offset:         72
        .size:           4
        .value_kind:     by_value
      - .offset:         80
        .size:           4
        .value_kind:     hidden_block_count_x
      - .offset:         84
        .size:           4
        .value_kind:     hidden_block_count_y
      - .offset:         88
        .size:           4
        .value_kind:     hidden_block_count_z
      - .offset:         92
        .size:           2
        .value_kind:     hidden_group_size_x
      - .offset:         94
        .size:           2
        .value_kind:     hidden_group_size_y
      - .offset:         96
        .size:           2
        .value_kind:     hidden_group_size_z
      - .offset:         98
        .size:           2
        .value_kind:     hidden_remainder_x
      - .offset:         100
        .size:           2
        .value_kind:     hidden_remainder_y
      - .offset:         102
        .size:           2
        .value_kind:     hidden_remainder_z
      - .offset:         120
        .size:           8
        .value_kind:     hidden_global_offset_x
      - .offset:         128
        .size:           8
        .value_kind:     hidden_global_offset_y
      - .offset:         136
        .size:           8
        .value_kind:     hidden_global_offset_z
      - .offset:         144
        .size:           2
        .value_kind:     hidden_grid_dims
    .group_segment_fixed_size: 0
    .kernarg_segment_align: 8
    .kernarg_segment_size: 336
    .language:       OpenCL C
    .language_version:
      - 2
      - 0
    .max_flat_workgroup_size: 1024
    .name:           _ZL26rocblas_syr2k_scale_kernelIlLi128ELi8ELb0E19rocblas_complex_numIdES1_PS1_EvbiT_T3_T4_T5_S3_li
    .private_segment_fixed_size: 0
    .sgpr_count:     18
    .sgpr_spill_count: 0
    .symbol:         _ZL26rocblas_syr2k_scale_kernelIlLi128ELi8ELb0E19rocblas_complex_numIdES1_PS1_EvbiT_T3_T4_T5_S3_li.kd
    .uniform_work_group_size: 1
    .uses_dynamic_stack: false
    .vgpr_count:     10
    .vgpr_spill_count: 0
    .wavefront_size: 32
    .workgroup_processor_mode: 1
  - .args:
      - .offset:         0
        .size:           1
        .value_kind:     by_value
      - .offset:         4
        .size:           4
        .value_kind:     by_value
      - .offset:         8
        .size:           8
        .value_kind:     by_value
      - .address_space:  global
        .offset:         16
        .size:           8
        .value_kind:     global_buffer
      - .address_space:  global
        .offset:         24
        .size:           8
        .value_kind:     global_buffer
      - .offset:         32
        .size:           8
        .value_kind:     by_value
      - .offset:         40
        .size:           8
        .value_kind:     by_value
      - .address_space:  global
        .offset:         48
        .size:           8
        .value_kind:     global_buffer
      - .offset:         56
        .size:           8
        .value_kind:     by_value
      - .offset:         64
        .size:           8
        .value_kind:     by_value
      - .address_space:  global
        .offset:         72
        .size:           8
        .value_kind:     global_buffer
      - .offset:         80
        .size:           8
        .value_kind:     by_value
      - .offset:         88
        .size:           8
        .value_kind:     by_value
      - .offset:         96
        .size:           4
        .value_kind:     by_value
    .group_segment_fixed_size: 32768
    .kernarg_segment_align: 8
    .kernarg_segment_size: 100
    .language:       OpenCL C
    .language_version:
      - 2
      - 0
    .max_flat_workgroup_size: 1024
    .name:           _ZL26rocblas_syr2k_her2k_kernelIlLb0ELb0ELb0ELi32EPK19rocblas_complex_numIdES3_PS1_EvbiT_T4_T5_S5_lS7_S5_lT6_S5_li
    .private_segment_fixed_size: 0
    .sgpr_count:     34
    .sgpr_spill_count: 0
    .symbol:         _ZL26rocblas_syr2k_her2k_kernelIlLb0ELb0ELb0ELi32EPK19rocblas_complex_numIdES3_PS1_EvbiT_T4_T5_S5_lS7_S5_lT6_S5_li.kd
    .uniform_work_group_size: 1
    .uses_dynamic_stack: false
    .vgpr_count:     52
    .vgpr_spill_count: 0
    .wavefront_size: 32
    .workgroup_processor_mode: 1
  - .args:
      - .offset:         0
        .size:           1
        .value_kind:     by_value
      - .offset:         4
        .size:           4
        .value_kind:     by_value
      - .offset:         8
        .size:           8
        .value_kind:     by_value
      - .address_space:  global
        .offset:         16
        .size:           8
        .value_kind:     global_buffer
      - .address_space:  global
        .offset:         24
        .size:           8
        .value_kind:     global_buffer
      - .offset:         32
        .size:           8
        .value_kind:     by_value
      - .offset:         40
        .size:           8
        .value_kind:     by_value
      - .address_space:  global
        .offset:         48
        .size:           8
        .value_kind:     global_buffer
      - .offset:         56
        .size:           8
        .value_kind:     by_value
      - .offset:         64
        .size:           8
        .value_kind:     by_value
      - .address_space:  global
        .offset:         72
        .size:           8
        .value_kind:     global_buffer
      - .offset:         80
        .size:           8
        .value_kind:     by_value
      - .offset:         88
        .size:           8
        .value_kind:     by_value
      - .offset:         96
        .size:           4
        .value_kind:     by_value
    .group_segment_fixed_size: 32768
    .kernarg_segment_align: 8
    .kernarg_segment_size: 100
    .language:       OpenCL C
    .language_version:
      - 2
      - 0
    .max_flat_workgroup_size: 1024
    .name:           _ZL26rocblas_syr2k_her2k_kernelIlLb0ELb0ELb1ELi32EPK19rocblas_complex_numIdES3_PS1_EvbiT_T4_T5_S5_lS7_S5_lT6_S5_li
    .private_segment_fixed_size: 0
    .sgpr_count:     34
    .sgpr_spill_count: 0
    .symbol:         _ZL26rocblas_syr2k_her2k_kernelIlLb0ELb0ELb1ELi32EPK19rocblas_complex_numIdES3_PS1_EvbiT_T4_T5_S5_lS7_S5_lT6_S5_li.kd
    .uniform_work_group_size: 1
    .uses_dynamic_stack: false
    .vgpr_count:     52
    .vgpr_spill_count: 0
    .wavefront_size: 32
    .workgroup_processor_mode: 1
  - .args:
      - .offset:         0
        .size:           1
        .value_kind:     by_value
      - .offset:         4
        .size:           4
        .value_kind:     by_value
      - .offset:         8
        .size:           8
        .value_kind:     by_value
      - .offset:         16
        .size:           8
        .value_kind:     by_value
      - .address_space:  global
        .offset:         24
        .size:           8
        .value_kind:     global_buffer
      - .offset:         32
        .size:           8
        .value_kind:     by_value
      - .offset:         40
        .size:           8
        .value_kind:     by_value
      - .address_space:  global
        .offset:         48
        .size:           8
        .value_kind:     global_buffer
      - .offset:         56
        .size:           8
        .value_kind:     by_value
      - .offset:         64
        .size:           8
        .value_kind:     by_value
      - .address_space:  global
        .offset:         72
        .size:           8
        .value_kind:     global_buffer
      - .offset:         80
        .size:           8
        .value_kind:     by_value
      - .offset:         88
        .size:           8
        .value_kind:     by_value
      - .offset:         96
        .size:           4
        .value_kind:     by_value
    .group_segment_fixed_size: 16384
    .kernarg_segment_align: 8
    .kernarg_segment_size: 100
    .language:       OpenCL C
    .language_version:
      - 2
      - 0
    .max_flat_workgroup_size: 1024
    .name:           _ZL26rocblas_syr2k_her2k_kernelIlLb0ELb1ELb0ELi32E19rocblas_complex_numIfEPKS1_PS1_EvbiT_T4_T5_S5_lS7_S5_lT6_S5_li
    .private_segment_fixed_size: 0
    .sgpr_count:     34
    .sgpr_spill_count: 0
    .symbol:         _ZL26rocblas_syr2k_her2k_kernelIlLb0ELb1ELb0ELi32E19rocblas_complex_numIfEPKS1_PS1_EvbiT_T4_T5_S5_lS7_S5_lT6_S5_li.kd
    .uniform_work_group_size: 1
    .uses_dynamic_stack: false
    .vgpr_count:     110
    .vgpr_spill_count: 0
    .wavefront_size: 32
    .workgroup_processor_mode: 1
  - .args:
      - .offset:         0
        .size:           1
        .value_kind:     by_value
      - .offset:         4
        .size:           4
        .value_kind:     by_value
      - .offset:         8
        .size:           8
        .value_kind:     by_value
      - .offset:         16
        .size:           8
        .value_kind:     by_value
      - .address_space:  global
        .offset:         24
        .size:           8
        .value_kind:     global_buffer
      - .offset:         32
        .size:           8
        .value_kind:     by_value
      - .offset:         40
        .size:           8
        .value_kind:     by_value
      - .address_space:  global
        .offset:         48
        .size:           8
        .value_kind:     global_buffer
      - .offset:         56
        .size:           8
        .value_kind:     by_value
      - .offset:         64
        .size:           8
        .value_kind:     by_value
      - .address_space:  global
        .offset:         72
        .size:           8
        .value_kind:     global_buffer
      - .offset:         80
        .size:           8
        .value_kind:     by_value
      - .offset:         88
        .size:           8
        .value_kind:     by_value
      - .offset:         96
        .size:           4
        .value_kind:     by_value
    .group_segment_fixed_size: 16384
    .kernarg_segment_align: 8
    .kernarg_segment_size: 100
    .language:       OpenCL C
    .language_version:
      - 2
      - 0
    .max_flat_workgroup_size: 1024
    .name:           _ZL26rocblas_syr2k_her2k_kernelIlLb0ELb1ELb1ELi32E19rocblas_complex_numIfEPKS1_PS1_EvbiT_T4_T5_S5_lS7_S5_lT6_S5_li
    .private_segment_fixed_size: 0
    .sgpr_count:     34
    .sgpr_spill_count: 0
    .symbol:         _ZL26rocblas_syr2k_her2k_kernelIlLb0ELb1ELb1ELi32E19rocblas_complex_numIfEPKS1_PS1_EvbiT_T4_T5_S5_lS7_S5_lT6_S5_li.kd
    .uniform_work_group_size: 1
    .uses_dynamic_stack: false
    .vgpr_count:     110
    .vgpr_spill_count: 0
    .wavefront_size: 32
    .workgroup_processor_mode: 1
  - .args:
      - .offset:         0
        .size:           4
        .value_kind:     by_value
      - .offset:         8
        .size:           8
        .value_kind:     by_value
      - .address_space:  global
        .offset:         16
        .size:           8
        .value_kind:     global_buffer
      - .offset:         24
        .size:           8
        .value_kind:     by_value
      - .offset:         32
        .size:           8
        .value_kind:     by_value
      - .address_space:  global
        .offset:         40
        .size:           8
        .value_kind:     global_buffer
      - .offset:         48
        .size:           8
        .value_kind:     by_value
      - .offset:         56
        .size:           8
        .value_kind:     by_value
      - .address_space:  global
        .offset:         64
        .size:           8
        .value_kind:     global_buffer
      - .offset:         72
        .size:           8
        .value_kind:     by_value
      - .offset:         80
        .size:           8
        .value_kind:     by_value
      - .offset:         88
        .size:           4
        .value_kind:     by_value
    .group_segment_fixed_size: 4096
    .kernarg_segment_align: 8
    .kernarg_segment_size: 92
    .language:       OpenCL C
    .language_version:
      - 2
      - 0
    .max_flat_workgroup_size: 256
    .name:           _ZL37rocblas_syrkx_herkx_restricted_kernelIl19rocblas_complex_numIfELi16ELi32ELi8ELi1ELi1ELb1ELc84ELc76EKS1_S1_EviT_PT9_S3_lS5_S3_lPT10_S3_li
    .private_segment_fixed_size: 0
    .sgpr_count:     34
    .sgpr_spill_count: 0
    .symbol:         _ZL37rocblas_syrkx_herkx_restricted_kernelIl19rocblas_complex_numIfELi16ELi32ELi8ELi1ELi1ELb1ELc84ELc76EKS1_S1_EviT_PT9_S3_lS5_S3_lPT10_S3_li.kd
    .uniform_work_group_size: 1
    .uses_dynamic_stack: false
    .vgpr_count:     91
    .vgpr_spill_count: 0
    .wavefront_size: 32
    .workgroup_processor_mode: 1
  - .args:
      - .offset:         0
        .size:           4
        .value_kind:     by_value
      - .offset:         8
        .size:           8
        .value_kind:     by_value
      - .address_space:  global
        .offset:         16
        .size:           8
        .value_kind:     global_buffer
      - .offset:         24
        .size:           8
        .value_kind:     by_value
      - .offset:         32
        .size:           8
        .value_kind:     by_value
      - .address_space:  global
        .offset:         40
        .size:           8
        .value_kind:     global_buffer
      - .offset:         48
        .size:           8
        .value_kind:     by_value
      - .offset:         56
        .size:           8
        .value_kind:     by_value
      - .address_space:  global
        .offset:         64
        .size:           8
        .value_kind:     global_buffer
      - .offset:         72
        .size:           8
        .value_kind:     by_value
      - .offset:         80
        .size:           8
        .value_kind:     by_value
      - .offset:         88
        .size:           4
        .value_kind:     by_value
    .group_segment_fixed_size: 4096
    .kernarg_segment_align: 8
    .kernarg_segment_size: 92
    .language:       OpenCL C
    .language_version:
      - 2
      - 0
    .max_flat_workgroup_size: 256
    .name:           _ZL37rocblas_syrkx_herkx_restricted_kernelIl19rocblas_complex_numIfELi16ELi32ELi8ELi1ELi1ELb1ELc67ELc76EKS1_S1_EviT_PT9_S3_lS5_S3_lPT10_S3_li
    .private_segment_fixed_size: 0
    .sgpr_count:     34
    .sgpr_spill_count: 0
    .symbol:         _ZL37rocblas_syrkx_herkx_restricted_kernelIl19rocblas_complex_numIfELi16ELi32ELi8ELi1ELi1ELb1ELc67ELc76EKS1_S1_EviT_PT9_S3_lS5_S3_lPT10_S3_li.kd
    .uniform_work_group_size: 1
    .uses_dynamic_stack: false
    .vgpr_count:     91
    .vgpr_spill_count: 0
    .wavefront_size: 32
    .workgroup_processor_mode: 1
  - .args:
      - .offset:         0
        .size:           4
        .value_kind:     by_value
      - .offset:         8
        .size:           8
        .value_kind:     by_value
      - .address_space:  global
        .offset:         16
        .size:           8
        .value_kind:     global_buffer
      - .offset:         24
        .size:           8
        .value_kind:     by_value
      - .offset:         32
        .size:           8
        .value_kind:     by_value
      - .address_space:  global
        .offset:         40
        .size:           8
        .value_kind:     global_buffer
      - .offset:         48
        .size:           8
        .value_kind:     by_value
      - .offset:         56
        .size:           8
        .value_kind:     by_value
      - .address_space:  global
        .offset:         64
        .size:           8
        .value_kind:     global_buffer
      - .offset:         72
        .size:           8
        .value_kind:     by_value
      - .offset:         80
        .size:           8
        .value_kind:     by_value
      - .offset:         88
        .size:           4
        .value_kind:     by_value
    .group_segment_fixed_size: 4096
    .kernarg_segment_align: 8
    .kernarg_segment_size: 92
    .language:       OpenCL C
    .language_version:
      - 2
      - 0
    .max_flat_workgroup_size: 256
    .name:           _ZL37rocblas_syrkx_herkx_restricted_kernelIl19rocblas_complex_numIfELi16ELi32ELi8ELi1ELi1ELb1ELc78ELc76EKS1_S1_EviT_PT9_S3_lS5_S3_lPT10_S3_li
    .private_segment_fixed_size: 0
    .sgpr_count:     34
    .sgpr_spill_count: 0
    .symbol:         _ZL37rocblas_syrkx_herkx_restricted_kernelIl19rocblas_complex_numIfELi16ELi32ELi8ELi1ELi1ELb1ELc78ELc76EKS1_S1_EviT_PT9_S3_lS5_S3_lPT10_S3_li.kd
    .uniform_work_group_size: 1
    .uses_dynamic_stack: false
    .vgpr_count:     92
    .vgpr_spill_count: 0
    .wavefront_size: 32
    .workgroup_processor_mode: 1
  - .args:
      - .offset:         0
        .size:           4
        .value_kind:     by_value
      - .offset:         8
        .size:           8
        .value_kind:     by_value
      - .address_space:  global
        .offset:         16
        .size:           8
        .value_kind:     global_buffer
      - .offset:         24
        .size:           8
        .value_kind:     by_value
      - .offset:         32
        .size:           8
        .value_kind:     by_value
      - .address_space:  global
        .offset:         40
        .size:           8
        .value_kind:     global_buffer
      - .offset:         48
        .size:           8
        .value_kind:     by_value
      - .offset:         56
        .size:           8
        .value_kind:     by_value
      - .address_space:  global
        .offset:         64
        .size:           8
        .value_kind:     global_buffer
      - .offset:         72
        .size:           8
        .value_kind:     by_value
      - .offset:         80
        .size:           8
        .value_kind:     by_value
      - .offset:         88
        .size:           4
        .value_kind:     by_value
    .group_segment_fixed_size: 4096
    .kernarg_segment_align: 8
    .kernarg_segment_size: 92
    .language:       OpenCL C
    .language_version:
      - 2
      - 0
    .max_flat_workgroup_size: 256
    .name:           _ZL37rocblas_syrkx_herkx_restricted_kernelIl19rocblas_complex_numIfELi16ELi32ELi8ELi1ELi1ELb1ELc84ELc85EKS1_S1_EviT_PT9_S3_lS5_S3_lPT10_S3_li
    .private_segment_fixed_size: 0
    .sgpr_count:     34
    .sgpr_spill_count: 0
    .symbol:         _ZL37rocblas_syrkx_herkx_restricted_kernelIl19rocblas_complex_numIfELi16ELi32ELi8ELi1ELi1ELb1ELc84ELc85EKS1_S1_EviT_PT9_S3_lS5_S3_lPT10_S3_li.kd
    .uniform_work_group_size: 1
    .uses_dynamic_stack: false
    .vgpr_count:     91
    .vgpr_spill_count: 0
    .wavefront_size: 32
    .workgroup_processor_mode: 1
  - .args:
      - .offset:         0
        .size:           4
        .value_kind:     by_value
      - .offset:         8
        .size:           8
        .value_kind:     by_value
      - .address_space:  global
        .offset:         16
        .size:           8
        .value_kind:     global_buffer
      - .offset:         24
        .size:           8
        .value_kind:     by_value
      - .offset:         32
        .size:           8
        .value_kind:     by_value
      - .address_space:  global
        .offset:         40
        .size:           8
        .value_kind:     global_buffer
      - .offset:         48
        .size:           8
        .value_kind:     by_value
      - .offset:         56
        .size:           8
        .value_kind:     by_value
      - .address_space:  global
        .offset:         64
        .size:           8
        .value_kind:     global_buffer
      - .offset:         72
        .size:           8
        .value_kind:     by_value
      - .offset:         80
        .size:           8
        .value_kind:     by_value
      - .offset:         88
        .size:           4
        .value_kind:     by_value
    .group_segment_fixed_size: 4096
    .kernarg_segment_align: 8
    .kernarg_segment_size: 92
    .language:       OpenCL C
    .language_version:
      - 2
      - 0
    .max_flat_workgroup_size: 256
    .name:           _ZL37rocblas_syrkx_herkx_restricted_kernelIl19rocblas_complex_numIfELi16ELi32ELi8ELi1ELi1ELb1ELc67ELc85EKS1_S1_EviT_PT9_S3_lS5_S3_lPT10_S3_li
    .private_segment_fixed_size: 0
    .sgpr_count:     34
    .sgpr_spill_count: 0
    .symbol:         _ZL37rocblas_syrkx_herkx_restricted_kernelIl19rocblas_complex_numIfELi16ELi32ELi8ELi1ELi1ELb1ELc67ELc85EKS1_S1_EviT_PT9_S3_lS5_S3_lPT10_S3_li.kd
    .uniform_work_group_size: 1
    .uses_dynamic_stack: false
    .vgpr_count:     91
    .vgpr_spill_count: 0
    .wavefront_size: 32
    .workgroup_processor_mode: 1
  - .args:
      - .offset:         0
        .size:           4
        .value_kind:     by_value
      - .offset:         8
        .size:           8
        .value_kind:     by_value
      - .address_space:  global
        .offset:         16
        .size:           8
        .value_kind:     global_buffer
      - .offset:         24
        .size:           8
        .value_kind:     by_value
      - .offset:         32
        .size:           8
        .value_kind:     by_value
      - .address_space:  global
        .offset:         40
        .size:           8
        .value_kind:     global_buffer
      - .offset:         48
        .size:           8
        .value_kind:     by_value
      - .offset:         56
        .size:           8
        .value_kind:     by_value
      - .address_space:  global
        .offset:         64
        .size:           8
        .value_kind:     global_buffer
      - .offset:         72
        .size:           8
        .value_kind:     by_value
      - .offset:         80
        .size:           8
        .value_kind:     by_value
      - .offset:         88
        .size:           4
        .value_kind:     by_value
    .group_segment_fixed_size: 4096
    .kernarg_segment_align: 8
    .kernarg_segment_size: 92
    .language:       OpenCL C
    .language_version:
      - 2
      - 0
    .max_flat_workgroup_size: 256
    .name:           _ZL37rocblas_syrkx_herkx_restricted_kernelIl19rocblas_complex_numIfELi16ELi32ELi8ELi1ELi1ELb1ELc78ELc85EKS1_S1_EviT_PT9_S3_lS5_S3_lPT10_S3_li
    .private_segment_fixed_size: 0
    .sgpr_count:     34
    .sgpr_spill_count: 0
    .symbol:         _ZL37rocblas_syrkx_herkx_restricted_kernelIl19rocblas_complex_numIfELi16ELi32ELi8ELi1ELi1ELb1ELc78ELc85EKS1_S1_EviT_PT9_S3_lS5_S3_lPT10_S3_li.kd
    .uniform_work_group_size: 1
    .uses_dynamic_stack: false
    .vgpr_count:     92
    .vgpr_spill_count: 0
    .wavefront_size: 32
    .workgroup_processor_mode: 1
  - .args:
      - .offset:         0
        .size:           4
        .value_kind:     by_value
      - .offset:         8
        .size:           8
        .value_kind:     by_value
      - .address_space:  global
        .offset:         16
        .size:           8
        .value_kind:     global_buffer
      - .offset:         24
        .size:           8
        .value_kind:     by_value
      - .offset:         32
        .size:           8
        .value_kind:     by_value
      - .address_space:  global
        .offset:         40
        .size:           8
        .value_kind:     global_buffer
      - .offset:         48
        .size:           8
        .value_kind:     by_value
      - .offset:         56
        .size:           8
        .value_kind:     by_value
      - .address_space:  global
        .offset:         64
        .size:           8
        .value_kind:     global_buffer
      - .offset:         72
        .size:           8
        .value_kind:     by_value
      - .offset:         80
        .size:           8
        .value_kind:     by_value
      - .offset:         88
        .size:           4
        .value_kind:     by_value
    .group_segment_fixed_size: 4096
    .kernarg_segment_align: 8
    .kernarg_segment_size: 92
    .language:       OpenCL C
    .language_version:
      - 2
      - 0
    .max_flat_workgroup_size: 256
    .name:           _ZL37rocblas_syrkx_herkx_restricted_kernelIl19rocblas_complex_numIfELi16ELi32ELi8ELi1ELin1ELb1ELc84ELc76EKS1_S1_EviT_PT9_S3_lS5_S3_lPT10_S3_li
    .private_segment_fixed_size: 0
    .sgpr_count:     34
    .sgpr_spill_count: 0
    .symbol:         _ZL37rocblas_syrkx_herkx_restricted_kernelIl19rocblas_complex_numIfELi16ELi32ELi8ELi1ELin1ELb1ELc84ELc76EKS1_S1_EviT_PT9_S3_lS5_S3_lPT10_S3_li.kd
    .uniform_work_group_size: 1
    .uses_dynamic_stack: false
    .vgpr_count:     91
    .vgpr_spill_count: 0
    .wavefront_size: 32
    .workgroup_processor_mode: 1
  - .args:
      - .offset:         0
        .size:           4
        .value_kind:     by_value
      - .offset:         8
        .size:           8
        .value_kind:     by_value
      - .address_space:  global
        .offset:         16
        .size:           8
        .value_kind:     global_buffer
      - .offset:         24
        .size:           8
        .value_kind:     by_value
      - .offset:         32
        .size:           8
        .value_kind:     by_value
      - .address_space:  global
        .offset:         40
        .size:           8
        .value_kind:     global_buffer
      - .offset:         48
        .size:           8
        .value_kind:     by_value
      - .offset:         56
        .size:           8
        .value_kind:     by_value
      - .address_space:  global
        .offset:         64
        .size:           8
        .value_kind:     global_buffer
      - .offset:         72
        .size:           8
        .value_kind:     by_value
      - .offset:         80
        .size:           8
        .value_kind:     by_value
      - .offset:         88
        .size:           4
        .value_kind:     by_value
    .group_segment_fixed_size: 4096
    .kernarg_segment_align: 8
    .kernarg_segment_size: 92
    .language:       OpenCL C
    .language_version:
      - 2
      - 0
    .max_flat_workgroup_size: 256
    .name:           _ZL37rocblas_syrkx_herkx_restricted_kernelIl19rocblas_complex_numIfELi16ELi32ELi8ELi1ELin1ELb1ELc67ELc76EKS1_S1_EviT_PT9_S3_lS5_S3_lPT10_S3_li
    .private_segment_fixed_size: 0
    .sgpr_count:     34
    .sgpr_spill_count: 0
    .symbol:         _ZL37rocblas_syrkx_herkx_restricted_kernelIl19rocblas_complex_numIfELi16ELi32ELi8ELi1ELin1ELb1ELc67ELc76EKS1_S1_EviT_PT9_S3_lS5_S3_lPT10_S3_li.kd
    .uniform_work_group_size: 1
    .uses_dynamic_stack: false
    .vgpr_count:     91
    .vgpr_spill_count: 0
    .wavefront_size: 32
    .workgroup_processor_mode: 1
  - .args:
      - .offset:         0
        .size:           4
        .value_kind:     by_value
      - .offset:         8
        .size:           8
        .value_kind:     by_value
      - .address_space:  global
        .offset:         16
        .size:           8
        .value_kind:     global_buffer
      - .offset:         24
        .size:           8
        .value_kind:     by_value
      - .offset:         32
        .size:           8
        .value_kind:     by_value
      - .address_space:  global
        .offset:         40
        .size:           8
        .value_kind:     global_buffer
      - .offset:         48
        .size:           8
        .value_kind:     by_value
      - .offset:         56
        .size:           8
        .value_kind:     by_value
      - .address_space:  global
        .offset:         64
        .size:           8
        .value_kind:     global_buffer
      - .offset:         72
        .size:           8
        .value_kind:     by_value
      - .offset:         80
        .size:           8
        .value_kind:     by_value
      - .offset:         88
        .size:           4
        .value_kind:     by_value
    .group_segment_fixed_size: 4096
    .kernarg_segment_align: 8
    .kernarg_segment_size: 92
    .language:       OpenCL C
    .language_version:
      - 2
      - 0
    .max_flat_workgroup_size: 256
    .name:           _ZL37rocblas_syrkx_herkx_restricted_kernelIl19rocblas_complex_numIfELi16ELi32ELi8ELi1ELin1ELb1ELc78ELc76EKS1_S1_EviT_PT9_S3_lS5_S3_lPT10_S3_li
    .private_segment_fixed_size: 0
    .sgpr_count:     34
    .sgpr_spill_count: 0
    .symbol:         _ZL37rocblas_syrkx_herkx_restricted_kernelIl19rocblas_complex_numIfELi16ELi32ELi8ELi1ELin1ELb1ELc78ELc76EKS1_S1_EviT_PT9_S3_lS5_S3_lPT10_S3_li.kd
    .uniform_work_group_size: 1
    .uses_dynamic_stack: false
    .vgpr_count:     92
    .vgpr_spill_count: 0
    .wavefront_size: 32
    .workgroup_processor_mode: 1
  - .args:
      - .offset:         0
        .size:           4
        .value_kind:     by_value
      - .offset:         8
        .size:           8
        .value_kind:     by_value
      - .address_space:  global
        .offset:         16
        .size:           8
        .value_kind:     global_buffer
      - .offset:         24
        .size:           8
        .value_kind:     by_value
      - .offset:         32
        .size:           8
        .value_kind:     by_value
      - .address_space:  global
        .offset:         40
        .size:           8
        .value_kind:     global_buffer
      - .offset:         48
        .size:           8
        .value_kind:     by_value
      - .offset:         56
        .size:           8
        .value_kind:     by_value
      - .address_space:  global
        .offset:         64
        .size:           8
        .value_kind:     global_buffer
      - .offset:         72
        .size:           8
        .value_kind:     by_value
      - .offset:         80
        .size:           8
        .value_kind:     by_value
      - .offset:         88
        .size:           4
        .value_kind:     by_value
    .group_segment_fixed_size: 4096
    .kernarg_segment_align: 8
    .kernarg_segment_size: 92
    .language:       OpenCL C
    .language_version:
      - 2
      - 0
    .max_flat_workgroup_size: 256
    .name:           _ZL37rocblas_syrkx_herkx_restricted_kernelIl19rocblas_complex_numIfELi16ELi32ELi8ELi1ELin1ELb1ELc84ELc85EKS1_S1_EviT_PT9_S3_lS5_S3_lPT10_S3_li
    .private_segment_fixed_size: 0
    .sgpr_count:     34
    .sgpr_spill_count: 0
    .symbol:         _ZL37rocblas_syrkx_herkx_restricted_kernelIl19rocblas_complex_numIfELi16ELi32ELi8ELi1ELin1ELb1ELc84ELc85EKS1_S1_EviT_PT9_S3_lS5_S3_lPT10_S3_li.kd
    .uniform_work_group_size: 1
    .uses_dynamic_stack: false
    .vgpr_count:     91
    .vgpr_spill_count: 0
    .wavefront_size: 32
    .workgroup_processor_mode: 1
  - .args:
      - .offset:         0
        .size:           4
        .value_kind:     by_value
      - .offset:         8
        .size:           8
        .value_kind:     by_value
      - .address_space:  global
        .offset:         16
        .size:           8
        .value_kind:     global_buffer
      - .offset:         24
        .size:           8
        .value_kind:     by_value
      - .offset:         32
        .size:           8
        .value_kind:     by_value
      - .address_space:  global
        .offset:         40
        .size:           8
        .value_kind:     global_buffer
      - .offset:         48
        .size:           8
        .value_kind:     by_value
      - .offset:         56
        .size:           8
        .value_kind:     by_value
      - .address_space:  global
        .offset:         64
        .size:           8
        .value_kind:     global_buffer
      - .offset:         72
        .size:           8
        .value_kind:     by_value
      - .offset:         80
        .size:           8
        .value_kind:     by_value
      - .offset:         88
        .size:           4
        .value_kind:     by_value
    .group_segment_fixed_size: 4096
    .kernarg_segment_align: 8
    .kernarg_segment_size: 92
    .language:       OpenCL C
    .language_version:
      - 2
      - 0
    .max_flat_workgroup_size: 256
    .name:           _ZL37rocblas_syrkx_herkx_restricted_kernelIl19rocblas_complex_numIfELi16ELi32ELi8ELi1ELin1ELb1ELc67ELc85EKS1_S1_EviT_PT9_S3_lS5_S3_lPT10_S3_li
    .private_segment_fixed_size: 0
    .sgpr_count:     34
    .sgpr_spill_count: 0
    .symbol:         _ZL37rocblas_syrkx_herkx_restricted_kernelIl19rocblas_complex_numIfELi16ELi32ELi8ELi1ELin1ELb1ELc67ELc85EKS1_S1_EviT_PT9_S3_lS5_S3_lPT10_S3_li.kd
    .uniform_work_group_size: 1
    .uses_dynamic_stack: false
    .vgpr_count:     91
    .vgpr_spill_count: 0
    .wavefront_size: 32
    .workgroup_processor_mode: 1
  - .args:
      - .offset:         0
        .size:           4
        .value_kind:     by_value
      - .offset:         8
        .size:           8
        .value_kind:     by_value
      - .address_space:  global
        .offset:         16
        .size:           8
        .value_kind:     global_buffer
      - .offset:         24
        .size:           8
        .value_kind:     by_value
      - .offset:         32
        .size:           8
        .value_kind:     by_value
      - .address_space:  global
        .offset:         40
        .size:           8
        .value_kind:     global_buffer
      - .offset:         48
        .size:           8
        .value_kind:     by_value
      - .offset:         56
        .size:           8
        .value_kind:     by_value
      - .address_space:  global
        .offset:         64
        .size:           8
        .value_kind:     global_buffer
      - .offset:         72
        .size:           8
        .value_kind:     by_value
      - .offset:         80
        .size:           8
        .value_kind:     by_value
      - .offset:         88
        .size:           4
        .value_kind:     by_value
    .group_segment_fixed_size: 4096
    .kernarg_segment_align: 8
    .kernarg_segment_size: 92
    .language:       OpenCL C
    .language_version:
      - 2
      - 0
    .max_flat_workgroup_size: 256
    .name:           _ZL37rocblas_syrkx_herkx_restricted_kernelIl19rocblas_complex_numIfELi16ELi32ELi8ELi1ELin1ELb1ELc78ELc85EKS1_S1_EviT_PT9_S3_lS5_S3_lPT10_S3_li
    .private_segment_fixed_size: 0
    .sgpr_count:     34
    .sgpr_spill_count: 0
    .symbol:         _ZL37rocblas_syrkx_herkx_restricted_kernelIl19rocblas_complex_numIfELi16ELi32ELi8ELi1ELin1ELb1ELc78ELc85EKS1_S1_EviT_PT9_S3_lS5_S3_lPT10_S3_li.kd
    .uniform_work_group_size: 1
    .uses_dynamic_stack: false
    .vgpr_count:     92
    .vgpr_spill_count: 0
    .wavefront_size: 32
    .workgroup_processor_mode: 1
  - .args:
      - .offset:         0
        .size:           4
        .value_kind:     by_value
      - .offset:         8
        .size:           8
        .value_kind:     by_value
      - .address_space:  global
        .offset:         16
        .size:           8
        .value_kind:     global_buffer
      - .offset:         24
        .size:           8
        .value_kind:     by_value
      - .offset:         32
        .size:           8
        .value_kind:     by_value
      - .address_space:  global
        .offset:         40
        .size:           8
        .value_kind:     global_buffer
      - .offset:         48
        .size:           8
        .value_kind:     by_value
      - .offset:         56
        .size:           8
        .value_kind:     by_value
      - .address_space:  global
        .offset:         64
        .size:           8
        .value_kind:     global_buffer
      - .offset:         72
        .size:           8
        .value_kind:     by_value
      - .offset:         80
        .size:           8
        .value_kind:     by_value
      - .offset:         88
        .size:           4
        .value_kind:     by_value
    .group_segment_fixed_size: 4096
    .kernarg_segment_align: 8
    .kernarg_segment_size: 92
    .language:       OpenCL C
    .language_version:
      - 2
      - 0
    .max_flat_workgroup_size: 256
    .name:           _ZL37rocblas_syrkx_herkx_restricted_kernelIl19rocblas_complex_numIfELi16ELi32ELi8ELi1ELi0ELb1ELc84ELc76EKS1_S1_EviT_PT9_S3_lS5_S3_lPT10_S3_li
    .private_segment_fixed_size: 0
    .sgpr_count:     34
    .sgpr_spill_count: 0
    .symbol:         _ZL37rocblas_syrkx_herkx_restricted_kernelIl19rocblas_complex_numIfELi16ELi32ELi8ELi1ELi0ELb1ELc84ELc76EKS1_S1_EviT_PT9_S3_lS5_S3_lPT10_S3_li.kd
    .uniform_work_group_size: 1
    .uses_dynamic_stack: false
    .vgpr_count:     88
    .vgpr_spill_count: 0
    .wavefront_size: 32
    .workgroup_processor_mode: 1
  - .args:
      - .offset:         0
        .size:           4
        .value_kind:     by_value
      - .offset:         8
        .size:           8
        .value_kind:     by_value
      - .address_space:  global
        .offset:         16
        .size:           8
        .value_kind:     global_buffer
      - .offset:         24
        .size:           8
        .value_kind:     by_value
      - .offset:         32
        .size:           8
        .value_kind:     by_value
      - .address_space:  global
        .offset:         40
        .size:           8
        .value_kind:     global_buffer
      - .offset:         48
        .size:           8
        .value_kind:     by_value
      - .offset:         56
        .size:           8
        .value_kind:     by_value
      - .address_space:  global
        .offset:         64
        .size:           8
        .value_kind:     global_buffer
      - .offset:         72
        .size:           8
        .value_kind:     by_value
      - .offset:         80
        .size:           8
        .value_kind:     by_value
      - .offset:         88
        .size:           4
        .value_kind:     by_value
    .group_segment_fixed_size: 4096
    .kernarg_segment_align: 8
    .kernarg_segment_size: 92
    .language:       OpenCL C
    .language_version:
      - 2
      - 0
    .max_flat_workgroup_size: 256
    .name:           _ZL37rocblas_syrkx_herkx_restricted_kernelIl19rocblas_complex_numIfELi16ELi32ELi8ELi1ELi0ELb1ELc67ELc76EKS1_S1_EviT_PT9_S3_lS5_S3_lPT10_S3_li
    .private_segment_fixed_size: 0
    .sgpr_count:     34
    .sgpr_spill_count: 0
    .symbol:         _ZL37rocblas_syrkx_herkx_restricted_kernelIl19rocblas_complex_numIfELi16ELi32ELi8ELi1ELi0ELb1ELc67ELc76EKS1_S1_EviT_PT9_S3_lS5_S3_lPT10_S3_li.kd
    .uniform_work_group_size: 1
    .uses_dynamic_stack: false
    .vgpr_count:     88
    .vgpr_spill_count: 0
    .wavefront_size: 32
    .workgroup_processor_mode: 1
  - .args:
      - .offset:         0
        .size:           4
        .value_kind:     by_value
      - .offset:         8
        .size:           8
        .value_kind:     by_value
      - .address_space:  global
        .offset:         16
        .size:           8
        .value_kind:     global_buffer
      - .offset:         24
        .size:           8
        .value_kind:     by_value
      - .offset:         32
        .size:           8
        .value_kind:     by_value
      - .address_space:  global
        .offset:         40
        .size:           8
        .value_kind:     global_buffer
      - .offset:         48
        .size:           8
        .value_kind:     by_value
      - .offset:         56
        .size:           8
        .value_kind:     by_value
      - .address_space:  global
        .offset:         64
        .size:           8
        .value_kind:     global_buffer
      - .offset:         72
        .size:           8
        .value_kind:     by_value
      - .offset:         80
        .size:           8
        .value_kind:     by_value
      - .offset:         88
        .size:           4
        .value_kind:     by_value
    .group_segment_fixed_size: 4096
    .kernarg_segment_align: 8
    .kernarg_segment_size: 92
    .language:       OpenCL C
    .language_version:
      - 2
      - 0
    .max_flat_workgroup_size: 256
    .name:           _ZL37rocblas_syrkx_herkx_restricted_kernelIl19rocblas_complex_numIfELi16ELi32ELi8ELi1ELi0ELb1ELc78ELc76EKS1_S1_EviT_PT9_S3_lS5_S3_lPT10_S3_li
    .private_segment_fixed_size: 0
    .sgpr_count:     34
    .sgpr_spill_count: 0
    .symbol:         _ZL37rocblas_syrkx_herkx_restricted_kernelIl19rocblas_complex_numIfELi16ELi32ELi8ELi1ELi0ELb1ELc78ELc76EKS1_S1_EviT_PT9_S3_lS5_S3_lPT10_S3_li.kd
    .uniform_work_group_size: 1
    .uses_dynamic_stack: false
    .vgpr_count:     88
    .vgpr_spill_count: 0
    .wavefront_size: 32
    .workgroup_processor_mode: 1
  - .args:
      - .offset:         0
        .size:           4
        .value_kind:     by_value
      - .offset:         8
        .size:           8
        .value_kind:     by_value
      - .address_space:  global
        .offset:         16
        .size:           8
        .value_kind:     global_buffer
      - .offset:         24
        .size:           8
        .value_kind:     by_value
      - .offset:         32
        .size:           8
        .value_kind:     by_value
      - .address_space:  global
        .offset:         40
        .size:           8
        .value_kind:     global_buffer
      - .offset:         48
        .size:           8
        .value_kind:     by_value
      - .offset:         56
        .size:           8
        .value_kind:     by_value
      - .address_space:  global
        .offset:         64
        .size:           8
        .value_kind:     global_buffer
      - .offset:         72
        .size:           8
        .value_kind:     by_value
      - .offset:         80
        .size:           8
        .value_kind:     by_value
      - .offset:         88
        .size:           4
        .value_kind:     by_value
    .group_segment_fixed_size: 4096
    .kernarg_segment_align: 8
    .kernarg_segment_size: 92
    .language:       OpenCL C
    .language_version:
      - 2
      - 0
    .max_flat_workgroup_size: 256
    .name:           _ZL37rocblas_syrkx_herkx_restricted_kernelIl19rocblas_complex_numIfELi16ELi32ELi8ELi1ELi0ELb1ELc84ELc85EKS1_S1_EviT_PT9_S3_lS5_S3_lPT10_S3_li
    .private_segment_fixed_size: 0
    .sgpr_count:     34
    .sgpr_spill_count: 0
    .symbol:         _ZL37rocblas_syrkx_herkx_restricted_kernelIl19rocblas_complex_numIfELi16ELi32ELi8ELi1ELi0ELb1ELc84ELc85EKS1_S1_EviT_PT9_S3_lS5_S3_lPT10_S3_li.kd
    .uniform_work_group_size: 1
    .uses_dynamic_stack: false
    .vgpr_count:     88
    .vgpr_spill_count: 0
    .wavefront_size: 32
    .workgroup_processor_mode: 1
  - .args:
      - .offset:         0
        .size:           4
        .value_kind:     by_value
      - .offset:         8
        .size:           8
        .value_kind:     by_value
      - .address_space:  global
        .offset:         16
        .size:           8
        .value_kind:     global_buffer
      - .offset:         24
        .size:           8
        .value_kind:     by_value
      - .offset:         32
        .size:           8
        .value_kind:     by_value
      - .address_space:  global
        .offset:         40
        .size:           8
        .value_kind:     global_buffer
      - .offset:         48
        .size:           8
        .value_kind:     by_value
      - .offset:         56
        .size:           8
        .value_kind:     by_value
      - .address_space:  global
        .offset:         64
        .size:           8
        .value_kind:     global_buffer
      - .offset:         72
        .size:           8
        .value_kind:     by_value
      - .offset:         80
        .size:           8
        .value_kind:     by_value
      - .offset:         88
        .size:           4
        .value_kind:     by_value
    .group_segment_fixed_size: 4096
    .kernarg_segment_align: 8
    .kernarg_segment_size: 92
    .language:       OpenCL C
    .language_version:
      - 2
      - 0
    .max_flat_workgroup_size: 256
    .name:           _ZL37rocblas_syrkx_herkx_restricted_kernelIl19rocblas_complex_numIfELi16ELi32ELi8ELi1ELi0ELb1ELc67ELc85EKS1_S1_EviT_PT9_S3_lS5_S3_lPT10_S3_li
    .private_segment_fixed_size: 0
    .sgpr_count:     34
    .sgpr_spill_count: 0
    .symbol:         _ZL37rocblas_syrkx_herkx_restricted_kernelIl19rocblas_complex_numIfELi16ELi32ELi8ELi1ELi0ELb1ELc67ELc85EKS1_S1_EviT_PT9_S3_lS5_S3_lPT10_S3_li.kd
    .uniform_work_group_size: 1
    .uses_dynamic_stack: false
    .vgpr_count:     88
    .vgpr_spill_count: 0
    .wavefront_size: 32
    .workgroup_processor_mode: 1
  - .args:
      - .offset:         0
        .size:           4
        .value_kind:     by_value
      - .offset:         8
        .size:           8
        .value_kind:     by_value
      - .address_space:  global
        .offset:         16
        .size:           8
        .value_kind:     global_buffer
      - .offset:         24
        .size:           8
        .value_kind:     by_value
      - .offset:         32
        .size:           8
        .value_kind:     by_value
      - .address_space:  global
        .offset:         40
        .size:           8
        .value_kind:     global_buffer
      - .offset:         48
        .size:           8
        .value_kind:     by_value
      - .offset:         56
        .size:           8
        .value_kind:     by_value
      - .address_space:  global
        .offset:         64
        .size:           8
        .value_kind:     global_buffer
      - .offset:         72
        .size:           8
        .value_kind:     by_value
      - .offset:         80
        .size:           8
        .value_kind:     by_value
      - .offset:         88
        .size:           4
        .value_kind:     by_value
    .group_segment_fixed_size: 4096
    .kernarg_segment_align: 8
    .kernarg_segment_size: 92
    .language:       OpenCL C
    .language_version:
      - 2
      - 0
    .max_flat_workgroup_size: 256
    .name:           _ZL37rocblas_syrkx_herkx_restricted_kernelIl19rocblas_complex_numIfELi16ELi32ELi8ELi1ELi0ELb1ELc78ELc85EKS1_S1_EviT_PT9_S3_lS5_S3_lPT10_S3_li
    .private_segment_fixed_size: 0
    .sgpr_count:     34
    .sgpr_spill_count: 0
    .symbol:         _ZL37rocblas_syrkx_herkx_restricted_kernelIl19rocblas_complex_numIfELi16ELi32ELi8ELi1ELi0ELb1ELc78ELc85EKS1_S1_EviT_PT9_S3_lS5_S3_lPT10_S3_li.kd
    .uniform_work_group_size: 1
    .uses_dynamic_stack: false
    .vgpr_count:     88
    .vgpr_spill_count: 0
    .wavefront_size: 32
    .workgroup_processor_mode: 1
  - .args:
      - .offset:         0
        .size:           4
        .value_kind:     by_value
      - .offset:         8
        .size:           8
        .value_kind:     by_value
      - .address_space:  global
        .offset:         16
        .size:           8
        .value_kind:     global_buffer
      - .offset:         24
        .size:           8
        .value_kind:     by_value
      - .offset:         32
        .size:           8
        .value_kind:     by_value
      - .address_space:  global
        .offset:         40
        .size:           8
        .value_kind:     global_buffer
      - .offset:         48
        .size:           8
        .value_kind:     by_value
      - .offset:         56
        .size:           8
        .value_kind:     by_value
      - .address_space:  global
        .offset:         64
        .size:           8
        .value_kind:     global_buffer
      - .offset:         72
        .size:           8
        .value_kind:     by_value
      - .offset:         80
        .size:           8
        .value_kind:     by_value
      - .offset:         88
        .size:           4
        .value_kind:     by_value
    .group_segment_fixed_size: 4096
    .kernarg_segment_align: 8
    .kernarg_segment_size: 92
    .language:       OpenCL C
    .language_version:
      - 2
      - 0
    .max_flat_workgroup_size: 256
    .name:           _ZL37rocblas_syrkx_herkx_restricted_kernelIl19rocblas_complex_numIfELi16ELi32ELi8ELin1ELi0ELb1ELc84ELc76EKS1_S1_EviT_PT9_S3_lS5_S3_lPT10_S3_li
    .private_segment_fixed_size: 0
    .sgpr_count:     34
    .sgpr_spill_count: 0
    .symbol:         _ZL37rocblas_syrkx_herkx_restricted_kernelIl19rocblas_complex_numIfELi16ELi32ELi8ELin1ELi0ELb1ELc84ELc76EKS1_S1_EviT_PT9_S3_lS5_S3_lPT10_S3_li.kd
    .uniform_work_group_size: 1
    .uses_dynamic_stack: false
    .vgpr_count:     91
    .vgpr_spill_count: 0
    .wavefront_size: 32
    .workgroup_processor_mode: 1
  - .args:
      - .offset:         0
        .size:           4
        .value_kind:     by_value
      - .offset:         8
        .size:           8
        .value_kind:     by_value
      - .address_space:  global
        .offset:         16
        .size:           8
        .value_kind:     global_buffer
      - .offset:         24
        .size:           8
        .value_kind:     by_value
      - .offset:         32
        .size:           8
        .value_kind:     by_value
      - .address_space:  global
        .offset:         40
        .size:           8
        .value_kind:     global_buffer
      - .offset:         48
        .size:           8
        .value_kind:     by_value
      - .offset:         56
        .size:           8
        .value_kind:     by_value
      - .address_space:  global
        .offset:         64
        .size:           8
        .value_kind:     global_buffer
      - .offset:         72
        .size:           8
        .value_kind:     by_value
      - .offset:         80
        .size:           8
        .value_kind:     by_value
      - .offset:         88
        .size:           4
        .value_kind:     by_value
    .group_segment_fixed_size: 4096
    .kernarg_segment_align: 8
    .kernarg_segment_size: 92
    .language:       OpenCL C
    .language_version:
      - 2
      - 0
    .max_flat_workgroup_size: 256
    .name:           _ZL37rocblas_syrkx_herkx_restricted_kernelIl19rocblas_complex_numIfELi16ELi32ELi8ELin1ELi0ELb1ELc67ELc76EKS1_S1_EviT_PT9_S3_lS5_S3_lPT10_S3_li
    .private_segment_fixed_size: 0
    .sgpr_count:     34
    .sgpr_spill_count: 0
    .symbol:         _ZL37rocblas_syrkx_herkx_restricted_kernelIl19rocblas_complex_numIfELi16ELi32ELi8ELin1ELi0ELb1ELc67ELc76EKS1_S1_EviT_PT9_S3_lS5_S3_lPT10_S3_li.kd
    .uniform_work_group_size: 1
    .uses_dynamic_stack: false
    .vgpr_count:     91
    .vgpr_spill_count: 0
    .wavefront_size: 32
    .workgroup_processor_mode: 1
  - .args:
      - .offset:         0
        .size:           4
        .value_kind:     by_value
      - .offset:         8
        .size:           8
        .value_kind:     by_value
      - .address_space:  global
        .offset:         16
        .size:           8
        .value_kind:     global_buffer
      - .offset:         24
        .size:           8
        .value_kind:     by_value
      - .offset:         32
        .size:           8
        .value_kind:     by_value
      - .address_space:  global
        .offset:         40
        .size:           8
        .value_kind:     global_buffer
      - .offset:         48
        .size:           8
        .value_kind:     by_value
      - .offset:         56
        .size:           8
        .value_kind:     by_value
      - .address_space:  global
        .offset:         64
        .size:           8
        .value_kind:     global_buffer
      - .offset:         72
        .size:           8
        .value_kind:     by_value
      - .offset:         80
        .size:           8
        .value_kind:     by_value
      - .offset:         88
        .size:           4
        .value_kind:     by_value
    .group_segment_fixed_size: 4096
    .kernarg_segment_align: 8
    .kernarg_segment_size: 92
    .language:       OpenCL C
    .language_version:
      - 2
      - 0
    .max_flat_workgroup_size: 256
    .name:           _ZL37rocblas_syrkx_herkx_restricted_kernelIl19rocblas_complex_numIfELi16ELi32ELi8ELin1ELi0ELb1ELc78ELc76EKS1_S1_EviT_PT9_S3_lS5_S3_lPT10_S3_li
    .private_segment_fixed_size: 0
    .sgpr_count:     34
    .sgpr_spill_count: 0
    .symbol:         _ZL37rocblas_syrkx_herkx_restricted_kernelIl19rocblas_complex_numIfELi16ELi32ELi8ELin1ELi0ELb1ELc78ELc76EKS1_S1_EviT_PT9_S3_lS5_S3_lPT10_S3_li.kd
    .uniform_work_group_size: 1
    .uses_dynamic_stack: false
    .vgpr_count:     92
    .vgpr_spill_count: 0
    .wavefront_size: 32
    .workgroup_processor_mode: 1
  - .args:
      - .offset:         0
        .size:           4
        .value_kind:     by_value
      - .offset:         8
        .size:           8
        .value_kind:     by_value
      - .address_space:  global
        .offset:         16
        .size:           8
        .value_kind:     global_buffer
      - .offset:         24
        .size:           8
        .value_kind:     by_value
      - .offset:         32
        .size:           8
        .value_kind:     by_value
      - .address_space:  global
        .offset:         40
        .size:           8
        .value_kind:     global_buffer
      - .offset:         48
        .size:           8
        .value_kind:     by_value
      - .offset:         56
        .size:           8
        .value_kind:     by_value
      - .address_space:  global
        .offset:         64
        .size:           8
        .value_kind:     global_buffer
      - .offset:         72
        .size:           8
        .value_kind:     by_value
      - .offset:         80
        .size:           8
        .value_kind:     by_value
      - .offset:         88
        .size:           4
        .value_kind:     by_value
    .group_segment_fixed_size: 4096
    .kernarg_segment_align: 8
    .kernarg_segment_size: 92
    .language:       OpenCL C
    .language_version:
      - 2
      - 0
    .max_flat_workgroup_size: 256
    .name:           _ZL37rocblas_syrkx_herkx_restricted_kernelIl19rocblas_complex_numIfELi16ELi32ELi8ELin1ELi0ELb1ELc84ELc85EKS1_S1_EviT_PT9_S3_lS5_S3_lPT10_S3_li
    .private_segment_fixed_size: 0
    .sgpr_count:     34
    .sgpr_spill_count: 0
    .symbol:         _ZL37rocblas_syrkx_herkx_restricted_kernelIl19rocblas_complex_numIfELi16ELi32ELi8ELin1ELi0ELb1ELc84ELc85EKS1_S1_EviT_PT9_S3_lS5_S3_lPT10_S3_li.kd
    .uniform_work_group_size: 1
    .uses_dynamic_stack: false
    .vgpr_count:     91
    .vgpr_spill_count: 0
    .wavefront_size: 32
    .workgroup_processor_mode: 1
  - .args:
      - .offset:         0
        .size:           4
        .value_kind:     by_value
      - .offset:         8
        .size:           8
        .value_kind:     by_value
      - .address_space:  global
        .offset:         16
        .size:           8
        .value_kind:     global_buffer
      - .offset:         24
        .size:           8
        .value_kind:     by_value
      - .offset:         32
        .size:           8
        .value_kind:     by_value
      - .address_space:  global
        .offset:         40
        .size:           8
        .value_kind:     global_buffer
      - .offset:         48
        .size:           8
        .value_kind:     by_value
      - .offset:         56
        .size:           8
        .value_kind:     by_value
      - .address_space:  global
        .offset:         64
        .size:           8
        .value_kind:     global_buffer
      - .offset:         72
        .size:           8
        .value_kind:     by_value
      - .offset:         80
        .size:           8
        .value_kind:     by_value
      - .offset:         88
        .size:           4
        .value_kind:     by_value
    .group_segment_fixed_size: 4096
    .kernarg_segment_align: 8
    .kernarg_segment_size: 92
    .language:       OpenCL C
    .language_version:
      - 2
      - 0
    .max_flat_workgroup_size: 256
    .name:           _ZL37rocblas_syrkx_herkx_restricted_kernelIl19rocblas_complex_numIfELi16ELi32ELi8ELin1ELi0ELb1ELc67ELc85EKS1_S1_EviT_PT9_S3_lS5_S3_lPT10_S3_li
    .private_segment_fixed_size: 0
    .sgpr_count:     34
    .sgpr_spill_count: 0
    .symbol:         _ZL37rocblas_syrkx_herkx_restricted_kernelIl19rocblas_complex_numIfELi16ELi32ELi8ELin1ELi0ELb1ELc67ELc85EKS1_S1_EviT_PT9_S3_lS5_S3_lPT10_S3_li.kd
    .uniform_work_group_size: 1
    .uses_dynamic_stack: false
    .vgpr_count:     91
    .vgpr_spill_count: 0
    .wavefront_size: 32
    .workgroup_processor_mode: 1
  - .args:
      - .offset:         0
        .size:           4
        .value_kind:     by_value
      - .offset:         8
        .size:           8
        .value_kind:     by_value
      - .address_space:  global
        .offset:         16
        .size:           8
        .value_kind:     global_buffer
      - .offset:         24
        .size:           8
        .value_kind:     by_value
      - .offset:         32
        .size:           8
        .value_kind:     by_value
      - .address_space:  global
        .offset:         40
        .size:           8
        .value_kind:     global_buffer
      - .offset:         48
        .size:           8
        .value_kind:     by_value
      - .offset:         56
        .size:           8
        .value_kind:     by_value
      - .address_space:  global
        .offset:         64
        .size:           8
        .value_kind:     global_buffer
      - .offset:         72
        .size:           8
        .value_kind:     by_value
      - .offset:         80
        .size:           8
        .value_kind:     by_value
      - .offset:         88
        .size:           4
        .value_kind:     by_value
    .group_segment_fixed_size: 4096
    .kernarg_segment_align: 8
    .kernarg_segment_size: 92
    .language:       OpenCL C
    .language_version:
      - 2
      - 0
    .max_flat_workgroup_size: 256
    .name:           _ZL37rocblas_syrkx_herkx_restricted_kernelIl19rocblas_complex_numIfELi16ELi32ELi8ELin1ELi0ELb1ELc78ELc85EKS1_S1_EviT_PT9_S3_lS5_S3_lPT10_S3_li
    .private_segment_fixed_size: 0
    .sgpr_count:     34
    .sgpr_spill_count: 0
    .symbol:         _ZL37rocblas_syrkx_herkx_restricted_kernelIl19rocblas_complex_numIfELi16ELi32ELi8ELin1ELi0ELb1ELc78ELc85EKS1_S1_EviT_PT9_S3_lS5_S3_lPT10_S3_li.kd
    .uniform_work_group_size: 1
    .uses_dynamic_stack: false
    .vgpr_count:     92
    .vgpr_spill_count: 0
    .wavefront_size: 32
    .workgroup_processor_mode: 1
  - .args:
      - .offset:         0
        .size:           4
        .value_kind:     by_value
      - .offset:         8
        .size:           8
        .value_kind:     by_value
      - .offset:         16
        .size:           8
        .value_kind:     by_value
      - .address_space:  global
        .offset:         24
        .size:           8
        .value_kind:     global_buffer
      - .offset:         32
        .size:           8
        .value_kind:     by_value
      - .offset:         40
        .size:           8
        .value_kind:     by_value
      - .address_space:  global
        .offset:         48
        .size:           8
        .value_kind:     global_buffer
      - .offset:         56
        .size:           8
        .value_kind:     by_value
      - .offset:         64
        .size:           8
        .value_kind:     by_value
      - .offset:         72
        .size:           8
        .value_kind:     by_value
      - .address_space:  global
        .offset:         80
        .size:           8
        .value_kind:     global_buffer
      - .offset:         88
        .size:           8
        .value_kind:     by_value
      - .offset:         96
        .size:           8
        .value_kind:     by_value
      - .offset:         104
        .size:           4
        .value_kind:     by_value
    .group_segment_fixed_size: 4096
    .kernarg_segment_align: 8
    .kernarg_segment_size: 108
    .language:       OpenCL C
    .language_version:
      - 2
      - 0
    .max_flat_workgroup_size: 256
    .name:           _ZL37rocblas_syrkx_herkx_restricted_kernelIl19rocblas_complex_numIfELi16ELi32ELi8ELb1ELb1ELc84ELc76EKS1_S1_EviT_T0_PT8_S3_lS6_S3_lS4_PT9_S3_li
    .private_segment_fixed_size: 0
    .sgpr_count:     34
    .sgpr_spill_count: 0
    .symbol:         _ZL37rocblas_syrkx_herkx_restricted_kernelIl19rocblas_complex_numIfELi16ELi32ELi8ELb1ELb1ELc84ELc76EKS1_S1_EviT_T0_PT8_S3_lS6_S3_lS4_PT9_S3_li.kd
    .uniform_work_group_size: 1
    .uses_dynamic_stack: false
    .vgpr_count:     91
    .vgpr_spill_count: 0
    .wavefront_size: 32
    .workgroup_processor_mode: 1
  - .args:
      - .offset:         0
        .size:           4
        .value_kind:     by_value
      - .offset:         8
        .size:           8
        .value_kind:     by_value
      - .offset:         16
        .size:           8
        .value_kind:     by_value
      - .address_space:  global
        .offset:         24
        .size:           8
        .value_kind:     global_buffer
      - .offset:         32
        .size:           8
        .value_kind:     by_value
      - .offset:         40
        .size:           8
        .value_kind:     by_value
      - .address_space:  global
        .offset:         48
        .size:           8
        .value_kind:     global_buffer
      - .offset:         56
        .size:           8
        .value_kind:     by_value
      - .offset:         64
        .size:           8
        .value_kind:     by_value
      - .offset:         72
        .size:           8
        .value_kind:     by_value
      - .address_space:  global
        .offset:         80
        .size:           8
        .value_kind:     global_buffer
      - .offset:         88
        .size:           8
        .value_kind:     by_value
      - .offset:         96
        .size:           8
        .value_kind:     by_value
      - .offset:         104
        .size:           4
        .value_kind:     by_value
    .group_segment_fixed_size: 4096
    .kernarg_segment_align: 8
    .kernarg_segment_size: 108
    .language:       OpenCL C
    .language_version:
      - 2
      - 0
    .max_flat_workgroup_size: 256
    .name:           _ZL37rocblas_syrkx_herkx_restricted_kernelIl19rocblas_complex_numIfELi16ELi32ELi8ELb1ELb1ELc67ELc76EKS1_S1_EviT_T0_PT8_S3_lS6_S3_lS4_PT9_S3_li
    .private_segment_fixed_size: 0
    .sgpr_count:     34
    .sgpr_spill_count: 0
    .symbol:         _ZL37rocblas_syrkx_herkx_restricted_kernelIl19rocblas_complex_numIfELi16ELi32ELi8ELb1ELb1ELc67ELc76EKS1_S1_EviT_T0_PT8_S3_lS6_S3_lS4_PT9_S3_li.kd
    .uniform_work_group_size: 1
    .uses_dynamic_stack: false
    .vgpr_count:     91
    .vgpr_spill_count: 0
    .wavefront_size: 32
    .workgroup_processor_mode: 1
  - .args:
      - .offset:         0
        .size:           4
        .value_kind:     by_value
      - .offset:         8
        .size:           8
        .value_kind:     by_value
      - .offset:         16
        .size:           8
        .value_kind:     by_value
      - .address_space:  global
        .offset:         24
        .size:           8
        .value_kind:     global_buffer
      - .offset:         32
        .size:           8
        .value_kind:     by_value
      - .offset:         40
        .size:           8
        .value_kind:     by_value
      - .address_space:  global
        .offset:         48
        .size:           8
        .value_kind:     global_buffer
      - .offset:         56
        .size:           8
        .value_kind:     by_value
      - .offset:         64
        .size:           8
        .value_kind:     by_value
      - .offset:         72
        .size:           8
        .value_kind:     by_value
      - .address_space:  global
        .offset:         80
        .size:           8
        .value_kind:     global_buffer
      - .offset:         88
        .size:           8
        .value_kind:     by_value
      - .offset:         96
        .size:           8
        .value_kind:     by_value
      - .offset:         104
        .size:           4
        .value_kind:     by_value
    .group_segment_fixed_size: 4096
    .kernarg_segment_align: 8
    .kernarg_segment_size: 108
    .language:       OpenCL C
    .language_version:
      - 2
      - 0
    .max_flat_workgroup_size: 256
    .name:           _ZL37rocblas_syrkx_herkx_restricted_kernelIl19rocblas_complex_numIfELi16ELi32ELi8ELb1ELb1ELc78ELc76EKS1_S1_EviT_T0_PT8_S3_lS6_S3_lS4_PT9_S3_li
    .private_segment_fixed_size: 0
    .sgpr_count:     34
    .sgpr_spill_count: 0
    .symbol:         _ZL37rocblas_syrkx_herkx_restricted_kernelIl19rocblas_complex_numIfELi16ELi32ELi8ELb1ELb1ELc78ELc76EKS1_S1_EviT_T0_PT8_S3_lS6_S3_lS4_PT9_S3_li.kd
    .uniform_work_group_size: 1
    .uses_dynamic_stack: false
    .vgpr_count:     92
    .vgpr_spill_count: 0
    .wavefront_size: 32
    .workgroup_processor_mode: 1
  - .args:
      - .offset:         0
        .size:           4
        .value_kind:     by_value
      - .offset:         8
        .size:           8
        .value_kind:     by_value
      - .offset:         16
        .size:           8
        .value_kind:     by_value
      - .address_space:  global
        .offset:         24
        .size:           8
        .value_kind:     global_buffer
      - .offset:         32
        .size:           8
        .value_kind:     by_value
      - .offset:         40
        .size:           8
        .value_kind:     by_value
      - .address_space:  global
        .offset:         48
        .size:           8
        .value_kind:     global_buffer
      - .offset:         56
        .size:           8
        .value_kind:     by_value
      - .offset:         64
        .size:           8
        .value_kind:     by_value
      - .offset:         72
        .size:           8
        .value_kind:     by_value
      - .address_space:  global
        .offset:         80
        .size:           8
        .value_kind:     global_buffer
      - .offset:         88
        .size:           8
        .value_kind:     by_value
      - .offset:         96
        .size:           8
        .value_kind:     by_value
      - .offset:         104
        .size:           4
        .value_kind:     by_value
    .group_segment_fixed_size: 4096
    .kernarg_segment_align: 8
    .kernarg_segment_size: 108
    .language:       OpenCL C
    .language_version:
      - 2
      - 0
    .max_flat_workgroup_size: 256
    .name:           _ZL37rocblas_syrkx_herkx_restricted_kernelIl19rocblas_complex_numIfELi16ELi32ELi8ELb1ELb1ELc84ELc85EKS1_S1_EviT_T0_PT8_S3_lS6_S3_lS4_PT9_S3_li
    .private_segment_fixed_size: 0
    .sgpr_count:     34
    .sgpr_spill_count: 0
    .symbol:         _ZL37rocblas_syrkx_herkx_restricted_kernelIl19rocblas_complex_numIfELi16ELi32ELi8ELb1ELb1ELc84ELc85EKS1_S1_EviT_T0_PT8_S3_lS6_S3_lS4_PT9_S3_li.kd
    .uniform_work_group_size: 1
    .uses_dynamic_stack: false
    .vgpr_count:     91
    .vgpr_spill_count: 0
    .wavefront_size: 32
    .workgroup_processor_mode: 1
  - .args:
      - .offset:         0
        .size:           4
        .value_kind:     by_value
      - .offset:         8
        .size:           8
        .value_kind:     by_value
      - .offset:         16
        .size:           8
        .value_kind:     by_value
      - .address_space:  global
        .offset:         24
        .size:           8
        .value_kind:     global_buffer
      - .offset:         32
        .size:           8
        .value_kind:     by_value
      - .offset:         40
        .size:           8
        .value_kind:     by_value
      - .address_space:  global
        .offset:         48
        .size:           8
        .value_kind:     global_buffer
      - .offset:         56
        .size:           8
        .value_kind:     by_value
      - .offset:         64
        .size:           8
        .value_kind:     by_value
      - .offset:         72
        .size:           8
        .value_kind:     by_value
      - .address_space:  global
        .offset:         80
        .size:           8
        .value_kind:     global_buffer
      - .offset:         88
        .size:           8
        .value_kind:     by_value
      - .offset:         96
        .size:           8
        .value_kind:     by_value
      - .offset:         104
        .size:           4
        .value_kind:     by_value
    .group_segment_fixed_size: 4096
    .kernarg_segment_align: 8
    .kernarg_segment_size: 108
    .language:       OpenCL C
    .language_version:
      - 2
      - 0
    .max_flat_workgroup_size: 256
    .name:           _ZL37rocblas_syrkx_herkx_restricted_kernelIl19rocblas_complex_numIfELi16ELi32ELi8ELb1ELb1ELc67ELc85EKS1_S1_EviT_T0_PT8_S3_lS6_S3_lS4_PT9_S3_li
    .private_segment_fixed_size: 0
    .sgpr_count:     34
    .sgpr_spill_count: 0
    .symbol:         _ZL37rocblas_syrkx_herkx_restricted_kernelIl19rocblas_complex_numIfELi16ELi32ELi8ELb1ELb1ELc67ELc85EKS1_S1_EviT_T0_PT8_S3_lS6_S3_lS4_PT9_S3_li.kd
    .uniform_work_group_size: 1
    .uses_dynamic_stack: false
    .vgpr_count:     91
    .vgpr_spill_count: 0
    .wavefront_size: 32
    .workgroup_processor_mode: 1
  - .args:
      - .offset:         0
        .size:           4
        .value_kind:     by_value
      - .offset:         8
        .size:           8
        .value_kind:     by_value
      - .offset:         16
        .size:           8
        .value_kind:     by_value
      - .address_space:  global
        .offset:         24
        .size:           8
        .value_kind:     global_buffer
      - .offset:         32
        .size:           8
        .value_kind:     by_value
      - .offset:         40
        .size:           8
        .value_kind:     by_value
      - .address_space:  global
        .offset:         48
        .size:           8
        .value_kind:     global_buffer
      - .offset:         56
        .size:           8
        .value_kind:     by_value
      - .offset:         64
        .size:           8
        .value_kind:     by_value
      - .offset:         72
        .size:           8
        .value_kind:     by_value
      - .address_space:  global
        .offset:         80
        .size:           8
        .value_kind:     global_buffer
      - .offset:         88
        .size:           8
        .value_kind:     by_value
      - .offset:         96
        .size:           8
        .value_kind:     by_value
      - .offset:         104
        .size:           4
        .value_kind:     by_value
    .group_segment_fixed_size: 4096
    .kernarg_segment_align: 8
    .kernarg_segment_size: 108
    .language:       OpenCL C
    .language_version:
      - 2
      - 0
    .max_flat_workgroup_size: 256
    .name:           _ZL37rocblas_syrkx_herkx_restricted_kernelIl19rocblas_complex_numIfELi16ELi32ELi8ELb1ELb1ELc78ELc85EKS1_S1_EviT_T0_PT8_S3_lS6_S3_lS4_PT9_S3_li
    .private_segment_fixed_size: 0
    .sgpr_count:     34
    .sgpr_spill_count: 0
    .symbol:         _ZL37rocblas_syrkx_herkx_restricted_kernelIl19rocblas_complex_numIfELi16ELi32ELi8ELb1ELb1ELc78ELc85EKS1_S1_EviT_T0_PT8_S3_lS6_S3_lS4_PT9_S3_li.kd
    .uniform_work_group_size: 1
    .uses_dynamic_stack: false
    .vgpr_count:     92
    .vgpr_spill_count: 0
    .wavefront_size: 32
    .workgroup_processor_mode: 1
  - .args:
      - .offset:         0
        .size:           4
        .value_kind:     by_value
      - .offset:         8
        .size:           8
        .value_kind:     by_value
      - .offset:         16
        .size:           8
        .value_kind:     by_value
      - .address_space:  global
        .offset:         24
        .size:           8
        .value_kind:     global_buffer
      - .offset:         32
        .size:           8
        .value_kind:     by_value
      - .offset:         40
        .size:           8
        .value_kind:     by_value
      - .address_space:  global
        .offset:         48
        .size:           8
        .value_kind:     global_buffer
      - .offset:         56
        .size:           8
        .value_kind:     by_value
      - .offset:         64
        .size:           8
        .value_kind:     by_value
      - .offset:         72
        .size:           8
        .value_kind:     by_value
      - .address_space:  global
        .offset:         80
        .size:           8
        .value_kind:     global_buffer
      - .offset:         88
        .size:           8
        .value_kind:     by_value
      - .offset:         96
        .size:           8
        .value_kind:     by_value
      - .offset:         104
        .size:           4
        .value_kind:     by_value
    .group_segment_fixed_size: 4096
    .kernarg_segment_align: 8
    .kernarg_segment_size: 108
    .language:       OpenCL C
    .language_version:
      - 2
      - 0
    .max_flat_workgroup_size: 256
    .name:           _ZL37rocblas_syrkx_herkx_restricted_kernelIl19rocblas_complex_numIfELi16ELi32ELi8ELb0ELb1ELc84ELc76EKS1_S1_EviT_T0_PT8_S3_lS6_S3_lS4_PT9_S3_li
    .private_segment_fixed_size: 0
    .sgpr_count:     34
    .sgpr_spill_count: 0
    .symbol:         _ZL37rocblas_syrkx_herkx_restricted_kernelIl19rocblas_complex_numIfELi16ELi32ELi8ELb0ELb1ELc84ELc76EKS1_S1_EviT_T0_PT8_S3_lS6_S3_lS4_PT9_S3_li.kd
    .uniform_work_group_size: 1
    .uses_dynamic_stack: false
    .vgpr_count:     91
    .vgpr_spill_count: 0
    .wavefront_size: 32
    .workgroup_processor_mode: 1
  - .args:
      - .offset:         0
        .size:           4
        .value_kind:     by_value
      - .offset:         8
        .size:           8
        .value_kind:     by_value
      - .offset:         16
        .size:           8
        .value_kind:     by_value
      - .address_space:  global
        .offset:         24
        .size:           8
        .value_kind:     global_buffer
      - .offset:         32
        .size:           8
        .value_kind:     by_value
      - .offset:         40
        .size:           8
        .value_kind:     by_value
      - .address_space:  global
        .offset:         48
        .size:           8
        .value_kind:     global_buffer
      - .offset:         56
        .size:           8
        .value_kind:     by_value
      - .offset:         64
        .size:           8
        .value_kind:     by_value
      - .offset:         72
        .size:           8
        .value_kind:     by_value
      - .address_space:  global
        .offset:         80
        .size:           8
        .value_kind:     global_buffer
      - .offset:         88
        .size:           8
        .value_kind:     by_value
      - .offset:         96
        .size:           8
        .value_kind:     by_value
      - .offset:         104
        .size:           4
        .value_kind:     by_value
    .group_segment_fixed_size: 4096
    .kernarg_segment_align: 8
    .kernarg_segment_size: 108
    .language:       OpenCL C
    .language_version:
      - 2
      - 0
    .max_flat_workgroup_size: 256
    .name:           _ZL37rocblas_syrkx_herkx_restricted_kernelIl19rocblas_complex_numIfELi16ELi32ELi8ELb0ELb1ELc67ELc76EKS1_S1_EviT_T0_PT8_S3_lS6_S3_lS4_PT9_S3_li
    .private_segment_fixed_size: 0
    .sgpr_count:     34
    .sgpr_spill_count: 0
    .symbol:         _ZL37rocblas_syrkx_herkx_restricted_kernelIl19rocblas_complex_numIfELi16ELi32ELi8ELb0ELb1ELc67ELc76EKS1_S1_EviT_T0_PT8_S3_lS6_S3_lS4_PT9_S3_li.kd
    .uniform_work_group_size: 1
    .uses_dynamic_stack: false
    .vgpr_count:     91
    .vgpr_spill_count: 0
    .wavefront_size: 32
    .workgroup_processor_mode: 1
  - .args:
      - .offset:         0
        .size:           4
        .value_kind:     by_value
      - .offset:         8
        .size:           8
        .value_kind:     by_value
      - .offset:         16
        .size:           8
        .value_kind:     by_value
      - .address_space:  global
        .offset:         24
        .size:           8
        .value_kind:     global_buffer
      - .offset:         32
        .size:           8
        .value_kind:     by_value
      - .offset:         40
        .size:           8
        .value_kind:     by_value
      - .address_space:  global
        .offset:         48
        .size:           8
        .value_kind:     global_buffer
      - .offset:         56
        .size:           8
        .value_kind:     by_value
      - .offset:         64
        .size:           8
        .value_kind:     by_value
      - .offset:         72
        .size:           8
        .value_kind:     by_value
      - .address_space:  global
        .offset:         80
        .size:           8
        .value_kind:     global_buffer
      - .offset:         88
        .size:           8
        .value_kind:     by_value
      - .offset:         96
        .size:           8
        .value_kind:     by_value
      - .offset:         104
        .size:           4
        .value_kind:     by_value
    .group_segment_fixed_size: 4096
    .kernarg_segment_align: 8
    .kernarg_segment_size: 108
    .language:       OpenCL C
    .language_version:
      - 2
      - 0
    .max_flat_workgroup_size: 256
    .name:           _ZL37rocblas_syrkx_herkx_restricted_kernelIl19rocblas_complex_numIfELi16ELi32ELi8ELb0ELb1ELc78ELc76EKS1_S1_EviT_T0_PT8_S3_lS6_S3_lS4_PT9_S3_li
    .private_segment_fixed_size: 0
    .sgpr_count:     34
    .sgpr_spill_count: 0
    .symbol:         _ZL37rocblas_syrkx_herkx_restricted_kernelIl19rocblas_complex_numIfELi16ELi32ELi8ELb0ELb1ELc78ELc76EKS1_S1_EviT_T0_PT8_S3_lS6_S3_lS4_PT9_S3_li.kd
    .uniform_work_group_size: 1
    .uses_dynamic_stack: false
    .vgpr_count:     92
    .vgpr_spill_count: 0
    .wavefront_size: 32
    .workgroup_processor_mode: 1
  - .args:
      - .offset:         0
        .size:           4
        .value_kind:     by_value
      - .offset:         8
        .size:           8
        .value_kind:     by_value
      - .offset:         16
        .size:           8
        .value_kind:     by_value
      - .address_space:  global
        .offset:         24
        .size:           8
        .value_kind:     global_buffer
      - .offset:         32
        .size:           8
        .value_kind:     by_value
      - .offset:         40
        .size:           8
        .value_kind:     by_value
      - .address_space:  global
        .offset:         48
        .size:           8
        .value_kind:     global_buffer
      - .offset:         56
        .size:           8
        .value_kind:     by_value
      - .offset:         64
        .size:           8
        .value_kind:     by_value
      - .offset:         72
        .size:           8
        .value_kind:     by_value
      - .address_space:  global
        .offset:         80
        .size:           8
        .value_kind:     global_buffer
      - .offset:         88
        .size:           8
        .value_kind:     by_value
      - .offset:         96
        .size:           8
        .value_kind:     by_value
      - .offset:         104
        .size:           4
        .value_kind:     by_value
    .group_segment_fixed_size: 4096
    .kernarg_segment_align: 8
    .kernarg_segment_size: 108
    .language:       OpenCL C
    .language_version:
      - 2
      - 0
    .max_flat_workgroup_size: 256
    .name:           _ZL37rocblas_syrkx_herkx_restricted_kernelIl19rocblas_complex_numIfELi16ELi32ELi8ELb0ELb1ELc84ELc85EKS1_S1_EviT_T0_PT8_S3_lS6_S3_lS4_PT9_S3_li
    .private_segment_fixed_size: 0
    .sgpr_count:     34
    .sgpr_spill_count: 0
    .symbol:         _ZL37rocblas_syrkx_herkx_restricted_kernelIl19rocblas_complex_numIfELi16ELi32ELi8ELb0ELb1ELc84ELc85EKS1_S1_EviT_T0_PT8_S3_lS6_S3_lS4_PT9_S3_li.kd
    .uniform_work_group_size: 1
    .uses_dynamic_stack: false
    .vgpr_count:     91
    .vgpr_spill_count: 0
    .wavefront_size: 32
    .workgroup_processor_mode: 1
  - .args:
      - .offset:         0
        .size:           4
        .value_kind:     by_value
      - .offset:         8
        .size:           8
        .value_kind:     by_value
      - .offset:         16
        .size:           8
        .value_kind:     by_value
      - .address_space:  global
        .offset:         24
        .size:           8
        .value_kind:     global_buffer
      - .offset:         32
        .size:           8
        .value_kind:     by_value
      - .offset:         40
        .size:           8
        .value_kind:     by_value
      - .address_space:  global
        .offset:         48
        .size:           8
        .value_kind:     global_buffer
      - .offset:         56
        .size:           8
        .value_kind:     by_value
      - .offset:         64
        .size:           8
        .value_kind:     by_value
      - .offset:         72
        .size:           8
        .value_kind:     by_value
      - .address_space:  global
        .offset:         80
        .size:           8
        .value_kind:     global_buffer
      - .offset:         88
        .size:           8
        .value_kind:     by_value
      - .offset:         96
        .size:           8
        .value_kind:     by_value
      - .offset:         104
        .size:           4
        .value_kind:     by_value
    .group_segment_fixed_size: 4096
    .kernarg_segment_align: 8
    .kernarg_segment_size: 108
    .language:       OpenCL C
    .language_version:
      - 2
      - 0
    .max_flat_workgroup_size: 256
    .name:           _ZL37rocblas_syrkx_herkx_restricted_kernelIl19rocblas_complex_numIfELi16ELi32ELi8ELb0ELb1ELc67ELc85EKS1_S1_EviT_T0_PT8_S3_lS6_S3_lS4_PT9_S3_li
    .private_segment_fixed_size: 0
    .sgpr_count:     34
    .sgpr_spill_count: 0
    .symbol:         _ZL37rocblas_syrkx_herkx_restricted_kernelIl19rocblas_complex_numIfELi16ELi32ELi8ELb0ELb1ELc67ELc85EKS1_S1_EviT_T0_PT8_S3_lS6_S3_lS4_PT9_S3_li.kd
    .uniform_work_group_size: 1
    .uses_dynamic_stack: false
    .vgpr_count:     91
    .vgpr_spill_count: 0
    .wavefront_size: 32
    .workgroup_processor_mode: 1
  - .args:
      - .offset:         0
        .size:           4
        .value_kind:     by_value
      - .offset:         8
        .size:           8
        .value_kind:     by_value
      - .offset:         16
        .size:           8
        .value_kind:     by_value
      - .address_space:  global
        .offset:         24
        .size:           8
        .value_kind:     global_buffer
      - .offset:         32
        .size:           8
        .value_kind:     by_value
      - .offset:         40
        .size:           8
        .value_kind:     by_value
      - .address_space:  global
        .offset:         48
        .size:           8
        .value_kind:     global_buffer
      - .offset:         56
        .size:           8
        .value_kind:     by_value
      - .offset:         64
        .size:           8
        .value_kind:     by_value
      - .offset:         72
        .size:           8
        .value_kind:     by_value
      - .address_space:  global
        .offset:         80
        .size:           8
        .value_kind:     global_buffer
      - .offset:         88
        .size:           8
        .value_kind:     by_value
      - .offset:         96
        .size:           8
        .value_kind:     by_value
      - .offset:         104
        .size:           4
        .value_kind:     by_value
    .group_segment_fixed_size: 4096
    .kernarg_segment_align: 8
    .kernarg_segment_size: 108
    .language:       OpenCL C
    .language_version:
      - 2
      - 0
    .max_flat_workgroup_size: 256
    .name:           _ZL37rocblas_syrkx_herkx_restricted_kernelIl19rocblas_complex_numIfELi16ELi32ELi8ELb0ELb1ELc78ELc85EKS1_S1_EviT_T0_PT8_S3_lS6_S3_lS4_PT9_S3_li
    .private_segment_fixed_size: 0
    .sgpr_count:     34
    .sgpr_spill_count: 0
    .symbol:         _ZL37rocblas_syrkx_herkx_restricted_kernelIl19rocblas_complex_numIfELi16ELi32ELi8ELb0ELb1ELc78ELc85EKS1_S1_EviT_T0_PT8_S3_lS6_S3_lS4_PT9_S3_li.kd
    .uniform_work_group_size: 1
    .uses_dynamic_stack: false
    .vgpr_count:     92
    .vgpr_spill_count: 0
    .wavefront_size: 32
    .workgroup_processor_mode: 1
  - .args:
      - .offset:         0
        .size:           4
        .value_kind:     by_value
      - .offset:         8
        .size:           8
        .value_kind:     by_value
      - .offset:         16
        .size:           8
        .value_kind:     by_value
      - .address_space:  global
        .offset:         24
        .size:           8
        .value_kind:     global_buffer
      - .offset:         32
        .size:           8
        .value_kind:     by_value
      - .offset:         40
        .size:           8
        .value_kind:     by_value
      - .address_space:  global
        .offset:         48
        .size:           8
        .value_kind:     global_buffer
      - .offset:         56
        .size:           8
        .value_kind:     by_value
      - .offset:         64
        .size:           8
        .value_kind:     by_value
      - .offset:         72
        .size:           8
        .value_kind:     by_value
      - .address_space:  global
        .offset:         80
        .size:           8
        .value_kind:     global_buffer
      - .offset:         88
        .size:           8
        .value_kind:     by_value
      - .offset:         96
        .size:           8
        .value_kind:     by_value
      - .offset:         104
        .size:           4
        .value_kind:     by_value
    .group_segment_fixed_size: 4096
    .kernarg_segment_align: 8
    .kernarg_segment_size: 108
    .language:       OpenCL C
    .language_version:
      - 2
      - 0
    .max_flat_workgroup_size: 256
    .name:           _ZL41rocblas_syrkx_herkx_small_restrict_kernelIl19rocblas_complex_numIfELi16ELb1ELb1ELc84ELc76EKS1_S1_EviT_T0_PT6_S3_lS6_S3_lS4_PT7_S3_li
    .private_segment_fixed_size: 0
    .sgpr_count:     34
    .sgpr_spill_count: 0
    .symbol:         _ZL41rocblas_syrkx_herkx_small_restrict_kernelIl19rocblas_complex_numIfELi16ELb1ELb1ELc84ELc76EKS1_S1_EviT_T0_PT6_S3_lS6_S3_lS4_PT7_S3_li.kd
    .uniform_work_group_size: 1
    .uses_dynamic_stack: false
    .vgpr_count:     87
    .vgpr_spill_count: 0
    .wavefront_size: 32
    .workgroup_processor_mode: 1
  - .args:
      - .offset:         0
        .size:           4
        .value_kind:     by_value
      - .offset:         8
        .size:           8
        .value_kind:     by_value
      - .offset:         16
        .size:           8
        .value_kind:     by_value
      - .address_space:  global
        .offset:         24
        .size:           8
        .value_kind:     global_buffer
      - .offset:         32
        .size:           8
        .value_kind:     by_value
      - .offset:         40
        .size:           8
        .value_kind:     by_value
      - .address_space:  global
        .offset:         48
        .size:           8
        .value_kind:     global_buffer
      - .offset:         56
        .size:           8
        .value_kind:     by_value
      - .offset:         64
        .size:           8
        .value_kind:     by_value
      - .offset:         72
        .size:           8
        .value_kind:     by_value
      - .address_space:  global
        .offset:         80
        .size:           8
        .value_kind:     global_buffer
      - .offset:         88
        .size:           8
        .value_kind:     by_value
      - .offset:         96
        .size:           8
        .value_kind:     by_value
      - .offset:         104
        .size:           4
        .value_kind:     by_value
    .group_segment_fixed_size: 4096
    .kernarg_segment_align: 8
    .kernarg_segment_size: 108
    .language:       OpenCL C
    .language_version:
      - 2
      - 0
    .max_flat_workgroup_size: 256
    .name:           _ZL41rocblas_syrkx_herkx_small_restrict_kernelIl19rocblas_complex_numIfELi16ELb1ELb1ELc67ELc76EKS1_S1_EviT_T0_PT6_S3_lS6_S3_lS4_PT7_S3_li
    .private_segment_fixed_size: 0
    .sgpr_count:     34
    .sgpr_spill_count: 0
    .symbol:         _ZL41rocblas_syrkx_herkx_small_restrict_kernelIl19rocblas_complex_numIfELi16ELb1ELb1ELc67ELc76EKS1_S1_EviT_T0_PT6_S3_lS6_S3_lS4_PT7_S3_li.kd
    .uniform_work_group_size: 1
    .uses_dynamic_stack: false
    .vgpr_count:     87
    .vgpr_spill_count: 0
    .wavefront_size: 32
    .workgroup_processor_mode: 1
  - .args:
      - .offset:         0
        .size:           4
        .value_kind:     by_value
      - .offset:         8
        .size:           8
        .value_kind:     by_value
      - .offset:         16
        .size:           8
        .value_kind:     by_value
      - .address_space:  global
        .offset:         24
        .size:           8
        .value_kind:     global_buffer
      - .offset:         32
        .size:           8
        .value_kind:     by_value
      - .offset:         40
        .size:           8
        .value_kind:     by_value
      - .address_space:  global
        .offset:         48
        .size:           8
        .value_kind:     global_buffer
      - .offset:         56
        .size:           8
        .value_kind:     by_value
      - .offset:         64
        .size:           8
        .value_kind:     by_value
      - .offset:         72
        .size:           8
        .value_kind:     by_value
      - .address_space:  global
        .offset:         80
        .size:           8
        .value_kind:     global_buffer
      - .offset:         88
        .size:           8
        .value_kind:     by_value
      - .offset:         96
        .size:           8
        .value_kind:     by_value
      - .offset:         104
        .size:           4
        .value_kind:     by_value
    .group_segment_fixed_size: 4096
    .kernarg_segment_align: 8
    .kernarg_segment_size: 108
    .language:       OpenCL C
    .language_version:
      - 2
      - 0
    .max_flat_workgroup_size: 256
    .name:           _ZL41rocblas_syrkx_herkx_small_restrict_kernelIl19rocblas_complex_numIfELi16ELb1ELb1ELc78ELc76EKS1_S1_EviT_T0_PT6_S3_lS6_S3_lS4_PT7_S3_li
    .private_segment_fixed_size: 0
    .sgpr_count:     34
    .sgpr_spill_count: 0
    .symbol:         _ZL41rocblas_syrkx_herkx_small_restrict_kernelIl19rocblas_complex_numIfELi16ELb1ELb1ELc78ELc76EKS1_S1_EviT_T0_PT6_S3_lS6_S3_lS4_PT7_S3_li.kd
    .uniform_work_group_size: 1
    .uses_dynamic_stack: false
    .vgpr_count:     87
    .vgpr_spill_count: 0
    .wavefront_size: 32
    .workgroup_processor_mode: 1
  - .args:
      - .offset:         0
        .size:           4
        .value_kind:     by_value
      - .offset:         8
        .size:           8
        .value_kind:     by_value
      - .offset:         16
        .size:           8
        .value_kind:     by_value
      - .address_space:  global
        .offset:         24
        .size:           8
        .value_kind:     global_buffer
      - .offset:         32
        .size:           8
        .value_kind:     by_value
      - .offset:         40
        .size:           8
        .value_kind:     by_value
      - .address_space:  global
        .offset:         48
        .size:           8
        .value_kind:     global_buffer
      - .offset:         56
        .size:           8
        .value_kind:     by_value
      - .offset:         64
        .size:           8
        .value_kind:     by_value
      - .offset:         72
        .size:           8
        .value_kind:     by_value
      - .address_space:  global
        .offset:         80
        .size:           8
        .value_kind:     global_buffer
      - .offset:         88
        .size:           8
        .value_kind:     by_value
      - .offset:         96
        .size:           8
        .value_kind:     by_value
      - .offset:         104
        .size:           4
        .value_kind:     by_value
    .group_segment_fixed_size: 4096
    .kernarg_segment_align: 8
    .kernarg_segment_size: 108
    .language:       OpenCL C
    .language_version:
      - 2
      - 0
    .max_flat_workgroup_size: 256
    .name:           _ZL41rocblas_syrkx_herkx_small_restrict_kernelIl19rocblas_complex_numIfELi16ELb1ELb1ELc84ELc85EKS1_S1_EviT_T0_PT6_S3_lS6_S3_lS4_PT7_S3_li
    .private_segment_fixed_size: 0
    .sgpr_count:     34
    .sgpr_spill_count: 0
    .symbol:         _ZL41rocblas_syrkx_herkx_small_restrict_kernelIl19rocblas_complex_numIfELi16ELb1ELb1ELc84ELc85EKS1_S1_EviT_T0_PT6_S3_lS6_S3_lS4_PT7_S3_li.kd
    .uniform_work_group_size: 1
    .uses_dynamic_stack: false
    .vgpr_count:     87
    .vgpr_spill_count: 0
    .wavefront_size: 32
    .workgroup_processor_mode: 1
  - .args:
      - .offset:         0
        .size:           4
        .value_kind:     by_value
      - .offset:         8
        .size:           8
        .value_kind:     by_value
      - .offset:         16
        .size:           8
        .value_kind:     by_value
      - .address_space:  global
        .offset:         24
        .size:           8
        .value_kind:     global_buffer
      - .offset:         32
        .size:           8
        .value_kind:     by_value
      - .offset:         40
        .size:           8
        .value_kind:     by_value
      - .address_space:  global
        .offset:         48
        .size:           8
        .value_kind:     global_buffer
      - .offset:         56
        .size:           8
        .value_kind:     by_value
      - .offset:         64
        .size:           8
        .value_kind:     by_value
      - .offset:         72
        .size:           8
        .value_kind:     by_value
      - .address_space:  global
        .offset:         80
        .size:           8
        .value_kind:     global_buffer
      - .offset:         88
        .size:           8
        .value_kind:     by_value
      - .offset:         96
        .size:           8
        .value_kind:     by_value
      - .offset:         104
        .size:           4
        .value_kind:     by_value
    .group_segment_fixed_size: 4096
    .kernarg_segment_align: 8
    .kernarg_segment_size: 108
    .language:       OpenCL C
    .language_version:
      - 2
      - 0
    .max_flat_workgroup_size: 256
    .name:           _ZL41rocblas_syrkx_herkx_small_restrict_kernelIl19rocblas_complex_numIfELi16ELb1ELb1ELc67ELc85EKS1_S1_EviT_T0_PT6_S3_lS6_S3_lS4_PT7_S3_li
    .private_segment_fixed_size: 0
    .sgpr_count:     34
    .sgpr_spill_count: 0
    .symbol:         _ZL41rocblas_syrkx_herkx_small_restrict_kernelIl19rocblas_complex_numIfELi16ELb1ELb1ELc67ELc85EKS1_S1_EviT_T0_PT6_S3_lS6_S3_lS4_PT7_S3_li.kd
    .uniform_work_group_size: 1
    .uses_dynamic_stack: false
    .vgpr_count:     87
    .vgpr_spill_count: 0
    .wavefront_size: 32
    .workgroup_processor_mode: 1
  - .args:
      - .offset:         0
        .size:           4
        .value_kind:     by_value
      - .offset:         8
        .size:           8
        .value_kind:     by_value
      - .offset:         16
        .size:           8
        .value_kind:     by_value
      - .address_space:  global
        .offset:         24
        .size:           8
        .value_kind:     global_buffer
      - .offset:         32
        .size:           8
        .value_kind:     by_value
      - .offset:         40
        .size:           8
        .value_kind:     by_value
      - .address_space:  global
        .offset:         48
        .size:           8
        .value_kind:     global_buffer
      - .offset:         56
        .size:           8
        .value_kind:     by_value
      - .offset:         64
        .size:           8
        .value_kind:     by_value
      - .offset:         72
        .size:           8
        .value_kind:     by_value
      - .address_space:  global
        .offset:         80
        .size:           8
        .value_kind:     global_buffer
      - .offset:         88
        .size:           8
        .value_kind:     by_value
      - .offset:         96
        .size:           8
        .value_kind:     by_value
      - .offset:         104
        .size:           4
        .value_kind:     by_value
    .group_segment_fixed_size: 4096
    .kernarg_segment_align: 8
    .kernarg_segment_size: 108
    .language:       OpenCL C
    .language_version:
      - 2
      - 0
    .max_flat_workgroup_size: 256
    .name:           _ZL41rocblas_syrkx_herkx_small_restrict_kernelIl19rocblas_complex_numIfELi16ELb1ELb1ELc78ELc85EKS1_S1_EviT_T0_PT6_S3_lS6_S3_lS4_PT7_S3_li
    .private_segment_fixed_size: 0
    .sgpr_count:     34
    .sgpr_spill_count: 0
    .symbol:         _ZL41rocblas_syrkx_herkx_small_restrict_kernelIl19rocblas_complex_numIfELi16ELb1ELb1ELc78ELc85EKS1_S1_EviT_T0_PT6_S3_lS6_S3_lS4_PT7_S3_li.kd
    .uniform_work_group_size: 1
    .uses_dynamic_stack: false
    .vgpr_count:     87
    .vgpr_spill_count: 0
    .wavefront_size: 32
    .workgroup_processor_mode: 1
  - .args:
      - .offset:         0
        .size:           4
        .value_kind:     by_value
      - .offset:         8
        .size:           8
        .value_kind:     by_value
      - .offset:         16
        .size:           8
        .value_kind:     by_value
      - .address_space:  global
        .offset:         24
        .size:           8
        .value_kind:     global_buffer
      - .offset:         32
        .size:           8
        .value_kind:     by_value
      - .offset:         40
        .size:           8
        .value_kind:     by_value
      - .address_space:  global
        .offset:         48
        .size:           8
        .value_kind:     global_buffer
      - .offset:         56
        .size:           8
        .value_kind:     by_value
      - .offset:         64
        .size:           8
        .value_kind:     by_value
      - .offset:         72
        .size:           8
        .value_kind:     by_value
      - .address_space:  global
        .offset:         80
        .size:           8
        .value_kind:     global_buffer
      - .offset:         88
        .size:           8
        .value_kind:     by_value
      - .offset:         96
        .size:           8
        .value_kind:     by_value
      - .offset:         104
        .size:           4
        .value_kind:     by_value
    .group_segment_fixed_size: 4096
    .kernarg_segment_align: 8
    .kernarg_segment_size: 108
    .language:       OpenCL C
    .language_version:
      - 2
      - 0
    .max_flat_workgroup_size: 256
    .name:           _ZL41rocblas_syrkx_herkx_small_restrict_kernelIl19rocblas_complex_numIfELi16ELb0ELb1ELc84ELc76EKS1_S1_EviT_T0_PT6_S3_lS6_S3_lS4_PT7_S3_li
    .private_segment_fixed_size: 0
    .sgpr_count:     34
    .sgpr_spill_count: 0
    .symbol:         _ZL41rocblas_syrkx_herkx_small_restrict_kernelIl19rocblas_complex_numIfELi16ELb0ELb1ELc84ELc76EKS1_S1_EviT_T0_PT6_S3_lS6_S3_lS4_PT7_S3_li.kd
    .uniform_work_group_size: 1
    .uses_dynamic_stack: false
    .vgpr_count:     87
    .vgpr_spill_count: 0
    .wavefront_size: 32
    .workgroup_processor_mode: 1
  - .args:
      - .offset:         0
        .size:           4
        .value_kind:     by_value
      - .offset:         8
        .size:           8
        .value_kind:     by_value
      - .offset:         16
        .size:           8
        .value_kind:     by_value
      - .address_space:  global
        .offset:         24
        .size:           8
        .value_kind:     global_buffer
      - .offset:         32
        .size:           8
        .value_kind:     by_value
      - .offset:         40
        .size:           8
        .value_kind:     by_value
      - .address_space:  global
        .offset:         48
        .size:           8
        .value_kind:     global_buffer
      - .offset:         56
        .size:           8
        .value_kind:     by_value
      - .offset:         64
        .size:           8
        .value_kind:     by_value
      - .offset:         72
        .size:           8
        .value_kind:     by_value
      - .address_space:  global
        .offset:         80
        .size:           8
        .value_kind:     global_buffer
      - .offset:         88
        .size:           8
        .value_kind:     by_value
      - .offset:         96
        .size:           8
        .value_kind:     by_value
      - .offset:         104
        .size:           4
        .value_kind:     by_value
    .group_segment_fixed_size: 4096
    .kernarg_segment_align: 8
    .kernarg_segment_size: 108
    .language:       OpenCL C
    .language_version:
      - 2
      - 0
    .max_flat_workgroup_size: 256
    .name:           _ZL41rocblas_syrkx_herkx_small_restrict_kernelIl19rocblas_complex_numIfELi16ELb0ELb1ELc67ELc76EKS1_S1_EviT_T0_PT6_S3_lS6_S3_lS4_PT7_S3_li
    .private_segment_fixed_size: 0
    .sgpr_count:     34
    .sgpr_spill_count: 0
    .symbol:         _ZL41rocblas_syrkx_herkx_small_restrict_kernelIl19rocblas_complex_numIfELi16ELb0ELb1ELc67ELc76EKS1_S1_EviT_T0_PT6_S3_lS6_S3_lS4_PT7_S3_li.kd
    .uniform_work_group_size: 1
    .uses_dynamic_stack: false
    .vgpr_count:     87
    .vgpr_spill_count: 0
    .wavefront_size: 32
    .workgroup_processor_mode: 1
  - .args:
      - .offset:         0
        .size:           4
        .value_kind:     by_value
      - .offset:         8
        .size:           8
        .value_kind:     by_value
      - .offset:         16
        .size:           8
        .value_kind:     by_value
      - .address_space:  global
        .offset:         24
        .size:           8
        .value_kind:     global_buffer
      - .offset:         32
        .size:           8
        .value_kind:     by_value
      - .offset:         40
        .size:           8
        .value_kind:     by_value
      - .address_space:  global
        .offset:         48
        .size:           8
        .value_kind:     global_buffer
      - .offset:         56
        .size:           8
        .value_kind:     by_value
      - .offset:         64
        .size:           8
        .value_kind:     by_value
      - .offset:         72
        .size:           8
        .value_kind:     by_value
      - .address_space:  global
        .offset:         80
        .size:           8
        .value_kind:     global_buffer
      - .offset:         88
        .size:           8
        .value_kind:     by_value
      - .offset:         96
        .size:           8
        .value_kind:     by_value
      - .offset:         104
        .size:           4
        .value_kind:     by_value
    .group_segment_fixed_size: 4096
    .kernarg_segment_align: 8
    .kernarg_segment_size: 108
    .language:       OpenCL C
    .language_version:
      - 2
      - 0
    .max_flat_workgroup_size: 256
    .name:           _ZL41rocblas_syrkx_herkx_small_restrict_kernelIl19rocblas_complex_numIfELi16ELb0ELb1ELc78ELc76EKS1_S1_EviT_T0_PT6_S3_lS6_S3_lS4_PT7_S3_li
    .private_segment_fixed_size: 0
    .sgpr_count:     34
    .sgpr_spill_count: 0
    .symbol:         _ZL41rocblas_syrkx_herkx_small_restrict_kernelIl19rocblas_complex_numIfELi16ELb0ELb1ELc78ELc76EKS1_S1_EviT_T0_PT6_S3_lS6_S3_lS4_PT7_S3_li.kd
    .uniform_work_group_size: 1
    .uses_dynamic_stack: false
    .vgpr_count:     87
    .vgpr_spill_count: 0
    .wavefront_size: 32
    .workgroup_processor_mode: 1
  - .args:
      - .offset:         0
        .size:           4
        .value_kind:     by_value
      - .offset:         8
        .size:           8
        .value_kind:     by_value
      - .offset:         16
        .size:           8
        .value_kind:     by_value
      - .address_space:  global
        .offset:         24
        .size:           8
        .value_kind:     global_buffer
      - .offset:         32
        .size:           8
        .value_kind:     by_value
      - .offset:         40
        .size:           8
        .value_kind:     by_value
      - .address_space:  global
        .offset:         48
        .size:           8
        .value_kind:     global_buffer
      - .offset:         56
        .size:           8
        .value_kind:     by_value
      - .offset:         64
        .size:           8
        .value_kind:     by_value
      - .offset:         72
        .size:           8
        .value_kind:     by_value
      - .address_space:  global
        .offset:         80
        .size:           8
        .value_kind:     global_buffer
      - .offset:         88
        .size:           8
        .value_kind:     by_value
      - .offset:         96
        .size:           8
        .value_kind:     by_value
      - .offset:         104
        .size:           4
        .value_kind:     by_value
    .group_segment_fixed_size: 4096
    .kernarg_segment_align: 8
    .kernarg_segment_size: 108
    .language:       OpenCL C
    .language_version:
      - 2
      - 0
    .max_flat_workgroup_size: 256
    .name:           _ZL41rocblas_syrkx_herkx_small_restrict_kernelIl19rocblas_complex_numIfELi16ELb0ELb1ELc84ELc85EKS1_S1_EviT_T0_PT6_S3_lS6_S3_lS4_PT7_S3_li
    .private_segment_fixed_size: 0
    .sgpr_count:     34
    .sgpr_spill_count: 0
    .symbol:         _ZL41rocblas_syrkx_herkx_small_restrict_kernelIl19rocblas_complex_numIfELi16ELb0ELb1ELc84ELc85EKS1_S1_EviT_T0_PT6_S3_lS6_S3_lS4_PT7_S3_li.kd
    .uniform_work_group_size: 1
    .uses_dynamic_stack: false
    .vgpr_count:     87
    .vgpr_spill_count: 0
    .wavefront_size: 32
    .workgroup_processor_mode: 1
  - .args:
      - .offset:         0
        .size:           4
        .value_kind:     by_value
      - .offset:         8
        .size:           8
        .value_kind:     by_value
      - .offset:         16
        .size:           8
        .value_kind:     by_value
      - .address_space:  global
        .offset:         24
        .size:           8
        .value_kind:     global_buffer
      - .offset:         32
        .size:           8
        .value_kind:     by_value
      - .offset:         40
        .size:           8
        .value_kind:     by_value
      - .address_space:  global
        .offset:         48
        .size:           8
        .value_kind:     global_buffer
      - .offset:         56
        .size:           8
        .value_kind:     by_value
      - .offset:         64
        .size:           8
        .value_kind:     by_value
      - .offset:         72
        .size:           8
        .value_kind:     by_value
      - .address_space:  global
        .offset:         80
        .size:           8
        .value_kind:     global_buffer
      - .offset:         88
        .size:           8
        .value_kind:     by_value
      - .offset:         96
        .size:           8
        .value_kind:     by_value
      - .offset:         104
        .size:           4
        .value_kind:     by_value
    .group_segment_fixed_size: 4096
    .kernarg_segment_align: 8
    .kernarg_segment_size: 108
    .language:       OpenCL C
    .language_version:
      - 2
      - 0
    .max_flat_workgroup_size: 256
    .name:           _ZL41rocblas_syrkx_herkx_small_restrict_kernelIl19rocblas_complex_numIfELi16ELb0ELb1ELc67ELc85EKS1_S1_EviT_T0_PT6_S3_lS6_S3_lS4_PT7_S3_li
    .private_segment_fixed_size: 0
    .sgpr_count:     34
    .sgpr_spill_count: 0
    .symbol:         _ZL41rocblas_syrkx_herkx_small_restrict_kernelIl19rocblas_complex_numIfELi16ELb0ELb1ELc67ELc85EKS1_S1_EviT_T0_PT6_S3_lS6_S3_lS4_PT7_S3_li.kd
    .uniform_work_group_size: 1
    .uses_dynamic_stack: false
    .vgpr_count:     87
    .vgpr_spill_count: 0
    .wavefront_size: 32
    .workgroup_processor_mode: 1
  - .args:
      - .offset:         0
        .size:           4
        .value_kind:     by_value
      - .offset:         8
        .size:           8
        .value_kind:     by_value
      - .offset:         16
        .size:           8
        .value_kind:     by_value
      - .address_space:  global
        .offset:         24
        .size:           8
        .value_kind:     global_buffer
      - .offset:         32
        .size:           8
        .value_kind:     by_value
      - .offset:         40
        .size:           8
        .value_kind:     by_value
      - .address_space:  global
        .offset:         48
        .size:           8
        .value_kind:     global_buffer
      - .offset:         56
        .size:           8
        .value_kind:     by_value
      - .offset:         64
        .size:           8
        .value_kind:     by_value
      - .offset:         72
        .size:           8
        .value_kind:     by_value
      - .address_space:  global
        .offset:         80
        .size:           8
        .value_kind:     global_buffer
      - .offset:         88
        .size:           8
        .value_kind:     by_value
      - .offset:         96
        .size:           8
        .value_kind:     by_value
      - .offset:         104
        .size:           4
        .value_kind:     by_value
    .group_segment_fixed_size: 4096
    .kernarg_segment_align: 8
    .kernarg_segment_size: 108
    .language:       OpenCL C
    .language_version:
      - 2
      - 0
    .max_flat_workgroup_size: 256
    .name:           _ZL41rocblas_syrkx_herkx_small_restrict_kernelIl19rocblas_complex_numIfELi16ELb0ELb1ELc78ELc85EKS1_S1_EviT_T0_PT6_S3_lS6_S3_lS4_PT7_S3_li
    .private_segment_fixed_size: 0
    .sgpr_count:     34
    .sgpr_spill_count: 0
    .symbol:         _ZL41rocblas_syrkx_herkx_small_restrict_kernelIl19rocblas_complex_numIfELi16ELb0ELb1ELc78ELc85EKS1_S1_EviT_T0_PT6_S3_lS6_S3_lS4_PT7_S3_li.kd
    .uniform_work_group_size: 1
    .uses_dynamic_stack: false
    .vgpr_count:     87
    .vgpr_spill_count: 0
    .wavefront_size: 32
    .workgroup_processor_mode: 1
  - .args:
      - .offset:         0
        .size:           4
        .value_kind:     by_value
      - .offset:         8
        .size:           8
        .value_kind:     by_value
      - .offset:         16
        .size:           8
        .value_kind:     by_value
      - .address_space:  global
        .offset:         24
        .size:           8
        .value_kind:     global_buffer
      - .offset:         32
        .size:           8
        .value_kind:     by_value
      - .offset:         40
        .size:           8
        .value_kind:     by_value
      - .address_space:  global
        .offset:         48
        .size:           8
        .value_kind:     global_buffer
      - .offset:         56
        .size:           8
        .value_kind:     by_value
      - .offset:         64
        .size:           8
        .value_kind:     by_value
      - .offset:         72
        .size:           8
        .value_kind:     by_value
      - .address_space:  global
        .offset:         80
        .size:           8
        .value_kind:     global_buffer
      - .offset:         88
        .size:           8
        .value_kind:     by_value
      - .offset:         96
        .size:           8
        .value_kind:     by_value
      - .offset:         104
        .size:           4
        .value_kind:     by_value
    .group_segment_fixed_size: 4096
    .kernarg_segment_align: 8
    .kernarg_segment_size: 108
    .language:       OpenCL C
    .language_version:
      - 2
      - 0
    .max_flat_workgroup_size: 256
    .name:           _ZL32rocblas_syrkx_herkx_small_kernelIl19rocblas_complex_numIfELi16ELb1ELb1ELc84ELc76EKS1_S1_EviT_T0_PT6_S3_lS6_S3_lS4_PT7_S3_li
    .private_segment_fixed_size: 0
    .sgpr_count:     34
    .sgpr_spill_count: 0
    .symbol:         _ZL32rocblas_syrkx_herkx_small_kernelIl19rocblas_complex_numIfELi16ELb1ELb1ELc84ELc76EKS1_S1_EviT_T0_PT6_S3_lS6_S3_lS4_PT7_S3_li.kd
    .uniform_work_group_size: 1
    .uses_dynamic_stack: false
    .vgpr_count:     70
    .vgpr_spill_count: 0
    .wavefront_size: 32
    .workgroup_processor_mode: 1
  - .args:
      - .offset:         0
        .size:           4
        .value_kind:     by_value
      - .offset:         8
        .size:           8
        .value_kind:     by_value
      - .offset:         16
        .size:           8
        .value_kind:     by_value
      - .address_space:  global
        .offset:         24
        .size:           8
        .value_kind:     global_buffer
      - .offset:         32
        .size:           8
        .value_kind:     by_value
      - .offset:         40
        .size:           8
        .value_kind:     by_value
      - .address_space:  global
        .offset:         48
        .size:           8
        .value_kind:     global_buffer
      - .offset:         56
        .size:           8
        .value_kind:     by_value
      - .offset:         64
        .size:           8
        .value_kind:     by_value
      - .offset:         72
        .size:           8
        .value_kind:     by_value
      - .address_space:  global
        .offset:         80
        .size:           8
        .value_kind:     global_buffer
      - .offset:         88
        .size:           8
        .value_kind:     by_value
      - .offset:         96
        .size:           8
        .value_kind:     by_value
      - .offset:         104
        .size:           4
        .value_kind:     by_value
    .group_segment_fixed_size: 4096
    .kernarg_segment_align: 8
    .kernarg_segment_size: 108
    .language:       OpenCL C
    .language_version:
      - 2
      - 0
    .max_flat_workgroup_size: 256
    .name:           _ZL32rocblas_syrkx_herkx_small_kernelIl19rocblas_complex_numIfELi16ELb1ELb1ELc67ELc76EKS1_S1_EviT_T0_PT6_S3_lS6_S3_lS4_PT7_S3_li
    .private_segment_fixed_size: 0
    .sgpr_count:     34
    .sgpr_spill_count: 0
    .symbol:         _ZL32rocblas_syrkx_herkx_small_kernelIl19rocblas_complex_numIfELi16ELb1ELb1ELc67ELc76EKS1_S1_EviT_T0_PT6_S3_lS6_S3_lS4_PT7_S3_li.kd
    .uniform_work_group_size: 1
    .uses_dynamic_stack: false
    .vgpr_count:     70
    .vgpr_spill_count: 0
    .wavefront_size: 32
    .workgroup_processor_mode: 1
  - .args:
      - .offset:         0
        .size:           4
        .value_kind:     by_value
      - .offset:         8
        .size:           8
        .value_kind:     by_value
      - .offset:         16
        .size:           8
        .value_kind:     by_value
      - .address_space:  global
        .offset:         24
        .size:           8
        .value_kind:     global_buffer
      - .offset:         32
        .size:           8
        .value_kind:     by_value
      - .offset:         40
        .size:           8
        .value_kind:     by_value
      - .address_space:  global
        .offset:         48
        .size:           8
        .value_kind:     global_buffer
      - .offset:         56
        .size:           8
        .value_kind:     by_value
      - .offset:         64
        .size:           8
        .value_kind:     by_value
      - .offset:         72
        .size:           8
        .value_kind:     by_value
      - .address_space:  global
        .offset:         80
        .size:           8
        .value_kind:     global_buffer
      - .offset:         88
        .size:           8
        .value_kind:     by_value
      - .offset:         96
        .size:           8
        .value_kind:     by_value
      - .offset:         104
        .size:           4
        .value_kind:     by_value
    .group_segment_fixed_size: 4096
    .kernarg_segment_align: 8
    .kernarg_segment_size: 108
    .language:       OpenCL C
    .language_version:
      - 2
      - 0
    .max_flat_workgroup_size: 256
    .name:           _ZL32rocblas_syrkx_herkx_small_kernelIl19rocblas_complex_numIfELi16ELb1ELb1ELc78ELc76EKS1_S1_EviT_T0_PT6_S3_lS6_S3_lS4_PT7_S3_li
    .private_segment_fixed_size: 0
    .sgpr_count:     34
    .sgpr_spill_count: 0
    .symbol:         _ZL32rocblas_syrkx_herkx_small_kernelIl19rocblas_complex_numIfELi16ELb1ELb1ELc78ELc76EKS1_S1_EviT_T0_PT6_S3_lS6_S3_lS4_PT7_S3_li.kd
    .uniform_work_group_size: 1
    .uses_dynamic_stack: false
    .vgpr_count:     70
    .vgpr_spill_count: 0
    .wavefront_size: 32
    .workgroup_processor_mode: 1
  - .args:
      - .offset:         0
        .size:           4
        .value_kind:     by_value
      - .offset:         8
        .size:           8
        .value_kind:     by_value
      - .offset:         16
        .size:           8
        .value_kind:     by_value
      - .address_space:  global
        .offset:         24
        .size:           8
        .value_kind:     global_buffer
      - .offset:         32
        .size:           8
        .value_kind:     by_value
      - .offset:         40
        .size:           8
        .value_kind:     by_value
      - .address_space:  global
        .offset:         48
        .size:           8
        .value_kind:     global_buffer
      - .offset:         56
        .size:           8
        .value_kind:     by_value
      - .offset:         64
        .size:           8
        .value_kind:     by_value
      - .offset:         72
        .size:           8
        .value_kind:     by_value
      - .address_space:  global
        .offset:         80
        .size:           8
        .value_kind:     global_buffer
      - .offset:         88
        .size:           8
        .value_kind:     by_value
      - .offset:         96
        .size:           8
        .value_kind:     by_value
      - .offset:         104
        .size:           4
        .value_kind:     by_value
    .group_segment_fixed_size: 4096
    .kernarg_segment_align: 8
    .kernarg_segment_size: 108
    .language:       OpenCL C
    .language_version:
      - 2
      - 0
    .max_flat_workgroup_size: 256
    .name:           _ZL32rocblas_syrkx_herkx_small_kernelIl19rocblas_complex_numIfELi16ELb1ELb1ELc84ELc85EKS1_S1_EviT_T0_PT6_S3_lS6_S3_lS4_PT7_S3_li
    .private_segment_fixed_size: 0
    .sgpr_count:     34
    .sgpr_spill_count: 0
    .symbol:         _ZL32rocblas_syrkx_herkx_small_kernelIl19rocblas_complex_numIfELi16ELb1ELb1ELc84ELc85EKS1_S1_EviT_T0_PT6_S3_lS6_S3_lS4_PT7_S3_li.kd
    .uniform_work_group_size: 1
    .uses_dynamic_stack: false
    .vgpr_count:     70
    .vgpr_spill_count: 0
    .wavefront_size: 32
    .workgroup_processor_mode: 1
  - .args:
      - .offset:         0
        .size:           4
        .value_kind:     by_value
      - .offset:         8
        .size:           8
        .value_kind:     by_value
      - .offset:         16
        .size:           8
        .value_kind:     by_value
      - .address_space:  global
        .offset:         24
        .size:           8
        .value_kind:     global_buffer
      - .offset:         32
        .size:           8
        .value_kind:     by_value
      - .offset:         40
        .size:           8
        .value_kind:     by_value
      - .address_space:  global
        .offset:         48
        .size:           8
        .value_kind:     global_buffer
      - .offset:         56
        .size:           8
        .value_kind:     by_value
      - .offset:         64
        .size:           8
        .value_kind:     by_value
      - .offset:         72
        .size:           8
        .value_kind:     by_value
      - .address_space:  global
        .offset:         80
        .size:           8
        .value_kind:     global_buffer
      - .offset:         88
        .size:           8
        .value_kind:     by_value
      - .offset:         96
        .size:           8
        .value_kind:     by_value
      - .offset:         104
        .size:           4
        .value_kind:     by_value
    .group_segment_fixed_size: 4096
    .kernarg_segment_align: 8
    .kernarg_segment_size: 108
    .language:       OpenCL C
    .language_version:
      - 2
      - 0
    .max_flat_workgroup_size: 256
    .name:           _ZL32rocblas_syrkx_herkx_small_kernelIl19rocblas_complex_numIfELi16ELb1ELb1ELc67ELc85EKS1_S1_EviT_T0_PT6_S3_lS6_S3_lS4_PT7_S3_li
    .private_segment_fixed_size: 0
    .sgpr_count:     34
    .sgpr_spill_count: 0
    .symbol:         _ZL32rocblas_syrkx_herkx_small_kernelIl19rocblas_complex_numIfELi16ELb1ELb1ELc67ELc85EKS1_S1_EviT_T0_PT6_S3_lS6_S3_lS4_PT7_S3_li.kd
    .uniform_work_group_size: 1
    .uses_dynamic_stack: false
    .vgpr_count:     70
    .vgpr_spill_count: 0
    .wavefront_size: 32
    .workgroup_processor_mode: 1
  - .args:
      - .offset:         0
        .size:           4
        .value_kind:     by_value
      - .offset:         8
        .size:           8
        .value_kind:     by_value
      - .offset:         16
        .size:           8
        .value_kind:     by_value
      - .address_space:  global
        .offset:         24
        .size:           8
        .value_kind:     global_buffer
      - .offset:         32
        .size:           8
        .value_kind:     by_value
      - .offset:         40
        .size:           8
        .value_kind:     by_value
      - .address_space:  global
        .offset:         48
        .size:           8
        .value_kind:     global_buffer
      - .offset:         56
        .size:           8
        .value_kind:     by_value
      - .offset:         64
        .size:           8
        .value_kind:     by_value
      - .offset:         72
        .size:           8
        .value_kind:     by_value
      - .address_space:  global
        .offset:         80
        .size:           8
        .value_kind:     global_buffer
      - .offset:         88
        .size:           8
        .value_kind:     by_value
      - .offset:         96
        .size:           8
        .value_kind:     by_value
      - .offset:         104
        .size:           4
        .value_kind:     by_value
    .group_segment_fixed_size: 4096
    .kernarg_segment_align: 8
    .kernarg_segment_size: 108
    .language:       OpenCL C
    .language_version:
      - 2
      - 0
    .max_flat_workgroup_size: 256
    .name:           _ZL32rocblas_syrkx_herkx_small_kernelIl19rocblas_complex_numIfELi16ELb1ELb1ELc78ELc85EKS1_S1_EviT_T0_PT6_S3_lS6_S3_lS4_PT7_S3_li
    .private_segment_fixed_size: 0
    .sgpr_count:     34
    .sgpr_spill_count: 0
    .symbol:         _ZL32rocblas_syrkx_herkx_small_kernelIl19rocblas_complex_numIfELi16ELb1ELb1ELc78ELc85EKS1_S1_EviT_T0_PT6_S3_lS6_S3_lS4_PT7_S3_li.kd
    .uniform_work_group_size: 1
    .uses_dynamic_stack: false
    .vgpr_count:     70
    .vgpr_spill_count: 0
    .wavefront_size: 32
    .workgroup_processor_mode: 1
  - .args:
      - .offset:         0
        .size:           4
        .value_kind:     by_value
      - .offset:         8
        .size:           8
        .value_kind:     by_value
      - .offset:         16
        .size:           8
        .value_kind:     by_value
      - .address_space:  global
        .offset:         24
        .size:           8
        .value_kind:     global_buffer
      - .offset:         32
        .size:           8
        .value_kind:     by_value
      - .offset:         40
        .size:           8
        .value_kind:     by_value
      - .address_space:  global
        .offset:         48
        .size:           8
        .value_kind:     global_buffer
      - .offset:         56
        .size:           8
        .value_kind:     by_value
      - .offset:         64
        .size:           8
        .value_kind:     by_value
      - .offset:         72
        .size:           8
        .value_kind:     by_value
      - .address_space:  global
        .offset:         80
        .size:           8
        .value_kind:     global_buffer
      - .offset:         88
        .size:           8
        .value_kind:     by_value
      - .offset:         96
        .size:           8
        .value_kind:     by_value
      - .offset:         104
        .size:           4
        .value_kind:     by_value
    .group_segment_fixed_size: 4096
    .kernarg_segment_align: 8
    .kernarg_segment_size: 108
    .language:       OpenCL C
    .language_version:
      - 2
      - 0
    .max_flat_workgroup_size: 256
    .name:           _ZL32rocblas_syrkx_herkx_small_kernelIl19rocblas_complex_numIfELi16ELb0ELb1ELc84ELc76EKS1_S1_EviT_T0_PT6_S3_lS6_S3_lS4_PT7_S3_li
    .private_segment_fixed_size: 0
    .sgpr_count:     34
    .sgpr_spill_count: 0
    .symbol:         _ZL32rocblas_syrkx_herkx_small_kernelIl19rocblas_complex_numIfELi16ELb0ELb1ELc84ELc76EKS1_S1_EviT_T0_PT6_S3_lS6_S3_lS4_PT7_S3_li.kd
    .uniform_work_group_size: 1
    .uses_dynamic_stack: false
    .vgpr_count:     70
    .vgpr_spill_count: 0
    .wavefront_size: 32
    .workgroup_processor_mode: 1
  - .args:
      - .offset:         0
        .size:           4
        .value_kind:     by_value
      - .offset:         8
        .size:           8
        .value_kind:     by_value
      - .offset:         16
        .size:           8
        .value_kind:     by_value
      - .address_space:  global
        .offset:         24
        .size:           8
        .value_kind:     global_buffer
      - .offset:         32
        .size:           8
        .value_kind:     by_value
      - .offset:         40
        .size:           8
        .value_kind:     by_value
      - .address_space:  global
        .offset:         48
        .size:           8
        .value_kind:     global_buffer
      - .offset:         56
        .size:           8
        .value_kind:     by_value
      - .offset:         64
        .size:           8
        .value_kind:     by_value
      - .offset:         72
        .size:           8
        .value_kind:     by_value
      - .address_space:  global
        .offset:         80
        .size:           8
        .value_kind:     global_buffer
      - .offset:         88
        .size:           8
        .value_kind:     by_value
      - .offset:         96
        .size:           8
        .value_kind:     by_value
      - .offset:         104
        .size:           4
        .value_kind:     by_value
    .group_segment_fixed_size: 4096
    .kernarg_segment_align: 8
    .kernarg_segment_size: 108
    .language:       OpenCL C
    .language_version:
      - 2
      - 0
    .max_flat_workgroup_size: 256
    .name:           _ZL32rocblas_syrkx_herkx_small_kernelIl19rocblas_complex_numIfELi16ELb0ELb1ELc67ELc76EKS1_S1_EviT_T0_PT6_S3_lS6_S3_lS4_PT7_S3_li
    .private_segment_fixed_size: 0
    .sgpr_count:     34
    .sgpr_spill_count: 0
    .symbol:         _ZL32rocblas_syrkx_herkx_small_kernelIl19rocblas_complex_numIfELi16ELb0ELb1ELc67ELc76EKS1_S1_EviT_T0_PT6_S3_lS6_S3_lS4_PT7_S3_li.kd
    .uniform_work_group_size: 1
    .uses_dynamic_stack: false
    .vgpr_count:     70
    .vgpr_spill_count: 0
    .wavefront_size: 32
    .workgroup_processor_mode: 1
  - .args:
      - .offset:         0
        .size:           4
        .value_kind:     by_value
      - .offset:         8
        .size:           8
        .value_kind:     by_value
      - .offset:         16
        .size:           8
        .value_kind:     by_value
      - .address_space:  global
        .offset:         24
        .size:           8
        .value_kind:     global_buffer
      - .offset:         32
        .size:           8
        .value_kind:     by_value
      - .offset:         40
        .size:           8
        .value_kind:     by_value
      - .address_space:  global
        .offset:         48
        .size:           8
        .value_kind:     global_buffer
      - .offset:         56
        .size:           8
        .value_kind:     by_value
      - .offset:         64
        .size:           8
        .value_kind:     by_value
      - .offset:         72
        .size:           8
        .value_kind:     by_value
      - .address_space:  global
        .offset:         80
        .size:           8
        .value_kind:     global_buffer
      - .offset:         88
        .size:           8
        .value_kind:     by_value
      - .offset:         96
        .size:           8
        .value_kind:     by_value
      - .offset:         104
        .size:           4
        .value_kind:     by_value
    .group_segment_fixed_size: 4096
    .kernarg_segment_align: 8
    .kernarg_segment_size: 108
    .language:       OpenCL C
    .language_version:
      - 2
      - 0
    .max_flat_workgroup_size: 256
    .name:           _ZL32rocblas_syrkx_herkx_small_kernelIl19rocblas_complex_numIfELi16ELb0ELb1ELc78ELc76EKS1_S1_EviT_T0_PT6_S3_lS6_S3_lS4_PT7_S3_li
    .private_segment_fixed_size: 0
    .sgpr_count:     34
    .sgpr_spill_count: 0
    .symbol:         _ZL32rocblas_syrkx_herkx_small_kernelIl19rocblas_complex_numIfELi16ELb0ELb1ELc78ELc76EKS1_S1_EviT_T0_PT6_S3_lS6_S3_lS4_PT7_S3_li.kd
    .uniform_work_group_size: 1
    .uses_dynamic_stack: false
    .vgpr_count:     70
    .vgpr_spill_count: 0
    .wavefront_size: 32
    .workgroup_processor_mode: 1
  - .args:
      - .offset:         0
        .size:           4
        .value_kind:     by_value
      - .offset:         8
        .size:           8
        .value_kind:     by_value
      - .offset:         16
        .size:           8
        .value_kind:     by_value
      - .address_space:  global
        .offset:         24
        .size:           8
        .value_kind:     global_buffer
      - .offset:         32
        .size:           8
        .value_kind:     by_value
      - .offset:         40
        .size:           8
        .value_kind:     by_value
      - .address_space:  global
        .offset:         48
        .size:           8
        .value_kind:     global_buffer
      - .offset:         56
        .size:           8
        .value_kind:     by_value
      - .offset:         64
        .size:           8
        .value_kind:     by_value
      - .offset:         72
        .size:           8
        .value_kind:     by_value
      - .address_space:  global
        .offset:         80
        .size:           8
        .value_kind:     global_buffer
      - .offset:         88
        .size:           8
        .value_kind:     by_value
      - .offset:         96
        .size:           8
        .value_kind:     by_value
      - .offset:         104
        .size:           4
        .value_kind:     by_value
    .group_segment_fixed_size: 4096
    .kernarg_segment_align: 8
    .kernarg_segment_size: 108
    .language:       OpenCL C
    .language_version:
      - 2
      - 0
    .max_flat_workgroup_size: 256
    .name:           _ZL32rocblas_syrkx_herkx_small_kernelIl19rocblas_complex_numIfELi16ELb0ELb1ELc84ELc85EKS1_S1_EviT_T0_PT6_S3_lS6_S3_lS4_PT7_S3_li
    .private_segment_fixed_size: 0
    .sgpr_count:     34
    .sgpr_spill_count: 0
    .symbol:         _ZL32rocblas_syrkx_herkx_small_kernelIl19rocblas_complex_numIfELi16ELb0ELb1ELc84ELc85EKS1_S1_EviT_T0_PT6_S3_lS6_S3_lS4_PT7_S3_li.kd
    .uniform_work_group_size: 1
    .uses_dynamic_stack: false
    .vgpr_count:     70
    .vgpr_spill_count: 0
    .wavefront_size: 32
    .workgroup_processor_mode: 1
  - .args:
      - .offset:         0
        .size:           4
        .value_kind:     by_value
      - .offset:         8
        .size:           8
        .value_kind:     by_value
      - .offset:         16
        .size:           8
        .value_kind:     by_value
      - .address_space:  global
        .offset:         24
        .size:           8
        .value_kind:     global_buffer
      - .offset:         32
        .size:           8
        .value_kind:     by_value
      - .offset:         40
        .size:           8
        .value_kind:     by_value
      - .address_space:  global
        .offset:         48
        .size:           8
        .value_kind:     global_buffer
      - .offset:         56
        .size:           8
        .value_kind:     by_value
      - .offset:         64
        .size:           8
        .value_kind:     by_value
      - .offset:         72
        .size:           8
        .value_kind:     by_value
      - .address_space:  global
        .offset:         80
        .size:           8
        .value_kind:     global_buffer
      - .offset:         88
        .size:           8
        .value_kind:     by_value
      - .offset:         96
        .size:           8
        .value_kind:     by_value
      - .offset:         104
        .size:           4
        .value_kind:     by_value
    .group_segment_fixed_size: 4096
    .kernarg_segment_align: 8
    .kernarg_segment_size: 108
    .language:       OpenCL C
    .language_version:
      - 2
      - 0
    .max_flat_workgroup_size: 256
    .name:           _ZL32rocblas_syrkx_herkx_small_kernelIl19rocblas_complex_numIfELi16ELb0ELb1ELc67ELc85EKS1_S1_EviT_T0_PT6_S3_lS6_S3_lS4_PT7_S3_li
    .private_segment_fixed_size: 0
    .sgpr_count:     34
    .sgpr_spill_count: 0
    .symbol:         _ZL32rocblas_syrkx_herkx_small_kernelIl19rocblas_complex_numIfELi16ELb0ELb1ELc67ELc85EKS1_S1_EviT_T0_PT6_S3_lS6_S3_lS4_PT7_S3_li.kd
    .uniform_work_group_size: 1
    .uses_dynamic_stack: false
    .vgpr_count:     70
    .vgpr_spill_count: 0
    .wavefront_size: 32
    .workgroup_processor_mode: 1
  - .args:
      - .offset:         0
        .size:           4
        .value_kind:     by_value
      - .offset:         8
        .size:           8
        .value_kind:     by_value
      - .offset:         16
        .size:           8
        .value_kind:     by_value
      - .address_space:  global
        .offset:         24
        .size:           8
        .value_kind:     global_buffer
      - .offset:         32
        .size:           8
        .value_kind:     by_value
      - .offset:         40
        .size:           8
        .value_kind:     by_value
      - .address_space:  global
        .offset:         48
        .size:           8
        .value_kind:     global_buffer
      - .offset:         56
        .size:           8
        .value_kind:     by_value
      - .offset:         64
        .size:           8
        .value_kind:     by_value
      - .offset:         72
        .size:           8
        .value_kind:     by_value
      - .address_space:  global
        .offset:         80
        .size:           8
        .value_kind:     global_buffer
      - .offset:         88
        .size:           8
        .value_kind:     by_value
      - .offset:         96
        .size:           8
        .value_kind:     by_value
      - .offset:         104
        .size:           4
        .value_kind:     by_value
    .group_segment_fixed_size: 4096
    .kernarg_segment_align: 8
    .kernarg_segment_size: 108
    .language:       OpenCL C
    .language_version:
      - 2
      - 0
    .max_flat_workgroup_size: 256
    .name:           _ZL32rocblas_syrkx_herkx_small_kernelIl19rocblas_complex_numIfELi16ELb0ELb1ELc78ELc85EKS1_S1_EviT_T0_PT6_S3_lS6_S3_lS4_PT7_S3_li
    .private_segment_fixed_size: 0
    .sgpr_count:     34
    .sgpr_spill_count: 0
    .symbol:         _ZL32rocblas_syrkx_herkx_small_kernelIl19rocblas_complex_numIfELi16ELb0ELb1ELc78ELc85EKS1_S1_EviT_T0_PT6_S3_lS6_S3_lS4_PT7_S3_li.kd
    .uniform_work_group_size: 1
    .uses_dynamic_stack: false
    .vgpr_count:     70
    .vgpr_spill_count: 0
    .wavefront_size: 32
    .workgroup_processor_mode: 1
  - .args:
      - .offset:         0
        .size:           4
        .value_kind:     by_value
      - .offset:         8
        .size:           8
        .value_kind:     by_value
      - .offset:         16
        .size:           8
        .value_kind:     by_value
      - .address_space:  global
        .offset:         24
        .size:           8
        .value_kind:     global_buffer
      - .offset:         32
        .size:           8
        .value_kind:     by_value
      - .offset:         40
        .size:           8
        .value_kind:     by_value
      - .address_space:  global
        .offset:         48
        .size:           8
        .value_kind:     global_buffer
      - .offset:         56
        .size:           8
        .value_kind:     by_value
      - .offset:         64
        .size:           8
        .value_kind:     by_value
      - .offset:         72
        .size:           8
        .value_kind:     by_value
      - .address_space:  global
        .offset:         80
        .size:           8
        .value_kind:     global_buffer
      - .offset:         88
        .size:           8
        .value_kind:     by_value
      - .offset:         96
        .size:           8
        .value_kind:     by_value
      - .offset:         104
        .size:           4
        .value_kind:     by_value
    .group_segment_fixed_size: 4096
    .kernarg_segment_align: 8
    .kernarg_segment_size: 108
    .language:       OpenCL C
    .language_version:
      - 2
      - 0
    .max_flat_workgroup_size: 256
    .name:           _ZL34rocblas_syrkx_herkx_general_kernelIl19rocblas_complex_numIfELi16ELi32ELi8ELb1ELb1ELc84ELc76EKS1_S1_EviT_T0_PT8_S3_lS6_S3_lS4_PT9_S3_li
    .private_segment_fixed_size: 0
    .sgpr_count:     34
    .sgpr_spill_count: 0
    .symbol:         _ZL34rocblas_syrkx_herkx_general_kernelIl19rocblas_complex_numIfELi16ELi32ELi8ELb1ELb1ELc84ELc76EKS1_S1_EviT_T0_PT8_S3_lS6_S3_lS4_PT9_S3_li.kd
    .uniform_work_group_size: 1
    .uses_dynamic_stack: false
    .vgpr_count:     59
    .vgpr_spill_count: 0
    .wavefront_size: 32
    .workgroup_processor_mode: 1
  - .args:
      - .offset:         0
        .size:           4
        .value_kind:     by_value
      - .offset:         8
        .size:           8
        .value_kind:     by_value
      - .offset:         16
        .size:           8
        .value_kind:     by_value
      - .address_space:  global
        .offset:         24
        .size:           8
        .value_kind:     global_buffer
      - .offset:         32
        .size:           8
        .value_kind:     by_value
      - .offset:         40
        .size:           8
        .value_kind:     by_value
      - .address_space:  global
        .offset:         48
        .size:           8
        .value_kind:     global_buffer
      - .offset:         56
        .size:           8
        .value_kind:     by_value
      - .offset:         64
        .size:           8
        .value_kind:     by_value
      - .offset:         72
        .size:           8
        .value_kind:     by_value
      - .address_space:  global
        .offset:         80
        .size:           8
        .value_kind:     global_buffer
      - .offset:         88
        .size:           8
        .value_kind:     by_value
      - .offset:         96
        .size:           8
        .value_kind:     by_value
      - .offset:         104
        .size:           4
        .value_kind:     by_value
    .group_segment_fixed_size: 4096
    .kernarg_segment_align: 8
    .kernarg_segment_size: 108
    .language:       OpenCL C
    .language_version:
      - 2
      - 0
    .max_flat_workgroup_size: 256
    .name:           _ZL34rocblas_syrkx_herkx_general_kernelIl19rocblas_complex_numIfELi16ELi32ELi8ELb1ELb1ELc67ELc76EKS1_S1_EviT_T0_PT8_S3_lS6_S3_lS4_PT9_S3_li
    .private_segment_fixed_size: 0
    .sgpr_count:     34
    .sgpr_spill_count: 0
    .symbol:         _ZL34rocblas_syrkx_herkx_general_kernelIl19rocblas_complex_numIfELi16ELi32ELi8ELb1ELb1ELc67ELc76EKS1_S1_EviT_T0_PT8_S3_lS6_S3_lS4_PT9_S3_li.kd
    .uniform_work_group_size: 1
    .uses_dynamic_stack: false
    .vgpr_count:     59
    .vgpr_spill_count: 0
    .wavefront_size: 32
    .workgroup_processor_mode: 1
  - .args:
      - .offset:         0
        .size:           4
        .value_kind:     by_value
      - .offset:         8
        .size:           8
        .value_kind:     by_value
      - .offset:         16
        .size:           8
        .value_kind:     by_value
      - .address_space:  global
        .offset:         24
        .size:           8
        .value_kind:     global_buffer
      - .offset:         32
        .size:           8
        .value_kind:     by_value
      - .offset:         40
        .size:           8
        .value_kind:     by_value
      - .address_space:  global
        .offset:         48
        .size:           8
        .value_kind:     global_buffer
      - .offset:         56
        .size:           8
        .value_kind:     by_value
      - .offset:         64
        .size:           8
        .value_kind:     by_value
      - .offset:         72
        .size:           8
        .value_kind:     by_value
      - .address_space:  global
        .offset:         80
        .size:           8
        .value_kind:     global_buffer
      - .offset:         88
        .size:           8
        .value_kind:     by_value
      - .offset:         96
        .size:           8
        .value_kind:     by_value
      - .offset:         104
        .size:           4
        .value_kind:     by_value
    .group_segment_fixed_size: 4096
    .kernarg_segment_align: 8
    .kernarg_segment_size: 108
    .language:       OpenCL C
    .language_version:
      - 2
      - 0
    .max_flat_workgroup_size: 256
    .name:           _ZL34rocblas_syrkx_herkx_general_kernelIl19rocblas_complex_numIfELi16ELi32ELi8ELb1ELb1ELc78ELc76EKS1_S1_EviT_T0_PT8_S3_lS6_S3_lS4_PT9_S3_li
    .private_segment_fixed_size: 0
    .sgpr_count:     34
    .sgpr_spill_count: 0
    .symbol:         _ZL34rocblas_syrkx_herkx_general_kernelIl19rocblas_complex_numIfELi16ELi32ELi8ELb1ELb1ELc78ELc76EKS1_S1_EviT_T0_PT8_S3_lS6_S3_lS4_PT9_S3_li.kd
    .uniform_work_group_size: 1
    .uses_dynamic_stack: false
    .vgpr_count:     59
    .vgpr_spill_count: 0
    .wavefront_size: 32
    .workgroup_processor_mode: 1
  - .args:
      - .offset:         0
        .size:           4
        .value_kind:     by_value
      - .offset:         8
        .size:           8
        .value_kind:     by_value
      - .offset:         16
        .size:           8
        .value_kind:     by_value
      - .address_space:  global
        .offset:         24
        .size:           8
        .value_kind:     global_buffer
      - .offset:         32
        .size:           8
        .value_kind:     by_value
      - .offset:         40
        .size:           8
        .value_kind:     by_value
      - .address_space:  global
        .offset:         48
        .size:           8
        .value_kind:     global_buffer
      - .offset:         56
        .size:           8
        .value_kind:     by_value
      - .offset:         64
        .size:           8
        .value_kind:     by_value
      - .offset:         72
        .size:           8
        .value_kind:     by_value
      - .address_space:  global
        .offset:         80
        .size:           8
        .value_kind:     global_buffer
      - .offset:         88
        .size:           8
        .value_kind:     by_value
      - .offset:         96
        .size:           8
        .value_kind:     by_value
      - .offset:         104
        .size:           4
        .value_kind:     by_value
    .group_segment_fixed_size: 4096
    .kernarg_segment_align: 8
    .kernarg_segment_size: 108
    .language:       OpenCL C
    .language_version:
      - 2
      - 0
    .max_flat_workgroup_size: 256
    .name:           _ZL34rocblas_syrkx_herkx_general_kernelIl19rocblas_complex_numIfELi16ELi32ELi8ELb1ELb1ELc84ELc85EKS1_S1_EviT_T0_PT8_S3_lS6_S3_lS4_PT9_S3_li
    .private_segment_fixed_size: 0
    .sgpr_count:     34
    .sgpr_spill_count: 0
    .symbol:         _ZL34rocblas_syrkx_herkx_general_kernelIl19rocblas_complex_numIfELi16ELi32ELi8ELb1ELb1ELc84ELc85EKS1_S1_EviT_T0_PT8_S3_lS6_S3_lS4_PT9_S3_li.kd
    .uniform_work_group_size: 1
    .uses_dynamic_stack: false
    .vgpr_count:     59
    .vgpr_spill_count: 0
    .wavefront_size: 32
    .workgroup_processor_mode: 1
  - .args:
      - .offset:         0
        .size:           4
        .value_kind:     by_value
      - .offset:         8
        .size:           8
        .value_kind:     by_value
      - .offset:         16
        .size:           8
        .value_kind:     by_value
      - .address_space:  global
        .offset:         24
        .size:           8
        .value_kind:     global_buffer
      - .offset:         32
        .size:           8
        .value_kind:     by_value
      - .offset:         40
        .size:           8
        .value_kind:     by_value
      - .address_space:  global
        .offset:         48
        .size:           8
        .value_kind:     global_buffer
      - .offset:         56
        .size:           8
        .value_kind:     by_value
      - .offset:         64
        .size:           8
        .value_kind:     by_value
      - .offset:         72
        .size:           8
        .value_kind:     by_value
      - .address_space:  global
        .offset:         80
        .size:           8
        .value_kind:     global_buffer
      - .offset:         88
        .size:           8
        .value_kind:     by_value
      - .offset:         96
        .size:           8
        .value_kind:     by_value
      - .offset:         104
        .size:           4
        .value_kind:     by_value
    .group_segment_fixed_size: 4096
    .kernarg_segment_align: 8
    .kernarg_segment_size: 108
    .language:       OpenCL C
    .language_version:
      - 2
      - 0
    .max_flat_workgroup_size: 256
    .name:           _ZL34rocblas_syrkx_herkx_general_kernelIl19rocblas_complex_numIfELi16ELi32ELi8ELb1ELb1ELc67ELc85EKS1_S1_EviT_T0_PT8_S3_lS6_S3_lS4_PT9_S3_li
    .private_segment_fixed_size: 0
    .sgpr_count:     34
    .sgpr_spill_count: 0
    .symbol:         _ZL34rocblas_syrkx_herkx_general_kernelIl19rocblas_complex_numIfELi16ELi32ELi8ELb1ELb1ELc67ELc85EKS1_S1_EviT_T0_PT8_S3_lS6_S3_lS4_PT9_S3_li.kd
    .uniform_work_group_size: 1
    .uses_dynamic_stack: false
    .vgpr_count:     59
    .vgpr_spill_count: 0
    .wavefront_size: 32
    .workgroup_processor_mode: 1
  - .args:
      - .offset:         0
        .size:           4
        .value_kind:     by_value
      - .offset:         8
        .size:           8
        .value_kind:     by_value
      - .offset:         16
        .size:           8
        .value_kind:     by_value
      - .address_space:  global
        .offset:         24
        .size:           8
        .value_kind:     global_buffer
      - .offset:         32
        .size:           8
        .value_kind:     by_value
      - .offset:         40
        .size:           8
        .value_kind:     by_value
      - .address_space:  global
        .offset:         48
        .size:           8
        .value_kind:     global_buffer
      - .offset:         56
        .size:           8
        .value_kind:     by_value
      - .offset:         64
        .size:           8
        .value_kind:     by_value
      - .offset:         72
        .size:           8
        .value_kind:     by_value
      - .address_space:  global
        .offset:         80
        .size:           8
        .value_kind:     global_buffer
      - .offset:         88
        .size:           8
        .value_kind:     by_value
      - .offset:         96
        .size:           8
        .value_kind:     by_value
      - .offset:         104
        .size:           4
        .value_kind:     by_value
    .group_segment_fixed_size: 4096
    .kernarg_segment_align: 8
    .kernarg_segment_size: 108
    .language:       OpenCL C
    .language_version:
      - 2
      - 0
    .max_flat_workgroup_size: 256
    .name:           _ZL34rocblas_syrkx_herkx_general_kernelIl19rocblas_complex_numIfELi16ELi32ELi8ELb1ELb1ELc78ELc85EKS1_S1_EviT_T0_PT8_S3_lS6_S3_lS4_PT9_S3_li
    .private_segment_fixed_size: 0
    .sgpr_count:     34
    .sgpr_spill_count: 0
    .symbol:         _ZL34rocblas_syrkx_herkx_general_kernelIl19rocblas_complex_numIfELi16ELi32ELi8ELb1ELb1ELc78ELc85EKS1_S1_EviT_T0_PT8_S3_lS6_S3_lS4_PT9_S3_li.kd
    .uniform_work_group_size: 1
    .uses_dynamic_stack: false
    .vgpr_count:     59
    .vgpr_spill_count: 0
    .wavefront_size: 32
    .workgroup_processor_mode: 1
  - .args:
      - .offset:         0
        .size:           4
        .value_kind:     by_value
      - .offset:         8
        .size:           8
        .value_kind:     by_value
      - .offset:         16
        .size:           8
        .value_kind:     by_value
      - .address_space:  global
        .offset:         24
        .size:           8
        .value_kind:     global_buffer
      - .offset:         32
        .size:           8
        .value_kind:     by_value
      - .offset:         40
        .size:           8
        .value_kind:     by_value
      - .address_space:  global
        .offset:         48
        .size:           8
        .value_kind:     global_buffer
      - .offset:         56
        .size:           8
        .value_kind:     by_value
      - .offset:         64
        .size:           8
        .value_kind:     by_value
      - .offset:         72
        .size:           8
        .value_kind:     by_value
      - .address_space:  global
        .offset:         80
        .size:           8
        .value_kind:     global_buffer
      - .offset:         88
        .size:           8
        .value_kind:     by_value
      - .offset:         96
        .size:           8
        .value_kind:     by_value
      - .offset:         104
        .size:           4
        .value_kind:     by_value
    .group_segment_fixed_size: 4096
    .kernarg_segment_align: 8
    .kernarg_segment_size: 108
    .language:       OpenCL C
    .language_version:
      - 2
      - 0
    .max_flat_workgroup_size: 256
    .name:           _ZL34rocblas_syrkx_herkx_general_kernelIl19rocblas_complex_numIfELi16ELi32ELi8ELb0ELb1ELc84ELc76EKS1_S1_EviT_T0_PT8_S3_lS6_S3_lS4_PT9_S3_li
    .private_segment_fixed_size: 0
    .sgpr_count:     34
    .sgpr_spill_count: 0
    .symbol:         _ZL34rocblas_syrkx_herkx_general_kernelIl19rocblas_complex_numIfELi16ELi32ELi8ELb0ELb1ELc84ELc76EKS1_S1_EviT_T0_PT8_S3_lS6_S3_lS4_PT9_S3_li.kd
    .uniform_work_group_size: 1
    .uses_dynamic_stack: false
    .vgpr_count:     59
    .vgpr_spill_count: 0
    .wavefront_size: 32
    .workgroup_processor_mode: 1
  - .args:
      - .offset:         0
        .size:           4
        .value_kind:     by_value
      - .offset:         8
        .size:           8
        .value_kind:     by_value
      - .offset:         16
        .size:           8
        .value_kind:     by_value
      - .address_space:  global
        .offset:         24
        .size:           8
        .value_kind:     global_buffer
      - .offset:         32
        .size:           8
        .value_kind:     by_value
      - .offset:         40
        .size:           8
        .value_kind:     by_value
      - .address_space:  global
        .offset:         48
        .size:           8
        .value_kind:     global_buffer
      - .offset:         56
        .size:           8
        .value_kind:     by_value
      - .offset:         64
        .size:           8
        .value_kind:     by_value
      - .offset:         72
        .size:           8
        .value_kind:     by_value
      - .address_space:  global
        .offset:         80
        .size:           8
        .value_kind:     global_buffer
      - .offset:         88
        .size:           8
        .value_kind:     by_value
      - .offset:         96
        .size:           8
        .value_kind:     by_value
      - .offset:         104
        .size:           4
        .value_kind:     by_value
    .group_segment_fixed_size: 4096
    .kernarg_segment_align: 8
    .kernarg_segment_size: 108
    .language:       OpenCL C
    .language_version:
      - 2
      - 0
    .max_flat_workgroup_size: 256
    .name:           _ZL34rocblas_syrkx_herkx_general_kernelIl19rocblas_complex_numIfELi16ELi32ELi8ELb0ELb1ELc67ELc76EKS1_S1_EviT_T0_PT8_S3_lS6_S3_lS4_PT9_S3_li
    .private_segment_fixed_size: 0
    .sgpr_count:     34
    .sgpr_spill_count: 0
    .symbol:         _ZL34rocblas_syrkx_herkx_general_kernelIl19rocblas_complex_numIfELi16ELi32ELi8ELb0ELb1ELc67ELc76EKS1_S1_EviT_T0_PT8_S3_lS6_S3_lS4_PT9_S3_li.kd
    .uniform_work_group_size: 1
    .uses_dynamic_stack: false
    .vgpr_count:     59
    .vgpr_spill_count: 0
    .wavefront_size: 32
    .workgroup_processor_mode: 1
  - .args:
      - .offset:         0
        .size:           4
        .value_kind:     by_value
      - .offset:         8
        .size:           8
        .value_kind:     by_value
      - .offset:         16
        .size:           8
        .value_kind:     by_value
      - .address_space:  global
        .offset:         24
        .size:           8
        .value_kind:     global_buffer
      - .offset:         32
        .size:           8
        .value_kind:     by_value
      - .offset:         40
        .size:           8
        .value_kind:     by_value
      - .address_space:  global
        .offset:         48
        .size:           8
        .value_kind:     global_buffer
      - .offset:         56
        .size:           8
        .value_kind:     by_value
      - .offset:         64
        .size:           8
        .value_kind:     by_value
      - .offset:         72
        .size:           8
        .value_kind:     by_value
      - .address_space:  global
        .offset:         80
        .size:           8
        .value_kind:     global_buffer
      - .offset:         88
        .size:           8
        .value_kind:     by_value
      - .offset:         96
        .size:           8
        .value_kind:     by_value
      - .offset:         104
        .size:           4
        .value_kind:     by_value
    .group_segment_fixed_size: 4096
    .kernarg_segment_align: 8
    .kernarg_segment_size: 108
    .language:       OpenCL C
    .language_version:
      - 2
      - 0
    .max_flat_workgroup_size: 256
    .name:           _ZL34rocblas_syrkx_herkx_general_kernelIl19rocblas_complex_numIfELi16ELi32ELi8ELb0ELb1ELc78ELc76EKS1_S1_EviT_T0_PT8_S3_lS6_S3_lS4_PT9_S3_li
    .private_segment_fixed_size: 0
    .sgpr_count:     34
    .sgpr_spill_count: 0
    .symbol:         _ZL34rocblas_syrkx_herkx_general_kernelIl19rocblas_complex_numIfELi16ELi32ELi8ELb0ELb1ELc78ELc76EKS1_S1_EviT_T0_PT8_S3_lS6_S3_lS4_PT9_S3_li.kd
    .uniform_work_group_size: 1
    .uses_dynamic_stack: false
    .vgpr_count:     59
    .vgpr_spill_count: 0
    .wavefront_size: 32
    .workgroup_processor_mode: 1
  - .args:
      - .offset:         0
        .size:           4
        .value_kind:     by_value
      - .offset:         8
        .size:           8
        .value_kind:     by_value
      - .offset:         16
        .size:           8
        .value_kind:     by_value
      - .address_space:  global
        .offset:         24
        .size:           8
        .value_kind:     global_buffer
      - .offset:         32
        .size:           8
        .value_kind:     by_value
      - .offset:         40
        .size:           8
        .value_kind:     by_value
      - .address_space:  global
        .offset:         48
        .size:           8
        .value_kind:     global_buffer
      - .offset:         56
        .size:           8
        .value_kind:     by_value
      - .offset:         64
        .size:           8
        .value_kind:     by_value
      - .offset:         72
        .size:           8
        .value_kind:     by_value
      - .address_space:  global
        .offset:         80
        .size:           8
        .value_kind:     global_buffer
      - .offset:         88
        .size:           8
        .value_kind:     by_value
      - .offset:         96
        .size:           8
        .value_kind:     by_value
      - .offset:         104
        .size:           4
        .value_kind:     by_value
    .group_segment_fixed_size: 4096
    .kernarg_segment_align: 8
    .kernarg_segment_size: 108
    .language:       OpenCL C
    .language_version:
      - 2
      - 0
    .max_flat_workgroup_size: 256
    .name:           _ZL34rocblas_syrkx_herkx_general_kernelIl19rocblas_complex_numIfELi16ELi32ELi8ELb0ELb1ELc84ELc85EKS1_S1_EviT_T0_PT8_S3_lS6_S3_lS4_PT9_S3_li
    .private_segment_fixed_size: 0
    .sgpr_count:     34
    .sgpr_spill_count: 0
    .symbol:         _ZL34rocblas_syrkx_herkx_general_kernelIl19rocblas_complex_numIfELi16ELi32ELi8ELb0ELb1ELc84ELc85EKS1_S1_EviT_T0_PT8_S3_lS6_S3_lS4_PT9_S3_li.kd
    .uniform_work_group_size: 1
    .uses_dynamic_stack: false
    .vgpr_count:     59
    .vgpr_spill_count: 0
    .wavefront_size: 32
    .workgroup_processor_mode: 1
  - .args:
      - .offset:         0
        .size:           4
        .value_kind:     by_value
      - .offset:         8
        .size:           8
        .value_kind:     by_value
      - .offset:         16
        .size:           8
        .value_kind:     by_value
      - .address_space:  global
        .offset:         24
        .size:           8
        .value_kind:     global_buffer
      - .offset:         32
        .size:           8
        .value_kind:     by_value
      - .offset:         40
        .size:           8
        .value_kind:     by_value
      - .address_space:  global
        .offset:         48
        .size:           8
        .value_kind:     global_buffer
      - .offset:         56
        .size:           8
        .value_kind:     by_value
      - .offset:         64
        .size:           8
        .value_kind:     by_value
      - .offset:         72
        .size:           8
        .value_kind:     by_value
      - .address_space:  global
        .offset:         80
        .size:           8
        .value_kind:     global_buffer
      - .offset:         88
        .size:           8
        .value_kind:     by_value
      - .offset:         96
        .size:           8
        .value_kind:     by_value
      - .offset:         104
        .size:           4
        .value_kind:     by_value
    .group_segment_fixed_size: 4096
    .kernarg_segment_align: 8
    .kernarg_segment_size: 108
    .language:       OpenCL C
    .language_version:
      - 2
      - 0
    .max_flat_workgroup_size: 256
    .name:           _ZL34rocblas_syrkx_herkx_general_kernelIl19rocblas_complex_numIfELi16ELi32ELi8ELb0ELb1ELc67ELc85EKS1_S1_EviT_T0_PT8_S3_lS6_S3_lS4_PT9_S3_li
    .private_segment_fixed_size: 0
    .sgpr_count:     34
    .sgpr_spill_count: 0
    .symbol:         _ZL34rocblas_syrkx_herkx_general_kernelIl19rocblas_complex_numIfELi16ELi32ELi8ELb0ELb1ELc67ELc85EKS1_S1_EviT_T0_PT8_S3_lS6_S3_lS4_PT9_S3_li.kd
    .uniform_work_group_size: 1
    .uses_dynamic_stack: false
    .vgpr_count:     59
    .vgpr_spill_count: 0
    .wavefront_size: 32
    .workgroup_processor_mode: 1
  - .args:
      - .offset:         0
        .size:           4
        .value_kind:     by_value
      - .offset:         8
        .size:           8
        .value_kind:     by_value
      - .offset:         16
        .size:           8
        .value_kind:     by_value
      - .address_space:  global
        .offset:         24
        .size:           8
        .value_kind:     global_buffer
      - .offset:         32
        .size:           8
        .value_kind:     by_value
      - .offset:         40
        .size:           8
        .value_kind:     by_value
      - .address_space:  global
        .offset:         48
        .size:           8
        .value_kind:     global_buffer
      - .offset:         56
        .size:           8
        .value_kind:     by_value
      - .offset:         64
        .size:           8
        .value_kind:     by_value
      - .offset:         72
        .size:           8
        .value_kind:     by_value
      - .address_space:  global
        .offset:         80
        .size:           8
        .value_kind:     global_buffer
      - .offset:         88
        .size:           8
        .value_kind:     by_value
      - .offset:         96
        .size:           8
        .value_kind:     by_value
      - .offset:         104
        .size:           4
        .value_kind:     by_value
    .group_segment_fixed_size: 4096
    .kernarg_segment_align: 8
    .kernarg_segment_size: 108
    .language:       OpenCL C
    .language_version:
      - 2
      - 0
    .max_flat_workgroup_size: 256
    .name:           _ZL34rocblas_syrkx_herkx_general_kernelIl19rocblas_complex_numIfELi16ELi32ELi8ELb0ELb1ELc78ELc85EKS1_S1_EviT_T0_PT8_S3_lS6_S3_lS4_PT9_S3_li
    .private_segment_fixed_size: 0
    .sgpr_count:     34
    .sgpr_spill_count: 0
    .symbol:         _ZL34rocblas_syrkx_herkx_general_kernelIl19rocblas_complex_numIfELi16ELi32ELi8ELb0ELb1ELc78ELc85EKS1_S1_EviT_T0_PT8_S3_lS6_S3_lS4_PT9_S3_li.kd
    .uniform_work_group_size: 1
    .uses_dynamic_stack: false
    .vgpr_count:     59
    .vgpr_spill_count: 0
    .wavefront_size: 32
    .workgroup_processor_mode: 1
  - .args:
      - .offset:         0
        .size:           1
        .value_kind:     by_value
      - .offset:         4
        .size:           4
        .value_kind:     by_value
      - .offset:         8
        .size:           8
        .value_kind:     by_value
      - .offset:         16
        .size:           8
        .value_kind:     by_value
      - .offset:         24
        .size:           8
        .value_kind:     by_value
      - .address_space:  global
        .offset:         32
        .size:           8
        .value_kind:     global_buffer
      - .offset:         40
        .size:           8
        .value_kind:     by_value
      - .offset:         48
        .size:           8
        .value_kind:     by_value
      - .offset:         56
        .size:           4
        .value_kind:     by_value
      - .offset:         64
        .size:           4
        .value_kind:     hidden_block_count_x
      - .offset:         68
        .size:           4
        .value_kind:     hidden_block_count_y
      - .offset:         72
        .size:           4
        .value_kind:     hidden_block_count_z
      - .offset:         76
        .size:           2
        .value_kind:     hidden_group_size_x
      - .offset:         78
        .size:           2
        .value_kind:     hidden_group_size_y
      - .offset:         80
        .size:           2
        .value_kind:     hidden_group_size_z
      - .offset:         82
        .size:           2
        .value_kind:     hidden_remainder_x
      - .offset:         84
        .size:           2
        .value_kind:     hidden_remainder_y
      - .offset:         86
        .size:           2
        .value_kind:     hidden_remainder_z
      - .offset:         104
        .size:           8
        .value_kind:     hidden_global_offset_x
      - .offset:         112
        .size:           8
        .value_kind:     hidden_global_offset_y
      - .offset:         120
        .size:           8
        .value_kind:     hidden_global_offset_z
      - .offset:         128
        .size:           2
        .value_kind:     hidden_grid_dims
    .group_segment_fixed_size: 0
    .kernarg_segment_align: 8
    .kernarg_segment_size: 320
    .language:       OpenCL C
    .language_version:
      - 2
      - 0
    .max_flat_workgroup_size: 1024
    .name:           _ZL26rocblas_syr2k_scale_kernelIlLi128ELi8ELb1E19rocblas_complex_numIfES1_PS1_EvbiT_T3_T4_T5_S3_li
    .private_segment_fixed_size: 0
    .sgpr_count:     18
    .sgpr_spill_count: 0
    .symbol:         _ZL26rocblas_syr2k_scale_kernelIlLi128ELi8ELb1E19rocblas_complex_numIfES1_PS1_EvbiT_T3_T4_T5_S3_li.kd
    .uniform_work_group_size: 1
    .uses_dynamic_stack: false
    .vgpr_count:     8
    .vgpr_spill_count: 0
    .wavefront_size: 32
    .workgroup_processor_mode: 1
  - .args:
      - .offset:         0
        .size:           1
        .value_kind:     by_value
      - .offset:         4
        .size:           4
        .value_kind:     by_value
      - .offset:         8
        .size:           8
        .value_kind:     by_value
      - .address_space:  global
        .offset:         16
        .size:           8
        .value_kind:     global_buffer
      - .address_space:  global
        .offset:         24
        .size:           8
        .value_kind:     global_buffer
      - .offset:         32
        .size:           8
        .value_kind:     by_value
      - .offset:         40
        .size:           8
        .value_kind:     by_value
      - .address_space:  global
        .offset:         48
        .size:           8
        .value_kind:     global_buffer
      - .offset:         56
        .size:           8
        .value_kind:     by_value
      - .offset:         64
        .size:           8
        .value_kind:     by_value
      - .address_space:  global
        .offset:         72
        .size:           8
        .value_kind:     global_buffer
      - .offset:         80
        .size:           8
        .value_kind:     by_value
      - .offset:         88
        .size:           8
        .value_kind:     by_value
      - .offset:         96
        .size:           4
        .value_kind:     by_value
    .group_segment_fixed_size: 16384
    .kernarg_segment_align: 8
    .kernarg_segment_size: 100
    .language:       OpenCL C
    .language_version:
      - 2
      - 0
    .max_flat_workgroup_size: 1024
    .name:           _ZL26rocblas_syr2k_her2k_kernelIlLb0ELb1ELb0ELi32EPK19rocblas_complex_numIfES3_PS1_EvbiT_T4_T5_S5_lS7_S5_lT6_S5_li
    .private_segment_fixed_size: 0
    .sgpr_count:     34
    .sgpr_spill_count: 0
    .symbol:         _ZL26rocblas_syr2k_her2k_kernelIlLb0ELb1ELb0ELi32EPK19rocblas_complex_numIfES3_PS1_EvbiT_T4_T5_S5_lS7_S5_lT6_S5_li.kd
    .uniform_work_group_size: 1
    .uses_dynamic_stack: false
    .vgpr_count:     39
    .vgpr_spill_count: 0
    .wavefront_size: 32
    .workgroup_processor_mode: 1
  - .args:
      - .offset:         0
        .size:           1
        .value_kind:     by_value
      - .offset:         4
        .size:           4
        .value_kind:     by_value
      - .offset:         8
        .size:           8
        .value_kind:     by_value
      - .address_space:  global
        .offset:         16
        .size:           8
        .value_kind:     global_buffer
      - .address_space:  global
        .offset:         24
        .size:           8
        .value_kind:     global_buffer
      - .offset:         32
        .size:           8
        .value_kind:     by_value
      - .offset:         40
        .size:           8
        .value_kind:     by_value
      - .address_space:  global
        .offset:         48
        .size:           8
        .value_kind:     global_buffer
      - .offset:         56
        .size:           8
        .value_kind:     by_value
      - .offset:         64
        .size:           8
        .value_kind:     by_value
      - .address_space:  global
        .offset:         72
        .size:           8
        .value_kind:     global_buffer
      - .offset:         80
        .size:           8
        .value_kind:     by_value
      - .offset:         88
        .size:           8
        .value_kind:     by_value
      - .offset:         96
        .size:           4
        .value_kind:     by_value
    .group_segment_fixed_size: 16384
    .kernarg_segment_align: 8
    .kernarg_segment_size: 100
    .language:       OpenCL C
    .language_version:
      - 2
      - 0
    .max_flat_workgroup_size: 1024
    .name:           _ZL26rocblas_syr2k_her2k_kernelIlLb0ELb1ELb1ELi32EPK19rocblas_complex_numIfES3_PS1_EvbiT_T4_T5_S5_lS7_S5_lT6_S5_li
    .private_segment_fixed_size: 0
    .sgpr_count:     34
    .sgpr_spill_count: 0
    .symbol:         _ZL26rocblas_syr2k_her2k_kernelIlLb0ELb1ELb1ELi32EPK19rocblas_complex_numIfES3_PS1_EvbiT_T4_T5_S5_lS7_S5_lT6_S5_li.kd
    .uniform_work_group_size: 1
    .uses_dynamic_stack: false
    .vgpr_count:     39
    .vgpr_spill_count: 0
    .wavefront_size: 32
    .workgroup_processor_mode: 1
  - .args:
      - .offset:         0
        .size:           1
        .value_kind:     by_value
      - .offset:         4
        .size:           4
        .value_kind:     by_value
      - .offset:         8
        .size:           8
        .value_kind:     by_value
      - .offset:         16
        .size:           16
        .value_kind:     by_value
      - .address_space:  global
        .offset:         32
        .size:           8
        .value_kind:     global_buffer
      - .offset:         40
        .size:           8
        .value_kind:     by_value
      - .offset:         48
        .size:           8
        .value_kind:     by_value
      - .address_space:  global
        .offset:         56
        .size:           8
        .value_kind:     global_buffer
      - .offset:         64
        .size:           8
        .value_kind:     by_value
      - .offset:         72
        .size:           8
        .value_kind:     by_value
      - .address_space:  global
        .offset:         80
        .size:           8
        .value_kind:     global_buffer
      - .offset:         88
        .size:           8
        .value_kind:     by_value
      - .offset:         96
        .size:           8
        .value_kind:     by_value
      - .offset:         104
        .size:           4
        .value_kind:     by_value
    .group_segment_fixed_size: 32768
    .kernarg_segment_align: 8
    .kernarg_segment_size: 108
    .language:       OpenCL C
    .language_version:
      - 2
      - 0
    .max_flat_workgroup_size: 1024
    .name:           _ZL26rocblas_syr2k_her2k_kernelIlLb0ELb1ELb0ELi32E19rocblas_complex_numIdEPKS1_PS1_EvbiT_T4_T5_S5_lS7_S5_lT6_S5_li
    .private_segment_fixed_size: 0
    .sgpr_count:     34
    .sgpr_spill_count: 0
    .symbol:         _ZL26rocblas_syr2k_her2k_kernelIlLb0ELb1ELb0ELi32E19rocblas_complex_numIdEPKS1_PS1_EvbiT_T4_T5_S5_lS7_S5_lT6_S5_li.kd
    .uniform_work_group_size: 1
    .uses_dynamic_stack: false
    .vgpr_count:     62
    .vgpr_spill_count: 0
    .wavefront_size: 32
    .workgroup_processor_mode: 1
  - .args:
      - .offset:         0
        .size:           1
        .value_kind:     by_value
      - .offset:         4
        .size:           4
        .value_kind:     by_value
      - .offset:         8
        .size:           8
        .value_kind:     by_value
      - .offset:         16
        .size:           16
        .value_kind:     by_value
      - .address_space:  global
        .offset:         32
        .size:           8
        .value_kind:     global_buffer
      - .offset:         40
        .size:           8
        .value_kind:     by_value
      - .offset:         48
        .size:           8
        .value_kind:     by_value
      - .address_space:  global
        .offset:         56
        .size:           8
        .value_kind:     global_buffer
      - .offset:         64
        .size:           8
        .value_kind:     by_value
      - .offset:         72
        .size:           8
        .value_kind:     by_value
      - .address_space:  global
        .offset:         80
        .size:           8
        .value_kind:     global_buffer
      - .offset:         88
        .size:           8
        .value_kind:     by_value
      - .offset:         96
        .size:           8
        .value_kind:     by_value
      - .offset:         104
        .size:           4
        .value_kind:     by_value
    .group_segment_fixed_size: 32768
    .kernarg_segment_align: 8
    .kernarg_segment_size: 108
    .language:       OpenCL C
    .language_version:
      - 2
      - 0
    .max_flat_workgroup_size: 1024
    .name:           _ZL26rocblas_syr2k_her2k_kernelIlLb0ELb1ELb1ELi32E19rocblas_complex_numIdEPKS1_PS1_EvbiT_T4_T5_S5_lS7_S5_lT6_S5_li
    .private_segment_fixed_size: 0
    .sgpr_count:     38
    .sgpr_spill_count: 0
    .symbol:         _ZL26rocblas_syr2k_her2k_kernelIlLb0ELb1ELb1ELi32E19rocblas_complex_numIdEPKS1_PS1_EvbiT_T4_T5_S5_lS7_S5_lT6_S5_li.kd
    .uniform_work_group_size: 1
    .uses_dynamic_stack: false
    .vgpr_count:     62
    .vgpr_spill_count: 0
    .wavefront_size: 32
    .workgroup_processor_mode: 1
  - .args:
      - .offset:         0
        .size:           4
        .value_kind:     by_value
      - .offset:         8
        .size:           8
        .value_kind:     by_value
      - .address_space:  global
        .offset:         16
        .size:           8
        .value_kind:     global_buffer
      - .offset:         24
        .size:           8
        .value_kind:     by_value
      - .offset:         32
        .size:           8
        .value_kind:     by_value
      - .address_space:  global
        .offset:         40
        .size:           8
        .value_kind:     global_buffer
      - .offset:         48
        .size:           8
        .value_kind:     by_value
      - .offset:         56
        .size:           8
        .value_kind:     by_value
      - .address_space:  global
        .offset:         64
        .size:           8
        .value_kind:     global_buffer
      - .offset:         72
        .size:           8
        .value_kind:     by_value
      - .offset:         80
        .size:           8
        .value_kind:     by_value
      - .offset:         88
        .size:           4
        .value_kind:     by_value
    .group_segment_fixed_size: 8192
    .kernarg_segment_align: 8
    .kernarg_segment_size: 92
    .language:       OpenCL C
    .language_version:
      - 2
      - 0
    .max_flat_workgroup_size: 256
    .name:           _ZL37rocblas_syrkx_herkx_restricted_kernelIl19rocblas_complex_numIdELi16ELi32ELi8ELi1ELi1ELb1ELc84ELc76EKS1_S1_EviT_PT9_S3_lS5_S3_lPT10_S3_li
    .private_segment_fixed_size: 0
    .sgpr_count:     34
    .sgpr_spill_count: 0
    .symbol:         _ZL37rocblas_syrkx_herkx_restricted_kernelIl19rocblas_complex_numIdELi16ELi32ELi8ELi1ELi1ELb1ELc84ELc76EKS1_S1_EviT_PT9_S3_lS5_S3_lPT10_S3_li.kd
    .uniform_work_group_size: 1
    .uses_dynamic_stack: false
    .vgpr_count:     118
    .vgpr_spill_count: 0
    .wavefront_size: 32
    .workgroup_processor_mode: 1
  - .args:
      - .offset:         0
        .size:           4
        .value_kind:     by_value
      - .offset:         8
        .size:           8
        .value_kind:     by_value
      - .address_space:  global
        .offset:         16
        .size:           8
        .value_kind:     global_buffer
      - .offset:         24
        .size:           8
        .value_kind:     by_value
      - .offset:         32
        .size:           8
        .value_kind:     by_value
      - .address_space:  global
        .offset:         40
        .size:           8
        .value_kind:     global_buffer
      - .offset:         48
        .size:           8
        .value_kind:     by_value
      - .offset:         56
        .size:           8
        .value_kind:     by_value
      - .address_space:  global
        .offset:         64
        .size:           8
        .value_kind:     global_buffer
      - .offset:         72
        .size:           8
        .value_kind:     by_value
      - .offset:         80
        .size:           8
        .value_kind:     by_value
      - .offset:         88
        .size:           4
        .value_kind:     by_value
    .group_segment_fixed_size: 8192
    .kernarg_segment_align: 8
    .kernarg_segment_size: 92
    .language:       OpenCL C
    .language_version:
      - 2
      - 0
    .max_flat_workgroup_size: 256
    .name:           _ZL37rocblas_syrkx_herkx_restricted_kernelIl19rocblas_complex_numIdELi16ELi32ELi8ELi1ELi1ELb1ELc67ELc76EKS1_S1_EviT_PT9_S3_lS5_S3_lPT10_S3_li
    .private_segment_fixed_size: 0
    .sgpr_count:     34
    .sgpr_spill_count: 0
    .symbol:         _ZL37rocblas_syrkx_herkx_restricted_kernelIl19rocblas_complex_numIdELi16ELi32ELi8ELi1ELi1ELb1ELc67ELc76EKS1_S1_EviT_PT9_S3_lS5_S3_lPT10_S3_li.kd
    .uniform_work_group_size: 1
    .uses_dynamic_stack: false
    .vgpr_count:     118
    .vgpr_spill_count: 0
    .wavefront_size: 32
    .workgroup_processor_mode: 1
  - .args:
      - .offset:         0
        .size:           4
        .value_kind:     by_value
      - .offset:         8
        .size:           8
        .value_kind:     by_value
      - .address_space:  global
        .offset:         16
        .size:           8
        .value_kind:     global_buffer
      - .offset:         24
        .size:           8
        .value_kind:     by_value
      - .offset:         32
        .size:           8
        .value_kind:     by_value
      - .address_space:  global
        .offset:         40
        .size:           8
        .value_kind:     global_buffer
      - .offset:         48
        .size:           8
        .value_kind:     by_value
      - .offset:         56
        .size:           8
        .value_kind:     by_value
      - .address_space:  global
        .offset:         64
        .size:           8
        .value_kind:     global_buffer
      - .offset:         72
        .size:           8
        .value_kind:     by_value
      - .offset:         80
        .size:           8
        .value_kind:     by_value
      - .offset:         88
        .size:           4
        .value_kind:     by_value
    .group_segment_fixed_size: 8192
    .kernarg_segment_align: 8
    .kernarg_segment_size: 92
    .language:       OpenCL C
    .language_version:
      - 2
      - 0
    .max_flat_workgroup_size: 256
    .name:           _ZL37rocblas_syrkx_herkx_restricted_kernelIl19rocblas_complex_numIdELi16ELi32ELi8ELi1ELi1ELb1ELc78ELc76EKS1_S1_EviT_PT9_S3_lS5_S3_lPT10_S3_li
    .private_segment_fixed_size: 0
    .sgpr_count:     34
    .sgpr_spill_count: 0
    .symbol:         _ZL37rocblas_syrkx_herkx_restricted_kernelIl19rocblas_complex_numIdELi16ELi32ELi8ELi1ELi1ELb1ELc78ELc76EKS1_S1_EviT_PT9_S3_lS5_S3_lPT10_S3_li.kd
    .uniform_work_group_size: 1
    .uses_dynamic_stack: false
    .vgpr_count:     118
    .vgpr_spill_count: 0
    .wavefront_size: 32
    .workgroup_processor_mode: 1
  - .args:
      - .offset:         0
        .size:           4
        .value_kind:     by_value
      - .offset:         8
        .size:           8
        .value_kind:     by_value
      - .address_space:  global
        .offset:         16
        .size:           8
        .value_kind:     global_buffer
      - .offset:         24
        .size:           8
        .value_kind:     by_value
      - .offset:         32
        .size:           8
        .value_kind:     by_value
      - .address_space:  global
        .offset:         40
        .size:           8
        .value_kind:     global_buffer
      - .offset:         48
        .size:           8
        .value_kind:     by_value
      - .offset:         56
        .size:           8
        .value_kind:     by_value
      - .address_space:  global
        .offset:         64
        .size:           8
        .value_kind:     global_buffer
      - .offset:         72
        .size:           8
        .value_kind:     by_value
      - .offset:         80
        .size:           8
        .value_kind:     by_value
      - .offset:         88
        .size:           4
        .value_kind:     by_value
    .group_segment_fixed_size: 8192
    .kernarg_segment_align: 8
    .kernarg_segment_size: 92
    .language:       OpenCL C
    .language_version:
      - 2
      - 0
    .max_flat_workgroup_size: 256
    .name:           _ZL37rocblas_syrkx_herkx_restricted_kernelIl19rocblas_complex_numIdELi16ELi32ELi8ELi1ELi1ELb1ELc84ELc85EKS1_S1_EviT_PT9_S3_lS5_S3_lPT10_S3_li
    .private_segment_fixed_size: 0
    .sgpr_count:     34
    .sgpr_spill_count: 0
    .symbol:         _ZL37rocblas_syrkx_herkx_restricted_kernelIl19rocblas_complex_numIdELi16ELi32ELi8ELi1ELi1ELb1ELc84ELc85EKS1_S1_EviT_PT9_S3_lS5_S3_lPT10_S3_li.kd
    .uniform_work_group_size: 1
    .uses_dynamic_stack: false
    .vgpr_count:     118
    .vgpr_spill_count: 0
    .wavefront_size: 32
    .workgroup_processor_mode: 1
  - .args:
      - .offset:         0
        .size:           4
        .value_kind:     by_value
      - .offset:         8
        .size:           8
        .value_kind:     by_value
      - .address_space:  global
        .offset:         16
        .size:           8
        .value_kind:     global_buffer
      - .offset:         24
        .size:           8
        .value_kind:     by_value
      - .offset:         32
        .size:           8
        .value_kind:     by_value
      - .address_space:  global
        .offset:         40
        .size:           8
        .value_kind:     global_buffer
      - .offset:         48
        .size:           8
        .value_kind:     by_value
      - .offset:         56
        .size:           8
        .value_kind:     by_value
      - .address_space:  global
        .offset:         64
        .size:           8
        .value_kind:     global_buffer
      - .offset:         72
        .size:           8
        .value_kind:     by_value
      - .offset:         80
        .size:           8
        .value_kind:     by_value
      - .offset:         88
        .size:           4
        .value_kind:     by_value
    .group_segment_fixed_size: 8192
    .kernarg_segment_align: 8
    .kernarg_segment_size: 92
    .language:       OpenCL C
    .language_version:
      - 2
      - 0
    .max_flat_workgroup_size: 256
    .name:           _ZL37rocblas_syrkx_herkx_restricted_kernelIl19rocblas_complex_numIdELi16ELi32ELi8ELi1ELi1ELb1ELc67ELc85EKS1_S1_EviT_PT9_S3_lS5_S3_lPT10_S3_li
    .private_segment_fixed_size: 0
    .sgpr_count:     34
    .sgpr_spill_count: 0
    .symbol:         _ZL37rocblas_syrkx_herkx_restricted_kernelIl19rocblas_complex_numIdELi16ELi32ELi8ELi1ELi1ELb1ELc67ELc85EKS1_S1_EviT_PT9_S3_lS5_S3_lPT10_S3_li.kd
    .uniform_work_group_size: 1
    .uses_dynamic_stack: false
    .vgpr_count:     118
    .vgpr_spill_count: 0
    .wavefront_size: 32
    .workgroup_processor_mode: 1
  - .args:
      - .offset:         0
        .size:           4
        .value_kind:     by_value
      - .offset:         8
        .size:           8
        .value_kind:     by_value
      - .address_space:  global
        .offset:         16
        .size:           8
        .value_kind:     global_buffer
      - .offset:         24
        .size:           8
        .value_kind:     by_value
      - .offset:         32
        .size:           8
        .value_kind:     by_value
      - .address_space:  global
        .offset:         40
        .size:           8
        .value_kind:     global_buffer
      - .offset:         48
        .size:           8
        .value_kind:     by_value
      - .offset:         56
        .size:           8
        .value_kind:     by_value
      - .address_space:  global
        .offset:         64
        .size:           8
        .value_kind:     global_buffer
      - .offset:         72
        .size:           8
        .value_kind:     by_value
      - .offset:         80
        .size:           8
        .value_kind:     by_value
      - .offset:         88
        .size:           4
        .value_kind:     by_value
    .group_segment_fixed_size: 8192
    .kernarg_segment_align: 8
    .kernarg_segment_size: 92
    .language:       OpenCL C
    .language_version:
      - 2
      - 0
    .max_flat_workgroup_size: 256
    .name:           _ZL37rocblas_syrkx_herkx_restricted_kernelIl19rocblas_complex_numIdELi16ELi32ELi8ELi1ELi1ELb1ELc78ELc85EKS1_S1_EviT_PT9_S3_lS5_S3_lPT10_S3_li
    .private_segment_fixed_size: 0
    .sgpr_count:     34
    .sgpr_spill_count: 0
    .symbol:         _ZL37rocblas_syrkx_herkx_restricted_kernelIl19rocblas_complex_numIdELi16ELi32ELi8ELi1ELi1ELb1ELc78ELc85EKS1_S1_EviT_PT9_S3_lS5_S3_lPT10_S3_li.kd
    .uniform_work_group_size: 1
    .uses_dynamic_stack: false
    .vgpr_count:     118
    .vgpr_spill_count: 0
    .wavefront_size: 32
    .workgroup_processor_mode: 1
  - .args:
      - .offset:         0
        .size:           4
        .value_kind:     by_value
      - .offset:         8
        .size:           8
        .value_kind:     by_value
      - .address_space:  global
        .offset:         16
        .size:           8
        .value_kind:     global_buffer
      - .offset:         24
        .size:           8
        .value_kind:     by_value
      - .offset:         32
        .size:           8
        .value_kind:     by_value
      - .address_space:  global
        .offset:         40
        .size:           8
        .value_kind:     global_buffer
      - .offset:         48
        .size:           8
        .value_kind:     by_value
      - .offset:         56
        .size:           8
        .value_kind:     by_value
      - .address_space:  global
        .offset:         64
        .size:           8
        .value_kind:     global_buffer
      - .offset:         72
        .size:           8
        .value_kind:     by_value
      - .offset:         80
        .size:           8
        .value_kind:     by_value
      - .offset:         88
        .size:           4
        .value_kind:     by_value
    .group_segment_fixed_size: 8192
    .kernarg_segment_align: 8
    .kernarg_segment_size: 92
    .language:       OpenCL C
    .language_version:
      - 2
      - 0
    .max_flat_workgroup_size: 256
    .name:           _ZL37rocblas_syrkx_herkx_restricted_kernelIl19rocblas_complex_numIdELi16ELi32ELi8ELi1ELin1ELb1ELc84ELc76EKS1_S1_EviT_PT9_S3_lS5_S3_lPT10_S3_li
    .private_segment_fixed_size: 0
    .sgpr_count:     34
    .sgpr_spill_count: 0
    .symbol:         _ZL37rocblas_syrkx_herkx_restricted_kernelIl19rocblas_complex_numIdELi16ELi32ELi8ELi1ELin1ELb1ELc84ELc76EKS1_S1_EviT_PT9_S3_lS5_S3_lPT10_S3_li.kd
    .uniform_work_group_size: 1
    .uses_dynamic_stack: false
    .vgpr_count:     118
    .vgpr_spill_count: 0
    .wavefront_size: 32
    .workgroup_processor_mode: 1
  - .args:
      - .offset:         0
        .size:           4
        .value_kind:     by_value
      - .offset:         8
        .size:           8
        .value_kind:     by_value
      - .address_space:  global
        .offset:         16
        .size:           8
        .value_kind:     global_buffer
      - .offset:         24
        .size:           8
        .value_kind:     by_value
      - .offset:         32
        .size:           8
        .value_kind:     by_value
      - .address_space:  global
        .offset:         40
        .size:           8
        .value_kind:     global_buffer
      - .offset:         48
        .size:           8
        .value_kind:     by_value
      - .offset:         56
        .size:           8
        .value_kind:     by_value
      - .address_space:  global
        .offset:         64
        .size:           8
        .value_kind:     global_buffer
      - .offset:         72
        .size:           8
        .value_kind:     by_value
      - .offset:         80
        .size:           8
        .value_kind:     by_value
      - .offset:         88
        .size:           4
        .value_kind:     by_value
    .group_segment_fixed_size: 8192
    .kernarg_segment_align: 8
    .kernarg_segment_size: 92
    .language:       OpenCL C
    .language_version:
      - 2
      - 0
    .max_flat_workgroup_size: 256
    .name:           _ZL37rocblas_syrkx_herkx_restricted_kernelIl19rocblas_complex_numIdELi16ELi32ELi8ELi1ELin1ELb1ELc67ELc76EKS1_S1_EviT_PT9_S3_lS5_S3_lPT10_S3_li
    .private_segment_fixed_size: 0
    .sgpr_count:     34
    .sgpr_spill_count: 0
    .symbol:         _ZL37rocblas_syrkx_herkx_restricted_kernelIl19rocblas_complex_numIdELi16ELi32ELi8ELi1ELin1ELb1ELc67ELc76EKS1_S1_EviT_PT9_S3_lS5_S3_lPT10_S3_li.kd
    .uniform_work_group_size: 1
    .uses_dynamic_stack: false
    .vgpr_count:     118
    .vgpr_spill_count: 0
    .wavefront_size: 32
    .workgroup_processor_mode: 1
  - .args:
      - .offset:         0
        .size:           4
        .value_kind:     by_value
      - .offset:         8
        .size:           8
        .value_kind:     by_value
      - .address_space:  global
        .offset:         16
        .size:           8
        .value_kind:     global_buffer
      - .offset:         24
        .size:           8
        .value_kind:     by_value
      - .offset:         32
        .size:           8
        .value_kind:     by_value
      - .address_space:  global
        .offset:         40
        .size:           8
        .value_kind:     global_buffer
      - .offset:         48
        .size:           8
        .value_kind:     by_value
      - .offset:         56
        .size:           8
        .value_kind:     by_value
      - .address_space:  global
        .offset:         64
        .size:           8
        .value_kind:     global_buffer
      - .offset:         72
        .size:           8
        .value_kind:     by_value
      - .offset:         80
        .size:           8
        .value_kind:     by_value
      - .offset:         88
        .size:           4
        .value_kind:     by_value
    .group_segment_fixed_size: 8192
    .kernarg_segment_align: 8
    .kernarg_segment_size: 92
    .language:       OpenCL C
    .language_version:
      - 2
      - 0
    .max_flat_workgroup_size: 256
    .name:           _ZL37rocblas_syrkx_herkx_restricted_kernelIl19rocblas_complex_numIdELi16ELi32ELi8ELi1ELin1ELb1ELc78ELc76EKS1_S1_EviT_PT9_S3_lS5_S3_lPT10_S3_li
    .private_segment_fixed_size: 0
    .sgpr_count:     34
    .sgpr_spill_count: 0
    .symbol:         _ZL37rocblas_syrkx_herkx_restricted_kernelIl19rocblas_complex_numIdELi16ELi32ELi8ELi1ELin1ELb1ELc78ELc76EKS1_S1_EviT_PT9_S3_lS5_S3_lPT10_S3_li.kd
    .uniform_work_group_size: 1
    .uses_dynamic_stack: false
    .vgpr_count:     118
    .vgpr_spill_count: 0
    .wavefront_size: 32
    .workgroup_processor_mode: 1
  - .args:
      - .offset:         0
        .size:           4
        .value_kind:     by_value
      - .offset:         8
        .size:           8
        .value_kind:     by_value
      - .address_space:  global
        .offset:         16
        .size:           8
        .value_kind:     global_buffer
      - .offset:         24
        .size:           8
        .value_kind:     by_value
      - .offset:         32
        .size:           8
        .value_kind:     by_value
      - .address_space:  global
        .offset:         40
        .size:           8
        .value_kind:     global_buffer
      - .offset:         48
        .size:           8
        .value_kind:     by_value
      - .offset:         56
        .size:           8
        .value_kind:     by_value
      - .address_space:  global
        .offset:         64
        .size:           8
        .value_kind:     global_buffer
      - .offset:         72
        .size:           8
        .value_kind:     by_value
      - .offset:         80
        .size:           8
        .value_kind:     by_value
      - .offset:         88
        .size:           4
        .value_kind:     by_value
    .group_segment_fixed_size: 8192
    .kernarg_segment_align: 8
    .kernarg_segment_size: 92
    .language:       OpenCL C
    .language_version:
      - 2
      - 0
    .max_flat_workgroup_size: 256
    .name:           _ZL37rocblas_syrkx_herkx_restricted_kernelIl19rocblas_complex_numIdELi16ELi32ELi8ELi1ELin1ELb1ELc84ELc85EKS1_S1_EviT_PT9_S3_lS5_S3_lPT10_S3_li
    .private_segment_fixed_size: 0
    .sgpr_count:     34
    .sgpr_spill_count: 0
    .symbol:         _ZL37rocblas_syrkx_herkx_restricted_kernelIl19rocblas_complex_numIdELi16ELi32ELi8ELi1ELin1ELb1ELc84ELc85EKS1_S1_EviT_PT9_S3_lS5_S3_lPT10_S3_li.kd
    .uniform_work_group_size: 1
    .uses_dynamic_stack: false
    .vgpr_count:     118
    .vgpr_spill_count: 0
    .wavefront_size: 32
    .workgroup_processor_mode: 1
  - .args:
      - .offset:         0
        .size:           4
        .value_kind:     by_value
      - .offset:         8
        .size:           8
        .value_kind:     by_value
      - .address_space:  global
        .offset:         16
        .size:           8
        .value_kind:     global_buffer
      - .offset:         24
        .size:           8
        .value_kind:     by_value
      - .offset:         32
        .size:           8
        .value_kind:     by_value
      - .address_space:  global
        .offset:         40
        .size:           8
        .value_kind:     global_buffer
      - .offset:         48
        .size:           8
        .value_kind:     by_value
      - .offset:         56
        .size:           8
        .value_kind:     by_value
      - .address_space:  global
        .offset:         64
        .size:           8
        .value_kind:     global_buffer
      - .offset:         72
        .size:           8
        .value_kind:     by_value
      - .offset:         80
        .size:           8
        .value_kind:     by_value
      - .offset:         88
        .size:           4
        .value_kind:     by_value
    .group_segment_fixed_size: 8192
    .kernarg_segment_align: 8
    .kernarg_segment_size: 92
    .language:       OpenCL C
    .language_version:
      - 2
      - 0
    .max_flat_workgroup_size: 256
    .name:           _ZL37rocblas_syrkx_herkx_restricted_kernelIl19rocblas_complex_numIdELi16ELi32ELi8ELi1ELin1ELb1ELc67ELc85EKS1_S1_EviT_PT9_S3_lS5_S3_lPT10_S3_li
    .private_segment_fixed_size: 0
    .sgpr_count:     34
    .sgpr_spill_count: 0
    .symbol:         _ZL37rocblas_syrkx_herkx_restricted_kernelIl19rocblas_complex_numIdELi16ELi32ELi8ELi1ELin1ELb1ELc67ELc85EKS1_S1_EviT_PT9_S3_lS5_S3_lPT10_S3_li.kd
    .uniform_work_group_size: 1
    .uses_dynamic_stack: false
    .vgpr_count:     118
    .vgpr_spill_count: 0
    .wavefront_size: 32
    .workgroup_processor_mode: 1
  - .args:
      - .offset:         0
        .size:           4
        .value_kind:     by_value
      - .offset:         8
        .size:           8
        .value_kind:     by_value
      - .address_space:  global
        .offset:         16
        .size:           8
        .value_kind:     global_buffer
      - .offset:         24
        .size:           8
        .value_kind:     by_value
      - .offset:         32
        .size:           8
        .value_kind:     by_value
      - .address_space:  global
        .offset:         40
        .size:           8
        .value_kind:     global_buffer
      - .offset:         48
        .size:           8
        .value_kind:     by_value
      - .offset:         56
        .size:           8
        .value_kind:     by_value
      - .address_space:  global
        .offset:         64
        .size:           8
        .value_kind:     global_buffer
      - .offset:         72
        .size:           8
        .value_kind:     by_value
      - .offset:         80
        .size:           8
        .value_kind:     by_value
      - .offset:         88
        .size:           4
        .value_kind:     by_value
    .group_segment_fixed_size: 8192
    .kernarg_segment_align: 8
    .kernarg_segment_size: 92
    .language:       OpenCL C
    .language_version:
      - 2
      - 0
    .max_flat_workgroup_size: 256
    .name:           _ZL37rocblas_syrkx_herkx_restricted_kernelIl19rocblas_complex_numIdELi16ELi32ELi8ELi1ELin1ELb1ELc78ELc85EKS1_S1_EviT_PT9_S3_lS5_S3_lPT10_S3_li
    .private_segment_fixed_size: 0
    .sgpr_count:     34
    .sgpr_spill_count: 0
    .symbol:         _ZL37rocblas_syrkx_herkx_restricted_kernelIl19rocblas_complex_numIdELi16ELi32ELi8ELi1ELin1ELb1ELc78ELc85EKS1_S1_EviT_PT9_S3_lS5_S3_lPT10_S3_li.kd
    .uniform_work_group_size: 1
    .uses_dynamic_stack: false
    .vgpr_count:     118
    .vgpr_spill_count: 0
    .wavefront_size: 32
    .workgroup_processor_mode: 1
  - .args:
      - .offset:         0
        .size:           4
        .value_kind:     by_value
      - .offset:         8
        .size:           8
        .value_kind:     by_value
      - .address_space:  global
        .offset:         16
        .size:           8
        .value_kind:     global_buffer
      - .offset:         24
        .size:           8
        .value_kind:     by_value
      - .offset:         32
        .size:           8
        .value_kind:     by_value
      - .address_space:  global
        .offset:         40
        .size:           8
        .value_kind:     global_buffer
      - .offset:         48
        .size:           8
        .value_kind:     by_value
      - .offset:         56
        .size:           8
        .value_kind:     by_value
      - .address_space:  global
        .offset:         64
        .size:           8
        .value_kind:     global_buffer
      - .offset:         72
        .size:           8
        .value_kind:     by_value
      - .offset:         80
        .size:           8
        .value_kind:     by_value
      - .offset:         88
        .size:           4
        .value_kind:     by_value
    .group_segment_fixed_size: 8192
    .kernarg_segment_align: 8
    .kernarg_segment_size: 92
    .language:       OpenCL C
    .language_version:
      - 2
      - 0
    .max_flat_workgroup_size: 256
    .name:           _ZL37rocblas_syrkx_herkx_restricted_kernelIl19rocblas_complex_numIdELi16ELi32ELi8ELi1ELi0ELb1ELc84ELc76EKS1_S1_EviT_PT9_S3_lS5_S3_lPT10_S3_li
    .private_segment_fixed_size: 0
    .sgpr_count:     34
    .sgpr_spill_count: 0
    .symbol:         _ZL37rocblas_syrkx_herkx_restricted_kernelIl19rocblas_complex_numIdELi16ELi32ELi8ELi1ELi0ELb1ELc84ELc76EKS1_S1_EviT_PT9_S3_lS5_S3_lPT10_S3_li.kd
    .uniform_work_group_size: 1
    .uses_dynamic_stack: false
    .vgpr_count:     118
    .vgpr_spill_count: 0
    .wavefront_size: 32
    .workgroup_processor_mode: 1
  - .args:
      - .offset:         0
        .size:           4
        .value_kind:     by_value
      - .offset:         8
        .size:           8
        .value_kind:     by_value
      - .address_space:  global
        .offset:         16
        .size:           8
        .value_kind:     global_buffer
      - .offset:         24
        .size:           8
        .value_kind:     by_value
      - .offset:         32
        .size:           8
        .value_kind:     by_value
      - .address_space:  global
        .offset:         40
        .size:           8
        .value_kind:     global_buffer
      - .offset:         48
        .size:           8
        .value_kind:     by_value
      - .offset:         56
        .size:           8
        .value_kind:     by_value
      - .address_space:  global
        .offset:         64
        .size:           8
        .value_kind:     global_buffer
      - .offset:         72
        .size:           8
        .value_kind:     by_value
      - .offset:         80
        .size:           8
        .value_kind:     by_value
      - .offset:         88
        .size:           4
        .value_kind:     by_value
    .group_segment_fixed_size: 8192
    .kernarg_segment_align: 8
    .kernarg_segment_size: 92
    .language:       OpenCL C
    .language_version:
      - 2
      - 0
    .max_flat_workgroup_size: 256
    .name:           _ZL37rocblas_syrkx_herkx_restricted_kernelIl19rocblas_complex_numIdELi16ELi32ELi8ELi1ELi0ELb1ELc67ELc76EKS1_S1_EviT_PT9_S3_lS5_S3_lPT10_S3_li
    .private_segment_fixed_size: 0
    .sgpr_count:     34
    .sgpr_spill_count: 0
    .symbol:         _ZL37rocblas_syrkx_herkx_restricted_kernelIl19rocblas_complex_numIdELi16ELi32ELi8ELi1ELi0ELb1ELc67ELc76EKS1_S1_EviT_PT9_S3_lS5_S3_lPT10_S3_li.kd
    .uniform_work_group_size: 1
    .uses_dynamic_stack: false
    .vgpr_count:     118
    .vgpr_spill_count: 0
    .wavefront_size: 32
    .workgroup_processor_mode: 1
  - .args:
      - .offset:         0
        .size:           4
        .value_kind:     by_value
      - .offset:         8
        .size:           8
        .value_kind:     by_value
      - .address_space:  global
        .offset:         16
        .size:           8
        .value_kind:     global_buffer
      - .offset:         24
        .size:           8
        .value_kind:     by_value
      - .offset:         32
        .size:           8
        .value_kind:     by_value
      - .address_space:  global
        .offset:         40
        .size:           8
        .value_kind:     global_buffer
      - .offset:         48
        .size:           8
        .value_kind:     by_value
      - .offset:         56
        .size:           8
        .value_kind:     by_value
      - .address_space:  global
        .offset:         64
        .size:           8
        .value_kind:     global_buffer
      - .offset:         72
        .size:           8
        .value_kind:     by_value
      - .offset:         80
        .size:           8
        .value_kind:     by_value
      - .offset:         88
        .size:           4
        .value_kind:     by_value
    .group_segment_fixed_size: 8192
    .kernarg_segment_align: 8
    .kernarg_segment_size: 92
    .language:       OpenCL C
    .language_version:
      - 2
      - 0
    .max_flat_workgroup_size: 256
    .name:           _ZL37rocblas_syrkx_herkx_restricted_kernelIl19rocblas_complex_numIdELi16ELi32ELi8ELi1ELi0ELb1ELc78ELc76EKS1_S1_EviT_PT9_S3_lS5_S3_lPT10_S3_li
    .private_segment_fixed_size: 0
    .sgpr_count:     34
    .sgpr_spill_count: 0
    .symbol:         _ZL37rocblas_syrkx_herkx_restricted_kernelIl19rocblas_complex_numIdELi16ELi32ELi8ELi1ELi0ELb1ELc78ELc76EKS1_S1_EviT_PT9_S3_lS5_S3_lPT10_S3_li.kd
    .uniform_work_group_size: 1
    .uses_dynamic_stack: false
    .vgpr_count:     118
    .vgpr_spill_count: 0
    .wavefront_size: 32
    .workgroup_processor_mode: 1
  - .args:
      - .offset:         0
        .size:           4
        .value_kind:     by_value
      - .offset:         8
        .size:           8
        .value_kind:     by_value
      - .address_space:  global
        .offset:         16
        .size:           8
        .value_kind:     global_buffer
      - .offset:         24
        .size:           8
        .value_kind:     by_value
      - .offset:         32
        .size:           8
        .value_kind:     by_value
      - .address_space:  global
        .offset:         40
        .size:           8
        .value_kind:     global_buffer
      - .offset:         48
        .size:           8
        .value_kind:     by_value
      - .offset:         56
        .size:           8
        .value_kind:     by_value
      - .address_space:  global
        .offset:         64
        .size:           8
        .value_kind:     global_buffer
      - .offset:         72
        .size:           8
        .value_kind:     by_value
      - .offset:         80
        .size:           8
        .value_kind:     by_value
      - .offset:         88
        .size:           4
        .value_kind:     by_value
    .group_segment_fixed_size: 8192
    .kernarg_segment_align: 8
    .kernarg_segment_size: 92
    .language:       OpenCL C
    .language_version:
      - 2
      - 0
    .max_flat_workgroup_size: 256
    .name:           _ZL37rocblas_syrkx_herkx_restricted_kernelIl19rocblas_complex_numIdELi16ELi32ELi8ELi1ELi0ELb1ELc84ELc85EKS1_S1_EviT_PT9_S3_lS5_S3_lPT10_S3_li
    .private_segment_fixed_size: 0
    .sgpr_count:     34
    .sgpr_spill_count: 0
    .symbol:         _ZL37rocblas_syrkx_herkx_restricted_kernelIl19rocblas_complex_numIdELi16ELi32ELi8ELi1ELi0ELb1ELc84ELc85EKS1_S1_EviT_PT9_S3_lS5_S3_lPT10_S3_li.kd
    .uniform_work_group_size: 1
    .uses_dynamic_stack: false
    .vgpr_count:     118
    .vgpr_spill_count: 0
    .wavefront_size: 32
    .workgroup_processor_mode: 1
  - .args:
      - .offset:         0
        .size:           4
        .value_kind:     by_value
      - .offset:         8
        .size:           8
        .value_kind:     by_value
      - .address_space:  global
        .offset:         16
        .size:           8
        .value_kind:     global_buffer
      - .offset:         24
        .size:           8
        .value_kind:     by_value
      - .offset:         32
        .size:           8
        .value_kind:     by_value
      - .address_space:  global
        .offset:         40
        .size:           8
        .value_kind:     global_buffer
      - .offset:         48
        .size:           8
        .value_kind:     by_value
      - .offset:         56
        .size:           8
        .value_kind:     by_value
      - .address_space:  global
        .offset:         64
        .size:           8
        .value_kind:     global_buffer
      - .offset:         72
        .size:           8
        .value_kind:     by_value
      - .offset:         80
        .size:           8
        .value_kind:     by_value
      - .offset:         88
        .size:           4
        .value_kind:     by_value
    .group_segment_fixed_size: 8192
    .kernarg_segment_align: 8
    .kernarg_segment_size: 92
    .language:       OpenCL C
    .language_version:
      - 2
      - 0
    .max_flat_workgroup_size: 256
    .name:           _ZL37rocblas_syrkx_herkx_restricted_kernelIl19rocblas_complex_numIdELi16ELi32ELi8ELi1ELi0ELb1ELc67ELc85EKS1_S1_EviT_PT9_S3_lS5_S3_lPT10_S3_li
    .private_segment_fixed_size: 0
    .sgpr_count:     34
    .sgpr_spill_count: 0
    .symbol:         _ZL37rocblas_syrkx_herkx_restricted_kernelIl19rocblas_complex_numIdELi16ELi32ELi8ELi1ELi0ELb1ELc67ELc85EKS1_S1_EviT_PT9_S3_lS5_S3_lPT10_S3_li.kd
    .uniform_work_group_size: 1
    .uses_dynamic_stack: false
    .vgpr_count:     118
    .vgpr_spill_count: 0
    .wavefront_size: 32
    .workgroup_processor_mode: 1
  - .args:
      - .offset:         0
        .size:           4
        .value_kind:     by_value
      - .offset:         8
        .size:           8
        .value_kind:     by_value
      - .address_space:  global
        .offset:         16
        .size:           8
        .value_kind:     global_buffer
      - .offset:         24
        .size:           8
        .value_kind:     by_value
      - .offset:         32
        .size:           8
        .value_kind:     by_value
      - .address_space:  global
        .offset:         40
        .size:           8
        .value_kind:     global_buffer
      - .offset:         48
        .size:           8
        .value_kind:     by_value
      - .offset:         56
        .size:           8
        .value_kind:     by_value
      - .address_space:  global
        .offset:         64
        .size:           8
        .value_kind:     global_buffer
      - .offset:         72
        .size:           8
        .value_kind:     by_value
      - .offset:         80
        .size:           8
        .value_kind:     by_value
      - .offset:         88
        .size:           4
        .value_kind:     by_value
    .group_segment_fixed_size: 8192
    .kernarg_segment_align: 8
    .kernarg_segment_size: 92
    .language:       OpenCL C
    .language_version:
      - 2
      - 0
    .max_flat_workgroup_size: 256
    .name:           _ZL37rocblas_syrkx_herkx_restricted_kernelIl19rocblas_complex_numIdELi16ELi32ELi8ELi1ELi0ELb1ELc78ELc85EKS1_S1_EviT_PT9_S3_lS5_S3_lPT10_S3_li
    .private_segment_fixed_size: 0
    .sgpr_count:     34
    .sgpr_spill_count: 0
    .symbol:         _ZL37rocblas_syrkx_herkx_restricted_kernelIl19rocblas_complex_numIdELi16ELi32ELi8ELi1ELi0ELb1ELc78ELc85EKS1_S1_EviT_PT9_S3_lS5_S3_lPT10_S3_li.kd
    .uniform_work_group_size: 1
    .uses_dynamic_stack: false
    .vgpr_count:     118
    .vgpr_spill_count: 0
    .wavefront_size: 32
    .workgroup_processor_mode: 1
  - .args:
      - .offset:         0
        .size:           4
        .value_kind:     by_value
      - .offset:         8
        .size:           8
        .value_kind:     by_value
      - .address_space:  global
        .offset:         16
        .size:           8
        .value_kind:     global_buffer
      - .offset:         24
        .size:           8
        .value_kind:     by_value
      - .offset:         32
        .size:           8
        .value_kind:     by_value
      - .address_space:  global
        .offset:         40
        .size:           8
        .value_kind:     global_buffer
      - .offset:         48
        .size:           8
        .value_kind:     by_value
      - .offset:         56
        .size:           8
        .value_kind:     by_value
      - .address_space:  global
        .offset:         64
        .size:           8
        .value_kind:     global_buffer
      - .offset:         72
        .size:           8
        .value_kind:     by_value
      - .offset:         80
        .size:           8
        .value_kind:     by_value
      - .offset:         88
        .size:           4
        .value_kind:     by_value
    .group_segment_fixed_size: 8192
    .kernarg_segment_align: 8
    .kernarg_segment_size: 92
    .language:       OpenCL C
    .language_version:
      - 2
      - 0
    .max_flat_workgroup_size: 256
    .name:           _ZL37rocblas_syrkx_herkx_restricted_kernelIl19rocblas_complex_numIdELi16ELi32ELi8ELin1ELi0ELb1ELc84ELc76EKS1_S1_EviT_PT9_S3_lS5_S3_lPT10_S3_li
    .private_segment_fixed_size: 0
    .sgpr_count:     34
    .sgpr_spill_count: 0
    .symbol:         _ZL37rocblas_syrkx_herkx_restricted_kernelIl19rocblas_complex_numIdELi16ELi32ELi8ELin1ELi0ELb1ELc84ELc76EKS1_S1_EviT_PT9_S3_lS5_S3_lPT10_S3_li.kd
    .uniform_work_group_size: 1
    .uses_dynamic_stack: false
    .vgpr_count:     118
    .vgpr_spill_count: 0
    .wavefront_size: 32
    .workgroup_processor_mode: 1
  - .args:
      - .offset:         0
        .size:           4
        .value_kind:     by_value
      - .offset:         8
        .size:           8
        .value_kind:     by_value
      - .address_space:  global
        .offset:         16
        .size:           8
        .value_kind:     global_buffer
      - .offset:         24
        .size:           8
        .value_kind:     by_value
      - .offset:         32
        .size:           8
        .value_kind:     by_value
      - .address_space:  global
        .offset:         40
        .size:           8
        .value_kind:     global_buffer
      - .offset:         48
        .size:           8
        .value_kind:     by_value
      - .offset:         56
        .size:           8
        .value_kind:     by_value
      - .address_space:  global
        .offset:         64
        .size:           8
        .value_kind:     global_buffer
      - .offset:         72
        .size:           8
        .value_kind:     by_value
      - .offset:         80
        .size:           8
        .value_kind:     by_value
      - .offset:         88
        .size:           4
        .value_kind:     by_value
    .group_segment_fixed_size: 8192
    .kernarg_segment_align: 8
    .kernarg_segment_size: 92
    .language:       OpenCL C
    .language_version:
      - 2
      - 0
    .max_flat_workgroup_size: 256
    .name:           _ZL37rocblas_syrkx_herkx_restricted_kernelIl19rocblas_complex_numIdELi16ELi32ELi8ELin1ELi0ELb1ELc67ELc76EKS1_S1_EviT_PT9_S3_lS5_S3_lPT10_S3_li
    .private_segment_fixed_size: 0
    .sgpr_count:     34
    .sgpr_spill_count: 0
    .symbol:         _ZL37rocblas_syrkx_herkx_restricted_kernelIl19rocblas_complex_numIdELi16ELi32ELi8ELin1ELi0ELb1ELc67ELc76EKS1_S1_EviT_PT9_S3_lS5_S3_lPT10_S3_li.kd
    .uniform_work_group_size: 1
    .uses_dynamic_stack: false
    .vgpr_count:     118
    .vgpr_spill_count: 0
    .wavefront_size: 32
    .workgroup_processor_mode: 1
  - .args:
      - .offset:         0
        .size:           4
        .value_kind:     by_value
      - .offset:         8
        .size:           8
        .value_kind:     by_value
      - .address_space:  global
        .offset:         16
        .size:           8
        .value_kind:     global_buffer
      - .offset:         24
        .size:           8
        .value_kind:     by_value
      - .offset:         32
        .size:           8
        .value_kind:     by_value
      - .address_space:  global
        .offset:         40
        .size:           8
        .value_kind:     global_buffer
      - .offset:         48
        .size:           8
        .value_kind:     by_value
      - .offset:         56
        .size:           8
        .value_kind:     by_value
      - .address_space:  global
        .offset:         64
        .size:           8
        .value_kind:     global_buffer
      - .offset:         72
        .size:           8
        .value_kind:     by_value
      - .offset:         80
        .size:           8
        .value_kind:     by_value
      - .offset:         88
        .size:           4
        .value_kind:     by_value
    .group_segment_fixed_size: 8192
    .kernarg_segment_align: 8
    .kernarg_segment_size: 92
    .language:       OpenCL C
    .language_version:
      - 2
      - 0
    .max_flat_workgroup_size: 256
    .name:           _ZL37rocblas_syrkx_herkx_restricted_kernelIl19rocblas_complex_numIdELi16ELi32ELi8ELin1ELi0ELb1ELc78ELc76EKS1_S1_EviT_PT9_S3_lS5_S3_lPT10_S3_li
    .private_segment_fixed_size: 0
    .sgpr_count:     34
    .sgpr_spill_count: 0
    .symbol:         _ZL37rocblas_syrkx_herkx_restricted_kernelIl19rocblas_complex_numIdELi16ELi32ELi8ELin1ELi0ELb1ELc78ELc76EKS1_S1_EviT_PT9_S3_lS5_S3_lPT10_S3_li.kd
    .uniform_work_group_size: 1
    .uses_dynamic_stack: false
    .vgpr_count:     118
    .vgpr_spill_count: 0
    .wavefront_size: 32
    .workgroup_processor_mode: 1
  - .args:
      - .offset:         0
        .size:           4
        .value_kind:     by_value
      - .offset:         8
        .size:           8
        .value_kind:     by_value
      - .address_space:  global
        .offset:         16
        .size:           8
        .value_kind:     global_buffer
      - .offset:         24
        .size:           8
        .value_kind:     by_value
      - .offset:         32
        .size:           8
        .value_kind:     by_value
      - .address_space:  global
        .offset:         40
        .size:           8
        .value_kind:     global_buffer
      - .offset:         48
        .size:           8
        .value_kind:     by_value
      - .offset:         56
        .size:           8
        .value_kind:     by_value
      - .address_space:  global
        .offset:         64
        .size:           8
        .value_kind:     global_buffer
      - .offset:         72
        .size:           8
        .value_kind:     by_value
      - .offset:         80
        .size:           8
        .value_kind:     by_value
      - .offset:         88
        .size:           4
        .value_kind:     by_value
    .group_segment_fixed_size: 8192
    .kernarg_segment_align: 8
    .kernarg_segment_size: 92
    .language:       OpenCL C
    .language_version:
      - 2
      - 0
    .max_flat_workgroup_size: 256
    .name:           _ZL37rocblas_syrkx_herkx_restricted_kernelIl19rocblas_complex_numIdELi16ELi32ELi8ELin1ELi0ELb1ELc84ELc85EKS1_S1_EviT_PT9_S3_lS5_S3_lPT10_S3_li
    .private_segment_fixed_size: 0
    .sgpr_count:     34
    .sgpr_spill_count: 0
    .symbol:         _ZL37rocblas_syrkx_herkx_restricted_kernelIl19rocblas_complex_numIdELi16ELi32ELi8ELin1ELi0ELb1ELc84ELc85EKS1_S1_EviT_PT9_S3_lS5_S3_lPT10_S3_li.kd
    .uniform_work_group_size: 1
    .uses_dynamic_stack: false
    .vgpr_count:     118
    .vgpr_spill_count: 0
    .wavefront_size: 32
    .workgroup_processor_mode: 1
  - .args:
      - .offset:         0
        .size:           4
        .value_kind:     by_value
      - .offset:         8
        .size:           8
        .value_kind:     by_value
      - .address_space:  global
        .offset:         16
        .size:           8
        .value_kind:     global_buffer
      - .offset:         24
        .size:           8
        .value_kind:     by_value
      - .offset:         32
        .size:           8
        .value_kind:     by_value
      - .address_space:  global
        .offset:         40
        .size:           8
        .value_kind:     global_buffer
      - .offset:         48
        .size:           8
        .value_kind:     by_value
      - .offset:         56
        .size:           8
        .value_kind:     by_value
      - .address_space:  global
        .offset:         64
        .size:           8
        .value_kind:     global_buffer
      - .offset:         72
        .size:           8
        .value_kind:     by_value
      - .offset:         80
        .size:           8
        .value_kind:     by_value
      - .offset:         88
        .size:           4
        .value_kind:     by_value
    .group_segment_fixed_size: 8192
    .kernarg_segment_align: 8
    .kernarg_segment_size: 92
    .language:       OpenCL C
    .language_version:
      - 2
      - 0
    .max_flat_workgroup_size: 256
    .name:           _ZL37rocblas_syrkx_herkx_restricted_kernelIl19rocblas_complex_numIdELi16ELi32ELi8ELin1ELi0ELb1ELc67ELc85EKS1_S1_EviT_PT9_S3_lS5_S3_lPT10_S3_li
    .private_segment_fixed_size: 0
    .sgpr_count:     34
    .sgpr_spill_count: 0
    .symbol:         _ZL37rocblas_syrkx_herkx_restricted_kernelIl19rocblas_complex_numIdELi16ELi32ELi8ELin1ELi0ELb1ELc67ELc85EKS1_S1_EviT_PT9_S3_lS5_S3_lPT10_S3_li.kd
    .uniform_work_group_size: 1
    .uses_dynamic_stack: false
    .vgpr_count:     118
    .vgpr_spill_count: 0
    .wavefront_size: 32
    .workgroup_processor_mode: 1
  - .args:
      - .offset:         0
        .size:           4
        .value_kind:     by_value
      - .offset:         8
        .size:           8
        .value_kind:     by_value
      - .address_space:  global
        .offset:         16
        .size:           8
        .value_kind:     global_buffer
      - .offset:         24
        .size:           8
        .value_kind:     by_value
      - .offset:         32
        .size:           8
        .value_kind:     by_value
      - .address_space:  global
        .offset:         40
        .size:           8
        .value_kind:     global_buffer
      - .offset:         48
        .size:           8
        .value_kind:     by_value
      - .offset:         56
        .size:           8
        .value_kind:     by_value
      - .address_space:  global
        .offset:         64
        .size:           8
        .value_kind:     global_buffer
      - .offset:         72
        .size:           8
        .value_kind:     by_value
      - .offset:         80
        .size:           8
        .value_kind:     by_value
      - .offset:         88
        .size:           4
        .value_kind:     by_value
    .group_segment_fixed_size: 8192
    .kernarg_segment_align: 8
    .kernarg_segment_size: 92
    .language:       OpenCL C
    .language_version:
      - 2
      - 0
    .max_flat_workgroup_size: 256
    .name:           _ZL37rocblas_syrkx_herkx_restricted_kernelIl19rocblas_complex_numIdELi16ELi32ELi8ELin1ELi0ELb1ELc78ELc85EKS1_S1_EviT_PT9_S3_lS5_S3_lPT10_S3_li
    .private_segment_fixed_size: 0
    .sgpr_count:     34
    .sgpr_spill_count: 0
    .symbol:         _ZL37rocblas_syrkx_herkx_restricted_kernelIl19rocblas_complex_numIdELi16ELi32ELi8ELin1ELi0ELb1ELc78ELc85EKS1_S1_EviT_PT9_S3_lS5_S3_lPT10_S3_li.kd
    .uniform_work_group_size: 1
    .uses_dynamic_stack: false
    .vgpr_count:     118
    .vgpr_spill_count: 0
    .wavefront_size: 32
    .workgroup_processor_mode: 1
  - .args:
      - .offset:         0
        .size:           4
        .value_kind:     by_value
      - .offset:         8
        .size:           8
        .value_kind:     by_value
      - .offset:         16
        .size:           16
        .value_kind:     by_value
      - .address_space:  global
        .offset:         32
        .size:           8
        .value_kind:     global_buffer
      - .offset:         40
        .size:           8
        .value_kind:     by_value
      - .offset:         48
        .size:           8
        .value_kind:     by_value
      - .address_space:  global
        .offset:         56
        .size:           8
        .value_kind:     global_buffer
      - .offset:         64
        .size:           8
        .value_kind:     by_value
      - .offset:         72
        .size:           8
        .value_kind:     by_value
      - .offset:         80
        .size:           16
        .value_kind:     by_value
      - .address_space:  global
        .offset:         96
        .size:           8
        .value_kind:     global_buffer
      - .offset:         104
        .size:           8
        .value_kind:     by_value
      - .offset:         112
        .size:           8
        .value_kind:     by_value
      - .offset:         120
        .size:           4
        .value_kind:     by_value
    .group_segment_fixed_size: 8192
    .kernarg_segment_align: 8
    .kernarg_segment_size: 124
    .language:       OpenCL C
    .language_version:
      - 2
      - 0
    .max_flat_workgroup_size: 256
    .name:           _ZL37rocblas_syrkx_herkx_restricted_kernelIl19rocblas_complex_numIdELi16ELi32ELi8ELb1ELb1ELc84ELc76EKS1_S1_EviT_T0_PT8_S3_lS6_S3_lS4_PT9_S3_li
    .private_segment_fixed_size: 0
    .sgpr_count:     34
    .sgpr_spill_count: 0
    .symbol:         _ZL37rocblas_syrkx_herkx_restricted_kernelIl19rocblas_complex_numIdELi16ELi32ELi8ELb1ELb1ELc84ELc76EKS1_S1_EviT_T0_PT8_S3_lS6_S3_lS4_PT9_S3_li.kd
    .uniform_work_group_size: 1
    .uses_dynamic_stack: false
    .vgpr_count:     118
    .vgpr_spill_count: 0
    .wavefront_size: 32
    .workgroup_processor_mode: 1
  - .args:
      - .offset:         0
        .size:           4
        .value_kind:     by_value
      - .offset:         8
        .size:           8
        .value_kind:     by_value
      - .offset:         16
        .size:           16
        .value_kind:     by_value
      - .address_space:  global
        .offset:         32
        .size:           8
        .value_kind:     global_buffer
      - .offset:         40
        .size:           8
        .value_kind:     by_value
      - .offset:         48
        .size:           8
        .value_kind:     by_value
      - .address_space:  global
        .offset:         56
        .size:           8
        .value_kind:     global_buffer
      - .offset:         64
        .size:           8
        .value_kind:     by_value
      - .offset:         72
        .size:           8
        .value_kind:     by_value
      - .offset:         80
        .size:           16
        .value_kind:     by_value
      - .address_space:  global
        .offset:         96
        .size:           8
        .value_kind:     global_buffer
      - .offset:         104
        .size:           8
        .value_kind:     by_value
      - .offset:         112
        .size:           8
        .value_kind:     by_value
      - .offset:         120
        .size:           4
        .value_kind:     by_value
    .group_segment_fixed_size: 8192
    .kernarg_segment_align: 8
    .kernarg_segment_size: 124
    .language:       OpenCL C
    .language_version:
      - 2
      - 0
    .max_flat_workgroup_size: 256
    .name:           _ZL37rocblas_syrkx_herkx_restricted_kernelIl19rocblas_complex_numIdELi16ELi32ELi8ELb1ELb1ELc67ELc76EKS1_S1_EviT_T0_PT8_S3_lS6_S3_lS4_PT9_S3_li
    .private_segment_fixed_size: 0
    .sgpr_count:     34
    .sgpr_spill_count: 0
    .symbol:         _ZL37rocblas_syrkx_herkx_restricted_kernelIl19rocblas_complex_numIdELi16ELi32ELi8ELb1ELb1ELc67ELc76EKS1_S1_EviT_T0_PT8_S3_lS6_S3_lS4_PT9_S3_li.kd
    .uniform_work_group_size: 1
    .uses_dynamic_stack: false
    .vgpr_count:     118
    .vgpr_spill_count: 0
    .wavefront_size: 32
    .workgroup_processor_mode: 1
  - .args:
      - .offset:         0
        .size:           4
        .value_kind:     by_value
      - .offset:         8
        .size:           8
        .value_kind:     by_value
      - .offset:         16
        .size:           16
        .value_kind:     by_value
      - .address_space:  global
        .offset:         32
        .size:           8
        .value_kind:     global_buffer
      - .offset:         40
        .size:           8
        .value_kind:     by_value
      - .offset:         48
        .size:           8
        .value_kind:     by_value
      - .address_space:  global
        .offset:         56
        .size:           8
        .value_kind:     global_buffer
      - .offset:         64
        .size:           8
        .value_kind:     by_value
      - .offset:         72
        .size:           8
        .value_kind:     by_value
      - .offset:         80
        .size:           16
        .value_kind:     by_value
      - .address_space:  global
        .offset:         96
        .size:           8
        .value_kind:     global_buffer
      - .offset:         104
        .size:           8
        .value_kind:     by_value
      - .offset:         112
        .size:           8
        .value_kind:     by_value
      - .offset:         120
        .size:           4
        .value_kind:     by_value
    .group_segment_fixed_size: 8192
    .kernarg_segment_align: 8
    .kernarg_segment_size: 124
    .language:       OpenCL C
    .language_version:
      - 2
      - 0
    .max_flat_workgroup_size: 256
    .name:           _ZL37rocblas_syrkx_herkx_restricted_kernelIl19rocblas_complex_numIdELi16ELi32ELi8ELb1ELb1ELc78ELc76EKS1_S1_EviT_T0_PT8_S3_lS6_S3_lS4_PT9_S3_li
    .private_segment_fixed_size: 0
    .sgpr_count:     34
    .sgpr_spill_count: 0
    .symbol:         _ZL37rocblas_syrkx_herkx_restricted_kernelIl19rocblas_complex_numIdELi16ELi32ELi8ELb1ELb1ELc78ELc76EKS1_S1_EviT_T0_PT8_S3_lS6_S3_lS4_PT9_S3_li.kd
    .uniform_work_group_size: 1
    .uses_dynamic_stack: false
    .vgpr_count:     118
    .vgpr_spill_count: 0
    .wavefront_size: 32
    .workgroup_processor_mode: 1
  - .args:
      - .offset:         0
        .size:           4
        .value_kind:     by_value
      - .offset:         8
        .size:           8
        .value_kind:     by_value
      - .offset:         16
        .size:           16
        .value_kind:     by_value
      - .address_space:  global
        .offset:         32
        .size:           8
        .value_kind:     global_buffer
      - .offset:         40
        .size:           8
        .value_kind:     by_value
      - .offset:         48
        .size:           8
        .value_kind:     by_value
      - .address_space:  global
        .offset:         56
        .size:           8
        .value_kind:     global_buffer
      - .offset:         64
        .size:           8
        .value_kind:     by_value
      - .offset:         72
        .size:           8
        .value_kind:     by_value
      - .offset:         80
        .size:           16
        .value_kind:     by_value
      - .address_space:  global
        .offset:         96
        .size:           8
        .value_kind:     global_buffer
      - .offset:         104
        .size:           8
        .value_kind:     by_value
      - .offset:         112
        .size:           8
        .value_kind:     by_value
      - .offset:         120
        .size:           4
        .value_kind:     by_value
    .group_segment_fixed_size: 8192
    .kernarg_segment_align: 8
    .kernarg_segment_size: 124
    .language:       OpenCL C
    .language_version:
      - 2
      - 0
    .max_flat_workgroup_size: 256
    .name:           _ZL37rocblas_syrkx_herkx_restricted_kernelIl19rocblas_complex_numIdELi16ELi32ELi8ELb1ELb1ELc84ELc85EKS1_S1_EviT_T0_PT8_S3_lS6_S3_lS4_PT9_S3_li
    .private_segment_fixed_size: 0
    .sgpr_count:     34
    .sgpr_spill_count: 0
    .symbol:         _ZL37rocblas_syrkx_herkx_restricted_kernelIl19rocblas_complex_numIdELi16ELi32ELi8ELb1ELb1ELc84ELc85EKS1_S1_EviT_T0_PT8_S3_lS6_S3_lS4_PT9_S3_li.kd
    .uniform_work_group_size: 1
    .uses_dynamic_stack: false
    .vgpr_count:     118
    .vgpr_spill_count: 0
    .wavefront_size: 32
    .workgroup_processor_mode: 1
  - .args:
      - .offset:         0
        .size:           4
        .value_kind:     by_value
      - .offset:         8
        .size:           8
        .value_kind:     by_value
      - .offset:         16
        .size:           16
        .value_kind:     by_value
      - .address_space:  global
        .offset:         32
        .size:           8
        .value_kind:     global_buffer
      - .offset:         40
        .size:           8
        .value_kind:     by_value
      - .offset:         48
        .size:           8
        .value_kind:     by_value
      - .address_space:  global
        .offset:         56
        .size:           8
        .value_kind:     global_buffer
      - .offset:         64
        .size:           8
        .value_kind:     by_value
      - .offset:         72
        .size:           8
        .value_kind:     by_value
      - .offset:         80
        .size:           16
        .value_kind:     by_value
      - .address_space:  global
        .offset:         96
        .size:           8
        .value_kind:     global_buffer
      - .offset:         104
        .size:           8
        .value_kind:     by_value
      - .offset:         112
        .size:           8
        .value_kind:     by_value
      - .offset:         120
        .size:           4
        .value_kind:     by_value
    .group_segment_fixed_size: 8192
    .kernarg_segment_align: 8
    .kernarg_segment_size: 124
    .language:       OpenCL C
    .language_version:
      - 2
      - 0
    .max_flat_workgroup_size: 256
    .name:           _ZL37rocblas_syrkx_herkx_restricted_kernelIl19rocblas_complex_numIdELi16ELi32ELi8ELb1ELb1ELc67ELc85EKS1_S1_EviT_T0_PT8_S3_lS6_S3_lS4_PT9_S3_li
    .private_segment_fixed_size: 0
    .sgpr_count:     34
    .sgpr_spill_count: 0
    .symbol:         _ZL37rocblas_syrkx_herkx_restricted_kernelIl19rocblas_complex_numIdELi16ELi32ELi8ELb1ELb1ELc67ELc85EKS1_S1_EviT_T0_PT8_S3_lS6_S3_lS4_PT9_S3_li.kd
    .uniform_work_group_size: 1
    .uses_dynamic_stack: false
    .vgpr_count:     118
    .vgpr_spill_count: 0
    .wavefront_size: 32
    .workgroup_processor_mode: 1
  - .args:
      - .offset:         0
        .size:           4
        .value_kind:     by_value
      - .offset:         8
        .size:           8
        .value_kind:     by_value
      - .offset:         16
        .size:           16
        .value_kind:     by_value
      - .address_space:  global
        .offset:         32
        .size:           8
        .value_kind:     global_buffer
      - .offset:         40
        .size:           8
        .value_kind:     by_value
      - .offset:         48
        .size:           8
        .value_kind:     by_value
      - .address_space:  global
        .offset:         56
        .size:           8
        .value_kind:     global_buffer
      - .offset:         64
        .size:           8
        .value_kind:     by_value
      - .offset:         72
        .size:           8
        .value_kind:     by_value
      - .offset:         80
        .size:           16
        .value_kind:     by_value
      - .address_space:  global
        .offset:         96
        .size:           8
        .value_kind:     global_buffer
      - .offset:         104
        .size:           8
        .value_kind:     by_value
      - .offset:         112
        .size:           8
        .value_kind:     by_value
      - .offset:         120
        .size:           4
        .value_kind:     by_value
    .group_segment_fixed_size: 8192
    .kernarg_segment_align: 8
    .kernarg_segment_size: 124
    .language:       OpenCL C
    .language_version:
      - 2
      - 0
    .max_flat_workgroup_size: 256
    .name:           _ZL37rocblas_syrkx_herkx_restricted_kernelIl19rocblas_complex_numIdELi16ELi32ELi8ELb1ELb1ELc78ELc85EKS1_S1_EviT_T0_PT8_S3_lS6_S3_lS4_PT9_S3_li
    .private_segment_fixed_size: 0
    .sgpr_count:     34
    .sgpr_spill_count: 0
    .symbol:         _ZL37rocblas_syrkx_herkx_restricted_kernelIl19rocblas_complex_numIdELi16ELi32ELi8ELb1ELb1ELc78ELc85EKS1_S1_EviT_T0_PT8_S3_lS6_S3_lS4_PT9_S3_li.kd
    .uniform_work_group_size: 1
    .uses_dynamic_stack: false
    .vgpr_count:     118
    .vgpr_spill_count: 0
    .wavefront_size: 32
    .workgroup_processor_mode: 1
  - .args:
      - .offset:         0
        .size:           4
        .value_kind:     by_value
      - .offset:         8
        .size:           8
        .value_kind:     by_value
      - .offset:         16
        .size:           16
        .value_kind:     by_value
      - .address_space:  global
        .offset:         32
        .size:           8
        .value_kind:     global_buffer
      - .offset:         40
        .size:           8
        .value_kind:     by_value
      - .offset:         48
        .size:           8
        .value_kind:     by_value
      - .address_space:  global
        .offset:         56
        .size:           8
        .value_kind:     global_buffer
      - .offset:         64
        .size:           8
        .value_kind:     by_value
      - .offset:         72
        .size:           8
        .value_kind:     by_value
      - .offset:         80
        .size:           16
        .value_kind:     by_value
      - .address_space:  global
        .offset:         96
        .size:           8
        .value_kind:     global_buffer
      - .offset:         104
        .size:           8
        .value_kind:     by_value
      - .offset:         112
        .size:           8
        .value_kind:     by_value
      - .offset:         120
        .size:           4
        .value_kind:     by_value
    .group_segment_fixed_size: 8192
    .kernarg_segment_align: 8
    .kernarg_segment_size: 124
    .language:       OpenCL C
    .language_version:
      - 2
      - 0
    .max_flat_workgroup_size: 256
    .name:           _ZL37rocblas_syrkx_herkx_restricted_kernelIl19rocblas_complex_numIdELi16ELi32ELi8ELb0ELb1ELc84ELc76EKS1_S1_EviT_T0_PT8_S3_lS6_S3_lS4_PT9_S3_li
    .private_segment_fixed_size: 0
    .sgpr_count:     42
    .sgpr_spill_count: 0
    .symbol:         _ZL37rocblas_syrkx_herkx_restricted_kernelIl19rocblas_complex_numIdELi16ELi32ELi8ELb0ELb1ELc84ELc76EKS1_S1_EviT_T0_PT8_S3_lS6_S3_lS4_PT9_S3_li.kd
    .uniform_work_group_size: 1
    .uses_dynamic_stack: false
    .vgpr_count:     52
    .vgpr_spill_count: 0
    .wavefront_size: 32
    .workgroup_processor_mode: 1
  - .args:
      - .offset:         0
        .size:           4
        .value_kind:     by_value
      - .offset:         8
        .size:           8
        .value_kind:     by_value
      - .offset:         16
        .size:           16
        .value_kind:     by_value
      - .address_space:  global
        .offset:         32
        .size:           8
        .value_kind:     global_buffer
      - .offset:         40
        .size:           8
        .value_kind:     by_value
      - .offset:         48
        .size:           8
        .value_kind:     by_value
      - .address_space:  global
        .offset:         56
        .size:           8
        .value_kind:     global_buffer
      - .offset:         64
        .size:           8
        .value_kind:     by_value
      - .offset:         72
        .size:           8
        .value_kind:     by_value
      - .offset:         80
        .size:           16
        .value_kind:     by_value
      - .address_space:  global
        .offset:         96
        .size:           8
        .value_kind:     global_buffer
      - .offset:         104
        .size:           8
        .value_kind:     by_value
      - .offset:         112
        .size:           8
        .value_kind:     by_value
      - .offset:         120
        .size:           4
        .value_kind:     by_value
    .group_segment_fixed_size: 8192
    .kernarg_segment_align: 8
    .kernarg_segment_size: 124
    .language:       OpenCL C
    .language_version:
      - 2
      - 0
    .max_flat_workgroup_size: 256
    .name:           _ZL37rocblas_syrkx_herkx_restricted_kernelIl19rocblas_complex_numIdELi16ELi32ELi8ELb0ELb1ELc67ELc76EKS1_S1_EviT_T0_PT8_S3_lS6_S3_lS4_PT9_S3_li
    .private_segment_fixed_size: 0
    .sgpr_count:     42
    .sgpr_spill_count: 0
    .symbol:         _ZL37rocblas_syrkx_herkx_restricted_kernelIl19rocblas_complex_numIdELi16ELi32ELi8ELb0ELb1ELc67ELc76EKS1_S1_EviT_T0_PT8_S3_lS6_S3_lS4_PT9_S3_li.kd
    .uniform_work_group_size: 1
    .uses_dynamic_stack: false
    .vgpr_count:     52
    .vgpr_spill_count: 0
    .wavefront_size: 32
    .workgroup_processor_mode: 1
  - .args:
      - .offset:         0
        .size:           4
        .value_kind:     by_value
      - .offset:         8
        .size:           8
        .value_kind:     by_value
      - .offset:         16
        .size:           16
        .value_kind:     by_value
      - .address_space:  global
        .offset:         32
        .size:           8
        .value_kind:     global_buffer
      - .offset:         40
        .size:           8
        .value_kind:     by_value
      - .offset:         48
        .size:           8
        .value_kind:     by_value
      - .address_space:  global
        .offset:         56
        .size:           8
        .value_kind:     global_buffer
      - .offset:         64
        .size:           8
        .value_kind:     by_value
      - .offset:         72
        .size:           8
        .value_kind:     by_value
      - .offset:         80
        .size:           16
        .value_kind:     by_value
      - .address_space:  global
        .offset:         96
        .size:           8
        .value_kind:     global_buffer
      - .offset:         104
        .size:           8
        .value_kind:     by_value
      - .offset:         112
        .size:           8
        .value_kind:     by_value
      - .offset:         120
        .size:           4
        .value_kind:     by_value
    .group_segment_fixed_size: 8192
    .kernarg_segment_align: 8
    .kernarg_segment_size: 124
    .language:       OpenCL C
    .language_version:
      - 2
      - 0
    .max_flat_workgroup_size: 256
    .name:           _ZL37rocblas_syrkx_herkx_restricted_kernelIl19rocblas_complex_numIdELi16ELi32ELi8ELb0ELb1ELc78ELc76EKS1_S1_EviT_T0_PT8_S3_lS6_S3_lS4_PT9_S3_li
    .private_segment_fixed_size: 0
    .sgpr_count:     42
    .sgpr_spill_count: 0
    .symbol:         _ZL37rocblas_syrkx_herkx_restricted_kernelIl19rocblas_complex_numIdELi16ELi32ELi8ELb0ELb1ELc78ELc76EKS1_S1_EviT_T0_PT8_S3_lS6_S3_lS4_PT9_S3_li.kd
    .uniform_work_group_size: 1
    .uses_dynamic_stack: false
    .vgpr_count:     52
    .vgpr_spill_count: 0
    .wavefront_size: 32
    .workgroup_processor_mode: 1
  - .args:
      - .offset:         0
        .size:           4
        .value_kind:     by_value
      - .offset:         8
        .size:           8
        .value_kind:     by_value
      - .offset:         16
        .size:           16
        .value_kind:     by_value
      - .address_space:  global
        .offset:         32
        .size:           8
        .value_kind:     global_buffer
      - .offset:         40
        .size:           8
        .value_kind:     by_value
      - .offset:         48
        .size:           8
        .value_kind:     by_value
      - .address_space:  global
        .offset:         56
        .size:           8
        .value_kind:     global_buffer
      - .offset:         64
        .size:           8
        .value_kind:     by_value
      - .offset:         72
        .size:           8
        .value_kind:     by_value
      - .offset:         80
        .size:           16
        .value_kind:     by_value
      - .address_space:  global
        .offset:         96
        .size:           8
        .value_kind:     global_buffer
      - .offset:         104
        .size:           8
        .value_kind:     by_value
      - .offset:         112
        .size:           8
        .value_kind:     by_value
      - .offset:         120
        .size:           4
        .value_kind:     by_value
    .group_segment_fixed_size: 8192
    .kernarg_segment_align: 8
    .kernarg_segment_size: 124
    .language:       OpenCL C
    .language_version:
      - 2
      - 0
    .max_flat_workgroup_size: 256
    .name:           _ZL37rocblas_syrkx_herkx_restricted_kernelIl19rocblas_complex_numIdELi16ELi32ELi8ELb0ELb1ELc84ELc85EKS1_S1_EviT_T0_PT8_S3_lS6_S3_lS4_PT9_S3_li
    .private_segment_fixed_size: 0
    .sgpr_count:     42
    .sgpr_spill_count: 0
    .symbol:         _ZL37rocblas_syrkx_herkx_restricted_kernelIl19rocblas_complex_numIdELi16ELi32ELi8ELb0ELb1ELc84ELc85EKS1_S1_EviT_T0_PT8_S3_lS6_S3_lS4_PT9_S3_li.kd
    .uniform_work_group_size: 1
    .uses_dynamic_stack: false
    .vgpr_count:     52
    .vgpr_spill_count: 0
    .wavefront_size: 32
    .workgroup_processor_mode: 1
  - .args:
      - .offset:         0
        .size:           4
        .value_kind:     by_value
      - .offset:         8
        .size:           8
        .value_kind:     by_value
      - .offset:         16
        .size:           16
        .value_kind:     by_value
      - .address_space:  global
        .offset:         32
        .size:           8
        .value_kind:     global_buffer
      - .offset:         40
        .size:           8
        .value_kind:     by_value
      - .offset:         48
        .size:           8
        .value_kind:     by_value
      - .address_space:  global
        .offset:         56
        .size:           8
        .value_kind:     global_buffer
      - .offset:         64
        .size:           8
        .value_kind:     by_value
      - .offset:         72
        .size:           8
        .value_kind:     by_value
      - .offset:         80
        .size:           16
        .value_kind:     by_value
      - .address_space:  global
        .offset:         96
        .size:           8
        .value_kind:     global_buffer
      - .offset:         104
        .size:           8
        .value_kind:     by_value
      - .offset:         112
        .size:           8
        .value_kind:     by_value
      - .offset:         120
        .size:           4
        .value_kind:     by_value
    .group_segment_fixed_size: 8192
    .kernarg_segment_align: 8
    .kernarg_segment_size: 124
    .language:       OpenCL C
    .language_version:
      - 2
      - 0
    .max_flat_workgroup_size: 256
    .name:           _ZL37rocblas_syrkx_herkx_restricted_kernelIl19rocblas_complex_numIdELi16ELi32ELi8ELb0ELb1ELc67ELc85EKS1_S1_EviT_T0_PT8_S3_lS6_S3_lS4_PT9_S3_li
    .private_segment_fixed_size: 0
    .sgpr_count:     42
    .sgpr_spill_count: 0
    .symbol:         _ZL37rocblas_syrkx_herkx_restricted_kernelIl19rocblas_complex_numIdELi16ELi32ELi8ELb0ELb1ELc67ELc85EKS1_S1_EviT_T0_PT8_S3_lS6_S3_lS4_PT9_S3_li.kd
    .uniform_work_group_size: 1
    .uses_dynamic_stack: false
    .vgpr_count:     52
    .vgpr_spill_count: 0
    .wavefront_size: 32
    .workgroup_processor_mode: 1
  - .args:
      - .offset:         0
        .size:           4
        .value_kind:     by_value
      - .offset:         8
        .size:           8
        .value_kind:     by_value
      - .offset:         16
        .size:           16
        .value_kind:     by_value
      - .address_space:  global
        .offset:         32
        .size:           8
        .value_kind:     global_buffer
      - .offset:         40
        .size:           8
        .value_kind:     by_value
      - .offset:         48
        .size:           8
        .value_kind:     by_value
      - .address_space:  global
        .offset:         56
        .size:           8
        .value_kind:     global_buffer
      - .offset:         64
        .size:           8
        .value_kind:     by_value
      - .offset:         72
        .size:           8
        .value_kind:     by_value
      - .offset:         80
        .size:           16
        .value_kind:     by_value
      - .address_space:  global
        .offset:         96
        .size:           8
        .value_kind:     global_buffer
      - .offset:         104
        .size:           8
        .value_kind:     by_value
      - .offset:         112
        .size:           8
        .value_kind:     by_value
      - .offset:         120
        .size:           4
        .value_kind:     by_value
    .group_segment_fixed_size: 8192
    .kernarg_segment_align: 8
    .kernarg_segment_size: 124
    .language:       OpenCL C
    .language_version:
      - 2
      - 0
    .max_flat_workgroup_size: 256
    .name:           _ZL37rocblas_syrkx_herkx_restricted_kernelIl19rocblas_complex_numIdELi16ELi32ELi8ELb0ELb1ELc78ELc85EKS1_S1_EviT_T0_PT8_S3_lS6_S3_lS4_PT9_S3_li
    .private_segment_fixed_size: 0
    .sgpr_count:     42
    .sgpr_spill_count: 0
    .symbol:         _ZL37rocblas_syrkx_herkx_restricted_kernelIl19rocblas_complex_numIdELi16ELi32ELi8ELb0ELb1ELc78ELc85EKS1_S1_EviT_T0_PT8_S3_lS6_S3_lS4_PT9_S3_li.kd
    .uniform_work_group_size: 1
    .uses_dynamic_stack: false
    .vgpr_count:     52
    .vgpr_spill_count: 0
    .wavefront_size: 32
    .workgroup_processor_mode: 1
  - .args:
      - .offset:         0
        .size:           4
        .value_kind:     by_value
      - .offset:         8
        .size:           8
        .value_kind:     by_value
      - .offset:         16
        .size:           16
        .value_kind:     by_value
      - .address_space:  global
        .offset:         32
        .size:           8
        .value_kind:     global_buffer
      - .offset:         40
        .size:           8
        .value_kind:     by_value
      - .offset:         48
        .size:           8
        .value_kind:     by_value
      - .address_space:  global
        .offset:         56
        .size:           8
        .value_kind:     global_buffer
      - .offset:         64
        .size:           8
        .value_kind:     by_value
      - .offset:         72
        .size:           8
        .value_kind:     by_value
      - .offset:         80
        .size:           16
        .value_kind:     by_value
      - .address_space:  global
        .offset:         96
        .size:           8
        .value_kind:     global_buffer
      - .offset:         104
        .size:           8
        .value_kind:     by_value
      - .offset:         112
        .size:           8
        .value_kind:     by_value
      - .offset:         120
        .size:           4
        .value_kind:     by_value
    .group_segment_fixed_size: 8192
    .kernarg_segment_align: 8
    .kernarg_segment_size: 124
    .language:       OpenCL C
    .language_version:
      - 2
      - 0
    .max_flat_workgroup_size: 256
    .name:           _ZL41rocblas_syrkx_herkx_small_restrict_kernelIl19rocblas_complex_numIdELi16ELb1ELb1ELc84ELc76EKS1_S1_EviT_T0_PT6_S3_lS6_S3_lS4_PT7_S3_li
    .private_segment_fixed_size: 0
    .sgpr_count:     34
    .sgpr_spill_count: 0
    .symbol:         _ZL41rocblas_syrkx_herkx_small_restrict_kernelIl19rocblas_complex_numIdELi16ELb1ELb1ELc84ELc76EKS1_S1_EviT_T0_PT6_S3_lS6_S3_lS4_PT7_S3_li.kd
    .uniform_work_group_size: 1
    .uses_dynamic_stack: false
    .vgpr_count:     48
    .vgpr_spill_count: 0
    .wavefront_size: 32
    .workgroup_processor_mode: 1
  - .args:
      - .offset:         0
        .size:           4
        .value_kind:     by_value
      - .offset:         8
        .size:           8
        .value_kind:     by_value
      - .offset:         16
        .size:           16
        .value_kind:     by_value
      - .address_space:  global
        .offset:         32
        .size:           8
        .value_kind:     global_buffer
      - .offset:         40
        .size:           8
        .value_kind:     by_value
      - .offset:         48
        .size:           8
        .value_kind:     by_value
      - .address_space:  global
        .offset:         56
        .size:           8
        .value_kind:     global_buffer
      - .offset:         64
        .size:           8
        .value_kind:     by_value
      - .offset:         72
        .size:           8
        .value_kind:     by_value
      - .offset:         80
        .size:           16
        .value_kind:     by_value
      - .address_space:  global
        .offset:         96
        .size:           8
        .value_kind:     global_buffer
      - .offset:         104
        .size:           8
        .value_kind:     by_value
      - .offset:         112
        .size:           8
        .value_kind:     by_value
      - .offset:         120
        .size:           4
        .value_kind:     by_value
    .group_segment_fixed_size: 8192
    .kernarg_segment_align: 8
    .kernarg_segment_size: 124
    .language:       OpenCL C
    .language_version:
      - 2
      - 0
    .max_flat_workgroup_size: 256
    .name:           _ZL41rocblas_syrkx_herkx_small_restrict_kernelIl19rocblas_complex_numIdELi16ELb1ELb1ELc67ELc76EKS1_S1_EviT_T0_PT6_S3_lS6_S3_lS4_PT7_S3_li
    .private_segment_fixed_size: 0
    .sgpr_count:     34
    .sgpr_spill_count: 0
    .symbol:         _ZL41rocblas_syrkx_herkx_small_restrict_kernelIl19rocblas_complex_numIdELi16ELb1ELb1ELc67ELc76EKS1_S1_EviT_T0_PT6_S3_lS6_S3_lS4_PT7_S3_li.kd
    .uniform_work_group_size: 1
    .uses_dynamic_stack: false
    .vgpr_count:     48
    .vgpr_spill_count: 0
    .wavefront_size: 32
    .workgroup_processor_mode: 1
  - .args:
      - .offset:         0
        .size:           4
        .value_kind:     by_value
      - .offset:         8
        .size:           8
        .value_kind:     by_value
      - .offset:         16
        .size:           16
        .value_kind:     by_value
      - .address_space:  global
        .offset:         32
        .size:           8
        .value_kind:     global_buffer
      - .offset:         40
        .size:           8
        .value_kind:     by_value
      - .offset:         48
        .size:           8
        .value_kind:     by_value
      - .address_space:  global
        .offset:         56
        .size:           8
        .value_kind:     global_buffer
      - .offset:         64
        .size:           8
        .value_kind:     by_value
      - .offset:         72
        .size:           8
        .value_kind:     by_value
      - .offset:         80
        .size:           16
        .value_kind:     by_value
      - .address_space:  global
        .offset:         96
        .size:           8
        .value_kind:     global_buffer
      - .offset:         104
        .size:           8
        .value_kind:     by_value
      - .offset:         112
        .size:           8
        .value_kind:     by_value
      - .offset:         120
        .size:           4
        .value_kind:     by_value
    .group_segment_fixed_size: 8192
    .kernarg_segment_align: 8
    .kernarg_segment_size: 124
    .language:       OpenCL C
    .language_version:
      - 2
      - 0
    .max_flat_workgroup_size: 256
    .name:           _ZL41rocblas_syrkx_herkx_small_restrict_kernelIl19rocblas_complex_numIdELi16ELb1ELb1ELc78ELc76EKS1_S1_EviT_T0_PT6_S3_lS6_S3_lS4_PT7_S3_li
    .private_segment_fixed_size: 0
    .sgpr_count:     34
    .sgpr_spill_count: 0
    .symbol:         _ZL41rocblas_syrkx_herkx_small_restrict_kernelIl19rocblas_complex_numIdELi16ELb1ELb1ELc78ELc76EKS1_S1_EviT_T0_PT6_S3_lS6_S3_lS4_PT7_S3_li.kd
    .uniform_work_group_size: 1
    .uses_dynamic_stack: false
    .vgpr_count:     48
    .vgpr_spill_count: 0
    .wavefront_size: 32
    .workgroup_processor_mode: 1
  - .args:
      - .offset:         0
        .size:           4
        .value_kind:     by_value
      - .offset:         8
        .size:           8
        .value_kind:     by_value
      - .offset:         16
        .size:           16
        .value_kind:     by_value
      - .address_space:  global
        .offset:         32
        .size:           8
        .value_kind:     global_buffer
      - .offset:         40
        .size:           8
        .value_kind:     by_value
      - .offset:         48
        .size:           8
        .value_kind:     by_value
      - .address_space:  global
        .offset:         56
        .size:           8
        .value_kind:     global_buffer
      - .offset:         64
        .size:           8
        .value_kind:     by_value
      - .offset:         72
        .size:           8
        .value_kind:     by_value
      - .offset:         80
        .size:           16
        .value_kind:     by_value
      - .address_space:  global
        .offset:         96
        .size:           8
        .value_kind:     global_buffer
      - .offset:         104
        .size:           8
        .value_kind:     by_value
      - .offset:         112
        .size:           8
        .value_kind:     by_value
      - .offset:         120
        .size:           4
        .value_kind:     by_value
    .group_segment_fixed_size: 8192
    .kernarg_segment_align: 8
    .kernarg_segment_size: 124
    .language:       OpenCL C
    .language_version:
      - 2
      - 0
    .max_flat_workgroup_size: 256
    .name:           _ZL41rocblas_syrkx_herkx_small_restrict_kernelIl19rocblas_complex_numIdELi16ELb1ELb1ELc84ELc85EKS1_S1_EviT_T0_PT6_S3_lS6_S3_lS4_PT7_S3_li
    .private_segment_fixed_size: 0
    .sgpr_count:     34
    .sgpr_spill_count: 0
    .symbol:         _ZL41rocblas_syrkx_herkx_small_restrict_kernelIl19rocblas_complex_numIdELi16ELb1ELb1ELc84ELc85EKS1_S1_EviT_T0_PT6_S3_lS6_S3_lS4_PT7_S3_li.kd
    .uniform_work_group_size: 1
    .uses_dynamic_stack: false
    .vgpr_count:     48
    .vgpr_spill_count: 0
    .wavefront_size: 32
    .workgroup_processor_mode: 1
  - .args:
      - .offset:         0
        .size:           4
        .value_kind:     by_value
      - .offset:         8
        .size:           8
        .value_kind:     by_value
      - .offset:         16
        .size:           16
        .value_kind:     by_value
      - .address_space:  global
        .offset:         32
        .size:           8
        .value_kind:     global_buffer
      - .offset:         40
        .size:           8
        .value_kind:     by_value
      - .offset:         48
        .size:           8
        .value_kind:     by_value
      - .address_space:  global
        .offset:         56
        .size:           8
        .value_kind:     global_buffer
      - .offset:         64
        .size:           8
        .value_kind:     by_value
      - .offset:         72
        .size:           8
        .value_kind:     by_value
      - .offset:         80
        .size:           16
        .value_kind:     by_value
      - .address_space:  global
        .offset:         96
        .size:           8
        .value_kind:     global_buffer
      - .offset:         104
        .size:           8
        .value_kind:     by_value
      - .offset:         112
        .size:           8
        .value_kind:     by_value
      - .offset:         120
        .size:           4
        .value_kind:     by_value
    .group_segment_fixed_size: 8192
    .kernarg_segment_align: 8
    .kernarg_segment_size: 124
    .language:       OpenCL C
    .language_version:
      - 2
      - 0
    .max_flat_workgroup_size: 256
    .name:           _ZL41rocblas_syrkx_herkx_small_restrict_kernelIl19rocblas_complex_numIdELi16ELb1ELb1ELc67ELc85EKS1_S1_EviT_T0_PT6_S3_lS6_S3_lS4_PT7_S3_li
    .private_segment_fixed_size: 0
    .sgpr_count:     34
    .sgpr_spill_count: 0
    .symbol:         _ZL41rocblas_syrkx_herkx_small_restrict_kernelIl19rocblas_complex_numIdELi16ELb1ELb1ELc67ELc85EKS1_S1_EviT_T0_PT6_S3_lS6_S3_lS4_PT7_S3_li.kd
    .uniform_work_group_size: 1
    .uses_dynamic_stack: false
    .vgpr_count:     48
    .vgpr_spill_count: 0
    .wavefront_size: 32
    .workgroup_processor_mode: 1
  - .args:
      - .offset:         0
        .size:           4
        .value_kind:     by_value
      - .offset:         8
        .size:           8
        .value_kind:     by_value
      - .offset:         16
        .size:           16
        .value_kind:     by_value
      - .address_space:  global
        .offset:         32
        .size:           8
        .value_kind:     global_buffer
      - .offset:         40
        .size:           8
        .value_kind:     by_value
      - .offset:         48
        .size:           8
        .value_kind:     by_value
      - .address_space:  global
        .offset:         56
        .size:           8
        .value_kind:     global_buffer
      - .offset:         64
        .size:           8
        .value_kind:     by_value
      - .offset:         72
        .size:           8
        .value_kind:     by_value
      - .offset:         80
        .size:           16
        .value_kind:     by_value
      - .address_space:  global
        .offset:         96
        .size:           8
        .value_kind:     global_buffer
      - .offset:         104
        .size:           8
        .value_kind:     by_value
      - .offset:         112
        .size:           8
        .value_kind:     by_value
      - .offset:         120
        .size:           4
        .value_kind:     by_value
    .group_segment_fixed_size: 8192
    .kernarg_segment_align: 8
    .kernarg_segment_size: 124
    .language:       OpenCL C
    .language_version:
      - 2
      - 0
    .max_flat_workgroup_size: 256
    .name:           _ZL41rocblas_syrkx_herkx_small_restrict_kernelIl19rocblas_complex_numIdELi16ELb1ELb1ELc78ELc85EKS1_S1_EviT_T0_PT6_S3_lS6_S3_lS4_PT7_S3_li
    .private_segment_fixed_size: 0
    .sgpr_count:     34
    .sgpr_spill_count: 0
    .symbol:         _ZL41rocblas_syrkx_herkx_small_restrict_kernelIl19rocblas_complex_numIdELi16ELb1ELb1ELc78ELc85EKS1_S1_EviT_T0_PT6_S3_lS6_S3_lS4_PT7_S3_li.kd
    .uniform_work_group_size: 1
    .uses_dynamic_stack: false
    .vgpr_count:     48
    .vgpr_spill_count: 0
    .wavefront_size: 32
    .workgroup_processor_mode: 1
  - .args:
      - .offset:         0
        .size:           4
        .value_kind:     by_value
      - .offset:         8
        .size:           8
        .value_kind:     by_value
      - .offset:         16
        .size:           16
        .value_kind:     by_value
      - .address_space:  global
        .offset:         32
        .size:           8
        .value_kind:     global_buffer
      - .offset:         40
        .size:           8
        .value_kind:     by_value
      - .offset:         48
        .size:           8
        .value_kind:     by_value
      - .address_space:  global
        .offset:         56
        .size:           8
        .value_kind:     global_buffer
      - .offset:         64
        .size:           8
        .value_kind:     by_value
      - .offset:         72
        .size:           8
        .value_kind:     by_value
      - .offset:         80
        .size:           16
        .value_kind:     by_value
      - .address_space:  global
        .offset:         96
        .size:           8
        .value_kind:     global_buffer
      - .offset:         104
        .size:           8
        .value_kind:     by_value
      - .offset:         112
        .size:           8
        .value_kind:     by_value
      - .offset:         120
        .size:           4
        .value_kind:     by_value
    .group_segment_fixed_size: 8192
    .kernarg_segment_align: 8
    .kernarg_segment_size: 124
    .language:       OpenCL C
    .language_version:
      - 2
      - 0
    .max_flat_workgroup_size: 256
    .name:           _ZL41rocblas_syrkx_herkx_small_restrict_kernelIl19rocblas_complex_numIdELi16ELb0ELb1ELc84ELc76EKS1_S1_EviT_T0_PT6_S3_lS6_S3_lS4_PT7_S3_li
    .private_segment_fixed_size: 0
    .sgpr_count:     34
    .sgpr_spill_count: 0
    .symbol:         _ZL41rocblas_syrkx_herkx_small_restrict_kernelIl19rocblas_complex_numIdELi16ELb0ELb1ELc84ELc76EKS1_S1_EviT_T0_PT6_S3_lS6_S3_lS4_PT7_S3_li.kd
    .uniform_work_group_size: 1
    .uses_dynamic_stack: false
    .vgpr_count:     48
    .vgpr_spill_count: 0
    .wavefront_size: 32
    .workgroup_processor_mode: 1
  - .args:
      - .offset:         0
        .size:           4
        .value_kind:     by_value
      - .offset:         8
        .size:           8
        .value_kind:     by_value
      - .offset:         16
        .size:           16
        .value_kind:     by_value
      - .address_space:  global
        .offset:         32
        .size:           8
        .value_kind:     global_buffer
      - .offset:         40
        .size:           8
        .value_kind:     by_value
      - .offset:         48
        .size:           8
        .value_kind:     by_value
      - .address_space:  global
        .offset:         56
        .size:           8
        .value_kind:     global_buffer
      - .offset:         64
        .size:           8
        .value_kind:     by_value
      - .offset:         72
        .size:           8
        .value_kind:     by_value
      - .offset:         80
        .size:           16
        .value_kind:     by_value
      - .address_space:  global
        .offset:         96
        .size:           8
        .value_kind:     global_buffer
      - .offset:         104
        .size:           8
        .value_kind:     by_value
      - .offset:         112
        .size:           8
        .value_kind:     by_value
      - .offset:         120
        .size:           4
        .value_kind:     by_value
    .group_segment_fixed_size: 8192
    .kernarg_segment_align: 8
    .kernarg_segment_size: 124
    .language:       OpenCL C
    .language_version:
      - 2
      - 0
    .max_flat_workgroup_size: 256
    .name:           _ZL41rocblas_syrkx_herkx_small_restrict_kernelIl19rocblas_complex_numIdELi16ELb0ELb1ELc67ELc76EKS1_S1_EviT_T0_PT6_S3_lS6_S3_lS4_PT7_S3_li
    .private_segment_fixed_size: 0
    .sgpr_count:     34
    .sgpr_spill_count: 0
    .symbol:         _ZL41rocblas_syrkx_herkx_small_restrict_kernelIl19rocblas_complex_numIdELi16ELb0ELb1ELc67ELc76EKS1_S1_EviT_T0_PT6_S3_lS6_S3_lS4_PT7_S3_li.kd
    .uniform_work_group_size: 1
    .uses_dynamic_stack: false
    .vgpr_count:     48
    .vgpr_spill_count: 0
    .wavefront_size: 32
    .workgroup_processor_mode: 1
  - .args:
      - .offset:         0
        .size:           4
        .value_kind:     by_value
      - .offset:         8
        .size:           8
        .value_kind:     by_value
      - .offset:         16
        .size:           16
        .value_kind:     by_value
      - .address_space:  global
        .offset:         32
        .size:           8
        .value_kind:     global_buffer
      - .offset:         40
        .size:           8
        .value_kind:     by_value
      - .offset:         48
        .size:           8
        .value_kind:     by_value
      - .address_space:  global
        .offset:         56
        .size:           8
        .value_kind:     global_buffer
      - .offset:         64
        .size:           8
        .value_kind:     by_value
      - .offset:         72
        .size:           8
        .value_kind:     by_value
      - .offset:         80
        .size:           16
        .value_kind:     by_value
      - .address_space:  global
        .offset:         96
        .size:           8
        .value_kind:     global_buffer
      - .offset:         104
        .size:           8
        .value_kind:     by_value
      - .offset:         112
        .size:           8
        .value_kind:     by_value
      - .offset:         120
        .size:           4
        .value_kind:     by_value
    .group_segment_fixed_size: 8192
    .kernarg_segment_align: 8
    .kernarg_segment_size: 124
    .language:       OpenCL C
    .language_version:
      - 2
      - 0
    .max_flat_workgroup_size: 256
    .name:           _ZL41rocblas_syrkx_herkx_small_restrict_kernelIl19rocblas_complex_numIdELi16ELb0ELb1ELc78ELc76EKS1_S1_EviT_T0_PT6_S3_lS6_S3_lS4_PT7_S3_li
    .private_segment_fixed_size: 0
    .sgpr_count:     34
    .sgpr_spill_count: 0
    .symbol:         _ZL41rocblas_syrkx_herkx_small_restrict_kernelIl19rocblas_complex_numIdELi16ELb0ELb1ELc78ELc76EKS1_S1_EviT_T0_PT6_S3_lS6_S3_lS4_PT7_S3_li.kd
    .uniform_work_group_size: 1
    .uses_dynamic_stack: false
    .vgpr_count:     48
    .vgpr_spill_count: 0
    .wavefront_size: 32
    .workgroup_processor_mode: 1
  - .args:
      - .offset:         0
        .size:           4
        .value_kind:     by_value
      - .offset:         8
        .size:           8
        .value_kind:     by_value
      - .offset:         16
        .size:           16
        .value_kind:     by_value
      - .address_space:  global
        .offset:         32
        .size:           8
        .value_kind:     global_buffer
      - .offset:         40
        .size:           8
        .value_kind:     by_value
      - .offset:         48
        .size:           8
        .value_kind:     by_value
      - .address_space:  global
        .offset:         56
        .size:           8
        .value_kind:     global_buffer
      - .offset:         64
        .size:           8
        .value_kind:     by_value
      - .offset:         72
        .size:           8
        .value_kind:     by_value
      - .offset:         80
        .size:           16
        .value_kind:     by_value
      - .address_space:  global
        .offset:         96
        .size:           8
        .value_kind:     global_buffer
      - .offset:         104
        .size:           8
        .value_kind:     by_value
      - .offset:         112
        .size:           8
        .value_kind:     by_value
      - .offset:         120
        .size:           4
        .value_kind:     by_value
    .group_segment_fixed_size: 8192
    .kernarg_segment_align: 8
    .kernarg_segment_size: 124
    .language:       OpenCL C
    .language_version:
      - 2
      - 0
    .max_flat_workgroup_size: 256
    .name:           _ZL41rocblas_syrkx_herkx_small_restrict_kernelIl19rocblas_complex_numIdELi16ELb0ELb1ELc84ELc85EKS1_S1_EviT_T0_PT6_S3_lS6_S3_lS4_PT7_S3_li
    .private_segment_fixed_size: 0
    .sgpr_count:     34
    .sgpr_spill_count: 0
    .symbol:         _ZL41rocblas_syrkx_herkx_small_restrict_kernelIl19rocblas_complex_numIdELi16ELb0ELb1ELc84ELc85EKS1_S1_EviT_T0_PT6_S3_lS6_S3_lS4_PT7_S3_li.kd
    .uniform_work_group_size: 1
    .uses_dynamic_stack: false
    .vgpr_count:     48
    .vgpr_spill_count: 0
    .wavefront_size: 32
    .workgroup_processor_mode: 1
  - .args:
      - .offset:         0
        .size:           4
        .value_kind:     by_value
      - .offset:         8
        .size:           8
        .value_kind:     by_value
      - .offset:         16
        .size:           16
        .value_kind:     by_value
      - .address_space:  global
        .offset:         32
        .size:           8
        .value_kind:     global_buffer
      - .offset:         40
        .size:           8
        .value_kind:     by_value
      - .offset:         48
        .size:           8
        .value_kind:     by_value
      - .address_space:  global
        .offset:         56
        .size:           8
        .value_kind:     global_buffer
      - .offset:         64
        .size:           8
        .value_kind:     by_value
      - .offset:         72
        .size:           8
        .value_kind:     by_value
      - .offset:         80
        .size:           16
        .value_kind:     by_value
      - .address_space:  global
        .offset:         96
        .size:           8
        .value_kind:     global_buffer
      - .offset:         104
        .size:           8
        .value_kind:     by_value
      - .offset:         112
        .size:           8
        .value_kind:     by_value
      - .offset:         120
        .size:           4
        .value_kind:     by_value
    .group_segment_fixed_size: 8192
    .kernarg_segment_align: 8
    .kernarg_segment_size: 124
    .language:       OpenCL C
    .language_version:
      - 2
      - 0
    .max_flat_workgroup_size: 256
    .name:           _ZL41rocblas_syrkx_herkx_small_restrict_kernelIl19rocblas_complex_numIdELi16ELb0ELb1ELc67ELc85EKS1_S1_EviT_T0_PT6_S3_lS6_S3_lS4_PT7_S3_li
    .private_segment_fixed_size: 0
    .sgpr_count:     34
    .sgpr_spill_count: 0
    .symbol:         _ZL41rocblas_syrkx_herkx_small_restrict_kernelIl19rocblas_complex_numIdELi16ELb0ELb1ELc67ELc85EKS1_S1_EviT_T0_PT6_S3_lS6_S3_lS4_PT7_S3_li.kd
    .uniform_work_group_size: 1
    .uses_dynamic_stack: false
    .vgpr_count:     48
    .vgpr_spill_count: 0
    .wavefront_size: 32
    .workgroup_processor_mode: 1
  - .args:
      - .offset:         0
        .size:           4
        .value_kind:     by_value
      - .offset:         8
        .size:           8
        .value_kind:     by_value
      - .offset:         16
        .size:           16
        .value_kind:     by_value
      - .address_space:  global
        .offset:         32
        .size:           8
        .value_kind:     global_buffer
      - .offset:         40
        .size:           8
        .value_kind:     by_value
      - .offset:         48
        .size:           8
        .value_kind:     by_value
      - .address_space:  global
        .offset:         56
        .size:           8
        .value_kind:     global_buffer
      - .offset:         64
        .size:           8
        .value_kind:     by_value
      - .offset:         72
        .size:           8
        .value_kind:     by_value
      - .offset:         80
        .size:           16
        .value_kind:     by_value
      - .address_space:  global
        .offset:         96
        .size:           8
        .value_kind:     global_buffer
      - .offset:         104
        .size:           8
        .value_kind:     by_value
      - .offset:         112
        .size:           8
        .value_kind:     by_value
      - .offset:         120
        .size:           4
        .value_kind:     by_value
    .group_segment_fixed_size: 8192
    .kernarg_segment_align: 8
    .kernarg_segment_size: 124
    .language:       OpenCL C
    .language_version:
      - 2
      - 0
    .max_flat_workgroup_size: 256
    .name:           _ZL41rocblas_syrkx_herkx_small_restrict_kernelIl19rocblas_complex_numIdELi16ELb0ELb1ELc78ELc85EKS1_S1_EviT_T0_PT6_S3_lS6_S3_lS4_PT7_S3_li
    .private_segment_fixed_size: 0
    .sgpr_count:     34
    .sgpr_spill_count: 0
    .symbol:         _ZL41rocblas_syrkx_herkx_small_restrict_kernelIl19rocblas_complex_numIdELi16ELb0ELb1ELc78ELc85EKS1_S1_EviT_T0_PT6_S3_lS6_S3_lS4_PT7_S3_li.kd
    .uniform_work_group_size: 1
    .uses_dynamic_stack: false
    .vgpr_count:     48
    .vgpr_spill_count: 0
    .wavefront_size: 32
    .workgroup_processor_mode: 1
  - .args:
      - .offset:         0
        .size:           4
        .value_kind:     by_value
      - .offset:         8
        .size:           8
        .value_kind:     by_value
      - .offset:         16
        .size:           16
        .value_kind:     by_value
      - .address_space:  global
        .offset:         32
        .size:           8
        .value_kind:     global_buffer
      - .offset:         40
        .size:           8
        .value_kind:     by_value
      - .offset:         48
        .size:           8
        .value_kind:     by_value
      - .address_space:  global
        .offset:         56
        .size:           8
        .value_kind:     global_buffer
      - .offset:         64
        .size:           8
        .value_kind:     by_value
      - .offset:         72
        .size:           8
        .value_kind:     by_value
      - .offset:         80
        .size:           16
        .value_kind:     by_value
      - .address_space:  global
        .offset:         96
        .size:           8
        .value_kind:     global_buffer
      - .offset:         104
        .size:           8
        .value_kind:     by_value
      - .offset:         112
        .size:           8
        .value_kind:     by_value
      - .offset:         120
        .size:           4
        .value_kind:     by_value
    .group_segment_fixed_size: 8192
    .kernarg_segment_align: 8
    .kernarg_segment_size: 124
    .language:       OpenCL C
    .language_version:
      - 2
      - 0
    .max_flat_workgroup_size: 256
    .name:           _ZL32rocblas_syrkx_herkx_small_kernelIl19rocblas_complex_numIdELi16ELb1ELb1ELc84ELc76EKS1_S1_EviT_T0_PT6_S3_lS6_S3_lS4_PT7_S3_li
    .private_segment_fixed_size: 0
    .sgpr_count:     34
    .sgpr_spill_count: 0
    .symbol:         _ZL32rocblas_syrkx_herkx_small_kernelIl19rocblas_complex_numIdELi16ELb1ELb1ELc84ELc76EKS1_S1_EviT_T0_PT6_S3_lS6_S3_lS4_PT7_S3_li.kd
    .uniform_work_group_size: 1
    .uses_dynamic_stack: false
    .vgpr_count:     52
    .vgpr_spill_count: 0
    .wavefront_size: 32
    .workgroup_processor_mode: 1
  - .args:
      - .offset:         0
        .size:           4
        .value_kind:     by_value
      - .offset:         8
        .size:           8
        .value_kind:     by_value
      - .offset:         16
        .size:           16
        .value_kind:     by_value
      - .address_space:  global
        .offset:         32
        .size:           8
        .value_kind:     global_buffer
      - .offset:         40
        .size:           8
        .value_kind:     by_value
      - .offset:         48
        .size:           8
        .value_kind:     by_value
      - .address_space:  global
        .offset:         56
        .size:           8
        .value_kind:     global_buffer
      - .offset:         64
        .size:           8
        .value_kind:     by_value
      - .offset:         72
        .size:           8
        .value_kind:     by_value
      - .offset:         80
        .size:           16
        .value_kind:     by_value
      - .address_space:  global
        .offset:         96
        .size:           8
        .value_kind:     global_buffer
      - .offset:         104
        .size:           8
        .value_kind:     by_value
      - .offset:         112
        .size:           8
        .value_kind:     by_value
      - .offset:         120
        .size:           4
        .value_kind:     by_value
    .group_segment_fixed_size: 8192
    .kernarg_segment_align: 8
    .kernarg_segment_size: 124
    .language:       OpenCL C
    .language_version:
      - 2
      - 0
    .max_flat_workgroup_size: 256
    .name:           _ZL32rocblas_syrkx_herkx_small_kernelIl19rocblas_complex_numIdELi16ELb1ELb1ELc67ELc76EKS1_S1_EviT_T0_PT6_S3_lS6_S3_lS4_PT7_S3_li
    .private_segment_fixed_size: 0
    .sgpr_count:     34
    .sgpr_spill_count: 0
    .symbol:         _ZL32rocblas_syrkx_herkx_small_kernelIl19rocblas_complex_numIdELi16ELb1ELb1ELc67ELc76EKS1_S1_EviT_T0_PT6_S3_lS6_S3_lS4_PT7_S3_li.kd
    .uniform_work_group_size: 1
    .uses_dynamic_stack: false
    .vgpr_count:     53
    .vgpr_spill_count: 0
    .wavefront_size: 32
    .workgroup_processor_mode: 1
  - .args:
      - .offset:         0
        .size:           4
        .value_kind:     by_value
      - .offset:         8
        .size:           8
        .value_kind:     by_value
      - .offset:         16
        .size:           16
        .value_kind:     by_value
      - .address_space:  global
        .offset:         32
        .size:           8
        .value_kind:     global_buffer
      - .offset:         40
        .size:           8
        .value_kind:     by_value
      - .offset:         48
        .size:           8
        .value_kind:     by_value
      - .address_space:  global
        .offset:         56
        .size:           8
        .value_kind:     global_buffer
      - .offset:         64
        .size:           8
        .value_kind:     by_value
      - .offset:         72
        .size:           8
        .value_kind:     by_value
      - .offset:         80
        .size:           16
        .value_kind:     by_value
      - .address_space:  global
        .offset:         96
        .size:           8
        .value_kind:     global_buffer
      - .offset:         104
        .size:           8
        .value_kind:     by_value
      - .offset:         112
        .size:           8
        .value_kind:     by_value
      - .offset:         120
        .size:           4
        .value_kind:     by_value
    .group_segment_fixed_size: 8192
    .kernarg_segment_align: 8
    .kernarg_segment_size: 124
    .language:       OpenCL C
    .language_version:
      - 2
      - 0
    .max_flat_workgroup_size: 256
    .name:           _ZL32rocblas_syrkx_herkx_small_kernelIl19rocblas_complex_numIdELi16ELb1ELb1ELc78ELc76EKS1_S1_EviT_T0_PT6_S3_lS6_S3_lS4_PT7_S3_li
    .private_segment_fixed_size: 0
    .sgpr_count:     34
    .sgpr_spill_count: 0
    .symbol:         _ZL32rocblas_syrkx_herkx_small_kernelIl19rocblas_complex_numIdELi16ELb1ELb1ELc78ELc76EKS1_S1_EviT_T0_PT6_S3_lS6_S3_lS4_PT7_S3_li.kd
    .uniform_work_group_size: 1
    .uses_dynamic_stack: false
    .vgpr_count:     51
    .vgpr_spill_count: 0
    .wavefront_size: 32
    .workgroup_processor_mode: 1
  - .args:
      - .offset:         0
        .size:           4
        .value_kind:     by_value
      - .offset:         8
        .size:           8
        .value_kind:     by_value
      - .offset:         16
        .size:           16
        .value_kind:     by_value
      - .address_space:  global
        .offset:         32
        .size:           8
        .value_kind:     global_buffer
      - .offset:         40
        .size:           8
        .value_kind:     by_value
      - .offset:         48
        .size:           8
        .value_kind:     by_value
      - .address_space:  global
        .offset:         56
        .size:           8
        .value_kind:     global_buffer
      - .offset:         64
        .size:           8
        .value_kind:     by_value
      - .offset:         72
        .size:           8
        .value_kind:     by_value
      - .offset:         80
        .size:           16
        .value_kind:     by_value
      - .address_space:  global
        .offset:         96
        .size:           8
        .value_kind:     global_buffer
      - .offset:         104
        .size:           8
        .value_kind:     by_value
      - .offset:         112
        .size:           8
        .value_kind:     by_value
      - .offset:         120
        .size:           4
        .value_kind:     by_value
    .group_segment_fixed_size: 8192
    .kernarg_segment_align: 8
    .kernarg_segment_size: 124
    .language:       OpenCL C
    .language_version:
      - 2
      - 0
    .max_flat_workgroup_size: 256
    .name:           _ZL32rocblas_syrkx_herkx_small_kernelIl19rocblas_complex_numIdELi16ELb1ELb1ELc84ELc85EKS1_S1_EviT_T0_PT6_S3_lS6_S3_lS4_PT7_S3_li
    .private_segment_fixed_size: 0
    .sgpr_count:     34
    .sgpr_spill_count: 0
    .symbol:         _ZL32rocblas_syrkx_herkx_small_kernelIl19rocblas_complex_numIdELi16ELb1ELb1ELc84ELc85EKS1_S1_EviT_T0_PT6_S3_lS6_S3_lS4_PT7_S3_li.kd
    .uniform_work_group_size: 1
    .uses_dynamic_stack: false
    .vgpr_count:     52
    .vgpr_spill_count: 0
    .wavefront_size: 32
    .workgroup_processor_mode: 1
  - .args:
      - .offset:         0
        .size:           4
        .value_kind:     by_value
      - .offset:         8
        .size:           8
        .value_kind:     by_value
      - .offset:         16
        .size:           16
        .value_kind:     by_value
      - .address_space:  global
        .offset:         32
        .size:           8
        .value_kind:     global_buffer
      - .offset:         40
        .size:           8
        .value_kind:     by_value
      - .offset:         48
        .size:           8
        .value_kind:     by_value
      - .address_space:  global
        .offset:         56
        .size:           8
        .value_kind:     global_buffer
      - .offset:         64
        .size:           8
        .value_kind:     by_value
      - .offset:         72
        .size:           8
        .value_kind:     by_value
      - .offset:         80
        .size:           16
        .value_kind:     by_value
      - .address_space:  global
        .offset:         96
        .size:           8
        .value_kind:     global_buffer
      - .offset:         104
        .size:           8
        .value_kind:     by_value
      - .offset:         112
        .size:           8
        .value_kind:     by_value
      - .offset:         120
        .size:           4
        .value_kind:     by_value
    .group_segment_fixed_size: 8192
    .kernarg_segment_align: 8
    .kernarg_segment_size: 124
    .language:       OpenCL C
    .language_version:
      - 2
      - 0
    .max_flat_workgroup_size: 256
    .name:           _ZL32rocblas_syrkx_herkx_small_kernelIl19rocblas_complex_numIdELi16ELb1ELb1ELc67ELc85EKS1_S1_EviT_T0_PT6_S3_lS6_S3_lS4_PT7_S3_li
    .private_segment_fixed_size: 0
    .sgpr_count:     34
    .sgpr_spill_count: 0
    .symbol:         _ZL32rocblas_syrkx_herkx_small_kernelIl19rocblas_complex_numIdELi16ELb1ELb1ELc67ELc85EKS1_S1_EviT_T0_PT6_S3_lS6_S3_lS4_PT7_S3_li.kd
    .uniform_work_group_size: 1
    .uses_dynamic_stack: false
    .vgpr_count:     53
    .vgpr_spill_count: 0
    .wavefront_size: 32
    .workgroup_processor_mode: 1
  - .args:
      - .offset:         0
        .size:           4
        .value_kind:     by_value
      - .offset:         8
        .size:           8
        .value_kind:     by_value
      - .offset:         16
        .size:           16
        .value_kind:     by_value
      - .address_space:  global
        .offset:         32
        .size:           8
        .value_kind:     global_buffer
      - .offset:         40
        .size:           8
        .value_kind:     by_value
      - .offset:         48
        .size:           8
        .value_kind:     by_value
      - .address_space:  global
        .offset:         56
        .size:           8
        .value_kind:     global_buffer
      - .offset:         64
        .size:           8
        .value_kind:     by_value
      - .offset:         72
        .size:           8
        .value_kind:     by_value
      - .offset:         80
        .size:           16
        .value_kind:     by_value
      - .address_space:  global
        .offset:         96
        .size:           8
        .value_kind:     global_buffer
      - .offset:         104
        .size:           8
        .value_kind:     by_value
      - .offset:         112
        .size:           8
        .value_kind:     by_value
      - .offset:         120
        .size:           4
        .value_kind:     by_value
    .group_segment_fixed_size: 8192
    .kernarg_segment_align: 8
    .kernarg_segment_size: 124
    .language:       OpenCL C
    .language_version:
      - 2
      - 0
    .max_flat_workgroup_size: 256
    .name:           _ZL32rocblas_syrkx_herkx_small_kernelIl19rocblas_complex_numIdELi16ELb1ELb1ELc78ELc85EKS1_S1_EviT_T0_PT6_S3_lS6_S3_lS4_PT7_S3_li
    .private_segment_fixed_size: 0
    .sgpr_count:     34
    .sgpr_spill_count: 0
    .symbol:         _ZL32rocblas_syrkx_herkx_small_kernelIl19rocblas_complex_numIdELi16ELb1ELb1ELc78ELc85EKS1_S1_EviT_T0_PT6_S3_lS6_S3_lS4_PT7_S3_li.kd
    .uniform_work_group_size: 1
    .uses_dynamic_stack: false
    .vgpr_count:     51
    .vgpr_spill_count: 0
    .wavefront_size: 32
    .workgroup_processor_mode: 1
  - .args:
      - .offset:         0
        .size:           4
        .value_kind:     by_value
      - .offset:         8
        .size:           8
        .value_kind:     by_value
      - .offset:         16
        .size:           16
        .value_kind:     by_value
      - .address_space:  global
        .offset:         32
        .size:           8
        .value_kind:     global_buffer
      - .offset:         40
        .size:           8
        .value_kind:     by_value
      - .offset:         48
        .size:           8
        .value_kind:     by_value
      - .address_space:  global
        .offset:         56
        .size:           8
        .value_kind:     global_buffer
      - .offset:         64
        .size:           8
        .value_kind:     by_value
      - .offset:         72
        .size:           8
        .value_kind:     by_value
      - .offset:         80
        .size:           16
        .value_kind:     by_value
      - .address_space:  global
        .offset:         96
        .size:           8
        .value_kind:     global_buffer
      - .offset:         104
        .size:           8
        .value_kind:     by_value
      - .offset:         112
        .size:           8
        .value_kind:     by_value
      - .offset:         120
        .size:           4
        .value_kind:     by_value
    .group_segment_fixed_size: 8192
    .kernarg_segment_align: 8
    .kernarg_segment_size: 124
    .language:       OpenCL C
    .language_version:
      - 2
      - 0
    .max_flat_workgroup_size: 256
    .name:           _ZL32rocblas_syrkx_herkx_small_kernelIl19rocblas_complex_numIdELi16ELb0ELb1ELc84ELc76EKS1_S1_EviT_T0_PT6_S3_lS6_S3_lS4_PT7_S3_li
    .private_segment_fixed_size: 0
    .sgpr_count:     42
    .sgpr_spill_count: 0
    .symbol:         _ZL32rocblas_syrkx_herkx_small_kernelIl19rocblas_complex_numIdELi16ELb0ELb1ELc84ELc76EKS1_S1_EviT_T0_PT6_S3_lS6_S3_lS4_PT7_S3_li.kd
    .uniform_work_group_size: 1
    .uses_dynamic_stack: false
    .vgpr_count:     52
    .vgpr_spill_count: 0
    .wavefront_size: 32
    .workgroup_processor_mode: 1
  - .args:
      - .offset:         0
        .size:           4
        .value_kind:     by_value
      - .offset:         8
        .size:           8
        .value_kind:     by_value
      - .offset:         16
        .size:           16
        .value_kind:     by_value
      - .address_space:  global
        .offset:         32
        .size:           8
        .value_kind:     global_buffer
      - .offset:         40
        .size:           8
        .value_kind:     by_value
      - .offset:         48
        .size:           8
        .value_kind:     by_value
      - .address_space:  global
        .offset:         56
        .size:           8
        .value_kind:     global_buffer
      - .offset:         64
        .size:           8
        .value_kind:     by_value
      - .offset:         72
        .size:           8
        .value_kind:     by_value
      - .offset:         80
        .size:           16
        .value_kind:     by_value
      - .address_space:  global
        .offset:         96
        .size:           8
        .value_kind:     global_buffer
      - .offset:         104
        .size:           8
        .value_kind:     by_value
      - .offset:         112
        .size:           8
        .value_kind:     by_value
      - .offset:         120
        .size:           4
        .value_kind:     by_value
    .group_segment_fixed_size: 8192
    .kernarg_segment_align: 8
    .kernarg_segment_size: 124
    .language:       OpenCL C
    .language_version:
      - 2
      - 0
    .max_flat_workgroup_size: 256
    .name:           _ZL32rocblas_syrkx_herkx_small_kernelIl19rocblas_complex_numIdELi16ELb0ELb1ELc67ELc76EKS1_S1_EviT_T0_PT6_S3_lS6_S3_lS4_PT7_S3_li
    .private_segment_fixed_size: 0
    .sgpr_count:     42
    .sgpr_spill_count: 0
    .symbol:         _ZL32rocblas_syrkx_herkx_small_kernelIl19rocblas_complex_numIdELi16ELb0ELb1ELc67ELc76EKS1_S1_EviT_T0_PT6_S3_lS6_S3_lS4_PT7_S3_li.kd
    .uniform_work_group_size: 1
    .uses_dynamic_stack: false
    .vgpr_count:     53
    .vgpr_spill_count: 0
    .wavefront_size: 32
    .workgroup_processor_mode: 1
  - .args:
      - .offset:         0
        .size:           4
        .value_kind:     by_value
      - .offset:         8
        .size:           8
        .value_kind:     by_value
      - .offset:         16
        .size:           16
        .value_kind:     by_value
      - .address_space:  global
        .offset:         32
        .size:           8
        .value_kind:     global_buffer
      - .offset:         40
        .size:           8
        .value_kind:     by_value
      - .offset:         48
        .size:           8
        .value_kind:     by_value
      - .address_space:  global
        .offset:         56
        .size:           8
        .value_kind:     global_buffer
      - .offset:         64
        .size:           8
        .value_kind:     by_value
      - .offset:         72
        .size:           8
        .value_kind:     by_value
      - .offset:         80
        .size:           16
        .value_kind:     by_value
      - .address_space:  global
        .offset:         96
        .size:           8
        .value_kind:     global_buffer
      - .offset:         104
        .size:           8
        .value_kind:     by_value
      - .offset:         112
        .size:           8
        .value_kind:     by_value
      - .offset:         120
        .size:           4
        .value_kind:     by_value
    .group_segment_fixed_size: 8192
    .kernarg_segment_align: 8
    .kernarg_segment_size: 124
    .language:       OpenCL C
    .language_version:
      - 2
      - 0
    .max_flat_workgroup_size: 256
    .name:           _ZL32rocblas_syrkx_herkx_small_kernelIl19rocblas_complex_numIdELi16ELb0ELb1ELc78ELc76EKS1_S1_EviT_T0_PT6_S3_lS6_S3_lS4_PT7_S3_li
    .private_segment_fixed_size: 0
    .sgpr_count:     42
    .sgpr_spill_count: 0
    .symbol:         _ZL32rocblas_syrkx_herkx_small_kernelIl19rocblas_complex_numIdELi16ELb0ELb1ELc78ELc76EKS1_S1_EviT_T0_PT6_S3_lS6_S3_lS4_PT7_S3_li.kd
    .uniform_work_group_size: 1
    .uses_dynamic_stack: false
    .vgpr_count:     51
    .vgpr_spill_count: 0
    .wavefront_size: 32
    .workgroup_processor_mode: 1
  - .args:
      - .offset:         0
        .size:           4
        .value_kind:     by_value
      - .offset:         8
        .size:           8
        .value_kind:     by_value
      - .offset:         16
        .size:           16
        .value_kind:     by_value
      - .address_space:  global
        .offset:         32
        .size:           8
        .value_kind:     global_buffer
      - .offset:         40
        .size:           8
        .value_kind:     by_value
      - .offset:         48
        .size:           8
        .value_kind:     by_value
      - .address_space:  global
        .offset:         56
        .size:           8
        .value_kind:     global_buffer
      - .offset:         64
        .size:           8
        .value_kind:     by_value
      - .offset:         72
        .size:           8
        .value_kind:     by_value
      - .offset:         80
        .size:           16
        .value_kind:     by_value
      - .address_space:  global
        .offset:         96
        .size:           8
        .value_kind:     global_buffer
      - .offset:         104
        .size:           8
        .value_kind:     by_value
      - .offset:         112
        .size:           8
        .value_kind:     by_value
      - .offset:         120
        .size:           4
        .value_kind:     by_value
    .group_segment_fixed_size: 8192
    .kernarg_segment_align: 8
    .kernarg_segment_size: 124
    .language:       OpenCL C
    .language_version:
      - 2
      - 0
    .max_flat_workgroup_size: 256
    .name:           _ZL32rocblas_syrkx_herkx_small_kernelIl19rocblas_complex_numIdELi16ELb0ELb1ELc84ELc85EKS1_S1_EviT_T0_PT6_S3_lS6_S3_lS4_PT7_S3_li
    .private_segment_fixed_size: 0
    .sgpr_count:     42
    .sgpr_spill_count: 0
    .symbol:         _ZL32rocblas_syrkx_herkx_small_kernelIl19rocblas_complex_numIdELi16ELb0ELb1ELc84ELc85EKS1_S1_EviT_T0_PT6_S3_lS6_S3_lS4_PT7_S3_li.kd
    .uniform_work_group_size: 1
    .uses_dynamic_stack: false
    .vgpr_count:     52
    .vgpr_spill_count: 0
    .wavefront_size: 32
    .workgroup_processor_mode: 1
  - .args:
      - .offset:         0
        .size:           4
        .value_kind:     by_value
      - .offset:         8
        .size:           8
        .value_kind:     by_value
      - .offset:         16
        .size:           16
        .value_kind:     by_value
      - .address_space:  global
        .offset:         32
        .size:           8
        .value_kind:     global_buffer
      - .offset:         40
        .size:           8
        .value_kind:     by_value
      - .offset:         48
        .size:           8
        .value_kind:     by_value
      - .address_space:  global
        .offset:         56
        .size:           8
        .value_kind:     global_buffer
      - .offset:         64
        .size:           8
        .value_kind:     by_value
      - .offset:         72
        .size:           8
        .value_kind:     by_value
      - .offset:         80
        .size:           16
        .value_kind:     by_value
      - .address_space:  global
        .offset:         96
        .size:           8
        .value_kind:     global_buffer
      - .offset:         104
        .size:           8
        .value_kind:     by_value
      - .offset:         112
        .size:           8
        .value_kind:     by_value
      - .offset:         120
        .size:           4
        .value_kind:     by_value
    .group_segment_fixed_size: 8192
    .kernarg_segment_align: 8
    .kernarg_segment_size: 124
    .language:       OpenCL C
    .language_version:
      - 2
      - 0
    .max_flat_workgroup_size: 256
    .name:           _ZL32rocblas_syrkx_herkx_small_kernelIl19rocblas_complex_numIdELi16ELb0ELb1ELc67ELc85EKS1_S1_EviT_T0_PT6_S3_lS6_S3_lS4_PT7_S3_li
    .private_segment_fixed_size: 0
    .sgpr_count:     42
    .sgpr_spill_count: 0
    .symbol:         _ZL32rocblas_syrkx_herkx_small_kernelIl19rocblas_complex_numIdELi16ELb0ELb1ELc67ELc85EKS1_S1_EviT_T0_PT6_S3_lS6_S3_lS4_PT7_S3_li.kd
    .uniform_work_group_size: 1
    .uses_dynamic_stack: false
    .vgpr_count:     53
    .vgpr_spill_count: 0
    .wavefront_size: 32
    .workgroup_processor_mode: 1
  - .args:
      - .offset:         0
        .size:           4
        .value_kind:     by_value
      - .offset:         8
        .size:           8
        .value_kind:     by_value
      - .offset:         16
        .size:           16
        .value_kind:     by_value
      - .address_space:  global
        .offset:         32
        .size:           8
        .value_kind:     global_buffer
      - .offset:         40
        .size:           8
        .value_kind:     by_value
      - .offset:         48
        .size:           8
        .value_kind:     by_value
      - .address_space:  global
        .offset:         56
        .size:           8
        .value_kind:     global_buffer
      - .offset:         64
        .size:           8
        .value_kind:     by_value
      - .offset:         72
        .size:           8
        .value_kind:     by_value
      - .offset:         80
        .size:           16
        .value_kind:     by_value
      - .address_space:  global
        .offset:         96
        .size:           8
        .value_kind:     global_buffer
      - .offset:         104
        .size:           8
        .value_kind:     by_value
      - .offset:         112
        .size:           8
        .value_kind:     by_value
      - .offset:         120
        .size:           4
        .value_kind:     by_value
    .group_segment_fixed_size: 8192
    .kernarg_segment_align: 8
    .kernarg_segment_size: 124
    .language:       OpenCL C
    .language_version:
      - 2
      - 0
    .max_flat_workgroup_size: 256
    .name:           _ZL32rocblas_syrkx_herkx_small_kernelIl19rocblas_complex_numIdELi16ELb0ELb1ELc78ELc85EKS1_S1_EviT_T0_PT6_S3_lS6_S3_lS4_PT7_S3_li
    .private_segment_fixed_size: 0
    .sgpr_count:     42
    .sgpr_spill_count: 0
    .symbol:         _ZL32rocblas_syrkx_herkx_small_kernelIl19rocblas_complex_numIdELi16ELb0ELb1ELc78ELc85EKS1_S1_EviT_T0_PT6_S3_lS6_S3_lS4_PT7_S3_li.kd
    .uniform_work_group_size: 1
    .uses_dynamic_stack: false
    .vgpr_count:     51
    .vgpr_spill_count: 0
    .wavefront_size: 32
    .workgroup_processor_mode: 1
  - .args:
      - .offset:         0
        .size:           4
        .value_kind:     by_value
      - .offset:         8
        .size:           8
        .value_kind:     by_value
      - .offset:         16
        .size:           16
        .value_kind:     by_value
      - .address_space:  global
        .offset:         32
        .size:           8
        .value_kind:     global_buffer
      - .offset:         40
        .size:           8
        .value_kind:     by_value
      - .offset:         48
        .size:           8
        .value_kind:     by_value
      - .address_space:  global
        .offset:         56
        .size:           8
        .value_kind:     global_buffer
      - .offset:         64
        .size:           8
        .value_kind:     by_value
      - .offset:         72
        .size:           8
        .value_kind:     by_value
      - .offset:         80
        .size:           16
        .value_kind:     by_value
      - .address_space:  global
        .offset:         96
        .size:           8
        .value_kind:     global_buffer
      - .offset:         104
        .size:           8
        .value_kind:     by_value
      - .offset:         112
        .size:           8
        .value_kind:     by_value
      - .offset:         120
        .size:           4
        .value_kind:     by_value
    .group_segment_fixed_size: 8192
    .kernarg_segment_align: 8
    .kernarg_segment_size: 124
    .language:       OpenCL C
    .language_version:
      - 2
      - 0
    .max_flat_workgroup_size: 256
    .name:           _ZL34rocblas_syrkx_herkx_general_kernelIl19rocblas_complex_numIdELi16ELi32ELi8ELb1ELb1ELc84ELc76EKS1_S1_EviT_T0_PT8_S3_lS6_S3_lS4_PT9_S3_li
    .private_segment_fixed_size: 0
    .sgpr_count:     34
    .sgpr_spill_count: 0
    .symbol:         _ZL34rocblas_syrkx_herkx_general_kernelIl19rocblas_complex_numIdELi16ELi32ELi8ELb1ELb1ELc84ELc76EKS1_S1_EviT_T0_PT8_S3_lS6_S3_lS4_PT9_S3_li.kd
    .uniform_work_group_size: 1
    .uses_dynamic_stack: false
    .vgpr_count:     56
    .vgpr_spill_count: 0
    .wavefront_size: 32
    .workgroup_processor_mode: 1
  - .args:
      - .offset:         0
        .size:           4
        .value_kind:     by_value
      - .offset:         8
        .size:           8
        .value_kind:     by_value
      - .offset:         16
        .size:           16
        .value_kind:     by_value
      - .address_space:  global
        .offset:         32
        .size:           8
        .value_kind:     global_buffer
      - .offset:         40
        .size:           8
        .value_kind:     by_value
      - .offset:         48
        .size:           8
        .value_kind:     by_value
      - .address_space:  global
        .offset:         56
        .size:           8
        .value_kind:     global_buffer
      - .offset:         64
        .size:           8
        .value_kind:     by_value
      - .offset:         72
        .size:           8
        .value_kind:     by_value
      - .offset:         80
        .size:           16
        .value_kind:     by_value
      - .address_space:  global
        .offset:         96
        .size:           8
        .value_kind:     global_buffer
      - .offset:         104
        .size:           8
        .value_kind:     by_value
      - .offset:         112
        .size:           8
        .value_kind:     by_value
      - .offset:         120
        .size:           4
        .value_kind:     by_value
    .group_segment_fixed_size: 8192
    .kernarg_segment_align: 8
    .kernarg_segment_size: 124
    .language:       OpenCL C
    .language_version:
      - 2
      - 0
    .max_flat_workgroup_size: 256
    .name:           _ZL34rocblas_syrkx_herkx_general_kernelIl19rocblas_complex_numIdELi16ELi32ELi8ELb1ELb1ELc67ELc76EKS1_S1_EviT_T0_PT8_S3_lS6_S3_lS4_PT9_S3_li
    .private_segment_fixed_size: 0
    .sgpr_count:     34
    .sgpr_spill_count: 0
    .symbol:         _ZL34rocblas_syrkx_herkx_general_kernelIl19rocblas_complex_numIdELi16ELi32ELi8ELb1ELb1ELc67ELc76EKS1_S1_EviT_T0_PT8_S3_lS6_S3_lS4_PT9_S3_li.kd
    .uniform_work_group_size: 1
    .uses_dynamic_stack: false
    .vgpr_count:     121
    .vgpr_spill_count: 0
    .wavefront_size: 32
    .workgroup_processor_mode: 1
  - .args:
      - .offset:         0
        .size:           4
        .value_kind:     by_value
      - .offset:         8
        .size:           8
        .value_kind:     by_value
      - .offset:         16
        .size:           16
        .value_kind:     by_value
      - .address_space:  global
        .offset:         32
        .size:           8
        .value_kind:     global_buffer
      - .offset:         40
        .size:           8
        .value_kind:     by_value
      - .offset:         48
        .size:           8
        .value_kind:     by_value
      - .address_space:  global
        .offset:         56
        .size:           8
        .value_kind:     global_buffer
      - .offset:         64
        .size:           8
        .value_kind:     by_value
      - .offset:         72
        .size:           8
        .value_kind:     by_value
      - .offset:         80
        .size:           16
        .value_kind:     by_value
      - .address_space:  global
        .offset:         96
        .size:           8
        .value_kind:     global_buffer
      - .offset:         104
        .size:           8
        .value_kind:     by_value
      - .offset:         112
        .size:           8
        .value_kind:     by_value
      - .offset:         120
        .size:           4
        .value_kind:     by_value
    .group_segment_fixed_size: 8192
    .kernarg_segment_align: 8
    .kernarg_segment_size: 124
    .language:       OpenCL C
    .language_version:
      - 2
      - 0
    .max_flat_workgroup_size: 256
    .name:           _ZL34rocblas_syrkx_herkx_general_kernelIl19rocblas_complex_numIdELi16ELi32ELi8ELb1ELb1ELc78ELc76EKS1_S1_EviT_T0_PT8_S3_lS6_S3_lS4_PT9_S3_li
    .private_segment_fixed_size: 0
    .sgpr_count:     34
    .sgpr_spill_count: 0
    .symbol:         _ZL34rocblas_syrkx_herkx_general_kernelIl19rocblas_complex_numIdELi16ELi32ELi8ELb1ELb1ELc78ELc76EKS1_S1_EviT_T0_PT8_S3_lS6_S3_lS4_PT9_S3_li.kd
    .uniform_work_group_size: 1
    .uses_dynamic_stack: false
    .vgpr_count:     119
    .vgpr_spill_count: 0
    .wavefront_size: 32
    .workgroup_processor_mode: 1
  - .args:
      - .offset:         0
        .size:           4
        .value_kind:     by_value
      - .offset:         8
        .size:           8
        .value_kind:     by_value
      - .offset:         16
        .size:           16
        .value_kind:     by_value
      - .address_space:  global
        .offset:         32
        .size:           8
        .value_kind:     global_buffer
      - .offset:         40
        .size:           8
        .value_kind:     by_value
      - .offset:         48
        .size:           8
        .value_kind:     by_value
      - .address_space:  global
        .offset:         56
        .size:           8
        .value_kind:     global_buffer
      - .offset:         64
        .size:           8
        .value_kind:     by_value
      - .offset:         72
        .size:           8
        .value_kind:     by_value
      - .offset:         80
        .size:           16
        .value_kind:     by_value
      - .address_space:  global
        .offset:         96
        .size:           8
        .value_kind:     global_buffer
      - .offset:         104
        .size:           8
        .value_kind:     by_value
      - .offset:         112
        .size:           8
        .value_kind:     by_value
      - .offset:         120
        .size:           4
        .value_kind:     by_value
    .group_segment_fixed_size: 8192
    .kernarg_segment_align: 8
    .kernarg_segment_size: 124
    .language:       OpenCL C
    .language_version:
      - 2
      - 0
    .max_flat_workgroup_size: 256
    .name:           _ZL34rocblas_syrkx_herkx_general_kernelIl19rocblas_complex_numIdELi16ELi32ELi8ELb1ELb1ELc84ELc85EKS1_S1_EviT_T0_PT8_S3_lS6_S3_lS4_PT9_S3_li
    .private_segment_fixed_size: 0
    .sgpr_count:     34
    .sgpr_spill_count: 0
    .symbol:         _ZL34rocblas_syrkx_herkx_general_kernelIl19rocblas_complex_numIdELi16ELi32ELi8ELb1ELb1ELc84ELc85EKS1_S1_EviT_T0_PT8_S3_lS6_S3_lS4_PT9_S3_li.kd
    .uniform_work_group_size: 1
    .uses_dynamic_stack: false
    .vgpr_count:     56
    .vgpr_spill_count: 0
    .wavefront_size: 32
    .workgroup_processor_mode: 1
  - .args:
      - .offset:         0
        .size:           4
        .value_kind:     by_value
      - .offset:         8
        .size:           8
        .value_kind:     by_value
      - .offset:         16
        .size:           16
        .value_kind:     by_value
      - .address_space:  global
        .offset:         32
        .size:           8
        .value_kind:     global_buffer
      - .offset:         40
        .size:           8
        .value_kind:     by_value
      - .offset:         48
        .size:           8
        .value_kind:     by_value
      - .address_space:  global
        .offset:         56
        .size:           8
        .value_kind:     global_buffer
      - .offset:         64
        .size:           8
        .value_kind:     by_value
      - .offset:         72
        .size:           8
        .value_kind:     by_value
      - .offset:         80
        .size:           16
        .value_kind:     by_value
      - .address_space:  global
        .offset:         96
        .size:           8
        .value_kind:     global_buffer
      - .offset:         104
        .size:           8
        .value_kind:     by_value
      - .offset:         112
        .size:           8
        .value_kind:     by_value
      - .offset:         120
        .size:           4
        .value_kind:     by_value
    .group_segment_fixed_size: 8192
    .kernarg_segment_align: 8
    .kernarg_segment_size: 124
    .language:       OpenCL C
    .language_version:
      - 2
      - 0
    .max_flat_workgroup_size: 256
    .name:           _ZL34rocblas_syrkx_herkx_general_kernelIl19rocblas_complex_numIdELi16ELi32ELi8ELb1ELb1ELc67ELc85EKS1_S1_EviT_T0_PT8_S3_lS6_S3_lS4_PT9_S3_li
    .private_segment_fixed_size: 0
    .sgpr_count:     34
    .sgpr_spill_count: 0
    .symbol:         _ZL34rocblas_syrkx_herkx_general_kernelIl19rocblas_complex_numIdELi16ELi32ELi8ELb1ELb1ELc67ELc85EKS1_S1_EviT_T0_PT8_S3_lS6_S3_lS4_PT9_S3_li.kd
    .uniform_work_group_size: 1
    .uses_dynamic_stack: false
    .vgpr_count:     121
    .vgpr_spill_count: 0
    .wavefront_size: 32
    .workgroup_processor_mode: 1
  - .args:
      - .offset:         0
        .size:           4
        .value_kind:     by_value
      - .offset:         8
        .size:           8
        .value_kind:     by_value
      - .offset:         16
        .size:           16
        .value_kind:     by_value
      - .address_space:  global
        .offset:         32
        .size:           8
        .value_kind:     global_buffer
      - .offset:         40
        .size:           8
        .value_kind:     by_value
      - .offset:         48
        .size:           8
        .value_kind:     by_value
      - .address_space:  global
        .offset:         56
        .size:           8
        .value_kind:     global_buffer
      - .offset:         64
        .size:           8
        .value_kind:     by_value
      - .offset:         72
        .size:           8
        .value_kind:     by_value
      - .offset:         80
        .size:           16
        .value_kind:     by_value
      - .address_space:  global
        .offset:         96
        .size:           8
        .value_kind:     global_buffer
      - .offset:         104
        .size:           8
        .value_kind:     by_value
      - .offset:         112
        .size:           8
        .value_kind:     by_value
      - .offset:         120
        .size:           4
        .value_kind:     by_value
    .group_segment_fixed_size: 8192
    .kernarg_segment_align: 8
    .kernarg_segment_size: 124
    .language:       OpenCL C
    .language_version:
      - 2
      - 0
    .max_flat_workgroup_size: 256
    .name:           _ZL34rocblas_syrkx_herkx_general_kernelIl19rocblas_complex_numIdELi16ELi32ELi8ELb1ELb1ELc78ELc85EKS1_S1_EviT_T0_PT8_S3_lS6_S3_lS4_PT9_S3_li
    .private_segment_fixed_size: 0
    .sgpr_count:     34
    .sgpr_spill_count: 0
    .symbol:         _ZL34rocblas_syrkx_herkx_general_kernelIl19rocblas_complex_numIdELi16ELi32ELi8ELb1ELb1ELc78ELc85EKS1_S1_EviT_T0_PT8_S3_lS6_S3_lS4_PT9_S3_li.kd
    .uniform_work_group_size: 1
    .uses_dynamic_stack: false
    .vgpr_count:     119
    .vgpr_spill_count: 0
    .wavefront_size: 32
    .workgroup_processor_mode: 1
  - .args:
      - .offset:         0
        .size:           4
        .value_kind:     by_value
      - .offset:         8
        .size:           8
        .value_kind:     by_value
      - .offset:         16
        .size:           16
        .value_kind:     by_value
      - .address_space:  global
        .offset:         32
        .size:           8
        .value_kind:     global_buffer
      - .offset:         40
        .size:           8
        .value_kind:     by_value
      - .offset:         48
        .size:           8
        .value_kind:     by_value
      - .address_space:  global
        .offset:         56
        .size:           8
        .value_kind:     global_buffer
      - .offset:         64
        .size:           8
        .value_kind:     by_value
      - .offset:         72
        .size:           8
        .value_kind:     by_value
      - .offset:         80
        .size:           16
        .value_kind:     by_value
      - .address_space:  global
        .offset:         96
        .size:           8
        .value_kind:     global_buffer
      - .offset:         104
        .size:           8
        .value_kind:     by_value
      - .offset:         112
        .size:           8
        .value_kind:     by_value
      - .offset:         120
        .size:           4
        .value_kind:     by_value
    .group_segment_fixed_size: 8192
    .kernarg_segment_align: 8
    .kernarg_segment_size: 124
    .language:       OpenCL C
    .language_version:
      - 2
      - 0
    .max_flat_workgroup_size: 256
    .name:           _ZL34rocblas_syrkx_herkx_general_kernelIl19rocblas_complex_numIdELi16ELi32ELi8ELb0ELb1ELc84ELc76EKS1_S1_EviT_T0_PT8_S3_lS6_S3_lS4_PT9_S3_li
    .private_segment_fixed_size: 0
    .sgpr_count:     42
    .sgpr_spill_count: 0
    .symbol:         _ZL34rocblas_syrkx_herkx_general_kernelIl19rocblas_complex_numIdELi16ELi32ELi8ELb0ELb1ELc84ELc76EKS1_S1_EviT_T0_PT8_S3_lS6_S3_lS4_PT9_S3_li.kd
    .uniform_work_group_size: 1
    .uses_dynamic_stack: false
    .vgpr_count:     56
    .vgpr_spill_count: 0
    .wavefront_size: 32
    .workgroup_processor_mode: 1
  - .args:
      - .offset:         0
        .size:           4
        .value_kind:     by_value
      - .offset:         8
        .size:           8
        .value_kind:     by_value
      - .offset:         16
        .size:           16
        .value_kind:     by_value
      - .address_space:  global
        .offset:         32
        .size:           8
        .value_kind:     global_buffer
      - .offset:         40
        .size:           8
        .value_kind:     by_value
      - .offset:         48
        .size:           8
        .value_kind:     by_value
      - .address_space:  global
        .offset:         56
        .size:           8
        .value_kind:     global_buffer
      - .offset:         64
        .size:           8
        .value_kind:     by_value
      - .offset:         72
        .size:           8
        .value_kind:     by_value
      - .offset:         80
        .size:           16
        .value_kind:     by_value
      - .address_space:  global
        .offset:         96
        .size:           8
        .value_kind:     global_buffer
      - .offset:         104
        .size:           8
        .value_kind:     by_value
      - .offset:         112
        .size:           8
        .value_kind:     by_value
      - .offset:         120
        .size:           4
        .value_kind:     by_value
    .group_segment_fixed_size: 8192
    .kernarg_segment_align: 8
    .kernarg_segment_size: 124
    .language:       OpenCL C
    .language_version:
      - 2
      - 0
    .max_flat_workgroup_size: 256
    .name:           _ZL34rocblas_syrkx_herkx_general_kernelIl19rocblas_complex_numIdELi16ELi32ELi8ELb0ELb1ELc67ELc76EKS1_S1_EviT_T0_PT8_S3_lS6_S3_lS4_PT9_S3_li
    .private_segment_fixed_size: 0
    .sgpr_count:     42
    .sgpr_spill_count: 0
    .symbol:         _ZL34rocblas_syrkx_herkx_general_kernelIl19rocblas_complex_numIdELi16ELi32ELi8ELb0ELb1ELc67ELc76EKS1_S1_EviT_T0_PT8_S3_lS6_S3_lS4_PT9_S3_li.kd
    .uniform_work_group_size: 1
    .uses_dynamic_stack: false
    .vgpr_count:     121
    .vgpr_spill_count: 0
    .wavefront_size: 32
    .workgroup_processor_mode: 1
  - .args:
      - .offset:         0
        .size:           4
        .value_kind:     by_value
      - .offset:         8
        .size:           8
        .value_kind:     by_value
      - .offset:         16
        .size:           16
        .value_kind:     by_value
      - .address_space:  global
        .offset:         32
        .size:           8
        .value_kind:     global_buffer
      - .offset:         40
        .size:           8
        .value_kind:     by_value
      - .offset:         48
        .size:           8
        .value_kind:     by_value
      - .address_space:  global
        .offset:         56
        .size:           8
        .value_kind:     global_buffer
      - .offset:         64
        .size:           8
        .value_kind:     by_value
      - .offset:         72
        .size:           8
        .value_kind:     by_value
      - .offset:         80
        .size:           16
        .value_kind:     by_value
      - .address_space:  global
        .offset:         96
        .size:           8
        .value_kind:     global_buffer
      - .offset:         104
        .size:           8
        .value_kind:     by_value
      - .offset:         112
        .size:           8
        .value_kind:     by_value
      - .offset:         120
        .size:           4
        .value_kind:     by_value
    .group_segment_fixed_size: 8192
    .kernarg_segment_align: 8
    .kernarg_segment_size: 124
    .language:       OpenCL C
    .language_version:
      - 2
      - 0
    .max_flat_workgroup_size: 256
    .name:           _ZL34rocblas_syrkx_herkx_general_kernelIl19rocblas_complex_numIdELi16ELi32ELi8ELb0ELb1ELc78ELc76EKS1_S1_EviT_T0_PT8_S3_lS6_S3_lS4_PT9_S3_li
    .private_segment_fixed_size: 0
    .sgpr_count:     42
    .sgpr_spill_count: 0
    .symbol:         _ZL34rocblas_syrkx_herkx_general_kernelIl19rocblas_complex_numIdELi16ELi32ELi8ELb0ELb1ELc78ELc76EKS1_S1_EviT_T0_PT8_S3_lS6_S3_lS4_PT9_S3_li.kd
    .uniform_work_group_size: 1
    .uses_dynamic_stack: false
    .vgpr_count:     119
    .vgpr_spill_count: 0
    .wavefront_size: 32
    .workgroup_processor_mode: 1
  - .args:
      - .offset:         0
        .size:           4
        .value_kind:     by_value
      - .offset:         8
        .size:           8
        .value_kind:     by_value
      - .offset:         16
        .size:           16
        .value_kind:     by_value
      - .address_space:  global
        .offset:         32
        .size:           8
        .value_kind:     global_buffer
      - .offset:         40
        .size:           8
        .value_kind:     by_value
      - .offset:         48
        .size:           8
        .value_kind:     by_value
      - .address_space:  global
        .offset:         56
        .size:           8
        .value_kind:     global_buffer
      - .offset:         64
        .size:           8
        .value_kind:     by_value
      - .offset:         72
        .size:           8
        .value_kind:     by_value
      - .offset:         80
        .size:           16
        .value_kind:     by_value
      - .address_space:  global
        .offset:         96
        .size:           8
        .value_kind:     global_buffer
      - .offset:         104
        .size:           8
        .value_kind:     by_value
      - .offset:         112
        .size:           8
        .value_kind:     by_value
      - .offset:         120
        .size:           4
        .value_kind:     by_value
    .group_segment_fixed_size: 8192
    .kernarg_segment_align: 8
    .kernarg_segment_size: 124
    .language:       OpenCL C
    .language_version:
      - 2
      - 0
    .max_flat_workgroup_size: 256
    .name:           _ZL34rocblas_syrkx_herkx_general_kernelIl19rocblas_complex_numIdELi16ELi32ELi8ELb0ELb1ELc84ELc85EKS1_S1_EviT_T0_PT8_S3_lS6_S3_lS4_PT9_S3_li
    .private_segment_fixed_size: 0
    .sgpr_count:     42
    .sgpr_spill_count: 0
    .symbol:         _ZL34rocblas_syrkx_herkx_general_kernelIl19rocblas_complex_numIdELi16ELi32ELi8ELb0ELb1ELc84ELc85EKS1_S1_EviT_T0_PT8_S3_lS6_S3_lS4_PT9_S3_li.kd
    .uniform_work_group_size: 1
    .uses_dynamic_stack: false
    .vgpr_count:     56
    .vgpr_spill_count: 0
    .wavefront_size: 32
    .workgroup_processor_mode: 1
  - .args:
      - .offset:         0
        .size:           4
        .value_kind:     by_value
      - .offset:         8
        .size:           8
        .value_kind:     by_value
      - .offset:         16
        .size:           16
        .value_kind:     by_value
      - .address_space:  global
        .offset:         32
        .size:           8
        .value_kind:     global_buffer
      - .offset:         40
        .size:           8
        .value_kind:     by_value
      - .offset:         48
        .size:           8
        .value_kind:     by_value
      - .address_space:  global
        .offset:         56
        .size:           8
        .value_kind:     global_buffer
      - .offset:         64
        .size:           8
        .value_kind:     by_value
      - .offset:         72
        .size:           8
        .value_kind:     by_value
      - .offset:         80
        .size:           16
        .value_kind:     by_value
      - .address_space:  global
        .offset:         96
        .size:           8
        .value_kind:     global_buffer
      - .offset:         104
        .size:           8
        .value_kind:     by_value
      - .offset:         112
        .size:           8
        .value_kind:     by_value
      - .offset:         120
        .size:           4
        .value_kind:     by_value
    .group_segment_fixed_size: 8192
    .kernarg_segment_align: 8
    .kernarg_segment_size: 124
    .language:       OpenCL C
    .language_version:
      - 2
      - 0
    .max_flat_workgroup_size: 256
    .name:           _ZL34rocblas_syrkx_herkx_general_kernelIl19rocblas_complex_numIdELi16ELi32ELi8ELb0ELb1ELc67ELc85EKS1_S1_EviT_T0_PT8_S3_lS6_S3_lS4_PT9_S3_li
    .private_segment_fixed_size: 0
    .sgpr_count:     42
    .sgpr_spill_count: 0
    .symbol:         _ZL34rocblas_syrkx_herkx_general_kernelIl19rocblas_complex_numIdELi16ELi32ELi8ELb0ELb1ELc67ELc85EKS1_S1_EviT_T0_PT8_S3_lS6_S3_lS4_PT9_S3_li.kd
    .uniform_work_group_size: 1
    .uses_dynamic_stack: false
    .vgpr_count:     121
    .vgpr_spill_count: 0
    .wavefront_size: 32
    .workgroup_processor_mode: 1
  - .args:
      - .offset:         0
        .size:           4
        .value_kind:     by_value
      - .offset:         8
        .size:           8
        .value_kind:     by_value
      - .offset:         16
        .size:           16
        .value_kind:     by_value
      - .address_space:  global
        .offset:         32
        .size:           8
        .value_kind:     global_buffer
      - .offset:         40
        .size:           8
        .value_kind:     by_value
      - .offset:         48
        .size:           8
        .value_kind:     by_value
      - .address_space:  global
        .offset:         56
        .size:           8
        .value_kind:     global_buffer
      - .offset:         64
        .size:           8
        .value_kind:     by_value
      - .offset:         72
        .size:           8
        .value_kind:     by_value
      - .offset:         80
        .size:           16
        .value_kind:     by_value
      - .address_space:  global
        .offset:         96
        .size:           8
        .value_kind:     global_buffer
      - .offset:         104
        .size:           8
        .value_kind:     by_value
      - .offset:         112
        .size:           8
        .value_kind:     by_value
      - .offset:         120
        .size:           4
        .value_kind:     by_value
    .group_segment_fixed_size: 8192
    .kernarg_segment_align: 8
    .kernarg_segment_size: 124
    .language:       OpenCL C
    .language_version:
      - 2
      - 0
    .max_flat_workgroup_size: 256
    .name:           _ZL34rocblas_syrkx_herkx_general_kernelIl19rocblas_complex_numIdELi16ELi32ELi8ELb0ELb1ELc78ELc85EKS1_S1_EviT_T0_PT8_S3_lS6_S3_lS4_PT9_S3_li
    .private_segment_fixed_size: 0
    .sgpr_count:     42
    .sgpr_spill_count: 0
    .symbol:         _ZL34rocblas_syrkx_herkx_general_kernelIl19rocblas_complex_numIdELi16ELi32ELi8ELb0ELb1ELc78ELc85EKS1_S1_EviT_T0_PT8_S3_lS6_S3_lS4_PT9_S3_li.kd
    .uniform_work_group_size: 1
    .uses_dynamic_stack: false
    .vgpr_count:     119
    .vgpr_spill_count: 0
    .wavefront_size: 32
    .workgroup_processor_mode: 1
  - .args:
      - .offset:         0
        .size:           1
        .value_kind:     by_value
      - .offset:         4
        .size:           4
        .value_kind:     by_value
      - .offset:         8
        .size:           8
        .value_kind:     by_value
      - .offset:         16
        .size:           16
        .value_kind:     by_value
      - .offset:         32
        .size:           16
        .value_kind:     by_value
      - .address_space:  global
        .offset:         48
        .size:           8
        .value_kind:     global_buffer
      - .offset:         56
        .size:           8
        .value_kind:     by_value
      - .offset:         64
        .size:           8
        .value_kind:     by_value
      - .offset:         72
        .size:           4
        .value_kind:     by_value
      - .offset:         80
        .size:           4
        .value_kind:     hidden_block_count_x
      - .offset:         84
        .size:           4
        .value_kind:     hidden_block_count_y
      - .offset:         88
        .size:           4
        .value_kind:     hidden_block_count_z
      - .offset:         92
        .size:           2
        .value_kind:     hidden_group_size_x
      - .offset:         94
        .size:           2
        .value_kind:     hidden_group_size_y
      - .offset:         96
        .size:           2
        .value_kind:     hidden_group_size_z
      - .offset:         98
        .size:           2
        .value_kind:     hidden_remainder_x
      - .offset:         100
        .size:           2
        .value_kind:     hidden_remainder_y
      - .offset:         102
        .size:           2
        .value_kind:     hidden_remainder_z
      - .offset:         120
        .size:           8
        .value_kind:     hidden_global_offset_x
      - .offset:         128
        .size:           8
        .value_kind:     hidden_global_offset_y
      - .offset:         136
        .size:           8
        .value_kind:     hidden_global_offset_z
      - .offset:         144
        .size:           2
        .value_kind:     hidden_grid_dims
    .group_segment_fixed_size: 0
    .kernarg_segment_align: 8
    .kernarg_segment_size: 336
    .language:       OpenCL C
    .language_version:
      - 2
      - 0
    .max_flat_workgroup_size: 1024
    .name:           _ZL26rocblas_syr2k_scale_kernelIlLi128ELi8ELb1E19rocblas_complex_numIdES1_PS1_EvbiT_T3_T4_T5_S3_li
    .private_segment_fixed_size: 0
    .sgpr_count:     34
    .sgpr_spill_count: 0
    .symbol:         _ZL26rocblas_syr2k_scale_kernelIlLi128ELi8ELb1E19rocblas_complex_numIdES1_PS1_EvbiT_T3_T4_T5_S3_li.kd
    .uniform_work_group_size: 1
    .uses_dynamic_stack: false
    .vgpr_count:     11
    .vgpr_spill_count: 0
    .wavefront_size: 32
    .workgroup_processor_mode: 1
  - .args:
      - .offset:         0
        .size:           1
        .value_kind:     by_value
      - .offset:         4
        .size:           4
        .value_kind:     by_value
      - .offset:         8
        .size:           8
        .value_kind:     by_value
      - .address_space:  global
        .offset:         16
        .size:           8
        .value_kind:     global_buffer
      - .address_space:  global
        .offset:         24
        .size:           8
        .value_kind:     global_buffer
      - .offset:         32
        .size:           8
        .value_kind:     by_value
      - .offset:         40
        .size:           8
        .value_kind:     by_value
      - .address_space:  global
        .offset:         48
        .size:           8
        .value_kind:     global_buffer
      - .offset:         56
        .size:           8
        .value_kind:     by_value
      - .offset:         64
        .size:           8
        .value_kind:     by_value
      - .address_space:  global
        .offset:         72
        .size:           8
        .value_kind:     global_buffer
      - .offset:         80
        .size:           8
        .value_kind:     by_value
      - .offset:         88
        .size:           8
        .value_kind:     by_value
      - .offset:         96
        .size:           4
        .value_kind:     by_value
    .group_segment_fixed_size: 32768
    .kernarg_segment_align: 8
    .kernarg_segment_size: 100
    .language:       OpenCL C
    .language_version:
      - 2
      - 0
    .max_flat_workgroup_size: 1024
    .name:           _ZL26rocblas_syr2k_her2k_kernelIlLb0ELb1ELb0ELi32EPK19rocblas_complex_numIdES3_PS1_EvbiT_T4_T5_S5_lS7_S5_lT6_S5_li
    .private_segment_fixed_size: 0
    .sgpr_count:     34
    .sgpr_spill_count: 0
    .symbol:         _ZL26rocblas_syr2k_her2k_kernelIlLb0ELb1ELb0ELi32EPK19rocblas_complex_numIdES3_PS1_EvbiT_T4_T5_S5_lS7_S5_lT6_S5_li.kd
    .uniform_work_group_size: 1
    .uses_dynamic_stack: false
    .vgpr_count:     62
    .vgpr_spill_count: 0
    .wavefront_size: 32
    .workgroup_processor_mode: 1
  - .args:
      - .offset:         0
        .size:           1
        .value_kind:     by_value
      - .offset:         4
        .size:           4
        .value_kind:     by_value
      - .offset:         8
        .size:           8
        .value_kind:     by_value
      - .address_space:  global
        .offset:         16
        .size:           8
        .value_kind:     global_buffer
      - .address_space:  global
        .offset:         24
        .size:           8
        .value_kind:     global_buffer
      - .offset:         32
        .size:           8
        .value_kind:     by_value
      - .offset:         40
        .size:           8
        .value_kind:     by_value
      - .address_space:  global
        .offset:         48
        .size:           8
        .value_kind:     global_buffer
      - .offset:         56
        .size:           8
        .value_kind:     by_value
      - .offset:         64
        .size:           8
        .value_kind:     by_value
      - .address_space:  global
        .offset:         72
        .size:           8
        .value_kind:     global_buffer
      - .offset:         80
        .size:           8
        .value_kind:     by_value
      - .offset:         88
        .size:           8
        .value_kind:     by_value
      - .offset:         96
        .size:           4
        .value_kind:     by_value
    .group_segment_fixed_size: 32768
    .kernarg_segment_align: 8
    .kernarg_segment_size: 100
    .language:       OpenCL C
    .language_version:
      - 2
      - 0
    .max_flat_workgroup_size: 1024
    .name:           _ZL26rocblas_syr2k_her2k_kernelIlLb0ELb1ELb1ELi32EPK19rocblas_complex_numIdES3_PS1_EvbiT_T4_T5_S5_lS7_S5_lT6_S5_li
    .private_segment_fixed_size: 0
    .sgpr_count:     38
    .sgpr_spill_count: 0
    .symbol:         _ZL26rocblas_syr2k_her2k_kernelIlLb0ELb1ELb1ELi32EPK19rocblas_complex_numIdES3_PS1_EvbiT_T4_T5_S5_lS7_S5_lT6_S5_li.kd
    .uniform_work_group_size: 1
    .uses_dynamic_stack: false
    .vgpr_count:     62
    .vgpr_spill_count: 0
    .wavefront_size: 32
    .workgroup_processor_mode: 1
  - .args:
      - .offset:         0
        .size:           1
        .value_kind:     by_value
      - .offset:         4
        .size:           4
        .value_kind:     by_value
      - .offset:         8
        .size:           8
        .value_kind:     by_value
      - .offset:         16
        .size:           4
        .value_kind:     by_value
      - .address_space:  global
        .offset:         24
        .size:           8
        .value_kind:     global_buffer
      - .offset:         32
        .size:           8
        .value_kind:     by_value
      - .offset:         40
        .size:           8
        .value_kind:     by_value
      - .address_space:  global
        .offset:         48
        .size:           8
        .value_kind:     global_buffer
      - .offset:         56
        .size:           8
        .value_kind:     by_value
      - .offset:         64
        .size:           8
        .value_kind:     by_value
      - .address_space:  global
        .offset:         72
        .size:           8
        .value_kind:     global_buffer
      - .offset:         80
        .size:           8
        .value_kind:     by_value
      - .offset:         88
        .size:           8
        .value_kind:     by_value
      - .offset:         96
        .size:           4
        .value_kind:     by_value
    .group_segment_fixed_size: 8192
    .kernarg_segment_align: 8
    .kernarg_segment_size: 100
    .language:       OpenCL C
    .language_version:
      - 2
      - 0
    .max_flat_workgroup_size: 1024
    .name:           _ZL26rocblas_syr2k_her2k_kernelIlLb0ELb0ELb0ELi32EfPKPKfPKPfEvbiT_T4_T5_S7_lS9_S7_lT6_S7_li
    .private_segment_fixed_size: 0
    .sgpr_count:     32
    .sgpr_spill_count: 0
    .symbol:         _ZL26rocblas_syr2k_her2k_kernelIlLb0ELb0ELb0ELi32EfPKPKfPKPfEvbiT_T4_T5_S7_lS9_S7_lT6_S7_li.kd
    .uniform_work_group_size: 1
    .uses_dynamic_stack: false
    .vgpr_count:     31
    .vgpr_spill_count: 0
    .wavefront_size: 32
    .workgroup_processor_mode: 1
  - .args:
      - .offset:         0
        .size:           1
        .value_kind:     by_value
      - .offset:         4
        .size:           4
        .value_kind:     by_value
      - .offset:         8
        .size:           8
        .value_kind:     by_value
      - .offset:         16
        .size:           4
        .value_kind:     by_value
      - .address_space:  global
        .offset:         24
        .size:           8
        .value_kind:     global_buffer
      - .offset:         32
        .size:           8
        .value_kind:     by_value
      - .offset:         40
        .size:           8
        .value_kind:     by_value
      - .address_space:  global
        .offset:         48
        .size:           8
        .value_kind:     global_buffer
      - .offset:         56
        .size:           8
        .value_kind:     by_value
      - .offset:         64
        .size:           8
        .value_kind:     by_value
      - .address_space:  global
        .offset:         72
        .size:           8
        .value_kind:     global_buffer
      - .offset:         80
        .size:           8
        .value_kind:     by_value
      - .offset:         88
        .size:           8
        .value_kind:     by_value
      - .offset:         96
        .size:           4
        .value_kind:     by_value
    .group_segment_fixed_size: 8192
    .kernarg_segment_align: 8
    .kernarg_segment_size: 100
    .language:       OpenCL C
    .language_version:
      - 2
      - 0
    .max_flat_workgroup_size: 1024
    .name:           _ZL26rocblas_syr2k_her2k_kernelIlLb0ELb0ELb1ELi32EfPKPKfPKPfEvbiT_T4_T5_S7_lS9_S7_lT6_S7_li
    .private_segment_fixed_size: 0
    .sgpr_count:     32
    .sgpr_spill_count: 0
    .symbol:         _ZL26rocblas_syr2k_her2k_kernelIlLb0ELb0ELb1ELi32EfPKPKfPKPfEvbiT_T4_T5_S7_lS9_S7_lT6_S7_li.kd
    .uniform_work_group_size: 1
    .uses_dynamic_stack: false
    .vgpr_count:     31
    .vgpr_spill_count: 0
    .wavefront_size: 32
    .workgroup_processor_mode: 1
  - .args:
      - .offset:         0
        .size:           4
        .value_kind:     by_value
      - .offset:         8
        .size:           8
        .value_kind:     by_value
      - .address_space:  global
        .offset:         16
        .size:           8
        .value_kind:     global_buffer
      - .offset:         24
        .size:           8
        .value_kind:     by_value
      - .offset:         32
        .size:           8
        .value_kind:     by_value
      - .address_space:  global
        .offset:         40
        .size:           8
        .value_kind:     global_buffer
      - .offset:         48
        .size:           8
        .value_kind:     by_value
      - .offset:         56
        .size:           8
        .value_kind:     by_value
      - .address_space:  global
        .offset:         64
        .size:           8
        .value_kind:     global_buffer
      - .offset:         72
        .size:           8
        .value_kind:     by_value
      - .offset:         80
        .size:           8
        .value_kind:     by_value
      - .offset:         88
        .size:           4
        .value_kind:     by_value
    .group_segment_fixed_size: 2048
    .kernarg_segment_align: 8
    .kernarg_segment_size: 92
    .language:       OpenCL C
    .language_version:
      - 2
      - 0
    .max_flat_workgroup_size: 256
    .name:           _ZL37rocblas_syrkx_herkx_restricted_kernelIlfLi16ELi32ELi8ELi1ELi1ELb0ELc84ELc76EKPKfKPfEviT_PT9_S5_lS7_S5_lPT10_S5_li
    .private_segment_fixed_size: 0
    .sgpr_count:     22
    .sgpr_spill_count: 0
    .symbol:         _ZL37rocblas_syrkx_herkx_restricted_kernelIlfLi16ELi32ELi8ELi1ELi1ELb0ELc84ELc76EKPKfKPfEviT_PT9_S5_lS7_S5_lPT10_S5_li.kd
    .uniform_work_group_size: 1
    .uses_dynamic_stack: false
    .vgpr_count:     46
    .vgpr_spill_count: 0
    .wavefront_size: 32
    .workgroup_processor_mode: 1
  - .args:
      - .offset:         0
        .size:           4
        .value_kind:     by_value
      - .offset:         8
        .size:           8
        .value_kind:     by_value
      - .address_space:  global
        .offset:         16
        .size:           8
        .value_kind:     global_buffer
      - .offset:         24
        .size:           8
        .value_kind:     by_value
      - .offset:         32
        .size:           8
        .value_kind:     by_value
      - .address_space:  global
        .offset:         40
        .size:           8
        .value_kind:     global_buffer
      - .offset:         48
        .size:           8
        .value_kind:     by_value
      - .offset:         56
        .size:           8
        .value_kind:     by_value
      - .address_space:  global
        .offset:         64
        .size:           8
        .value_kind:     global_buffer
      - .offset:         72
        .size:           8
        .value_kind:     by_value
      - .offset:         80
        .size:           8
        .value_kind:     by_value
      - .offset:         88
        .size:           4
        .value_kind:     by_value
    .group_segment_fixed_size: 2048
    .kernarg_segment_align: 8
    .kernarg_segment_size: 92
    .language:       OpenCL C
    .language_version:
      - 2
      - 0
    .max_flat_workgroup_size: 256
    .name:           _ZL37rocblas_syrkx_herkx_restricted_kernelIlfLi16ELi32ELi8ELi1ELi1ELb0ELc67ELc76EKPKfKPfEviT_PT9_S5_lS7_S5_lPT10_S5_li
    .private_segment_fixed_size: 0
    .sgpr_count:     22
    .sgpr_spill_count: 0
    .symbol:         _ZL37rocblas_syrkx_herkx_restricted_kernelIlfLi16ELi32ELi8ELi1ELi1ELb0ELc67ELc76EKPKfKPfEviT_PT9_S5_lS7_S5_lPT10_S5_li.kd
    .uniform_work_group_size: 1
    .uses_dynamic_stack: false
    .vgpr_count:     46
    .vgpr_spill_count: 0
    .wavefront_size: 32
    .workgroup_processor_mode: 1
  - .args:
      - .offset:         0
        .size:           4
        .value_kind:     by_value
      - .offset:         8
        .size:           8
        .value_kind:     by_value
      - .address_space:  global
        .offset:         16
        .size:           8
        .value_kind:     global_buffer
      - .offset:         24
        .size:           8
        .value_kind:     by_value
      - .offset:         32
        .size:           8
        .value_kind:     by_value
      - .address_space:  global
        .offset:         40
        .size:           8
        .value_kind:     global_buffer
      - .offset:         48
        .size:           8
        .value_kind:     by_value
      - .offset:         56
        .size:           8
        .value_kind:     by_value
      - .address_space:  global
        .offset:         64
        .size:           8
        .value_kind:     global_buffer
      - .offset:         72
        .size:           8
        .value_kind:     by_value
      - .offset:         80
        .size:           8
        .value_kind:     by_value
      - .offset:         88
        .size:           4
        .value_kind:     by_value
    .group_segment_fixed_size: 2048
    .kernarg_segment_align: 8
    .kernarg_segment_size: 92
    .language:       OpenCL C
    .language_version:
      - 2
      - 0
    .max_flat_workgroup_size: 256
    .name:           _ZL37rocblas_syrkx_herkx_restricted_kernelIlfLi16ELi32ELi8ELi1ELi1ELb0ELc78ELc76EKPKfKPfEviT_PT9_S5_lS7_S5_lPT10_S5_li
    .private_segment_fixed_size: 0
    .sgpr_count:     22
    .sgpr_spill_count: 0
    .symbol:         _ZL37rocblas_syrkx_herkx_restricted_kernelIlfLi16ELi32ELi8ELi1ELi1ELb0ELc78ELc76EKPKfKPfEviT_PT9_S5_lS7_S5_lPT10_S5_li.kd
    .uniform_work_group_size: 1
    .uses_dynamic_stack: false
    .vgpr_count:     46
    .vgpr_spill_count: 0
    .wavefront_size: 32
    .workgroup_processor_mode: 1
  - .args:
      - .offset:         0
        .size:           4
        .value_kind:     by_value
      - .offset:         8
        .size:           8
        .value_kind:     by_value
      - .address_space:  global
        .offset:         16
        .size:           8
        .value_kind:     global_buffer
      - .offset:         24
        .size:           8
        .value_kind:     by_value
      - .offset:         32
        .size:           8
        .value_kind:     by_value
      - .address_space:  global
        .offset:         40
        .size:           8
        .value_kind:     global_buffer
      - .offset:         48
        .size:           8
        .value_kind:     by_value
      - .offset:         56
        .size:           8
        .value_kind:     by_value
      - .address_space:  global
        .offset:         64
        .size:           8
        .value_kind:     global_buffer
      - .offset:         72
        .size:           8
        .value_kind:     by_value
      - .offset:         80
        .size:           8
        .value_kind:     by_value
      - .offset:         88
        .size:           4
        .value_kind:     by_value
    .group_segment_fixed_size: 2048
    .kernarg_segment_align: 8
    .kernarg_segment_size: 92
    .language:       OpenCL C
    .language_version:
      - 2
      - 0
    .max_flat_workgroup_size: 256
    .name:           _ZL37rocblas_syrkx_herkx_restricted_kernelIlfLi16ELi32ELi8ELi1ELi1ELb0ELc84ELc85EKPKfKPfEviT_PT9_S5_lS7_S5_lPT10_S5_li
    .private_segment_fixed_size: 0
    .sgpr_count:     22
    .sgpr_spill_count: 0
    .symbol:         _ZL37rocblas_syrkx_herkx_restricted_kernelIlfLi16ELi32ELi8ELi1ELi1ELb0ELc84ELc85EKPKfKPfEviT_PT9_S5_lS7_S5_lPT10_S5_li.kd
    .uniform_work_group_size: 1
    .uses_dynamic_stack: false
    .vgpr_count:     46
    .vgpr_spill_count: 0
    .wavefront_size: 32
    .workgroup_processor_mode: 1
  - .args:
      - .offset:         0
        .size:           4
        .value_kind:     by_value
      - .offset:         8
        .size:           8
        .value_kind:     by_value
      - .address_space:  global
        .offset:         16
        .size:           8
        .value_kind:     global_buffer
      - .offset:         24
        .size:           8
        .value_kind:     by_value
      - .offset:         32
        .size:           8
        .value_kind:     by_value
      - .address_space:  global
        .offset:         40
        .size:           8
        .value_kind:     global_buffer
      - .offset:         48
        .size:           8
        .value_kind:     by_value
      - .offset:         56
        .size:           8
        .value_kind:     by_value
      - .address_space:  global
        .offset:         64
        .size:           8
        .value_kind:     global_buffer
      - .offset:         72
        .size:           8
        .value_kind:     by_value
      - .offset:         80
        .size:           8
        .value_kind:     by_value
      - .offset:         88
        .size:           4
        .value_kind:     by_value
    .group_segment_fixed_size: 2048
    .kernarg_segment_align: 8
    .kernarg_segment_size: 92
    .language:       OpenCL C
    .language_version:
      - 2
      - 0
    .max_flat_workgroup_size: 256
    .name:           _ZL37rocblas_syrkx_herkx_restricted_kernelIlfLi16ELi32ELi8ELi1ELi1ELb0ELc67ELc85EKPKfKPfEviT_PT9_S5_lS7_S5_lPT10_S5_li
    .private_segment_fixed_size: 0
    .sgpr_count:     22
    .sgpr_spill_count: 0
    .symbol:         _ZL37rocblas_syrkx_herkx_restricted_kernelIlfLi16ELi32ELi8ELi1ELi1ELb0ELc67ELc85EKPKfKPfEviT_PT9_S5_lS7_S5_lPT10_S5_li.kd
    .uniform_work_group_size: 1
    .uses_dynamic_stack: false
    .vgpr_count:     46
    .vgpr_spill_count: 0
    .wavefront_size: 32
    .workgroup_processor_mode: 1
  - .args:
      - .offset:         0
        .size:           4
        .value_kind:     by_value
      - .offset:         8
        .size:           8
        .value_kind:     by_value
      - .address_space:  global
        .offset:         16
        .size:           8
        .value_kind:     global_buffer
      - .offset:         24
        .size:           8
        .value_kind:     by_value
      - .offset:         32
        .size:           8
        .value_kind:     by_value
      - .address_space:  global
        .offset:         40
        .size:           8
        .value_kind:     global_buffer
      - .offset:         48
        .size:           8
        .value_kind:     by_value
      - .offset:         56
        .size:           8
        .value_kind:     by_value
      - .address_space:  global
        .offset:         64
        .size:           8
        .value_kind:     global_buffer
      - .offset:         72
        .size:           8
        .value_kind:     by_value
      - .offset:         80
        .size:           8
        .value_kind:     by_value
      - .offset:         88
        .size:           4
        .value_kind:     by_value
    .group_segment_fixed_size: 2048
    .kernarg_segment_align: 8
    .kernarg_segment_size: 92
    .language:       OpenCL C
    .language_version:
      - 2
      - 0
    .max_flat_workgroup_size: 256
    .name:           _ZL37rocblas_syrkx_herkx_restricted_kernelIlfLi16ELi32ELi8ELi1ELi1ELb0ELc78ELc85EKPKfKPfEviT_PT9_S5_lS7_S5_lPT10_S5_li
    .private_segment_fixed_size: 0
    .sgpr_count:     22
    .sgpr_spill_count: 0
    .symbol:         _ZL37rocblas_syrkx_herkx_restricted_kernelIlfLi16ELi32ELi8ELi1ELi1ELb0ELc78ELc85EKPKfKPfEviT_PT9_S5_lS7_S5_lPT10_S5_li.kd
    .uniform_work_group_size: 1
    .uses_dynamic_stack: false
    .vgpr_count:     46
    .vgpr_spill_count: 0
    .wavefront_size: 32
    .workgroup_processor_mode: 1
  - .args:
      - .offset:         0
        .size:           4
        .value_kind:     by_value
      - .offset:         8
        .size:           8
        .value_kind:     by_value
      - .address_space:  global
        .offset:         16
        .size:           8
        .value_kind:     global_buffer
      - .offset:         24
        .size:           8
        .value_kind:     by_value
      - .offset:         32
        .size:           8
        .value_kind:     by_value
      - .address_space:  global
        .offset:         40
        .size:           8
        .value_kind:     global_buffer
      - .offset:         48
        .size:           8
        .value_kind:     by_value
      - .offset:         56
        .size:           8
        .value_kind:     by_value
      - .address_space:  global
        .offset:         64
        .size:           8
        .value_kind:     global_buffer
      - .offset:         72
        .size:           8
        .value_kind:     by_value
      - .offset:         80
        .size:           8
        .value_kind:     by_value
      - .offset:         88
        .size:           4
        .value_kind:     by_value
    .group_segment_fixed_size: 2048
    .kernarg_segment_align: 8
    .kernarg_segment_size: 92
    .language:       OpenCL C
    .language_version:
      - 2
      - 0
    .max_flat_workgroup_size: 256
    .name:           _ZL37rocblas_syrkx_herkx_restricted_kernelIlfLi16ELi32ELi8ELi1ELin1ELb0ELc84ELc76EKPKfKPfEviT_PT9_S5_lS7_S5_lPT10_S5_li
    .private_segment_fixed_size: 0
    .sgpr_count:     22
    .sgpr_spill_count: 0
    .symbol:         _ZL37rocblas_syrkx_herkx_restricted_kernelIlfLi16ELi32ELi8ELi1ELin1ELb0ELc84ELc76EKPKfKPfEviT_PT9_S5_lS7_S5_lPT10_S5_li.kd
    .uniform_work_group_size: 1
    .uses_dynamic_stack: false
    .vgpr_count:     46
    .vgpr_spill_count: 0
    .wavefront_size: 32
    .workgroup_processor_mode: 1
  - .args:
      - .offset:         0
        .size:           4
        .value_kind:     by_value
      - .offset:         8
        .size:           8
        .value_kind:     by_value
      - .address_space:  global
        .offset:         16
        .size:           8
        .value_kind:     global_buffer
      - .offset:         24
        .size:           8
        .value_kind:     by_value
      - .offset:         32
        .size:           8
        .value_kind:     by_value
      - .address_space:  global
        .offset:         40
        .size:           8
        .value_kind:     global_buffer
      - .offset:         48
        .size:           8
        .value_kind:     by_value
      - .offset:         56
        .size:           8
        .value_kind:     by_value
      - .address_space:  global
        .offset:         64
        .size:           8
        .value_kind:     global_buffer
      - .offset:         72
        .size:           8
        .value_kind:     by_value
      - .offset:         80
        .size:           8
        .value_kind:     by_value
      - .offset:         88
        .size:           4
        .value_kind:     by_value
    .group_segment_fixed_size: 2048
    .kernarg_segment_align: 8
    .kernarg_segment_size: 92
    .language:       OpenCL C
    .language_version:
      - 2
      - 0
    .max_flat_workgroup_size: 256
    .name:           _ZL37rocblas_syrkx_herkx_restricted_kernelIlfLi16ELi32ELi8ELi1ELin1ELb0ELc67ELc76EKPKfKPfEviT_PT9_S5_lS7_S5_lPT10_S5_li
    .private_segment_fixed_size: 0
    .sgpr_count:     22
    .sgpr_spill_count: 0
    .symbol:         _ZL37rocblas_syrkx_herkx_restricted_kernelIlfLi16ELi32ELi8ELi1ELin1ELb0ELc67ELc76EKPKfKPfEviT_PT9_S5_lS7_S5_lPT10_S5_li.kd
    .uniform_work_group_size: 1
    .uses_dynamic_stack: false
    .vgpr_count:     46
    .vgpr_spill_count: 0
    .wavefront_size: 32
    .workgroup_processor_mode: 1
  - .args:
      - .offset:         0
        .size:           4
        .value_kind:     by_value
      - .offset:         8
        .size:           8
        .value_kind:     by_value
      - .address_space:  global
        .offset:         16
        .size:           8
        .value_kind:     global_buffer
      - .offset:         24
        .size:           8
        .value_kind:     by_value
      - .offset:         32
        .size:           8
        .value_kind:     by_value
      - .address_space:  global
        .offset:         40
        .size:           8
        .value_kind:     global_buffer
      - .offset:         48
        .size:           8
        .value_kind:     by_value
      - .offset:         56
        .size:           8
        .value_kind:     by_value
      - .address_space:  global
        .offset:         64
        .size:           8
        .value_kind:     global_buffer
      - .offset:         72
        .size:           8
        .value_kind:     by_value
      - .offset:         80
        .size:           8
        .value_kind:     by_value
      - .offset:         88
        .size:           4
        .value_kind:     by_value
    .group_segment_fixed_size: 2048
    .kernarg_segment_align: 8
    .kernarg_segment_size: 92
    .language:       OpenCL C
    .language_version:
      - 2
      - 0
    .max_flat_workgroup_size: 256
    .name:           _ZL37rocblas_syrkx_herkx_restricted_kernelIlfLi16ELi32ELi8ELi1ELin1ELb0ELc78ELc76EKPKfKPfEviT_PT9_S5_lS7_S5_lPT10_S5_li
    .private_segment_fixed_size: 0
    .sgpr_count:     22
    .sgpr_spill_count: 0
    .symbol:         _ZL37rocblas_syrkx_herkx_restricted_kernelIlfLi16ELi32ELi8ELi1ELin1ELb0ELc78ELc76EKPKfKPfEviT_PT9_S5_lS7_S5_lPT10_S5_li.kd
    .uniform_work_group_size: 1
    .uses_dynamic_stack: false
    .vgpr_count:     46
    .vgpr_spill_count: 0
    .wavefront_size: 32
    .workgroup_processor_mode: 1
  - .args:
      - .offset:         0
        .size:           4
        .value_kind:     by_value
      - .offset:         8
        .size:           8
        .value_kind:     by_value
      - .address_space:  global
        .offset:         16
        .size:           8
        .value_kind:     global_buffer
      - .offset:         24
        .size:           8
        .value_kind:     by_value
      - .offset:         32
        .size:           8
        .value_kind:     by_value
      - .address_space:  global
        .offset:         40
        .size:           8
        .value_kind:     global_buffer
      - .offset:         48
        .size:           8
        .value_kind:     by_value
      - .offset:         56
        .size:           8
        .value_kind:     by_value
      - .address_space:  global
        .offset:         64
        .size:           8
        .value_kind:     global_buffer
      - .offset:         72
        .size:           8
        .value_kind:     by_value
      - .offset:         80
        .size:           8
        .value_kind:     by_value
      - .offset:         88
        .size:           4
        .value_kind:     by_value
    .group_segment_fixed_size: 2048
    .kernarg_segment_align: 8
    .kernarg_segment_size: 92
    .language:       OpenCL C
    .language_version:
      - 2
      - 0
    .max_flat_workgroup_size: 256
    .name:           _ZL37rocblas_syrkx_herkx_restricted_kernelIlfLi16ELi32ELi8ELi1ELin1ELb0ELc84ELc85EKPKfKPfEviT_PT9_S5_lS7_S5_lPT10_S5_li
    .private_segment_fixed_size: 0
    .sgpr_count:     22
    .sgpr_spill_count: 0
    .symbol:         _ZL37rocblas_syrkx_herkx_restricted_kernelIlfLi16ELi32ELi8ELi1ELin1ELb0ELc84ELc85EKPKfKPfEviT_PT9_S5_lS7_S5_lPT10_S5_li.kd
    .uniform_work_group_size: 1
    .uses_dynamic_stack: false
    .vgpr_count:     46
    .vgpr_spill_count: 0
    .wavefront_size: 32
    .workgroup_processor_mode: 1
  - .args:
      - .offset:         0
        .size:           4
        .value_kind:     by_value
      - .offset:         8
        .size:           8
        .value_kind:     by_value
      - .address_space:  global
        .offset:         16
        .size:           8
        .value_kind:     global_buffer
      - .offset:         24
        .size:           8
        .value_kind:     by_value
      - .offset:         32
        .size:           8
        .value_kind:     by_value
      - .address_space:  global
        .offset:         40
        .size:           8
        .value_kind:     global_buffer
      - .offset:         48
        .size:           8
        .value_kind:     by_value
      - .offset:         56
        .size:           8
        .value_kind:     by_value
      - .address_space:  global
        .offset:         64
        .size:           8
        .value_kind:     global_buffer
      - .offset:         72
        .size:           8
        .value_kind:     by_value
      - .offset:         80
        .size:           8
        .value_kind:     by_value
      - .offset:         88
        .size:           4
        .value_kind:     by_value
    .group_segment_fixed_size: 2048
    .kernarg_segment_align: 8
    .kernarg_segment_size: 92
    .language:       OpenCL C
    .language_version:
      - 2
      - 0
    .max_flat_workgroup_size: 256
    .name:           _ZL37rocblas_syrkx_herkx_restricted_kernelIlfLi16ELi32ELi8ELi1ELin1ELb0ELc67ELc85EKPKfKPfEviT_PT9_S5_lS7_S5_lPT10_S5_li
    .private_segment_fixed_size: 0
    .sgpr_count:     22
    .sgpr_spill_count: 0
    .symbol:         _ZL37rocblas_syrkx_herkx_restricted_kernelIlfLi16ELi32ELi8ELi1ELin1ELb0ELc67ELc85EKPKfKPfEviT_PT9_S5_lS7_S5_lPT10_S5_li.kd
    .uniform_work_group_size: 1
    .uses_dynamic_stack: false
    .vgpr_count:     46
    .vgpr_spill_count: 0
    .wavefront_size: 32
    .workgroup_processor_mode: 1
  - .args:
      - .offset:         0
        .size:           4
        .value_kind:     by_value
      - .offset:         8
        .size:           8
        .value_kind:     by_value
      - .address_space:  global
        .offset:         16
        .size:           8
        .value_kind:     global_buffer
      - .offset:         24
        .size:           8
        .value_kind:     by_value
      - .offset:         32
        .size:           8
        .value_kind:     by_value
      - .address_space:  global
        .offset:         40
        .size:           8
        .value_kind:     global_buffer
      - .offset:         48
        .size:           8
        .value_kind:     by_value
      - .offset:         56
        .size:           8
        .value_kind:     by_value
      - .address_space:  global
        .offset:         64
        .size:           8
        .value_kind:     global_buffer
      - .offset:         72
        .size:           8
        .value_kind:     by_value
      - .offset:         80
        .size:           8
        .value_kind:     by_value
      - .offset:         88
        .size:           4
        .value_kind:     by_value
    .group_segment_fixed_size: 2048
    .kernarg_segment_align: 8
    .kernarg_segment_size: 92
    .language:       OpenCL C
    .language_version:
      - 2
      - 0
    .max_flat_workgroup_size: 256
    .name:           _ZL37rocblas_syrkx_herkx_restricted_kernelIlfLi16ELi32ELi8ELi1ELin1ELb0ELc78ELc85EKPKfKPfEviT_PT9_S5_lS7_S5_lPT10_S5_li
    .private_segment_fixed_size: 0
    .sgpr_count:     22
    .sgpr_spill_count: 0
    .symbol:         _ZL37rocblas_syrkx_herkx_restricted_kernelIlfLi16ELi32ELi8ELi1ELin1ELb0ELc78ELc85EKPKfKPfEviT_PT9_S5_lS7_S5_lPT10_S5_li.kd
    .uniform_work_group_size: 1
    .uses_dynamic_stack: false
    .vgpr_count:     46
    .vgpr_spill_count: 0
    .wavefront_size: 32
    .workgroup_processor_mode: 1
  - .args:
      - .offset:         0
        .size:           4
        .value_kind:     by_value
      - .offset:         8
        .size:           8
        .value_kind:     by_value
      - .address_space:  global
        .offset:         16
        .size:           8
        .value_kind:     global_buffer
      - .offset:         24
        .size:           8
        .value_kind:     by_value
      - .offset:         32
        .size:           8
        .value_kind:     by_value
      - .address_space:  global
        .offset:         40
        .size:           8
        .value_kind:     global_buffer
      - .offset:         48
        .size:           8
        .value_kind:     by_value
      - .offset:         56
        .size:           8
        .value_kind:     by_value
      - .address_space:  global
        .offset:         64
        .size:           8
        .value_kind:     global_buffer
      - .offset:         72
        .size:           8
        .value_kind:     by_value
      - .offset:         80
        .size:           8
        .value_kind:     by_value
      - .offset:         88
        .size:           4
        .value_kind:     by_value
    .group_segment_fixed_size: 2048
    .kernarg_segment_align: 8
    .kernarg_segment_size: 92
    .language:       OpenCL C
    .language_version:
      - 2
      - 0
    .max_flat_workgroup_size: 256
    .name:           _ZL37rocblas_syrkx_herkx_restricted_kernelIlfLi16ELi32ELi8ELi1ELi0ELb0ELc84ELc76EKPKfKPfEviT_PT9_S5_lS7_S5_lPT10_S5_li
    .private_segment_fixed_size: 0
    .sgpr_count:     22
    .sgpr_spill_count: 0
    .symbol:         _ZL37rocblas_syrkx_herkx_restricted_kernelIlfLi16ELi32ELi8ELi1ELi0ELb0ELc84ELc76EKPKfKPfEviT_PT9_S5_lS7_S5_lPT10_S5_li.kd
    .uniform_work_group_size: 1
    .uses_dynamic_stack: false
    .vgpr_count:     46
    .vgpr_spill_count: 0
    .wavefront_size: 32
    .workgroup_processor_mode: 1
  - .args:
      - .offset:         0
        .size:           4
        .value_kind:     by_value
      - .offset:         8
        .size:           8
        .value_kind:     by_value
      - .address_space:  global
        .offset:         16
        .size:           8
        .value_kind:     global_buffer
      - .offset:         24
        .size:           8
        .value_kind:     by_value
      - .offset:         32
        .size:           8
        .value_kind:     by_value
      - .address_space:  global
        .offset:         40
        .size:           8
        .value_kind:     global_buffer
      - .offset:         48
        .size:           8
        .value_kind:     by_value
      - .offset:         56
        .size:           8
        .value_kind:     by_value
      - .address_space:  global
        .offset:         64
        .size:           8
        .value_kind:     global_buffer
      - .offset:         72
        .size:           8
        .value_kind:     by_value
      - .offset:         80
        .size:           8
        .value_kind:     by_value
      - .offset:         88
        .size:           4
        .value_kind:     by_value
    .group_segment_fixed_size: 2048
    .kernarg_segment_align: 8
    .kernarg_segment_size: 92
    .language:       OpenCL C
    .language_version:
      - 2
      - 0
    .max_flat_workgroup_size: 256
    .name:           _ZL37rocblas_syrkx_herkx_restricted_kernelIlfLi16ELi32ELi8ELi1ELi0ELb0ELc67ELc76EKPKfKPfEviT_PT9_S5_lS7_S5_lPT10_S5_li
    .private_segment_fixed_size: 0
    .sgpr_count:     22
    .sgpr_spill_count: 0
    .symbol:         _ZL37rocblas_syrkx_herkx_restricted_kernelIlfLi16ELi32ELi8ELi1ELi0ELb0ELc67ELc76EKPKfKPfEviT_PT9_S5_lS7_S5_lPT10_S5_li.kd
    .uniform_work_group_size: 1
    .uses_dynamic_stack: false
    .vgpr_count:     46
    .vgpr_spill_count: 0
    .wavefront_size: 32
    .workgroup_processor_mode: 1
  - .args:
      - .offset:         0
        .size:           4
        .value_kind:     by_value
      - .offset:         8
        .size:           8
        .value_kind:     by_value
      - .address_space:  global
        .offset:         16
        .size:           8
        .value_kind:     global_buffer
      - .offset:         24
        .size:           8
        .value_kind:     by_value
      - .offset:         32
        .size:           8
        .value_kind:     by_value
      - .address_space:  global
        .offset:         40
        .size:           8
        .value_kind:     global_buffer
      - .offset:         48
        .size:           8
        .value_kind:     by_value
      - .offset:         56
        .size:           8
        .value_kind:     by_value
      - .address_space:  global
        .offset:         64
        .size:           8
        .value_kind:     global_buffer
      - .offset:         72
        .size:           8
        .value_kind:     by_value
      - .offset:         80
        .size:           8
        .value_kind:     by_value
      - .offset:         88
        .size:           4
        .value_kind:     by_value
    .group_segment_fixed_size: 2048
    .kernarg_segment_align: 8
    .kernarg_segment_size: 92
    .language:       OpenCL C
    .language_version:
      - 2
      - 0
    .max_flat_workgroup_size: 256
    .name:           _ZL37rocblas_syrkx_herkx_restricted_kernelIlfLi16ELi32ELi8ELi1ELi0ELb0ELc78ELc76EKPKfKPfEviT_PT9_S5_lS7_S5_lPT10_S5_li
    .private_segment_fixed_size: 0
    .sgpr_count:     22
    .sgpr_spill_count: 0
    .symbol:         _ZL37rocblas_syrkx_herkx_restricted_kernelIlfLi16ELi32ELi8ELi1ELi0ELb0ELc78ELc76EKPKfKPfEviT_PT9_S5_lS7_S5_lPT10_S5_li.kd
    .uniform_work_group_size: 1
    .uses_dynamic_stack: false
    .vgpr_count:     46
    .vgpr_spill_count: 0
    .wavefront_size: 32
    .workgroup_processor_mode: 1
  - .args:
      - .offset:         0
        .size:           4
        .value_kind:     by_value
      - .offset:         8
        .size:           8
        .value_kind:     by_value
      - .address_space:  global
        .offset:         16
        .size:           8
        .value_kind:     global_buffer
      - .offset:         24
        .size:           8
        .value_kind:     by_value
      - .offset:         32
        .size:           8
        .value_kind:     by_value
      - .address_space:  global
        .offset:         40
        .size:           8
        .value_kind:     global_buffer
      - .offset:         48
        .size:           8
        .value_kind:     by_value
      - .offset:         56
        .size:           8
        .value_kind:     by_value
      - .address_space:  global
        .offset:         64
        .size:           8
        .value_kind:     global_buffer
      - .offset:         72
        .size:           8
        .value_kind:     by_value
      - .offset:         80
        .size:           8
        .value_kind:     by_value
      - .offset:         88
        .size:           4
        .value_kind:     by_value
    .group_segment_fixed_size: 2048
    .kernarg_segment_align: 8
    .kernarg_segment_size: 92
    .language:       OpenCL C
    .language_version:
      - 2
      - 0
    .max_flat_workgroup_size: 256
    .name:           _ZL37rocblas_syrkx_herkx_restricted_kernelIlfLi16ELi32ELi8ELi1ELi0ELb0ELc84ELc85EKPKfKPfEviT_PT9_S5_lS7_S5_lPT10_S5_li
    .private_segment_fixed_size: 0
    .sgpr_count:     22
    .sgpr_spill_count: 0
    .symbol:         _ZL37rocblas_syrkx_herkx_restricted_kernelIlfLi16ELi32ELi8ELi1ELi0ELb0ELc84ELc85EKPKfKPfEviT_PT9_S5_lS7_S5_lPT10_S5_li.kd
    .uniform_work_group_size: 1
    .uses_dynamic_stack: false
    .vgpr_count:     46
    .vgpr_spill_count: 0
    .wavefront_size: 32
    .workgroup_processor_mode: 1
  - .args:
      - .offset:         0
        .size:           4
        .value_kind:     by_value
      - .offset:         8
        .size:           8
        .value_kind:     by_value
      - .address_space:  global
        .offset:         16
        .size:           8
        .value_kind:     global_buffer
      - .offset:         24
        .size:           8
        .value_kind:     by_value
      - .offset:         32
        .size:           8
        .value_kind:     by_value
      - .address_space:  global
        .offset:         40
        .size:           8
        .value_kind:     global_buffer
      - .offset:         48
        .size:           8
        .value_kind:     by_value
      - .offset:         56
        .size:           8
        .value_kind:     by_value
      - .address_space:  global
        .offset:         64
        .size:           8
        .value_kind:     global_buffer
      - .offset:         72
        .size:           8
        .value_kind:     by_value
      - .offset:         80
        .size:           8
        .value_kind:     by_value
      - .offset:         88
        .size:           4
        .value_kind:     by_value
    .group_segment_fixed_size: 2048
    .kernarg_segment_align: 8
    .kernarg_segment_size: 92
    .language:       OpenCL C
    .language_version:
      - 2
      - 0
    .max_flat_workgroup_size: 256
    .name:           _ZL37rocblas_syrkx_herkx_restricted_kernelIlfLi16ELi32ELi8ELi1ELi0ELb0ELc67ELc85EKPKfKPfEviT_PT9_S5_lS7_S5_lPT10_S5_li
    .private_segment_fixed_size: 0
    .sgpr_count:     22
    .sgpr_spill_count: 0
    .symbol:         _ZL37rocblas_syrkx_herkx_restricted_kernelIlfLi16ELi32ELi8ELi1ELi0ELb0ELc67ELc85EKPKfKPfEviT_PT9_S5_lS7_S5_lPT10_S5_li.kd
    .uniform_work_group_size: 1
    .uses_dynamic_stack: false
    .vgpr_count:     46
    .vgpr_spill_count: 0
    .wavefront_size: 32
    .workgroup_processor_mode: 1
  - .args:
      - .offset:         0
        .size:           4
        .value_kind:     by_value
      - .offset:         8
        .size:           8
        .value_kind:     by_value
      - .address_space:  global
        .offset:         16
        .size:           8
        .value_kind:     global_buffer
      - .offset:         24
        .size:           8
        .value_kind:     by_value
      - .offset:         32
        .size:           8
        .value_kind:     by_value
      - .address_space:  global
        .offset:         40
        .size:           8
        .value_kind:     global_buffer
      - .offset:         48
        .size:           8
        .value_kind:     by_value
      - .offset:         56
        .size:           8
        .value_kind:     by_value
      - .address_space:  global
        .offset:         64
        .size:           8
        .value_kind:     global_buffer
      - .offset:         72
        .size:           8
        .value_kind:     by_value
      - .offset:         80
        .size:           8
        .value_kind:     by_value
      - .offset:         88
        .size:           4
        .value_kind:     by_value
    .group_segment_fixed_size: 2048
    .kernarg_segment_align: 8
    .kernarg_segment_size: 92
    .language:       OpenCL C
    .language_version:
      - 2
      - 0
    .max_flat_workgroup_size: 256
    .name:           _ZL37rocblas_syrkx_herkx_restricted_kernelIlfLi16ELi32ELi8ELi1ELi0ELb0ELc78ELc85EKPKfKPfEviT_PT9_S5_lS7_S5_lPT10_S5_li
    .private_segment_fixed_size: 0
    .sgpr_count:     22
    .sgpr_spill_count: 0
    .symbol:         _ZL37rocblas_syrkx_herkx_restricted_kernelIlfLi16ELi32ELi8ELi1ELi0ELb0ELc78ELc85EKPKfKPfEviT_PT9_S5_lS7_S5_lPT10_S5_li.kd
    .uniform_work_group_size: 1
    .uses_dynamic_stack: false
    .vgpr_count:     46
    .vgpr_spill_count: 0
    .wavefront_size: 32
    .workgroup_processor_mode: 1
  - .args:
      - .offset:         0
        .size:           4
        .value_kind:     by_value
      - .offset:         8
        .size:           8
        .value_kind:     by_value
      - .address_space:  global
        .offset:         16
        .size:           8
        .value_kind:     global_buffer
      - .offset:         24
        .size:           8
        .value_kind:     by_value
      - .offset:         32
        .size:           8
        .value_kind:     by_value
      - .address_space:  global
        .offset:         40
        .size:           8
        .value_kind:     global_buffer
      - .offset:         48
        .size:           8
        .value_kind:     by_value
      - .offset:         56
        .size:           8
        .value_kind:     by_value
      - .address_space:  global
        .offset:         64
        .size:           8
        .value_kind:     global_buffer
      - .offset:         72
        .size:           8
        .value_kind:     by_value
      - .offset:         80
        .size:           8
        .value_kind:     by_value
      - .offset:         88
        .size:           4
        .value_kind:     by_value
    .group_segment_fixed_size: 2048
    .kernarg_segment_align: 8
    .kernarg_segment_size: 92
    .language:       OpenCL C
    .language_version:
      - 2
      - 0
    .max_flat_workgroup_size: 256
    .name:           _ZL37rocblas_syrkx_herkx_restricted_kernelIlfLi16ELi32ELi8ELin1ELi0ELb0ELc84ELc76EKPKfKPfEviT_PT9_S5_lS7_S5_lPT10_S5_li
    .private_segment_fixed_size: 0
    .sgpr_count:     22
    .sgpr_spill_count: 0
    .symbol:         _ZL37rocblas_syrkx_herkx_restricted_kernelIlfLi16ELi32ELi8ELin1ELi0ELb0ELc84ELc76EKPKfKPfEviT_PT9_S5_lS7_S5_lPT10_S5_li.kd
    .uniform_work_group_size: 1
    .uses_dynamic_stack: false
    .vgpr_count:     46
    .vgpr_spill_count: 0
    .wavefront_size: 32
    .workgroup_processor_mode: 1
  - .args:
      - .offset:         0
        .size:           4
        .value_kind:     by_value
      - .offset:         8
        .size:           8
        .value_kind:     by_value
      - .address_space:  global
        .offset:         16
        .size:           8
        .value_kind:     global_buffer
      - .offset:         24
        .size:           8
        .value_kind:     by_value
      - .offset:         32
        .size:           8
        .value_kind:     by_value
      - .address_space:  global
        .offset:         40
        .size:           8
        .value_kind:     global_buffer
      - .offset:         48
        .size:           8
        .value_kind:     by_value
      - .offset:         56
        .size:           8
        .value_kind:     by_value
      - .address_space:  global
        .offset:         64
        .size:           8
        .value_kind:     global_buffer
      - .offset:         72
        .size:           8
        .value_kind:     by_value
      - .offset:         80
        .size:           8
        .value_kind:     by_value
      - .offset:         88
        .size:           4
        .value_kind:     by_value
    .group_segment_fixed_size: 2048
    .kernarg_segment_align: 8
    .kernarg_segment_size: 92
    .language:       OpenCL C
    .language_version:
      - 2
      - 0
    .max_flat_workgroup_size: 256
    .name:           _ZL37rocblas_syrkx_herkx_restricted_kernelIlfLi16ELi32ELi8ELin1ELi0ELb0ELc67ELc76EKPKfKPfEviT_PT9_S5_lS7_S5_lPT10_S5_li
    .private_segment_fixed_size: 0
    .sgpr_count:     22
    .sgpr_spill_count: 0
    .symbol:         _ZL37rocblas_syrkx_herkx_restricted_kernelIlfLi16ELi32ELi8ELin1ELi0ELb0ELc67ELc76EKPKfKPfEviT_PT9_S5_lS7_S5_lPT10_S5_li.kd
    .uniform_work_group_size: 1
    .uses_dynamic_stack: false
    .vgpr_count:     46
    .vgpr_spill_count: 0
    .wavefront_size: 32
    .workgroup_processor_mode: 1
  - .args:
      - .offset:         0
        .size:           4
        .value_kind:     by_value
      - .offset:         8
        .size:           8
        .value_kind:     by_value
      - .address_space:  global
        .offset:         16
        .size:           8
        .value_kind:     global_buffer
      - .offset:         24
        .size:           8
        .value_kind:     by_value
      - .offset:         32
        .size:           8
        .value_kind:     by_value
      - .address_space:  global
        .offset:         40
        .size:           8
        .value_kind:     global_buffer
      - .offset:         48
        .size:           8
        .value_kind:     by_value
      - .offset:         56
        .size:           8
        .value_kind:     by_value
      - .address_space:  global
        .offset:         64
        .size:           8
        .value_kind:     global_buffer
      - .offset:         72
        .size:           8
        .value_kind:     by_value
      - .offset:         80
        .size:           8
        .value_kind:     by_value
      - .offset:         88
        .size:           4
        .value_kind:     by_value
    .group_segment_fixed_size: 2048
    .kernarg_segment_align: 8
    .kernarg_segment_size: 92
    .language:       OpenCL C
    .language_version:
      - 2
      - 0
    .max_flat_workgroup_size: 256
    .name:           _ZL37rocblas_syrkx_herkx_restricted_kernelIlfLi16ELi32ELi8ELin1ELi0ELb0ELc78ELc76EKPKfKPfEviT_PT9_S5_lS7_S5_lPT10_S5_li
    .private_segment_fixed_size: 0
    .sgpr_count:     22
    .sgpr_spill_count: 0
    .symbol:         _ZL37rocblas_syrkx_herkx_restricted_kernelIlfLi16ELi32ELi8ELin1ELi0ELb0ELc78ELc76EKPKfKPfEviT_PT9_S5_lS7_S5_lPT10_S5_li.kd
    .uniform_work_group_size: 1
    .uses_dynamic_stack: false
    .vgpr_count:     46
    .vgpr_spill_count: 0
    .wavefront_size: 32
    .workgroup_processor_mode: 1
  - .args:
      - .offset:         0
        .size:           4
        .value_kind:     by_value
      - .offset:         8
        .size:           8
        .value_kind:     by_value
      - .address_space:  global
        .offset:         16
        .size:           8
        .value_kind:     global_buffer
      - .offset:         24
        .size:           8
        .value_kind:     by_value
      - .offset:         32
        .size:           8
        .value_kind:     by_value
      - .address_space:  global
        .offset:         40
        .size:           8
        .value_kind:     global_buffer
      - .offset:         48
        .size:           8
        .value_kind:     by_value
      - .offset:         56
        .size:           8
        .value_kind:     by_value
      - .address_space:  global
        .offset:         64
        .size:           8
        .value_kind:     global_buffer
      - .offset:         72
        .size:           8
        .value_kind:     by_value
      - .offset:         80
        .size:           8
        .value_kind:     by_value
      - .offset:         88
        .size:           4
        .value_kind:     by_value
    .group_segment_fixed_size: 2048
    .kernarg_segment_align: 8
    .kernarg_segment_size: 92
    .language:       OpenCL C
    .language_version:
      - 2
      - 0
    .max_flat_workgroup_size: 256
    .name:           _ZL37rocblas_syrkx_herkx_restricted_kernelIlfLi16ELi32ELi8ELin1ELi0ELb0ELc84ELc85EKPKfKPfEviT_PT9_S5_lS7_S5_lPT10_S5_li
    .private_segment_fixed_size: 0
    .sgpr_count:     22
    .sgpr_spill_count: 0
    .symbol:         _ZL37rocblas_syrkx_herkx_restricted_kernelIlfLi16ELi32ELi8ELin1ELi0ELb0ELc84ELc85EKPKfKPfEviT_PT9_S5_lS7_S5_lPT10_S5_li.kd
    .uniform_work_group_size: 1
    .uses_dynamic_stack: false
    .vgpr_count:     46
    .vgpr_spill_count: 0
    .wavefront_size: 32
    .workgroup_processor_mode: 1
  - .args:
      - .offset:         0
        .size:           4
        .value_kind:     by_value
      - .offset:         8
        .size:           8
        .value_kind:     by_value
      - .address_space:  global
        .offset:         16
        .size:           8
        .value_kind:     global_buffer
      - .offset:         24
        .size:           8
        .value_kind:     by_value
      - .offset:         32
        .size:           8
        .value_kind:     by_value
      - .address_space:  global
        .offset:         40
        .size:           8
        .value_kind:     global_buffer
      - .offset:         48
        .size:           8
        .value_kind:     by_value
      - .offset:         56
        .size:           8
        .value_kind:     by_value
      - .address_space:  global
        .offset:         64
        .size:           8
        .value_kind:     global_buffer
      - .offset:         72
        .size:           8
        .value_kind:     by_value
      - .offset:         80
        .size:           8
        .value_kind:     by_value
      - .offset:         88
        .size:           4
        .value_kind:     by_value
    .group_segment_fixed_size: 2048
    .kernarg_segment_align: 8
    .kernarg_segment_size: 92
    .language:       OpenCL C
    .language_version:
      - 2
      - 0
    .max_flat_workgroup_size: 256
    .name:           _ZL37rocblas_syrkx_herkx_restricted_kernelIlfLi16ELi32ELi8ELin1ELi0ELb0ELc67ELc85EKPKfKPfEviT_PT9_S5_lS7_S5_lPT10_S5_li
    .private_segment_fixed_size: 0
    .sgpr_count:     22
    .sgpr_spill_count: 0
    .symbol:         _ZL37rocblas_syrkx_herkx_restricted_kernelIlfLi16ELi32ELi8ELin1ELi0ELb0ELc67ELc85EKPKfKPfEviT_PT9_S5_lS7_S5_lPT10_S5_li.kd
    .uniform_work_group_size: 1
    .uses_dynamic_stack: false
    .vgpr_count:     46
    .vgpr_spill_count: 0
    .wavefront_size: 32
    .workgroup_processor_mode: 1
  - .args:
      - .offset:         0
        .size:           4
        .value_kind:     by_value
      - .offset:         8
        .size:           8
        .value_kind:     by_value
      - .address_space:  global
        .offset:         16
        .size:           8
        .value_kind:     global_buffer
      - .offset:         24
        .size:           8
        .value_kind:     by_value
      - .offset:         32
        .size:           8
        .value_kind:     by_value
      - .address_space:  global
        .offset:         40
        .size:           8
        .value_kind:     global_buffer
      - .offset:         48
        .size:           8
        .value_kind:     by_value
      - .offset:         56
        .size:           8
        .value_kind:     by_value
      - .address_space:  global
        .offset:         64
        .size:           8
        .value_kind:     global_buffer
      - .offset:         72
        .size:           8
        .value_kind:     by_value
      - .offset:         80
        .size:           8
        .value_kind:     by_value
      - .offset:         88
        .size:           4
        .value_kind:     by_value
    .group_segment_fixed_size: 2048
    .kernarg_segment_align: 8
    .kernarg_segment_size: 92
    .language:       OpenCL C
    .language_version:
      - 2
      - 0
    .max_flat_workgroup_size: 256
    .name:           _ZL37rocblas_syrkx_herkx_restricted_kernelIlfLi16ELi32ELi8ELin1ELi0ELb0ELc78ELc85EKPKfKPfEviT_PT9_S5_lS7_S5_lPT10_S5_li
    .private_segment_fixed_size: 0
    .sgpr_count:     22
    .sgpr_spill_count: 0
    .symbol:         _ZL37rocblas_syrkx_herkx_restricted_kernelIlfLi16ELi32ELi8ELin1ELi0ELb0ELc78ELc85EKPKfKPfEviT_PT9_S5_lS7_S5_lPT10_S5_li.kd
    .uniform_work_group_size: 1
    .uses_dynamic_stack: false
    .vgpr_count:     46
    .vgpr_spill_count: 0
    .wavefront_size: 32
    .workgroup_processor_mode: 1
  - .args:
      - .offset:         0
        .size:           4
        .value_kind:     by_value
      - .offset:         8
        .size:           8
        .value_kind:     by_value
      - .offset:         16
        .size:           4
        .value_kind:     by_value
      - .address_space:  global
        .offset:         24
        .size:           8
        .value_kind:     global_buffer
      - .offset:         32
        .size:           8
        .value_kind:     by_value
      - .offset:         40
        .size:           8
        .value_kind:     by_value
      - .address_space:  global
        .offset:         48
        .size:           8
        .value_kind:     global_buffer
      - .offset:         56
        .size:           8
        .value_kind:     by_value
      - .offset:         64
        .size:           8
        .value_kind:     by_value
      - .offset:         72
        .size:           4
        .value_kind:     by_value
      - .address_space:  global
        .offset:         80
        .size:           8
        .value_kind:     global_buffer
      - .offset:         88
        .size:           8
        .value_kind:     by_value
      - .offset:         96
        .size:           8
        .value_kind:     by_value
      - .offset:         104
        .size:           4
        .value_kind:     by_value
    .group_segment_fixed_size: 2048
    .kernarg_segment_align: 8
    .kernarg_segment_size: 108
    .language:       OpenCL C
    .language_version:
      - 2
      - 0
    .max_flat_workgroup_size: 256
    .name:           _ZL37rocblas_syrkx_herkx_restricted_kernelIlfLi16ELi32ELi8ELb1ELb0ELc84ELc76EKPKfKPfEviT_T0_PT8_S5_lS8_S5_lS6_PT9_S5_li
    .private_segment_fixed_size: 0
    .sgpr_count:     24
    .sgpr_spill_count: 0
    .symbol:         _ZL37rocblas_syrkx_herkx_restricted_kernelIlfLi16ELi32ELi8ELb1ELb0ELc84ELc76EKPKfKPfEviT_T0_PT8_S5_lS8_S5_lS6_PT9_S5_li.kd
    .uniform_work_group_size: 1
    .uses_dynamic_stack: false
    .vgpr_count:     46
    .vgpr_spill_count: 0
    .wavefront_size: 32
    .workgroup_processor_mode: 1
  - .args:
      - .offset:         0
        .size:           4
        .value_kind:     by_value
      - .offset:         8
        .size:           8
        .value_kind:     by_value
      - .offset:         16
        .size:           4
        .value_kind:     by_value
      - .address_space:  global
        .offset:         24
        .size:           8
        .value_kind:     global_buffer
      - .offset:         32
        .size:           8
        .value_kind:     by_value
      - .offset:         40
        .size:           8
        .value_kind:     by_value
      - .address_space:  global
        .offset:         48
        .size:           8
        .value_kind:     global_buffer
      - .offset:         56
        .size:           8
        .value_kind:     by_value
      - .offset:         64
        .size:           8
        .value_kind:     by_value
      - .offset:         72
        .size:           4
        .value_kind:     by_value
      - .address_space:  global
        .offset:         80
        .size:           8
        .value_kind:     global_buffer
      - .offset:         88
        .size:           8
        .value_kind:     by_value
      - .offset:         96
        .size:           8
        .value_kind:     by_value
      - .offset:         104
        .size:           4
        .value_kind:     by_value
    .group_segment_fixed_size: 2048
    .kernarg_segment_align: 8
    .kernarg_segment_size: 108
    .language:       OpenCL C
    .language_version:
      - 2
      - 0
    .max_flat_workgroup_size: 256
    .name:           _ZL37rocblas_syrkx_herkx_restricted_kernelIlfLi16ELi32ELi8ELb1ELb0ELc67ELc76EKPKfKPfEviT_T0_PT8_S5_lS8_S5_lS6_PT9_S5_li
    .private_segment_fixed_size: 0
    .sgpr_count:     24
    .sgpr_spill_count: 0
    .symbol:         _ZL37rocblas_syrkx_herkx_restricted_kernelIlfLi16ELi32ELi8ELb1ELb0ELc67ELc76EKPKfKPfEviT_T0_PT8_S5_lS8_S5_lS6_PT9_S5_li.kd
    .uniform_work_group_size: 1
    .uses_dynamic_stack: false
    .vgpr_count:     46
    .vgpr_spill_count: 0
    .wavefront_size: 32
    .workgroup_processor_mode: 1
  - .args:
      - .offset:         0
        .size:           4
        .value_kind:     by_value
      - .offset:         8
        .size:           8
        .value_kind:     by_value
      - .offset:         16
        .size:           4
        .value_kind:     by_value
      - .address_space:  global
        .offset:         24
        .size:           8
        .value_kind:     global_buffer
      - .offset:         32
        .size:           8
        .value_kind:     by_value
      - .offset:         40
        .size:           8
        .value_kind:     by_value
      - .address_space:  global
        .offset:         48
        .size:           8
        .value_kind:     global_buffer
      - .offset:         56
        .size:           8
        .value_kind:     by_value
      - .offset:         64
        .size:           8
        .value_kind:     by_value
      - .offset:         72
        .size:           4
        .value_kind:     by_value
      - .address_space:  global
        .offset:         80
        .size:           8
        .value_kind:     global_buffer
      - .offset:         88
        .size:           8
        .value_kind:     by_value
      - .offset:         96
        .size:           8
        .value_kind:     by_value
      - .offset:         104
        .size:           4
        .value_kind:     by_value
    .group_segment_fixed_size: 2048
    .kernarg_segment_align: 8
    .kernarg_segment_size: 108
    .language:       OpenCL C
    .language_version:
      - 2
      - 0
    .max_flat_workgroup_size: 256
    .name:           _ZL37rocblas_syrkx_herkx_restricted_kernelIlfLi16ELi32ELi8ELb1ELb0ELc78ELc76EKPKfKPfEviT_T0_PT8_S5_lS8_S5_lS6_PT9_S5_li
    .private_segment_fixed_size: 0
    .sgpr_count:     24
    .sgpr_spill_count: 0
    .symbol:         _ZL37rocblas_syrkx_herkx_restricted_kernelIlfLi16ELi32ELi8ELb1ELb0ELc78ELc76EKPKfKPfEviT_T0_PT8_S5_lS8_S5_lS6_PT9_S5_li.kd
    .uniform_work_group_size: 1
    .uses_dynamic_stack: false
    .vgpr_count:     46
    .vgpr_spill_count: 0
    .wavefront_size: 32
    .workgroup_processor_mode: 1
  - .args:
      - .offset:         0
        .size:           4
        .value_kind:     by_value
      - .offset:         8
        .size:           8
        .value_kind:     by_value
      - .offset:         16
        .size:           4
        .value_kind:     by_value
      - .address_space:  global
        .offset:         24
        .size:           8
        .value_kind:     global_buffer
      - .offset:         32
        .size:           8
        .value_kind:     by_value
      - .offset:         40
        .size:           8
        .value_kind:     by_value
      - .address_space:  global
        .offset:         48
        .size:           8
        .value_kind:     global_buffer
      - .offset:         56
        .size:           8
        .value_kind:     by_value
      - .offset:         64
        .size:           8
        .value_kind:     by_value
      - .offset:         72
        .size:           4
        .value_kind:     by_value
      - .address_space:  global
        .offset:         80
        .size:           8
        .value_kind:     global_buffer
      - .offset:         88
        .size:           8
        .value_kind:     by_value
      - .offset:         96
        .size:           8
        .value_kind:     by_value
      - .offset:         104
        .size:           4
        .value_kind:     by_value
    .group_segment_fixed_size: 2048
    .kernarg_segment_align: 8
    .kernarg_segment_size: 108
    .language:       OpenCL C
    .language_version:
      - 2
      - 0
    .max_flat_workgroup_size: 256
    .name:           _ZL37rocblas_syrkx_herkx_restricted_kernelIlfLi16ELi32ELi8ELb1ELb0ELc84ELc85EKPKfKPfEviT_T0_PT8_S5_lS8_S5_lS6_PT9_S5_li
    .private_segment_fixed_size: 0
    .sgpr_count:     24
    .sgpr_spill_count: 0
    .symbol:         _ZL37rocblas_syrkx_herkx_restricted_kernelIlfLi16ELi32ELi8ELb1ELb0ELc84ELc85EKPKfKPfEviT_T0_PT8_S5_lS8_S5_lS6_PT9_S5_li.kd
    .uniform_work_group_size: 1
    .uses_dynamic_stack: false
    .vgpr_count:     46
    .vgpr_spill_count: 0
    .wavefront_size: 32
    .workgroup_processor_mode: 1
  - .args:
      - .offset:         0
        .size:           4
        .value_kind:     by_value
      - .offset:         8
        .size:           8
        .value_kind:     by_value
      - .offset:         16
        .size:           4
        .value_kind:     by_value
      - .address_space:  global
        .offset:         24
        .size:           8
        .value_kind:     global_buffer
      - .offset:         32
        .size:           8
        .value_kind:     by_value
      - .offset:         40
        .size:           8
        .value_kind:     by_value
      - .address_space:  global
        .offset:         48
        .size:           8
        .value_kind:     global_buffer
      - .offset:         56
        .size:           8
        .value_kind:     by_value
      - .offset:         64
        .size:           8
        .value_kind:     by_value
      - .offset:         72
        .size:           4
        .value_kind:     by_value
      - .address_space:  global
        .offset:         80
        .size:           8
        .value_kind:     global_buffer
      - .offset:         88
        .size:           8
        .value_kind:     by_value
      - .offset:         96
        .size:           8
        .value_kind:     by_value
      - .offset:         104
        .size:           4
        .value_kind:     by_value
    .group_segment_fixed_size: 2048
    .kernarg_segment_align: 8
    .kernarg_segment_size: 108
    .language:       OpenCL C
    .language_version:
      - 2
      - 0
    .max_flat_workgroup_size: 256
    .name:           _ZL37rocblas_syrkx_herkx_restricted_kernelIlfLi16ELi32ELi8ELb1ELb0ELc67ELc85EKPKfKPfEviT_T0_PT8_S5_lS8_S5_lS6_PT9_S5_li
    .private_segment_fixed_size: 0
    .sgpr_count:     24
    .sgpr_spill_count: 0
    .symbol:         _ZL37rocblas_syrkx_herkx_restricted_kernelIlfLi16ELi32ELi8ELb1ELb0ELc67ELc85EKPKfKPfEviT_T0_PT8_S5_lS8_S5_lS6_PT9_S5_li.kd
    .uniform_work_group_size: 1
    .uses_dynamic_stack: false
    .vgpr_count:     46
    .vgpr_spill_count: 0
    .wavefront_size: 32
    .workgroup_processor_mode: 1
  - .args:
      - .offset:         0
        .size:           4
        .value_kind:     by_value
      - .offset:         8
        .size:           8
        .value_kind:     by_value
      - .offset:         16
        .size:           4
        .value_kind:     by_value
      - .address_space:  global
        .offset:         24
        .size:           8
        .value_kind:     global_buffer
      - .offset:         32
        .size:           8
        .value_kind:     by_value
      - .offset:         40
        .size:           8
        .value_kind:     by_value
      - .address_space:  global
        .offset:         48
        .size:           8
        .value_kind:     global_buffer
      - .offset:         56
        .size:           8
        .value_kind:     by_value
      - .offset:         64
        .size:           8
        .value_kind:     by_value
      - .offset:         72
        .size:           4
        .value_kind:     by_value
      - .address_space:  global
        .offset:         80
        .size:           8
        .value_kind:     global_buffer
      - .offset:         88
        .size:           8
        .value_kind:     by_value
      - .offset:         96
        .size:           8
        .value_kind:     by_value
      - .offset:         104
        .size:           4
        .value_kind:     by_value
    .group_segment_fixed_size: 2048
    .kernarg_segment_align: 8
    .kernarg_segment_size: 108
    .language:       OpenCL C
    .language_version:
      - 2
      - 0
    .max_flat_workgroup_size: 256
    .name:           _ZL37rocblas_syrkx_herkx_restricted_kernelIlfLi16ELi32ELi8ELb1ELb0ELc78ELc85EKPKfKPfEviT_T0_PT8_S5_lS8_S5_lS6_PT9_S5_li
    .private_segment_fixed_size: 0
    .sgpr_count:     24
    .sgpr_spill_count: 0
    .symbol:         _ZL37rocblas_syrkx_herkx_restricted_kernelIlfLi16ELi32ELi8ELb1ELb0ELc78ELc85EKPKfKPfEviT_T0_PT8_S5_lS8_S5_lS6_PT9_S5_li.kd
    .uniform_work_group_size: 1
    .uses_dynamic_stack: false
    .vgpr_count:     46
    .vgpr_spill_count: 0
    .wavefront_size: 32
    .workgroup_processor_mode: 1
  - .args:
      - .offset:         0
        .size:           4
        .value_kind:     by_value
      - .offset:         8
        .size:           8
        .value_kind:     by_value
      - .offset:         16
        .size:           4
        .value_kind:     by_value
      - .address_space:  global
        .offset:         24
        .size:           8
        .value_kind:     global_buffer
      - .offset:         32
        .size:           8
        .value_kind:     by_value
      - .offset:         40
        .size:           8
        .value_kind:     by_value
      - .address_space:  global
        .offset:         48
        .size:           8
        .value_kind:     global_buffer
      - .offset:         56
        .size:           8
        .value_kind:     by_value
      - .offset:         64
        .size:           8
        .value_kind:     by_value
      - .offset:         72
        .size:           4
        .value_kind:     by_value
      - .address_space:  global
        .offset:         80
        .size:           8
        .value_kind:     global_buffer
      - .offset:         88
        .size:           8
        .value_kind:     by_value
      - .offset:         96
        .size:           8
        .value_kind:     by_value
      - .offset:         104
        .size:           4
        .value_kind:     by_value
    .group_segment_fixed_size: 2048
    .kernarg_segment_align: 8
    .kernarg_segment_size: 108
    .language:       OpenCL C
    .language_version:
      - 2
      - 0
    .max_flat_workgroup_size: 256
    .name:           _ZL37rocblas_syrkx_herkx_restricted_kernelIlfLi16ELi32ELi8ELb0ELb0ELc84ELc76EKPKfKPfEviT_T0_PT8_S5_lS8_S5_lS6_PT9_S5_li
    .private_segment_fixed_size: 0
    .sgpr_count:     24
    .sgpr_spill_count: 0
    .symbol:         _ZL37rocblas_syrkx_herkx_restricted_kernelIlfLi16ELi32ELi8ELb0ELb0ELc84ELc76EKPKfKPfEviT_T0_PT8_S5_lS8_S5_lS6_PT9_S5_li.kd
    .uniform_work_group_size: 1
    .uses_dynamic_stack: false
    .vgpr_count:     46
    .vgpr_spill_count: 0
    .wavefront_size: 32
    .workgroup_processor_mode: 1
  - .args:
      - .offset:         0
        .size:           4
        .value_kind:     by_value
      - .offset:         8
        .size:           8
        .value_kind:     by_value
      - .offset:         16
        .size:           4
        .value_kind:     by_value
      - .address_space:  global
        .offset:         24
        .size:           8
        .value_kind:     global_buffer
      - .offset:         32
        .size:           8
        .value_kind:     by_value
      - .offset:         40
        .size:           8
        .value_kind:     by_value
      - .address_space:  global
        .offset:         48
        .size:           8
        .value_kind:     global_buffer
      - .offset:         56
        .size:           8
        .value_kind:     by_value
      - .offset:         64
        .size:           8
        .value_kind:     by_value
      - .offset:         72
        .size:           4
        .value_kind:     by_value
      - .address_space:  global
        .offset:         80
        .size:           8
        .value_kind:     global_buffer
      - .offset:         88
        .size:           8
        .value_kind:     by_value
      - .offset:         96
        .size:           8
        .value_kind:     by_value
      - .offset:         104
        .size:           4
        .value_kind:     by_value
    .group_segment_fixed_size: 2048
    .kernarg_segment_align: 8
    .kernarg_segment_size: 108
    .language:       OpenCL C
    .language_version:
      - 2
      - 0
    .max_flat_workgroup_size: 256
    .name:           _ZL37rocblas_syrkx_herkx_restricted_kernelIlfLi16ELi32ELi8ELb0ELb0ELc67ELc76EKPKfKPfEviT_T0_PT8_S5_lS8_S5_lS6_PT9_S5_li
    .private_segment_fixed_size: 0
    .sgpr_count:     24
    .sgpr_spill_count: 0
    .symbol:         _ZL37rocblas_syrkx_herkx_restricted_kernelIlfLi16ELi32ELi8ELb0ELb0ELc67ELc76EKPKfKPfEviT_T0_PT8_S5_lS8_S5_lS6_PT9_S5_li.kd
    .uniform_work_group_size: 1
    .uses_dynamic_stack: false
    .vgpr_count:     46
    .vgpr_spill_count: 0
    .wavefront_size: 32
    .workgroup_processor_mode: 1
  - .args:
      - .offset:         0
        .size:           4
        .value_kind:     by_value
      - .offset:         8
        .size:           8
        .value_kind:     by_value
      - .offset:         16
        .size:           4
        .value_kind:     by_value
      - .address_space:  global
        .offset:         24
        .size:           8
        .value_kind:     global_buffer
      - .offset:         32
        .size:           8
        .value_kind:     by_value
      - .offset:         40
        .size:           8
        .value_kind:     by_value
      - .address_space:  global
        .offset:         48
        .size:           8
        .value_kind:     global_buffer
      - .offset:         56
        .size:           8
        .value_kind:     by_value
      - .offset:         64
        .size:           8
        .value_kind:     by_value
      - .offset:         72
        .size:           4
        .value_kind:     by_value
      - .address_space:  global
        .offset:         80
        .size:           8
        .value_kind:     global_buffer
      - .offset:         88
        .size:           8
        .value_kind:     by_value
      - .offset:         96
        .size:           8
        .value_kind:     by_value
      - .offset:         104
        .size:           4
        .value_kind:     by_value
    .group_segment_fixed_size: 2048
    .kernarg_segment_align: 8
    .kernarg_segment_size: 108
    .language:       OpenCL C
    .language_version:
      - 2
      - 0
    .max_flat_workgroup_size: 256
    .name:           _ZL37rocblas_syrkx_herkx_restricted_kernelIlfLi16ELi32ELi8ELb0ELb0ELc78ELc76EKPKfKPfEviT_T0_PT8_S5_lS8_S5_lS6_PT9_S5_li
    .private_segment_fixed_size: 0
    .sgpr_count:     24
    .sgpr_spill_count: 0
    .symbol:         _ZL37rocblas_syrkx_herkx_restricted_kernelIlfLi16ELi32ELi8ELb0ELb0ELc78ELc76EKPKfKPfEviT_T0_PT8_S5_lS8_S5_lS6_PT9_S5_li.kd
    .uniform_work_group_size: 1
    .uses_dynamic_stack: false
    .vgpr_count:     46
    .vgpr_spill_count: 0
    .wavefront_size: 32
    .workgroup_processor_mode: 1
  - .args:
      - .offset:         0
        .size:           4
        .value_kind:     by_value
      - .offset:         8
        .size:           8
        .value_kind:     by_value
      - .offset:         16
        .size:           4
        .value_kind:     by_value
      - .address_space:  global
        .offset:         24
        .size:           8
        .value_kind:     global_buffer
      - .offset:         32
        .size:           8
        .value_kind:     by_value
      - .offset:         40
        .size:           8
        .value_kind:     by_value
      - .address_space:  global
        .offset:         48
        .size:           8
        .value_kind:     global_buffer
      - .offset:         56
        .size:           8
        .value_kind:     by_value
      - .offset:         64
        .size:           8
        .value_kind:     by_value
      - .offset:         72
        .size:           4
        .value_kind:     by_value
      - .address_space:  global
        .offset:         80
        .size:           8
        .value_kind:     global_buffer
      - .offset:         88
        .size:           8
        .value_kind:     by_value
      - .offset:         96
        .size:           8
        .value_kind:     by_value
      - .offset:         104
        .size:           4
        .value_kind:     by_value
    .group_segment_fixed_size: 2048
    .kernarg_segment_align: 8
    .kernarg_segment_size: 108
    .language:       OpenCL C
    .language_version:
      - 2
      - 0
    .max_flat_workgroup_size: 256
    .name:           _ZL37rocblas_syrkx_herkx_restricted_kernelIlfLi16ELi32ELi8ELb0ELb0ELc84ELc85EKPKfKPfEviT_T0_PT8_S5_lS8_S5_lS6_PT9_S5_li
    .private_segment_fixed_size: 0
    .sgpr_count:     24
    .sgpr_spill_count: 0
    .symbol:         _ZL37rocblas_syrkx_herkx_restricted_kernelIlfLi16ELi32ELi8ELb0ELb0ELc84ELc85EKPKfKPfEviT_T0_PT8_S5_lS8_S5_lS6_PT9_S5_li.kd
    .uniform_work_group_size: 1
    .uses_dynamic_stack: false
    .vgpr_count:     46
    .vgpr_spill_count: 0
    .wavefront_size: 32
    .workgroup_processor_mode: 1
  - .args:
      - .offset:         0
        .size:           4
        .value_kind:     by_value
      - .offset:         8
        .size:           8
        .value_kind:     by_value
      - .offset:         16
        .size:           4
        .value_kind:     by_value
      - .address_space:  global
        .offset:         24
        .size:           8
        .value_kind:     global_buffer
      - .offset:         32
        .size:           8
        .value_kind:     by_value
      - .offset:         40
        .size:           8
        .value_kind:     by_value
      - .address_space:  global
        .offset:         48
        .size:           8
        .value_kind:     global_buffer
      - .offset:         56
        .size:           8
        .value_kind:     by_value
      - .offset:         64
        .size:           8
        .value_kind:     by_value
      - .offset:         72
        .size:           4
        .value_kind:     by_value
      - .address_space:  global
        .offset:         80
        .size:           8
        .value_kind:     global_buffer
      - .offset:         88
        .size:           8
        .value_kind:     by_value
      - .offset:         96
        .size:           8
        .value_kind:     by_value
      - .offset:         104
        .size:           4
        .value_kind:     by_value
    .group_segment_fixed_size: 2048
    .kernarg_segment_align: 8
    .kernarg_segment_size: 108
    .language:       OpenCL C
    .language_version:
      - 2
      - 0
    .max_flat_workgroup_size: 256
    .name:           _ZL37rocblas_syrkx_herkx_restricted_kernelIlfLi16ELi32ELi8ELb0ELb0ELc67ELc85EKPKfKPfEviT_T0_PT8_S5_lS8_S5_lS6_PT9_S5_li
    .private_segment_fixed_size: 0
    .sgpr_count:     24
    .sgpr_spill_count: 0
    .symbol:         _ZL37rocblas_syrkx_herkx_restricted_kernelIlfLi16ELi32ELi8ELb0ELb0ELc67ELc85EKPKfKPfEviT_T0_PT8_S5_lS8_S5_lS6_PT9_S5_li.kd
    .uniform_work_group_size: 1
    .uses_dynamic_stack: false
    .vgpr_count:     46
    .vgpr_spill_count: 0
    .wavefront_size: 32
    .workgroup_processor_mode: 1
  - .args:
      - .offset:         0
        .size:           4
        .value_kind:     by_value
      - .offset:         8
        .size:           8
        .value_kind:     by_value
      - .offset:         16
        .size:           4
        .value_kind:     by_value
      - .address_space:  global
        .offset:         24
        .size:           8
        .value_kind:     global_buffer
      - .offset:         32
        .size:           8
        .value_kind:     by_value
      - .offset:         40
        .size:           8
        .value_kind:     by_value
      - .address_space:  global
        .offset:         48
        .size:           8
        .value_kind:     global_buffer
      - .offset:         56
        .size:           8
        .value_kind:     by_value
      - .offset:         64
        .size:           8
        .value_kind:     by_value
      - .offset:         72
        .size:           4
        .value_kind:     by_value
      - .address_space:  global
        .offset:         80
        .size:           8
        .value_kind:     global_buffer
      - .offset:         88
        .size:           8
        .value_kind:     by_value
      - .offset:         96
        .size:           8
        .value_kind:     by_value
      - .offset:         104
        .size:           4
        .value_kind:     by_value
    .group_segment_fixed_size: 2048
    .kernarg_segment_align: 8
    .kernarg_segment_size: 108
    .language:       OpenCL C
    .language_version:
      - 2
      - 0
    .max_flat_workgroup_size: 256
    .name:           _ZL37rocblas_syrkx_herkx_restricted_kernelIlfLi16ELi32ELi8ELb0ELb0ELc78ELc85EKPKfKPfEviT_T0_PT8_S5_lS8_S5_lS6_PT9_S5_li
    .private_segment_fixed_size: 0
    .sgpr_count:     24
    .sgpr_spill_count: 0
    .symbol:         _ZL37rocblas_syrkx_herkx_restricted_kernelIlfLi16ELi32ELi8ELb0ELb0ELc78ELc85EKPKfKPfEviT_T0_PT8_S5_lS8_S5_lS6_PT9_S5_li.kd
    .uniform_work_group_size: 1
    .uses_dynamic_stack: false
    .vgpr_count:     46
    .vgpr_spill_count: 0
    .wavefront_size: 32
    .workgroup_processor_mode: 1
  - .args:
      - .offset:         0
        .size:           4
        .value_kind:     by_value
      - .offset:         8
        .size:           8
        .value_kind:     by_value
      - .offset:         16
        .size:           4
        .value_kind:     by_value
      - .address_space:  global
        .offset:         24
        .size:           8
        .value_kind:     global_buffer
      - .offset:         32
        .size:           8
        .value_kind:     by_value
      - .offset:         40
        .size:           8
        .value_kind:     by_value
      - .address_space:  global
        .offset:         48
        .size:           8
        .value_kind:     global_buffer
      - .offset:         56
        .size:           8
        .value_kind:     by_value
      - .offset:         64
        .size:           8
        .value_kind:     by_value
      - .offset:         72
        .size:           4
        .value_kind:     by_value
      - .address_space:  global
        .offset:         80
        .size:           8
        .value_kind:     global_buffer
      - .offset:         88
        .size:           8
        .value_kind:     by_value
      - .offset:         96
        .size:           8
        .value_kind:     by_value
      - .offset:         104
        .size:           4
        .value_kind:     by_value
    .group_segment_fixed_size: 2048
    .kernarg_segment_align: 8
    .kernarg_segment_size: 108
    .language:       OpenCL C
    .language_version:
      - 2
      - 0
    .max_flat_workgroup_size: 256
    .name:           _ZL41rocblas_syrkx_herkx_small_restrict_kernelIlfLi16ELb1ELb0ELc84ELc76EKPKfKPfEviT_T0_PT6_S5_lS8_S5_lS6_PT7_S5_li
    .private_segment_fixed_size: 0
    .sgpr_count:     22
    .sgpr_spill_count: 0
    .symbol:         _ZL41rocblas_syrkx_herkx_small_restrict_kernelIlfLi16ELb1ELb0ELc84ELc76EKPKfKPfEviT_T0_PT6_S5_lS8_S5_lS6_PT7_S5_li.kd
    .uniform_work_group_size: 1
    .uses_dynamic_stack: false
    .vgpr_count:     27
    .vgpr_spill_count: 0
    .wavefront_size: 32
    .workgroup_processor_mode: 1
  - .args:
      - .offset:         0
        .size:           4
        .value_kind:     by_value
      - .offset:         8
        .size:           8
        .value_kind:     by_value
      - .offset:         16
        .size:           4
        .value_kind:     by_value
      - .address_space:  global
        .offset:         24
        .size:           8
        .value_kind:     global_buffer
      - .offset:         32
        .size:           8
        .value_kind:     by_value
      - .offset:         40
        .size:           8
        .value_kind:     by_value
      - .address_space:  global
        .offset:         48
        .size:           8
        .value_kind:     global_buffer
      - .offset:         56
        .size:           8
        .value_kind:     by_value
      - .offset:         64
        .size:           8
        .value_kind:     by_value
      - .offset:         72
        .size:           4
        .value_kind:     by_value
      - .address_space:  global
        .offset:         80
        .size:           8
        .value_kind:     global_buffer
      - .offset:         88
        .size:           8
        .value_kind:     by_value
      - .offset:         96
        .size:           8
        .value_kind:     by_value
      - .offset:         104
        .size:           4
        .value_kind:     by_value
    .group_segment_fixed_size: 2048
    .kernarg_segment_align: 8
    .kernarg_segment_size: 108
    .language:       OpenCL C
    .language_version:
      - 2
      - 0
    .max_flat_workgroup_size: 256
    .name:           _ZL41rocblas_syrkx_herkx_small_restrict_kernelIlfLi16ELb1ELb0ELc67ELc76EKPKfKPfEviT_T0_PT6_S5_lS8_S5_lS6_PT7_S5_li
    .private_segment_fixed_size: 0
    .sgpr_count:     22
    .sgpr_spill_count: 0
    .symbol:         _ZL41rocblas_syrkx_herkx_small_restrict_kernelIlfLi16ELb1ELb0ELc67ELc76EKPKfKPfEviT_T0_PT6_S5_lS8_S5_lS6_PT7_S5_li.kd
    .uniform_work_group_size: 1
    .uses_dynamic_stack: false
    .vgpr_count:     27
    .vgpr_spill_count: 0
    .wavefront_size: 32
    .workgroup_processor_mode: 1
  - .args:
      - .offset:         0
        .size:           4
        .value_kind:     by_value
      - .offset:         8
        .size:           8
        .value_kind:     by_value
      - .offset:         16
        .size:           4
        .value_kind:     by_value
      - .address_space:  global
        .offset:         24
        .size:           8
        .value_kind:     global_buffer
      - .offset:         32
        .size:           8
        .value_kind:     by_value
      - .offset:         40
        .size:           8
        .value_kind:     by_value
      - .address_space:  global
        .offset:         48
        .size:           8
        .value_kind:     global_buffer
      - .offset:         56
        .size:           8
        .value_kind:     by_value
      - .offset:         64
        .size:           8
        .value_kind:     by_value
      - .offset:         72
        .size:           4
        .value_kind:     by_value
      - .address_space:  global
        .offset:         80
        .size:           8
        .value_kind:     global_buffer
      - .offset:         88
        .size:           8
        .value_kind:     by_value
      - .offset:         96
        .size:           8
        .value_kind:     by_value
      - .offset:         104
        .size:           4
        .value_kind:     by_value
    .group_segment_fixed_size: 2048
    .kernarg_segment_align: 8
    .kernarg_segment_size: 108
    .language:       OpenCL C
    .language_version:
      - 2
      - 0
    .max_flat_workgroup_size: 256
    .name:           _ZL41rocblas_syrkx_herkx_small_restrict_kernelIlfLi16ELb1ELb0ELc78ELc76EKPKfKPfEviT_T0_PT6_S5_lS8_S5_lS6_PT7_S5_li
    .private_segment_fixed_size: 0
    .sgpr_count:     22
    .sgpr_spill_count: 0
    .symbol:         _ZL41rocblas_syrkx_herkx_small_restrict_kernelIlfLi16ELb1ELb0ELc78ELc76EKPKfKPfEviT_T0_PT6_S5_lS8_S5_lS6_PT7_S5_li.kd
    .uniform_work_group_size: 1
    .uses_dynamic_stack: false
    .vgpr_count:     27
    .vgpr_spill_count: 0
    .wavefront_size: 32
    .workgroup_processor_mode: 1
  - .args:
      - .offset:         0
        .size:           4
        .value_kind:     by_value
      - .offset:         8
        .size:           8
        .value_kind:     by_value
      - .offset:         16
        .size:           4
        .value_kind:     by_value
      - .address_space:  global
        .offset:         24
        .size:           8
        .value_kind:     global_buffer
      - .offset:         32
        .size:           8
        .value_kind:     by_value
      - .offset:         40
        .size:           8
        .value_kind:     by_value
      - .address_space:  global
        .offset:         48
        .size:           8
        .value_kind:     global_buffer
      - .offset:         56
        .size:           8
        .value_kind:     by_value
      - .offset:         64
        .size:           8
        .value_kind:     by_value
      - .offset:         72
        .size:           4
        .value_kind:     by_value
      - .address_space:  global
        .offset:         80
        .size:           8
        .value_kind:     global_buffer
      - .offset:         88
        .size:           8
        .value_kind:     by_value
      - .offset:         96
        .size:           8
        .value_kind:     by_value
      - .offset:         104
        .size:           4
        .value_kind:     by_value
    .group_segment_fixed_size: 2048
    .kernarg_segment_align: 8
    .kernarg_segment_size: 108
    .language:       OpenCL C
    .language_version:
      - 2
      - 0
    .max_flat_workgroup_size: 256
    .name:           _ZL41rocblas_syrkx_herkx_small_restrict_kernelIlfLi16ELb1ELb0ELc84ELc85EKPKfKPfEviT_T0_PT6_S5_lS8_S5_lS6_PT7_S5_li
    .private_segment_fixed_size: 0
    .sgpr_count:     22
    .sgpr_spill_count: 0
    .symbol:         _ZL41rocblas_syrkx_herkx_small_restrict_kernelIlfLi16ELb1ELb0ELc84ELc85EKPKfKPfEviT_T0_PT6_S5_lS8_S5_lS6_PT7_S5_li.kd
    .uniform_work_group_size: 1
    .uses_dynamic_stack: false
    .vgpr_count:     27
    .vgpr_spill_count: 0
    .wavefront_size: 32
    .workgroup_processor_mode: 1
  - .args:
      - .offset:         0
        .size:           4
        .value_kind:     by_value
      - .offset:         8
        .size:           8
        .value_kind:     by_value
      - .offset:         16
        .size:           4
        .value_kind:     by_value
      - .address_space:  global
        .offset:         24
        .size:           8
        .value_kind:     global_buffer
      - .offset:         32
        .size:           8
        .value_kind:     by_value
      - .offset:         40
        .size:           8
        .value_kind:     by_value
      - .address_space:  global
        .offset:         48
        .size:           8
        .value_kind:     global_buffer
      - .offset:         56
        .size:           8
        .value_kind:     by_value
      - .offset:         64
        .size:           8
        .value_kind:     by_value
      - .offset:         72
        .size:           4
        .value_kind:     by_value
      - .address_space:  global
        .offset:         80
        .size:           8
        .value_kind:     global_buffer
      - .offset:         88
        .size:           8
        .value_kind:     by_value
      - .offset:         96
        .size:           8
        .value_kind:     by_value
      - .offset:         104
        .size:           4
        .value_kind:     by_value
    .group_segment_fixed_size: 2048
    .kernarg_segment_align: 8
    .kernarg_segment_size: 108
    .language:       OpenCL C
    .language_version:
      - 2
      - 0
    .max_flat_workgroup_size: 256
    .name:           _ZL41rocblas_syrkx_herkx_small_restrict_kernelIlfLi16ELb1ELb0ELc67ELc85EKPKfKPfEviT_T0_PT6_S5_lS8_S5_lS6_PT7_S5_li
    .private_segment_fixed_size: 0
    .sgpr_count:     22
    .sgpr_spill_count: 0
    .symbol:         _ZL41rocblas_syrkx_herkx_small_restrict_kernelIlfLi16ELb1ELb0ELc67ELc85EKPKfKPfEviT_T0_PT6_S5_lS8_S5_lS6_PT7_S5_li.kd
    .uniform_work_group_size: 1
    .uses_dynamic_stack: false
    .vgpr_count:     27
    .vgpr_spill_count: 0
    .wavefront_size: 32
    .workgroup_processor_mode: 1
  - .args:
      - .offset:         0
        .size:           4
        .value_kind:     by_value
      - .offset:         8
        .size:           8
        .value_kind:     by_value
      - .offset:         16
        .size:           4
        .value_kind:     by_value
      - .address_space:  global
        .offset:         24
        .size:           8
        .value_kind:     global_buffer
      - .offset:         32
        .size:           8
        .value_kind:     by_value
      - .offset:         40
        .size:           8
        .value_kind:     by_value
      - .address_space:  global
        .offset:         48
        .size:           8
        .value_kind:     global_buffer
      - .offset:         56
        .size:           8
        .value_kind:     by_value
      - .offset:         64
        .size:           8
        .value_kind:     by_value
      - .offset:         72
        .size:           4
        .value_kind:     by_value
      - .address_space:  global
        .offset:         80
        .size:           8
        .value_kind:     global_buffer
      - .offset:         88
        .size:           8
        .value_kind:     by_value
      - .offset:         96
        .size:           8
        .value_kind:     by_value
      - .offset:         104
        .size:           4
        .value_kind:     by_value
    .group_segment_fixed_size: 2048
    .kernarg_segment_align: 8
    .kernarg_segment_size: 108
    .language:       OpenCL C
    .language_version:
      - 2
      - 0
    .max_flat_workgroup_size: 256
    .name:           _ZL41rocblas_syrkx_herkx_small_restrict_kernelIlfLi16ELb1ELb0ELc78ELc85EKPKfKPfEviT_T0_PT6_S5_lS8_S5_lS6_PT7_S5_li
    .private_segment_fixed_size: 0
    .sgpr_count:     22
    .sgpr_spill_count: 0
    .symbol:         _ZL41rocblas_syrkx_herkx_small_restrict_kernelIlfLi16ELb1ELb0ELc78ELc85EKPKfKPfEviT_T0_PT6_S5_lS8_S5_lS6_PT7_S5_li.kd
    .uniform_work_group_size: 1
    .uses_dynamic_stack: false
    .vgpr_count:     27
    .vgpr_spill_count: 0
    .wavefront_size: 32
    .workgroup_processor_mode: 1
  - .args:
      - .offset:         0
        .size:           4
        .value_kind:     by_value
      - .offset:         8
        .size:           8
        .value_kind:     by_value
      - .offset:         16
        .size:           4
        .value_kind:     by_value
      - .address_space:  global
        .offset:         24
        .size:           8
        .value_kind:     global_buffer
      - .offset:         32
        .size:           8
        .value_kind:     by_value
      - .offset:         40
        .size:           8
        .value_kind:     by_value
      - .address_space:  global
        .offset:         48
        .size:           8
        .value_kind:     global_buffer
      - .offset:         56
        .size:           8
        .value_kind:     by_value
      - .offset:         64
        .size:           8
        .value_kind:     by_value
      - .offset:         72
        .size:           4
        .value_kind:     by_value
      - .address_space:  global
        .offset:         80
        .size:           8
        .value_kind:     global_buffer
      - .offset:         88
        .size:           8
        .value_kind:     by_value
      - .offset:         96
        .size:           8
        .value_kind:     by_value
      - .offset:         104
        .size:           4
        .value_kind:     by_value
    .group_segment_fixed_size: 2048
    .kernarg_segment_align: 8
    .kernarg_segment_size: 108
    .language:       OpenCL C
    .language_version:
      - 2
      - 0
    .max_flat_workgroup_size: 256
    .name:           _ZL41rocblas_syrkx_herkx_small_restrict_kernelIlfLi16ELb0ELb0ELc84ELc76EKPKfKPfEviT_T0_PT6_S5_lS8_S5_lS6_PT7_S5_li
    .private_segment_fixed_size: 0
    .sgpr_count:     22
    .sgpr_spill_count: 0
    .symbol:         _ZL41rocblas_syrkx_herkx_small_restrict_kernelIlfLi16ELb0ELb0ELc84ELc76EKPKfKPfEviT_T0_PT6_S5_lS8_S5_lS6_PT7_S5_li.kd
    .uniform_work_group_size: 1
    .uses_dynamic_stack: false
    .vgpr_count:     27
    .vgpr_spill_count: 0
    .wavefront_size: 32
    .workgroup_processor_mode: 1
  - .args:
      - .offset:         0
        .size:           4
        .value_kind:     by_value
      - .offset:         8
        .size:           8
        .value_kind:     by_value
      - .offset:         16
        .size:           4
        .value_kind:     by_value
      - .address_space:  global
        .offset:         24
        .size:           8
        .value_kind:     global_buffer
      - .offset:         32
        .size:           8
        .value_kind:     by_value
      - .offset:         40
        .size:           8
        .value_kind:     by_value
      - .address_space:  global
        .offset:         48
        .size:           8
        .value_kind:     global_buffer
      - .offset:         56
        .size:           8
        .value_kind:     by_value
      - .offset:         64
        .size:           8
        .value_kind:     by_value
      - .offset:         72
        .size:           4
        .value_kind:     by_value
      - .address_space:  global
        .offset:         80
        .size:           8
        .value_kind:     global_buffer
      - .offset:         88
        .size:           8
        .value_kind:     by_value
      - .offset:         96
        .size:           8
        .value_kind:     by_value
      - .offset:         104
        .size:           4
        .value_kind:     by_value
    .group_segment_fixed_size: 2048
    .kernarg_segment_align: 8
    .kernarg_segment_size: 108
    .language:       OpenCL C
    .language_version:
      - 2
      - 0
    .max_flat_workgroup_size: 256
    .name:           _ZL41rocblas_syrkx_herkx_small_restrict_kernelIlfLi16ELb0ELb0ELc67ELc76EKPKfKPfEviT_T0_PT6_S5_lS8_S5_lS6_PT7_S5_li
    .private_segment_fixed_size: 0
    .sgpr_count:     22
    .sgpr_spill_count: 0
    .symbol:         _ZL41rocblas_syrkx_herkx_small_restrict_kernelIlfLi16ELb0ELb0ELc67ELc76EKPKfKPfEviT_T0_PT6_S5_lS8_S5_lS6_PT7_S5_li.kd
    .uniform_work_group_size: 1
    .uses_dynamic_stack: false
    .vgpr_count:     27
    .vgpr_spill_count: 0
    .wavefront_size: 32
    .workgroup_processor_mode: 1
  - .args:
      - .offset:         0
        .size:           4
        .value_kind:     by_value
      - .offset:         8
        .size:           8
        .value_kind:     by_value
      - .offset:         16
        .size:           4
        .value_kind:     by_value
      - .address_space:  global
        .offset:         24
        .size:           8
        .value_kind:     global_buffer
      - .offset:         32
        .size:           8
        .value_kind:     by_value
      - .offset:         40
        .size:           8
        .value_kind:     by_value
      - .address_space:  global
        .offset:         48
        .size:           8
        .value_kind:     global_buffer
      - .offset:         56
        .size:           8
        .value_kind:     by_value
      - .offset:         64
        .size:           8
        .value_kind:     by_value
      - .offset:         72
        .size:           4
        .value_kind:     by_value
      - .address_space:  global
        .offset:         80
        .size:           8
        .value_kind:     global_buffer
      - .offset:         88
        .size:           8
        .value_kind:     by_value
      - .offset:         96
        .size:           8
        .value_kind:     by_value
      - .offset:         104
        .size:           4
        .value_kind:     by_value
    .group_segment_fixed_size: 2048
    .kernarg_segment_align: 8
    .kernarg_segment_size: 108
    .language:       OpenCL C
    .language_version:
      - 2
      - 0
    .max_flat_workgroup_size: 256
    .name:           _ZL41rocblas_syrkx_herkx_small_restrict_kernelIlfLi16ELb0ELb0ELc78ELc76EKPKfKPfEviT_T0_PT6_S5_lS8_S5_lS6_PT7_S5_li
    .private_segment_fixed_size: 0
    .sgpr_count:     22
    .sgpr_spill_count: 0
    .symbol:         _ZL41rocblas_syrkx_herkx_small_restrict_kernelIlfLi16ELb0ELb0ELc78ELc76EKPKfKPfEviT_T0_PT6_S5_lS8_S5_lS6_PT7_S5_li.kd
    .uniform_work_group_size: 1
    .uses_dynamic_stack: false
    .vgpr_count:     27
    .vgpr_spill_count: 0
    .wavefront_size: 32
    .workgroup_processor_mode: 1
  - .args:
      - .offset:         0
        .size:           4
        .value_kind:     by_value
      - .offset:         8
        .size:           8
        .value_kind:     by_value
      - .offset:         16
        .size:           4
        .value_kind:     by_value
      - .address_space:  global
        .offset:         24
        .size:           8
        .value_kind:     global_buffer
      - .offset:         32
        .size:           8
        .value_kind:     by_value
      - .offset:         40
        .size:           8
        .value_kind:     by_value
      - .address_space:  global
        .offset:         48
        .size:           8
        .value_kind:     global_buffer
      - .offset:         56
        .size:           8
        .value_kind:     by_value
      - .offset:         64
        .size:           8
        .value_kind:     by_value
      - .offset:         72
        .size:           4
        .value_kind:     by_value
      - .address_space:  global
        .offset:         80
        .size:           8
        .value_kind:     global_buffer
      - .offset:         88
        .size:           8
        .value_kind:     by_value
      - .offset:         96
        .size:           8
        .value_kind:     by_value
      - .offset:         104
        .size:           4
        .value_kind:     by_value
    .group_segment_fixed_size: 2048
    .kernarg_segment_align: 8
    .kernarg_segment_size: 108
    .language:       OpenCL C
    .language_version:
      - 2
      - 0
    .max_flat_workgroup_size: 256
    .name:           _ZL41rocblas_syrkx_herkx_small_restrict_kernelIlfLi16ELb0ELb0ELc84ELc85EKPKfKPfEviT_T0_PT6_S5_lS8_S5_lS6_PT7_S5_li
    .private_segment_fixed_size: 0
    .sgpr_count:     22
    .sgpr_spill_count: 0
    .symbol:         _ZL41rocblas_syrkx_herkx_small_restrict_kernelIlfLi16ELb0ELb0ELc84ELc85EKPKfKPfEviT_T0_PT6_S5_lS8_S5_lS6_PT7_S5_li.kd
    .uniform_work_group_size: 1
    .uses_dynamic_stack: false
    .vgpr_count:     27
    .vgpr_spill_count: 0
    .wavefront_size: 32
    .workgroup_processor_mode: 1
  - .args:
      - .offset:         0
        .size:           4
        .value_kind:     by_value
      - .offset:         8
        .size:           8
        .value_kind:     by_value
      - .offset:         16
        .size:           4
        .value_kind:     by_value
      - .address_space:  global
        .offset:         24
        .size:           8
        .value_kind:     global_buffer
      - .offset:         32
        .size:           8
        .value_kind:     by_value
      - .offset:         40
        .size:           8
        .value_kind:     by_value
      - .address_space:  global
        .offset:         48
        .size:           8
        .value_kind:     global_buffer
      - .offset:         56
        .size:           8
        .value_kind:     by_value
      - .offset:         64
        .size:           8
        .value_kind:     by_value
      - .offset:         72
        .size:           4
        .value_kind:     by_value
      - .address_space:  global
        .offset:         80
        .size:           8
        .value_kind:     global_buffer
      - .offset:         88
        .size:           8
        .value_kind:     by_value
      - .offset:         96
        .size:           8
        .value_kind:     by_value
      - .offset:         104
        .size:           4
        .value_kind:     by_value
    .group_segment_fixed_size: 2048
    .kernarg_segment_align: 8
    .kernarg_segment_size: 108
    .language:       OpenCL C
    .language_version:
      - 2
      - 0
    .max_flat_workgroup_size: 256
    .name:           _ZL41rocblas_syrkx_herkx_small_restrict_kernelIlfLi16ELb0ELb0ELc67ELc85EKPKfKPfEviT_T0_PT6_S5_lS8_S5_lS6_PT7_S5_li
    .private_segment_fixed_size: 0
    .sgpr_count:     22
    .sgpr_spill_count: 0
    .symbol:         _ZL41rocblas_syrkx_herkx_small_restrict_kernelIlfLi16ELb0ELb0ELc67ELc85EKPKfKPfEviT_T0_PT6_S5_lS8_S5_lS6_PT7_S5_li.kd
    .uniform_work_group_size: 1
    .uses_dynamic_stack: false
    .vgpr_count:     27
    .vgpr_spill_count: 0
    .wavefront_size: 32
    .workgroup_processor_mode: 1
  - .args:
      - .offset:         0
        .size:           4
        .value_kind:     by_value
      - .offset:         8
        .size:           8
        .value_kind:     by_value
      - .offset:         16
        .size:           4
        .value_kind:     by_value
      - .address_space:  global
        .offset:         24
        .size:           8
        .value_kind:     global_buffer
      - .offset:         32
        .size:           8
        .value_kind:     by_value
      - .offset:         40
        .size:           8
        .value_kind:     by_value
      - .address_space:  global
        .offset:         48
        .size:           8
        .value_kind:     global_buffer
      - .offset:         56
        .size:           8
        .value_kind:     by_value
      - .offset:         64
        .size:           8
        .value_kind:     by_value
      - .offset:         72
        .size:           4
        .value_kind:     by_value
      - .address_space:  global
        .offset:         80
        .size:           8
        .value_kind:     global_buffer
      - .offset:         88
        .size:           8
        .value_kind:     by_value
      - .offset:         96
        .size:           8
        .value_kind:     by_value
      - .offset:         104
        .size:           4
        .value_kind:     by_value
    .group_segment_fixed_size: 2048
    .kernarg_segment_align: 8
    .kernarg_segment_size: 108
    .language:       OpenCL C
    .language_version:
      - 2
      - 0
    .max_flat_workgroup_size: 256
    .name:           _ZL41rocblas_syrkx_herkx_small_restrict_kernelIlfLi16ELb0ELb0ELc78ELc85EKPKfKPfEviT_T0_PT6_S5_lS8_S5_lS6_PT7_S5_li
    .private_segment_fixed_size: 0
    .sgpr_count:     22
    .sgpr_spill_count: 0
    .symbol:         _ZL41rocblas_syrkx_herkx_small_restrict_kernelIlfLi16ELb0ELb0ELc78ELc85EKPKfKPfEviT_T0_PT6_S5_lS8_S5_lS6_PT7_S5_li.kd
    .uniform_work_group_size: 1
    .uses_dynamic_stack: false
    .vgpr_count:     27
    .vgpr_spill_count: 0
    .wavefront_size: 32
    .workgroup_processor_mode: 1
  - .args:
      - .offset:         0
        .size:           4
        .value_kind:     by_value
      - .offset:         8
        .size:           8
        .value_kind:     by_value
      - .offset:         16
        .size:           4
        .value_kind:     by_value
      - .address_space:  global
        .offset:         24
        .size:           8
        .value_kind:     global_buffer
      - .offset:         32
        .size:           8
        .value_kind:     by_value
      - .offset:         40
        .size:           8
        .value_kind:     by_value
      - .address_space:  global
        .offset:         48
        .size:           8
        .value_kind:     global_buffer
      - .offset:         56
        .size:           8
        .value_kind:     by_value
      - .offset:         64
        .size:           8
        .value_kind:     by_value
      - .offset:         72
        .size:           4
        .value_kind:     by_value
      - .address_space:  global
        .offset:         80
        .size:           8
        .value_kind:     global_buffer
      - .offset:         88
        .size:           8
        .value_kind:     by_value
      - .offset:         96
        .size:           8
        .value_kind:     by_value
      - .offset:         104
        .size:           4
        .value_kind:     by_value
    .group_segment_fixed_size: 2048
    .kernarg_segment_align: 8
    .kernarg_segment_size: 108
    .language:       OpenCL C
    .language_version:
      - 2
      - 0
    .max_flat_workgroup_size: 256
    .name:           _ZL32rocblas_syrkx_herkx_small_kernelIlfLi16ELb1ELb0ELc84ELc76EKPKfKPfEviT_T0_PT6_S5_lS8_S5_lS6_PT7_S5_li
    .private_segment_fixed_size: 0
    .sgpr_count:     26
    .sgpr_spill_count: 0
    .symbol:         _ZL32rocblas_syrkx_herkx_small_kernelIlfLi16ELb1ELb0ELc84ELc76EKPKfKPfEviT_T0_PT6_S5_lS8_S5_lS6_PT7_S5_li.kd
    .uniform_work_group_size: 1
    .uses_dynamic_stack: false
    .vgpr_count:     29
    .vgpr_spill_count: 0
    .wavefront_size: 32
    .workgroup_processor_mode: 1
  - .args:
      - .offset:         0
        .size:           4
        .value_kind:     by_value
      - .offset:         8
        .size:           8
        .value_kind:     by_value
      - .offset:         16
        .size:           4
        .value_kind:     by_value
      - .address_space:  global
        .offset:         24
        .size:           8
        .value_kind:     global_buffer
      - .offset:         32
        .size:           8
        .value_kind:     by_value
      - .offset:         40
        .size:           8
        .value_kind:     by_value
      - .address_space:  global
        .offset:         48
        .size:           8
        .value_kind:     global_buffer
      - .offset:         56
        .size:           8
        .value_kind:     by_value
      - .offset:         64
        .size:           8
        .value_kind:     by_value
      - .offset:         72
        .size:           4
        .value_kind:     by_value
      - .address_space:  global
        .offset:         80
        .size:           8
        .value_kind:     global_buffer
      - .offset:         88
        .size:           8
        .value_kind:     by_value
      - .offset:         96
        .size:           8
        .value_kind:     by_value
      - .offset:         104
        .size:           4
        .value_kind:     by_value
    .group_segment_fixed_size: 2048
    .kernarg_segment_align: 8
    .kernarg_segment_size: 108
    .language:       OpenCL C
    .language_version:
      - 2
      - 0
    .max_flat_workgroup_size: 256
    .name:           _ZL32rocblas_syrkx_herkx_small_kernelIlfLi16ELb1ELb0ELc67ELc76EKPKfKPfEviT_T0_PT6_S5_lS8_S5_lS6_PT7_S5_li
    .private_segment_fixed_size: 0
    .sgpr_count:     26
    .sgpr_spill_count: 0
    .symbol:         _ZL32rocblas_syrkx_herkx_small_kernelIlfLi16ELb1ELb0ELc67ELc76EKPKfKPfEviT_T0_PT6_S5_lS8_S5_lS6_PT7_S5_li.kd
    .uniform_work_group_size: 1
    .uses_dynamic_stack: false
    .vgpr_count:     29
    .vgpr_spill_count: 0
    .wavefront_size: 32
    .workgroup_processor_mode: 1
  - .args:
      - .offset:         0
        .size:           4
        .value_kind:     by_value
      - .offset:         8
        .size:           8
        .value_kind:     by_value
      - .offset:         16
        .size:           4
        .value_kind:     by_value
      - .address_space:  global
        .offset:         24
        .size:           8
        .value_kind:     global_buffer
      - .offset:         32
        .size:           8
        .value_kind:     by_value
      - .offset:         40
        .size:           8
        .value_kind:     by_value
      - .address_space:  global
        .offset:         48
        .size:           8
        .value_kind:     global_buffer
      - .offset:         56
        .size:           8
        .value_kind:     by_value
      - .offset:         64
        .size:           8
        .value_kind:     by_value
      - .offset:         72
        .size:           4
        .value_kind:     by_value
      - .address_space:  global
        .offset:         80
        .size:           8
        .value_kind:     global_buffer
      - .offset:         88
        .size:           8
        .value_kind:     by_value
      - .offset:         96
        .size:           8
        .value_kind:     by_value
      - .offset:         104
        .size:           4
        .value_kind:     by_value
    .group_segment_fixed_size: 2048
    .kernarg_segment_align: 8
    .kernarg_segment_size: 108
    .language:       OpenCL C
    .language_version:
      - 2
      - 0
    .max_flat_workgroup_size: 256
    .name:           _ZL32rocblas_syrkx_herkx_small_kernelIlfLi16ELb1ELb0ELc78ELc76EKPKfKPfEviT_T0_PT6_S5_lS8_S5_lS6_PT7_S5_li
    .private_segment_fixed_size: 0
    .sgpr_count:     23
    .sgpr_spill_count: 0
    .symbol:         _ZL32rocblas_syrkx_herkx_small_kernelIlfLi16ELb1ELb0ELc78ELc76EKPKfKPfEviT_T0_PT6_S5_lS8_S5_lS6_PT7_S5_li.kd
    .uniform_work_group_size: 1
    .uses_dynamic_stack: false
    .vgpr_count:     29
    .vgpr_spill_count: 0
    .wavefront_size: 32
    .workgroup_processor_mode: 1
  - .args:
      - .offset:         0
        .size:           4
        .value_kind:     by_value
      - .offset:         8
        .size:           8
        .value_kind:     by_value
      - .offset:         16
        .size:           4
        .value_kind:     by_value
      - .address_space:  global
        .offset:         24
        .size:           8
        .value_kind:     global_buffer
      - .offset:         32
        .size:           8
        .value_kind:     by_value
      - .offset:         40
        .size:           8
        .value_kind:     by_value
      - .address_space:  global
        .offset:         48
        .size:           8
        .value_kind:     global_buffer
      - .offset:         56
        .size:           8
        .value_kind:     by_value
      - .offset:         64
        .size:           8
        .value_kind:     by_value
      - .offset:         72
        .size:           4
        .value_kind:     by_value
      - .address_space:  global
        .offset:         80
        .size:           8
        .value_kind:     global_buffer
      - .offset:         88
        .size:           8
        .value_kind:     by_value
      - .offset:         96
        .size:           8
        .value_kind:     by_value
      - .offset:         104
        .size:           4
        .value_kind:     by_value
    .group_segment_fixed_size: 2048
    .kernarg_segment_align: 8
    .kernarg_segment_size: 108
    .language:       OpenCL C
    .language_version:
      - 2
      - 0
    .max_flat_workgroup_size: 256
    .name:           _ZL32rocblas_syrkx_herkx_small_kernelIlfLi16ELb1ELb0ELc84ELc85EKPKfKPfEviT_T0_PT6_S5_lS8_S5_lS6_PT7_S5_li
    .private_segment_fixed_size: 0
    .sgpr_count:     26
    .sgpr_spill_count: 0
    .symbol:         _ZL32rocblas_syrkx_herkx_small_kernelIlfLi16ELb1ELb0ELc84ELc85EKPKfKPfEviT_T0_PT6_S5_lS8_S5_lS6_PT7_S5_li.kd
    .uniform_work_group_size: 1
    .uses_dynamic_stack: false
    .vgpr_count:     29
    .vgpr_spill_count: 0
    .wavefront_size: 32
    .workgroup_processor_mode: 1
  - .args:
      - .offset:         0
        .size:           4
        .value_kind:     by_value
      - .offset:         8
        .size:           8
        .value_kind:     by_value
      - .offset:         16
        .size:           4
        .value_kind:     by_value
      - .address_space:  global
        .offset:         24
        .size:           8
        .value_kind:     global_buffer
      - .offset:         32
        .size:           8
        .value_kind:     by_value
      - .offset:         40
        .size:           8
        .value_kind:     by_value
      - .address_space:  global
        .offset:         48
        .size:           8
        .value_kind:     global_buffer
      - .offset:         56
        .size:           8
        .value_kind:     by_value
      - .offset:         64
        .size:           8
        .value_kind:     by_value
      - .offset:         72
        .size:           4
        .value_kind:     by_value
      - .address_space:  global
        .offset:         80
        .size:           8
        .value_kind:     global_buffer
      - .offset:         88
        .size:           8
        .value_kind:     by_value
      - .offset:         96
        .size:           8
        .value_kind:     by_value
      - .offset:         104
        .size:           4
        .value_kind:     by_value
    .group_segment_fixed_size: 2048
    .kernarg_segment_align: 8
    .kernarg_segment_size: 108
    .language:       OpenCL C
    .language_version:
      - 2
      - 0
    .max_flat_workgroup_size: 256
    .name:           _ZL32rocblas_syrkx_herkx_small_kernelIlfLi16ELb1ELb0ELc67ELc85EKPKfKPfEviT_T0_PT6_S5_lS8_S5_lS6_PT7_S5_li
    .private_segment_fixed_size: 0
    .sgpr_count:     26
    .sgpr_spill_count: 0
    .symbol:         _ZL32rocblas_syrkx_herkx_small_kernelIlfLi16ELb1ELb0ELc67ELc85EKPKfKPfEviT_T0_PT6_S5_lS8_S5_lS6_PT7_S5_li.kd
    .uniform_work_group_size: 1
    .uses_dynamic_stack: false
    .vgpr_count:     29
    .vgpr_spill_count: 0
    .wavefront_size: 32
    .workgroup_processor_mode: 1
  - .args:
      - .offset:         0
        .size:           4
        .value_kind:     by_value
      - .offset:         8
        .size:           8
        .value_kind:     by_value
      - .offset:         16
        .size:           4
        .value_kind:     by_value
      - .address_space:  global
        .offset:         24
        .size:           8
        .value_kind:     global_buffer
      - .offset:         32
        .size:           8
        .value_kind:     by_value
      - .offset:         40
        .size:           8
        .value_kind:     by_value
      - .address_space:  global
        .offset:         48
        .size:           8
        .value_kind:     global_buffer
      - .offset:         56
        .size:           8
        .value_kind:     by_value
      - .offset:         64
        .size:           8
        .value_kind:     by_value
      - .offset:         72
        .size:           4
        .value_kind:     by_value
      - .address_space:  global
        .offset:         80
        .size:           8
        .value_kind:     global_buffer
      - .offset:         88
        .size:           8
        .value_kind:     by_value
      - .offset:         96
        .size:           8
        .value_kind:     by_value
      - .offset:         104
        .size:           4
        .value_kind:     by_value
    .group_segment_fixed_size: 2048
    .kernarg_segment_align: 8
    .kernarg_segment_size: 108
    .language:       OpenCL C
    .language_version:
      - 2
      - 0
    .max_flat_workgroup_size: 256
    .name:           _ZL32rocblas_syrkx_herkx_small_kernelIlfLi16ELb1ELb0ELc78ELc85EKPKfKPfEviT_T0_PT6_S5_lS8_S5_lS6_PT7_S5_li
    .private_segment_fixed_size: 0
    .sgpr_count:     23
    .sgpr_spill_count: 0
    .symbol:         _ZL32rocblas_syrkx_herkx_small_kernelIlfLi16ELb1ELb0ELc78ELc85EKPKfKPfEviT_T0_PT6_S5_lS8_S5_lS6_PT7_S5_li.kd
    .uniform_work_group_size: 1
    .uses_dynamic_stack: false
    .vgpr_count:     29
    .vgpr_spill_count: 0
    .wavefront_size: 32
    .workgroup_processor_mode: 1
  - .args:
      - .offset:         0
        .size:           4
        .value_kind:     by_value
      - .offset:         8
        .size:           8
        .value_kind:     by_value
      - .offset:         16
        .size:           4
        .value_kind:     by_value
      - .address_space:  global
        .offset:         24
        .size:           8
        .value_kind:     global_buffer
      - .offset:         32
        .size:           8
        .value_kind:     by_value
      - .offset:         40
        .size:           8
        .value_kind:     by_value
      - .address_space:  global
        .offset:         48
        .size:           8
        .value_kind:     global_buffer
      - .offset:         56
        .size:           8
        .value_kind:     by_value
      - .offset:         64
        .size:           8
        .value_kind:     by_value
      - .offset:         72
        .size:           4
        .value_kind:     by_value
      - .address_space:  global
        .offset:         80
        .size:           8
        .value_kind:     global_buffer
      - .offset:         88
        .size:           8
        .value_kind:     by_value
      - .offset:         96
        .size:           8
        .value_kind:     by_value
      - .offset:         104
        .size:           4
        .value_kind:     by_value
    .group_segment_fixed_size: 2048
    .kernarg_segment_align: 8
    .kernarg_segment_size: 108
    .language:       OpenCL C
    .language_version:
      - 2
      - 0
    .max_flat_workgroup_size: 256
    .name:           _ZL32rocblas_syrkx_herkx_small_kernelIlfLi16ELb0ELb0ELc84ELc76EKPKfKPfEviT_T0_PT6_S5_lS8_S5_lS6_PT7_S5_li
    .private_segment_fixed_size: 0
    .sgpr_count:     26
    .sgpr_spill_count: 0
    .symbol:         _ZL32rocblas_syrkx_herkx_small_kernelIlfLi16ELb0ELb0ELc84ELc76EKPKfKPfEviT_T0_PT6_S5_lS8_S5_lS6_PT7_S5_li.kd
    .uniform_work_group_size: 1
    .uses_dynamic_stack: false
    .vgpr_count:     29
    .vgpr_spill_count: 0
    .wavefront_size: 32
    .workgroup_processor_mode: 1
  - .args:
      - .offset:         0
        .size:           4
        .value_kind:     by_value
      - .offset:         8
        .size:           8
        .value_kind:     by_value
      - .offset:         16
        .size:           4
        .value_kind:     by_value
      - .address_space:  global
        .offset:         24
        .size:           8
        .value_kind:     global_buffer
      - .offset:         32
        .size:           8
        .value_kind:     by_value
      - .offset:         40
        .size:           8
        .value_kind:     by_value
      - .address_space:  global
        .offset:         48
        .size:           8
        .value_kind:     global_buffer
      - .offset:         56
        .size:           8
        .value_kind:     by_value
      - .offset:         64
        .size:           8
        .value_kind:     by_value
      - .offset:         72
        .size:           4
        .value_kind:     by_value
      - .address_space:  global
        .offset:         80
        .size:           8
        .value_kind:     global_buffer
      - .offset:         88
        .size:           8
        .value_kind:     by_value
      - .offset:         96
        .size:           8
        .value_kind:     by_value
      - .offset:         104
        .size:           4
        .value_kind:     by_value
    .group_segment_fixed_size: 2048
    .kernarg_segment_align: 8
    .kernarg_segment_size: 108
    .language:       OpenCL C
    .language_version:
      - 2
      - 0
    .max_flat_workgroup_size: 256
    .name:           _ZL32rocblas_syrkx_herkx_small_kernelIlfLi16ELb0ELb0ELc67ELc76EKPKfKPfEviT_T0_PT6_S5_lS8_S5_lS6_PT7_S5_li
    .private_segment_fixed_size: 0
    .sgpr_count:     26
    .sgpr_spill_count: 0
    .symbol:         _ZL32rocblas_syrkx_herkx_small_kernelIlfLi16ELb0ELb0ELc67ELc76EKPKfKPfEviT_T0_PT6_S5_lS8_S5_lS6_PT7_S5_li.kd
    .uniform_work_group_size: 1
    .uses_dynamic_stack: false
    .vgpr_count:     29
    .vgpr_spill_count: 0
    .wavefront_size: 32
    .workgroup_processor_mode: 1
  - .args:
      - .offset:         0
        .size:           4
        .value_kind:     by_value
      - .offset:         8
        .size:           8
        .value_kind:     by_value
      - .offset:         16
        .size:           4
        .value_kind:     by_value
      - .address_space:  global
        .offset:         24
        .size:           8
        .value_kind:     global_buffer
      - .offset:         32
        .size:           8
        .value_kind:     by_value
      - .offset:         40
        .size:           8
        .value_kind:     by_value
      - .address_space:  global
        .offset:         48
        .size:           8
        .value_kind:     global_buffer
      - .offset:         56
        .size:           8
        .value_kind:     by_value
      - .offset:         64
        .size:           8
        .value_kind:     by_value
      - .offset:         72
        .size:           4
        .value_kind:     by_value
      - .address_space:  global
        .offset:         80
        .size:           8
        .value_kind:     global_buffer
      - .offset:         88
        .size:           8
        .value_kind:     by_value
      - .offset:         96
        .size:           8
        .value_kind:     by_value
      - .offset:         104
        .size:           4
        .value_kind:     by_value
    .group_segment_fixed_size: 2048
    .kernarg_segment_align: 8
    .kernarg_segment_size: 108
    .language:       OpenCL C
    .language_version:
      - 2
      - 0
    .max_flat_workgroup_size: 256
    .name:           _ZL32rocblas_syrkx_herkx_small_kernelIlfLi16ELb0ELb0ELc78ELc76EKPKfKPfEviT_T0_PT6_S5_lS8_S5_lS6_PT7_S5_li
    .private_segment_fixed_size: 0
    .sgpr_count:     23
    .sgpr_spill_count: 0
    .symbol:         _ZL32rocblas_syrkx_herkx_small_kernelIlfLi16ELb0ELb0ELc78ELc76EKPKfKPfEviT_T0_PT6_S5_lS8_S5_lS6_PT7_S5_li.kd
    .uniform_work_group_size: 1
    .uses_dynamic_stack: false
    .vgpr_count:     29
    .vgpr_spill_count: 0
    .wavefront_size: 32
    .workgroup_processor_mode: 1
  - .args:
      - .offset:         0
        .size:           4
        .value_kind:     by_value
      - .offset:         8
        .size:           8
        .value_kind:     by_value
      - .offset:         16
        .size:           4
        .value_kind:     by_value
      - .address_space:  global
        .offset:         24
        .size:           8
        .value_kind:     global_buffer
      - .offset:         32
        .size:           8
        .value_kind:     by_value
      - .offset:         40
        .size:           8
        .value_kind:     by_value
      - .address_space:  global
        .offset:         48
        .size:           8
        .value_kind:     global_buffer
      - .offset:         56
        .size:           8
        .value_kind:     by_value
      - .offset:         64
        .size:           8
        .value_kind:     by_value
      - .offset:         72
        .size:           4
        .value_kind:     by_value
      - .address_space:  global
        .offset:         80
        .size:           8
        .value_kind:     global_buffer
      - .offset:         88
        .size:           8
        .value_kind:     by_value
      - .offset:         96
        .size:           8
        .value_kind:     by_value
      - .offset:         104
        .size:           4
        .value_kind:     by_value
    .group_segment_fixed_size: 2048
    .kernarg_segment_align: 8
    .kernarg_segment_size: 108
    .language:       OpenCL C
    .language_version:
      - 2
      - 0
    .max_flat_workgroup_size: 256
    .name:           _ZL32rocblas_syrkx_herkx_small_kernelIlfLi16ELb0ELb0ELc84ELc85EKPKfKPfEviT_T0_PT6_S5_lS8_S5_lS6_PT7_S5_li
    .private_segment_fixed_size: 0
    .sgpr_count:     26
    .sgpr_spill_count: 0
    .symbol:         _ZL32rocblas_syrkx_herkx_small_kernelIlfLi16ELb0ELb0ELc84ELc85EKPKfKPfEviT_T0_PT6_S5_lS8_S5_lS6_PT7_S5_li.kd
    .uniform_work_group_size: 1
    .uses_dynamic_stack: false
    .vgpr_count:     29
    .vgpr_spill_count: 0
    .wavefront_size: 32
    .workgroup_processor_mode: 1
  - .args:
      - .offset:         0
        .size:           4
        .value_kind:     by_value
      - .offset:         8
        .size:           8
        .value_kind:     by_value
      - .offset:         16
        .size:           4
        .value_kind:     by_value
      - .address_space:  global
        .offset:         24
        .size:           8
        .value_kind:     global_buffer
      - .offset:         32
        .size:           8
        .value_kind:     by_value
      - .offset:         40
        .size:           8
        .value_kind:     by_value
      - .address_space:  global
        .offset:         48
        .size:           8
        .value_kind:     global_buffer
      - .offset:         56
        .size:           8
        .value_kind:     by_value
      - .offset:         64
        .size:           8
        .value_kind:     by_value
      - .offset:         72
        .size:           4
        .value_kind:     by_value
      - .address_space:  global
        .offset:         80
        .size:           8
        .value_kind:     global_buffer
      - .offset:         88
        .size:           8
        .value_kind:     by_value
      - .offset:         96
        .size:           8
        .value_kind:     by_value
      - .offset:         104
        .size:           4
        .value_kind:     by_value
    .group_segment_fixed_size: 2048
    .kernarg_segment_align: 8
    .kernarg_segment_size: 108
    .language:       OpenCL C
    .language_version:
      - 2
      - 0
    .max_flat_workgroup_size: 256
    .name:           _ZL32rocblas_syrkx_herkx_small_kernelIlfLi16ELb0ELb0ELc67ELc85EKPKfKPfEviT_T0_PT6_S5_lS8_S5_lS6_PT7_S5_li
    .private_segment_fixed_size: 0
    .sgpr_count:     26
    .sgpr_spill_count: 0
    .symbol:         _ZL32rocblas_syrkx_herkx_small_kernelIlfLi16ELb0ELb0ELc67ELc85EKPKfKPfEviT_T0_PT6_S5_lS8_S5_lS6_PT7_S5_li.kd
    .uniform_work_group_size: 1
    .uses_dynamic_stack: false
    .vgpr_count:     29
    .vgpr_spill_count: 0
    .wavefront_size: 32
    .workgroup_processor_mode: 1
  - .args:
      - .offset:         0
        .size:           4
        .value_kind:     by_value
      - .offset:         8
        .size:           8
        .value_kind:     by_value
      - .offset:         16
        .size:           4
        .value_kind:     by_value
      - .address_space:  global
        .offset:         24
        .size:           8
        .value_kind:     global_buffer
      - .offset:         32
        .size:           8
        .value_kind:     by_value
      - .offset:         40
        .size:           8
        .value_kind:     by_value
      - .address_space:  global
        .offset:         48
        .size:           8
        .value_kind:     global_buffer
      - .offset:         56
        .size:           8
        .value_kind:     by_value
      - .offset:         64
        .size:           8
        .value_kind:     by_value
      - .offset:         72
        .size:           4
        .value_kind:     by_value
      - .address_space:  global
        .offset:         80
        .size:           8
        .value_kind:     global_buffer
      - .offset:         88
        .size:           8
        .value_kind:     by_value
      - .offset:         96
        .size:           8
        .value_kind:     by_value
      - .offset:         104
        .size:           4
        .value_kind:     by_value
    .group_segment_fixed_size: 2048
    .kernarg_segment_align: 8
    .kernarg_segment_size: 108
    .language:       OpenCL C
    .language_version:
      - 2
      - 0
    .max_flat_workgroup_size: 256
    .name:           _ZL32rocblas_syrkx_herkx_small_kernelIlfLi16ELb0ELb0ELc78ELc85EKPKfKPfEviT_T0_PT6_S5_lS8_S5_lS6_PT7_S5_li
    .private_segment_fixed_size: 0
    .sgpr_count:     23
    .sgpr_spill_count: 0
    .symbol:         _ZL32rocblas_syrkx_herkx_small_kernelIlfLi16ELb0ELb0ELc78ELc85EKPKfKPfEviT_T0_PT6_S5_lS8_S5_lS6_PT7_S5_li.kd
    .uniform_work_group_size: 1
    .uses_dynamic_stack: false
    .vgpr_count:     29
    .vgpr_spill_count: 0
    .wavefront_size: 32
    .workgroup_processor_mode: 1
  - .args:
      - .offset:         0
        .size:           4
        .value_kind:     by_value
      - .offset:         8
        .size:           8
        .value_kind:     by_value
      - .offset:         16
        .size:           4
        .value_kind:     by_value
      - .address_space:  global
        .offset:         24
        .size:           8
        .value_kind:     global_buffer
      - .offset:         32
        .size:           8
        .value_kind:     by_value
      - .offset:         40
        .size:           8
        .value_kind:     by_value
      - .address_space:  global
        .offset:         48
        .size:           8
        .value_kind:     global_buffer
      - .offset:         56
        .size:           8
        .value_kind:     by_value
      - .offset:         64
        .size:           8
        .value_kind:     by_value
      - .offset:         72
        .size:           4
        .value_kind:     by_value
      - .address_space:  global
        .offset:         80
        .size:           8
        .value_kind:     global_buffer
      - .offset:         88
        .size:           8
        .value_kind:     by_value
      - .offset:         96
        .size:           8
        .value_kind:     by_value
      - .offset:         104
        .size:           4
        .value_kind:     by_value
    .group_segment_fixed_size: 2048
    .kernarg_segment_align: 8
    .kernarg_segment_size: 108
    .language:       OpenCL C
    .language_version:
      - 2
      - 0
    .max_flat_workgroup_size: 256
    .name:           _ZL34rocblas_syrkx_herkx_general_kernelIlfLi16ELi32ELi8ELb1ELb0ELc84ELc76EKPKfKPfEviT_T0_PT8_S5_lS8_S5_lS6_PT9_S5_li
    .private_segment_fixed_size: 0
    .sgpr_count:     23
    .sgpr_spill_count: 0
    .symbol:         _ZL34rocblas_syrkx_herkx_general_kernelIlfLi16ELi32ELi8ELb1ELb0ELc84ELc76EKPKfKPfEviT_T0_PT8_S5_lS8_S5_lS6_PT9_S5_li.kd
    .uniform_work_group_size: 1
    .uses_dynamic_stack: false
    .vgpr_count:     44
    .vgpr_spill_count: 0
    .wavefront_size: 32
    .workgroup_processor_mode: 1
  - .args:
      - .offset:         0
        .size:           4
        .value_kind:     by_value
      - .offset:         8
        .size:           8
        .value_kind:     by_value
      - .offset:         16
        .size:           4
        .value_kind:     by_value
      - .address_space:  global
        .offset:         24
        .size:           8
        .value_kind:     global_buffer
      - .offset:         32
        .size:           8
        .value_kind:     by_value
      - .offset:         40
        .size:           8
        .value_kind:     by_value
      - .address_space:  global
        .offset:         48
        .size:           8
        .value_kind:     global_buffer
      - .offset:         56
        .size:           8
        .value_kind:     by_value
      - .offset:         64
        .size:           8
        .value_kind:     by_value
      - .offset:         72
        .size:           4
        .value_kind:     by_value
      - .address_space:  global
        .offset:         80
        .size:           8
        .value_kind:     global_buffer
      - .offset:         88
        .size:           8
        .value_kind:     by_value
      - .offset:         96
        .size:           8
        .value_kind:     by_value
      - .offset:         104
        .size:           4
        .value_kind:     by_value
    .group_segment_fixed_size: 2048
    .kernarg_segment_align: 8
    .kernarg_segment_size: 108
    .language:       OpenCL C
    .language_version:
      - 2
      - 0
    .max_flat_workgroup_size: 256
    .name:           _ZL34rocblas_syrkx_herkx_general_kernelIlfLi16ELi32ELi8ELb1ELb0ELc67ELc76EKPKfKPfEviT_T0_PT8_S5_lS8_S5_lS6_PT9_S5_li
    .private_segment_fixed_size: 0
    .sgpr_count:     23
    .sgpr_spill_count: 0
    .symbol:         _ZL34rocblas_syrkx_herkx_general_kernelIlfLi16ELi32ELi8ELb1ELb0ELc67ELc76EKPKfKPfEviT_T0_PT8_S5_lS8_S5_lS6_PT9_S5_li.kd
    .uniform_work_group_size: 1
    .uses_dynamic_stack: false
    .vgpr_count:     44
    .vgpr_spill_count: 0
    .wavefront_size: 32
    .workgroup_processor_mode: 1
  - .args:
      - .offset:         0
        .size:           4
        .value_kind:     by_value
      - .offset:         8
        .size:           8
        .value_kind:     by_value
      - .offset:         16
        .size:           4
        .value_kind:     by_value
      - .address_space:  global
        .offset:         24
        .size:           8
        .value_kind:     global_buffer
      - .offset:         32
        .size:           8
        .value_kind:     by_value
      - .offset:         40
        .size:           8
        .value_kind:     by_value
      - .address_space:  global
        .offset:         48
        .size:           8
        .value_kind:     global_buffer
      - .offset:         56
        .size:           8
        .value_kind:     by_value
      - .offset:         64
        .size:           8
        .value_kind:     by_value
      - .offset:         72
        .size:           4
        .value_kind:     by_value
      - .address_space:  global
        .offset:         80
        .size:           8
        .value_kind:     global_buffer
      - .offset:         88
        .size:           8
        .value_kind:     by_value
      - .offset:         96
        .size:           8
        .value_kind:     by_value
      - .offset:         104
        .size:           4
        .value_kind:     by_value
    .group_segment_fixed_size: 2048
    .kernarg_segment_align: 8
    .kernarg_segment_size: 108
    .language:       OpenCL C
    .language_version:
      - 2
      - 0
    .max_flat_workgroup_size: 256
    .name:           _ZL34rocblas_syrkx_herkx_general_kernelIlfLi16ELi32ELi8ELb1ELb0ELc78ELc76EKPKfKPfEviT_T0_PT8_S5_lS8_S5_lS6_PT9_S5_li
    .private_segment_fixed_size: 0
    .sgpr_count:     25
    .sgpr_spill_count: 0
    .symbol:         _ZL34rocblas_syrkx_herkx_general_kernelIlfLi16ELi32ELi8ELb1ELb0ELc78ELc76EKPKfKPfEviT_T0_PT8_S5_lS8_S5_lS6_PT9_S5_li.kd
    .uniform_work_group_size: 1
    .uses_dynamic_stack: false
    .vgpr_count:     44
    .vgpr_spill_count: 0
    .wavefront_size: 32
    .workgroup_processor_mode: 1
  - .args:
      - .offset:         0
        .size:           4
        .value_kind:     by_value
      - .offset:         8
        .size:           8
        .value_kind:     by_value
      - .offset:         16
        .size:           4
        .value_kind:     by_value
      - .address_space:  global
        .offset:         24
        .size:           8
        .value_kind:     global_buffer
      - .offset:         32
        .size:           8
        .value_kind:     by_value
      - .offset:         40
        .size:           8
        .value_kind:     by_value
      - .address_space:  global
        .offset:         48
        .size:           8
        .value_kind:     global_buffer
      - .offset:         56
        .size:           8
        .value_kind:     by_value
      - .offset:         64
        .size:           8
        .value_kind:     by_value
      - .offset:         72
        .size:           4
        .value_kind:     by_value
      - .address_space:  global
        .offset:         80
        .size:           8
        .value_kind:     global_buffer
      - .offset:         88
        .size:           8
        .value_kind:     by_value
      - .offset:         96
        .size:           8
        .value_kind:     by_value
      - .offset:         104
        .size:           4
        .value_kind:     by_value
    .group_segment_fixed_size: 2048
    .kernarg_segment_align: 8
    .kernarg_segment_size: 108
    .language:       OpenCL C
    .language_version:
      - 2
      - 0
    .max_flat_workgroup_size: 256
    .name:           _ZL34rocblas_syrkx_herkx_general_kernelIlfLi16ELi32ELi8ELb1ELb0ELc84ELc85EKPKfKPfEviT_T0_PT8_S5_lS8_S5_lS6_PT9_S5_li
    .private_segment_fixed_size: 0
    .sgpr_count:     23
    .sgpr_spill_count: 0
    .symbol:         _ZL34rocblas_syrkx_herkx_general_kernelIlfLi16ELi32ELi8ELb1ELb0ELc84ELc85EKPKfKPfEviT_T0_PT8_S5_lS8_S5_lS6_PT9_S5_li.kd
    .uniform_work_group_size: 1
    .uses_dynamic_stack: false
    .vgpr_count:     44
    .vgpr_spill_count: 0
    .wavefront_size: 32
    .workgroup_processor_mode: 1
  - .args:
      - .offset:         0
        .size:           4
        .value_kind:     by_value
      - .offset:         8
        .size:           8
        .value_kind:     by_value
      - .offset:         16
        .size:           4
        .value_kind:     by_value
      - .address_space:  global
        .offset:         24
        .size:           8
        .value_kind:     global_buffer
      - .offset:         32
        .size:           8
        .value_kind:     by_value
      - .offset:         40
        .size:           8
        .value_kind:     by_value
      - .address_space:  global
        .offset:         48
        .size:           8
        .value_kind:     global_buffer
      - .offset:         56
        .size:           8
        .value_kind:     by_value
      - .offset:         64
        .size:           8
        .value_kind:     by_value
      - .offset:         72
        .size:           4
        .value_kind:     by_value
      - .address_space:  global
        .offset:         80
        .size:           8
        .value_kind:     global_buffer
      - .offset:         88
        .size:           8
        .value_kind:     by_value
      - .offset:         96
        .size:           8
        .value_kind:     by_value
      - .offset:         104
        .size:           4
        .value_kind:     by_value
    .group_segment_fixed_size: 2048
    .kernarg_segment_align: 8
    .kernarg_segment_size: 108
    .language:       OpenCL C
    .language_version:
      - 2
      - 0
    .max_flat_workgroup_size: 256
    .name:           _ZL34rocblas_syrkx_herkx_general_kernelIlfLi16ELi32ELi8ELb1ELb0ELc67ELc85EKPKfKPfEviT_T0_PT8_S5_lS8_S5_lS6_PT9_S5_li
    .private_segment_fixed_size: 0
    .sgpr_count:     23
    .sgpr_spill_count: 0
    .symbol:         _ZL34rocblas_syrkx_herkx_general_kernelIlfLi16ELi32ELi8ELb1ELb0ELc67ELc85EKPKfKPfEviT_T0_PT8_S5_lS8_S5_lS6_PT9_S5_li.kd
    .uniform_work_group_size: 1
    .uses_dynamic_stack: false
    .vgpr_count:     44
    .vgpr_spill_count: 0
    .wavefront_size: 32
    .workgroup_processor_mode: 1
  - .args:
      - .offset:         0
        .size:           4
        .value_kind:     by_value
      - .offset:         8
        .size:           8
        .value_kind:     by_value
      - .offset:         16
        .size:           4
        .value_kind:     by_value
      - .address_space:  global
        .offset:         24
        .size:           8
        .value_kind:     global_buffer
      - .offset:         32
        .size:           8
        .value_kind:     by_value
      - .offset:         40
        .size:           8
        .value_kind:     by_value
      - .address_space:  global
        .offset:         48
        .size:           8
        .value_kind:     global_buffer
      - .offset:         56
        .size:           8
        .value_kind:     by_value
      - .offset:         64
        .size:           8
        .value_kind:     by_value
      - .offset:         72
        .size:           4
        .value_kind:     by_value
      - .address_space:  global
        .offset:         80
        .size:           8
        .value_kind:     global_buffer
      - .offset:         88
        .size:           8
        .value_kind:     by_value
      - .offset:         96
        .size:           8
        .value_kind:     by_value
      - .offset:         104
        .size:           4
        .value_kind:     by_value
    .group_segment_fixed_size: 2048
    .kernarg_segment_align: 8
    .kernarg_segment_size: 108
    .language:       OpenCL C
    .language_version:
      - 2
      - 0
    .max_flat_workgroup_size: 256
    .name:           _ZL34rocblas_syrkx_herkx_general_kernelIlfLi16ELi32ELi8ELb1ELb0ELc78ELc85EKPKfKPfEviT_T0_PT8_S5_lS8_S5_lS6_PT9_S5_li
    .private_segment_fixed_size: 0
    .sgpr_count:     25
    .sgpr_spill_count: 0
    .symbol:         _ZL34rocblas_syrkx_herkx_general_kernelIlfLi16ELi32ELi8ELb1ELb0ELc78ELc85EKPKfKPfEviT_T0_PT8_S5_lS8_S5_lS6_PT9_S5_li.kd
    .uniform_work_group_size: 1
    .uses_dynamic_stack: false
    .vgpr_count:     44
    .vgpr_spill_count: 0
    .wavefront_size: 32
    .workgroup_processor_mode: 1
  - .args:
      - .offset:         0
        .size:           4
        .value_kind:     by_value
      - .offset:         8
        .size:           8
        .value_kind:     by_value
      - .offset:         16
        .size:           4
        .value_kind:     by_value
      - .address_space:  global
        .offset:         24
        .size:           8
        .value_kind:     global_buffer
      - .offset:         32
        .size:           8
        .value_kind:     by_value
      - .offset:         40
        .size:           8
        .value_kind:     by_value
      - .address_space:  global
        .offset:         48
        .size:           8
        .value_kind:     global_buffer
      - .offset:         56
        .size:           8
        .value_kind:     by_value
      - .offset:         64
        .size:           8
        .value_kind:     by_value
      - .offset:         72
        .size:           4
        .value_kind:     by_value
      - .address_space:  global
        .offset:         80
        .size:           8
        .value_kind:     global_buffer
      - .offset:         88
        .size:           8
        .value_kind:     by_value
      - .offset:         96
        .size:           8
        .value_kind:     by_value
      - .offset:         104
        .size:           4
        .value_kind:     by_value
    .group_segment_fixed_size: 2048
    .kernarg_segment_align: 8
    .kernarg_segment_size: 108
    .language:       OpenCL C
    .language_version:
      - 2
      - 0
    .max_flat_workgroup_size: 256
    .name:           _ZL34rocblas_syrkx_herkx_general_kernelIlfLi16ELi32ELi8ELb0ELb0ELc84ELc76EKPKfKPfEviT_T0_PT8_S5_lS8_S5_lS6_PT9_S5_li
    .private_segment_fixed_size: 0
    .sgpr_count:     23
    .sgpr_spill_count: 0
    .symbol:         _ZL34rocblas_syrkx_herkx_general_kernelIlfLi16ELi32ELi8ELb0ELb0ELc84ELc76EKPKfKPfEviT_T0_PT8_S5_lS8_S5_lS6_PT9_S5_li.kd
    .uniform_work_group_size: 1
    .uses_dynamic_stack: false
    .vgpr_count:     44
    .vgpr_spill_count: 0
    .wavefront_size: 32
    .workgroup_processor_mode: 1
  - .args:
      - .offset:         0
        .size:           4
        .value_kind:     by_value
      - .offset:         8
        .size:           8
        .value_kind:     by_value
      - .offset:         16
        .size:           4
        .value_kind:     by_value
      - .address_space:  global
        .offset:         24
        .size:           8
        .value_kind:     global_buffer
      - .offset:         32
        .size:           8
        .value_kind:     by_value
      - .offset:         40
        .size:           8
        .value_kind:     by_value
      - .address_space:  global
        .offset:         48
        .size:           8
        .value_kind:     global_buffer
      - .offset:         56
        .size:           8
        .value_kind:     by_value
      - .offset:         64
        .size:           8
        .value_kind:     by_value
      - .offset:         72
        .size:           4
        .value_kind:     by_value
      - .address_space:  global
        .offset:         80
        .size:           8
        .value_kind:     global_buffer
      - .offset:         88
        .size:           8
        .value_kind:     by_value
      - .offset:         96
        .size:           8
        .value_kind:     by_value
      - .offset:         104
        .size:           4
        .value_kind:     by_value
    .group_segment_fixed_size: 2048
    .kernarg_segment_align: 8
    .kernarg_segment_size: 108
    .language:       OpenCL C
    .language_version:
      - 2
      - 0
    .max_flat_workgroup_size: 256
    .name:           _ZL34rocblas_syrkx_herkx_general_kernelIlfLi16ELi32ELi8ELb0ELb0ELc67ELc76EKPKfKPfEviT_T0_PT8_S5_lS8_S5_lS6_PT9_S5_li
    .private_segment_fixed_size: 0
    .sgpr_count:     23
    .sgpr_spill_count: 0
    .symbol:         _ZL34rocblas_syrkx_herkx_general_kernelIlfLi16ELi32ELi8ELb0ELb0ELc67ELc76EKPKfKPfEviT_T0_PT8_S5_lS8_S5_lS6_PT9_S5_li.kd
    .uniform_work_group_size: 1
    .uses_dynamic_stack: false
    .vgpr_count:     44
    .vgpr_spill_count: 0
    .wavefront_size: 32
    .workgroup_processor_mode: 1
  - .args:
      - .offset:         0
        .size:           4
        .value_kind:     by_value
      - .offset:         8
        .size:           8
        .value_kind:     by_value
      - .offset:         16
        .size:           4
        .value_kind:     by_value
      - .address_space:  global
        .offset:         24
        .size:           8
        .value_kind:     global_buffer
      - .offset:         32
        .size:           8
        .value_kind:     by_value
      - .offset:         40
        .size:           8
        .value_kind:     by_value
      - .address_space:  global
        .offset:         48
        .size:           8
        .value_kind:     global_buffer
      - .offset:         56
        .size:           8
        .value_kind:     by_value
      - .offset:         64
        .size:           8
        .value_kind:     by_value
      - .offset:         72
        .size:           4
        .value_kind:     by_value
      - .address_space:  global
        .offset:         80
        .size:           8
        .value_kind:     global_buffer
      - .offset:         88
        .size:           8
        .value_kind:     by_value
      - .offset:         96
        .size:           8
        .value_kind:     by_value
      - .offset:         104
        .size:           4
        .value_kind:     by_value
    .group_segment_fixed_size: 2048
    .kernarg_segment_align: 8
    .kernarg_segment_size: 108
    .language:       OpenCL C
    .language_version:
      - 2
      - 0
    .max_flat_workgroup_size: 256
    .name:           _ZL34rocblas_syrkx_herkx_general_kernelIlfLi16ELi32ELi8ELb0ELb0ELc78ELc76EKPKfKPfEviT_T0_PT8_S5_lS8_S5_lS6_PT9_S5_li
    .private_segment_fixed_size: 0
    .sgpr_count:     25
    .sgpr_spill_count: 0
    .symbol:         _ZL34rocblas_syrkx_herkx_general_kernelIlfLi16ELi32ELi8ELb0ELb0ELc78ELc76EKPKfKPfEviT_T0_PT8_S5_lS8_S5_lS6_PT9_S5_li.kd
    .uniform_work_group_size: 1
    .uses_dynamic_stack: false
    .vgpr_count:     44
    .vgpr_spill_count: 0
    .wavefront_size: 32
    .workgroup_processor_mode: 1
  - .args:
      - .offset:         0
        .size:           4
        .value_kind:     by_value
      - .offset:         8
        .size:           8
        .value_kind:     by_value
      - .offset:         16
        .size:           4
        .value_kind:     by_value
      - .address_space:  global
        .offset:         24
        .size:           8
        .value_kind:     global_buffer
      - .offset:         32
        .size:           8
        .value_kind:     by_value
      - .offset:         40
        .size:           8
        .value_kind:     by_value
      - .address_space:  global
        .offset:         48
        .size:           8
        .value_kind:     global_buffer
      - .offset:         56
        .size:           8
        .value_kind:     by_value
      - .offset:         64
        .size:           8
        .value_kind:     by_value
      - .offset:         72
        .size:           4
        .value_kind:     by_value
      - .address_space:  global
        .offset:         80
        .size:           8
        .value_kind:     global_buffer
      - .offset:         88
        .size:           8
        .value_kind:     by_value
      - .offset:         96
        .size:           8
        .value_kind:     by_value
      - .offset:         104
        .size:           4
        .value_kind:     by_value
    .group_segment_fixed_size: 2048
    .kernarg_segment_align: 8
    .kernarg_segment_size: 108
    .language:       OpenCL C
    .language_version:
      - 2
      - 0
    .max_flat_workgroup_size: 256
    .name:           _ZL34rocblas_syrkx_herkx_general_kernelIlfLi16ELi32ELi8ELb0ELb0ELc84ELc85EKPKfKPfEviT_T0_PT8_S5_lS8_S5_lS6_PT9_S5_li
    .private_segment_fixed_size: 0
    .sgpr_count:     23
    .sgpr_spill_count: 0
    .symbol:         _ZL34rocblas_syrkx_herkx_general_kernelIlfLi16ELi32ELi8ELb0ELb0ELc84ELc85EKPKfKPfEviT_T0_PT8_S5_lS8_S5_lS6_PT9_S5_li.kd
    .uniform_work_group_size: 1
    .uses_dynamic_stack: false
    .vgpr_count:     44
    .vgpr_spill_count: 0
    .wavefront_size: 32
    .workgroup_processor_mode: 1
  - .args:
      - .offset:         0
        .size:           4
        .value_kind:     by_value
      - .offset:         8
        .size:           8
        .value_kind:     by_value
      - .offset:         16
        .size:           4
        .value_kind:     by_value
      - .address_space:  global
        .offset:         24
        .size:           8
        .value_kind:     global_buffer
      - .offset:         32
        .size:           8
        .value_kind:     by_value
      - .offset:         40
        .size:           8
        .value_kind:     by_value
      - .address_space:  global
        .offset:         48
        .size:           8
        .value_kind:     global_buffer
      - .offset:         56
        .size:           8
        .value_kind:     by_value
      - .offset:         64
        .size:           8
        .value_kind:     by_value
      - .offset:         72
        .size:           4
        .value_kind:     by_value
      - .address_space:  global
        .offset:         80
        .size:           8
        .value_kind:     global_buffer
      - .offset:         88
        .size:           8
        .value_kind:     by_value
      - .offset:         96
        .size:           8
        .value_kind:     by_value
      - .offset:         104
        .size:           4
        .value_kind:     by_value
    .group_segment_fixed_size: 2048
    .kernarg_segment_align: 8
    .kernarg_segment_size: 108
    .language:       OpenCL C
    .language_version:
      - 2
      - 0
    .max_flat_workgroup_size: 256
    .name:           _ZL34rocblas_syrkx_herkx_general_kernelIlfLi16ELi32ELi8ELb0ELb0ELc67ELc85EKPKfKPfEviT_T0_PT8_S5_lS8_S5_lS6_PT9_S5_li
    .private_segment_fixed_size: 0
    .sgpr_count:     23
    .sgpr_spill_count: 0
    .symbol:         _ZL34rocblas_syrkx_herkx_general_kernelIlfLi16ELi32ELi8ELb0ELb0ELc67ELc85EKPKfKPfEviT_T0_PT8_S5_lS8_S5_lS6_PT9_S5_li.kd
    .uniform_work_group_size: 1
    .uses_dynamic_stack: false
    .vgpr_count:     44
    .vgpr_spill_count: 0
    .wavefront_size: 32
    .workgroup_processor_mode: 1
  - .args:
      - .offset:         0
        .size:           4
        .value_kind:     by_value
      - .offset:         8
        .size:           8
        .value_kind:     by_value
      - .offset:         16
        .size:           4
        .value_kind:     by_value
      - .address_space:  global
        .offset:         24
        .size:           8
        .value_kind:     global_buffer
      - .offset:         32
        .size:           8
        .value_kind:     by_value
      - .offset:         40
        .size:           8
        .value_kind:     by_value
      - .address_space:  global
        .offset:         48
        .size:           8
        .value_kind:     global_buffer
      - .offset:         56
        .size:           8
        .value_kind:     by_value
      - .offset:         64
        .size:           8
        .value_kind:     by_value
      - .offset:         72
        .size:           4
        .value_kind:     by_value
      - .address_space:  global
        .offset:         80
        .size:           8
        .value_kind:     global_buffer
      - .offset:         88
        .size:           8
        .value_kind:     by_value
      - .offset:         96
        .size:           8
        .value_kind:     by_value
      - .offset:         104
        .size:           4
        .value_kind:     by_value
    .group_segment_fixed_size: 2048
    .kernarg_segment_align: 8
    .kernarg_segment_size: 108
    .language:       OpenCL C
    .language_version:
      - 2
      - 0
    .max_flat_workgroup_size: 256
    .name:           _ZL34rocblas_syrkx_herkx_general_kernelIlfLi16ELi32ELi8ELb0ELb0ELc78ELc85EKPKfKPfEviT_T0_PT8_S5_lS8_S5_lS6_PT9_S5_li
    .private_segment_fixed_size: 0
    .sgpr_count:     25
    .sgpr_spill_count: 0
    .symbol:         _ZL34rocblas_syrkx_herkx_general_kernelIlfLi16ELi32ELi8ELb0ELb0ELc78ELc85EKPKfKPfEviT_T0_PT8_S5_lS8_S5_lS6_PT9_S5_li.kd
    .uniform_work_group_size: 1
    .uses_dynamic_stack: false
    .vgpr_count:     44
    .vgpr_spill_count: 0
    .wavefront_size: 32
    .workgroup_processor_mode: 1
  - .args:
      - .offset:         0
        .size:           1
        .value_kind:     by_value
      - .offset:         4
        .size:           4
        .value_kind:     by_value
      - .offset:         8
        .size:           8
        .value_kind:     by_value
      - .offset:         16
        .size:           4
        .value_kind:     by_value
      - .offset:         20
        .size:           4
        .value_kind:     by_value
      - .address_space:  global
        .offset:         24
        .size:           8
        .value_kind:     global_buffer
      - .offset:         32
        .size:           8
        .value_kind:     by_value
      - .offset:         40
        .size:           8
        .value_kind:     by_value
      - .offset:         48
        .size:           4
        .value_kind:     by_value
      - .offset:         56
        .size:           4
        .value_kind:     hidden_block_count_x
      - .offset:         60
        .size:           4
        .value_kind:     hidden_block_count_y
      - .offset:         64
        .size:           4
        .value_kind:     hidden_block_count_z
      - .offset:         68
        .size:           2
        .value_kind:     hidden_group_size_x
      - .offset:         70
        .size:           2
        .value_kind:     hidden_group_size_y
      - .offset:         72
        .size:           2
        .value_kind:     hidden_group_size_z
      - .offset:         74
        .size:           2
        .value_kind:     hidden_remainder_x
      - .offset:         76
        .size:           2
        .value_kind:     hidden_remainder_y
      - .offset:         78
        .size:           2
        .value_kind:     hidden_remainder_z
      - .offset:         96
        .size:           8
        .value_kind:     hidden_global_offset_x
      - .offset:         104
        .size:           8
        .value_kind:     hidden_global_offset_y
      - .offset:         112
        .size:           8
        .value_kind:     hidden_global_offset_z
      - .offset:         120
        .size:           2
        .value_kind:     hidden_grid_dims
    .group_segment_fixed_size: 0
    .kernarg_segment_align: 8
    .kernarg_segment_size: 312
    .language:       OpenCL C
    .language_version:
      - 2
      - 0
    .max_flat_workgroup_size: 1024
    .name:           _ZL26rocblas_syr2k_scale_kernelIlLi128ELi8ELb0EffPKPfEvbiT_T3_T4_T5_S3_li
    .private_segment_fixed_size: 0
    .sgpr_count:     18
    .sgpr_spill_count: 0
    .symbol:         _ZL26rocblas_syr2k_scale_kernelIlLi128ELi8ELb0EffPKPfEvbiT_T3_T4_T5_S3_li.kd
    .uniform_work_group_size: 1
    .uses_dynamic_stack: false
    .vgpr_count:     6
    .vgpr_spill_count: 0
    .wavefront_size: 32
    .workgroup_processor_mode: 1
  - .args:
      - .offset:         0
        .size:           1
        .value_kind:     by_value
      - .offset:         4
        .size:           4
        .value_kind:     by_value
      - .offset:         8
        .size:           8
        .value_kind:     by_value
      - .address_space:  global
        .offset:         16
        .size:           8
        .value_kind:     global_buffer
      - .address_space:  global
        .offset:         24
        .size:           8
        .value_kind:     global_buffer
      - .offset:         32
        .size:           8
        .value_kind:     by_value
      - .offset:         40
        .size:           8
        .value_kind:     by_value
      - .address_space:  global
        .offset:         48
        .size:           8
        .value_kind:     global_buffer
      - .offset:         56
        .size:           8
        .value_kind:     by_value
      - .offset:         64
        .size:           8
        .value_kind:     by_value
      - .address_space:  global
        .offset:         72
        .size:           8
        .value_kind:     global_buffer
      - .offset:         80
        .size:           8
        .value_kind:     by_value
      - .offset:         88
        .size:           8
        .value_kind:     by_value
      - .offset:         96
        .size:           4
        .value_kind:     by_value
    .group_segment_fixed_size: 8192
    .kernarg_segment_align: 8
    .kernarg_segment_size: 100
    .language:       OpenCL C
    .language_version:
      - 2
      - 0
    .max_flat_workgroup_size: 1024
    .name:           _ZL26rocblas_syr2k_her2k_kernelIlLb0ELb0ELb0ELi32EPKfPKS1_PKPfEvbiT_T4_T5_S7_lS9_S7_lT6_S7_li
    .private_segment_fixed_size: 0
    .sgpr_count:     34
    .sgpr_spill_count: 0
    .symbol:         _ZL26rocblas_syr2k_her2k_kernelIlLb0ELb0ELb0ELi32EPKfPKS1_PKPfEvbiT_T4_T5_S7_lS9_S7_lT6_S7_li.kd
    .uniform_work_group_size: 1
    .uses_dynamic_stack: false
    .vgpr_count:     31
    .vgpr_spill_count: 0
    .wavefront_size: 32
    .workgroup_processor_mode: 1
  - .args:
      - .offset:         0
        .size:           1
        .value_kind:     by_value
      - .offset:         4
        .size:           4
        .value_kind:     by_value
      - .offset:         8
        .size:           8
        .value_kind:     by_value
      - .address_space:  global
        .offset:         16
        .size:           8
        .value_kind:     global_buffer
      - .address_space:  global
        .offset:         24
        .size:           8
        .value_kind:     global_buffer
      - .offset:         32
        .size:           8
        .value_kind:     by_value
      - .offset:         40
        .size:           8
        .value_kind:     by_value
      - .address_space:  global
        .offset:         48
        .size:           8
        .value_kind:     global_buffer
      - .offset:         56
        .size:           8
        .value_kind:     by_value
      - .offset:         64
        .size:           8
        .value_kind:     by_value
      - .address_space:  global
        .offset:         72
        .size:           8
        .value_kind:     global_buffer
      - .offset:         80
        .size:           8
        .value_kind:     by_value
      - .offset:         88
        .size:           8
        .value_kind:     by_value
      - .offset:         96
        .size:           4
        .value_kind:     by_value
    .group_segment_fixed_size: 8192
    .kernarg_segment_align: 8
    .kernarg_segment_size: 100
    .language:       OpenCL C
    .language_version:
      - 2
      - 0
    .max_flat_workgroup_size: 1024
    .name:           _ZL26rocblas_syr2k_her2k_kernelIlLb0ELb0ELb1ELi32EPKfPKS1_PKPfEvbiT_T4_T5_S7_lS9_S7_lT6_S7_li
    .private_segment_fixed_size: 0
    .sgpr_count:     34
    .sgpr_spill_count: 0
    .symbol:         _ZL26rocblas_syr2k_her2k_kernelIlLb0ELb0ELb1ELi32EPKfPKS1_PKPfEvbiT_T4_T5_S7_lS9_S7_lT6_S7_li.kd
    .uniform_work_group_size: 1
    .uses_dynamic_stack: false
    .vgpr_count:     31
    .vgpr_spill_count: 0
    .wavefront_size: 32
    .workgroup_processor_mode: 1
  - .args:
      - .offset:         0
        .size:           1
        .value_kind:     by_value
      - .offset:         4
        .size:           4
        .value_kind:     by_value
      - .offset:         8
        .size:           8
        .value_kind:     by_value
      - .offset:         16
        .size:           8
        .value_kind:     by_value
      - .address_space:  global
        .offset:         24
        .size:           8
        .value_kind:     global_buffer
      - .offset:         32
        .size:           8
        .value_kind:     by_value
      - .offset:         40
        .size:           8
        .value_kind:     by_value
      - .address_space:  global
        .offset:         48
        .size:           8
        .value_kind:     global_buffer
      - .offset:         56
        .size:           8
        .value_kind:     by_value
      - .offset:         64
        .size:           8
        .value_kind:     by_value
      - .address_space:  global
        .offset:         72
        .size:           8
        .value_kind:     global_buffer
      - .offset:         80
        .size:           8
        .value_kind:     by_value
      - .offset:         88
        .size:           8
        .value_kind:     by_value
      - .offset:         96
        .size:           4
        .value_kind:     by_value
    .group_segment_fixed_size: 16384
    .kernarg_segment_align: 8
    .kernarg_segment_size: 100
    .language:       OpenCL C
    .language_version:
      - 2
      - 0
    .max_flat_workgroup_size: 1024
    .name:           _ZL26rocblas_syr2k_her2k_kernelIlLb0ELb0ELb0ELi32EdPKPKdPKPdEvbiT_T4_T5_S7_lS9_S7_lT6_S7_li
    .private_segment_fixed_size: 0
    .sgpr_count:     34
    .sgpr_spill_count: 0
    .symbol:         _ZL26rocblas_syr2k_her2k_kernelIlLb0ELb0ELb0ELi32EdPKPKdPKPdEvbiT_T4_T5_S7_lS9_S7_lT6_S7_li.kd
    .uniform_work_group_size: 1
    .uses_dynamic_stack: false
    .vgpr_count:     31
    .vgpr_spill_count: 0
    .wavefront_size: 32
    .workgroup_processor_mode: 1
  - .args:
      - .offset:         0
        .size:           1
        .value_kind:     by_value
      - .offset:         4
        .size:           4
        .value_kind:     by_value
      - .offset:         8
        .size:           8
        .value_kind:     by_value
      - .offset:         16
        .size:           8
        .value_kind:     by_value
      - .address_space:  global
        .offset:         24
        .size:           8
        .value_kind:     global_buffer
      - .offset:         32
        .size:           8
        .value_kind:     by_value
      - .offset:         40
        .size:           8
        .value_kind:     by_value
      - .address_space:  global
        .offset:         48
        .size:           8
        .value_kind:     global_buffer
      - .offset:         56
        .size:           8
        .value_kind:     by_value
      - .offset:         64
        .size:           8
        .value_kind:     by_value
      - .address_space:  global
        .offset:         72
        .size:           8
        .value_kind:     global_buffer
      - .offset:         80
        .size:           8
        .value_kind:     by_value
      - .offset:         88
        .size:           8
        .value_kind:     by_value
      - .offset:         96
        .size:           4
        .value_kind:     by_value
    .group_segment_fixed_size: 16384
    .kernarg_segment_align: 8
    .kernarg_segment_size: 100
    .language:       OpenCL C
    .language_version:
      - 2
      - 0
    .max_flat_workgroup_size: 1024
    .name:           _ZL26rocblas_syr2k_her2k_kernelIlLb0ELb0ELb1ELi32EdPKPKdPKPdEvbiT_T4_T5_S7_lS9_S7_lT6_S7_li
    .private_segment_fixed_size: 0
    .sgpr_count:     34
    .sgpr_spill_count: 0
    .symbol:         _ZL26rocblas_syr2k_her2k_kernelIlLb0ELb0ELb1ELi32EdPKPKdPKPdEvbiT_T4_T5_S7_lS9_S7_lT6_S7_li.kd
    .uniform_work_group_size: 1
    .uses_dynamic_stack: false
    .vgpr_count:     31
    .vgpr_spill_count: 0
    .wavefront_size: 32
    .workgroup_processor_mode: 1
  - .args:
      - .offset:         0
        .size:           4
        .value_kind:     by_value
      - .offset:         8
        .size:           8
        .value_kind:     by_value
      - .address_space:  global
        .offset:         16
        .size:           8
        .value_kind:     global_buffer
      - .offset:         24
        .size:           8
        .value_kind:     by_value
      - .offset:         32
        .size:           8
        .value_kind:     by_value
      - .address_space:  global
        .offset:         40
        .size:           8
        .value_kind:     global_buffer
      - .offset:         48
        .size:           8
        .value_kind:     by_value
      - .offset:         56
        .size:           8
        .value_kind:     by_value
      - .address_space:  global
        .offset:         64
        .size:           8
        .value_kind:     global_buffer
      - .offset:         72
        .size:           8
        .value_kind:     by_value
      - .offset:         80
        .size:           8
        .value_kind:     by_value
      - .offset:         88
        .size:           4
        .value_kind:     by_value
    .group_segment_fixed_size: 4096
    .kernarg_segment_align: 8
    .kernarg_segment_size: 92
    .language:       OpenCL C
    .language_version:
      - 2
      - 0
    .max_flat_workgroup_size: 256
    .name:           _ZL37rocblas_syrkx_herkx_restricted_kernelIldLi16ELi32ELi8ELi1ELi1ELb0ELc84ELc76EKPKdKPdEviT_PT9_S5_lS7_S5_lPT10_S5_li
    .private_segment_fixed_size: 0
    .sgpr_count:     22
    .sgpr_spill_count: 0
    .symbol:         _ZL37rocblas_syrkx_herkx_restricted_kernelIldLi16ELi32ELi8ELi1ELi1ELb0ELc84ELc76EKPKdKPdEviT_PT9_S5_lS7_S5_lPT10_S5_li.kd
    .uniform_work_group_size: 1
    .uses_dynamic_stack: false
    .vgpr_count:     38
    .vgpr_spill_count: 0
    .wavefront_size: 32
    .workgroup_processor_mode: 1
  - .args:
      - .offset:         0
        .size:           4
        .value_kind:     by_value
      - .offset:         8
        .size:           8
        .value_kind:     by_value
      - .address_space:  global
        .offset:         16
        .size:           8
        .value_kind:     global_buffer
      - .offset:         24
        .size:           8
        .value_kind:     by_value
      - .offset:         32
        .size:           8
        .value_kind:     by_value
      - .address_space:  global
        .offset:         40
        .size:           8
        .value_kind:     global_buffer
      - .offset:         48
        .size:           8
        .value_kind:     by_value
      - .offset:         56
        .size:           8
        .value_kind:     by_value
      - .address_space:  global
        .offset:         64
        .size:           8
        .value_kind:     global_buffer
      - .offset:         72
        .size:           8
        .value_kind:     by_value
      - .offset:         80
        .size:           8
        .value_kind:     by_value
      - .offset:         88
        .size:           4
        .value_kind:     by_value
    .group_segment_fixed_size: 4096
    .kernarg_segment_align: 8
    .kernarg_segment_size: 92
    .language:       OpenCL C
    .language_version:
      - 2
      - 0
    .max_flat_workgroup_size: 256
    .name:           _ZL37rocblas_syrkx_herkx_restricted_kernelIldLi16ELi32ELi8ELi1ELi1ELb0ELc67ELc76EKPKdKPdEviT_PT9_S5_lS7_S5_lPT10_S5_li
    .private_segment_fixed_size: 0
    .sgpr_count:     22
    .sgpr_spill_count: 0
    .symbol:         _ZL37rocblas_syrkx_herkx_restricted_kernelIldLi16ELi32ELi8ELi1ELi1ELb0ELc67ELc76EKPKdKPdEviT_PT9_S5_lS7_S5_lPT10_S5_li.kd
    .uniform_work_group_size: 1
    .uses_dynamic_stack: false
    .vgpr_count:     38
    .vgpr_spill_count: 0
    .wavefront_size: 32
    .workgroup_processor_mode: 1
  - .args:
      - .offset:         0
        .size:           4
        .value_kind:     by_value
      - .offset:         8
        .size:           8
        .value_kind:     by_value
      - .address_space:  global
        .offset:         16
        .size:           8
        .value_kind:     global_buffer
      - .offset:         24
        .size:           8
        .value_kind:     by_value
      - .offset:         32
        .size:           8
        .value_kind:     by_value
      - .address_space:  global
        .offset:         40
        .size:           8
        .value_kind:     global_buffer
      - .offset:         48
        .size:           8
        .value_kind:     by_value
      - .offset:         56
        .size:           8
        .value_kind:     by_value
      - .address_space:  global
        .offset:         64
        .size:           8
        .value_kind:     global_buffer
      - .offset:         72
        .size:           8
        .value_kind:     by_value
      - .offset:         80
        .size:           8
        .value_kind:     by_value
      - .offset:         88
        .size:           4
        .value_kind:     by_value
    .group_segment_fixed_size: 4096
    .kernarg_segment_align: 8
    .kernarg_segment_size: 92
    .language:       OpenCL C
    .language_version:
      - 2
      - 0
    .max_flat_workgroup_size: 256
    .name:           _ZL37rocblas_syrkx_herkx_restricted_kernelIldLi16ELi32ELi8ELi1ELi1ELb0ELc78ELc76EKPKdKPdEviT_PT9_S5_lS7_S5_lPT10_S5_li
    .private_segment_fixed_size: 0
    .sgpr_count:     22
    .sgpr_spill_count: 0
    .symbol:         _ZL37rocblas_syrkx_herkx_restricted_kernelIldLi16ELi32ELi8ELi1ELi1ELb0ELc78ELc76EKPKdKPdEviT_PT9_S5_lS7_S5_lPT10_S5_li.kd
    .uniform_work_group_size: 1
    .uses_dynamic_stack: false
    .vgpr_count:     38
    .vgpr_spill_count: 0
    .wavefront_size: 32
    .workgroup_processor_mode: 1
  - .args:
      - .offset:         0
        .size:           4
        .value_kind:     by_value
      - .offset:         8
        .size:           8
        .value_kind:     by_value
      - .address_space:  global
        .offset:         16
        .size:           8
        .value_kind:     global_buffer
      - .offset:         24
        .size:           8
        .value_kind:     by_value
      - .offset:         32
        .size:           8
        .value_kind:     by_value
      - .address_space:  global
        .offset:         40
        .size:           8
        .value_kind:     global_buffer
      - .offset:         48
        .size:           8
        .value_kind:     by_value
      - .offset:         56
        .size:           8
        .value_kind:     by_value
      - .address_space:  global
        .offset:         64
        .size:           8
        .value_kind:     global_buffer
      - .offset:         72
        .size:           8
        .value_kind:     by_value
      - .offset:         80
        .size:           8
        .value_kind:     by_value
      - .offset:         88
        .size:           4
        .value_kind:     by_value
    .group_segment_fixed_size: 4096
    .kernarg_segment_align: 8
    .kernarg_segment_size: 92
    .language:       OpenCL C
    .language_version:
      - 2
      - 0
    .max_flat_workgroup_size: 256
    .name:           _ZL37rocblas_syrkx_herkx_restricted_kernelIldLi16ELi32ELi8ELi1ELi1ELb0ELc84ELc85EKPKdKPdEviT_PT9_S5_lS7_S5_lPT10_S5_li
    .private_segment_fixed_size: 0
    .sgpr_count:     22
    .sgpr_spill_count: 0
    .symbol:         _ZL37rocblas_syrkx_herkx_restricted_kernelIldLi16ELi32ELi8ELi1ELi1ELb0ELc84ELc85EKPKdKPdEviT_PT9_S5_lS7_S5_lPT10_S5_li.kd
    .uniform_work_group_size: 1
    .uses_dynamic_stack: false
    .vgpr_count:     38
    .vgpr_spill_count: 0
    .wavefront_size: 32
    .workgroup_processor_mode: 1
  - .args:
      - .offset:         0
        .size:           4
        .value_kind:     by_value
      - .offset:         8
        .size:           8
        .value_kind:     by_value
      - .address_space:  global
        .offset:         16
        .size:           8
        .value_kind:     global_buffer
      - .offset:         24
        .size:           8
        .value_kind:     by_value
      - .offset:         32
        .size:           8
        .value_kind:     by_value
      - .address_space:  global
        .offset:         40
        .size:           8
        .value_kind:     global_buffer
      - .offset:         48
        .size:           8
        .value_kind:     by_value
      - .offset:         56
        .size:           8
        .value_kind:     by_value
      - .address_space:  global
        .offset:         64
        .size:           8
        .value_kind:     global_buffer
      - .offset:         72
        .size:           8
        .value_kind:     by_value
      - .offset:         80
        .size:           8
        .value_kind:     by_value
      - .offset:         88
        .size:           4
        .value_kind:     by_value
    .group_segment_fixed_size: 4096
    .kernarg_segment_align: 8
    .kernarg_segment_size: 92
    .language:       OpenCL C
    .language_version:
      - 2
      - 0
    .max_flat_workgroup_size: 256
    .name:           _ZL37rocblas_syrkx_herkx_restricted_kernelIldLi16ELi32ELi8ELi1ELi1ELb0ELc67ELc85EKPKdKPdEviT_PT9_S5_lS7_S5_lPT10_S5_li
    .private_segment_fixed_size: 0
    .sgpr_count:     22
    .sgpr_spill_count: 0
    .symbol:         _ZL37rocblas_syrkx_herkx_restricted_kernelIldLi16ELi32ELi8ELi1ELi1ELb0ELc67ELc85EKPKdKPdEviT_PT9_S5_lS7_S5_lPT10_S5_li.kd
    .uniform_work_group_size: 1
    .uses_dynamic_stack: false
    .vgpr_count:     38
    .vgpr_spill_count: 0
    .wavefront_size: 32
    .workgroup_processor_mode: 1
  - .args:
      - .offset:         0
        .size:           4
        .value_kind:     by_value
      - .offset:         8
        .size:           8
        .value_kind:     by_value
      - .address_space:  global
        .offset:         16
        .size:           8
        .value_kind:     global_buffer
      - .offset:         24
        .size:           8
        .value_kind:     by_value
      - .offset:         32
        .size:           8
        .value_kind:     by_value
      - .address_space:  global
        .offset:         40
        .size:           8
        .value_kind:     global_buffer
      - .offset:         48
        .size:           8
        .value_kind:     by_value
      - .offset:         56
        .size:           8
        .value_kind:     by_value
      - .address_space:  global
        .offset:         64
        .size:           8
        .value_kind:     global_buffer
      - .offset:         72
        .size:           8
        .value_kind:     by_value
      - .offset:         80
        .size:           8
        .value_kind:     by_value
      - .offset:         88
        .size:           4
        .value_kind:     by_value
    .group_segment_fixed_size: 4096
    .kernarg_segment_align: 8
    .kernarg_segment_size: 92
    .language:       OpenCL C
    .language_version:
      - 2
      - 0
    .max_flat_workgroup_size: 256
    .name:           _ZL37rocblas_syrkx_herkx_restricted_kernelIldLi16ELi32ELi8ELi1ELi1ELb0ELc78ELc85EKPKdKPdEviT_PT9_S5_lS7_S5_lPT10_S5_li
    .private_segment_fixed_size: 0
    .sgpr_count:     22
    .sgpr_spill_count: 0
    .symbol:         _ZL37rocblas_syrkx_herkx_restricted_kernelIldLi16ELi32ELi8ELi1ELi1ELb0ELc78ELc85EKPKdKPdEviT_PT9_S5_lS7_S5_lPT10_S5_li.kd
    .uniform_work_group_size: 1
    .uses_dynamic_stack: false
    .vgpr_count:     38
    .vgpr_spill_count: 0
    .wavefront_size: 32
    .workgroup_processor_mode: 1
  - .args:
      - .offset:         0
        .size:           4
        .value_kind:     by_value
      - .offset:         8
        .size:           8
        .value_kind:     by_value
      - .address_space:  global
        .offset:         16
        .size:           8
        .value_kind:     global_buffer
      - .offset:         24
        .size:           8
        .value_kind:     by_value
      - .offset:         32
        .size:           8
        .value_kind:     by_value
      - .address_space:  global
        .offset:         40
        .size:           8
        .value_kind:     global_buffer
      - .offset:         48
        .size:           8
        .value_kind:     by_value
      - .offset:         56
        .size:           8
        .value_kind:     by_value
      - .address_space:  global
        .offset:         64
        .size:           8
        .value_kind:     global_buffer
      - .offset:         72
        .size:           8
        .value_kind:     by_value
      - .offset:         80
        .size:           8
        .value_kind:     by_value
      - .offset:         88
        .size:           4
        .value_kind:     by_value
    .group_segment_fixed_size: 4096
    .kernarg_segment_align: 8
    .kernarg_segment_size: 92
    .language:       OpenCL C
    .language_version:
      - 2
      - 0
    .max_flat_workgroup_size: 256
    .name:           _ZL37rocblas_syrkx_herkx_restricted_kernelIldLi16ELi32ELi8ELi1ELin1ELb0ELc84ELc76EKPKdKPdEviT_PT9_S5_lS7_S5_lPT10_S5_li
    .private_segment_fixed_size: 0
    .sgpr_count:     22
    .sgpr_spill_count: 0
    .symbol:         _ZL37rocblas_syrkx_herkx_restricted_kernelIldLi16ELi32ELi8ELi1ELin1ELb0ELc84ELc76EKPKdKPdEviT_PT9_S5_lS7_S5_lPT10_S5_li.kd
    .uniform_work_group_size: 1
    .uses_dynamic_stack: false
    .vgpr_count:     38
    .vgpr_spill_count: 0
    .wavefront_size: 32
    .workgroup_processor_mode: 1
  - .args:
      - .offset:         0
        .size:           4
        .value_kind:     by_value
      - .offset:         8
        .size:           8
        .value_kind:     by_value
      - .address_space:  global
        .offset:         16
        .size:           8
        .value_kind:     global_buffer
      - .offset:         24
        .size:           8
        .value_kind:     by_value
      - .offset:         32
        .size:           8
        .value_kind:     by_value
      - .address_space:  global
        .offset:         40
        .size:           8
        .value_kind:     global_buffer
      - .offset:         48
        .size:           8
        .value_kind:     by_value
      - .offset:         56
        .size:           8
        .value_kind:     by_value
      - .address_space:  global
        .offset:         64
        .size:           8
        .value_kind:     global_buffer
      - .offset:         72
        .size:           8
        .value_kind:     by_value
      - .offset:         80
        .size:           8
        .value_kind:     by_value
      - .offset:         88
        .size:           4
        .value_kind:     by_value
    .group_segment_fixed_size: 4096
    .kernarg_segment_align: 8
    .kernarg_segment_size: 92
    .language:       OpenCL C
    .language_version:
      - 2
      - 0
    .max_flat_workgroup_size: 256
    .name:           _ZL37rocblas_syrkx_herkx_restricted_kernelIldLi16ELi32ELi8ELi1ELin1ELb0ELc67ELc76EKPKdKPdEviT_PT9_S5_lS7_S5_lPT10_S5_li
    .private_segment_fixed_size: 0
    .sgpr_count:     22
    .sgpr_spill_count: 0
    .symbol:         _ZL37rocblas_syrkx_herkx_restricted_kernelIldLi16ELi32ELi8ELi1ELin1ELb0ELc67ELc76EKPKdKPdEviT_PT9_S5_lS7_S5_lPT10_S5_li.kd
    .uniform_work_group_size: 1
    .uses_dynamic_stack: false
    .vgpr_count:     38
    .vgpr_spill_count: 0
    .wavefront_size: 32
    .workgroup_processor_mode: 1
  - .args:
      - .offset:         0
        .size:           4
        .value_kind:     by_value
      - .offset:         8
        .size:           8
        .value_kind:     by_value
      - .address_space:  global
        .offset:         16
        .size:           8
        .value_kind:     global_buffer
      - .offset:         24
        .size:           8
        .value_kind:     by_value
      - .offset:         32
        .size:           8
        .value_kind:     by_value
      - .address_space:  global
        .offset:         40
        .size:           8
        .value_kind:     global_buffer
      - .offset:         48
        .size:           8
        .value_kind:     by_value
      - .offset:         56
        .size:           8
        .value_kind:     by_value
      - .address_space:  global
        .offset:         64
        .size:           8
        .value_kind:     global_buffer
      - .offset:         72
        .size:           8
        .value_kind:     by_value
      - .offset:         80
        .size:           8
        .value_kind:     by_value
      - .offset:         88
        .size:           4
        .value_kind:     by_value
    .group_segment_fixed_size: 4096
    .kernarg_segment_align: 8
    .kernarg_segment_size: 92
    .language:       OpenCL C
    .language_version:
      - 2
      - 0
    .max_flat_workgroup_size: 256
    .name:           _ZL37rocblas_syrkx_herkx_restricted_kernelIldLi16ELi32ELi8ELi1ELin1ELb0ELc78ELc76EKPKdKPdEviT_PT9_S5_lS7_S5_lPT10_S5_li
    .private_segment_fixed_size: 0
    .sgpr_count:     22
    .sgpr_spill_count: 0
    .symbol:         _ZL37rocblas_syrkx_herkx_restricted_kernelIldLi16ELi32ELi8ELi1ELin1ELb0ELc78ELc76EKPKdKPdEviT_PT9_S5_lS7_S5_lPT10_S5_li.kd
    .uniform_work_group_size: 1
    .uses_dynamic_stack: false
    .vgpr_count:     38
    .vgpr_spill_count: 0
    .wavefront_size: 32
    .workgroup_processor_mode: 1
  - .args:
      - .offset:         0
        .size:           4
        .value_kind:     by_value
      - .offset:         8
        .size:           8
        .value_kind:     by_value
      - .address_space:  global
        .offset:         16
        .size:           8
        .value_kind:     global_buffer
      - .offset:         24
        .size:           8
        .value_kind:     by_value
      - .offset:         32
        .size:           8
        .value_kind:     by_value
      - .address_space:  global
        .offset:         40
        .size:           8
        .value_kind:     global_buffer
      - .offset:         48
        .size:           8
        .value_kind:     by_value
      - .offset:         56
        .size:           8
        .value_kind:     by_value
      - .address_space:  global
        .offset:         64
        .size:           8
        .value_kind:     global_buffer
      - .offset:         72
        .size:           8
        .value_kind:     by_value
      - .offset:         80
        .size:           8
        .value_kind:     by_value
      - .offset:         88
        .size:           4
        .value_kind:     by_value
    .group_segment_fixed_size: 4096
    .kernarg_segment_align: 8
    .kernarg_segment_size: 92
    .language:       OpenCL C
    .language_version:
      - 2
      - 0
    .max_flat_workgroup_size: 256
    .name:           _ZL37rocblas_syrkx_herkx_restricted_kernelIldLi16ELi32ELi8ELi1ELin1ELb0ELc84ELc85EKPKdKPdEviT_PT9_S5_lS7_S5_lPT10_S5_li
    .private_segment_fixed_size: 0
    .sgpr_count:     22
    .sgpr_spill_count: 0
    .symbol:         _ZL37rocblas_syrkx_herkx_restricted_kernelIldLi16ELi32ELi8ELi1ELin1ELb0ELc84ELc85EKPKdKPdEviT_PT9_S5_lS7_S5_lPT10_S5_li.kd
    .uniform_work_group_size: 1
    .uses_dynamic_stack: false
    .vgpr_count:     38
    .vgpr_spill_count: 0
    .wavefront_size: 32
    .workgroup_processor_mode: 1
  - .args:
      - .offset:         0
        .size:           4
        .value_kind:     by_value
      - .offset:         8
        .size:           8
        .value_kind:     by_value
      - .address_space:  global
        .offset:         16
        .size:           8
        .value_kind:     global_buffer
      - .offset:         24
        .size:           8
        .value_kind:     by_value
      - .offset:         32
        .size:           8
        .value_kind:     by_value
      - .address_space:  global
        .offset:         40
        .size:           8
        .value_kind:     global_buffer
      - .offset:         48
        .size:           8
        .value_kind:     by_value
      - .offset:         56
        .size:           8
        .value_kind:     by_value
      - .address_space:  global
        .offset:         64
        .size:           8
        .value_kind:     global_buffer
      - .offset:         72
        .size:           8
        .value_kind:     by_value
      - .offset:         80
        .size:           8
        .value_kind:     by_value
      - .offset:         88
        .size:           4
        .value_kind:     by_value
    .group_segment_fixed_size: 4096
    .kernarg_segment_align: 8
    .kernarg_segment_size: 92
    .language:       OpenCL C
    .language_version:
      - 2
      - 0
    .max_flat_workgroup_size: 256
    .name:           _ZL37rocblas_syrkx_herkx_restricted_kernelIldLi16ELi32ELi8ELi1ELin1ELb0ELc67ELc85EKPKdKPdEviT_PT9_S5_lS7_S5_lPT10_S5_li
    .private_segment_fixed_size: 0
    .sgpr_count:     22
    .sgpr_spill_count: 0
    .symbol:         _ZL37rocblas_syrkx_herkx_restricted_kernelIldLi16ELi32ELi8ELi1ELin1ELb0ELc67ELc85EKPKdKPdEviT_PT9_S5_lS7_S5_lPT10_S5_li.kd
    .uniform_work_group_size: 1
    .uses_dynamic_stack: false
    .vgpr_count:     38
    .vgpr_spill_count: 0
    .wavefront_size: 32
    .workgroup_processor_mode: 1
  - .args:
      - .offset:         0
        .size:           4
        .value_kind:     by_value
      - .offset:         8
        .size:           8
        .value_kind:     by_value
      - .address_space:  global
        .offset:         16
        .size:           8
        .value_kind:     global_buffer
      - .offset:         24
        .size:           8
        .value_kind:     by_value
      - .offset:         32
        .size:           8
        .value_kind:     by_value
      - .address_space:  global
        .offset:         40
        .size:           8
        .value_kind:     global_buffer
      - .offset:         48
        .size:           8
        .value_kind:     by_value
      - .offset:         56
        .size:           8
        .value_kind:     by_value
      - .address_space:  global
        .offset:         64
        .size:           8
        .value_kind:     global_buffer
      - .offset:         72
        .size:           8
        .value_kind:     by_value
      - .offset:         80
        .size:           8
        .value_kind:     by_value
      - .offset:         88
        .size:           4
        .value_kind:     by_value
    .group_segment_fixed_size: 4096
    .kernarg_segment_align: 8
    .kernarg_segment_size: 92
    .language:       OpenCL C
    .language_version:
      - 2
      - 0
    .max_flat_workgroup_size: 256
    .name:           _ZL37rocblas_syrkx_herkx_restricted_kernelIldLi16ELi32ELi8ELi1ELin1ELb0ELc78ELc85EKPKdKPdEviT_PT9_S5_lS7_S5_lPT10_S5_li
    .private_segment_fixed_size: 0
    .sgpr_count:     22
    .sgpr_spill_count: 0
    .symbol:         _ZL37rocblas_syrkx_herkx_restricted_kernelIldLi16ELi32ELi8ELi1ELin1ELb0ELc78ELc85EKPKdKPdEviT_PT9_S5_lS7_S5_lPT10_S5_li.kd
    .uniform_work_group_size: 1
    .uses_dynamic_stack: false
    .vgpr_count:     38
    .vgpr_spill_count: 0
    .wavefront_size: 32
    .workgroup_processor_mode: 1
  - .args:
      - .offset:         0
        .size:           4
        .value_kind:     by_value
      - .offset:         8
        .size:           8
        .value_kind:     by_value
      - .address_space:  global
        .offset:         16
        .size:           8
        .value_kind:     global_buffer
      - .offset:         24
        .size:           8
        .value_kind:     by_value
      - .offset:         32
        .size:           8
        .value_kind:     by_value
      - .address_space:  global
        .offset:         40
        .size:           8
        .value_kind:     global_buffer
      - .offset:         48
        .size:           8
        .value_kind:     by_value
      - .offset:         56
        .size:           8
        .value_kind:     by_value
      - .address_space:  global
        .offset:         64
        .size:           8
        .value_kind:     global_buffer
      - .offset:         72
        .size:           8
        .value_kind:     by_value
      - .offset:         80
        .size:           8
        .value_kind:     by_value
      - .offset:         88
        .size:           4
        .value_kind:     by_value
    .group_segment_fixed_size: 4096
    .kernarg_segment_align: 8
    .kernarg_segment_size: 92
    .language:       OpenCL C
    .language_version:
      - 2
      - 0
    .max_flat_workgroup_size: 256
    .name:           _ZL37rocblas_syrkx_herkx_restricted_kernelIldLi16ELi32ELi8ELi1ELi0ELb0ELc84ELc76EKPKdKPdEviT_PT9_S5_lS7_S5_lPT10_S5_li
    .private_segment_fixed_size: 0
    .sgpr_count:     22
    .sgpr_spill_count: 0
    .symbol:         _ZL37rocblas_syrkx_herkx_restricted_kernelIldLi16ELi32ELi8ELi1ELi0ELb0ELc84ELc76EKPKdKPdEviT_PT9_S5_lS7_S5_lPT10_S5_li.kd
    .uniform_work_group_size: 1
    .uses_dynamic_stack: false
    .vgpr_count:     38
    .vgpr_spill_count: 0
    .wavefront_size: 32
    .workgroup_processor_mode: 1
  - .args:
      - .offset:         0
        .size:           4
        .value_kind:     by_value
      - .offset:         8
        .size:           8
        .value_kind:     by_value
      - .address_space:  global
        .offset:         16
        .size:           8
        .value_kind:     global_buffer
      - .offset:         24
        .size:           8
        .value_kind:     by_value
      - .offset:         32
        .size:           8
        .value_kind:     by_value
      - .address_space:  global
        .offset:         40
        .size:           8
        .value_kind:     global_buffer
      - .offset:         48
        .size:           8
        .value_kind:     by_value
      - .offset:         56
        .size:           8
        .value_kind:     by_value
      - .address_space:  global
        .offset:         64
        .size:           8
        .value_kind:     global_buffer
      - .offset:         72
        .size:           8
        .value_kind:     by_value
      - .offset:         80
        .size:           8
        .value_kind:     by_value
      - .offset:         88
        .size:           4
        .value_kind:     by_value
    .group_segment_fixed_size: 4096
    .kernarg_segment_align: 8
    .kernarg_segment_size: 92
    .language:       OpenCL C
    .language_version:
      - 2
      - 0
    .max_flat_workgroup_size: 256
    .name:           _ZL37rocblas_syrkx_herkx_restricted_kernelIldLi16ELi32ELi8ELi1ELi0ELb0ELc67ELc76EKPKdKPdEviT_PT9_S5_lS7_S5_lPT10_S5_li
    .private_segment_fixed_size: 0
    .sgpr_count:     22
    .sgpr_spill_count: 0
    .symbol:         _ZL37rocblas_syrkx_herkx_restricted_kernelIldLi16ELi32ELi8ELi1ELi0ELb0ELc67ELc76EKPKdKPdEviT_PT9_S5_lS7_S5_lPT10_S5_li.kd
    .uniform_work_group_size: 1
    .uses_dynamic_stack: false
    .vgpr_count:     38
    .vgpr_spill_count: 0
    .wavefront_size: 32
    .workgroup_processor_mode: 1
  - .args:
      - .offset:         0
        .size:           4
        .value_kind:     by_value
      - .offset:         8
        .size:           8
        .value_kind:     by_value
      - .address_space:  global
        .offset:         16
        .size:           8
        .value_kind:     global_buffer
      - .offset:         24
        .size:           8
        .value_kind:     by_value
      - .offset:         32
        .size:           8
        .value_kind:     by_value
      - .address_space:  global
        .offset:         40
        .size:           8
        .value_kind:     global_buffer
      - .offset:         48
        .size:           8
        .value_kind:     by_value
      - .offset:         56
        .size:           8
        .value_kind:     by_value
      - .address_space:  global
        .offset:         64
        .size:           8
        .value_kind:     global_buffer
      - .offset:         72
        .size:           8
        .value_kind:     by_value
      - .offset:         80
        .size:           8
        .value_kind:     by_value
      - .offset:         88
        .size:           4
        .value_kind:     by_value
    .group_segment_fixed_size: 4096
    .kernarg_segment_align: 8
    .kernarg_segment_size: 92
    .language:       OpenCL C
    .language_version:
      - 2
      - 0
    .max_flat_workgroup_size: 256
    .name:           _ZL37rocblas_syrkx_herkx_restricted_kernelIldLi16ELi32ELi8ELi1ELi0ELb0ELc78ELc76EKPKdKPdEviT_PT9_S5_lS7_S5_lPT10_S5_li
    .private_segment_fixed_size: 0
    .sgpr_count:     22
    .sgpr_spill_count: 0
    .symbol:         _ZL37rocblas_syrkx_herkx_restricted_kernelIldLi16ELi32ELi8ELi1ELi0ELb0ELc78ELc76EKPKdKPdEviT_PT9_S5_lS7_S5_lPT10_S5_li.kd
    .uniform_work_group_size: 1
    .uses_dynamic_stack: false
    .vgpr_count:     38
    .vgpr_spill_count: 0
    .wavefront_size: 32
    .workgroup_processor_mode: 1
  - .args:
      - .offset:         0
        .size:           4
        .value_kind:     by_value
      - .offset:         8
        .size:           8
        .value_kind:     by_value
      - .address_space:  global
        .offset:         16
        .size:           8
        .value_kind:     global_buffer
      - .offset:         24
        .size:           8
        .value_kind:     by_value
      - .offset:         32
        .size:           8
        .value_kind:     by_value
      - .address_space:  global
        .offset:         40
        .size:           8
        .value_kind:     global_buffer
      - .offset:         48
        .size:           8
        .value_kind:     by_value
      - .offset:         56
        .size:           8
        .value_kind:     by_value
      - .address_space:  global
        .offset:         64
        .size:           8
        .value_kind:     global_buffer
      - .offset:         72
        .size:           8
        .value_kind:     by_value
      - .offset:         80
        .size:           8
        .value_kind:     by_value
      - .offset:         88
        .size:           4
        .value_kind:     by_value
    .group_segment_fixed_size: 4096
    .kernarg_segment_align: 8
    .kernarg_segment_size: 92
    .language:       OpenCL C
    .language_version:
      - 2
      - 0
    .max_flat_workgroup_size: 256
    .name:           _ZL37rocblas_syrkx_herkx_restricted_kernelIldLi16ELi32ELi8ELi1ELi0ELb0ELc84ELc85EKPKdKPdEviT_PT9_S5_lS7_S5_lPT10_S5_li
    .private_segment_fixed_size: 0
    .sgpr_count:     22
    .sgpr_spill_count: 0
    .symbol:         _ZL37rocblas_syrkx_herkx_restricted_kernelIldLi16ELi32ELi8ELi1ELi0ELb0ELc84ELc85EKPKdKPdEviT_PT9_S5_lS7_S5_lPT10_S5_li.kd
    .uniform_work_group_size: 1
    .uses_dynamic_stack: false
    .vgpr_count:     38
    .vgpr_spill_count: 0
    .wavefront_size: 32
    .workgroup_processor_mode: 1
  - .args:
      - .offset:         0
        .size:           4
        .value_kind:     by_value
      - .offset:         8
        .size:           8
        .value_kind:     by_value
      - .address_space:  global
        .offset:         16
        .size:           8
        .value_kind:     global_buffer
      - .offset:         24
        .size:           8
        .value_kind:     by_value
      - .offset:         32
        .size:           8
        .value_kind:     by_value
      - .address_space:  global
        .offset:         40
        .size:           8
        .value_kind:     global_buffer
      - .offset:         48
        .size:           8
        .value_kind:     by_value
      - .offset:         56
        .size:           8
        .value_kind:     by_value
      - .address_space:  global
        .offset:         64
        .size:           8
        .value_kind:     global_buffer
      - .offset:         72
        .size:           8
        .value_kind:     by_value
      - .offset:         80
        .size:           8
        .value_kind:     by_value
      - .offset:         88
        .size:           4
        .value_kind:     by_value
    .group_segment_fixed_size: 4096
    .kernarg_segment_align: 8
    .kernarg_segment_size: 92
    .language:       OpenCL C
    .language_version:
      - 2
      - 0
    .max_flat_workgroup_size: 256
    .name:           _ZL37rocblas_syrkx_herkx_restricted_kernelIldLi16ELi32ELi8ELi1ELi0ELb0ELc67ELc85EKPKdKPdEviT_PT9_S5_lS7_S5_lPT10_S5_li
    .private_segment_fixed_size: 0
    .sgpr_count:     22
    .sgpr_spill_count: 0
    .symbol:         _ZL37rocblas_syrkx_herkx_restricted_kernelIldLi16ELi32ELi8ELi1ELi0ELb0ELc67ELc85EKPKdKPdEviT_PT9_S5_lS7_S5_lPT10_S5_li.kd
    .uniform_work_group_size: 1
    .uses_dynamic_stack: false
    .vgpr_count:     38
    .vgpr_spill_count: 0
    .wavefront_size: 32
    .workgroup_processor_mode: 1
  - .args:
      - .offset:         0
        .size:           4
        .value_kind:     by_value
      - .offset:         8
        .size:           8
        .value_kind:     by_value
      - .address_space:  global
        .offset:         16
        .size:           8
        .value_kind:     global_buffer
      - .offset:         24
        .size:           8
        .value_kind:     by_value
      - .offset:         32
        .size:           8
        .value_kind:     by_value
      - .address_space:  global
        .offset:         40
        .size:           8
        .value_kind:     global_buffer
      - .offset:         48
        .size:           8
        .value_kind:     by_value
      - .offset:         56
        .size:           8
        .value_kind:     by_value
      - .address_space:  global
        .offset:         64
        .size:           8
        .value_kind:     global_buffer
      - .offset:         72
        .size:           8
        .value_kind:     by_value
      - .offset:         80
        .size:           8
        .value_kind:     by_value
      - .offset:         88
        .size:           4
        .value_kind:     by_value
    .group_segment_fixed_size: 4096
    .kernarg_segment_align: 8
    .kernarg_segment_size: 92
    .language:       OpenCL C
    .language_version:
      - 2
      - 0
    .max_flat_workgroup_size: 256
    .name:           _ZL37rocblas_syrkx_herkx_restricted_kernelIldLi16ELi32ELi8ELi1ELi0ELb0ELc78ELc85EKPKdKPdEviT_PT9_S5_lS7_S5_lPT10_S5_li
    .private_segment_fixed_size: 0
    .sgpr_count:     22
    .sgpr_spill_count: 0
    .symbol:         _ZL37rocblas_syrkx_herkx_restricted_kernelIldLi16ELi32ELi8ELi1ELi0ELb0ELc78ELc85EKPKdKPdEviT_PT9_S5_lS7_S5_lPT10_S5_li.kd
    .uniform_work_group_size: 1
    .uses_dynamic_stack: false
    .vgpr_count:     38
    .vgpr_spill_count: 0
    .wavefront_size: 32
    .workgroup_processor_mode: 1
  - .args:
      - .offset:         0
        .size:           4
        .value_kind:     by_value
      - .offset:         8
        .size:           8
        .value_kind:     by_value
      - .address_space:  global
        .offset:         16
        .size:           8
        .value_kind:     global_buffer
      - .offset:         24
        .size:           8
        .value_kind:     by_value
      - .offset:         32
        .size:           8
        .value_kind:     by_value
      - .address_space:  global
        .offset:         40
        .size:           8
        .value_kind:     global_buffer
      - .offset:         48
        .size:           8
        .value_kind:     by_value
      - .offset:         56
        .size:           8
        .value_kind:     by_value
      - .address_space:  global
        .offset:         64
        .size:           8
        .value_kind:     global_buffer
      - .offset:         72
        .size:           8
        .value_kind:     by_value
      - .offset:         80
        .size:           8
        .value_kind:     by_value
      - .offset:         88
        .size:           4
        .value_kind:     by_value
    .group_segment_fixed_size: 4096
    .kernarg_segment_align: 8
    .kernarg_segment_size: 92
    .language:       OpenCL C
    .language_version:
      - 2
      - 0
    .max_flat_workgroup_size: 256
    .name:           _ZL37rocblas_syrkx_herkx_restricted_kernelIldLi16ELi32ELi8ELin1ELi0ELb0ELc84ELc76EKPKdKPdEviT_PT9_S5_lS7_S5_lPT10_S5_li
    .private_segment_fixed_size: 0
    .sgpr_count:     22
    .sgpr_spill_count: 0
    .symbol:         _ZL37rocblas_syrkx_herkx_restricted_kernelIldLi16ELi32ELi8ELin1ELi0ELb0ELc84ELc76EKPKdKPdEviT_PT9_S5_lS7_S5_lPT10_S5_li.kd
    .uniform_work_group_size: 1
    .uses_dynamic_stack: false
    .vgpr_count:     38
    .vgpr_spill_count: 0
    .wavefront_size: 32
    .workgroup_processor_mode: 1
  - .args:
      - .offset:         0
        .size:           4
        .value_kind:     by_value
      - .offset:         8
        .size:           8
        .value_kind:     by_value
      - .address_space:  global
        .offset:         16
        .size:           8
        .value_kind:     global_buffer
      - .offset:         24
        .size:           8
        .value_kind:     by_value
      - .offset:         32
        .size:           8
        .value_kind:     by_value
      - .address_space:  global
        .offset:         40
        .size:           8
        .value_kind:     global_buffer
      - .offset:         48
        .size:           8
        .value_kind:     by_value
      - .offset:         56
        .size:           8
        .value_kind:     by_value
      - .address_space:  global
        .offset:         64
        .size:           8
        .value_kind:     global_buffer
      - .offset:         72
        .size:           8
        .value_kind:     by_value
      - .offset:         80
        .size:           8
        .value_kind:     by_value
      - .offset:         88
        .size:           4
        .value_kind:     by_value
    .group_segment_fixed_size: 4096
    .kernarg_segment_align: 8
    .kernarg_segment_size: 92
    .language:       OpenCL C
    .language_version:
      - 2
      - 0
    .max_flat_workgroup_size: 256
    .name:           _ZL37rocblas_syrkx_herkx_restricted_kernelIldLi16ELi32ELi8ELin1ELi0ELb0ELc67ELc76EKPKdKPdEviT_PT9_S5_lS7_S5_lPT10_S5_li
    .private_segment_fixed_size: 0
    .sgpr_count:     22
    .sgpr_spill_count: 0
    .symbol:         _ZL37rocblas_syrkx_herkx_restricted_kernelIldLi16ELi32ELi8ELin1ELi0ELb0ELc67ELc76EKPKdKPdEviT_PT9_S5_lS7_S5_lPT10_S5_li.kd
    .uniform_work_group_size: 1
    .uses_dynamic_stack: false
    .vgpr_count:     38
    .vgpr_spill_count: 0
    .wavefront_size: 32
    .workgroup_processor_mode: 1
  - .args:
      - .offset:         0
        .size:           4
        .value_kind:     by_value
      - .offset:         8
        .size:           8
        .value_kind:     by_value
      - .address_space:  global
        .offset:         16
        .size:           8
        .value_kind:     global_buffer
      - .offset:         24
        .size:           8
        .value_kind:     by_value
      - .offset:         32
        .size:           8
        .value_kind:     by_value
      - .address_space:  global
        .offset:         40
        .size:           8
        .value_kind:     global_buffer
      - .offset:         48
        .size:           8
        .value_kind:     by_value
      - .offset:         56
        .size:           8
        .value_kind:     by_value
      - .address_space:  global
        .offset:         64
        .size:           8
        .value_kind:     global_buffer
      - .offset:         72
        .size:           8
        .value_kind:     by_value
      - .offset:         80
        .size:           8
        .value_kind:     by_value
      - .offset:         88
        .size:           4
        .value_kind:     by_value
    .group_segment_fixed_size: 4096
    .kernarg_segment_align: 8
    .kernarg_segment_size: 92
    .language:       OpenCL C
    .language_version:
      - 2
      - 0
    .max_flat_workgroup_size: 256
    .name:           _ZL37rocblas_syrkx_herkx_restricted_kernelIldLi16ELi32ELi8ELin1ELi0ELb0ELc78ELc76EKPKdKPdEviT_PT9_S5_lS7_S5_lPT10_S5_li
    .private_segment_fixed_size: 0
    .sgpr_count:     22
    .sgpr_spill_count: 0
    .symbol:         _ZL37rocblas_syrkx_herkx_restricted_kernelIldLi16ELi32ELi8ELin1ELi0ELb0ELc78ELc76EKPKdKPdEviT_PT9_S5_lS7_S5_lPT10_S5_li.kd
    .uniform_work_group_size: 1
    .uses_dynamic_stack: false
    .vgpr_count:     38
    .vgpr_spill_count: 0
    .wavefront_size: 32
    .workgroup_processor_mode: 1
  - .args:
      - .offset:         0
        .size:           4
        .value_kind:     by_value
      - .offset:         8
        .size:           8
        .value_kind:     by_value
      - .address_space:  global
        .offset:         16
        .size:           8
        .value_kind:     global_buffer
      - .offset:         24
        .size:           8
        .value_kind:     by_value
      - .offset:         32
        .size:           8
        .value_kind:     by_value
      - .address_space:  global
        .offset:         40
        .size:           8
        .value_kind:     global_buffer
      - .offset:         48
        .size:           8
        .value_kind:     by_value
      - .offset:         56
        .size:           8
        .value_kind:     by_value
      - .address_space:  global
        .offset:         64
        .size:           8
        .value_kind:     global_buffer
      - .offset:         72
        .size:           8
        .value_kind:     by_value
      - .offset:         80
        .size:           8
        .value_kind:     by_value
      - .offset:         88
        .size:           4
        .value_kind:     by_value
    .group_segment_fixed_size: 4096
    .kernarg_segment_align: 8
    .kernarg_segment_size: 92
    .language:       OpenCL C
    .language_version:
      - 2
      - 0
    .max_flat_workgroup_size: 256
    .name:           _ZL37rocblas_syrkx_herkx_restricted_kernelIldLi16ELi32ELi8ELin1ELi0ELb0ELc84ELc85EKPKdKPdEviT_PT9_S5_lS7_S5_lPT10_S5_li
    .private_segment_fixed_size: 0
    .sgpr_count:     22
    .sgpr_spill_count: 0
    .symbol:         _ZL37rocblas_syrkx_herkx_restricted_kernelIldLi16ELi32ELi8ELin1ELi0ELb0ELc84ELc85EKPKdKPdEviT_PT9_S5_lS7_S5_lPT10_S5_li.kd
    .uniform_work_group_size: 1
    .uses_dynamic_stack: false
    .vgpr_count:     38
    .vgpr_spill_count: 0
    .wavefront_size: 32
    .workgroup_processor_mode: 1
  - .args:
      - .offset:         0
        .size:           4
        .value_kind:     by_value
      - .offset:         8
        .size:           8
        .value_kind:     by_value
      - .address_space:  global
        .offset:         16
        .size:           8
        .value_kind:     global_buffer
      - .offset:         24
        .size:           8
        .value_kind:     by_value
      - .offset:         32
        .size:           8
        .value_kind:     by_value
      - .address_space:  global
        .offset:         40
        .size:           8
        .value_kind:     global_buffer
      - .offset:         48
        .size:           8
        .value_kind:     by_value
      - .offset:         56
        .size:           8
        .value_kind:     by_value
      - .address_space:  global
        .offset:         64
        .size:           8
        .value_kind:     global_buffer
      - .offset:         72
        .size:           8
        .value_kind:     by_value
      - .offset:         80
        .size:           8
        .value_kind:     by_value
      - .offset:         88
        .size:           4
        .value_kind:     by_value
    .group_segment_fixed_size: 4096
    .kernarg_segment_align: 8
    .kernarg_segment_size: 92
    .language:       OpenCL C
    .language_version:
      - 2
      - 0
    .max_flat_workgroup_size: 256
    .name:           _ZL37rocblas_syrkx_herkx_restricted_kernelIldLi16ELi32ELi8ELin1ELi0ELb0ELc67ELc85EKPKdKPdEviT_PT9_S5_lS7_S5_lPT10_S5_li
    .private_segment_fixed_size: 0
    .sgpr_count:     22
    .sgpr_spill_count: 0
    .symbol:         _ZL37rocblas_syrkx_herkx_restricted_kernelIldLi16ELi32ELi8ELin1ELi0ELb0ELc67ELc85EKPKdKPdEviT_PT9_S5_lS7_S5_lPT10_S5_li.kd
    .uniform_work_group_size: 1
    .uses_dynamic_stack: false
    .vgpr_count:     38
    .vgpr_spill_count: 0
    .wavefront_size: 32
    .workgroup_processor_mode: 1
  - .args:
      - .offset:         0
        .size:           4
        .value_kind:     by_value
      - .offset:         8
        .size:           8
        .value_kind:     by_value
      - .address_space:  global
        .offset:         16
        .size:           8
        .value_kind:     global_buffer
      - .offset:         24
        .size:           8
        .value_kind:     by_value
      - .offset:         32
        .size:           8
        .value_kind:     by_value
      - .address_space:  global
        .offset:         40
        .size:           8
        .value_kind:     global_buffer
      - .offset:         48
        .size:           8
        .value_kind:     by_value
      - .offset:         56
        .size:           8
        .value_kind:     by_value
      - .address_space:  global
        .offset:         64
        .size:           8
        .value_kind:     global_buffer
      - .offset:         72
        .size:           8
        .value_kind:     by_value
      - .offset:         80
        .size:           8
        .value_kind:     by_value
      - .offset:         88
        .size:           4
        .value_kind:     by_value
    .group_segment_fixed_size: 4096
    .kernarg_segment_align: 8
    .kernarg_segment_size: 92
    .language:       OpenCL C
    .language_version:
      - 2
      - 0
    .max_flat_workgroup_size: 256
    .name:           _ZL37rocblas_syrkx_herkx_restricted_kernelIldLi16ELi32ELi8ELin1ELi0ELb0ELc78ELc85EKPKdKPdEviT_PT9_S5_lS7_S5_lPT10_S5_li
    .private_segment_fixed_size: 0
    .sgpr_count:     22
    .sgpr_spill_count: 0
    .symbol:         _ZL37rocblas_syrkx_herkx_restricted_kernelIldLi16ELi32ELi8ELin1ELi0ELb0ELc78ELc85EKPKdKPdEviT_PT9_S5_lS7_S5_lPT10_S5_li.kd
    .uniform_work_group_size: 1
    .uses_dynamic_stack: false
    .vgpr_count:     38
    .vgpr_spill_count: 0
    .wavefront_size: 32
    .workgroup_processor_mode: 1
  - .args:
      - .offset:         0
        .size:           4
        .value_kind:     by_value
      - .offset:         8
        .size:           8
        .value_kind:     by_value
      - .offset:         16
        .size:           8
        .value_kind:     by_value
      - .address_space:  global
        .offset:         24
        .size:           8
        .value_kind:     global_buffer
      - .offset:         32
        .size:           8
        .value_kind:     by_value
      - .offset:         40
        .size:           8
        .value_kind:     by_value
      - .address_space:  global
        .offset:         48
        .size:           8
        .value_kind:     global_buffer
      - .offset:         56
        .size:           8
        .value_kind:     by_value
      - .offset:         64
        .size:           8
        .value_kind:     by_value
      - .offset:         72
        .size:           8
        .value_kind:     by_value
      - .address_space:  global
        .offset:         80
        .size:           8
        .value_kind:     global_buffer
      - .offset:         88
        .size:           8
        .value_kind:     by_value
      - .offset:         96
        .size:           8
        .value_kind:     by_value
      - .offset:         104
        .size:           4
        .value_kind:     by_value
    .group_segment_fixed_size: 4096
    .kernarg_segment_align: 8
    .kernarg_segment_size: 108
    .language:       OpenCL C
    .language_version:
      - 2
      - 0
    .max_flat_workgroup_size: 256
    .name:           _ZL37rocblas_syrkx_herkx_restricted_kernelIldLi16ELi32ELi8ELb1ELb0ELc84ELc76EKPKdKPdEviT_T0_PT8_S5_lS8_S5_lS6_PT9_S5_li
    .private_segment_fixed_size: 0
    .sgpr_count:     24
    .sgpr_spill_count: 0
    .symbol:         _ZL37rocblas_syrkx_herkx_restricted_kernelIldLi16ELi32ELi8ELb1ELb0ELc84ELc76EKPKdKPdEviT_T0_PT8_S5_lS8_S5_lS6_PT9_S5_li.kd
    .uniform_work_group_size: 1
    .uses_dynamic_stack: false
    .vgpr_count:     38
    .vgpr_spill_count: 0
    .wavefront_size: 32
    .workgroup_processor_mode: 1
  - .args:
      - .offset:         0
        .size:           4
        .value_kind:     by_value
      - .offset:         8
        .size:           8
        .value_kind:     by_value
      - .offset:         16
        .size:           8
        .value_kind:     by_value
      - .address_space:  global
        .offset:         24
        .size:           8
        .value_kind:     global_buffer
      - .offset:         32
        .size:           8
        .value_kind:     by_value
      - .offset:         40
        .size:           8
        .value_kind:     by_value
      - .address_space:  global
        .offset:         48
        .size:           8
        .value_kind:     global_buffer
      - .offset:         56
        .size:           8
        .value_kind:     by_value
      - .offset:         64
        .size:           8
        .value_kind:     by_value
      - .offset:         72
        .size:           8
        .value_kind:     by_value
      - .address_space:  global
        .offset:         80
        .size:           8
        .value_kind:     global_buffer
      - .offset:         88
        .size:           8
        .value_kind:     by_value
      - .offset:         96
        .size:           8
        .value_kind:     by_value
      - .offset:         104
        .size:           4
        .value_kind:     by_value
    .group_segment_fixed_size: 4096
    .kernarg_segment_align: 8
    .kernarg_segment_size: 108
    .language:       OpenCL C
    .language_version:
      - 2
      - 0
    .max_flat_workgroup_size: 256
    .name:           _ZL37rocblas_syrkx_herkx_restricted_kernelIldLi16ELi32ELi8ELb1ELb0ELc67ELc76EKPKdKPdEviT_T0_PT8_S5_lS8_S5_lS6_PT9_S5_li
    .private_segment_fixed_size: 0
    .sgpr_count:     24
    .sgpr_spill_count: 0
    .symbol:         _ZL37rocblas_syrkx_herkx_restricted_kernelIldLi16ELi32ELi8ELb1ELb0ELc67ELc76EKPKdKPdEviT_T0_PT8_S5_lS8_S5_lS6_PT9_S5_li.kd
    .uniform_work_group_size: 1
    .uses_dynamic_stack: false
    .vgpr_count:     38
    .vgpr_spill_count: 0
    .wavefront_size: 32
    .workgroup_processor_mode: 1
  - .args:
      - .offset:         0
        .size:           4
        .value_kind:     by_value
      - .offset:         8
        .size:           8
        .value_kind:     by_value
      - .offset:         16
        .size:           8
        .value_kind:     by_value
      - .address_space:  global
        .offset:         24
        .size:           8
        .value_kind:     global_buffer
      - .offset:         32
        .size:           8
        .value_kind:     by_value
      - .offset:         40
        .size:           8
        .value_kind:     by_value
      - .address_space:  global
        .offset:         48
        .size:           8
        .value_kind:     global_buffer
      - .offset:         56
        .size:           8
        .value_kind:     by_value
      - .offset:         64
        .size:           8
        .value_kind:     by_value
      - .offset:         72
        .size:           8
        .value_kind:     by_value
      - .address_space:  global
        .offset:         80
        .size:           8
        .value_kind:     global_buffer
      - .offset:         88
        .size:           8
        .value_kind:     by_value
      - .offset:         96
        .size:           8
        .value_kind:     by_value
      - .offset:         104
        .size:           4
        .value_kind:     by_value
    .group_segment_fixed_size: 4096
    .kernarg_segment_align: 8
    .kernarg_segment_size: 108
    .language:       OpenCL C
    .language_version:
      - 2
      - 0
    .max_flat_workgroup_size: 256
    .name:           _ZL37rocblas_syrkx_herkx_restricted_kernelIldLi16ELi32ELi8ELb1ELb0ELc78ELc76EKPKdKPdEviT_T0_PT8_S5_lS8_S5_lS6_PT9_S5_li
    .private_segment_fixed_size: 0
    .sgpr_count:     24
    .sgpr_spill_count: 0
    .symbol:         _ZL37rocblas_syrkx_herkx_restricted_kernelIldLi16ELi32ELi8ELb1ELb0ELc78ELc76EKPKdKPdEviT_T0_PT8_S5_lS8_S5_lS6_PT9_S5_li.kd
    .uniform_work_group_size: 1
    .uses_dynamic_stack: false
    .vgpr_count:     38
    .vgpr_spill_count: 0
    .wavefront_size: 32
    .workgroup_processor_mode: 1
  - .args:
      - .offset:         0
        .size:           4
        .value_kind:     by_value
      - .offset:         8
        .size:           8
        .value_kind:     by_value
      - .offset:         16
        .size:           8
        .value_kind:     by_value
      - .address_space:  global
        .offset:         24
        .size:           8
        .value_kind:     global_buffer
      - .offset:         32
        .size:           8
        .value_kind:     by_value
      - .offset:         40
        .size:           8
        .value_kind:     by_value
      - .address_space:  global
        .offset:         48
        .size:           8
        .value_kind:     global_buffer
      - .offset:         56
        .size:           8
        .value_kind:     by_value
      - .offset:         64
        .size:           8
        .value_kind:     by_value
      - .offset:         72
        .size:           8
        .value_kind:     by_value
      - .address_space:  global
        .offset:         80
        .size:           8
        .value_kind:     global_buffer
      - .offset:         88
        .size:           8
        .value_kind:     by_value
      - .offset:         96
        .size:           8
        .value_kind:     by_value
      - .offset:         104
        .size:           4
        .value_kind:     by_value
    .group_segment_fixed_size: 4096
    .kernarg_segment_align: 8
    .kernarg_segment_size: 108
    .language:       OpenCL C
    .language_version:
      - 2
      - 0
    .max_flat_workgroup_size: 256
    .name:           _ZL37rocblas_syrkx_herkx_restricted_kernelIldLi16ELi32ELi8ELb1ELb0ELc84ELc85EKPKdKPdEviT_T0_PT8_S5_lS8_S5_lS6_PT9_S5_li
    .private_segment_fixed_size: 0
    .sgpr_count:     24
    .sgpr_spill_count: 0
    .symbol:         _ZL37rocblas_syrkx_herkx_restricted_kernelIldLi16ELi32ELi8ELb1ELb0ELc84ELc85EKPKdKPdEviT_T0_PT8_S5_lS8_S5_lS6_PT9_S5_li.kd
    .uniform_work_group_size: 1
    .uses_dynamic_stack: false
    .vgpr_count:     38
    .vgpr_spill_count: 0
    .wavefront_size: 32
    .workgroup_processor_mode: 1
  - .args:
      - .offset:         0
        .size:           4
        .value_kind:     by_value
      - .offset:         8
        .size:           8
        .value_kind:     by_value
      - .offset:         16
        .size:           8
        .value_kind:     by_value
      - .address_space:  global
        .offset:         24
        .size:           8
        .value_kind:     global_buffer
      - .offset:         32
        .size:           8
        .value_kind:     by_value
      - .offset:         40
        .size:           8
        .value_kind:     by_value
      - .address_space:  global
        .offset:         48
        .size:           8
        .value_kind:     global_buffer
      - .offset:         56
        .size:           8
        .value_kind:     by_value
      - .offset:         64
        .size:           8
        .value_kind:     by_value
      - .offset:         72
        .size:           8
        .value_kind:     by_value
      - .address_space:  global
        .offset:         80
        .size:           8
        .value_kind:     global_buffer
      - .offset:         88
        .size:           8
        .value_kind:     by_value
      - .offset:         96
        .size:           8
        .value_kind:     by_value
      - .offset:         104
        .size:           4
        .value_kind:     by_value
    .group_segment_fixed_size: 4096
    .kernarg_segment_align: 8
    .kernarg_segment_size: 108
    .language:       OpenCL C
    .language_version:
      - 2
      - 0
    .max_flat_workgroup_size: 256
    .name:           _ZL37rocblas_syrkx_herkx_restricted_kernelIldLi16ELi32ELi8ELb1ELb0ELc67ELc85EKPKdKPdEviT_T0_PT8_S5_lS8_S5_lS6_PT9_S5_li
    .private_segment_fixed_size: 0
    .sgpr_count:     24
    .sgpr_spill_count: 0
    .symbol:         _ZL37rocblas_syrkx_herkx_restricted_kernelIldLi16ELi32ELi8ELb1ELb0ELc67ELc85EKPKdKPdEviT_T0_PT8_S5_lS8_S5_lS6_PT9_S5_li.kd
    .uniform_work_group_size: 1
    .uses_dynamic_stack: false
    .vgpr_count:     38
    .vgpr_spill_count: 0
    .wavefront_size: 32
    .workgroup_processor_mode: 1
  - .args:
      - .offset:         0
        .size:           4
        .value_kind:     by_value
      - .offset:         8
        .size:           8
        .value_kind:     by_value
      - .offset:         16
        .size:           8
        .value_kind:     by_value
      - .address_space:  global
        .offset:         24
        .size:           8
        .value_kind:     global_buffer
      - .offset:         32
        .size:           8
        .value_kind:     by_value
      - .offset:         40
        .size:           8
        .value_kind:     by_value
      - .address_space:  global
        .offset:         48
        .size:           8
        .value_kind:     global_buffer
      - .offset:         56
        .size:           8
        .value_kind:     by_value
      - .offset:         64
        .size:           8
        .value_kind:     by_value
      - .offset:         72
        .size:           8
        .value_kind:     by_value
      - .address_space:  global
        .offset:         80
        .size:           8
        .value_kind:     global_buffer
      - .offset:         88
        .size:           8
        .value_kind:     by_value
      - .offset:         96
        .size:           8
        .value_kind:     by_value
      - .offset:         104
        .size:           4
        .value_kind:     by_value
    .group_segment_fixed_size: 4096
    .kernarg_segment_align: 8
    .kernarg_segment_size: 108
    .language:       OpenCL C
    .language_version:
      - 2
      - 0
    .max_flat_workgroup_size: 256
    .name:           _ZL37rocblas_syrkx_herkx_restricted_kernelIldLi16ELi32ELi8ELb1ELb0ELc78ELc85EKPKdKPdEviT_T0_PT8_S5_lS8_S5_lS6_PT9_S5_li
    .private_segment_fixed_size: 0
    .sgpr_count:     24
    .sgpr_spill_count: 0
    .symbol:         _ZL37rocblas_syrkx_herkx_restricted_kernelIldLi16ELi32ELi8ELb1ELb0ELc78ELc85EKPKdKPdEviT_T0_PT8_S5_lS8_S5_lS6_PT9_S5_li.kd
    .uniform_work_group_size: 1
    .uses_dynamic_stack: false
    .vgpr_count:     38
    .vgpr_spill_count: 0
    .wavefront_size: 32
    .workgroup_processor_mode: 1
  - .args:
      - .offset:         0
        .size:           4
        .value_kind:     by_value
      - .offset:         8
        .size:           8
        .value_kind:     by_value
      - .offset:         16
        .size:           8
        .value_kind:     by_value
      - .address_space:  global
        .offset:         24
        .size:           8
        .value_kind:     global_buffer
      - .offset:         32
        .size:           8
        .value_kind:     by_value
      - .offset:         40
        .size:           8
        .value_kind:     by_value
      - .address_space:  global
        .offset:         48
        .size:           8
        .value_kind:     global_buffer
      - .offset:         56
        .size:           8
        .value_kind:     by_value
      - .offset:         64
        .size:           8
        .value_kind:     by_value
      - .offset:         72
        .size:           8
        .value_kind:     by_value
      - .address_space:  global
        .offset:         80
        .size:           8
        .value_kind:     global_buffer
      - .offset:         88
        .size:           8
        .value_kind:     by_value
      - .offset:         96
        .size:           8
        .value_kind:     by_value
      - .offset:         104
        .size:           4
        .value_kind:     by_value
    .group_segment_fixed_size: 4096
    .kernarg_segment_align: 8
    .kernarg_segment_size: 108
    .language:       OpenCL C
    .language_version:
      - 2
      - 0
    .max_flat_workgroup_size: 256
    .name:           _ZL37rocblas_syrkx_herkx_restricted_kernelIldLi16ELi32ELi8ELb0ELb0ELc84ELc76EKPKdKPdEviT_T0_PT8_S5_lS8_S5_lS6_PT9_S5_li
    .private_segment_fixed_size: 0
    .sgpr_count:     26
    .sgpr_spill_count: 0
    .symbol:         _ZL37rocblas_syrkx_herkx_restricted_kernelIldLi16ELi32ELi8ELb0ELb0ELc84ELc76EKPKdKPdEviT_T0_PT8_S5_lS8_S5_lS6_PT9_S5_li.kd
    .uniform_work_group_size: 1
    .uses_dynamic_stack: false
    .vgpr_count:     38
    .vgpr_spill_count: 0
    .wavefront_size: 32
    .workgroup_processor_mode: 1
  - .args:
      - .offset:         0
        .size:           4
        .value_kind:     by_value
      - .offset:         8
        .size:           8
        .value_kind:     by_value
      - .offset:         16
        .size:           8
        .value_kind:     by_value
      - .address_space:  global
        .offset:         24
        .size:           8
        .value_kind:     global_buffer
      - .offset:         32
        .size:           8
        .value_kind:     by_value
      - .offset:         40
        .size:           8
        .value_kind:     by_value
      - .address_space:  global
        .offset:         48
        .size:           8
        .value_kind:     global_buffer
      - .offset:         56
        .size:           8
        .value_kind:     by_value
      - .offset:         64
        .size:           8
        .value_kind:     by_value
      - .offset:         72
        .size:           8
        .value_kind:     by_value
      - .address_space:  global
        .offset:         80
        .size:           8
        .value_kind:     global_buffer
      - .offset:         88
        .size:           8
        .value_kind:     by_value
      - .offset:         96
        .size:           8
        .value_kind:     by_value
      - .offset:         104
        .size:           4
        .value_kind:     by_value
    .group_segment_fixed_size: 4096
    .kernarg_segment_align: 8
    .kernarg_segment_size: 108
    .language:       OpenCL C
    .language_version:
      - 2
      - 0
    .max_flat_workgroup_size: 256
    .name:           _ZL37rocblas_syrkx_herkx_restricted_kernelIldLi16ELi32ELi8ELb0ELb0ELc67ELc76EKPKdKPdEviT_T0_PT8_S5_lS8_S5_lS6_PT9_S5_li
    .private_segment_fixed_size: 0
    .sgpr_count:     26
    .sgpr_spill_count: 0
    .symbol:         _ZL37rocblas_syrkx_herkx_restricted_kernelIldLi16ELi32ELi8ELb0ELb0ELc67ELc76EKPKdKPdEviT_T0_PT8_S5_lS8_S5_lS6_PT9_S5_li.kd
    .uniform_work_group_size: 1
    .uses_dynamic_stack: false
    .vgpr_count:     38
    .vgpr_spill_count: 0
    .wavefront_size: 32
    .workgroup_processor_mode: 1
  - .args:
      - .offset:         0
        .size:           4
        .value_kind:     by_value
      - .offset:         8
        .size:           8
        .value_kind:     by_value
      - .offset:         16
        .size:           8
        .value_kind:     by_value
      - .address_space:  global
        .offset:         24
        .size:           8
        .value_kind:     global_buffer
      - .offset:         32
        .size:           8
        .value_kind:     by_value
      - .offset:         40
        .size:           8
        .value_kind:     by_value
      - .address_space:  global
        .offset:         48
        .size:           8
        .value_kind:     global_buffer
      - .offset:         56
        .size:           8
        .value_kind:     by_value
      - .offset:         64
        .size:           8
        .value_kind:     by_value
      - .offset:         72
        .size:           8
        .value_kind:     by_value
      - .address_space:  global
        .offset:         80
        .size:           8
        .value_kind:     global_buffer
      - .offset:         88
        .size:           8
        .value_kind:     by_value
      - .offset:         96
        .size:           8
        .value_kind:     by_value
      - .offset:         104
        .size:           4
        .value_kind:     by_value
    .group_segment_fixed_size: 4096
    .kernarg_segment_align: 8
    .kernarg_segment_size: 108
    .language:       OpenCL C
    .language_version:
      - 2
      - 0
    .max_flat_workgroup_size: 256
    .name:           _ZL37rocblas_syrkx_herkx_restricted_kernelIldLi16ELi32ELi8ELb0ELb0ELc78ELc76EKPKdKPdEviT_T0_PT8_S5_lS8_S5_lS6_PT9_S5_li
    .private_segment_fixed_size: 0
    .sgpr_count:     26
    .sgpr_spill_count: 0
    .symbol:         _ZL37rocblas_syrkx_herkx_restricted_kernelIldLi16ELi32ELi8ELb0ELb0ELc78ELc76EKPKdKPdEviT_T0_PT8_S5_lS8_S5_lS6_PT9_S5_li.kd
    .uniform_work_group_size: 1
    .uses_dynamic_stack: false
    .vgpr_count:     38
    .vgpr_spill_count: 0
    .wavefront_size: 32
    .workgroup_processor_mode: 1
  - .args:
      - .offset:         0
        .size:           4
        .value_kind:     by_value
      - .offset:         8
        .size:           8
        .value_kind:     by_value
      - .offset:         16
        .size:           8
        .value_kind:     by_value
      - .address_space:  global
        .offset:         24
        .size:           8
        .value_kind:     global_buffer
      - .offset:         32
        .size:           8
        .value_kind:     by_value
      - .offset:         40
        .size:           8
        .value_kind:     by_value
      - .address_space:  global
        .offset:         48
        .size:           8
        .value_kind:     global_buffer
      - .offset:         56
        .size:           8
        .value_kind:     by_value
      - .offset:         64
        .size:           8
        .value_kind:     by_value
      - .offset:         72
        .size:           8
        .value_kind:     by_value
      - .address_space:  global
        .offset:         80
        .size:           8
        .value_kind:     global_buffer
      - .offset:         88
        .size:           8
        .value_kind:     by_value
      - .offset:         96
        .size:           8
        .value_kind:     by_value
      - .offset:         104
        .size:           4
        .value_kind:     by_value
    .group_segment_fixed_size: 4096
    .kernarg_segment_align: 8
    .kernarg_segment_size: 108
    .language:       OpenCL C
    .language_version:
      - 2
      - 0
    .max_flat_workgroup_size: 256
    .name:           _ZL37rocblas_syrkx_herkx_restricted_kernelIldLi16ELi32ELi8ELb0ELb0ELc84ELc85EKPKdKPdEviT_T0_PT8_S5_lS8_S5_lS6_PT9_S5_li
    .private_segment_fixed_size: 0
    .sgpr_count:     26
    .sgpr_spill_count: 0
    .symbol:         _ZL37rocblas_syrkx_herkx_restricted_kernelIldLi16ELi32ELi8ELb0ELb0ELc84ELc85EKPKdKPdEviT_T0_PT8_S5_lS8_S5_lS6_PT9_S5_li.kd
    .uniform_work_group_size: 1
    .uses_dynamic_stack: false
    .vgpr_count:     38
    .vgpr_spill_count: 0
    .wavefront_size: 32
    .workgroup_processor_mode: 1
  - .args:
      - .offset:         0
        .size:           4
        .value_kind:     by_value
      - .offset:         8
        .size:           8
        .value_kind:     by_value
      - .offset:         16
        .size:           8
        .value_kind:     by_value
      - .address_space:  global
        .offset:         24
        .size:           8
        .value_kind:     global_buffer
      - .offset:         32
        .size:           8
        .value_kind:     by_value
      - .offset:         40
        .size:           8
        .value_kind:     by_value
      - .address_space:  global
        .offset:         48
        .size:           8
        .value_kind:     global_buffer
      - .offset:         56
        .size:           8
        .value_kind:     by_value
      - .offset:         64
        .size:           8
        .value_kind:     by_value
      - .offset:         72
        .size:           8
        .value_kind:     by_value
      - .address_space:  global
        .offset:         80
        .size:           8
        .value_kind:     global_buffer
      - .offset:         88
        .size:           8
        .value_kind:     by_value
      - .offset:         96
        .size:           8
        .value_kind:     by_value
      - .offset:         104
        .size:           4
        .value_kind:     by_value
    .group_segment_fixed_size: 4096
    .kernarg_segment_align: 8
    .kernarg_segment_size: 108
    .language:       OpenCL C
    .language_version:
      - 2
      - 0
    .max_flat_workgroup_size: 256
    .name:           _ZL37rocblas_syrkx_herkx_restricted_kernelIldLi16ELi32ELi8ELb0ELb0ELc67ELc85EKPKdKPdEviT_T0_PT8_S5_lS8_S5_lS6_PT9_S5_li
    .private_segment_fixed_size: 0
    .sgpr_count:     26
    .sgpr_spill_count: 0
    .symbol:         _ZL37rocblas_syrkx_herkx_restricted_kernelIldLi16ELi32ELi8ELb0ELb0ELc67ELc85EKPKdKPdEviT_T0_PT8_S5_lS8_S5_lS6_PT9_S5_li.kd
    .uniform_work_group_size: 1
    .uses_dynamic_stack: false
    .vgpr_count:     38
    .vgpr_spill_count: 0
    .wavefront_size: 32
    .workgroup_processor_mode: 1
  - .args:
      - .offset:         0
        .size:           4
        .value_kind:     by_value
      - .offset:         8
        .size:           8
        .value_kind:     by_value
      - .offset:         16
        .size:           8
        .value_kind:     by_value
      - .address_space:  global
        .offset:         24
        .size:           8
        .value_kind:     global_buffer
      - .offset:         32
        .size:           8
        .value_kind:     by_value
      - .offset:         40
        .size:           8
        .value_kind:     by_value
      - .address_space:  global
        .offset:         48
        .size:           8
        .value_kind:     global_buffer
      - .offset:         56
        .size:           8
        .value_kind:     by_value
      - .offset:         64
        .size:           8
        .value_kind:     by_value
      - .offset:         72
        .size:           8
        .value_kind:     by_value
      - .address_space:  global
        .offset:         80
        .size:           8
        .value_kind:     global_buffer
      - .offset:         88
        .size:           8
        .value_kind:     by_value
      - .offset:         96
        .size:           8
        .value_kind:     by_value
      - .offset:         104
        .size:           4
        .value_kind:     by_value
    .group_segment_fixed_size: 4096
    .kernarg_segment_align: 8
    .kernarg_segment_size: 108
    .language:       OpenCL C
    .language_version:
      - 2
      - 0
    .max_flat_workgroup_size: 256
    .name:           _ZL37rocblas_syrkx_herkx_restricted_kernelIldLi16ELi32ELi8ELb0ELb0ELc78ELc85EKPKdKPdEviT_T0_PT8_S5_lS8_S5_lS6_PT9_S5_li
    .private_segment_fixed_size: 0
    .sgpr_count:     26
    .sgpr_spill_count: 0
    .symbol:         _ZL37rocblas_syrkx_herkx_restricted_kernelIldLi16ELi32ELi8ELb0ELb0ELc78ELc85EKPKdKPdEviT_T0_PT8_S5_lS8_S5_lS6_PT9_S5_li.kd
    .uniform_work_group_size: 1
    .uses_dynamic_stack: false
    .vgpr_count:     38
    .vgpr_spill_count: 0
    .wavefront_size: 32
    .workgroup_processor_mode: 1
  - .args:
      - .offset:         0
        .size:           4
        .value_kind:     by_value
      - .offset:         8
        .size:           8
        .value_kind:     by_value
      - .offset:         16
        .size:           8
        .value_kind:     by_value
      - .address_space:  global
        .offset:         24
        .size:           8
        .value_kind:     global_buffer
      - .offset:         32
        .size:           8
        .value_kind:     by_value
      - .offset:         40
        .size:           8
        .value_kind:     by_value
      - .address_space:  global
        .offset:         48
        .size:           8
        .value_kind:     global_buffer
      - .offset:         56
        .size:           8
        .value_kind:     by_value
      - .offset:         64
        .size:           8
        .value_kind:     by_value
      - .offset:         72
        .size:           8
        .value_kind:     by_value
      - .address_space:  global
        .offset:         80
        .size:           8
        .value_kind:     global_buffer
      - .offset:         88
        .size:           8
        .value_kind:     by_value
      - .offset:         96
        .size:           8
        .value_kind:     by_value
      - .offset:         104
        .size:           4
        .value_kind:     by_value
    .group_segment_fixed_size: 4096
    .kernarg_segment_align: 8
    .kernarg_segment_size: 108
    .language:       OpenCL C
    .language_version:
      - 2
      - 0
    .max_flat_workgroup_size: 256
    .name:           _ZL41rocblas_syrkx_herkx_small_restrict_kernelIldLi16ELb1ELb0ELc84ELc76EKPKdKPdEviT_T0_PT6_S5_lS8_S5_lS6_PT7_S5_li
    .private_segment_fixed_size: 0
    .sgpr_count:     24
    .sgpr_spill_count: 0
    .symbol:         _ZL41rocblas_syrkx_herkx_small_restrict_kernelIldLi16ELb1ELb0ELc84ELc76EKPKdKPdEviT_T0_PT6_S5_lS8_S5_lS6_PT7_S5_li.kd
    .uniform_work_group_size: 1
    .uses_dynamic_stack: false
    .vgpr_count:     26
    .vgpr_spill_count: 0
    .wavefront_size: 32
    .workgroup_processor_mode: 1
  - .args:
      - .offset:         0
        .size:           4
        .value_kind:     by_value
      - .offset:         8
        .size:           8
        .value_kind:     by_value
      - .offset:         16
        .size:           8
        .value_kind:     by_value
      - .address_space:  global
        .offset:         24
        .size:           8
        .value_kind:     global_buffer
      - .offset:         32
        .size:           8
        .value_kind:     by_value
      - .offset:         40
        .size:           8
        .value_kind:     by_value
      - .address_space:  global
        .offset:         48
        .size:           8
        .value_kind:     global_buffer
      - .offset:         56
        .size:           8
        .value_kind:     by_value
      - .offset:         64
        .size:           8
        .value_kind:     by_value
      - .offset:         72
        .size:           8
        .value_kind:     by_value
      - .address_space:  global
        .offset:         80
        .size:           8
        .value_kind:     global_buffer
      - .offset:         88
        .size:           8
        .value_kind:     by_value
      - .offset:         96
        .size:           8
        .value_kind:     by_value
      - .offset:         104
        .size:           4
        .value_kind:     by_value
    .group_segment_fixed_size: 4096
    .kernarg_segment_align: 8
    .kernarg_segment_size: 108
    .language:       OpenCL C
    .language_version:
      - 2
      - 0
    .max_flat_workgroup_size: 256
    .name:           _ZL41rocblas_syrkx_herkx_small_restrict_kernelIldLi16ELb1ELb0ELc67ELc76EKPKdKPdEviT_T0_PT6_S5_lS8_S5_lS6_PT7_S5_li
    .private_segment_fixed_size: 0
    .sgpr_count:     24
    .sgpr_spill_count: 0
    .symbol:         _ZL41rocblas_syrkx_herkx_small_restrict_kernelIldLi16ELb1ELb0ELc67ELc76EKPKdKPdEviT_T0_PT6_S5_lS8_S5_lS6_PT7_S5_li.kd
    .uniform_work_group_size: 1
    .uses_dynamic_stack: false
    .vgpr_count:     26
    .vgpr_spill_count: 0
    .wavefront_size: 32
    .workgroup_processor_mode: 1
  - .args:
      - .offset:         0
        .size:           4
        .value_kind:     by_value
      - .offset:         8
        .size:           8
        .value_kind:     by_value
      - .offset:         16
        .size:           8
        .value_kind:     by_value
      - .address_space:  global
        .offset:         24
        .size:           8
        .value_kind:     global_buffer
      - .offset:         32
        .size:           8
        .value_kind:     by_value
      - .offset:         40
        .size:           8
        .value_kind:     by_value
      - .address_space:  global
        .offset:         48
        .size:           8
        .value_kind:     global_buffer
      - .offset:         56
        .size:           8
        .value_kind:     by_value
      - .offset:         64
        .size:           8
        .value_kind:     by_value
      - .offset:         72
        .size:           8
        .value_kind:     by_value
      - .address_space:  global
        .offset:         80
        .size:           8
        .value_kind:     global_buffer
      - .offset:         88
        .size:           8
        .value_kind:     by_value
      - .offset:         96
        .size:           8
        .value_kind:     by_value
      - .offset:         104
        .size:           4
        .value_kind:     by_value
    .group_segment_fixed_size: 4096
    .kernarg_segment_align: 8
    .kernarg_segment_size: 108
    .language:       OpenCL C
    .language_version:
      - 2
      - 0
    .max_flat_workgroup_size: 256
    .name:           _ZL41rocblas_syrkx_herkx_small_restrict_kernelIldLi16ELb1ELb0ELc78ELc76EKPKdKPdEviT_T0_PT6_S5_lS8_S5_lS6_PT7_S5_li
    .private_segment_fixed_size: 0
    .sgpr_count:     24
    .sgpr_spill_count: 0
    .symbol:         _ZL41rocblas_syrkx_herkx_small_restrict_kernelIldLi16ELb1ELb0ELc78ELc76EKPKdKPdEviT_T0_PT6_S5_lS8_S5_lS6_PT7_S5_li.kd
    .uniform_work_group_size: 1
    .uses_dynamic_stack: false
    .vgpr_count:     26
    .vgpr_spill_count: 0
    .wavefront_size: 32
    .workgroup_processor_mode: 1
  - .args:
      - .offset:         0
        .size:           4
        .value_kind:     by_value
      - .offset:         8
        .size:           8
        .value_kind:     by_value
      - .offset:         16
        .size:           8
        .value_kind:     by_value
      - .address_space:  global
        .offset:         24
        .size:           8
        .value_kind:     global_buffer
      - .offset:         32
        .size:           8
        .value_kind:     by_value
      - .offset:         40
        .size:           8
        .value_kind:     by_value
      - .address_space:  global
        .offset:         48
        .size:           8
        .value_kind:     global_buffer
      - .offset:         56
        .size:           8
        .value_kind:     by_value
      - .offset:         64
        .size:           8
        .value_kind:     by_value
      - .offset:         72
        .size:           8
        .value_kind:     by_value
      - .address_space:  global
        .offset:         80
        .size:           8
        .value_kind:     global_buffer
      - .offset:         88
        .size:           8
        .value_kind:     by_value
      - .offset:         96
        .size:           8
        .value_kind:     by_value
      - .offset:         104
        .size:           4
        .value_kind:     by_value
    .group_segment_fixed_size: 4096
    .kernarg_segment_align: 8
    .kernarg_segment_size: 108
    .language:       OpenCL C
    .language_version:
      - 2
      - 0
    .max_flat_workgroup_size: 256
    .name:           _ZL41rocblas_syrkx_herkx_small_restrict_kernelIldLi16ELb1ELb0ELc84ELc85EKPKdKPdEviT_T0_PT6_S5_lS8_S5_lS6_PT7_S5_li
    .private_segment_fixed_size: 0
    .sgpr_count:     24
    .sgpr_spill_count: 0
    .symbol:         _ZL41rocblas_syrkx_herkx_small_restrict_kernelIldLi16ELb1ELb0ELc84ELc85EKPKdKPdEviT_T0_PT6_S5_lS8_S5_lS6_PT7_S5_li.kd
    .uniform_work_group_size: 1
    .uses_dynamic_stack: false
    .vgpr_count:     26
    .vgpr_spill_count: 0
    .wavefront_size: 32
    .workgroup_processor_mode: 1
  - .args:
      - .offset:         0
        .size:           4
        .value_kind:     by_value
      - .offset:         8
        .size:           8
        .value_kind:     by_value
      - .offset:         16
        .size:           8
        .value_kind:     by_value
      - .address_space:  global
        .offset:         24
        .size:           8
        .value_kind:     global_buffer
      - .offset:         32
        .size:           8
        .value_kind:     by_value
      - .offset:         40
        .size:           8
        .value_kind:     by_value
      - .address_space:  global
        .offset:         48
        .size:           8
        .value_kind:     global_buffer
      - .offset:         56
        .size:           8
        .value_kind:     by_value
      - .offset:         64
        .size:           8
        .value_kind:     by_value
      - .offset:         72
        .size:           8
        .value_kind:     by_value
      - .address_space:  global
        .offset:         80
        .size:           8
        .value_kind:     global_buffer
      - .offset:         88
        .size:           8
        .value_kind:     by_value
      - .offset:         96
        .size:           8
        .value_kind:     by_value
      - .offset:         104
        .size:           4
        .value_kind:     by_value
    .group_segment_fixed_size: 4096
    .kernarg_segment_align: 8
    .kernarg_segment_size: 108
    .language:       OpenCL C
    .language_version:
      - 2
      - 0
    .max_flat_workgroup_size: 256
    .name:           _ZL41rocblas_syrkx_herkx_small_restrict_kernelIldLi16ELb1ELb0ELc67ELc85EKPKdKPdEviT_T0_PT6_S5_lS8_S5_lS6_PT7_S5_li
    .private_segment_fixed_size: 0
    .sgpr_count:     24
    .sgpr_spill_count: 0
    .symbol:         _ZL41rocblas_syrkx_herkx_small_restrict_kernelIldLi16ELb1ELb0ELc67ELc85EKPKdKPdEviT_T0_PT6_S5_lS8_S5_lS6_PT7_S5_li.kd
    .uniform_work_group_size: 1
    .uses_dynamic_stack: false
    .vgpr_count:     26
    .vgpr_spill_count: 0
    .wavefront_size: 32
    .workgroup_processor_mode: 1
  - .args:
      - .offset:         0
        .size:           4
        .value_kind:     by_value
      - .offset:         8
        .size:           8
        .value_kind:     by_value
      - .offset:         16
        .size:           8
        .value_kind:     by_value
      - .address_space:  global
        .offset:         24
        .size:           8
        .value_kind:     global_buffer
      - .offset:         32
        .size:           8
        .value_kind:     by_value
      - .offset:         40
        .size:           8
        .value_kind:     by_value
      - .address_space:  global
        .offset:         48
        .size:           8
        .value_kind:     global_buffer
      - .offset:         56
        .size:           8
        .value_kind:     by_value
      - .offset:         64
        .size:           8
        .value_kind:     by_value
      - .offset:         72
        .size:           8
        .value_kind:     by_value
      - .address_space:  global
        .offset:         80
        .size:           8
        .value_kind:     global_buffer
      - .offset:         88
        .size:           8
        .value_kind:     by_value
      - .offset:         96
        .size:           8
        .value_kind:     by_value
      - .offset:         104
        .size:           4
        .value_kind:     by_value
    .group_segment_fixed_size: 4096
    .kernarg_segment_align: 8
    .kernarg_segment_size: 108
    .language:       OpenCL C
    .language_version:
      - 2
      - 0
    .max_flat_workgroup_size: 256
    .name:           _ZL41rocblas_syrkx_herkx_small_restrict_kernelIldLi16ELb1ELb0ELc78ELc85EKPKdKPdEviT_T0_PT6_S5_lS8_S5_lS6_PT7_S5_li
    .private_segment_fixed_size: 0
    .sgpr_count:     24
    .sgpr_spill_count: 0
    .symbol:         _ZL41rocblas_syrkx_herkx_small_restrict_kernelIldLi16ELb1ELb0ELc78ELc85EKPKdKPdEviT_T0_PT6_S5_lS8_S5_lS6_PT7_S5_li.kd
    .uniform_work_group_size: 1
    .uses_dynamic_stack: false
    .vgpr_count:     26
    .vgpr_spill_count: 0
    .wavefront_size: 32
    .workgroup_processor_mode: 1
  - .args:
      - .offset:         0
        .size:           4
        .value_kind:     by_value
      - .offset:         8
        .size:           8
        .value_kind:     by_value
      - .offset:         16
        .size:           8
        .value_kind:     by_value
      - .address_space:  global
        .offset:         24
        .size:           8
        .value_kind:     global_buffer
      - .offset:         32
        .size:           8
        .value_kind:     by_value
      - .offset:         40
        .size:           8
        .value_kind:     by_value
      - .address_space:  global
        .offset:         48
        .size:           8
        .value_kind:     global_buffer
      - .offset:         56
        .size:           8
        .value_kind:     by_value
      - .offset:         64
        .size:           8
        .value_kind:     by_value
      - .offset:         72
        .size:           8
        .value_kind:     by_value
      - .address_space:  global
        .offset:         80
        .size:           8
        .value_kind:     global_buffer
      - .offset:         88
        .size:           8
        .value_kind:     by_value
      - .offset:         96
        .size:           8
        .value_kind:     by_value
      - .offset:         104
        .size:           4
        .value_kind:     by_value
    .group_segment_fixed_size: 4096
    .kernarg_segment_align: 8
    .kernarg_segment_size: 108
    .language:       OpenCL C
    .language_version:
      - 2
      - 0
    .max_flat_workgroup_size: 256
    .name:           _ZL41rocblas_syrkx_herkx_small_restrict_kernelIldLi16ELb0ELb0ELc84ELc76EKPKdKPdEviT_T0_PT6_S5_lS8_S5_lS6_PT7_S5_li
    .private_segment_fixed_size: 0
    .sgpr_count:     24
    .sgpr_spill_count: 0
    .symbol:         _ZL41rocblas_syrkx_herkx_small_restrict_kernelIldLi16ELb0ELb0ELc84ELc76EKPKdKPdEviT_T0_PT6_S5_lS8_S5_lS6_PT7_S5_li.kd
    .uniform_work_group_size: 1
    .uses_dynamic_stack: false
    .vgpr_count:     26
    .vgpr_spill_count: 0
    .wavefront_size: 32
    .workgroup_processor_mode: 1
  - .args:
      - .offset:         0
        .size:           4
        .value_kind:     by_value
      - .offset:         8
        .size:           8
        .value_kind:     by_value
      - .offset:         16
        .size:           8
        .value_kind:     by_value
      - .address_space:  global
        .offset:         24
        .size:           8
        .value_kind:     global_buffer
      - .offset:         32
        .size:           8
        .value_kind:     by_value
      - .offset:         40
        .size:           8
        .value_kind:     by_value
      - .address_space:  global
        .offset:         48
        .size:           8
        .value_kind:     global_buffer
      - .offset:         56
        .size:           8
        .value_kind:     by_value
      - .offset:         64
        .size:           8
        .value_kind:     by_value
      - .offset:         72
        .size:           8
        .value_kind:     by_value
      - .address_space:  global
        .offset:         80
        .size:           8
        .value_kind:     global_buffer
      - .offset:         88
        .size:           8
        .value_kind:     by_value
      - .offset:         96
        .size:           8
        .value_kind:     by_value
      - .offset:         104
        .size:           4
        .value_kind:     by_value
    .group_segment_fixed_size: 4096
    .kernarg_segment_align: 8
    .kernarg_segment_size: 108
    .language:       OpenCL C
    .language_version:
      - 2
      - 0
    .max_flat_workgroup_size: 256
    .name:           _ZL41rocblas_syrkx_herkx_small_restrict_kernelIldLi16ELb0ELb0ELc67ELc76EKPKdKPdEviT_T0_PT6_S5_lS8_S5_lS6_PT7_S5_li
    .private_segment_fixed_size: 0
    .sgpr_count:     24
    .sgpr_spill_count: 0
    .symbol:         _ZL41rocblas_syrkx_herkx_small_restrict_kernelIldLi16ELb0ELb0ELc67ELc76EKPKdKPdEviT_T0_PT6_S5_lS8_S5_lS6_PT7_S5_li.kd
    .uniform_work_group_size: 1
    .uses_dynamic_stack: false
    .vgpr_count:     26
    .vgpr_spill_count: 0
    .wavefront_size: 32
    .workgroup_processor_mode: 1
  - .args:
      - .offset:         0
        .size:           4
        .value_kind:     by_value
      - .offset:         8
        .size:           8
        .value_kind:     by_value
      - .offset:         16
        .size:           8
        .value_kind:     by_value
      - .address_space:  global
        .offset:         24
        .size:           8
        .value_kind:     global_buffer
      - .offset:         32
        .size:           8
        .value_kind:     by_value
      - .offset:         40
        .size:           8
        .value_kind:     by_value
      - .address_space:  global
        .offset:         48
        .size:           8
        .value_kind:     global_buffer
      - .offset:         56
        .size:           8
        .value_kind:     by_value
      - .offset:         64
        .size:           8
        .value_kind:     by_value
      - .offset:         72
        .size:           8
        .value_kind:     by_value
      - .address_space:  global
        .offset:         80
        .size:           8
        .value_kind:     global_buffer
      - .offset:         88
        .size:           8
        .value_kind:     by_value
      - .offset:         96
        .size:           8
        .value_kind:     by_value
      - .offset:         104
        .size:           4
        .value_kind:     by_value
    .group_segment_fixed_size: 4096
    .kernarg_segment_align: 8
    .kernarg_segment_size: 108
    .language:       OpenCL C
    .language_version:
      - 2
      - 0
    .max_flat_workgroup_size: 256
    .name:           _ZL41rocblas_syrkx_herkx_small_restrict_kernelIldLi16ELb0ELb0ELc78ELc76EKPKdKPdEviT_T0_PT6_S5_lS8_S5_lS6_PT7_S5_li
    .private_segment_fixed_size: 0
    .sgpr_count:     26
    .sgpr_spill_count: 0
    .symbol:         _ZL41rocblas_syrkx_herkx_small_restrict_kernelIldLi16ELb0ELb0ELc78ELc76EKPKdKPdEviT_T0_PT6_S5_lS8_S5_lS6_PT7_S5_li.kd
    .uniform_work_group_size: 1
    .uses_dynamic_stack: false
    .vgpr_count:     26
    .vgpr_spill_count: 0
    .wavefront_size: 32
    .workgroup_processor_mode: 1
  - .args:
      - .offset:         0
        .size:           4
        .value_kind:     by_value
      - .offset:         8
        .size:           8
        .value_kind:     by_value
      - .offset:         16
        .size:           8
        .value_kind:     by_value
      - .address_space:  global
        .offset:         24
        .size:           8
        .value_kind:     global_buffer
      - .offset:         32
        .size:           8
        .value_kind:     by_value
      - .offset:         40
        .size:           8
        .value_kind:     by_value
      - .address_space:  global
        .offset:         48
        .size:           8
        .value_kind:     global_buffer
      - .offset:         56
        .size:           8
        .value_kind:     by_value
      - .offset:         64
        .size:           8
        .value_kind:     by_value
      - .offset:         72
        .size:           8
        .value_kind:     by_value
      - .address_space:  global
        .offset:         80
        .size:           8
        .value_kind:     global_buffer
      - .offset:         88
        .size:           8
        .value_kind:     by_value
      - .offset:         96
        .size:           8
        .value_kind:     by_value
      - .offset:         104
        .size:           4
        .value_kind:     by_value
    .group_segment_fixed_size: 4096
    .kernarg_segment_align: 8
    .kernarg_segment_size: 108
    .language:       OpenCL C
    .language_version:
      - 2
      - 0
    .max_flat_workgroup_size: 256
    .name:           _ZL41rocblas_syrkx_herkx_small_restrict_kernelIldLi16ELb0ELb0ELc84ELc85EKPKdKPdEviT_T0_PT6_S5_lS8_S5_lS6_PT7_S5_li
    .private_segment_fixed_size: 0
    .sgpr_count:     24
    .sgpr_spill_count: 0
    .symbol:         _ZL41rocblas_syrkx_herkx_small_restrict_kernelIldLi16ELb0ELb0ELc84ELc85EKPKdKPdEviT_T0_PT6_S5_lS8_S5_lS6_PT7_S5_li.kd
    .uniform_work_group_size: 1
    .uses_dynamic_stack: false
    .vgpr_count:     26
    .vgpr_spill_count: 0
    .wavefront_size: 32
    .workgroup_processor_mode: 1
  - .args:
      - .offset:         0
        .size:           4
        .value_kind:     by_value
      - .offset:         8
        .size:           8
        .value_kind:     by_value
      - .offset:         16
        .size:           8
        .value_kind:     by_value
      - .address_space:  global
        .offset:         24
        .size:           8
        .value_kind:     global_buffer
      - .offset:         32
        .size:           8
        .value_kind:     by_value
      - .offset:         40
        .size:           8
        .value_kind:     by_value
      - .address_space:  global
        .offset:         48
        .size:           8
        .value_kind:     global_buffer
      - .offset:         56
        .size:           8
        .value_kind:     by_value
      - .offset:         64
        .size:           8
        .value_kind:     by_value
      - .offset:         72
        .size:           8
        .value_kind:     by_value
      - .address_space:  global
        .offset:         80
        .size:           8
        .value_kind:     global_buffer
      - .offset:         88
        .size:           8
        .value_kind:     by_value
      - .offset:         96
        .size:           8
        .value_kind:     by_value
      - .offset:         104
        .size:           4
        .value_kind:     by_value
    .group_segment_fixed_size: 4096
    .kernarg_segment_align: 8
    .kernarg_segment_size: 108
    .language:       OpenCL C
    .language_version:
      - 2
      - 0
    .max_flat_workgroup_size: 256
    .name:           _ZL41rocblas_syrkx_herkx_small_restrict_kernelIldLi16ELb0ELb0ELc67ELc85EKPKdKPdEviT_T0_PT6_S5_lS8_S5_lS6_PT7_S5_li
    .private_segment_fixed_size: 0
    .sgpr_count:     24
    .sgpr_spill_count: 0
    .symbol:         _ZL41rocblas_syrkx_herkx_small_restrict_kernelIldLi16ELb0ELb0ELc67ELc85EKPKdKPdEviT_T0_PT6_S5_lS8_S5_lS6_PT7_S5_li.kd
    .uniform_work_group_size: 1
    .uses_dynamic_stack: false
    .vgpr_count:     26
    .vgpr_spill_count: 0
    .wavefront_size: 32
    .workgroup_processor_mode: 1
  - .args:
      - .offset:         0
        .size:           4
        .value_kind:     by_value
      - .offset:         8
        .size:           8
        .value_kind:     by_value
      - .offset:         16
        .size:           8
        .value_kind:     by_value
      - .address_space:  global
        .offset:         24
        .size:           8
        .value_kind:     global_buffer
      - .offset:         32
        .size:           8
        .value_kind:     by_value
      - .offset:         40
        .size:           8
        .value_kind:     by_value
      - .address_space:  global
        .offset:         48
        .size:           8
        .value_kind:     global_buffer
      - .offset:         56
        .size:           8
        .value_kind:     by_value
      - .offset:         64
        .size:           8
        .value_kind:     by_value
      - .offset:         72
        .size:           8
        .value_kind:     by_value
      - .address_space:  global
        .offset:         80
        .size:           8
        .value_kind:     global_buffer
      - .offset:         88
        .size:           8
        .value_kind:     by_value
      - .offset:         96
        .size:           8
        .value_kind:     by_value
      - .offset:         104
        .size:           4
        .value_kind:     by_value
    .group_segment_fixed_size: 4096
    .kernarg_segment_align: 8
    .kernarg_segment_size: 108
    .language:       OpenCL C
    .language_version:
      - 2
      - 0
    .max_flat_workgroup_size: 256
    .name:           _ZL41rocblas_syrkx_herkx_small_restrict_kernelIldLi16ELb0ELb0ELc78ELc85EKPKdKPdEviT_T0_PT6_S5_lS8_S5_lS6_PT7_S5_li
    .private_segment_fixed_size: 0
    .sgpr_count:     26
    .sgpr_spill_count: 0
    .symbol:         _ZL41rocblas_syrkx_herkx_small_restrict_kernelIldLi16ELb0ELb0ELc78ELc85EKPKdKPdEviT_T0_PT6_S5_lS8_S5_lS6_PT7_S5_li.kd
    .uniform_work_group_size: 1
    .uses_dynamic_stack: false
    .vgpr_count:     26
    .vgpr_spill_count: 0
    .wavefront_size: 32
    .workgroup_processor_mode: 1
  - .args:
      - .offset:         0
        .size:           4
        .value_kind:     by_value
      - .offset:         8
        .size:           8
        .value_kind:     by_value
      - .offset:         16
        .size:           8
        .value_kind:     by_value
      - .address_space:  global
        .offset:         24
        .size:           8
        .value_kind:     global_buffer
      - .offset:         32
        .size:           8
        .value_kind:     by_value
      - .offset:         40
        .size:           8
        .value_kind:     by_value
      - .address_space:  global
        .offset:         48
        .size:           8
        .value_kind:     global_buffer
      - .offset:         56
        .size:           8
        .value_kind:     by_value
      - .offset:         64
        .size:           8
        .value_kind:     by_value
      - .offset:         72
        .size:           8
        .value_kind:     by_value
      - .address_space:  global
        .offset:         80
        .size:           8
        .value_kind:     global_buffer
      - .offset:         88
        .size:           8
        .value_kind:     by_value
      - .offset:         96
        .size:           8
        .value_kind:     by_value
      - .offset:         104
        .size:           4
        .value_kind:     by_value
    .group_segment_fixed_size: 4096
    .kernarg_segment_align: 8
    .kernarg_segment_size: 108
    .language:       OpenCL C
    .language_version:
      - 2
      - 0
    .max_flat_workgroup_size: 256
    .name:           _ZL32rocblas_syrkx_herkx_small_kernelIldLi16ELb1ELb0ELc84ELc76EKPKdKPdEviT_T0_PT6_S5_lS8_S5_lS6_PT7_S5_li
    .private_segment_fixed_size: 0
    .sgpr_count:     24
    .sgpr_spill_count: 0
    .symbol:         _ZL32rocblas_syrkx_herkx_small_kernelIldLi16ELb1ELb0ELc84ELc76EKPKdKPdEviT_T0_PT6_S5_lS8_S5_lS6_PT7_S5_li.kd
    .uniform_work_group_size: 1
    .uses_dynamic_stack: false
    .vgpr_count:     30
    .vgpr_spill_count: 0
    .wavefront_size: 32
    .workgroup_processor_mode: 1
  - .args:
      - .offset:         0
        .size:           4
        .value_kind:     by_value
      - .offset:         8
        .size:           8
        .value_kind:     by_value
      - .offset:         16
        .size:           8
        .value_kind:     by_value
      - .address_space:  global
        .offset:         24
        .size:           8
        .value_kind:     global_buffer
      - .offset:         32
        .size:           8
        .value_kind:     by_value
      - .offset:         40
        .size:           8
        .value_kind:     by_value
      - .address_space:  global
        .offset:         48
        .size:           8
        .value_kind:     global_buffer
      - .offset:         56
        .size:           8
        .value_kind:     by_value
      - .offset:         64
        .size:           8
        .value_kind:     by_value
      - .offset:         72
        .size:           8
        .value_kind:     by_value
      - .address_space:  global
        .offset:         80
        .size:           8
        .value_kind:     global_buffer
      - .offset:         88
        .size:           8
        .value_kind:     by_value
      - .offset:         96
        .size:           8
        .value_kind:     by_value
      - .offset:         104
        .size:           4
        .value_kind:     by_value
    .group_segment_fixed_size: 4096
    .kernarg_segment_align: 8
    .kernarg_segment_size: 108
    .language:       OpenCL C
    .language_version:
      - 2
      - 0
    .max_flat_workgroup_size: 256
    .name:           _ZL32rocblas_syrkx_herkx_small_kernelIldLi16ELb1ELb0ELc67ELc76EKPKdKPdEviT_T0_PT6_S5_lS8_S5_lS6_PT7_S5_li
    .private_segment_fixed_size: 0
    .sgpr_count:     24
    .sgpr_spill_count: 0
    .symbol:         _ZL32rocblas_syrkx_herkx_small_kernelIldLi16ELb1ELb0ELc67ELc76EKPKdKPdEviT_T0_PT6_S5_lS8_S5_lS6_PT7_S5_li.kd
    .uniform_work_group_size: 1
    .uses_dynamic_stack: false
    .vgpr_count:     30
    .vgpr_spill_count: 0
    .wavefront_size: 32
    .workgroup_processor_mode: 1
  - .args:
      - .offset:         0
        .size:           4
        .value_kind:     by_value
      - .offset:         8
        .size:           8
        .value_kind:     by_value
      - .offset:         16
        .size:           8
        .value_kind:     by_value
      - .address_space:  global
        .offset:         24
        .size:           8
        .value_kind:     global_buffer
      - .offset:         32
        .size:           8
        .value_kind:     by_value
      - .offset:         40
        .size:           8
        .value_kind:     by_value
      - .address_space:  global
        .offset:         48
        .size:           8
        .value_kind:     global_buffer
      - .offset:         56
        .size:           8
        .value_kind:     by_value
      - .offset:         64
        .size:           8
        .value_kind:     by_value
      - .offset:         72
        .size:           8
        .value_kind:     by_value
      - .address_space:  global
        .offset:         80
        .size:           8
        .value_kind:     global_buffer
      - .offset:         88
        .size:           8
        .value_kind:     by_value
      - .offset:         96
        .size:           8
        .value_kind:     by_value
      - .offset:         104
        .size:           4
        .value_kind:     by_value
    .group_segment_fixed_size: 4096
    .kernarg_segment_align: 8
    .kernarg_segment_size: 108
    .language:       OpenCL C
    .language_version:
      - 2
      - 0
    .max_flat_workgroup_size: 256
    .name:           _ZL32rocblas_syrkx_herkx_small_kernelIldLi16ELb1ELb0ELc78ELc76EKPKdKPdEviT_T0_PT6_S5_lS8_S5_lS6_PT7_S5_li
    .private_segment_fixed_size: 0
    .sgpr_count:     24
    .sgpr_spill_count: 0
    .symbol:         _ZL32rocblas_syrkx_herkx_small_kernelIldLi16ELb1ELb0ELc78ELc76EKPKdKPdEviT_T0_PT6_S5_lS8_S5_lS6_PT7_S5_li.kd
    .uniform_work_group_size: 1
    .uses_dynamic_stack: false
    .vgpr_count:     30
    .vgpr_spill_count: 0
    .wavefront_size: 32
    .workgroup_processor_mode: 1
  - .args:
      - .offset:         0
        .size:           4
        .value_kind:     by_value
      - .offset:         8
        .size:           8
        .value_kind:     by_value
      - .offset:         16
        .size:           8
        .value_kind:     by_value
      - .address_space:  global
        .offset:         24
        .size:           8
        .value_kind:     global_buffer
      - .offset:         32
        .size:           8
        .value_kind:     by_value
      - .offset:         40
        .size:           8
        .value_kind:     by_value
      - .address_space:  global
        .offset:         48
        .size:           8
        .value_kind:     global_buffer
      - .offset:         56
        .size:           8
        .value_kind:     by_value
      - .offset:         64
        .size:           8
        .value_kind:     by_value
      - .offset:         72
        .size:           8
        .value_kind:     by_value
      - .address_space:  global
        .offset:         80
        .size:           8
        .value_kind:     global_buffer
      - .offset:         88
        .size:           8
        .value_kind:     by_value
      - .offset:         96
        .size:           8
        .value_kind:     by_value
      - .offset:         104
        .size:           4
        .value_kind:     by_value
    .group_segment_fixed_size: 4096
    .kernarg_segment_align: 8
    .kernarg_segment_size: 108
    .language:       OpenCL C
    .language_version:
      - 2
      - 0
    .max_flat_workgroup_size: 256
    .name:           _ZL32rocblas_syrkx_herkx_small_kernelIldLi16ELb1ELb0ELc84ELc85EKPKdKPdEviT_T0_PT6_S5_lS8_S5_lS6_PT7_S5_li
    .private_segment_fixed_size: 0
    .sgpr_count:     24
    .sgpr_spill_count: 0
    .symbol:         _ZL32rocblas_syrkx_herkx_small_kernelIldLi16ELb1ELb0ELc84ELc85EKPKdKPdEviT_T0_PT6_S5_lS8_S5_lS6_PT7_S5_li.kd
    .uniform_work_group_size: 1
    .uses_dynamic_stack: false
    .vgpr_count:     30
    .vgpr_spill_count: 0
    .wavefront_size: 32
    .workgroup_processor_mode: 1
  - .args:
      - .offset:         0
        .size:           4
        .value_kind:     by_value
      - .offset:         8
        .size:           8
        .value_kind:     by_value
      - .offset:         16
        .size:           8
        .value_kind:     by_value
      - .address_space:  global
        .offset:         24
        .size:           8
        .value_kind:     global_buffer
      - .offset:         32
        .size:           8
        .value_kind:     by_value
      - .offset:         40
        .size:           8
        .value_kind:     by_value
      - .address_space:  global
        .offset:         48
        .size:           8
        .value_kind:     global_buffer
      - .offset:         56
        .size:           8
        .value_kind:     by_value
      - .offset:         64
        .size:           8
        .value_kind:     by_value
      - .offset:         72
        .size:           8
        .value_kind:     by_value
      - .address_space:  global
        .offset:         80
        .size:           8
        .value_kind:     global_buffer
      - .offset:         88
        .size:           8
        .value_kind:     by_value
      - .offset:         96
        .size:           8
        .value_kind:     by_value
      - .offset:         104
        .size:           4
        .value_kind:     by_value
    .group_segment_fixed_size: 4096
    .kernarg_segment_align: 8
    .kernarg_segment_size: 108
    .language:       OpenCL C
    .language_version:
      - 2
      - 0
    .max_flat_workgroup_size: 256
    .name:           _ZL32rocblas_syrkx_herkx_small_kernelIldLi16ELb1ELb0ELc67ELc85EKPKdKPdEviT_T0_PT6_S5_lS8_S5_lS6_PT7_S5_li
    .private_segment_fixed_size: 0
    .sgpr_count:     24
    .sgpr_spill_count: 0
    .symbol:         _ZL32rocblas_syrkx_herkx_small_kernelIldLi16ELb1ELb0ELc67ELc85EKPKdKPdEviT_T0_PT6_S5_lS8_S5_lS6_PT7_S5_li.kd
    .uniform_work_group_size: 1
    .uses_dynamic_stack: false
    .vgpr_count:     30
    .vgpr_spill_count: 0
    .wavefront_size: 32
    .workgroup_processor_mode: 1
  - .args:
      - .offset:         0
        .size:           4
        .value_kind:     by_value
      - .offset:         8
        .size:           8
        .value_kind:     by_value
      - .offset:         16
        .size:           8
        .value_kind:     by_value
      - .address_space:  global
        .offset:         24
        .size:           8
        .value_kind:     global_buffer
      - .offset:         32
        .size:           8
        .value_kind:     by_value
      - .offset:         40
        .size:           8
        .value_kind:     by_value
      - .address_space:  global
        .offset:         48
        .size:           8
        .value_kind:     global_buffer
      - .offset:         56
        .size:           8
        .value_kind:     by_value
      - .offset:         64
        .size:           8
        .value_kind:     by_value
      - .offset:         72
        .size:           8
        .value_kind:     by_value
      - .address_space:  global
        .offset:         80
        .size:           8
        .value_kind:     global_buffer
      - .offset:         88
        .size:           8
        .value_kind:     by_value
      - .offset:         96
        .size:           8
        .value_kind:     by_value
      - .offset:         104
        .size:           4
        .value_kind:     by_value
    .group_segment_fixed_size: 4096
    .kernarg_segment_align: 8
    .kernarg_segment_size: 108
    .language:       OpenCL C
    .language_version:
      - 2
      - 0
    .max_flat_workgroup_size: 256
    .name:           _ZL32rocblas_syrkx_herkx_small_kernelIldLi16ELb1ELb0ELc78ELc85EKPKdKPdEviT_T0_PT6_S5_lS8_S5_lS6_PT7_S5_li
    .private_segment_fixed_size: 0
    .sgpr_count:     24
    .sgpr_spill_count: 0
    .symbol:         _ZL32rocblas_syrkx_herkx_small_kernelIldLi16ELb1ELb0ELc78ELc85EKPKdKPdEviT_T0_PT6_S5_lS8_S5_lS6_PT7_S5_li.kd
    .uniform_work_group_size: 1
    .uses_dynamic_stack: false
    .vgpr_count:     30
    .vgpr_spill_count: 0
    .wavefront_size: 32
    .workgroup_processor_mode: 1
  - .args:
      - .offset:         0
        .size:           4
        .value_kind:     by_value
      - .offset:         8
        .size:           8
        .value_kind:     by_value
      - .offset:         16
        .size:           8
        .value_kind:     by_value
      - .address_space:  global
        .offset:         24
        .size:           8
        .value_kind:     global_buffer
      - .offset:         32
        .size:           8
        .value_kind:     by_value
      - .offset:         40
        .size:           8
        .value_kind:     by_value
      - .address_space:  global
        .offset:         48
        .size:           8
        .value_kind:     global_buffer
      - .offset:         56
        .size:           8
        .value_kind:     by_value
      - .offset:         64
        .size:           8
        .value_kind:     by_value
      - .offset:         72
        .size:           8
        .value_kind:     by_value
      - .address_space:  global
        .offset:         80
        .size:           8
        .value_kind:     global_buffer
      - .offset:         88
        .size:           8
        .value_kind:     by_value
      - .offset:         96
        .size:           8
        .value_kind:     by_value
      - .offset:         104
        .size:           4
        .value_kind:     by_value
    .group_segment_fixed_size: 4096
    .kernarg_segment_align: 8
    .kernarg_segment_size: 108
    .language:       OpenCL C
    .language_version:
      - 2
      - 0
    .max_flat_workgroup_size: 256
    .name:           _ZL32rocblas_syrkx_herkx_small_kernelIldLi16ELb0ELb0ELc84ELc76EKPKdKPdEviT_T0_PT6_S5_lS8_S5_lS6_PT7_S5_li
    .private_segment_fixed_size: 0
    .sgpr_count:     26
    .sgpr_spill_count: 0
    .symbol:         _ZL32rocblas_syrkx_herkx_small_kernelIldLi16ELb0ELb0ELc84ELc76EKPKdKPdEviT_T0_PT6_S5_lS8_S5_lS6_PT7_S5_li.kd
    .uniform_work_group_size: 1
    .uses_dynamic_stack: false
    .vgpr_count:     30
    .vgpr_spill_count: 0
    .wavefront_size: 32
    .workgroup_processor_mode: 1
  - .args:
      - .offset:         0
        .size:           4
        .value_kind:     by_value
      - .offset:         8
        .size:           8
        .value_kind:     by_value
      - .offset:         16
        .size:           8
        .value_kind:     by_value
      - .address_space:  global
        .offset:         24
        .size:           8
        .value_kind:     global_buffer
      - .offset:         32
        .size:           8
        .value_kind:     by_value
      - .offset:         40
        .size:           8
        .value_kind:     by_value
      - .address_space:  global
        .offset:         48
        .size:           8
        .value_kind:     global_buffer
      - .offset:         56
        .size:           8
        .value_kind:     by_value
      - .offset:         64
        .size:           8
        .value_kind:     by_value
      - .offset:         72
        .size:           8
        .value_kind:     by_value
      - .address_space:  global
        .offset:         80
        .size:           8
        .value_kind:     global_buffer
      - .offset:         88
        .size:           8
        .value_kind:     by_value
      - .offset:         96
        .size:           8
        .value_kind:     by_value
      - .offset:         104
        .size:           4
        .value_kind:     by_value
    .group_segment_fixed_size: 4096
    .kernarg_segment_align: 8
    .kernarg_segment_size: 108
    .language:       OpenCL C
    .language_version:
      - 2
      - 0
    .max_flat_workgroup_size: 256
    .name:           _ZL32rocblas_syrkx_herkx_small_kernelIldLi16ELb0ELb0ELc67ELc76EKPKdKPdEviT_T0_PT6_S5_lS8_S5_lS6_PT7_S5_li
    .private_segment_fixed_size: 0
    .sgpr_count:     26
    .sgpr_spill_count: 0
    .symbol:         _ZL32rocblas_syrkx_herkx_small_kernelIldLi16ELb0ELb0ELc67ELc76EKPKdKPdEviT_T0_PT6_S5_lS8_S5_lS6_PT7_S5_li.kd
    .uniform_work_group_size: 1
    .uses_dynamic_stack: false
    .vgpr_count:     30
    .vgpr_spill_count: 0
    .wavefront_size: 32
    .workgroup_processor_mode: 1
  - .args:
      - .offset:         0
        .size:           4
        .value_kind:     by_value
      - .offset:         8
        .size:           8
        .value_kind:     by_value
      - .offset:         16
        .size:           8
        .value_kind:     by_value
      - .address_space:  global
        .offset:         24
        .size:           8
        .value_kind:     global_buffer
      - .offset:         32
        .size:           8
        .value_kind:     by_value
      - .offset:         40
        .size:           8
        .value_kind:     by_value
      - .address_space:  global
        .offset:         48
        .size:           8
        .value_kind:     global_buffer
      - .offset:         56
        .size:           8
        .value_kind:     by_value
      - .offset:         64
        .size:           8
        .value_kind:     by_value
      - .offset:         72
        .size:           8
        .value_kind:     by_value
      - .address_space:  global
        .offset:         80
        .size:           8
        .value_kind:     global_buffer
      - .offset:         88
        .size:           8
        .value_kind:     by_value
      - .offset:         96
        .size:           8
        .value_kind:     by_value
      - .offset:         104
        .size:           4
        .value_kind:     by_value
    .group_segment_fixed_size: 4096
    .kernarg_segment_align: 8
    .kernarg_segment_size: 108
    .language:       OpenCL C
    .language_version:
      - 2
      - 0
    .max_flat_workgroup_size: 256
    .name:           _ZL32rocblas_syrkx_herkx_small_kernelIldLi16ELb0ELb0ELc78ELc76EKPKdKPdEviT_T0_PT6_S5_lS8_S5_lS6_PT7_S5_li
    .private_segment_fixed_size: 0
    .sgpr_count:     26
    .sgpr_spill_count: 0
    .symbol:         _ZL32rocblas_syrkx_herkx_small_kernelIldLi16ELb0ELb0ELc78ELc76EKPKdKPdEviT_T0_PT6_S5_lS8_S5_lS6_PT7_S5_li.kd
    .uniform_work_group_size: 1
    .uses_dynamic_stack: false
    .vgpr_count:     30
    .vgpr_spill_count: 0
    .wavefront_size: 32
    .workgroup_processor_mode: 1
  - .args:
      - .offset:         0
        .size:           4
        .value_kind:     by_value
      - .offset:         8
        .size:           8
        .value_kind:     by_value
      - .offset:         16
        .size:           8
        .value_kind:     by_value
      - .address_space:  global
        .offset:         24
        .size:           8
        .value_kind:     global_buffer
      - .offset:         32
        .size:           8
        .value_kind:     by_value
      - .offset:         40
        .size:           8
        .value_kind:     by_value
      - .address_space:  global
        .offset:         48
        .size:           8
        .value_kind:     global_buffer
      - .offset:         56
        .size:           8
        .value_kind:     by_value
      - .offset:         64
        .size:           8
        .value_kind:     by_value
      - .offset:         72
        .size:           8
        .value_kind:     by_value
      - .address_space:  global
        .offset:         80
        .size:           8
        .value_kind:     global_buffer
      - .offset:         88
        .size:           8
        .value_kind:     by_value
      - .offset:         96
        .size:           8
        .value_kind:     by_value
      - .offset:         104
        .size:           4
        .value_kind:     by_value
    .group_segment_fixed_size: 4096
    .kernarg_segment_align: 8
    .kernarg_segment_size: 108
    .language:       OpenCL C
    .language_version:
      - 2
      - 0
    .max_flat_workgroup_size: 256
    .name:           _ZL32rocblas_syrkx_herkx_small_kernelIldLi16ELb0ELb0ELc84ELc85EKPKdKPdEviT_T0_PT6_S5_lS8_S5_lS6_PT7_S5_li
    .private_segment_fixed_size: 0
    .sgpr_count:     26
    .sgpr_spill_count: 0
    .symbol:         _ZL32rocblas_syrkx_herkx_small_kernelIldLi16ELb0ELb0ELc84ELc85EKPKdKPdEviT_T0_PT6_S5_lS8_S5_lS6_PT7_S5_li.kd
    .uniform_work_group_size: 1
    .uses_dynamic_stack: false
    .vgpr_count:     30
    .vgpr_spill_count: 0
    .wavefront_size: 32
    .workgroup_processor_mode: 1
  - .args:
      - .offset:         0
        .size:           4
        .value_kind:     by_value
      - .offset:         8
        .size:           8
        .value_kind:     by_value
      - .offset:         16
        .size:           8
        .value_kind:     by_value
      - .address_space:  global
        .offset:         24
        .size:           8
        .value_kind:     global_buffer
      - .offset:         32
        .size:           8
        .value_kind:     by_value
      - .offset:         40
        .size:           8
        .value_kind:     by_value
      - .address_space:  global
        .offset:         48
        .size:           8
        .value_kind:     global_buffer
      - .offset:         56
        .size:           8
        .value_kind:     by_value
      - .offset:         64
        .size:           8
        .value_kind:     by_value
      - .offset:         72
        .size:           8
        .value_kind:     by_value
      - .address_space:  global
        .offset:         80
        .size:           8
        .value_kind:     global_buffer
      - .offset:         88
        .size:           8
        .value_kind:     by_value
      - .offset:         96
        .size:           8
        .value_kind:     by_value
      - .offset:         104
        .size:           4
        .value_kind:     by_value
    .group_segment_fixed_size: 4096
    .kernarg_segment_align: 8
    .kernarg_segment_size: 108
    .language:       OpenCL C
    .language_version:
      - 2
      - 0
    .max_flat_workgroup_size: 256
    .name:           _ZL32rocblas_syrkx_herkx_small_kernelIldLi16ELb0ELb0ELc67ELc85EKPKdKPdEviT_T0_PT6_S5_lS8_S5_lS6_PT7_S5_li
    .private_segment_fixed_size: 0
    .sgpr_count:     26
    .sgpr_spill_count: 0
    .symbol:         _ZL32rocblas_syrkx_herkx_small_kernelIldLi16ELb0ELb0ELc67ELc85EKPKdKPdEviT_T0_PT6_S5_lS8_S5_lS6_PT7_S5_li.kd
    .uniform_work_group_size: 1
    .uses_dynamic_stack: false
    .vgpr_count:     30
    .vgpr_spill_count: 0
    .wavefront_size: 32
    .workgroup_processor_mode: 1
  - .args:
      - .offset:         0
        .size:           4
        .value_kind:     by_value
      - .offset:         8
        .size:           8
        .value_kind:     by_value
      - .offset:         16
        .size:           8
        .value_kind:     by_value
      - .address_space:  global
        .offset:         24
        .size:           8
        .value_kind:     global_buffer
      - .offset:         32
        .size:           8
        .value_kind:     by_value
      - .offset:         40
        .size:           8
        .value_kind:     by_value
      - .address_space:  global
        .offset:         48
        .size:           8
        .value_kind:     global_buffer
      - .offset:         56
        .size:           8
        .value_kind:     by_value
      - .offset:         64
        .size:           8
        .value_kind:     by_value
      - .offset:         72
        .size:           8
        .value_kind:     by_value
      - .address_space:  global
        .offset:         80
        .size:           8
        .value_kind:     global_buffer
      - .offset:         88
        .size:           8
        .value_kind:     by_value
      - .offset:         96
        .size:           8
        .value_kind:     by_value
      - .offset:         104
        .size:           4
        .value_kind:     by_value
    .group_segment_fixed_size: 4096
    .kernarg_segment_align: 8
    .kernarg_segment_size: 108
    .language:       OpenCL C
    .language_version:
      - 2
      - 0
    .max_flat_workgroup_size: 256
    .name:           _ZL32rocblas_syrkx_herkx_small_kernelIldLi16ELb0ELb0ELc78ELc85EKPKdKPdEviT_T0_PT6_S5_lS8_S5_lS6_PT7_S5_li
    .private_segment_fixed_size: 0
    .sgpr_count:     26
    .sgpr_spill_count: 0
    .symbol:         _ZL32rocblas_syrkx_herkx_small_kernelIldLi16ELb0ELb0ELc78ELc85EKPKdKPdEviT_T0_PT6_S5_lS8_S5_lS6_PT7_S5_li.kd
    .uniform_work_group_size: 1
    .uses_dynamic_stack: false
    .vgpr_count:     30
    .vgpr_spill_count: 0
    .wavefront_size: 32
    .workgroup_processor_mode: 1
  - .args:
      - .offset:         0
        .size:           4
        .value_kind:     by_value
      - .offset:         8
        .size:           8
        .value_kind:     by_value
      - .offset:         16
        .size:           8
        .value_kind:     by_value
      - .address_space:  global
        .offset:         24
        .size:           8
        .value_kind:     global_buffer
      - .offset:         32
        .size:           8
        .value_kind:     by_value
      - .offset:         40
        .size:           8
        .value_kind:     by_value
      - .address_space:  global
        .offset:         48
        .size:           8
        .value_kind:     global_buffer
      - .offset:         56
        .size:           8
        .value_kind:     by_value
      - .offset:         64
        .size:           8
        .value_kind:     by_value
      - .offset:         72
        .size:           8
        .value_kind:     by_value
      - .address_space:  global
        .offset:         80
        .size:           8
        .value_kind:     global_buffer
      - .offset:         88
        .size:           8
        .value_kind:     by_value
      - .offset:         96
        .size:           8
        .value_kind:     by_value
      - .offset:         104
        .size:           4
        .value_kind:     by_value
    .group_segment_fixed_size: 4096
    .kernarg_segment_align: 8
    .kernarg_segment_size: 108
    .language:       OpenCL C
    .language_version:
      - 2
      - 0
    .max_flat_workgroup_size: 256
    .name:           _ZL34rocblas_syrkx_herkx_general_kernelIldLi16ELi32ELi8ELb1ELb0ELc84ELc76EKPKdKPdEviT_T0_PT8_S5_lS8_S5_lS6_PT9_S5_li
    .private_segment_fixed_size: 0
    .sgpr_count:     25
    .sgpr_spill_count: 0
    .symbol:         _ZL34rocblas_syrkx_herkx_general_kernelIldLi16ELi32ELi8ELb1ELb0ELc84ELc76EKPKdKPdEviT_T0_PT8_S5_lS8_S5_lS6_PT9_S5_li.kd
    .uniform_work_group_size: 1
    .uses_dynamic_stack: false
    .vgpr_count:     42
    .vgpr_spill_count: 0
    .wavefront_size: 32
    .workgroup_processor_mode: 1
  - .args:
      - .offset:         0
        .size:           4
        .value_kind:     by_value
      - .offset:         8
        .size:           8
        .value_kind:     by_value
      - .offset:         16
        .size:           8
        .value_kind:     by_value
      - .address_space:  global
        .offset:         24
        .size:           8
        .value_kind:     global_buffer
      - .offset:         32
        .size:           8
        .value_kind:     by_value
      - .offset:         40
        .size:           8
        .value_kind:     by_value
      - .address_space:  global
        .offset:         48
        .size:           8
        .value_kind:     global_buffer
      - .offset:         56
        .size:           8
        .value_kind:     by_value
      - .offset:         64
        .size:           8
        .value_kind:     by_value
      - .offset:         72
        .size:           8
        .value_kind:     by_value
      - .address_space:  global
        .offset:         80
        .size:           8
        .value_kind:     global_buffer
      - .offset:         88
        .size:           8
        .value_kind:     by_value
      - .offset:         96
        .size:           8
        .value_kind:     by_value
      - .offset:         104
        .size:           4
        .value_kind:     by_value
    .group_segment_fixed_size: 4096
    .kernarg_segment_align: 8
    .kernarg_segment_size: 108
    .language:       OpenCL C
    .language_version:
      - 2
      - 0
    .max_flat_workgroup_size: 256
    .name:           _ZL34rocblas_syrkx_herkx_general_kernelIldLi16ELi32ELi8ELb1ELb0ELc67ELc76EKPKdKPdEviT_T0_PT8_S5_lS8_S5_lS6_PT9_S5_li
    .private_segment_fixed_size: 0
    .sgpr_count:     25
    .sgpr_spill_count: 0
    .symbol:         _ZL34rocblas_syrkx_herkx_general_kernelIldLi16ELi32ELi8ELb1ELb0ELc67ELc76EKPKdKPdEviT_T0_PT8_S5_lS8_S5_lS6_PT9_S5_li.kd
    .uniform_work_group_size: 1
    .uses_dynamic_stack: false
    .vgpr_count:     42
    .vgpr_spill_count: 0
    .wavefront_size: 32
    .workgroup_processor_mode: 1
  - .args:
      - .offset:         0
        .size:           4
        .value_kind:     by_value
      - .offset:         8
        .size:           8
        .value_kind:     by_value
      - .offset:         16
        .size:           8
        .value_kind:     by_value
      - .address_space:  global
        .offset:         24
        .size:           8
        .value_kind:     global_buffer
      - .offset:         32
        .size:           8
        .value_kind:     by_value
      - .offset:         40
        .size:           8
        .value_kind:     by_value
      - .address_space:  global
        .offset:         48
        .size:           8
        .value_kind:     global_buffer
      - .offset:         56
        .size:           8
        .value_kind:     by_value
      - .offset:         64
        .size:           8
        .value_kind:     by_value
      - .offset:         72
        .size:           8
        .value_kind:     by_value
      - .address_space:  global
        .offset:         80
        .size:           8
        .value_kind:     global_buffer
      - .offset:         88
        .size:           8
        .value_kind:     by_value
      - .offset:         96
        .size:           8
        .value_kind:     by_value
      - .offset:         104
        .size:           4
        .value_kind:     by_value
    .group_segment_fixed_size: 4096
    .kernarg_segment_align: 8
    .kernarg_segment_size: 108
    .language:       OpenCL C
    .language_version:
      - 2
      - 0
    .max_flat_workgroup_size: 256
    .name:           _ZL34rocblas_syrkx_herkx_general_kernelIldLi16ELi32ELi8ELb1ELb0ELc78ELc76EKPKdKPdEviT_T0_PT8_S5_lS8_S5_lS6_PT9_S5_li
    .private_segment_fixed_size: 0
    .sgpr_count:     27
    .sgpr_spill_count: 0
    .symbol:         _ZL34rocblas_syrkx_herkx_general_kernelIldLi16ELi32ELi8ELb1ELb0ELc78ELc76EKPKdKPdEviT_T0_PT8_S5_lS8_S5_lS6_PT9_S5_li.kd
    .uniform_work_group_size: 1
    .uses_dynamic_stack: false
    .vgpr_count:     42
    .vgpr_spill_count: 0
    .wavefront_size: 32
    .workgroup_processor_mode: 1
  - .args:
      - .offset:         0
        .size:           4
        .value_kind:     by_value
      - .offset:         8
        .size:           8
        .value_kind:     by_value
      - .offset:         16
        .size:           8
        .value_kind:     by_value
      - .address_space:  global
        .offset:         24
        .size:           8
        .value_kind:     global_buffer
      - .offset:         32
        .size:           8
        .value_kind:     by_value
      - .offset:         40
        .size:           8
        .value_kind:     by_value
      - .address_space:  global
        .offset:         48
        .size:           8
        .value_kind:     global_buffer
      - .offset:         56
        .size:           8
        .value_kind:     by_value
      - .offset:         64
        .size:           8
        .value_kind:     by_value
      - .offset:         72
        .size:           8
        .value_kind:     by_value
      - .address_space:  global
        .offset:         80
        .size:           8
        .value_kind:     global_buffer
      - .offset:         88
        .size:           8
        .value_kind:     by_value
      - .offset:         96
        .size:           8
        .value_kind:     by_value
      - .offset:         104
        .size:           4
        .value_kind:     by_value
    .group_segment_fixed_size: 4096
    .kernarg_segment_align: 8
    .kernarg_segment_size: 108
    .language:       OpenCL C
    .language_version:
      - 2
      - 0
    .max_flat_workgroup_size: 256
    .name:           _ZL34rocblas_syrkx_herkx_general_kernelIldLi16ELi32ELi8ELb1ELb0ELc84ELc85EKPKdKPdEviT_T0_PT8_S5_lS8_S5_lS6_PT9_S5_li
    .private_segment_fixed_size: 0
    .sgpr_count:     25
    .sgpr_spill_count: 0
    .symbol:         _ZL34rocblas_syrkx_herkx_general_kernelIldLi16ELi32ELi8ELb1ELb0ELc84ELc85EKPKdKPdEviT_T0_PT8_S5_lS8_S5_lS6_PT9_S5_li.kd
    .uniform_work_group_size: 1
    .uses_dynamic_stack: false
    .vgpr_count:     42
    .vgpr_spill_count: 0
    .wavefront_size: 32
    .workgroup_processor_mode: 1
  - .args:
      - .offset:         0
        .size:           4
        .value_kind:     by_value
      - .offset:         8
        .size:           8
        .value_kind:     by_value
      - .offset:         16
        .size:           8
        .value_kind:     by_value
      - .address_space:  global
        .offset:         24
        .size:           8
        .value_kind:     global_buffer
      - .offset:         32
        .size:           8
        .value_kind:     by_value
      - .offset:         40
        .size:           8
        .value_kind:     by_value
      - .address_space:  global
        .offset:         48
        .size:           8
        .value_kind:     global_buffer
      - .offset:         56
        .size:           8
        .value_kind:     by_value
      - .offset:         64
        .size:           8
        .value_kind:     by_value
      - .offset:         72
        .size:           8
        .value_kind:     by_value
      - .address_space:  global
        .offset:         80
        .size:           8
        .value_kind:     global_buffer
      - .offset:         88
        .size:           8
        .value_kind:     by_value
      - .offset:         96
        .size:           8
        .value_kind:     by_value
      - .offset:         104
        .size:           4
        .value_kind:     by_value
    .group_segment_fixed_size: 4096
    .kernarg_segment_align: 8
    .kernarg_segment_size: 108
    .language:       OpenCL C
    .language_version:
      - 2
      - 0
    .max_flat_workgroup_size: 256
    .name:           _ZL34rocblas_syrkx_herkx_general_kernelIldLi16ELi32ELi8ELb1ELb0ELc67ELc85EKPKdKPdEviT_T0_PT8_S5_lS8_S5_lS6_PT9_S5_li
    .private_segment_fixed_size: 0
    .sgpr_count:     25
    .sgpr_spill_count: 0
    .symbol:         _ZL34rocblas_syrkx_herkx_general_kernelIldLi16ELi32ELi8ELb1ELb0ELc67ELc85EKPKdKPdEviT_T0_PT8_S5_lS8_S5_lS6_PT9_S5_li.kd
    .uniform_work_group_size: 1
    .uses_dynamic_stack: false
    .vgpr_count:     42
    .vgpr_spill_count: 0
    .wavefront_size: 32
    .workgroup_processor_mode: 1
  - .args:
      - .offset:         0
        .size:           4
        .value_kind:     by_value
      - .offset:         8
        .size:           8
        .value_kind:     by_value
      - .offset:         16
        .size:           8
        .value_kind:     by_value
      - .address_space:  global
        .offset:         24
        .size:           8
        .value_kind:     global_buffer
      - .offset:         32
        .size:           8
        .value_kind:     by_value
      - .offset:         40
        .size:           8
        .value_kind:     by_value
      - .address_space:  global
        .offset:         48
        .size:           8
        .value_kind:     global_buffer
      - .offset:         56
        .size:           8
        .value_kind:     by_value
      - .offset:         64
        .size:           8
        .value_kind:     by_value
      - .offset:         72
        .size:           8
        .value_kind:     by_value
      - .address_space:  global
        .offset:         80
        .size:           8
        .value_kind:     global_buffer
      - .offset:         88
        .size:           8
        .value_kind:     by_value
      - .offset:         96
        .size:           8
        .value_kind:     by_value
      - .offset:         104
        .size:           4
        .value_kind:     by_value
    .group_segment_fixed_size: 4096
    .kernarg_segment_align: 8
    .kernarg_segment_size: 108
    .language:       OpenCL C
    .language_version:
      - 2
      - 0
    .max_flat_workgroup_size: 256
    .name:           _ZL34rocblas_syrkx_herkx_general_kernelIldLi16ELi32ELi8ELb1ELb0ELc78ELc85EKPKdKPdEviT_T0_PT8_S5_lS8_S5_lS6_PT9_S5_li
    .private_segment_fixed_size: 0
    .sgpr_count:     27
    .sgpr_spill_count: 0
    .symbol:         _ZL34rocblas_syrkx_herkx_general_kernelIldLi16ELi32ELi8ELb1ELb0ELc78ELc85EKPKdKPdEviT_T0_PT8_S5_lS8_S5_lS6_PT9_S5_li.kd
    .uniform_work_group_size: 1
    .uses_dynamic_stack: false
    .vgpr_count:     42
    .vgpr_spill_count: 0
    .wavefront_size: 32
    .workgroup_processor_mode: 1
  - .args:
      - .offset:         0
        .size:           4
        .value_kind:     by_value
      - .offset:         8
        .size:           8
        .value_kind:     by_value
      - .offset:         16
        .size:           8
        .value_kind:     by_value
      - .address_space:  global
        .offset:         24
        .size:           8
        .value_kind:     global_buffer
      - .offset:         32
        .size:           8
        .value_kind:     by_value
      - .offset:         40
        .size:           8
        .value_kind:     by_value
      - .address_space:  global
        .offset:         48
        .size:           8
        .value_kind:     global_buffer
      - .offset:         56
        .size:           8
        .value_kind:     by_value
      - .offset:         64
        .size:           8
        .value_kind:     by_value
      - .offset:         72
        .size:           8
        .value_kind:     by_value
      - .address_space:  global
        .offset:         80
        .size:           8
        .value_kind:     global_buffer
      - .offset:         88
        .size:           8
        .value_kind:     by_value
      - .offset:         96
        .size:           8
        .value_kind:     by_value
      - .offset:         104
        .size:           4
        .value_kind:     by_value
    .group_segment_fixed_size: 4096
    .kernarg_segment_align: 8
    .kernarg_segment_size: 108
    .language:       OpenCL C
    .language_version:
      - 2
      - 0
    .max_flat_workgroup_size: 256
    .name:           _ZL34rocblas_syrkx_herkx_general_kernelIldLi16ELi32ELi8ELb0ELb0ELc84ELc76EKPKdKPdEviT_T0_PT8_S5_lS8_S5_lS6_PT9_S5_li
    .private_segment_fixed_size: 0
    .sgpr_count:     27
    .sgpr_spill_count: 0
    .symbol:         _ZL34rocblas_syrkx_herkx_general_kernelIldLi16ELi32ELi8ELb0ELb0ELc84ELc76EKPKdKPdEviT_T0_PT8_S5_lS8_S5_lS6_PT9_S5_li.kd
    .uniform_work_group_size: 1
    .uses_dynamic_stack: false
    .vgpr_count:     42
    .vgpr_spill_count: 0
    .wavefront_size: 32
    .workgroup_processor_mode: 1
  - .args:
      - .offset:         0
        .size:           4
        .value_kind:     by_value
      - .offset:         8
        .size:           8
        .value_kind:     by_value
      - .offset:         16
        .size:           8
        .value_kind:     by_value
      - .address_space:  global
        .offset:         24
        .size:           8
        .value_kind:     global_buffer
      - .offset:         32
        .size:           8
        .value_kind:     by_value
      - .offset:         40
        .size:           8
        .value_kind:     by_value
      - .address_space:  global
        .offset:         48
        .size:           8
        .value_kind:     global_buffer
      - .offset:         56
        .size:           8
        .value_kind:     by_value
      - .offset:         64
        .size:           8
        .value_kind:     by_value
      - .offset:         72
        .size:           8
        .value_kind:     by_value
      - .address_space:  global
        .offset:         80
        .size:           8
        .value_kind:     global_buffer
      - .offset:         88
        .size:           8
        .value_kind:     by_value
      - .offset:         96
        .size:           8
        .value_kind:     by_value
      - .offset:         104
        .size:           4
        .value_kind:     by_value
    .group_segment_fixed_size: 4096
    .kernarg_segment_align: 8
    .kernarg_segment_size: 108
    .language:       OpenCL C
    .language_version:
      - 2
      - 0
    .max_flat_workgroup_size: 256
    .name:           _ZL34rocblas_syrkx_herkx_general_kernelIldLi16ELi32ELi8ELb0ELb0ELc67ELc76EKPKdKPdEviT_T0_PT8_S5_lS8_S5_lS6_PT9_S5_li
    .private_segment_fixed_size: 0
    .sgpr_count:     27
    .sgpr_spill_count: 0
    .symbol:         _ZL34rocblas_syrkx_herkx_general_kernelIldLi16ELi32ELi8ELb0ELb0ELc67ELc76EKPKdKPdEviT_T0_PT8_S5_lS8_S5_lS6_PT9_S5_li.kd
    .uniform_work_group_size: 1
    .uses_dynamic_stack: false
    .vgpr_count:     42
    .vgpr_spill_count: 0
    .wavefront_size: 32
    .workgroup_processor_mode: 1
  - .args:
      - .offset:         0
        .size:           4
        .value_kind:     by_value
      - .offset:         8
        .size:           8
        .value_kind:     by_value
      - .offset:         16
        .size:           8
        .value_kind:     by_value
      - .address_space:  global
        .offset:         24
        .size:           8
        .value_kind:     global_buffer
      - .offset:         32
        .size:           8
        .value_kind:     by_value
      - .offset:         40
        .size:           8
        .value_kind:     by_value
      - .address_space:  global
        .offset:         48
        .size:           8
        .value_kind:     global_buffer
      - .offset:         56
        .size:           8
        .value_kind:     by_value
      - .offset:         64
        .size:           8
        .value_kind:     by_value
      - .offset:         72
        .size:           8
        .value_kind:     by_value
      - .address_space:  global
        .offset:         80
        .size:           8
        .value_kind:     global_buffer
      - .offset:         88
        .size:           8
        .value_kind:     by_value
      - .offset:         96
        .size:           8
        .value_kind:     by_value
      - .offset:         104
        .size:           4
        .value_kind:     by_value
    .group_segment_fixed_size: 4096
    .kernarg_segment_align: 8
    .kernarg_segment_size: 108
    .language:       OpenCL C
    .language_version:
      - 2
      - 0
    .max_flat_workgroup_size: 256
    .name:           _ZL34rocblas_syrkx_herkx_general_kernelIldLi16ELi32ELi8ELb0ELb0ELc78ELc76EKPKdKPdEviT_T0_PT8_S5_lS8_S5_lS6_PT9_S5_li
    .private_segment_fixed_size: 0
    .sgpr_count:     29
    .sgpr_spill_count: 0
    .symbol:         _ZL34rocblas_syrkx_herkx_general_kernelIldLi16ELi32ELi8ELb0ELb0ELc78ELc76EKPKdKPdEviT_T0_PT8_S5_lS8_S5_lS6_PT9_S5_li.kd
    .uniform_work_group_size: 1
    .uses_dynamic_stack: false
    .vgpr_count:     44
    .vgpr_spill_count: 0
    .wavefront_size: 32
    .workgroup_processor_mode: 1
  - .args:
      - .offset:         0
        .size:           4
        .value_kind:     by_value
      - .offset:         8
        .size:           8
        .value_kind:     by_value
      - .offset:         16
        .size:           8
        .value_kind:     by_value
      - .address_space:  global
        .offset:         24
        .size:           8
        .value_kind:     global_buffer
      - .offset:         32
        .size:           8
        .value_kind:     by_value
      - .offset:         40
        .size:           8
        .value_kind:     by_value
      - .address_space:  global
        .offset:         48
        .size:           8
        .value_kind:     global_buffer
      - .offset:         56
        .size:           8
        .value_kind:     by_value
      - .offset:         64
        .size:           8
        .value_kind:     by_value
      - .offset:         72
        .size:           8
        .value_kind:     by_value
      - .address_space:  global
        .offset:         80
        .size:           8
        .value_kind:     global_buffer
      - .offset:         88
        .size:           8
        .value_kind:     by_value
      - .offset:         96
        .size:           8
        .value_kind:     by_value
      - .offset:         104
        .size:           4
        .value_kind:     by_value
    .group_segment_fixed_size: 4096
    .kernarg_segment_align: 8
    .kernarg_segment_size: 108
    .language:       OpenCL C
    .language_version:
      - 2
      - 0
    .max_flat_workgroup_size: 256
    .name:           _ZL34rocblas_syrkx_herkx_general_kernelIldLi16ELi32ELi8ELb0ELb0ELc84ELc85EKPKdKPdEviT_T0_PT8_S5_lS8_S5_lS6_PT9_S5_li
    .private_segment_fixed_size: 0
    .sgpr_count:     27
    .sgpr_spill_count: 0
    .symbol:         _ZL34rocblas_syrkx_herkx_general_kernelIldLi16ELi32ELi8ELb0ELb0ELc84ELc85EKPKdKPdEviT_T0_PT8_S5_lS8_S5_lS6_PT9_S5_li.kd
    .uniform_work_group_size: 1
    .uses_dynamic_stack: false
    .vgpr_count:     42
    .vgpr_spill_count: 0
    .wavefront_size: 32
    .workgroup_processor_mode: 1
  - .args:
      - .offset:         0
        .size:           4
        .value_kind:     by_value
      - .offset:         8
        .size:           8
        .value_kind:     by_value
      - .offset:         16
        .size:           8
        .value_kind:     by_value
      - .address_space:  global
        .offset:         24
        .size:           8
        .value_kind:     global_buffer
      - .offset:         32
        .size:           8
        .value_kind:     by_value
      - .offset:         40
        .size:           8
        .value_kind:     by_value
      - .address_space:  global
        .offset:         48
        .size:           8
        .value_kind:     global_buffer
      - .offset:         56
        .size:           8
        .value_kind:     by_value
      - .offset:         64
        .size:           8
        .value_kind:     by_value
      - .offset:         72
        .size:           8
        .value_kind:     by_value
      - .address_space:  global
        .offset:         80
        .size:           8
        .value_kind:     global_buffer
      - .offset:         88
        .size:           8
        .value_kind:     by_value
      - .offset:         96
        .size:           8
        .value_kind:     by_value
      - .offset:         104
        .size:           4
        .value_kind:     by_value
    .group_segment_fixed_size: 4096
    .kernarg_segment_align: 8
    .kernarg_segment_size: 108
    .language:       OpenCL C
    .language_version:
      - 2
      - 0
    .max_flat_workgroup_size: 256
    .name:           _ZL34rocblas_syrkx_herkx_general_kernelIldLi16ELi32ELi8ELb0ELb0ELc67ELc85EKPKdKPdEviT_T0_PT8_S5_lS8_S5_lS6_PT9_S5_li
    .private_segment_fixed_size: 0
    .sgpr_count:     27
    .sgpr_spill_count: 0
    .symbol:         _ZL34rocblas_syrkx_herkx_general_kernelIldLi16ELi32ELi8ELb0ELb0ELc67ELc85EKPKdKPdEviT_T0_PT8_S5_lS8_S5_lS6_PT9_S5_li.kd
    .uniform_work_group_size: 1
    .uses_dynamic_stack: false
    .vgpr_count:     42
    .vgpr_spill_count: 0
    .wavefront_size: 32
    .workgroup_processor_mode: 1
  - .args:
      - .offset:         0
        .size:           4
        .value_kind:     by_value
      - .offset:         8
        .size:           8
        .value_kind:     by_value
      - .offset:         16
        .size:           8
        .value_kind:     by_value
      - .address_space:  global
        .offset:         24
        .size:           8
        .value_kind:     global_buffer
      - .offset:         32
        .size:           8
        .value_kind:     by_value
      - .offset:         40
        .size:           8
        .value_kind:     by_value
      - .address_space:  global
        .offset:         48
        .size:           8
        .value_kind:     global_buffer
      - .offset:         56
        .size:           8
        .value_kind:     by_value
      - .offset:         64
        .size:           8
        .value_kind:     by_value
      - .offset:         72
        .size:           8
        .value_kind:     by_value
      - .address_space:  global
        .offset:         80
        .size:           8
        .value_kind:     global_buffer
      - .offset:         88
        .size:           8
        .value_kind:     by_value
      - .offset:         96
        .size:           8
        .value_kind:     by_value
      - .offset:         104
        .size:           4
        .value_kind:     by_value
    .group_segment_fixed_size: 4096
    .kernarg_segment_align: 8
    .kernarg_segment_size: 108
    .language:       OpenCL C
    .language_version:
      - 2
      - 0
    .max_flat_workgroup_size: 256
    .name:           _ZL34rocblas_syrkx_herkx_general_kernelIldLi16ELi32ELi8ELb0ELb0ELc78ELc85EKPKdKPdEviT_T0_PT8_S5_lS8_S5_lS6_PT9_S5_li
    .private_segment_fixed_size: 0
    .sgpr_count:     29
    .sgpr_spill_count: 0
    .symbol:         _ZL34rocblas_syrkx_herkx_general_kernelIldLi16ELi32ELi8ELb0ELb0ELc78ELc85EKPKdKPdEviT_T0_PT8_S5_lS8_S5_lS6_PT9_S5_li.kd
    .uniform_work_group_size: 1
    .uses_dynamic_stack: false
    .vgpr_count:     44
    .vgpr_spill_count: 0
    .wavefront_size: 32
    .workgroup_processor_mode: 1
  - .args:
      - .offset:         0
        .size:           1
        .value_kind:     by_value
      - .offset:         4
        .size:           4
        .value_kind:     by_value
      - .offset:         8
        .size:           8
        .value_kind:     by_value
      - .offset:         16
        .size:           8
        .value_kind:     by_value
      - .offset:         24
        .size:           8
        .value_kind:     by_value
      - .address_space:  global
        .offset:         32
        .size:           8
        .value_kind:     global_buffer
      - .offset:         40
        .size:           8
        .value_kind:     by_value
      - .offset:         48
        .size:           8
        .value_kind:     by_value
      - .offset:         56
        .size:           4
        .value_kind:     by_value
      - .offset:         64
        .size:           4
        .value_kind:     hidden_block_count_x
      - .offset:         68
        .size:           4
        .value_kind:     hidden_block_count_y
      - .offset:         72
        .size:           4
        .value_kind:     hidden_block_count_z
      - .offset:         76
        .size:           2
        .value_kind:     hidden_group_size_x
      - .offset:         78
        .size:           2
        .value_kind:     hidden_group_size_y
      - .offset:         80
        .size:           2
        .value_kind:     hidden_group_size_z
      - .offset:         82
        .size:           2
        .value_kind:     hidden_remainder_x
      - .offset:         84
        .size:           2
        .value_kind:     hidden_remainder_y
      - .offset:         86
        .size:           2
        .value_kind:     hidden_remainder_z
      - .offset:         104
        .size:           8
        .value_kind:     hidden_global_offset_x
      - .offset:         112
        .size:           8
        .value_kind:     hidden_global_offset_y
      - .offset:         120
        .size:           8
        .value_kind:     hidden_global_offset_z
      - .offset:         128
        .size:           2
        .value_kind:     hidden_grid_dims
    .group_segment_fixed_size: 0
    .kernarg_segment_align: 8
    .kernarg_segment_size: 320
    .language:       OpenCL C
    .language_version:
      - 2
      - 0
    .max_flat_workgroup_size: 1024
    .name:           _ZL26rocblas_syr2k_scale_kernelIlLi128ELi8ELb0EddPKPdEvbiT_T3_T4_T5_S3_li
    .private_segment_fixed_size: 0
    .sgpr_count:     20
    .sgpr_spill_count: 0
    .symbol:         _ZL26rocblas_syr2k_scale_kernelIlLi128ELi8ELb0EddPKPdEvbiT_T3_T4_T5_S3_li.kd
    .uniform_work_group_size: 1
    .uses_dynamic_stack: false
    .vgpr_count:     6
    .vgpr_spill_count: 0
    .wavefront_size: 32
    .workgroup_processor_mode: 1
  - .args:
      - .offset:         0
        .size:           1
        .value_kind:     by_value
      - .offset:         4
        .size:           4
        .value_kind:     by_value
      - .offset:         8
        .size:           8
        .value_kind:     by_value
      - .address_space:  global
        .offset:         16
        .size:           8
        .value_kind:     global_buffer
      - .address_space:  global
        .offset:         24
        .size:           8
        .value_kind:     global_buffer
      - .offset:         32
        .size:           8
        .value_kind:     by_value
      - .offset:         40
        .size:           8
        .value_kind:     by_value
      - .address_space:  global
        .offset:         48
        .size:           8
        .value_kind:     global_buffer
      - .offset:         56
        .size:           8
        .value_kind:     by_value
      - .offset:         64
        .size:           8
        .value_kind:     by_value
      - .address_space:  global
        .offset:         72
        .size:           8
        .value_kind:     global_buffer
      - .offset:         80
        .size:           8
        .value_kind:     by_value
      - .offset:         88
        .size:           8
        .value_kind:     by_value
      - .offset:         96
        .size:           4
        .value_kind:     by_value
    .group_segment_fixed_size: 16384
    .kernarg_segment_align: 8
    .kernarg_segment_size: 100
    .language:       OpenCL C
    .language_version:
      - 2
      - 0
    .max_flat_workgroup_size: 1024
    .name:           _ZL26rocblas_syr2k_her2k_kernelIlLb0ELb0ELb0ELi32EPKdPKS1_PKPdEvbiT_T4_T5_S7_lS9_S7_lT6_S7_li
    .private_segment_fixed_size: 0
    .sgpr_count:     34
    .sgpr_spill_count: 0
    .symbol:         _ZL26rocblas_syr2k_her2k_kernelIlLb0ELb0ELb0ELi32EPKdPKS1_PKPdEvbiT_T4_T5_S7_lS9_S7_lT6_S7_li.kd
    .uniform_work_group_size: 1
    .uses_dynamic_stack: false
    .vgpr_count:     31
    .vgpr_spill_count: 0
    .wavefront_size: 32
    .workgroup_processor_mode: 1
  - .args:
      - .offset:         0
        .size:           1
        .value_kind:     by_value
      - .offset:         4
        .size:           4
        .value_kind:     by_value
      - .offset:         8
        .size:           8
        .value_kind:     by_value
      - .address_space:  global
        .offset:         16
        .size:           8
        .value_kind:     global_buffer
      - .address_space:  global
        .offset:         24
        .size:           8
        .value_kind:     global_buffer
      - .offset:         32
        .size:           8
        .value_kind:     by_value
      - .offset:         40
        .size:           8
        .value_kind:     by_value
      - .address_space:  global
        .offset:         48
        .size:           8
        .value_kind:     global_buffer
      - .offset:         56
        .size:           8
        .value_kind:     by_value
      - .offset:         64
        .size:           8
        .value_kind:     by_value
      - .address_space:  global
        .offset:         72
        .size:           8
        .value_kind:     global_buffer
      - .offset:         80
        .size:           8
        .value_kind:     by_value
      - .offset:         88
        .size:           8
        .value_kind:     by_value
      - .offset:         96
        .size:           4
        .value_kind:     by_value
    .group_segment_fixed_size: 16384
    .kernarg_segment_align: 8
    .kernarg_segment_size: 100
    .language:       OpenCL C
    .language_version:
      - 2
      - 0
    .max_flat_workgroup_size: 1024
    .name:           _ZL26rocblas_syr2k_her2k_kernelIlLb0ELb0ELb1ELi32EPKdPKS1_PKPdEvbiT_T4_T5_S7_lS9_S7_lT6_S7_li
    .private_segment_fixed_size: 0
    .sgpr_count:     34
    .sgpr_spill_count: 0
    .symbol:         _ZL26rocblas_syr2k_her2k_kernelIlLb0ELb0ELb1ELi32EPKdPKS1_PKPdEvbiT_T4_T5_S7_lS9_S7_lT6_S7_li.kd
    .uniform_work_group_size: 1
    .uses_dynamic_stack: false
    .vgpr_count:     31
    .vgpr_spill_count: 0
    .wavefront_size: 32
    .workgroup_processor_mode: 1
  - .args:
      - .offset:         0
        .size:           1
        .value_kind:     by_value
      - .offset:         4
        .size:           4
        .value_kind:     by_value
      - .offset:         8
        .size:           8
        .value_kind:     by_value
      - .offset:         16
        .size:           8
        .value_kind:     by_value
      - .address_space:  global
        .offset:         24
        .size:           8
        .value_kind:     global_buffer
      - .offset:         32
        .size:           8
        .value_kind:     by_value
      - .offset:         40
        .size:           8
        .value_kind:     by_value
      - .address_space:  global
        .offset:         48
        .size:           8
        .value_kind:     global_buffer
      - .offset:         56
        .size:           8
        .value_kind:     by_value
      - .offset:         64
        .size:           8
        .value_kind:     by_value
      - .address_space:  global
        .offset:         72
        .size:           8
        .value_kind:     global_buffer
      - .offset:         80
        .size:           8
        .value_kind:     by_value
      - .offset:         88
        .size:           8
        .value_kind:     by_value
      - .offset:         96
        .size:           4
        .value_kind:     by_value
    .group_segment_fixed_size: 16384
    .kernarg_segment_align: 8
    .kernarg_segment_size: 100
    .language:       OpenCL C
    .language_version:
      - 2
      - 0
    .max_flat_workgroup_size: 1024
    .name:           _ZL26rocblas_syr2k_her2k_kernelIlLb0ELb0ELb0ELi32E19rocblas_complex_numIfEPKPKS1_PKPS1_EvbiT_T4_T5_S9_lSB_S9_lT6_S9_li
    .private_segment_fixed_size: 0
    .sgpr_count:     32
    .sgpr_spill_count: 0
    .symbol:         _ZL26rocblas_syr2k_her2k_kernelIlLb0ELb0ELb0ELi32E19rocblas_complex_numIfEPKPKS1_PKPS1_EvbiT_T4_T5_S9_lSB_S9_lT6_S9_li.kd
    .uniform_work_group_size: 1
    .uses_dynamic_stack: false
    .vgpr_count:     106
    .vgpr_spill_count: 0
    .wavefront_size: 32
    .workgroup_processor_mode: 1
  - .args:
      - .offset:         0
        .size:           1
        .value_kind:     by_value
      - .offset:         4
        .size:           4
        .value_kind:     by_value
      - .offset:         8
        .size:           8
        .value_kind:     by_value
      - .offset:         16
        .size:           8
        .value_kind:     by_value
      - .address_space:  global
        .offset:         24
        .size:           8
        .value_kind:     global_buffer
      - .offset:         32
        .size:           8
        .value_kind:     by_value
      - .offset:         40
        .size:           8
        .value_kind:     by_value
      - .address_space:  global
        .offset:         48
        .size:           8
        .value_kind:     global_buffer
      - .offset:         56
        .size:           8
        .value_kind:     by_value
      - .offset:         64
        .size:           8
        .value_kind:     by_value
      - .address_space:  global
        .offset:         72
        .size:           8
        .value_kind:     global_buffer
      - .offset:         80
        .size:           8
        .value_kind:     by_value
      - .offset:         88
        .size:           8
        .value_kind:     by_value
      - .offset:         96
        .size:           4
        .value_kind:     by_value
    .group_segment_fixed_size: 16384
    .kernarg_segment_align: 8
    .kernarg_segment_size: 100
    .language:       OpenCL C
    .language_version:
      - 2
      - 0
    .max_flat_workgroup_size: 1024
    .name:           _ZL26rocblas_syr2k_her2k_kernelIlLb0ELb0ELb1ELi32E19rocblas_complex_numIfEPKPKS1_PKPS1_EvbiT_T4_T5_S9_lSB_S9_lT6_S9_li
    .private_segment_fixed_size: 0
    .sgpr_count:     32
    .sgpr_spill_count: 0
    .symbol:         _ZL26rocblas_syr2k_her2k_kernelIlLb0ELb0ELb1ELi32E19rocblas_complex_numIfEPKPKS1_PKPS1_EvbiT_T4_T5_S9_lSB_S9_lT6_S9_li.kd
    .uniform_work_group_size: 1
    .uses_dynamic_stack: false
    .vgpr_count:     106
    .vgpr_spill_count: 0
    .wavefront_size: 32
    .workgroup_processor_mode: 1
  - .args:
      - .offset:         0
        .size:           4
        .value_kind:     by_value
      - .offset:         8
        .size:           8
        .value_kind:     by_value
      - .address_space:  global
        .offset:         16
        .size:           8
        .value_kind:     global_buffer
      - .offset:         24
        .size:           8
        .value_kind:     by_value
      - .offset:         32
        .size:           8
        .value_kind:     by_value
      - .address_space:  global
        .offset:         40
        .size:           8
        .value_kind:     global_buffer
      - .offset:         48
        .size:           8
        .value_kind:     by_value
      - .offset:         56
        .size:           8
        .value_kind:     by_value
      - .address_space:  global
        .offset:         64
        .size:           8
        .value_kind:     global_buffer
      - .offset:         72
        .size:           8
        .value_kind:     by_value
      - .offset:         80
        .size:           8
        .value_kind:     by_value
      - .offset:         88
        .size:           4
        .value_kind:     by_value
    .group_segment_fixed_size: 4096
    .kernarg_segment_align: 8
    .kernarg_segment_size: 92
    .language:       OpenCL C
    .language_version:
      - 2
      - 0
    .max_flat_workgroup_size: 256
    .name:           _ZL37rocblas_syrkx_herkx_restricted_kernelIl19rocblas_complex_numIfELi16ELi32ELi8ELi1ELi1ELb0ELc84ELc76EKPKS1_KPS1_EviT_PT9_S7_lS9_S7_lPT10_S7_li
    .private_segment_fixed_size: 0
    .sgpr_count:     22
    .sgpr_spill_count: 0
    .symbol:         _ZL37rocblas_syrkx_herkx_restricted_kernelIl19rocblas_complex_numIfELi16ELi32ELi8ELi1ELi1ELb0ELc84ELc76EKPKS1_KPS1_EviT_PT9_S7_lS9_S7_lPT10_S7_li.kd
    .uniform_work_group_size: 1
    .uses_dynamic_stack: false
    .vgpr_count:     91
    .vgpr_spill_count: 0
    .wavefront_size: 32
    .workgroup_processor_mode: 1
  - .args:
      - .offset:         0
        .size:           4
        .value_kind:     by_value
      - .offset:         8
        .size:           8
        .value_kind:     by_value
      - .address_space:  global
        .offset:         16
        .size:           8
        .value_kind:     global_buffer
      - .offset:         24
        .size:           8
        .value_kind:     by_value
      - .offset:         32
        .size:           8
        .value_kind:     by_value
      - .address_space:  global
        .offset:         40
        .size:           8
        .value_kind:     global_buffer
      - .offset:         48
        .size:           8
        .value_kind:     by_value
      - .offset:         56
        .size:           8
        .value_kind:     by_value
      - .address_space:  global
        .offset:         64
        .size:           8
        .value_kind:     global_buffer
      - .offset:         72
        .size:           8
        .value_kind:     by_value
      - .offset:         80
        .size:           8
        .value_kind:     by_value
      - .offset:         88
        .size:           4
        .value_kind:     by_value
    .group_segment_fixed_size: 4096
    .kernarg_segment_align: 8
    .kernarg_segment_size: 92
    .language:       OpenCL C
    .language_version:
      - 2
      - 0
    .max_flat_workgroup_size: 256
    .name:           _ZL37rocblas_syrkx_herkx_restricted_kernelIl19rocblas_complex_numIfELi16ELi32ELi8ELi1ELi1ELb0ELc67ELc76EKPKS1_KPS1_EviT_PT9_S7_lS9_S7_lPT10_S7_li
    .private_segment_fixed_size: 0
    .sgpr_count:     22
    .sgpr_spill_count: 0
    .symbol:         _ZL37rocblas_syrkx_herkx_restricted_kernelIl19rocblas_complex_numIfELi16ELi32ELi8ELi1ELi1ELb0ELc67ELc76EKPKS1_KPS1_EviT_PT9_S7_lS9_S7_lPT10_S7_li.kd
    .uniform_work_group_size: 1
    .uses_dynamic_stack: false
    .vgpr_count:     91
    .vgpr_spill_count: 0
    .wavefront_size: 32
    .workgroup_processor_mode: 1
  - .args:
      - .offset:         0
        .size:           4
        .value_kind:     by_value
      - .offset:         8
        .size:           8
        .value_kind:     by_value
      - .address_space:  global
        .offset:         16
        .size:           8
        .value_kind:     global_buffer
      - .offset:         24
        .size:           8
        .value_kind:     by_value
      - .offset:         32
        .size:           8
        .value_kind:     by_value
      - .address_space:  global
        .offset:         40
        .size:           8
        .value_kind:     global_buffer
      - .offset:         48
        .size:           8
        .value_kind:     by_value
      - .offset:         56
        .size:           8
        .value_kind:     by_value
      - .address_space:  global
        .offset:         64
        .size:           8
        .value_kind:     global_buffer
      - .offset:         72
        .size:           8
        .value_kind:     by_value
      - .offset:         80
        .size:           8
        .value_kind:     by_value
      - .offset:         88
        .size:           4
        .value_kind:     by_value
    .group_segment_fixed_size: 4096
    .kernarg_segment_align: 8
    .kernarg_segment_size: 92
    .language:       OpenCL C
    .language_version:
      - 2
      - 0
    .max_flat_workgroup_size: 256
    .name:           _ZL37rocblas_syrkx_herkx_restricted_kernelIl19rocblas_complex_numIfELi16ELi32ELi8ELi1ELi1ELb0ELc78ELc76EKPKS1_KPS1_EviT_PT9_S7_lS9_S7_lPT10_S7_li
    .private_segment_fixed_size: 0
    .sgpr_count:     22
    .sgpr_spill_count: 0
    .symbol:         _ZL37rocblas_syrkx_herkx_restricted_kernelIl19rocblas_complex_numIfELi16ELi32ELi8ELi1ELi1ELb0ELc78ELc76EKPKS1_KPS1_EviT_PT9_S7_lS9_S7_lPT10_S7_li.kd
    .uniform_work_group_size: 1
    .uses_dynamic_stack: false
    .vgpr_count:     92
    .vgpr_spill_count: 0
    .wavefront_size: 32
    .workgroup_processor_mode: 1
  - .args:
      - .offset:         0
        .size:           4
        .value_kind:     by_value
      - .offset:         8
        .size:           8
        .value_kind:     by_value
      - .address_space:  global
        .offset:         16
        .size:           8
        .value_kind:     global_buffer
      - .offset:         24
        .size:           8
        .value_kind:     by_value
      - .offset:         32
        .size:           8
        .value_kind:     by_value
      - .address_space:  global
        .offset:         40
        .size:           8
        .value_kind:     global_buffer
      - .offset:         48
        .size:           8
        .value_kind:     by_value
      - .offset:         56
        .size:           8
        .value_kind:     by_value
      - .address_space:  global
        .offset:         64
        .size:           8
        .value_kind:     global_buffer
      - .offset:         72
        .size:           8
        .value_kind:     by_value
      - .offset:         80
        .size:           8
        .value_kind:     by_value
      - .offset:         88
        .size:           4
        .value_kind:     by_value
    .group_segment_fixed_size: 4096
    .kernarg_segment_align: 8
    .kernarg_segment_size: 92
    .language:       OpenCL C
    .language_version:
      - 2
      - 0
    .max_flat_workgroup_size: 256
    .name:           _ZL37rocblas_syrkx_herkx_restricted_kernelIl19rocblas_complex_numIfELi16ELi32ELi8ELi1ELi1ELb0ELc84ELc85EKPKS1_KPS1_EviT_PT9_S7_lS9_S7_lPT10_S7_li
    .private_segment_fixed_size: 0
    .sgpr_count:     22
    .sgpr_spill_count: 0
    .symbol:         _ZL37rocblas_syrkx_herkx_restricted_kernelIl19rocblas_complex_numIfELi16ELi32ELi8ELi1ELi1ELb0ELc84ELc85EKPKS1_KPS1_EviT_PT9_S7_lS9_S7_lPT10_S7_li.kd
    .uniform_work_group_size: 1
    .uses_dynamic_stack: false
    .vgpr_count:     91
    .vgpr_spill_count: 0
    .wavefront_size: 32
    .workgroup_processor_mode: 1
  - .args:
      - .offset:         0
        .size:           4
        .value_kind:     by_value
      - .offset:         8
        .size:           8
        .value_kind:     by_value
      - .address_space:  global
        .offset:         16
        .size:           8
        .value_kind:     global_buffer
      - .offset:         24
        .size:           8
        .value_kind:     by_value
      - .offset:         32
        .size:           8
        .value_kind:     by_value
      - .address_space:  global
        .offset:         40
        .size:           8
        .value_kind:     global_buffer
      - .offset:         48
        .size:           8
        .value_kind:     by_value
      - .offset:         56
        .size:           8
        .value_kind:     by_value
      - .address_space:  global
        .offset:         64
        .size:           8
        .value_kind:     global_buffer
      - .offset:         72
        .size:           8
        .value_kind:     by_value
      - .offset:         80
        .size:           8
        .value_kind:     by_value
      - .offset:         88
        .size:           4
        .value_kind:     by_value
    .group_segment_fixed_size: 4096
    .kernarg_segment_align: 8
    .kernarg_segment_size: 92
    .language:       OpenCL C
    .language_version:
      - 2
      - 0
    .max_flat_workgroup_size: 256
    .name:           _ZL37rocblas_syrkx_herkx_restricted_kernelIl19rocblas_complex_numIfELi16ELi32ELi8ELi1ELi1ELb0ELc67ELc85EKPKS1_KPS1_EviT_PT9_S7_lS9_S7_lPT10_S7_li
    .private_segment_fixed_size: 0
    .sgpr_count:     22
    .sgpr_spill_count: 0
    .symbol:         _ZL37rocblas_syrkx_herkx_restricted_kernelIl19rocblas_complex_numIfELi16ELi32ELi8ELi1ELi1ELb0ELc67ELc85EKPKS1_KPS1_EviT_PT9_S7_lS9_S7_lPT10_S7_li.kd
    .uniform_work_group_size: 1
    .uses_dynamic_stack: false
    .vgpr_count:     91
    .vgpr_spill_count: 0
    .wavefront_size: 32
    .workgroup_processor_mode: 1
  - .args:
      - .offset:         0
        .size:           4
        .value_kind:     by_value
      - .offset:         8
        .size:           8
        .value_kind:     by_value
      - .address_space:  global
        .offset:         16
        .size:           8
        .value_kind:     global_buffer
      - .offset:         24
        .size:           8
        .value_kind:     by_value
      - .offset:         32
        .size:           8
        .value_kind:     by_value
      - .address_space:  global
        .offset:         40
        .size:           8
        .value_kind:     global_buffer
      - .offset:         48
        .size:           8
        .value_kind:     by_value
      - .offset:         56
        .size:           8
        .value_kind:     by_value
      - .address_space:  global
        .offset:         64
        .size:           8
        .value_kind:     global_buffer
      - .offset:         72
        .size:           8
        .value_kind:     by_value
      - .offset:         80
        .size:           8
        .value_kind:     by_value
      - .offset:         88
        .size:           4
        .value_kind:     by_value
    .group_segment_fixed_size: 4096
    .kernarg_segment_align: 8
    .kernarg_segment_size: 92
    .language:       OpenCL C
    .language_version:
      - 2
      - 0
    .max_flat_workgroup_size: 256
    .name:           _ZL37rocblas_syrkx_herkx_restricted_kernelIl19rocblas_complex_numIfELi16ELi32ELi8ELi1ELi1ELb0ELc78ELc85EKPKS1_KPS1_EviT_PT9_S7_lS9_S7_lPT10_S7_li
    .private_segment_fixed_size: 0
    .sgpr_count:     22
    .sgpr_spill_count: 0
    .symbol:         _ZL37rocblas_syrkx_herkx_restricted_kernelIl19rocblas_complex_numIfELi16ELi32ELi8ELi1ELi1ELb0ELc78ELc85EKPKS1_KPS1_EviT_PT9_S7_lS9_S7_lPT10_S7_li.kd
    .uniform_work_group_size: 1
    .uses_dynamic_stack: false
    .vgpr_count:     92
    .vgpr_spill_count: 0
    .wavefront_size: 32
    .workgroup_processor_mode: 1
  - .args:
      - .offset:         0
        .size:           4
        .value_kind:     by_value
      - .offset:         8
        .size:           8
        .value_kind:     by_value
      - .address_space:  global
        .offset:         16
        .size:           8
        .value_kind:     global_buffer
      - .offset:         24
        .size:           8
        .value_kind:     by_value
      - .offset:         32
        .size:           8
        .value_kind:     by_value
      - .address_space:  global
        .offset:         40
        .size:           8
        .value_kind:     global_buffer
      - .offset:         48
        .size:           8
        .value_kind:     by_value
      - .offset:         56
        .size:           8
        .value_kind:     by_value
      - .address_space:  global
        .offset:         64
        .size:           8
        .value_kind:     global_buffer
      - .offset:         72
        .size:           8
        .value_kind:     by_value
      - .offset:         80
        .size:           8
        .value_kind:     by_value
      - .offset:         88
        .size:           4
        .value_kind:     by_value
    .group_segment_fixed_size: 4096
    .kernarg_segment_align: 8
    .kernarg_segment_size: 92
    .language:       OpenCL C
    .language_version:
      - 2
      - 0
    .max_flat_workgroup_size: 256
    .name:           _ZL37rocblas_syrkx_herkx_restricted_kernelIl19rocblas_complex_numIfELi16ELi32ELi8ELi1ELin1ELb0ELc84ELc76EKPKS1_KPS1_EviT_PT9_S7_lS9_S7_lPT10_S7_li
    .private_segment_fixed_size: 0
    .sgpr_count:     22
    .sgpr_spill_count: 0
    .symbol:         _ZL37rocblas_syrkx_herkx_restricted_kernelIl19rocblas_complex_numIfELi16ELi32ELi8ELi1ELin1ELb0ELc84ELc76EKPKS1_KPS1_EviT_PT9_S7_lS9_S7_lPT10_S7_li.kd
    .uniform_work_group_size: 1
    .uses_dynamic_stack: false
    .vgpr_count:     91
    .vgpr_spill_count: 0
    .wavefront_size: 32
    .workgroup_processor_mode: 1
  - .args:
      - .offset:         0
        .size:           4
        .value_kind:     by_value
      - .offset:         8
        .size:           8
        .value_kind:     by_value
      - .address_space:  global
        .offset:         16
        .size:           8
        .value_kind:     global_buffer
      - .offset:         24
        .size:           8
        .value_kind:     by_value
      - .offset:         32
        .size:           8
        .value_kind:     by_value
      - .address_space:  global
        .offset:         40
        .size:           8
        .value_kind:     global_buffer
      - .offset:         48
        .size:           8
        .value_kind:     by_value
      - .offset:         56
        .size:           8
        .value_kind:     by_value
      - .address_space:  global
        .offset:         64
        .size:           8
        .value_kind:     global_buffer
      - .offset:         72
        .size:           8
        .value_kind:     by_value
      - .offset:         80
        .size:           8
        .value_kind:     by_value
      - .offset:         88
        .size:           4
        .value_kind:     by_value
    .group_segment_fixed_size: 4096
    .kernarg_segment_align: 8
    .kernarg_segment_size: 92
    .language:       OpenCL C
    .language_version:
      - 2
      - 0
    .max_flat_workgroup_size: 256
    .name:           _ZL37rocblas_syrkx_herkx_restricted_kernelIl19rocblas_complex_numIfELi16ELi32ELi8ELi1ELin1ELb0ELc67ELc76EKPKS1_KPS1_EviT_PT9_S7_lS9_S7_lPT10_S7_li
    .private_segment_fixed_size: 0
    .sgpr_count:     22
    .sgpr_spill_count: 0
    .symbol:         _ZL37rocblas_syrkx_herkx_restricted_kernelIl19rocblas_complex_numIfELi16ELi32ELi8ELi1ELin1ELb0ELc67ELc76EKPKS1_KPS1_EviT_PT9_S7_lS9_S7_lPT10_S7_li.kd
    .uniform_work_group_size: 1
    .uses_dynamic_stack: false
    .vgpr_count:     91
    .vgpr_spill_count: 0
    .wavefront_size: 32
    .workgroup_processor_mode: 1
  - .args:
      - .offset:         0
        .size:           4
        .value_kind:     by_value
      - .offset:         8
        .size:           8
        .value_kind:     by_value
      - .address_space:  global
        .offset:         16
        .size:           8
        .value_kind:     global_buffer
      - .offset:         24
        .size:           8
        .value_kind:     by_value
      - .offset:         32
        .size:           8
        .value_kind:     by_value
      - .address_space:  global
        .offset:         40
        .size:           8
        .value_kind:     global_buffer
      - .offset:         48
        .size:           8
        .value_kind:     by_value
      - .offset:         56
        .size:           8
        .value_kind:     by_value
      - .address_space:  global
        .offset:         64
        .size:           8
        .value_kind:     global_buffer
      - .offset:         72
        .size:           8
        .value_kind:     by_value
      - .offset:         80
        .size:           8
        .value_kind:     by_value
      - .offset:         88
        .size:           4
        .value_kind:     by_value
    .group_segment_fixed_size: 4096
    .kernarg_segment_align: 8
    .kernarg_segment_size: 92
    .language:       OpenCL C
    .language_version:
      - 2
      - 0
    .max_flat_workgroup_size: 256
    .name:           _ZL37rocblas_syrkx_herkx_restricted_kernelIl19rocblas_complex_numIfELi16ELi32ELi8ELi1ELin1ELb0ELc78ELc76EKPKS1_KPS1_EviT_PT9_S7_lS9_S7_lPT10_S7_li
    .private_segment_fixed_size: 0
    .sgpr_count:     22
    .sgpr_spill_count: 0
    .symbol:         _ZL37rocblas_syrkx_herkx_restricted_kernelIl19rocblas_complex_numIfELi16ELi32ELi8ELi1ELin1ELb0ELc78ELc76EKPKS1_KPS1_EviT_PT9_S7_lS9_S7_lPT10_S7_li.kd
    .uniform_work_group_size: 1
    .uses_dynamic_stack: false
    .vgpr_count:     92
    .vgpr_spill_count: 0
    .wavefront_size: 32
    .workgroup_processor_mode: 1
  - .args:
      - .offset:         0
        .size:           4
        .value_kind:     by_value
      - .offset:         8
        .size:           8
        .value_kind:     by_value
      - .address_space:  global
        .offset:         16
        .size:           8
        .value_kind:     global_buffer
      - .offset:         24
        .size:           8
        .value_kind:     by_value
      - .offset:         32
        .size:           8
        .value_kind:     by_value
      - .address_space:  global
        .offset:         40
        .size:           8
        .value_kind:     global_buffer
      - .offset:         48
        .size:           8
        .value_kind:     by_value
      - .offset:         56
        .size:           8
        .value_kind:     by_value
      - .address_space:  global
        .offset:         64
        .size:           8
        .value_kind:     global_buffer
      - .offset:         72
        .size:           8
        .value_kind:     by_value
      - .offset:         80
        .size:           8
        .value_kind:     by_value
      - .offset:         88
        .size:           4
        .value_kind:     by_value
    .group_segment_fixed_size: 4096
    .kernarg_segment_align: 8
    .kernarg_segment_size: 92
    .language:       OpenCL C
    .language_version:
      - 2
      - 0
    .max_flat_workgroup_size: 256
    .name:           _ZL37rocblas_syrkx_herkx_restricted_kernelIl19rocblas_complex_numIfELi16ELi32ELi8ELi1ELin1ELb0ELc84ELc85EKPKS1_KPS1_EviT_PT9_S7_lS9_S7_lPT10_S7_li
    .private_segment_fixed_size: 0
    .sgpr_count:     22
    .sgpr_spill_count: 0
    .symbol:         _ZL37rocblas_syrkx_herkx_restricted_kernelIl19rocblas_complex_numIfELi16ELi32ELi8ELi1ELin1ELb0ELc84ELc85EKPKS1_KPS1_EviT_PT9_S7_lS9_S7_lPT10_S7_li.kd
    .uniform_work_group_size: 1
    .uses_dynamic_stack: false
    .vgpr_count:     91
    .vgpr_spill_count: 0
    .wavefront_size: 32
    .workgroup_processor_mode: 1
  - .args:
      - .offset:         0
        .size:           4
        .value_kind:     by_value
      - .offset:         8
        .size:           8
        .value_kind:     by_value
      - .address_space:  global
        .offset:         16
        .size:           8
        .value_kind:     global_buffer
      - .offset:         24
        .size:           8
        .value_kind:     by_value
      - .offset:         32
        .size:           8
        .value_kind:     by_value
      - .address_space:  global
        .offset:         40
        .size:           8
        .value_kind:     global_buffer
      - .offset:         48
        .size:           8
        .value_kind:     by_value
      - .offset:         56
        .size:           8
        .value_kind:     by_value
      - .address_space:  global
        .offset:         64
        .size:           8
        .value_kind:     global_buffer
      - .offset:         72
        .size:           8
        .value_kind:     by_value
      - .offset:         80
        .size:           8
        .value_kind:     by_value
      - .offset:         88
        .size:           4
        .value_kind:     by_value
    .group_segment_fixed_size: 4096
    .kernarg_segment_align: 8
    .kernarg_segment_size: 92
    .language:       OpenCL C
    .language_version:
      - 2
      - 0
    .max_flat_workgroup_size: 256
    .name:           _ZL37rocblas_syrkx_herkx_restricted_kernelIl19rocblas_complex_numIfELi16ELi32ELi8ELi1ELin1ELb0ELc67ELc85EKPKS1_KPS1_EviT_PT9_S7_lS9_S7_lPT10_S7_li
    .private_segment_fixed_size: 0
    .sgpr_count:     22
    .sgpr_spill_count: 0
    .symbol:         _ZL37rocblas_syrkx_herkx_restricted_kernelIl19rocblas_complex_numIfELi16ELi32ELi8ELi1ELin1ELb0ELc67ELc85EKPKS1_KPS1_EviT_PT9_S7_lS9_S7_lPT10_S7_li.kd
    .uniform_work_group_size: 1
    .uses_dynamic_stack: false
    .vgpr_count:     91
    .vgpr_spill_count: 0
    .wavefront_size: 32
    .workgroup_processor_mode: 1
  - .args:
      - .offset:         0
        .size:           4
        .value_kind:     by_value
      - .offset:         8
        .size:           8
        .value_kind:     by_value
      - .address_space:  global
        .offset:         16
        .size:           8
        .value_kind:     global_buffer
      - .offset:         24
        .size:           8
        .value_kind:     by_value
      - .offset:         32
        .size:           8
        .value_kind:     by_value
      - .address_space:  global
        .offset:         40
        .size:           8
        .value_kind:     global_buffer
      - .offset:         48
        .size:           8
        .value_kind:     by_value
      - .offset:         56
        .size:           8
        .value_kind:     by_value
      - .address_space:  global
        .offset:         64
        .size:           8
        .value_kind:     global_buffer
      - .offset:         72
        .size:           8
        .value_kind:     by_value
      - .offset:         80
        .size:           8
        .value_kind:     by_value
      - .offset:         88
        .size:           4
        .value_kind:     by_value
    .group_segment_fixed_size: 4096
    .kernarg_segment_align: 8
    .kernarg_segment_size: 92
    .language:       OpenCL C
    .language_version:
      - 2
      - 0
    .max_flat_workgroup_size: 256
    .name:           _ZL37rocblas_syrkx_herkx_restricted_kernelIl19rocblas_complex_numIfELi16ELi32ELi8ELi1ELin1ELb0ELc78ELc85EKPKS1_KPS1_EviT_PT9_S7_lS9_S7_lPT10_S7_li
    .private_segment_fixed_size: 0
    .sgpr_count:     22
    .sgpr_spill_count: 0
    .symbol:         _ZL37rocblas_syrkx_herkx_restricted_kernelIl19rocblas_complex_numIfELi16ELi32ELi8ELi1ELin1ELb0ELc78ELc85EKPKS1_KPS1_EviT_PT9_S7_lS9_S7_lPT10_S7_li.kd
    .uniform_work_group_size: 1
    .uses_dynamic_stack: false
    .vgpr_count:     92
    .vgpr_spill_count: 0
    .wavefront_size: 32
    .workgroup_processor_mode: 1
  - .args:
      - .offset:         0
        .size:           4
        .value_kind:     by_value
      - .offset:         8
        .size:           8
        .value_kind:     by_value
      - .address_space:  global
        .offset:         16
        .size:           8
        .value_kind:     global_buffer
      - .offset:         24
        .size:           8
        .value_kind:     by_value
      - .offset:         32
        .size:           8
        .value_kind:     by_value
      - .address_space:  global
        .offset:         40
        .size:           8
        .value_kind:     global_buffer
      - .offset:         48
        .size:           8
        .value_kind:     by_value
      - .offset:         56
        .size:           8
        .value_kind:     by_value
      - .address_space:  global
        .offset:         64
        .size:           8
        .value_kind:     global_buffer
      - .offset:         72
        .size:           8
        .value_kind:     by_value
      - .offset:         80
        .size:           8
        .value_kind:     by_value
      - .offset:         88
        .size:           4
        .value_kind:     by_value
    .group_segment_fixed_size: 4096
    .kernarg_segment_align: 8
    .kernarg_segment_size: 92
    .language:       OpenCL C
    .language_version:
      - 2
      - 0
    .max_flat_workgroup_size: 256
    .name:           _ZL37rocblas_syrkx_herkx_restricted_kernelIl19rocblas_complex_numIfELi16ELi32ELi8ELi1ELi0ELb0ELc84ELc76EKPKS1_KPS1_EviT_PT9_S7_lS9_S7_lPT10_S7_li
    .private_segment_fixed_size: 0
    .sgpr_count:     22
    .sgpr_spill_count: 0
    .symbol:         _ZL37rocblas_syrkx_herkx_restricted_kernelIl19rocblas_complex_numIfELi16ELi32ELi8ELi1ELi0ELb0ELc84ELc76EKPKS1_KPS1_EviT_PT9_S7_lS9_S7_lPT10_S7_li.kd
    .uniform_work_group_size: 1
    .uses_dynamic_stack: false
    .vgpr_count:     92
    .vgpr_spill_count: 0
    .wavefront_size: 32
    .workgroup_processor_mode: 1
  - .args:
      - .offset:         0
        .size:           4
        .value_kind:     by_value
      - .offset:         8
        .size:           8
        .value_kind:     by_value
      - .address_space:  global
        .offset:         16
        .size:           8
        .value_kind:     global_buffer
      - .offset:         24
        .size:           8
        .value_kind:     by_value
      - .offset:         32
        .size:           8
        .value_kind:     by_value
      - .address_space:  global
        .offset:         40
        .size:           8
        .value_kind:     global_buffer
      - .offset:         48
        .size:           8
        .value_kind:     by_value
      - .offset:         56
        .size:           8
        .value_kind:     by_value
      - .address_space:  global
        .offset:         64
        .size:           8
        .value_kind:     global_buffer
      - .offset:         72
        .size:           8
        .value_kind:     by_value
      - .offset:         80
        .size:           8
        .value_kind:     by_value
      - .offset:         88
        .size:           4
        .value_kind:     by_value
    .group_segment_fixed_size: 4096
    .kernarg_segment_align: 8
    .kernarg_segment_size: 92
    .language:       OpenCL C
    .language_version:
      - 2
      - 0
    .max_flat_workgroup_size: 256
    .name:           _ZL37rocblas_syrkx_herkx_restricted_kernelIl19rocblas_complex_numIfELi16ELi32ELi8ELi1ELi0ELb0ELc67ELc76EKPKS1_KPS1_EviT_PT9_S7_lS9_S7_lPT10_S7_li
    .private_segment_fixed_size: 0
    .sgpr_count:     22
    .sgpr_spill_count: 0
    .symbol:         _ZL37rocblas_syrkx_herkx_restricted_kernelIl19rocblas_complex_numIfELi16ELi32ELi8ELi1ELi0ELb0ELc67ELc76EKPKS1_KPS1_EviT_PT9_S7_lS9_S7_lPT10_S7_li.kd
    .uniform_work_group_size: 1
    .uses_dynamic_stack: false
    .vgpr_count:     92
    .vgpr_spill_count: 0
    .wavefront_size: 32
    .workgroup_processor_mode: 1
  - .args:
      - .offset:         0
        .size:           4
        .value_kind:     by_value
      - .offset:         8
        .size:           8
        .value_kind:     by_value
      - .address_space:  global
        .offset:         16
        .size:           8
        .value_kind:     global_buffer
      - .offset:         24
        .size:           8
        .value_kind:     by_value
      - .offset:         32
        .size:           8
        .value_kind:     by_value
      - .address_space:  global
        .offset:         40
        .size:           8
        .value_kind:     global_buffer
      - .offset:         48
        .size:           8
        .value_kind:     by_value
      - .offset:         56
        .size:           8
        .value_kind:     by_value
      - .address_space:  global
        .offset:         64
        .size:           8
        .value_kind:     global_buffer
      - .offset:         72
        .size:           8
        .value_kind:     by_value
      - .offset:         80
        .size:           8
        .value_kind:     by_value
      - .offset:         88
        .size:           4
        .value_kind:     by_value
    .group_segment_fixed_size: 4096
    .kernarg_segment_align: 8
    .kernarg_segment_size: 92
    .language:       OpenCL C
    .language_version:
      - 2
      - 0
    .max_flat_workgroup_size: 256
    .name:           _ZL37rocblas_syrkx_herkx_restricted_kernelIl19rocblas_complex_numIfELi16ELi32ELi8ELi1ELi0ELb0ELc78ELc76EKPKS1_KPS1_EviT_PT9_S7_lS9_S7_lPT10_S7_li
    .private_segment_fixed_size: 0
    .sgpr_count:     22
    .sgpr_spill_count: 0
    .symbol:         _ZL37rocblas_syrkx_herkx_restricted_kernelIl19rocblas_complex_numIfELi16ELi32ELi8ELi1ELi0ELb0ELc78ELc76EKPKS1_KPS1_EviT_PT9_S7_lS9_S7_lPT10_S7_li.kd
    .uniform_work_group_size: 1
    .uses_dynamic_stack: false
    .vgpr_count:     92
    .vgpr_spill_count: 0
    .wavefront_size: 32
    .workgroup_processor_mode: 1
  - .args:
      - .offset:         0
        .size:           4
        .value_kind:     by_value
      - .offset:         8
        .size:           8
        .value_kind:     by_value
      - .address_space:  global
        .offset:         16
        .size:           8
        .value_kind:     global_buffer
      - .offset:         24
        .size:           8
        .value_kind:     by_value
      - .offset:         32
        .size:           8
        .value_kind:     by_value
      - .address_space:  global
        .offset:         40
        .size:           8
        .value_kind:     global_buffer
      - .offset:         48
        .size:           8
        .value_kind:     by_value
      - .offset:         56
        .size:           8
        .value_kind:     by_value
      - .address_space:  global
        .offset:         64
        .size:           8
        .value_kind:     global_buffer
      - .offset:         72
        .size:           8
        .value_kind:     by_value
      - .offset:         80
        .size:           8
        .value_kind:     by_value
      - .offset:         88
        .size:           4
        .value_kind:     by_value
    .group_segment_fixed_size: 4096
    .kernarg_segment_align: 8
    .kernarg_segment_size: 92
    .language:       OpenCL C
    .language_version:
      - 2
      - 0
    .max_flat_workgroup_size: 256
    .name:           _ZL37rocblas_syrkx_herkx_restricted_kernelIl19rocblas_complex_numIfELi16ELi32ELi8ELi1ELi0ELb0ELc84ELc85EKPKS1_KPS1_EviT_PT9_S7_lS9_S7_lPT10_S7_li
    .private_segment_fixed_size: 0
    .sgpr_count:     22
    .sgpr_spill_count: 0
    .symbol:         _ZL37rocblas_syrkx_herkx_restricted_kernelIl19rocblas_complex_numIfELi16ELi32ELi8ELi1ELi0ELb0ELc84ELc85EKPKS1_KPS1_EviT_PT9_S7_lS9_S7_lPT10_S7_li.kd
    .uniform_work_group_size: 1
    .uses_dynamic_stack: false
    .vgpr_count:     92
    .vgpr_spill_count: 0
    .wavefront_size: 32
    .workgroup_processor_mode: 1
  - .args:
      - .offset:         0
        .size:           4
        .value_kind:     by_value
      - .offset:         8
        .size:           8
        .value_kind:     by_value
      - .address_space:  global
        .offset:         16
        .size:           8
        .value_kind:     global_buffer
      - .offset:         24
        .size:           8
        .value_kind:     by_value
      - .offset:         32
        .size:           8
        .value_kind:     by_value
      - .address_space:  global
        .offset:         40
        .size:           8
        .value_kind:     global_buffer
      - .offset:         48
        .size:           8
        .value_kind:     by_value
      - .offset:         56
        .size:           8
        .value_kind:     by_value
      - .address_space:  global
        .offset:         64
        .size:           8
        .value_kind:     global_buffer
      - .offset:         72
        .size:           8
        .value_kind:     by_value
      - .offset:         80
        .size:           8
        .value_kind:     by_value
      - .offset:         88
        .size:           4
        .value_kind:     by_value
    .group_segment_fixed_size: 4096
    .kernarg_segment_align: 8
    .kernarg_segment_size: 92
    .language:       OpenCL C
    .language_version:
      - 2
      - 0
    .max_flat_workgroup_size: 256
    .name:           _ZL37rocblas_syrkx_herkx_restricted_kernelIl19rocblas_complex_numIfELi16ELi32ELi8ELi1ELi0ELb0ELc67ELc85EKPKS1_KPS1_EviT_PT9_S7_lS9_S7_lPT10_S7_li
    .private_segment_fixed_size: 0
    .sgpr_count:     22
    .sgpr_spill_count: 0
    .symbol:         _ZL37rocblas_syrkx_herkx_restricted_kernelIl19rocblas_complex_numIfELi16ELi32ELi8ELi1ELi0ELb0ELc67ELc85EKPKS1_KPS1_EviT_PT9_S7_lS9_S7_lPT10_S7_li.kd
    .uniform_work_group_size: 1
    .uses_dynamic_stack: false
    .vgpr_count:     92
    .vgpr_spill_count: 0
    .wavefront_size: 32
    .workgroup_processor_mode: 1
  - .args:
      - .offset:         0
        .size:           4
        .value_kind:     by_value
      - .offset:         8
        .size:           8
        .value_kind:     by_value
      - .address_space:  global
        .offset:         16
        .size:           8
        .value_kind:     global_buffer
      - .offset:         24
        .size:           8
        .value_kind:     by_value
      - .offset:         32
        .size:           8
        .value_kind:     by_value
      - .address_space:  global
        .offset:         40
        .size:           8
        .value_kind:     global_buffer
      - .offset:         48
        .size:           8
        .value_kind:     by_value
      - .offset:         56
        .size:           8
        .value_kind:     by_value
      - .address_space:  global
        .offset:         64
        .size:           8
        .value_kind:     global_buffer
      - .offset:         72
        .size:           8
        .value_kind:     by_value
      - .offset:         80
        .size:           8
        .value_kind:     by_value
      - .offset:         88
        .size:           4
        .value_kind:     by_value
    .group_segment_fixed_size: 4096
    .kernarg_segment_align: 8
    .kernarg_segment_size: 92
    .language:       OpenCL C
    .language_version:
      - 2
      - 0
    .max_flat_workgroup_size: 256
    .name:           _ZL37rocblas_syrkx_herkx_restricted_kernelIl19rocblas_complex_numIfELi16ELi32ELi8ELi1ELi0ELb0ELc78ELc85EKPKS1_KPS1_EviT_PT9_S7_lS9_S7_lPT10_S7_li
    .private_segment_fixed_size: 0
    .sgpr_count:     22
    .sgpr_spill_count: 0
    .symbol:         _ZL37rocblas_syrkx_herkx_restricted_kernelIl19rocblas_complex_numIfELi16ELi32ELi8ELi1ELi0ELb0ELc78ELc85EKPKS1_KPS1_EviT_PT9_S7_lS9_S7_lPT10_S7_li.kd
    .uniform_work_group_size: 1
    .uses_dynamic_stack: false
    .vgpr_count:     92
    .vgpr_spill_count: 0
    .wavefront_size: 32
    .workgroup_processor_mode: 1
  - .args:
      - .offset:         0
        .size:           4
        .value_kind:     by_value
      - .offset:         8
        .size:           8
        .value_kind:     by_value
      - .address_space:  global
        .offset:         16
        .size:           8
        .value_kind:     global_buffer
      - .offset:         24
        .size:           8
        .value_kind:     by_value
      - .offset:         32
        .size:           8
        .value_kind:     by_value
      - .address_space:  global
        .offset:         40
        .size:           8
        .value_kind:     global_buffer
      - .offset:         48
        .size:           8
        .value_kind:     by_value
      - .offset:         56
        .size:           8
        .value_kind:     by_value
      - .address_space:  global
        .offset:         64
        .size:           8
        .value_kind:     global_buffer
      - .offset:         72
        .size:           8
        .value_kind:     by_value
      - .offset:         80
        .size:           8
        .value_kind:     by_value
      - .offset:         88
        .size:           4
        .value_kind:     by_value
    .group_segment_fixed_size: 4096
    .kernarg_segment_align: 8
    .kernarg_segment_size: 92
    .language:       OpenCL C
    .language_version:
      - 2
      - 0
    .max_flat_workgroup_size: 256
    .name:           _ZL37rocblas_syrkx_herkx_restricted_kernelIl19rocblas_complex_numIfELi16ELi32ELi8ELin1ELi0ELb0ELc84ELc76EKPKS1_KPS1_EviT_PT9_S7_lS9_S7_lPT10_S7_li
    .private_segment_fixed_size: 0
    .sgpr_count:     22
    .sgpr_spill_count: 0
    .symbol:         _ZL37rocblas_syrkx_herkx_restricted_kernelIl19rocblas_complex_numIfELi16ELi32ELi8ELin1ELi0ELb0ELc84ELc76EKPKS1_KPS1_EviT_PT9_S7_lS9_S7_lPT10_S7_li.kd
    .uniform_work_group_size: 1
    .uses_dynamic_stack: false
    .vgpr_count:     91
    .vgpr_spill_count: 0
    .wavefront_size: 32
    .workgroup_processor_mode: 1
  - .args:
      - .offset:         0
        .size:           4
        .value_kind:     by_value
      - .offset:         8
        .size:           8
        .value_kind:     by_value
      - .address_space:  global
        .offset:         16
        .size:           8
        .value_kind:     global_buffer
      - .offset:         24
        .size:           8
        .value_kind:     by_value
      - .offset:         32
        .size:           8
        .value_kind:     by_value
      - .address_space:  global
        .offset:         40
        .size:           8
        .value_kind:     global_buffer
      - .offset:         48
        .size:           8
        .value_kind:     by_value
      - .offset:         56
        .size:           8
        .value_kind:     by_value
      - .address_space:  global
        .offset:         64
        .size:           8
        .value_kind:     global_buffer
      - .offset:         72
        .size:           8
        .value_kind:     by_value
      - .offset:         80
        .size:           8
        .value_kind:     by_value
      - .offset:         88
        .size:           4
        .value_kind:     by_value
    .group_segment_fixed_size: 4096
    .kernarg_segment_align: 8
    .kernarg_segment_size: 92
    .language:       OpenCL C
    .language_version:
      - 2
      - 0
    .max_flat_workgroup_size: 256
    .name:           _ZL37rocblas_syrkx_herkx_restricted_kernelIl19rocblas_complex_numIfELi16ELi32ELi8ELin1ELi0ELb0ELc67ELc76EKPKS1_KPS1_EviT_PT9_S7_lS9_S7_lPT10_S7_li
    .private_segment_fixed_size: 0
    .sgpr_count:     22
    .sgpr_spill_count: 0
    .symbol:         _ZL37rocblas_syrkx_herkx_restricted_kernelIl19rocblas_complex_numIfELi16ELi32ELi8ELin1ELi0ELb0ELc67ELc76EKPKS1_KPS1_EviT_PT9_S7_lS9_S7_lPT10_S7_li.kd
    .uniform_work_group_size: 1
    .uses_dynamic_stack: false
    .vgpr_count:     91
    .vgpr_spill_count: 0
    .wavefront_size: 32
    .workgroup_processor_mode: 1
  - .args:
      - .offset:         0
        .size:           4
        .value_kind:     by_value
      - .offset:         8
        .size:           8
        .value_kind:     by_value
      - .address_space:  global
        .offset:         16
        .size:           8
        .value_kind:     global_buffer
      - .offset:         24
        .size:           8
        .value_kind:     by_value
      - .offset:         32
        .size:           8
        .value_kind:     by_value
      - .address_space:  global
        .offset:         40
        .size:           8
        .value_kind:     global_buffer
      - .offset:         48
        .size:           8
        .value_kind:     by_value
      - .offset:         56
        .size:           8
        .value_kind:     by_value
      - .address_space:  global
        .offset:         64
        .size:           8
        .value_kind:     global_buffer
      - .offset:         72
        .size:           8
        .value_kind:     by_value
      - .offset:         80
        .size:           8
        .value_kind:     by_value
      - .offset:         88
        .size:           4
        .value_kind:     by_value
    .group_segment_fixed_size: 4096
    .kernarg_segment_align: 8
    .kernarg_segment_size: 92
    .language:       OpenCL C
    .language_version:
      - 2
      - 0
    .max_flat_workgroup_size: 256
    .name:           _ZL37rocblas_syrkx_herkx_restricted_kernelIl19rocblas_complex_numIfELi16ELi32ELi8ELin1ELi0ELb0ELc78ELc76EKPKS1_KPS1_EviT_PT9_S7_lS9_S7_lPT10_S7_li
    .private_segment_fixed_size: 0
    .sgpr_count:     22
    .sgpr_spill_count: 0
    .symbol:         _ZL37rocblas_syrkx_herkx_restricted_kernelIl19rocblas_complex_numIfELi16ELi32ELi8ELin1ELi0ELb0ELc78ELc76EKPKS1_KPS1_EviT_PT9_S7_lS9_S7_lPT10_S7_li.kd
    .uniform_work_group_size: 1
    .uses_dynamic_stack: false
    .vgpr_count:     92
    .vgpr_spill_count: 0
    .wavefront_size: 32
    .workgroup_processor_mode: 1
  - .args:
      - .offset:         0
        .size:           4
        .value_kind:     by_value
      - .offset:         8
        .size:           8
        .value_kind:     by_value
      - .address_space:  global
        .offset:         16
        .size:           8
        .value_kind:     global_buffer
      - .offset:         24
        .size:           8
        .value_kind:     by_value
      - .offset:         32
        .size:           8
        .value_kind:     by_value
      - .address_space:  global
        .offset:         40
        .size:           8
        .value_kind:     global_buffer
      - .offset:         48
        .size:           8
        .value_kind:     by_value
      - .offset:         56
        .size:           8
        .value_kind:     by_value
      - .address_space:  global
        .offset:         64
        .size:           8
        .value_kind:     global_buffer
      - .offset:         72
        .size:           8
        .value_kind:     by_value
      - .offset:         80
        .size:           8
        .value_kind:     by_value
      - .offset:         88
        .size:           4
        .value_kind:     by_value
    .group_segment_fixed_size: 4096
    .kernarg_segment_align: 8
    .kernarg_segment_size: 92
    .language:       OpenCL C
    .language_version:
      - 2
      - 0
    .max_flat_workgroup_size: 256
    .name:           _ZL37rocblas_syrkx_herkx_restricted_kernelIl19rocblas_complex_numIfELi16ELi32ELi8ELin1ELi0ELb0ELc84ELc85EKPKS1_KPS1_EviT_PT9_S7_lS9_S7_lPT10_S7_li
    .private_segment_fixed_size: 0
    .sgpr_count:     22
    .sgpr_spill_count: 0
    .symbol:         _ZL37rocblas_syrkx_herkx_restricted_kernelIl19rocblas_complex_numIfELi16ELi32ELi8ELin1ELi0ELb0ELc84ELc85EKPKS1_KPS1_EviT_PT9_S7_lS9_S7_lPT10_S7_li.kd
    .uniform_work_group_size: 1
    .uses_dynamic_stack: false
    .vgpr_count:     91
    .vgpr_spill_count: 0
    .wavefront_size: 32
    .workgroup_processor_mode: 1
  - .args:
      - .offset:         0
        .size:           4
        .value_kind:     by_value
      - .offset:         8
        .size:           8
        .value_kind:     by_value
      - .address_space:  global
        .offset:         16
        .size:           8
        .value_kind:     global_buffer
      - .offset:         24
        .size:           8
        .value_kind:     by_value
      - .offset:         32
        .size:           8
        .value_kind:     by_value
      - .address_space:  global
        .offset:         40
        .size:           8
        .value_kind:     global_buffer
      - .offset:         48
        .size:           8
        .value_kind:     by_value
      - .offset:         56
        .size:           8
        .value_kind:     by_value
      - .address_space:  global
        .offset:         64
        .size:           8
        .value_kind:     global_buffer
      - .offset:         72
        .size:           8
        .value_kind:     by_value
      - .offset:         80
        .size:           8
        .value_kind:     by_value
      - .offset:         88
        .size:           4
        .value_kind:     by_value
    .group_segment_fixed_size: 4096
    .kernarg_segment_align: 8
    .kernarg_segment_size: 92
    .language:       OpenCL C
    .language_version:
      - 2
      - 0
    .max_flat_workgroup_size: 256
    .name:           _ZL37rocblas_syrkx_herkx_restricted_kernelIl19rocblas_complex_numIfELi16ELi32ELi8ELin1ELi0ELb0ELc67ELc85EKPKS1_KPS1_EviT_PT9_S7_lS9_S7_lPT10_S7_li
    .private_segment_fixed_size: 0
    .sgpr_count:     22
    .sgpr_spill_count: 0
    .symbol:         _ZL37rocblas_syrkx_herkx_restricted_kernelIl19rocblas_complex_numIfELi16ELi32ELi8ELin1ELi0ELb0ELc67ELc85EKPKS1_KPS1_EviT_PT9_S7_lS9_S7_lPT10_S7_li.kd
    .uniform_work_group_size: 1
    .uses_dynamic_stack: false
    .vgpr_count:     91
    .vgpr_spill_count: 0
    .wavefront_size: 32
    .workgroup_processor_mode: 1
  - .args:
      - .offset:         0
        .size:           4
        .value_kind:     by_value
      - .offset:         8
        .size:           8
        .value_kind:     by_value
      - .address_space:  global
        .offset:         16
        .size:           8
        .value_kind:     global_buffer
      - .offset:         24
        .size:           8
        .value_kind:     by_value
      - .offset:         32
        .size:           8
        .value_kind:     by_value
      - .address_space:  global
        .offset:         40
        .size:           8
        .value_kind:     global_buffer
      - .offset:         48
        .size:           8
        .value_kind:     by_value
      - .offset:         56
        .size:           8
        .value_kind:     by_value
      - .address_space:  global
        .offset:         64
        .size:           8
        .value_kind:     global_buffer
      - .offset:         72
        .size:           8
        .value_kind:     by_value
      - .offset:         80
        .size:           8
        .value_kind:     by_value
      - .offset:         88
        .size:           4
        .value_kind:     by_value
    .group_segment_fixed_size: 4096
    .kernarg_segment_align: 8
    .kernarg_segment_size: 92
    .language:       OpenCL C
    .language_version:
      - 2
      - 0
    .max_flat_workgroup_size: 256
    .name:           _ZL37rocblas_syrkx_herkx_restricted_kernelIl19rocblas_complex_numIfELi16ELi32ELi8ELin1ELi0ELb0ELc78ELc85EKPKS1_KPS1_EviT_PT9_S7_lS9_S7_lPT10_S7_li
    .private_segment_fixed_size: 0
    .sgpr_count:     22
    .sgpr_spill_count: 0
    .symbol:         _ZL37rocblas_syrkx_herkx_restricted_kernelIl19rocblas_complex_numIfELi16ELi32ELi8ELin1ELi0ELb0ELc78ELc85EKPKS1_KPS1_EviT_PT9_S7_lS9_S7_lPT10_S7_li.kd
    .uniform_work_group_size: 1
    .uses_dynamic_stack: false
    .vgpr_count:     92
    .vgpr_spill_count: 0
    .wavefront_size: 32
    .workgroup_processor_mode: 1
  - .args:
      - .offset:         0
        .size:           4
        .value_kind:     by_value
      - .offset:         8
        .size:           8
        .value_kind:     by_value
      - .offset:         16
        .size:           8
        .value_kind:     by_value
      - .address_space:  global
        .offset:         24
        .size:           8
        .value_kind:     global_buffer
      - .offset:         32
        .size:           8
        .value_kind:     by_value
      - .offset:         40
        .size:           8
        .value_kind:     by_value
      - .address_space:  global
        .offset:         48
        .size:           8
        .value_kind:     global_buffer
      - .offset:         56
        .size:           8
        .value_kind:     by_value
      - .offset:         64
        .size:           8
        .value_kind:     by_value
      - .offset:         72
        .size:           8
        .value_kind:     by_value
      - .address_space:  global
        .offset:         80
        .size:           8
        .value_kind:     global_buffer
      - .offset:         88
        .size:           8
        .value_kind:     by_value
      - .offset:         96
        .size:           8
        .value_kind:     by_value
      - .offset:         104
        .size:           4
        .value_kind:     by_value
    .group_segment_fixed_size: 4096
    .kernarg_segment_align: 8
    .kernarg_segment_size: 108
    .language:       OpenCL C
    .language_version:
      - 2
      - 0
    .max_flat_workgroup_size: 256
    .name:           _ZL37rocblas_syrkx_herkx_restricted_kernelIl19rocblas_complex_numIfELi16ELi32ELi8ELb1ELb0ELc84ELc76EKPKS1_KPS1_EviT_T0_PT8_S7_lSA_S7_lS8_PT9_S7_li
    .private_segment_fixed_size: 0
    .sgpr_count:     24
    .sgpr_spill_count: 0
    .symbol:         _ZL37rocblas_syrkx_herkx_restricted_kernelIl19rocblas_complex_numIfELi16ELi32ELi8ELb1ELb0ELc84ELc76EKPKS1_KPS1_EviT_T0_PT8_S7_lSA_S7_lS8_PT9_S7_li.kd
    .uniform_work_group_size: 1
    .uses_dynamic_stack: false
    .vgpr_count:     91
    .vgpr_spill_count: 0
    .wavefront_size: 32
    .workgroup_processor_mode: 1
  - .args:
      - .offset:         0
        .size:           4
        .value_kind:     by_value
      - .offset:         8
        .size:           8
        .value_kind:     by_value
      - .offset:         16
        .size:           8
        .value_kind:     by_value
      - .address_space:  global
        .offset:         24
        .size:           8
        .value_kind:     global_buffer
      - .offset:         32
        .size:           8
        .value_kind:     by_value
      - .offset:         40
        .size:           8
        .value_kind:     by_value
      - .address_space:  global
        .offset:         48
        .size:           8
        .value_kind:     global_buffer
      - .offset:         56
        .size:           8
        .value_kind:     by_value
      - .offset:         64
        .size:           8
        .value_kind:     by_value
      - .offset:         72
        .size:           8
        .value_kind:     by_value
      - .address_space:  global
        .offset:         80
        .size:           8
        .value_kind:     global_buffer
      - .offset:         88
        .size:           8
        .value_kind:     by_value
      - .offset:         96
        .size:           8
        .value_kind:     by_value
      - .offset:         104
        .size:           4
        .value_kind:     by_value
    .group_segment_fixed_size: 4096
    .kernarg_segment_align: 8
    .kernarg_segment_size: 108
    .language:       OpenCL C
    .language_version:
      - 2
      - 0
    .max_flat_workgroup_size: 256
    .name:           _ZL37rocblas_syrkx_herkx_restricted_kernelIl19rocblas_complex_numIfELi16ELi32ELi8ELb1ELb0ELc67ELc76EKPKS1_KPS1_EviT_T0_PT8_S7_lSA_S7_lS8_PT9_S7_li
    .private_segment_fixed_size: 0
    .sgpr_count:     24
    .sgpr_spill_count: 0
    .symbol:         _ZL37rocblas_syrkx_herkx_restricted_kernelIl19rocblas_complex_numIfELi16ELi32ELi8ELb1ELb0ELc67ELc76EKPKS1_KPS1_EviT_T0_PT8_S7_lSA_S7_lS8_PT9_S7_li.kd
    .uniform_work_group_size: 1
    .uses_dynamic_stack: false
    .vgpr_count:     91
    .vgpr_spill_count: 0
    .wavefront_size: 32
    .workgroup_processor_mode: 1
  - .args:
      - .offset:         0
        .size:           4
        .value_kind:     by_value
      - .offset:         8
        .size:           8
        .value_kind:     by_value
      - .offset:         16
        .size:           8
        .value_kind:     by_value
      - .address_space:  global
        .offset:         24
        .size:           8
        .value_kind:     global_buffer
      - .offset:         32
        .size:           8
        .value_kind:     by_value
      - .offset:         40
        .size:           8
        .value_kind:     by_value
      - .address_space:  global
        .offset:         48
        .size:           8
        .value_kind:     global_buffer
      - .offset:         56
        .size:           8
        .value_kind:     by_value
      - .offset:         64
        .size:           8
        .value_kind:     by_value
      - .offset:         72
        .size:           8
        .value_kind:     by_value
      - .address_space:  global
        .offset:         80
        .size:           8
        .value_kind:     global_buffer
      - .offset:         88
        .size:           8
        .value_kind:     by_value
      - .offset:         96
        .size:           8
        .value_kind:     by_value
      - .offset:         104
        .size:           4
        .value_kind:     by_value
    .group_segment_fixed_size: 4096
    .kernarg_segment_align: 8
    .kernarg_segment_size: 108
    .language:       OpenCL C
    .language_version:
      - 2
      - 0
    .max_flat_workgroup_size: 256
    .name:           _ZL37rocblas_syrkx_herkx_restricted_kernelIl19rocblas_complex_numIfELi16ELi32ELi8ELb1ELb0ELc78ELc76EKPKS1_KPS1_EviT_T0_PT8_S7_lSA_S7_lS8_PT9_S7_li
    .private_segment_fixed_size: 0
    .sgpr_count:     24
    .sgpr_spill_count: 0
    .symbol:         _ZL37rocblas_syrkx_herkx_restricted_kernelIl19rocblas_complex_numIfELi16ELi32ELi8ELb1ELb0ELc78ELc76EKPKS1_KPS1_EviT_T0_PT8_S7_lSA_S7_lS8_PT9_S7_li.kd
    .uniform_work_group_size: 1
    .uses_dynamic_stack: false
    .vgpr_count:     92
    .vgpr_spill_count: 0
    .wavefront_size: 32
    .workgroup_processor_mode: 1
  - .args:
      - .offset:         0
        .size:           4
        .value_kind:     by_value
      - .offset:         8
        .size:           8
        .value_kind:     by_value
      - .offset:         16
        .size:           8
        .value_kind:     by_value
      - .address_space:  global
        .offset:         24
        .size:           8
        .value_kind:     global_buffer
      - .offset:         32
        .size:           8
        .value_kind:     by_value
      - .offset:         40
        .size:           8
        .value_kind:     by_value
      - .address_space:  global
        .offset:         48
        .size:           8
        .value_kind:     global_buffer
      - .offset:         56
        .size:           8
        .value_kind:     by_value
      - .offset:         64
        .size:           8
        .value_kind:     by_value
      - .offset:         72
        .size:           8
        .value_kind:     by_value
      - .address_space:  global
        .offset:         80
        .size:           8
        .value_kind:     global_buffer
      - .offset:         88
        .size:           8
        .value_kind:     by_value
      - .offset:         96
        .size:           8
        .value_kind:     by_value
      - .offset:         104
        .size:           4
        .value_kind:     by_value
    .group_segment_fixed_size: 4096
    .kernarg_segment_align: 8
    .kernarg_segment_size: 108
    .language:       OpenCL C
    .language_version:
      - 2
      - 0
    .max_flat_workgroup_size: 256
    .name:           _ZL37rocblas_syrkx_herkx_restricted_kernelIl19rocblas_complex_numIfELi16ELi32ELi8ELb1ELb0ELc84ELc85EKPKS1_KPS1_EviT_T0_PT8_S7_lSA_S7_lS8_PT9_S7_li
    .private_segment_fixed_size: 0
    .sgpr_count:     24
    .sgpr_spill_count: 0
    .symbol:         _ZL37rocblas_syrkx_herkx_restricted_kernelIl19rocblas_complex_numIfELi16ELi32ELi8ELb1ELb0ELc84ELc85EKPKS1_KPS1_EviT_T0_PT8_S7_lSA_S7_lS8_PT9_S7_li.kd
    .uniform_work_group_size: 1
    .uses_dynamic_stack: false
    .vgpr_count:     91
    .vgpr_spill_count: 0
    .wavefront_size: 32
    .workgroup_processor_mode: 1
  - .args:
      - .offset:         0
        .size:           4
        .value_kind:     by_value
      - .offset:         8
        .size:           8
        .value_kind:     by_value
      - .offset:         16
        .size:           8
        .value_kind:     by_value
      - .address_space:  global
        .offset:         24
        .size:           8
        .value_kind:     global_buffer
      - .offset:         32
        .size:           8
        .value_kind:     by_value
      - .offset:         40
        .size:           8
        .value_kind:     by_value
      - .address_space:  global
        .offset:         48
        .size:           8
        .value_kind:     global_buffer
      - .offset:         56
        .size:           8
        .value_kind:     by_value
      - .offset:         64
        .size:           8
        .value_kind:     by_value
      - .offset:         72
        .size:           8
        .value_kind:     by_value
      - .address_space:  global
        .offset:         80
        .size:           8
        .value_kind:     global_buffer
      - .offset:         88
        .size:           8
        .value_kind:     by_value
      - .offset:         96
        .size:           8
        .value_kind:     by_value
      - .offset:         104
        .size:           4
        .value_kind:     by_value
    .group_segment_fixed_size: 4096
    .kernarg_segment_align: 8
    .kernarg_segment_size: 108
    .language:       OpenCL C
    .language_version:
      - 2
      - 0
    .max_flat_workgroup_size: 256
    .name:           _ZL37rocblas_syrkx_herkx_restricted_kernelIl19rocblas_complex_numIfELi16ELi32ELi8ELb1ELb0ELc67ELc85EKPKS1_KPS1_EviT_T0_PT8_S7_lSA_S7_lS8_PT9_S7_li
    .private_segment_fixed_size: 0
    .sgpr_count:     24
    .sgpr_spill_count: 0
    .symbol:         _ZL37rocblas_syrkx_herkx_restricted_kernelIl19rocblas_complex_numIfELi16ELi32ELi8ELb1ELb0ELc67ELc85EKPKS1_KPS1_EviT_T0_PT8_S7_lSA_S7_lS8_PT9_S7_li.kd
    .uniform_work_group_size: 1
    .uses_dynamic_stack: false
    .vgpr_count:     91
    .vgpr_spill_count: 0
    .wavefront_size: 32
    .workgroup_processor_mode: 1
  - .args:
      - .offset:         0
        .size:           4
        .value_kind:     by_value
      - .offset:         8
        .size:           8
        .value_kind:     by_value
      - .offset:         16
        .size:           8
        .value_kind:     by_value
      - .address_space:  global
        .offset:         24
        .size:           8
        .value_kind:     global_buffer
      - .offset:         32
        .size:           8
        .value_kind:     by_value
      - .offset:         40
        .size:           8
        .value_kind:     by_value
      - .address_space:  global
        .offset:         48
        .size:           8
        .value_kind:     global_buffer
      - .offset:         56
        .size:           8
        .value_kind:     by_value
      - .offset:         64
        .size:           8
        .value_kind:     by_value
      - .offset:         72
        .size:           8
        .value_kind:     by_value
      - .address_space:  global
        .offset:         80
        .size:           8
        .value_kind:     global_buffer
      - .offset:         88
        .size:           8
        .value_kind:     by_value
      - .offset:         96
        .size:           8
        .value_kind:     by_value
      - .offset:         104
        .size:           4
        .value_kind:     by_value
    .group_segment_fixed_size: 4096
    .kernarg_segment_align: 8
    .kernarg_segment_size: 108
    .language:       OpenCL C
    .language_version:
      - 2
      - 0
    .max_flat_workgroup_size: 256
    .name:           _ZL37rocblas_syrkx_herkx_restricted_kernelIl19rocblas_complex_numIfELi16ELi32ELi8ELb1ELb0ELc78ELc85EKPKS1_KPS1_EviT_T0_PT8_S7_lSA_S7_lS8_PT9_S7_li
    .private_segment_fixed_size: 0
    .sgpr_count:     24
    .sgpr_spill_count: 0
    .symbol:         _ZL37rocblas_syrkx_herkx_restricted_kernelIl19rocblas_complex_numIfELi16ELi32ELi8ELb1ELb0ELc78ELc85EKPKS1_KPS1_EviT_T0_PT8_S7_lSA_S7_lS8_PT9_S7_li.kd
    .uniform_work_group_size: 1
    .uses_dynamic_stack: false
    .vgpr_count:     92
    .vgpr_spill_count: 0
    .wavefront_size: 32
    .workgroup_processor_mode: 1
  - .args:
      - .offset:         0
        .size:           4
        .value_kind:     by_value
      - .offset:         8
        .size:           8
        .value_kind:     by_value
      - .offset:         16
        .size:           8
        .value_kind:     by_value
      - .address_space:  global
        .offset:         24
        .size:           8
        .value_kind:     global_buffer
      - .offset:         32
        .size:           8
        .value_kind:     by_value
      - .offset:         40
        .size:           8
        .value_kind:     by_value
      - .address_space:  global
        .offset:         48
        .size:           8
        .value_kind:     global_buffer
      - .offset:         56
        .size:           8
        .value_kind:     by_value
      - .offset:         64
        .size:           8
        .value_kind:     by_value
      - .offset:         72
        .size:           8
        .value_kind:     by_value
      - .address_space:  global
        .offset:         80
        .size:           8
        .value_kind:     global_buffer
      - .offset:         88
        .size:           8
        .value_kind:     by_value
      - .offset:         96
        .size:           8
        .value_kind:     by_value
      - .offset:         104
        .size:           4
        .value_kind:     by_value
    .group_segment_fixed_size: 4096
    .kernarg_segment_align: 8
    .kernarg_segment_size: 108
    .language:       OpenCL C
    .language_version:
      - 2
      - 0
    .max_flat_workgroup_size: 256
    .name:           _ZL37rocblas_syrkx_herkx_restricted_kernelIl19rocblas_complex_numIfELi16ELi32ELi8ELb0ELb0ELc84ELc76EKPKS1_KPS1_EviT_T0_PT8_S7_lSA_S7_lS8_PT9_S7_li
    .private_segment_fixed_size: 0
    .sgpr_count:     26
    .sgpr_spill_count: 0
    .symbol:         _ZL37rocblas_syrkx_herkx_restricted_kernelIl19rocblas_complex_numIfELi16ELi32ELi8ELb0ELb0ELc84ELc76EKPKS1_KPS1_EviT_T0_PT8_S7_lSA_S7_lS8_PT9_S7_li.kd
    .uniform_work_group_size: 1
    .uses_dynamic_stack: false
    .vgpr_count:     91
    .vgpr_spill_count: 0
    .wavefront_size: 32
    .workgroup_processor_mode: 1
  - .args:
      - .offset:         0
        .size:           4
        .value_kind:     by_value
      - .offset:         8
        .size:           8
        .value_kind:     by_value
      - .offset:         16
        .size:           8
        .value_kind:     by_value
      - .address_space:  global
        .offset:         24
        .size:           8
        .value_kind:     global_buffer
      - .offset:         32
        .size:           8
        .value_kind:     by_value
      - .offset:         40
        .size:           8
        .value_kind:     by_value
      - .address_space:  global
        .offset:         48
        .size:           8
        .value_kind:     global_buffer
      - .offset:         56
        .size:           8
        .value_kind:     by_value
      - .offset:         64
        .size:           8
        .value_kind:     by_value
      - .offset:         72
        .size:           8
        .value_kind:     by_value
      - .address_space:  global
        .offset:         80
        .size:           8
        .value_kind:     global_buffer
      - .offset:         88
        .size:           8
        .value_kind:     by_value
      - .offset:         96
        .size:           8
        .value_kind:     by_value
      - .offset:         104
        .size:           4
        .value_kind:     by_value
    .group_segment_fixed_size: 4096
    .kernarg_segment_align: 8
    .kernarg_segment_size: 108
    .language:       OpenCL C
    .language_version:
      - 2
      - 0
    .max_flat_workgroup_size: 256
    .name:           _ZL37rocblas_syrkx_herkx_restricted_kernelIl19rocblas_complex_numIfELi16ELi32ELi8ELb0ELb0ELc67ELc76EKPKS1_KPS1_EviT_T0_PT8_S7_lSA_S7_lS8_PT9_S7_li
    .private_segment_fixed_size: 0
    .sgpr_count:     26
    .sgpr_spill_count: 0
    .symbol:         _ZL37rocblas_syrkx_herkx_restricted_kernelIl19rocblas_complex_numIfELi16ELi32ELi8ELb0ELb0ELc67ELc76EKPKS1_KPS1_EviT_T0_PT8_S7_lSA_S7_lS8_PT9_S7_li.kd
    .uniform_work_group_size: 1
    .uses_dynamic_stack: false
    .vgpr_count:     91
    .vgpr_spill_count: 0
    .wavefront_size: 32
    .workgroup_processor_mode: 1
  - .args:
      - .offset:         0
        .size:           4
        .value_kind:     by_value
      - .offset:         8
        .size:           8
        .value_kind:     by_value
      - .offset:         16
        .size:           8
        .value_kind:     by_value
      - .address_space:  global
        .offset:         24
        .size:           8
        .value_kind:     global_buffer
      - .offset:         32
        .size:           8
        .value_kind:     by_value
      - .offset:         40
        .size:           8
        .value_kind:     by_value
      - .address_space:  global
        .offset:         48
        .size:           8
        .value_kind:     global_buffer
      - .offset:         56
        .size:           8
        .value_kind:     by_value
      - .offset:         64
        .size:           8
        .value_kind:     by_value
      - .offset:         72
        .size:           8
        .value_kind:     by_value
      - .address_space:  global
        .offset:         80
        .size:           8
        .value_kind:     global_buffer
      - .offset:         88
        .size:           8
        .value_kind:     by_value
      - .offset:         96
        .size:           8
        .value_kind:     by_value
      - .offset:         104
        .size:           4
        .value_kind:     by_value
    .group_segment_fixed_size: 4096
    .kernarg_segment_align: 8
    .kernarg_segment_size: 108
    .language:       OpenCL C
    .language_version:
      - 2
      - 0
    .max_flat_workgroup_size: 256
    .name:           _ZL37rocblas_syrkx_herkx_restricted_kernelIl19rocblas_complex_numIfELi16ELi32ELi8ELb0ELb0ELc78ELc76EKPKS1_KPS1_EviT_T0_PT8_S7_lSA_S7_lS8_PT9_S7_li
    .private_segment_fixed_size: 0
    .sgpr_count:     26
    .sgpr_spill_count: 0
    .symbol:         _ZL37rocblas_syrkx_herkx_restricted_kernelIl19rocblas_complex_numIfELi16ELi32ELi8ELb0ELb0ELc78ELc76EKPKS1_KPS1_EviT_T0_PT8_S7_lSA_S7_lS8_PT9_S7_li.kd
    .uniform_work_group_size: 1
    .uses_dynamic_stack: false
    .vgpr_count:     92
    .vgpr_spill_count: 0
    .wavefront_size: 32
    .workgroup_processor_mode: 1
  - .args:
      - .offset:         0
        .size:           4
        .value_kind:     by_value
      - .offset:         8
        .size:           8
        .value_kind:     by_value
      - .offset:         16
        .size:           8
        .value_kind:     by_value
      - .address_space:  global
        .offset:         24
        .size:           8
        .value_kind:     global_buffer
      - .offset:         32
        .size:           8
        .value_kind:     by_value
      - .offset:         40
        .size:           8
        .value_kind:     by_value
      - .address_space:  global
        .offset:         48
        .size:           8
        .value_kind:     global_buffer
      - .offset:         56
        .size:           8
        .value_kind:     by_value
      - .offset:         64
        .size:           8
        .value_kind:     by_value
      - .offset:         72
        .size:           8
        .value_kind:     by_value
      - .address_space:  global
        .offset:         80
        .size:           8
        .value_kind:     global_buffer
      - .offset:         88
        .size:           8
        .value_kind:     by_value
      - .offset:         96
        .size:           8
        .value_kind:     by_value
      - .offset:         104
        .size:           4
        .value_kind:     by_value
    .group_segment_fixed_size: 4096
    .kernarg_segment_align: 8
    .kernarg_segment_size: 108
    .language:       OpenCL C
    .language_version:
      - 2
      - 0
    .max_flat_workgroup_size: 256
    .name:           _ZL37rocblas_syrkx_herkx_restricted_kernelIl19rocblas_complex_numIfELi16ELi32ELi8ELb0ELb0ELc84ELc85EKPKS1_KPS1_EviT_T0_PT8_S7_lSA_S7_lS8_PT9_S7_li
    .private_segment_fixed_size: 0
    .sgpr_count:     26
    .sgpr_spill_count: 0
    .symbol:         _ZL37rocblas_syrkx_herkx_restricted_kernelIl19rocblas_complex_numIfELi16ELi32ELi8ELb0ELb0ELc84ELc85EKPKS1_KPS1_EviT_T0_PT8_S7_lSA_S7_lS8_PT9_S7_li.kd
    .uniform_work_group_size: 1
    .uses_dynamic_stack: false
    .vgpr_count:     91
    .vgpr_spill_count: 0
    .wavefront_size: 32
    .workgroup_processor_mode: 1
  - .args:
      - .offset:         0
        .size:           4
        .value_kind:     by_value
      - .offset:         8
        .size:           8
        .value_kind:     by_value
      - .offset:         16
        .size:           8
        .value_kind:     by_value
      - .address_space:  global
        .offset:         24
        .size:           8
        .value_kind:     global_buffer
      - .offset:         32
        .size:           8
        .value_kind:     by_value
      - .offset:         40
        .size:           8
        .value_kind:     by_value
      - .address_space:  global
        .offset:         48
        .size:           8
        .value_kind:     global_buffer
      - .offset:         56
        .size:           8
        .value_kind:     by_value
      - .offset:         64
        .size:           8
        .value_kind:     by_value
      - .offset:         72
        .size:           8
        .value_kind:     by_value
      - .address_space:  global
        .offset:         80
        .size:           8
        .value_kind:     global_buffer
      - .offset:         88
        .size:           8
        .value_kind:     by_value
      - .offset:         96
        .size:           8
        .value_kind:     by_value
      - .offset:         104
        .size:           4
        .value_kind:     by_value
    .group_segment_fixed_size: 4096
    .kernarg_segment_align: 8
    .kernarg_segment_size: 108
    .language:       OpenCL C
    .language_version:
      - 2
      - 0
    .max_flat_workgroup_size: 256
    .name:           _ZL37rocblas_syrkx_herkx_restricted_kernelIl19rocblas_complex_numIfELi16ELi32ELi8ELb0ELb0ELc67ELc85EKPKS1_KPS1_EviT_T0_PT8_S7_lSA_S7_lS8_PT9_S7_li
    .private_segment_fixed_size: 0
    .sgpr_count:     26
    .sgpr_spill_count: 0
    .symbol:         _ZL37rocblas_syrkx_herkx_restricted_kernelIl19rocblas_complex_numIfELi16ELi32ELi8ELb0ELb0ELc67ELc85EKPKS1_KPS1_EviT_T0_PT8_S7_lSA_S7_lS8_PT9_S7_li.kd
    .uniform_work_group_size: 1
    .uses_dynamic_stack: false
    .vgpr_count:     91
    .vgpr_spill_count: 0
    .wavefront_size: 32
    .workgroup_processor_mode: 1
  - .args:
      - .offset:         0
        .size:           4
        .value_kind:     by_value
      - .offset:         8
        .size:           8
        .value_kind:     by_value
      - .offset:         16
        .size:           8
        .value_kind:     by_value
      - .address_space:  global
        .offset:         24
        .size:           8
        .value_kind:     global_buffer
      - .offset:         32
        .size:           8
        .value_kind:     by_value
      - .offset:         40
        .size:           8
        .value_kind:     by_value
      - .address_space:  global
        .offset:         48
        .size:           8
        .value_kind:     global_buffer
      - .offset:         56
        .size:           8
        .value_kind:     by_value
      - .offset:         64
        .size:           8
        .value_kind:     by_value
      - .offset:         72
        .size:           8
        .value_kind:     by_value
      - .address_space:  global
        .offset:         80
        .size:           8
        .value_kind:     global_buffer
      - .offset:         88
        .size:           8
        .value_kind:     by_value
      - .offset:         96
        .size:           8
        .value_kind:     by_value
      - .offset:         104
        .size:           4
        .value_kind:     by_value
    .group_segment_fixed_size: 4096
    .kernarg_segment_align: 8
    .kernarg_segment_size: 108
    .language:       OpenCL C
    .language_version:
      - 2
      - 0
    .max_flat_workgroup_size: 256
    .name:           _ZL37rocblas_syrkx_herkx_restricted_kernelIl19rocblas_complex_numIfELi16ELi32ELi8ELb0ELb0ELc78ELc85EKPKS1_KPS1_EviT_T0_PT8_S7_lSA_S7_lS8_PT9_S7_li
    .private_segment_fixed_size: 0
    .sgpr_count:     26
    .sgpr_spill_count: 0
    .symbol:         _ZL37rocblas_syrkx_herkx_restricted_kernelIl19rocblas_complex_numIfELi16ELi32ELi8ELb0ELb0ELc78ELc85EKPKS1_KPS1_EviT_T0_PT8_S7_lSA_S7_lS8_PT9_S7_li.kd
    .uniform_work_group_size: 1
    .uses_dynamic_stack: false
    .vgpr_count:     92
    .vgpr_spill_count: 0
    .wavefront_size: 32
    .workgroup_processor_mode: 1
  - .args:
      - .offset:         0
        .size:           4
        .value_kind:     by_value
      - .offset:         8
        .size:           8
        .value_kind:     by_value
      - .offset:         16
        .size:           8
        .value_kind:     by_value
      - .address_space:  global
        .offset:         24
        .size:           8
        .value_kind:     global_buffer
      - .offset:         32
        .size:           8
        .value_kind:     by_value
      - .offset:         40
        .size:           8
        .value_kind:     by_value
      - .address_space:  global
        .offset:         48
        .size:           8
        .value_kind:     global_buffer
      - .offset:         56
        .size:           8
        .value_kind:     by_value
      - .offset:         64
        .size:           8
        .value_kind:     by_value
      - .offset:         72
        .size:           8
        .value_kind:     by_value
      - .address_space:  global
        .offset:         80
        .size:           8
        .value_kind:     global_buffer
      - .offset:         88
        .size:           8
        .value_kind:     by_value
      - .offset:         96
        .size:           8
        .value_kind:     by_value
      - .offset:         104
        .size:           4
        .value_kind:     by_value
    .group_segment_fixed_size: 4096
    .kernarg_segment_align: 8
    .kernarg_segment_size: 108
    .language:       OpenCL C
    .language_version:
      - 2
      - 0
    .max_flat_workgroup_size: 256
    .name:           _ZL41rocblas_syrkx_herkx_small_restrict_kernelIl19rocblas_complex_numIfELi16ELb1ELb0ELc84ELc76EKPKS1_KPS1_EviT_T0_PT6_S7_lSA_S7_lS8_PT7_S7_li
    .private_segment_fixed_size: 0
    .sgpr_count:     24
    .sgpr_spill_count: 0
    .symbol:         _ZL41rocblas_syrkx_herkx_small_restrict_kernelIl19rocblas_complex_numIfELi16ELb1ELb0ELc84ELc76EKPKS1_KPS1_EviT_T0_PT6_S7_lSA_S7_lS8_PT7_S7_li.kd
    .uniform_work_group_size: 1
    .uses_dynamic_stack: false
    .vgpr_count:     87
    .vgpr_spill_count: 0
    .wavefront_size: 32
    .workgroup_processor_mode: 1
  - .args:
      - .offset:         0
        .size:           4
        .value_kind:     by_value
      - .offset:         8
        .size:           8
        .value_kind:     by_value
      - .offset:         16
        .size:           8
        .value_kind:     by_value
      - .address_space:  global
        .offset:         24
        .size:           8
        .value_kind:     global_buffer
      - .offset:         32
        .size:           8
        .value_kind:     by_value
      - .offset:         40
        .size:           8
        .value_kind:     by_value
      - .address_space:  global
        .offset:         48
        .size:           8
        .value_kind:     global_buffer
      - .offset:         56
        .size:           8
        .value_kind:     by_value
      - .offset:         64
        .size:           8
        .value_kind:     by_value
      - .offset:         72
        .size:           8
        .value_kind:     by_value
      - .address_space:  global
        .offset:         80
        .size:           8
        .value_kind:     global_buffer
      - .offset:         88
        .size:           8
        .value_kind:     by_value
      - .offset:         96
        .size:           8
        .value_kind:     by_value
      - .offset:         104
        .size:           4
        .value_kind:     by_value
    .group_segment_fixed_size: 4096
    .kernarg_segment_align: 8
    .kernarg_segment_size: 108
    .language:       OpenCL C
    .language_version:
      - 2
      - 0
    .max_flat_workgroup_size: 256
    .name:           _ZL41rocblas_syrkx_herkx_small_restrict_kernelIl19rocblas_complex_numIfELi16ELb1ELb0ELc67ELc76EKPKS1_KPS1_EviT_T0_PT6_S7_lSA_S7_lS8_PT7_S7_li
    .private_segment_fixed_size: 0
    .sgpr_count:     24
    .sgpr_spill_count: 0
    .symbol:         _ZL41rocblas_syrkx_herkx_small_restrict_kernelIl19rocblas_complex_numIfELi16ELb1ELb0ELc67ELc76EKPKS1_KPS1_EviT_T0_PT6_S7_lSA_S7_lS8_PT7_S7_li.kd
    .uniform_work_group_size: 1
    .uses_dynamic_stack: false
    .vgpr_count:     87
    .vgpr_spill_count: 0
    .wavefront_size: 32
    .workgroup_processor_mode: 1
  - .args:
      - .offset:         0
        .size:           4
        .value_kind:     by_value
      - .offset:         8
        .size:           8
        .value_kind:     by_value
      - .offset:         16
        .size:           8
        .value_kind:     by_value
      - .address_space:  global
        .offset:         24
        .size:           8
        .value_kind:     global_buffer
      - .offset:         32
        .size:           8
        .value_kind:     by_value
      - .offset:         40
        .size:           8
        .value_kind:     by_value
      - .address_space:  global
        .offset:         48
        .size:           8
        .value_kind:     global_buffer
      - .offset:         56
        .size:           8
        .value_kind:     by_value
      - .offset:         64
        .size:           8
        .value_kind:     by_value
      - .offset:         72
        .size:           8
        .value_kind:     by_value
      - .address_space:  global
        .offset:         80
        .size:           8
        .value_kind:     global_buffer
      - .offset:         88
        .size:           8
        .value_kind:     by_value
      - .offset:         96
        .size:           8
        .value_kind:     by_value
      - .offset:         104
        .size:           4
        .value_kind:     by_value
    .group_segment_fixed_size: 4096
    .kernarg_segment_align: 8
    .kernarg_segment_size: 108
    .language:       OpenCL C
    .language_version:
      - 2
      - 0
    .max_flat_workgroup_size: 256
    .name:           _ZL41rocblas_syrkx_herkx_small_restrict_kernelIl19rocblas_complex_numIfELi16ELb1ELb0ELc78ELc76EKPKS1_KPS1_EviT_T0_PT6_S7_lSA_S7_lS8_PT7_S7_li
    .private_segment_fixed_size: 0
    .sgpr_count:     24
    .sgpr_spill_count: 0
    .symbol:         _ZL41rocblas_syrkx_herkx_small_restrict_kernelIl19rocblas_complex_numIfELi16ELb1ELb0ELc78ELc76EKPKS1_KPS1_EviT_T0_PT6_S7_lSA_S7_lS8_PT7_S7_li.kd
    .uniform_work_group_size: 1
    .uses_dynamic_stack: false
    .vgpr_count:     87
    .vgpr_spill_count: 0
    .wavefront_size: 32
    .workgroup_processor_mode: 1
  - .args:
      - .offset:         0
        .size:           4
        .value_kind:     by_value
      - .offset:         8
        .size:           8
        .value_kind:     by_value
      - .offset:         16
        .size:           8
        .value_kind:     by_value
      - .address_space:  global
        .offset:         24
        .size:           8
        .value_kind:     global_buffer
      - .offset:         32
        .size:           8
        .value_kind:     by_value
      - .offset:         40
        .size:           8
        .value_kind:     by_value
      - .address_space:  global
        .offset:         48
        .size:           8
        .value_kind:     global_buffer
      - .offset:         56
        .size:           8
        .value_kind:     by_value
      - .offset:         64
        .size:           8
        .value_kind:     by_value
      - .offset:         72
        .size:           8
        .value_kind:     by_value
      - .address_space:  global
        .offset:         80
        .size:           8
        .value_kind:     global_buffer
      - .offset:         88
        .size:           8
        .value_kind:     by_value
      - .offset:         96
        .size:           8
        .value_kind:     by_value
      - .offset:         104
        .size:           4
        .value_kind:     by_value
    .group_segment_fixed_size: 4096
    .kernarg_segment_align: 8
    .kernarg_segment_size: 108
    .language:       OpenCL C
    .language_version:
      - 2
      - 0
    .max_flat_workgroup_size: 256
    .name:           _ZL41rocblas_syrkx_herkx_small_restrict_kernelIl19rocblas_complex_numIfELi16ELb1ELb0ELc84ELc85EKPKS1_KPS1_EviT_T0_PT6_S7_lSA_S7_lS8_PT7_S7_li
    .private_segment_fixed_size: 0
    .sgpr_count:     24
    .sgpr_spill_count: 0
    .symbol:         _ZL41rocblas_syrkx_herkx_small_restrict_kernelIl19rocblas_complex_numIfELi16ELb1ELb0ELc84ELc85EKPKS1_KPS1_EviT_T0_PT6_S7_lSA_S7_lS8_PT7_S7_li.kd
    .uniform_work_group_size: 1
    .uses_dynamic_stack: false
    .vgpr_count:     87
    .vgpr_spill_count: 0
    .wavefront_size: 32
    .workgroup_processor_mode: 1
  - .args:
      - .offset:         0
        .size:           4
        .value_kind:     by_value
      - .offset:         8
        .size:           8
        .value_kind:     by_value
      - .offset:         16
        .size:           8
        .value_kind:     by_value
      - .address_space:  global
        .offset:         24
        .size:           8
        .value_kind:     global_buffer
      - .offset:         32
        .size:           8
        .value_kind:     by_value
      - .offset:         40
        .size:           8
        .value_kind:     by_value
      - .address_space:  global
        .offset:         48
        .size:           8
        .value_kind:     global_buffer
      - .offset:         56
        .size:           8
        .value_kind:     by_value
      - .offset:         64
        .size:           8
        .value_kind:     by_value
      - .offset:         72
        .size:           8
        .value_kind:     by_value
      - .address_space:  global
        .offset:         80
        .size:           8
        .value_kind:     global_buffer
      - .offset:         88
        .size:           8
        .value_kind:     by_value
      - .offset:         96
        .size:           8
        .value_kind:     by_value
      - .offset:         104
        .size:           4
        .value_kind:     by_value
    .group_segment_fixed_size: 4096
    .kernarg_segment_align: 8
    .kernarg_segment_size: 108
    .language:       OpenCL C
    .language_version:
      - 2
      - 0
    .max_flat_workgroup_size: 256
    .name:           _ZL41rocblas_syrkx_herkx_small_restrict_kernelIl19rocblas_complex_numIfELi16ELb1ELb0ELc67ELc85EKPKS1_KPS1_EviT_T0_PT6_S7_lSA_S7_lS8_PT7_S7_li
    .private_segment_fixed_size: 0
    .sgpr_count:     24
    .sgpr_spill_count: 0
    .symbol:         _ZL41rocblas_syrkx_herkx_small_restrict_kernelIl19rocblas_complex_numIfELi16ELb1ELb0ELc67ELc85EKPKS1_KPS1_EviT_T0_PT6_S7_lSA_S7_lS8_PT7_S7_li.kd
    .uniform_work_group_size: 1
    .uses_dynamic_stack: false
    .vgpr_count:     87
    .vgpr_spill_count: 0
    .wavefront_size: 32
    .workgroup_processor_mode: 1
  - .args:
      - .offset:         0
        .size:           4
        .value_kind:     by_value
      - .offset:         8
        .size:           8
        .value_kind:     by_value
      - .offset:         16
        .size:           8
        .value_kind:     by_value
      - .address_space:  global
        .offset:         24
        .size:           8
        .value_kind:     global_buffer
      - .offset:         32
        .size:           8
        .value_kind:     by_value
      - .offset:         40
        .size:           8
        .value_kind:     by_value
      - .address_space:  global
        .offset:         48
        .size:           8
        .value_kind:     global_buffer
      - .offset:         56
        .size:           8
        .value_kind:     by_value
      - .offset:         64
        .size:           8
        .value_kind:     by_value
      - .offset:         72
        .size:           8
        .value_kind:     by_value
      - .address_space:  global
        .offset:         80
        .size:           8
        .value_kind:     global_buffer
      - .offset:         88
        .size:           8
        .value_kind:     by_value
      - .offset:         96
        .size:           8
        .value_kind:     by_value
      - .offset:         104
        .size:           4
        .value_kind:     by_value
    .group_segment_fixed_size: 4096
    .kernarg_segment_align: 8
    .kernarg_segment_size: 108
    .language:       OpenCL C
    .language_version:
      - 2
      - 0
    .max_flat_workgroup_size: 256
    .name:           _ZL41rocblas_syrkx_herkx_small_restrict_kernelIl19rocblas_complex_numIfELi16ELb1ELb0ELc78ELc85EKPKS1_KPS1_EviT_T0_PT6_S7_lSA_S7_lS8_PT7_S7_li
    .private_segment_fixed_size: 0
    .sgpr_count:     24
    .sgpr_spill_count: 0
    .symbol:         _ZL41rocblas_syrkx_herkx_small_restrict_kernelIl19rocblas_complex_numIfELi16ELb1ELb0ELc78ELc85EKPKS1_KPS1_EviT_T0_PT6_S7_lSA_S7_lS8_PT7_S7_li.kd
    .uniform_work_group_size: 1
    .uses_dynamic_stack: false
    .vgpr_count:     87
    .vgpr_spill_count: 0
    .wavefront_size: 32
    .workgroup_processor_mode: 1
  - .args:
      - .offset:         0
        .size:           4
        .value_kind:     by_value
      - .offset:         8
        .size:           8
        .value_kind:     by_value
      - .offset:         16
        .size:           8
        .value_kind:     by_value
      - .address_space:  global
        .offset:         24
        .size:           8
        .value_kind:     global_buffer
      - .offset:         32
        .size:           8
        .value_kind:     by_value
      - .offset:         40
        .size:           8
        .value_kind:     by_value
      - .address_space:  global
        .offset:         48
        .size:           8
        .value_kind:     global_buffer
      - .offset:         56
        .size:           8
        .value_kind:     by_value
      - .offset:         64
        .size:           8
        .value_kind:     by_value
      - .offset:         72
        .size:           8
        .value_kind:     by_value
      - .address_space:  global
        .offset:         80
        .size:           8
        .value_kind:     global_buffer
      - .offset:         88
        .size:           8
        .value_kind:     by_value
      - .offset:         96
        .size:           8
        .value_kind:     by_value
      - .offset:         104
        .size:           4
        .value_kind:     by_value
    .group_segment_fixed_size: 4096
    .kernarg_segment_align: 8
    .kernarg_segment_size: 108
    .language:       OpenCL C
    .language_version:
      - 2
      - 0
    .max_flat_workgroup_size: 256
    .name:           _ZL41rocblas_syrkx_herkx_small_restrict_kernelIl19rocblas_complex_numIfELi16ELb0ELb0ELc84ELc76EKPKS1_KPS1_EviT_T0_PT6_S7_lSA_S7_lS8_PT7_S7_li
    .private_segment_fixed_size: 0
    .sgpr_count:     24
    .sgpr_spill_count: 0
    .symbol:         _ZL41rocblas_syrkx_herkx_small_restrict_kernelIl19rocblas_complex_numIfELi16ELb0ELb0ELc84ELc76EKPKS1_KPS1_EviT_T0_PT6_S7_lSA_S7_lS8_PT7_S7_li.kd
    .uniform_work_group_size: 1
    .uses_dynamic_stack: false
    .vgpr_count:     87
    .vgpr_spill_count: 0
    .wavefront_size: 32
    .workgroup_processor_mode: 1
  - .args:
      - .offset:         0
        .size:           4
        .value_kind:     by_value
      - .offset:         8
        .size:           8
        .value_kind:     by_value
      - .offset:         16
        .size:           8
        .value_kind:     by_value
      - .address_space:  global
        .offset:         24
        .size:           8
        .value_kind:     global_buffer
      - .offset:         32
        .size:           8
        .value_kind:     by_value
      - .offset:         40
        .size:           8
        .value_kind:     by_value
      - .address_space:  global
        .offset:         48
        .size:           8
        .value_kind:     global_buffer
      - .offset:         56
        .size:           8
        .value_kind:     by_value
      - .offset:         64
        .size:           8
        .value_kind:     by_value
      - .offset:         72
        .size:           8
        .value_kind:     by_value
      - .address_space:  global
        .offset:         80
        .size:           8
        .value_kind:     global_buffer
      - .offset:         88
        .size:           8
        .value_kind:     by_value
      - .offset:         96
        .size:           8
        .value_kind:     by_value
      - .offset:         104
        .size:           4
        .value_kind:     by_value
    .group_segment_fixed_size: 4096
    .kernarg_segment_align: 8
    .kernarg_segment_size: 108
    .language:       OpenCL C
    .language_version:
      - 2
      - 0
    .max_flat_workgroup_size: 256
    .name:           _ZL41rocblas_syrkx_herkx_small_restrict_kernelIl19rocblas_complex_numIfELi16ELb0ELb0ELc67ELc76EKPKS1_KPS1_EviT_T0_PT6_S7_lSA_S7_lS8_PT7_S7_li
    .private_segment_fixed_size: 0
    .sgpr_count:     24
    .sgpr_spill_count: 0
    .symbol:         _ZL41rocblas_syrkx_herkx_small_restrict_kernelIl19rocblas_complex_numIfELi16ELb0ELb0ELc67ELc76EKPKS1_KPS1_EviT_T0_PT6_S7_lSA_S7_lS8_PT7_S7_li.kd
    .uniform_work_group_size: 1
    .uses_dynamic_stack: false
    .vgpr_count:     87
    .vgpr_spill_count: 0
    .wavefront_size: 32
    .workgroup_processor_mode: 1
  - .args:
      - .offset:         0
        .size:           4
        .value_kind:     by_value
      - .offset:         8
        .size:           8
        .value_kind:     by_value
      - .offset:         16
        .size:           8
        .value_kind:     by_value
      - .address_space:  global
        .offset:         24
        .size:           8
        .value_kind:     global_buffer
      - .offset:         32
        .size:           8
        .value_kind:     by_value
      - .offset:         40
        .size:           8
        .value_kind:     by_value
      - .address_space:  global
        .offset:         48
        .size:           8
        .value_kind:     global_buffer
      - .offset:         56
        .size:           8
        .value_kind:     by_value
      - .offset:         64
        .size:           8
        .value_kind:     by_value
      - .offset:         72
        .size:           8
        .value_kind:     by_value
      - .address_space:  global
        .offset:         80
        .size:           8
        .value_kind:     global_buffer
      - .offset:         88
        .size:           8
        .value_kind:     by_value
      - .offset:         96
        .size:           8
        .value_kind:     by_value
      - .offset:         104
        .size:           4
        .value_kind:     by_value
    .group_segment_fixed_size: 4096
    .kernarg_segment_align: 8
    .kernarg_segment_size: 108
    .language:       OpenCL C
    .language_version:
      - 2
      - 0
    .max_flat_workgroup_size: 256
    .name:           _ZL41rocblas_syrkx_herkx_small_restrict_kernelIl19rocblas_complex_numIfELi16ELb0ELb0ELc78ELc76EKPKS1_KPS1_EviT_T0_PT6_S7_lSA_S7_lS8_PT7_S7_li
    .private_segment_fixed_size: 0
    .sgpr_count:     26
    .sgpr_spill_count: 0
    .symbol:         _ZL41rocblas_syrkx_herkx_small_restrict_kernelIl19rocblas_complex_numIfELi16ELb0ELb0ELc78ELc76EKPKS1_KPS1_EviT_T0_PT6_S7_lSA_S7_lS8_PT7_S7_li.kd
    .uniform_work_group_size: 1
    .uses_dynamic_stack: false
    .vgpr_count:     87
    .vgpr_spill_count: 0
    .wavefront_size: 32
    .workgroup_processor_mode: 1
  - .args:
      - .offset:         0
        .size:           4
        .value_kind:     by_value
      - .offset:         8
        .size:           8
        .value_kind:     by_value
      - .offset:         16
        .size:           8
        .value_kind:     by_value
      - .address_space:  global
        .offset:         24
        .size:           8
        .value_kind:     global_buffer
      - .offset:         32
        .size:           8
        .value_kind:     by_value
      - .offset:         40
        .size:           8
        .value_kind:     by_value
      - .address_space:  global
        .offset:         48
        .size:           8
        .value_kind:     global_buffer
      - .offset:         56
        .size:           8
        .value_kind:     by_value
      - .offset:         64
        .size:           8
        .value_kind:     by_value
      - .offset:         72
        .size:           8
        .value_kind:     by_value
      - .address_space:  global
        .offset:         80
        .size:           8
        .value_kind:     global_buffer
      - .offset:         88
        .size:           8
        .value_kind:     by_value
      - .offset:         96
        .size:           8
        .value_kind:     by_value
      - .offset:         104
        .size:           4
        .value_kind:     by_value
    .group_segment_fixed_size: 4096
    .kernarg_segment_align: 8
    .kernarg_segment_size: 108
    .language:       OpenCL C
    .language_version:
      - 2
      - 0
    .max_flat_workgroup_size: 256
    .name:           _ZL41rocblas_syrkx_herkx_small_restrict_kernelIl19rocblas_complex_numIfELi16ELb0ELb0ELc84ELc85EKPKS1_KPS1_EviT_T0_PT6_S7_lSA_S7_lS8_PT7_S7_li
    .private_segment_fixed_size: 0
    .sgpr_count:     24
    .sgpr_spill_count: 0
    .symbol:         _ZL41rocblas_syrkx_herkx_small_restrict_kernelIl19rocblas_complex_numIfELi16ELb0ELb0ELc84ELc85EKPKS1_KPS1_EviT_T0_PT6_S7_lSA_S7_lS8_PT7_S7_li.kd
    .uniform_work_group_size: 1
    .uses_dynamic_stack: false
    .vgpr_count:     87
    .vgpr_spill_count: 0
    .wavefront_size: 32
    .workgroup_processor_mode: 1
  - .args:
      - .offset:         0
        .size:           4
        .value_kind:     by_value
      - .offset:         8
        .size:           8
        .value_kind:     by_value
      - .offset:         16
        .size:           8
        .value_kind:     by_value
      - .address_space:  global
        .offset:         24
        .size:           8
        .value_kind:     global_buffer
      - .offset:         32
        .size:           8
        .value_kind:     by_value
      - .offset:         40
        .size:           8
        .value_kind:     by_value
      - .address_space:  global
        .offset:         48
        .size:           8
        .value_kind:     global_buffer
      - .offset:         56
        .size:           8
        .value_kind:     by_value
      - .offset:         64
        .size:           8
        .value_kind:     by_value
      - .offset:         72
        .size:           8
        .value_kind:     by_value
      - .address_space:  global
        .offset:         80
        .size:           8
        .value_kind:     global_buffer
      - .offset:         88
        .size:           8
        .value_kind:     by_value
      - .offset:         96
        .size:           8
        .value_kind:     by_value
      - .offset:         104
        .size:           4
        .value_kind:     by_value
    .group_segment_fixed_size: 4096
    .kernarg_segment_align: 8
    .kernarg_segment_size: 108
    .language:       OpenCL C
    .language_version:
      - 2
      - 0
    .max_flat_workgroup_size: 256
    .name:           _ZL41rocblas_syrkx_herkx_small_restrict_kernelIl19rocblas_complex_numIfELi16ELb0ELb0ELc67ELc85EKPKS1_KPS1_EviT_T0_PT6_S7_lSA_S7_lS8_PT7_S7_li
    .private_segment_fixed_size: 0
    .sgpr_count:     24
    .sgpr_spill_count: 0
    .symbol:         _ZL41rocblas_syrkx_herkx_small_restrict_kernelIl19rocblas_complex_numIfELi16ELb0ELb0ELc67ELc85EKPKS1_KPS1_EviT_T0_PT6_S7_lSA_S7_lS8_PT7_S7_li.kd
    .uniform_work_group_size: 1
    .uses_dynamic_stack: false
    .vgpr_count:     87
    .vgpr_spill_count: 0
    .wavefront_size: 32
    .workgroup_processor_mode: 1
  - .args:
      - .offset:         0
        .size:           4
        .value_kind:     by_value
      - .offset:         8
        .size:           8
        .value_kind:     by_value
      - .offset:         16
        .size:           8
        .value_kind:     by_value
      - .address_space:  global
        .offset:         24
        .size:           8
        .value_kind:     global_buffer
      - .offset:         32
        .size:           8
        .value_kind:     by_value
      - .offset:         40
        .size:           8
        .value_kind:     by_value
      - .address_space:  global
        .offset:         48
        .size:           8
        .value_kind:     global_buffer
      - .offset:         56
        .size:           8
        .value_kind:     by_value
      - .offset:         64
        .size:           8
        .value_kind:     by_value
      - .offset:         72
        .size:           8
        .value_kind:     by_value
      - .address_space:  global
        .offset:         80
        .size:           8
        .value_kind:     global_buffer
      - .offset:         88
        .size:           8
        .value_kind:     by_value
      - .offset:         96
        .size:           8
        .value_kind:     by_value
      - .offset:         104
        .size:           4
        .value_kind:     by_value
    .group_segment_fixed_size: 4096
    .kernarg_segment_align: 8
    .kernarg_segment_size: 108
    .language:       OpenCL C
    .language_version:
      - 2
      - 0
    .max_flat_workgroup_size: 256
    .name:           _ZL41rocblas_syrkx_herkx_small_restrict_kernelIl19rocblas_complex_numIfELi16ELb0ELb0ELc78ELc85EKPKS1_KPS1_EviT_T0_PT6_S7_lSA_S7_lS8_PT7_S7_li
    .private_segment_fixed_size: 0
    .sgpr_count:     26
    .sgpr_spill_count: 0
    .symbol:         _ZL41rocblas_syrkx_herkx_small_restrict_kernelIl19rocblas_complex_numIfELi16ELb0ELb0ELc78ELc85EKPKS1_KPS1_EviT_T0_PT6_S7_lSA_S7_lS8_PT7_S7_li.kd
    .uniform_work_group_size: 1
    .uses_dynamic_stack: false
    .vgpr_count:     87
    .vgpr_spill_count: 0
    .wavefront_size: 32
    .workgroup_processor_mode: 1
  - .args:
      - .offset:         0
        .size:           4
        .value_kind:     by_value
      - .offset:         8
        .size:           8
        .value_kind:     by_value
      - .offset:         16
        .size:           8
        .value_kind:     by_value
      - .address_space:  global
        .offset:         24
        .size:           8
        .value_kind:     global_buffer
      - .offset:         32
        .size:           8
        .value_kind:     by_value
      - .offset:         40
        .size:           8
        .value_kind:     by_value
      - .address_space:  global
        .offset:         48
        .size:           8
        .value_kind:     global_buffer
      - .offset:         56
        .size:           8
        .value_kind:     by_value
      - .offset:         64
        .size:           8
        .value_kind:     by_value
      - .offset:         72
        .size:           8
        .value_kind:     by_value
      - .address_space:  global
        .offset:         80
        .size:           8
        .value_kind:     global_buffer
      - .offset:         88
        .size:           8
        .value_kind:     by_value
      - .offset:         96
        .size:           8
        .value_kind:     by_value
      - .offset:         104
        .size:           4
        .value_kind:     by_value
    .group_segment_fixed_size: 4096
    .kernarg_segment_align: 8
    .kernarg_segment_size: 108
    .language:       OpenCL C
    .language_version:
      - 2
      - 0
    .max_flat_workgroup_size: 256
    .name:           _ZL32rocblas_syrkx_herkx_small_kernelIl19rocblas_complex_numIfELi16ELb1ELb0ELc84ELc76EKPKS1_KPS1_EviT_T0_PT6_S7_lSA_S7_lS8_PT7_S7_li
    .private_segment_fixed_size: 0
    .sgpr_count:     24
    .sgpr_spill_count: 0
    .symbol:         _ZL32rocblas_syrkx_herkx_small_kernelIl19rocblas_complex_numIfELi16ELb1ELb0ELc84ELc76EKPKS1_KPS1_EviT_T0_PT6_S7_lSA_S7_lS8_PT7_S7_li.kd
    .uniform_work_group_size: 1
    .uses_dynamic_stack: false
    .vgpr_count:     70
    .vgpr_spill_count: 0
    .wavefront_size: 32
    .workgroup_processor_mode: 1
  - .args:
      - .offset:         0
        .size:           4
        .value_kind:     by_value
      - .offset:         8
        .size:           8
        .value_kind:     by_value
      - .offset:         16
        .size:           8
        .value_kind:     by_value
      - .address_space:  global
        .offset:         24
        .size:           8
        .value_kind:     global_buffer
      - .offset:         32
        .size:           8
        .value_kind:     by_value
      - .offset:         40
        .size:           8
        .value_kind:     by_value
      - .address_space:  global
        .offset:         48
        .size:           8
        .value_kind:     global_buffer
      - .offset:         56
        .size:           8
        .value_kind:     by_value
      - .offset:         64
        .size:           8
        .value_kind:     by_value
      - .offset:         72
        .size:           8
        .value_kind:     by_value
      - .address_space:  global
        .offset:         80
        .size:           8
        .value_kind:     global_buffer
      - .offset:         88
        .size:           8
        .value_kind:     by_value
      - .offset:         96
        .size:           8
        .value_kind:     by_value
      - .offset:         104
        .size:           4
        .value_kind:     by_value
    .group_segment_fixed_size: 4096
    .kernarg_segment_align: 8
    .kernarg_segment_size: 108
    .language:       OpenCL C
    .language_version:
      - 2
      - 0
    .max_flat_workgroup_size: 256
    .name:           _ZL32rocblas_syrkx_herkx_small_kernelIl19rocblas_complex_numIfELi16ELb1ELb0ELc67ELc76EKPKS1_KPS1_EviT_T0_PT6_S7_lSA_S7_lS8_PT7_S7_li
    .private_segment_fixed_size: 0
    .sgpr_count:     24
    .sgpr_spill_count: 0
    .symbol:         _ZL32rocblas_syrkx_herkx_small_kernelIl19rocblas_complex_numIfELi16ELb1ELb0ELc67ELc76EKPKS1_KPS1_EviT_T0_PT6_S7_lSA_S7_lS8_PT7_S7_li.kd
    .uniform_work_group_size: 1
    .uses_dynamic_stack: false
    .vgpr_count:     70
    .vgpr_spill_count: 0
    .wavefront_size: 32
    .workgroup_processor_mode: 1
  - .args:
      - .offset:         0
        .size:           4
        .value_kind:     by_value
      - .offset:         8
        .size:           8
        .value_kind:     by_value
      - .offset:         16
        .size:           8
        .value_kind:     by_value
      - .address_space:  global
        .offset:         24
        .size:           8
        .value_kind:     global_buffer
      - .offset:         32
        .size:           8
        .value_kind:     by_value
      - .offset:         40
        .size:           8
        .value_kind:     by_value
      - .address_space:  global
        .offset:         48
        .size:           8
        .value_kind:     global_buffer
      - .offset:         56
        .size:           8
        .value_kind:     by_value
      - .offset:         64
        .size:           8
        .value_kind:     by_value
      - .offset:         72
        .size:           8
        .value_kind:     by_value
      - .address_space:  global
        .offset:         80
        .size:           8
        .value_kind:     global_buffer
      - .offset:         88
        .size:           8
        .value_kind:     by_value
      - .offset:         96
        .size:           8
        .value_kind:     by_value
      - .offset:         104
        .size:           4
        .value_kind:     by_value
    .group_segment_fixed_size: 4096
    .kernarg_segment_align: 8
    .kernarg_segment_size: 108
    .language:       OpenCL C
    .language_version:
      - 2
      - 0
    .max_flat_workgroup_size: 256
    .name:           _ZL32rocblas_syrkx_herkx_small_kernelIl19rocblas_complex_numIfELi16ELb1ELb0ELc78ELc76EKPKS1_KPS1_EviT_T0_PT6_S7_lSA_S7_lS8_PT7_S7_li
    .private_segment_fixed_size: 0
    .sgpr_count:     24
    .sgpr_spill_count: 0
    .symbol:         _ZL32rocblas_syrkx_herkx_small_kernelIl19rocblas_complex_numIfELi16ELb1ELb0ELc78ELc76EKPKS1_KPS1_EviT_T0_PT6_S7_lSA_S7_lS8_PT7_S7_li.kd
    .uniform_work_group_size: 1
    .uses_dynamic_stack: false
    .vgpr_count:     70
    .vgpr_spill_count: 0
    .wavefront_size: 32
    .workgroup_processor_mode: 1
  - .args:
      - .offset:         0
        .size:           4
        .value_kind:     by_value
      - .offset:         8
        .size:           8
        .value_kind:     by_value
      - .offset:         16
        .size:           8
        .value_kind:     by_value
      - .address_space:  global
        .offset:         24
        .size:           8
        .value_kind:     global_buffer
      - .offset:         32
        .size:           8
        .value_kind:     by_value
      - .offset:         40
        .size:           8
        .value_kind:     by_value
      - .address_space:  global
        .offset:         48
        .size:           8
        .value_kind:     global_buffer
      - .offset:         56
        .size:           8
        .value_kind:     by_value
      - .offset:         64
        .size:           8
        .value_kind:     by_value
      - .offset:         72
        .size:           8
        .value_kind:     by_value
      - .address_space:  global
        .offset:         80
        .size:           8
        .value_kind:     global_buffer
      - .offset:         88
        .size:           8
        .value_kind:     by_value
      - .offset:         96
        .size:           8
        .value_kind:     by_value
      - .offset:         104
        .size:           4
        .value_kind:     by_value
    .group_segment_fixed_size: 4096
    .kernarg_segment_align: 8
    .kernarg_segment_size: 108
    .language:       OpenCL C
    .language_version:
      - 2
      - 0
    .max_flat_workgroup_size: 256
    .name:           _ZL32rocblas_syrkx_herkx_small_kernelIl19rocblas_complex_numIfELi16ELb1ELb0ELc84ELc85EKPKS1_KPS1_EviT_T0_PT6_S7_lSA_S7_lS8_PT7_S7_li
    .private_segment_fixed_size: 0
    .sgpr_count:     24
    .sgpr_spill_count: 0
    .symbol:         _ZL32rocblas_syrkx_herkx_small_kernelIl19rocblas_complex_numIfELi16ELb1ELb0ELc84ELc85EKPKS1_KPS1_EviT_T0_PT6_S7_lSA_S7_lS8_PT7_S7_li.kd
    .uniform_work_group_size: 1
    .uses_dynamic_stack: false
    .vgpr_count:     70
    .vgpr_spill_count: 0
    .wavefront_size: 32
    .workgroup_processor_mode: 1
  - .args:
      - .offset:         0
        .size:           4
        .value_kind:     by_value
      - .offset:         8
        .size:           8
        .value_kind:     by_value
      - .offset:         16
        .size:           8
        .value_kind:     by_value
      - .address_space:  global
        .offset:         24
        .size:           8
        .value_kind:     global_buffer
      - .offset:         32
        .size:           8
        .value_kind:     by_value
      - .offset:         40
        .size:           8
        .value_kind:     by_value
      - .address_space:  global
        .offset:         48
        .size:           8
        .value_kind:     global_buffer
      - .offset:         56
        .size:           8
        .value_kind:     by_value
      - .offset:         64
        .size:           8
        .value_kind:     by_value
      - .offset:         72
        .size:           8
        .value_kind:     by_value
      - .address_space:  global
        .offset:         80
        .size:           8
        .value_kind:     global_buffer
      - .offset:         88
        .size:           8
        .value_kind:     by_value
      - .offset:         96
        .size:           8
        .value_kind:     by_value
      - .offset:         104
        .size:           4
        .value_kind:     by_value
    .group_segment_fixed_size: 4096
    .kernarg_segment_align: 8
    .kernarg_segment_size: 108
    .language:       OpenCL C
    .language_version:
      - 2
      - 0
    .max_flat_workgroup_size: 256
    .name:           _ZL32rocblas_syrkx_herkx_small_kernelIl19rocblas_complex_numIfELi16ELb1ELb0ELc67ELc85EKPKS1_KPS1_EviT_T0_PT6_S7_lSA_S7_lS8_PT7_S7_li
    .private_segment_fixed_size: 0
    .sgpr_count:     24
    .sgpr_spill_count: 0
    .symbol:         _ZL32rocblas_syrkx_herkx_small_kernelIl19rocblas_complex_numIfELi16ELb1ELb0ELc67ELc85EKPKS1_KPS1_EviT_T0_PT6_S7_lSA_S7_lS8_PT7_S7_li.kd
    .uniform_work_group_size: 1
    .uses_dynamic_stack: false
    .vgpr_count:     70
    .vgpr_spill_count: 0
    .wavefront_size: 32
    .workgroup_processor_mode: 1
  - .args:
      - .offset:         0
        .size:           4
        .value_kind:     by_value
      - .offset:         8
        .size:           8
        .value_kind:     by_value
      - .offset:         16
        .size:           8
        .value_kind:     by_value
      - .address_space:  global
        .offset:         24
        .size:           8
        .value_kind:     global_buffer
      - .offset:         32
        .size:           8
        .value_kind:     by_value
      - .offset:         40
        .size:           8
        .value_kind:     by_value
      - .address_space:  global
        .offset:         48
        .size:           8
        .value_kind:     global_buffer
      - .offset:         56
        .size:           8
        .value_kind:     by_value
      - .offset:         64
        .size:           8
        .value_kind:     by_value
      - .offset:         72
        .size:           8
        .value_kind:     by_value
      - .address_space:  global
        .offset:         80
        .size:           8
        .value_kind:     global_buffer
      - .offset:         88
        .size:           8
        .value_kind:     by_value
      - .offset:         96
        .size:           8
        .value_kind:     by_value
      - .offset:         104
        .size:           4
        .value_kind:     by_value
    .group_segment_fixed_size: 4096
    .kernarg_segment_align: 8
    .kernarg_segment_size: 108
    .language:       OpenCL C
    .language_version:
      - 2
      - 0
    .max_flat_workgroup_size: 256
    .name:           _ZL32rocblas_syrkx_herkx_small_kernelIl19rocblas_complex_numIfELi16ELb1ELb0ELc78ELc85EKPKS1_KPS1_EviT_T0_PT6_S7_lSA_S7_lS8_PT7_S7_li
    .private_segment_fixed_size: 0
    .sgpr_count:     24
    .sgpr_spill_count: 0
    .symbol:         _ZL32rocblas_syrkx_herkx_small_kernelIl19rocblas_complex_numIfELi16ELb1ELb0ELc78ELc85EKPKS1_KPS1_EviT_T0_PT6_S7_lSA_S7_lS8_PT7_S7_li.kd
    .uniform_work_group_size: 1
    .uses_dynamic_stack: false
    .vgpr_count:     70
    .vgpr_spill_count: 0
    .wavefront_size: 32
    .workgroup_processor_mode: 1
  - .args:
      - .offset:         0
        .size:           4
        .value_kind:     by_value
      - .offset:         8
        .size:           8
        .value_kind:     by_value
      - .offset:         16
        .size:           8
        .value_kind:     by_value
      - .address_space:  global
        .offset:         24
        .size:           8
        .value_kind:     global_buffer
      - .offset:         32
        .size:           8
        .value_kind:     by_value
      - .offset:         40
        .size:           8
        .value_kind:     by_value
      - .address_space:  global
        .offset:         48
        .size:           8
        .value_kind:     global_buffer
      - .offset:         56
        .size:           8
        .value_kind:     by_value
      - .offset:         64
        .size:           8
        .value_kind:     by_value
      - .offset:         72
        .size:           8
        .value_kind:     by_value
      - .address_space:  global
        .offset:         80
        .size:           8
        .value_kind:     global_buffer
      - .offset:         88
        .size:           8
        .value_kind:     by_value
      - .offset:         96
        .size:           8
        .value_kind:     by_value
      - .offset:         104
        .size:           4
        .value_kind:     by_value
    .group_segment_fixed_size: 4096
    .kernarg_segment_align: 8
    .kernarg_segment_size: 108
    .language:       OpenCL C
    .language_version:
      - 2
      - 0
    .max_flat_workgroup_size: 256
    .name:           _ZL32rocblas_syrkx_herkx_small_kernelIl19rocblas_complex_numIfELi16ELb0ELb0ELc84ELc76EKPKS1_KPS1_EviT_T0_PT6_S7_lSA_S7_lS8_PT7_S7_li
    .private_segment_fixed_size: 0
    .sgpr_count:     26
    .sgpr_spill_count: 0
    .symbol:         _ZL32rocblas_syrkx_herkx_small_kernelIl19rocblas_complex_numIfELi16ELb0ELb0ELc84ELc76EKPKS1_KPS1_EviT_T0_PT6_S7_lSA_S7_lS8_PT7_S7_li.kd
    .uniform_work_group_size: 1
    .uses_dynamic_stack: false
    .vgpr_count:     70
    .vgpr_spill_count: 0
    .wavefront_size: 32
    .workgroup_processor_mode: 1
  - .args:
      - .offset:         0
        .size:           4
        .value_kind:     by_value
      - .offset:         8
        .size:           8
        .value_kind:     by_value
      - .offset:         16
        .size:           8
        .value_kind:     by_value
      - .address_space:  global
        .offset:         24
        .size:           8
        .value_kind:     global_buffer
      - .offset:         32
        .size:           8
        .value_kind:     by_value
      - .offset:         40
        .size:           8
        .value_kind:     by_value
      - .address_space:  global
        .offset:         48
        .size:           8
        .value_kind:     global_buffer
      - .offset:         56
        .size:           8
        .value_kind:     by_value
      - .offset:         64
        .size:           8
        .value_kind:     by_value
      - .offset:         72
        .size:           8
        .value_kind:     by_value
      - .address_space:  global
        .offset:         80
        .size:           8
        .value_kind:     global_buffer
      - .offset:         88
        .size:           8
        .value_kind:     by_value
      - .offset:         96
        .size:           8
        .value_kind:     by_value
      - .offset:         104
        .size:           4
        .value_kind:     by_value
    .group_segment_fixed_size: 4096
    .kernarg_segment_align: 8
    .kernarg_segment_size: 108
    .language:       OpenCL C
    .language_version:
      - 2
      - 0
    .max_flat_workgroup_size: 256
    .name:           _ZL32rocblas_syrkx_herkx_small_kernelIl19rocblas_complex_numIfELi16ELb0ELb0ELc67ELc76EKPKS1_KPS1_EviT_T0_PT6_S7_lSA_S7_lS8_PT7_S7_li
    .private_segment_fixed_size: 0
    .sgpr_count:     26
    .sgpr_spill_count: 0
    .symbol:         _ZL32rocblas_syrkx_herkx_small_kernelIl19rocblas_complex_numIfELi16ELb0ELb0ELc67ELc76EKPKS1_KPS1_EviT_T0_PT6_S7_lSA_S7_lS8_PT7_S7_li.kd
    .uniform_work_group_size: 1
    .uses_dynamic_stack: false
    .vgpr_count:     70
    .vgpr_spill_count: 0
    .wavefront_size: 32
    .workgroup_processor_mode: 1
  - .args:
      - .offset:         0
        .size:           4
        .value_kind:     by_value
      - .offset:         8
        .size:           8
        .value_kind:     by_value
      - .offset:         16
        .size:           8
        .value_kind:     by_value
      - .address_space:  global
        .offset:         24
        .size:           8
        .value_kind:     global_buffer
      - .offset:         32
        .size:           8
        .value_kind:     by_value
      - .offset:         40
        .size:           8
        .value_kind:     by_value
      - .address_space:  global
        .offset:         48
        .size:           8
        .value_kind:     global_buffer
      - .offset:         56
        .size:           8
        .value_kind:     by_value
      - .offset:         64
        .size:           8
        .value_kind:     by_value
      - .offset:         72
        .size:           8
        .value_kind:     by_value
      - .address_space:  global
        .offset:         80
        .size:           8
        .value_kind:     global_buffer
      - .offset:         88
        .size:           8
        .value_kind:     by_value
      - .offset:         96
        .size:           8
        .value_kind:     by_value
      - .offset:         104
        .size:           4
        .value_kind:     by_value
    .group_segment_fixed_size: 4096
    .kernarg_segment_align: 8
    .kernarg_segment_size: 108
    .language:       OpenCL C
    .language_version:
      - 2
      - 0
    .max_flat_workgroup_size: 256
    .name:           _ZL32rocblas_syrkx_herkx_small_kernelIl19rocblas_complex_numIfELi16ELb0ELb0ELc78ELc76EKPKS1_KPS1_EviT_T0_PT6_S7_lSA_S7_lS8_PT7_S7_li
    .private_segment_fixed_size: 0
    .sgpr_count:     26
    .sgpr_spill_count: 0
    .symbol:         _ZL32rocblas_syrkx_herkx_small_kernelIl19rocblas_complex_numIfELi16ELb0ELb0ELc78ELc76EKPKS1_KPS1_EviT_T0_PT6_S7_lSA_S7_lS8_PT7_S7_li.kd
    .uniform_work_group_size: 1
    .uses_dynamic_stack: false
    .vgpr_count:     70
    .vgpr_spill_count: 0
    .wavefront_size: 32
    .workgroup_processor_mode: 1
  - .args:
      - .offset:         0
        .size:           4
        .value_kind:     by_value
      - .offset:         8
        .size:           8
        .value_kind:     by_value
      - .offset:         16
        .size:           8
        .value_kind:     by_value
      - .address_space:  global
        .offset:         24
        .size:           8
        .value_kind:     global_buffer
      - .offset:         32
        .size:           8
        .value_kind:     by_value
      - .offset:         40
        .size:           8
        .value_kind:     by_value
      - .address_space:  global
        .offset:         48
        .size:           8
        .value_kind:     global_buffer
      - .offset:         56
        .size:           8
        .value_kind:     by_value
      - .offset:         64
        .size:           8
        .value_kind:     by_value
      - .offset:         72
        .size:           8
        .value_kind:     by_value
      - .address_space:  global
        .offset:         80
        .size:           8
        .value_kind:     global_buffer
      - .offset:         88
        .size:           8
        .value_kind:     by_value
      - .offset:         96
        .size:           8
        .value_kind:     by_value
      - .offset:         104
        .size:           4
        .value_kind:     by_value
    .group_segment_fixed_size: 4096
    .kernarg_segment_align: 8
    .kernarg_segment_size: 108
    .language:       OpenCL C
    .language_version:
      - 2
      - 0
    .max_flat_workgroup_size: 256
    .name:           _ZL32rocblas_syrkx_herkx_small_kernelIl19rocblas_complex_numIfELi16ELb0ELb0ELc84ELc85EKPKS1_KPS1_EviT_T0_PT6_S7_lSA_S7_lS8_PT7_S7_li
    .private_segment_fixed_size: 0
    .sgpr_count:     26
    .sgpr_spill_count: 0
    .symbol:         _ZL32rocblas_syrkx_herkx_small_kernelIl19rocblas_complex_numIfELi16ELb0ELb0ELc84ELc85EKPKS1_KPS1_EviT_T0_PT6_S7_lSA_S7_lS8_PT7_S7_li.kd
    .uniform_work_group_size: 1
    .uses_dynamic_stack: false
    .vgpr_count:     70
    .vgpr_spill_count: 0
    .wavefront_size: 32
    .workgroup_processor_mode: 1
  - .args:
      - .offset:         0
        .size:           4
        .value_kind:     by_value
      - .offset:         8
        .size:           8
        .value_kind:     by_value
      - .offset:         16
        .size:           8
        .value_kind:     by_value
      - .address_space:  global
        .offset:         24
        .size:           8
        .value_kind:     global_buffer
      - .offset:         32
        .size:           8
        .value_kind:     by_value
      - .offset:         40
        .size:           8
        .value_kind:     by_value
      - .address_space:  global
        .offset:         48
        .size:           8
        .value_kind:     global_buffer
      - .offset:         56
        .size:           8
        .value_kind:     by_value
      - .offset:         64
        .size:           8
        .value_kind:     by_value
      - .offset:         72
        .size:           8
        .value_kind:     by_value
      - .address_space:  global
        .offset:         80
        .size:           8
        .value_kind:     global_buffer
      - .offset:         88
        .size:           8
        .value_kind:     by_value
      - .offset:         96
        .size:           8
        .value_kind:     by_value
      - .offset:         104
        .size:           4
        .value_kind:     by_value
    .group_segment_fixed_size: 4096
    .kernarg_segment_align: 8
    .kernarg_segment_size: 108
    .language:       OpenCL C
    .language_version:
      - 2
      - 0
    .max_flat_workgroup_size: 256
    .name:           _ZL32rocblas_syrkx_herkx_small_kernelIl19rocblas_complex_numIfELi16ELb0ELb0ELc67ELc85EKPKS1_KPS1_EviT_T0_PT6_S7_lSA_S7_lS8_PT7_S7_li
    .private_segment_fixed_size: 0
    .sgpr_count:     26
    .sgpr_spill_count: 0
    .symbol:         _ZL32rocblas_syrkx_herkx_small_kernelIl19rocblas_complex_numIfELi16ELb0ELb0ELc67ELc85EKPKS1_KPS1_EviT_T0_PT6_S7_lSA_S7_lS8_PT7_S7_li.kd
    .uniform_work_group_size: 1
    .uses_dynamic_stack: false
    .vgpr_count:     70
    .vgpr_spill_count: 0
    .wavefront_size: 32
    .workgroup_processor_mode: 1
  - .args:
      - .offset:         0
        .size:           4
        .value_kind:     by_value
      - .offset:         8
        .size:           8
        .value_kind:     by_value
      - .offset:         16
        .size:           8
        .value_kind:     by_value
      - .address_space:  global
        .offset:         24
        .size:           8
        .value_kind:     global_buffer
      - .offset:         32
        .size:           8
        .value_kind:     by_value
      - .offset:         40
        .size:           8
        .value_kind:     by_value
      - .address_space:  global
        .offset:         48
        .size:           8
        .value_kind:     global_buffer
      - .offset:         56
        .size:           8
        .value_kind:     by_value
      - .offset:         64
        .size:           8
        .value_kind:     by_value
      - .offset:         72
        .size:           8
        .value_kind:     by_value
      - .address_space:  global
        .offset:         80
        .size:           8
        .value_kind:     global_buffer
      - .offset:         88
        .size:           8
        .value_kind:     by_value
      - .offset:         96
        .size:           8
        .value_kind:     by_value
      - .offset:         104
        .size:           4
        .value_kind:     by_value
    .group_segment_fixed_size: 4096
    .kernarg_segment_align: 8
    .kernarg_segment_size: 108
    .language:       OpenCL C
    .language_version:
      - 2
      - 0
    .max_flat_workgroup_size: 256
    .name:           _ZL32rocblas_syrkx_herkx_small_kernelIl19rocblas_complex_numIfELi16ELb0ELb0ELc78ELc85EKPKS1_KPS1_EviT_T0_PT6_S7_lSA_S7_lS8_PT7_S7_li
    .private_segment_fixed_size: 0
    .sgpr_count:     26
    .sgpr_spill_count: 0
    .symbol:         _ZL32rocblas_syrkx_herkx_small_kernelIl19rocblas_complex_numIfELi16ELb0ELb0ELc78ELc85EKPKS1_KPS1_EviT_T0_PT6_S7_lSA_S7_lS8_PT7_S7_li.kd
    .uniform_work_group_size: 1
    .uses_dynamic_stack: false
    .vgpr_count:     70
    .vgpr_spill_count: 0
    .wavefront_size: 32
    .workgroup_processor_mode: 1
  - .args:
      - .offset:         0
        .size:           4
        .value_kind:     by_value
      - .offset:         8
        .size:           8
        .value_kind:     by_value
      - .offset:         16
        .size:           8
        .value_kind:     by_value
      - .address_space:  global
        .offset:         24
        .size:           8
        .value_kind:     global_buffer
      - .offset:         32
        .size:           8
        .value_kind:     by_value
      - .offset:         40
        .size:           8
        .value_kind:     by_value
      - .address_space:  global
        .offset:         48
        .size:           8
        .value_kind:     global_buffer
      - .offset:         56
        .size:           8
        .value_kind:     by_value
      - .offset:         64
        .size:           8
        .value_kind:     by_value
      - .offset:         72
        .size:           8
        .value_kind:     by_value
      - .address_space:  global
        .offset:         80
        .size:           8
        .value_kind:     global_buffer
      - .offset:         88
        .size:           8
        .value_kind:     by_value
      - .offset:         96
        .size:           8
        .value_kind:     by_value
      - .offset:         104
        .size:           4
        .value_kind:     by_value
    .group_segment_fixed_size: 4096
    .kernarg_segment_align: 8
    .kernarg_segment_size: 108
    .language:       OpenCL C
    .language_version:
      - 2
      - 0
    .max_flat_workgroup_size: 256
    .name:           _ZL34rocblas_syrkx_herkx_general_kernelIl19rocblas_complex_numIfELi16ELi32ELi8ELb1ELb0ELc84ELc76EKPKS1_KPS1_EviT_T0_PT8_S7_lSA_S7_lS8_PT9_S7_li
    .private_segment_fixed_size: 0
    .sgpr_count:     24
    .sgpr_spill_count: 0
    .symbol:         _ZL34rocblas_syrkx_herkx_general_kernelIl19rocblas_complex_numIfELi16ELi32ELi8ELb1ELb0ELc84ELc76EKPKS1_KPS1_EviT_T0_PT8_S7_lSA_S7_lS8_PT9_S7_li.kd
    .uniform_work_group_size: 1
    .uses_dynamic_stack: false
    .vgpr_count:     59
    .vgpr_spill_count: 0
    .wavefront_size: 32
    .workgroup_processor_mode: 1
  - .args:
      - .offset:         0
        .size:           4
        .value_kind:     by_value
      - .offset:         8
        .size:           8
        .value_kind:     by_value
      - .offset:         16
        .size:           8
        .value_kind:     by_value
      - .address_space:  global
        .offset:         24
        .size:           8
        .value_kind:     global_buffer
      - .offset:         32
        .size:           8
        .value_kind:     by_value
      - .offset:         40
        .size:           8
        .value_kind:     by_value
      - .address_space:  global
        .offset:         48
        .size:           8
        .value_kind:     global_buffer
      - .offset:         56
        .size:           8
        .value_kind:     by_value
      - .offset:         64
        .size:           8
        .value_kind:     by_value
      - .offset:         72
        .size:           8
        .value_kind:     by_value
      - .address_space:  global
        .offset:         80
        .size:           8
        .value_kind:     global_buffer
      - .offset:         88
        .size:           8
        .value_kind:     by_value
      - .offset:         96
        .size:           8
        .value_kind:     by_value
      - .offset:         104
        .size:           4
        .value_kind:     by_value
    .group_segment_fixed_size: 4096
    .kernarg_segment_align: 8
    .kernarg_segment_size: 108
    .language:       OpenCL C
    .language_version:
      - 2
      - 0
    .max_flat_workgroup_size: 256
    .name:           _ZL34rocblas_syrkx_herkx_general_kernelIl19rocblas_complex_numIfELi16ELi32ELi8ELb1ELb0ELc67ELc76EKPKS1_KPS1_EviT_T0_PT8_S7_lSA_S7_lS8_PT9_S7_li
    .private_segment_fixed_size: 0
    .sgpr_count:     26
    .sgpr_spill_count: 0
    .symbol:         _ZL34rocblas_syrkx_herkx_general_kernelIl19rocblas_complex_numIfELi16ELi32ELi8ELb1ELb0ELc67ELc76EKPKS1_KPS1_EviT_T0_PT8_S7_lSA_S7_lS8_PT9_S7_li.kd
    .uniform_work_group_size: 1
    .uses_dynamic_stack: false
    .vgpr_count:     59
    .vgpr_spill_count: 0
    .wavefront_size: 32
    .workgroup_processor_mode: 1
  - .args:
      - .offset:         0
        .size:           4
        .value_kind:     by_value
      - .offset:         8
        .size:           8
        .value_kind:     by_value
      - .offset:         16
        .size:           8
        .value_kind:     by_value
      - .address_space:  global
        .offset:         24
        .size:           8
        .value_kind:     global_buffer
      - .offset:         32
        .size:           8
        .value_kind:     by_value
      - .offset:         40
        .size:           8
        .value_kind:     by_value
      - .address_space:  global
        .offset:         48
        .size:           8
        .value_kind:     global_buffer
      - .offset:         56
        .size:           8
        .value_kind:     by_value
      - .offset:         64
        .size:           8
        .value_kind:     by_value
      - .offset:         72
        .size:           8
        .value_kind:     by_value
      - .address_space:  global
        .offset:         80
        .size:           8
        .value_kind:     global_buffer
      - .offset:         88
        .size:           8
        .value_kind:     by_value
      - .offset:         96
        .size:           8
        .value_kind:     by_value
      - .offset:         104
        .size:           4
        .value_kind:     by_value
    .group_segment_fixed_size: 4096
    .kernarg_segment_align: 8
    .kernarg_segment_size: 108
    .language:       OpenCL C
    .language_version:
      - 2
      - 0
    .max_flat_workgroup_size: 256
    .name:           _ZL34rocblas_syrkx_herkx_general_kernelIl19rocblas_complex_numIfELi16ELi32ELi8ELb1ELb0ELc78ELc76EKPKS1_KPS1_EviT_T0_PT8_S7_lSA_S7_lS8_PT9_S7_li
    .private_segment_fixed_size: 0
    .sgpr_count:     25
    .sgpr_spill_count: 0
    .symbol:         _ZL34rocblas_syrkx_herkx_general_kernelIl19rocblas_complex_numIfELi16ELi32ELi8ELb1ELb0ELc78ELc76EKPKS1_KPS1_EviT_T0_PT8_S7_lSA_S7_lS8_PT9_S7_li.kd
    .uniform_work_group_size: 1
    .uses_dynamic_stack: false
    .vgpr_count:     59
    .vgpr_spill_count: 0
    .wavefront_size: 32
    .workgroup_processor_mode: 1
  - .args:
      - .offset:         0
        .size:           4
        .value_kind:     by_value
      - .offset:         8
        .size:           8
        .value_kind:     by_value
      - .offset:         16
        .size:           8
        .value_kind:     by_value
      - .address_space:  global
        .offset:         24
        .size:           8
        .value_kind:     global_buffer
      - .offset:         32
        .size:           8
        .value_kind:     by_value
      - .offset:         40
        .size:           8
        .value_kind:     by_value
      - .address_space:  global
        .offset:         48
        .size:           8
        .value_kind:     global_buffer
      - .offset:         56
        .size:           8
        .value_kind:     by_value
      - .offset:         64
        .size:           8
        .value_kind:     by_value
      - .offset:         72
        .size:           8
        .value_kind:     by_value
      - .address_space:  global
        .offset:         80
        .size:           8
        .value_kind:     global_buffer
      - .offset:         88
        .size:           8
        .value_kind:     by_value
      - .offset:         96
        .size:           8
        .value_kind:     by_value
      - .offset:         104
        .size:           4
        .value_kind:     by_value
    .group_segment_fixed_size: 4096
    .kernarg_segment_align: 8
    .kernarg_segment_size: 108
    .language:       OpenCL C
    .language_version:
      - 2
      - 0
    .max_flat_workgroup_size: 256
    .name:           _ZL34rocblas_syrkx_herkx_general_kernelIl19rocblas_complex_numIfELi16ELi32ELi8ELb1ELb0ELc84ELc85EKPKS1_KPS1_EviT_T0_PT8_S7_lSA_S7_lS8_PT9_S7_li
    .private_segment_fixed_size: 0
    .sgpr_count:     24
    .sgpr_spill_count: 0
    .symbol:         _ZL34rocblas_syrkx_herkx_general_kernelIl19rocblas_complex_numIfELi16ELi32ELi8ELb1ELb0ELc84ELc85EKPKS1_KPS1_EviT_T0_PT8_S7_lSA_S7_lS8_PT9_S7_li.kd
    .uniform_work_group_size: 1
    .uses_dynamic_stack: false
    .vgpr_count:     59
    .vgpr_spill_count: 0
    .wavefront_size: 32
    .workgroup_processor_mode: 1
  - .args:
      - .offset:         0
        .size:           4
        .value_kind:     by_value
      - .offset:         8
        .size:           8
        .value_kind:     by_value
      - .offset:         16
        .size:           8
        .value_kind:     by_value
      - .address_space:  global
        .offset:         24
        .size:           8
        .value_kind:     global_buffer
      - .offset:         32
        .size:           8
        .value_kind:     by_value
      - .offset:         40
        .size:           8
        .value_kind:     by_value
      - .address_space:  global
        .offset:         48
        .size:           8
        .value_kind:     global_buffer
      - .offset:         56
        .size:           8
        .value_kind:     by_value
      - .offset:         64
        .size:           8
        .value_kind:     by_value
      - .offset:         72
        .size:           8
        .value_kind:     by_value
      - .address_space:  global
        .offset:         80
        .size:           8
        .value_kind:     global_buffer
      - .offset:         88
        .size:           8
        .value_kind:     by_value
      - .offset:         96
        .size:           8
        .value_kind:     by_value
      - .offset:         104
        .size:           4
        .value_kind:     by_value
    .group_segment_fixed_size: 4096
    .kernarg_segment_align: 8
    .kernarg_segment_size: 108
    .language:       OpenCL C
    .language_version:
      - 2
      - 0
    .max_flat_workgroup_size: 256
    .name:           _ZL34rocblas_syrkx_herkx_general_kernelIl19rocblas_complex_numIfELi16ELi32ELi8ELb1ELb0ELc67ELc85EKPKS1_KPS1_EviT_T0_PT8_S7_lSA_S7_lS8_PT9_S7_li
    .private_segment_fixed_size: 0
    .sgpr_count:     26
    .sgpr_spill_count: 0
    .symbol:         _ZL34rocblas_syrkx_herkx_general_kernelIl19rocblas_complex_numIfELi16ELi32ELi8ELb1ELb0ELc67ELc85EKPKS1_KPS1_EviT_T0_PT8_S7_lSA_S7_lS8_PT9_S7_li.kd
    .uniform_work_group_size: 1
    .uses_dynamic_stack: false
    .vgpr_count:     59
    .vgpr_spill_count: 0
    .wavefront_size: 32
    .workgroup_processor_mode: 1
  - .args:
      - .offset:         0
        .size:           4
        .value_kind:     by_value
      - .offset:         8
        .size:           8
        .value_kind:     by_value
      - .offset:         16
        .size:           8
        .value_kind:     by_value
      - .address_space:  global
        .offset:         24
        .size:           8
        .value_kind:     global_buffer
      - .offset:         32
        .size:           8
        .value_kind:     by_value
      - .offset:         40
        .size:           8
        .value_kind:     by_value
      - .address_space:  global
        .offset:         48
        .size:           8
        .value_kind:     global_buffer
      - .offset:         56
        .size:           8
        .value_kind:     by_value
      - .offset:         64
        .size:           8
        .value_kind:     by_value
      - .offset:         72
        .size:           8
        .value_kind:     by_value
      - .address_space:  global
        .offset:         80
        .size:           8
        .value_kind:     global_buffer
      - .offset:         88
        .size:           8
        .value_kind:     by_value
      - .offset:         96
        .size:           8
        .value_kind:     by_value
      - .offset:         104
        .size:           4
        .value_kind:     by_value
    .group_segment_fixed_size: 4096
    .kernarg_segment_align: 8
    .kernarg_segment_size: 108
    .language:       OpenCL C
    .language_version:
      - 2
      - 0
    .max_flat_workgroup_size: 256
    .name:           _ZL34rocblas_syrkx_herkx_general_kernelIl19rocblas_complex_numIfELi16ELi32ELi8ELb1ELb0ELc78ELc85EKPKS1_KPS1_EviT_T0_PT8_S7_lSA_S7_lS8_PT9_S7_li
    .private_segment_fixed_size: 0
    .sgpr_count:     25
    .sgpr_spill_count: 0
    .symbol:         _ZL34rocblas_syrkx_herkx_general_kernelIl19rocblas_complex_numIfELi16ELi32ELi8ELb1ELb0ELc78ELc85EKPKS1_KPS1_EviT_T0_PT8_S7_lSA_S7_lS8_PT9_S7_li.kd
    .uniform_work_group_size: 1
    .uses_dynamic_stack: false
    .vgpr_count:     59
    .vgpr_spill_count: 0
    .wavefront_size: 32
    .workgroup_processor_mode: 1
  - .args:
      - .offset:         0
        .size:           4
        .value_kind:     by_value
      - .offset:         8
        .size:           8
        .value_kind:     by_value
      - .offset:         16
        .size:           8
        .value_kind:     by_value
      - .address_space:  global
        .offset:         24
        .size:           8
        .value_kind:     global_buffer
      - .offset:         32
        .size:           8
        .value_kind:     by_value
      - .offset:         40
        .size:           8
        .value_kind:     by_value
      - .address_space:  global
        .offset:         48
        .size:           8
        .value_kind:     global_buffer
      - .offset:         56
        .size:           8
        .value_kind:     by_value
      - .offset:         64
        .size:           8
        .value_kind:     by_value
      - .offset:         72
        .size:           8
        .value_kind:     by_value
      - .address_space:  global
        .offset:         80
        .size:           8
        .value_kind:     global_buffer
      - .offset:         88
        .size:           8
        .value_kind:     by_value
      - .offset:         96
        .size:           8
        .value_kind:     by_value
      - .offset:         104
        .size:           4
        .value_kind:     by_value
    .group_segment_fixed_size: 4096
    .kernarg_segment_align: 8
    .kernarg_segment_size: 108
    .language:       OpenCL C
    .language_version:
      - 2
      - 0
    .max_flat_workgroup_size: 256
    .name:           _ZL34rocblas_syrkx_herkx_general_kernelIl19rocblas_complex_numIfELi16ELi32ELi8ELb0ELb0ELc84ELc76EKPKS1_KPS1_EviT_T0_PT8_S7_lSA_S7_lS8_PT9_S7_li
    .private_segment_fixed_size: 0
    .sgpr_count:     26
    .sgpr_spill_count: 0
    .symbol:         _ZL34rocblas_syrkx_herkx_general_kernelIl19rocblas_complex_numIfELi16ELi32ELi8ELb0ELb0ELc84ELc76EKPKS1_KPS1_EviT_T0_PT8_S7_lSA_S7_lS8_PT9_S7_li.kd
    .uniform_work_group_size: 1
    .uses_dynamic_stack: false
    .vgpr_count:     59
    .vgpr_spill_count: 0
    .wavefront_size: 32
    .workgroup_processor_mode: 1
  - .args:
      - .offset:         0
        .size:           4
        .value_kind:     by_value
      - .offset:         8
        .size:           8
        .value_kind:     by_value
      - .offset:         16
        .size:           8
        .value_kind:     by_value
      - .address_space:  global
        .offset:         24
        .size:           8
        .value_kind:     global_buffer
      - .offset:         32
        .size:           8
        .value_kind:     by_value
      - .offset:         40
        .size:           8
        .value_kind:     by_value
      - .address_space:  global
        .offset:         48
        .size:           8
        .value_kind:     global_buffer
      - .offset:         56
        .size:           8
        .value_kind:     by_value
      - .offset:         64
        .size:           8
        .value_kind:     by_value
      - .offset:         72
        .size:           8
        .value_kind:     by_value
      - .address_space:  global
        .offset:         80
        .size:           8
        .value_kind:     global_buffer
      - .offset:         88
        .size:           8
        .value_kind:     by_value
      - .offset:         96
        .size:           8
        .value_kind:     by_value
      - .offset:         104
        .size:           4
        .value_kind:     by_value
    .group_segment_fixed_size: 4096
    .kernarg_segment_align: 8
    .kernarg_segment_size: 108
    .language:       OpenCL C
    .language_version:
      - 2
      - 0
    .max_flat_workgroup_size: 256
    .name:           _ZL34rocblas_syrkx_herkx_general_kernelIl19rocblas_complex_numIfELi16ELi32ELi8ELb0ELb0ELc67ELc76EKPKS1_KPS1_EviT_T0_PT8_S7_lSA_S7_lS8_PT9_S7_li
    .private_segment_fixed_size: 0
    .sgpr_count:     28
    .sgpr_spill_count: 0
    .symbol:         _ZL34rocblas_syrkx_herkx_general_kernelIl19rocblas_complex_numIfELi16ELi32ELi8ELb0ELb0ELc67ELc76EKPKS1_KPS1_EviT_T0_PT8_S7_lSA_S7_lS8_PT9_S7_li.kd
    .uniform_work_group_size: 1
    .uses_dynamic_stack: false
    .vgpr_count:     59
    .vgpr_spill_count: 0
    .wavefront_size: 32
    .workgroup_processor_mode: 1
  - .args:
      - .offset:         0
        .size:           4
        .value_kind:     by_value
      - .offset:         8
        .size:           8
        .value_kind:     by_value
      - .offset:         16
        .size:           8
        .value_kind:     by_value
      - .address_space:  global
        .offset:         24
        .size:           8
        .value_kind:     global_buffer
      - .offset:         32
        .size:           8
        .value_kind:     by_value
      - .offset:         40
        .size:           8
        .value_kind:     by_value
      - .address_space:  global
        .offset:         48
        .size:           8
        .value_kind:     global_buffer
      - .offset:         56
        .size:           8
        .value_kind:     by_value
      - .offset:         64
        .size:           8
        .value_kind:     by_value
      - .offset:         72
        .size:           8
        .value_kind:     by_value
      - .address_space:  global
        .offset:         80
        .size:           8
        .value_kind:     global_buffer
      - .offset:         88
        .size:           8
        .value_kind:     by_value
      - .offset:         96
        .size:           8
        .value_kind:     by_value
      - .offset:         104
        .size:           4
        .value_kind:     by_value
    .group_segment_fixed_size: 4096
    .kernarg_segment_align: 8
    .kernarg_segment_size: 108
    .language:       OpenCL C
    .language_version:
      - 2
      - 0
    .max_flat_workgroup_size: 256
    .name:           _ZL34rocblas_syrkx_herkx_general_kernelIl19rocblas_complex_numIfELi16ELi32ELi8ELb0ELb0ELc78ELc76EKPKS1_KPS1_EviT_T0_PT8_S7_lSA_S7_lS8_PT9_S7_li
    .private_segment_fixed_size: 0
    .sgpr_count:     27
    .sgpr_spill_count: 0
    .symbol:         _ZL34rocblas_syrkx_herkx_general_kernelIl19rocblas_complex_numIfELi16ELi32ELi8ELb0ELb0ELc78ELc76EKPKS1_KPS1_EviT_T0_PT8_S7_lSA_S7_lS8_PT9_S7_li.kd
    .uniform_work_group_size: 1
    .uses_dynamic_stack: false
    .vgpr_count:     59
    .vgpr_spill_count: 0
    .wavefront_size: 32
    .workgroup_processor_mode: 1
  - .args:
      - .offset:         0
        .size:           4
        .value_kind:     by_value
      - .offset:         8
        .size:           8
        .value_kind:     by_value
      - .offset:         16
        .size:           8
        .value_kind:     by_value
      - .address_space:  global
        .offset:         24
        .size:           8
        .value_kind:     global_buffer
      - .offset:         32
        .size:           8
        .value_kind:     by_value
      - .offset:         40
        .size:           8
        .value_kind:     by_value
      - .address_space:  global
        .offset:         48
        .size:           8
        .value_kind:     global_buffer
      - .offset:         56
        .size:           8
        .value_kind:     by_value
      - .offset:         64
        .size:           8
        .value_kind:     by_value
      - .offset:         72
        .size:           8
        .value_kind:     by_value
      - .address_space:  global
        .offset:         80
        .size:           8
        .value_kind:     global_buffer
      - .offset:         88
        .size:           8
        .value_kind:     by_value
      - .offset:         96
        .size:           8
        .value_kind:     by_value
      - .offset:         104
        .size:           4
        .value_kind:     by_value
    .group_segment_fixed_size: 4096
    .kernarg_segment_align: 8
    .kernarg_segment_size: 108
    .language:       OpenCL C
    .language_version:
      - 2
      - 0
    .max_flat_workgroup_size: 256
    .name:           _ZL34rocblas_syrkx_herkx_general_kernelIl19rocblas_complex_numIfELi16ELi32ELi8ELb0ELb0ELc84ELc85EKPKS1_KPS1_EviT_T0_PT8_S7_lSA_S7_lS8_PT9_S7_li
    .private_segment_fixed_size: 0
    .sgpr_count:     26
    .sgpr_spill_count: 0
    .symbol:         _ZL34rocblas_syrkx_herkx_general_kernelIl19rocblas_complex_numIfELi16ELi32ELi8ELb0ELb0ELc84ELc85EKPKS1_KPS1_EviT_T0_PT8_S7_lSA_S7_lS8_PT9_S7_li.kd
    .uniform_work_group_size: 1
    .uses_dynamic_stack: false
    .vgpr_count:     59
    .vgpr_spill_count: 0
    .wavefront_size: 32
    .workgroup_processor_mode: 1
  - .args:
      - .offset:         0
        .size:           4
        .value_kind:     by_value
      - .offset:         8
        .size:           8
        .value_kind:     by_value
      - .offset:         16
        .size:           8
        .value_kind:     by_value
      - .address_space:  global
        .offset:         24
        .size:           8
        .value_kind:     global_buffer
      - .offset:         32
        .size:           8
        .value_kind:     by_value
      - .offset:         40
        .size:           8
        .value_kind:     by_value
      - .address_space:  global
        .offset:         48
        .size:           8
        .value_kind:     global_buffer
      - .offset:         56
        .size:           8
        .value_kind:     by_value
      - .offset:         64
        .size:           8
        .value_kind:     by_value
      - .offset:         72
        .size:           8
        .value_kind:     by_value
      - .address_space:  global
        .offset:         80
        .size:           8
        .value_kind:     global_buffer
      - .offset:         88
        .size:           8
        .value_kind:     by_value
      - .offset:         96
        .size:           8
        .value_kind:     by_value
      - .offset:         104
        .size:           4
        .value_kind:     by_value
    .group_segment_fixed_size: 4096
    .kernarg_segment_align: 8
    .kernarg_segment_size: 108
    .language:       OpenCL C
    .language_version:
      - 2
      - 0
    .max_flat_workgroup_size: 256
    .name:           _ZL34rocblas_syrkx_herkx_general_kernelIl19rocblas_complex_numIfELi16ELi32ELi8ELb0ELb0ELc67ELc85EKPKS1_KPS1_EviT_T0_PT8_S7_lSA_S7_lS8_PT9_S7_li
    .private_segment_fixed_size: 0
    .sgpr_count:     28
    .sgpr_spill_count: 0
    .symbol:         _ZL34rocblas_syrkx_herkx_general_kernelIl19rocblas_complex_numIfELi16ELi32ELi8ELb0ELb0ELc67ELc85EKPKS1_KPS1_EviT_T0_PT8_S7_lSA_S7_lS8_PT9_S7_li.kd
    .uniform_work_group_size: 1
    .uses_dynamic_stack: false
    .vgpr_count:     59
    .vgpr_spill_count: 0
    .wavefront_size: 32
    .workgroup_processor_mode: 1
  - .args:
      - .offset:         0
        .size:           4
        .value_kind:     by_value
      - .offset:         8
        .size:           8
        .value_kind:     by_value
      - .offset:         16
        .size:           8
        .value_kind:     by_value
      - .address_space:  global
        .offset:         24
        .size:           8
        .value_kind:     global_buffer
      - .offset:         32
        .size:           8
        .value_kind:     by_value
      - .offset:         40
        .size:           8
        .value_kind:     by_value
      - .address_space:  global
        .offset:         48
        .size:           8
        .value_kind:     global_buffer
      - .offset:         56
        .size:           8
        .value_kind:     by_value
      - .offset:         64
        .size:           8
        .value_kind:     by_value
      - .offset:         72
        .size:           8
        .value_kind:     by_value
      - .address_space:  global
        .offset:         80
        .size:           8
        .value_kind:     global_buffer
      - .offset:         88
        .size:           8
        .value_kind:     by_value
      - .offset:         96
        .size:           8
        .value_kind:     by_value
      - .offset:         104
        .size:           4
        .value_kind:     by_value
    .group_segment_fixed_size: 4096
    .kernarg_segment_align: 8
    .kernarg_segment_size: 108
    .language:       OpenCL C
    .language_version:
      - 2
      - 0
    .max_flat_workgroup_size: 256
    .name:           _ZL34rocblas_syrkx_herkx_general_kernelIl19rocblas_complex_numIfELi16ELi32ELi8ELb0ELb0ELc78ELc85EKPKS1_KPS1_EviT_T0_PT8_S7_lSA_S7_lS8_PT9_S7_li
    .private_segment_fixed_size: 0
    .sgpr_count:     27
    .sgpr_spill_count: 0
    .symbol:         _ZL34rocblas_syrkx_herkx_general_kernelIl19rocblas_complex_numIfELi16ELi32ELi8ELb0ELb0ELc78ELc85EKPKS1_KPS1_EviT_T0_PT8_S7_lSA_S7_lS8_PT9_S7_li.kd
    .uniform_work_group_size: 1
    .uses_dynamic_stack: false
    .vgpr_count:     59
    .vgpr_spill_count: 0
    .wavefront_size: 32
    .workgroup_processor_mode: 1
  - .args:
      - .offset:         0
        .size:           1
        .value_kind:     by_value
      - .offset:         4
        .size:           4
        .value_kind:     by_value
      - .offset:         8
        .size:           8
        .value_kind:     by_value
      - .offset:         16
        .size:           8
        .value_kind:     by_value
      - .offset:         24
        .size:           8
        .value_kind:     by_value
      - .address_space:  global
        .offset:         32
        .size:           8
        .value_kind:     global_buffer
      - .offset:         40
        .size:           8
        .value_kind:     by_value
      - .offset:         48
        .size:           8
        .value_kind:     by_value
      - .offset:         56
        .size:           4
        .value_kind:     by_value
      - .offset:         64
        .size:           4
        .value_kind:     hidden_block_count_x
      - .offset:         68
        .size:           4
        .value_kind:     hidden_block_count_y
      - .offset:         72
        .size:           4
        .value_kind:     hidden_block_count_z
      - .offset:         76
        .size:           2
        .value_kind:     hidden_group_size_x
      - .offset:         78
        .size:           2
        .value_kind:     hidden_group_size_y
      - .offset:         80
        .size:           2
        .value_kind:     hidden_group_size_z
      - .offset:         82
        .size:           2
        .value_kind:     hidden_remainder_x
      - .offset:         84
        .size:           2
        .value_kind:     hidden_remainder_y
      - .offset:         86
        .size:           2
        .value_kind:     hidden_remainder_z
      - .offset:         104
        .size:           8
        .value_kind:     hidden_global_offset_x
      - .offset:         112
        .size:           8
        .value_kind:     hidden_global_offset_y
      - .offset:         120
        .size:           8
        .value_kind:     hidden_global_offset_z
      - .offset:         128
        .size:           2
        .value_kind:     hidden_grid_dims
    .group_segment_fixed_size: 0
    .kernarg_segment_align: 8
    .kernarg_segment_size: 320
    .language:       OpenCL C
    .language_version:
      - 2
      - 0
    .max_flat_workgroup_size: 1024
    .name:           _ZL26rocblas_syr2k_scale_kernelIlLi128ELi8ELb0E19rocblas_complex_numIfES1_PKPS1_EvbiT_T3_T4_T5_S5_li
    .private_segment_fixed_size: 0
    .sgpr_count:     18
    .sgpr_spill_count: 0
    .symbol:         _ZL26rocblas_syr2k_scale_kernelIlLi128ELi8ELb0E19rocblas_complex_numIfES1_PKPS1_EvbiT_T3_T4_T5_S5_li.kd
    .uniform_work_group_size: 1
    .uses_dynamic_stack: false
    .vgpr_count:     6
    .vgpr_spill_count: 0
    .wavefront_size: 32
    .workgroup_processor_mode: 1
  - .args:
      - .offset:         0
        .size:           1
        .value_kind:     by_value
      - .offset:         4
        .size:           4
        .value_kind:     by_value
      - .offset:         8
        .size:           8
        .value_kind:     by_value
      - .address_space:  global
        .offset:         16
        .size:           8
        .value_kind:     global_buffer
      - .address_space:  global
        .offset:         24
        .size:           8
        .value_kind:     global_buffer
      - .offset:         32
        .size:           8
        .value_kind:     by_value
      - .offset:         40
        .size:           8
        .value_kind:     by_value
      - .address_space:  global
        .offset:         48
        .size:           8
        .value_kind:     global_buffer
      - .offset:         56
        .size:           8
        .value_kind:     by_value
      - .offset:         64
        .size:           8
        .value_kind:     by_value
      - .address_space:  global
        .offset:         72
        .size:           8
        .value_kind:     global_buffer
      - .offset:         80
        .size:           8
        .value_kind:     by_value
      - .offset:         88
        .size:           8
        .value_kind:     by_value
      - .offset:         96
        .size:           4
        .value_kind:     by_value
    .group_segment_fixed_size: 16384
    .kernarg_segment_align: 8
    .kernarg_segment_size: 100
    .language:       OpenCL C
    .language_version:
      - 2
      - 0
    .max_flat_workgroup_size: 1024
    .name:           _ZL26rocblas_syr2k_her2k_kernelIlLb0ELb0ELb0ELi32EPK19rocblas_complex_numIfEPKS3_PKPS1_EvbiT_T4_T5_S9_lSB_S9_lT6_S9_li
    .private_segment_fixed_size: 0
    .sgpr_count:     34
    .sgpr_spill_count: 0
    .symbol:         _ZL26rocblas_syr2k_her2k_kernelIlLb0ELb0ELb0ELi32EPK19rocblas_complex_numIfEPKS3_PKPS1_EvbiT_T4_T5_S9_lSB_S9_lT6_S9_li.kd
    .uniform_work_group_size: 1
    .uses_dynamic_stack: false
    .vgpr_count:     106
    .vgpr_spill_count: 0
    .wavefront_size: 32
    .workgroup_processor_mode: 1
  - .args:
      - .offset:         0
        .size:           1
        .value_kind:     by_value
      - .offset:         4
        .size:           4
        .value_kind:     by_value
      - .offset:         8
        .size:           8
        .value_kind:     by_value
      - .address_space:  global
        .offset:         16
        .size:           8
        .value_kind:     global_buffer
      - .address_space:  global
        .offset:         24
        .size:           8
        .value_kind:     global_buffer
      - .offset:         32
        .size:           8
        .value_kind:     by_value
      - .offset:         40
        .size:           8
        .value_kind:     by_value
      - .address_space:  global
        .offset:         48
        .size:           8
        .value_kind:     global_buffer
      - .offset:         56
        .size:           8
        .value_kind:     by_value
      - .offset:         64
        .size:           8
        .value_kind:     by_value
      - .address_space:  global
        .offset:         72
        .size:           8
        .value_kind:     global_buffer
      - .offset:         80
        .size:           8
        .value_kind:     by_value
      - .offset:         88
        .size:           8
        .value_kind:     by_value
      - .offset:         96
        .size:           4
        .value_kind:     by_value
    .group_segment_fixed_size: 16384
    .kernarg_segment_align: 8
    .kernarg_segment_size: 100
    .language:       OpenCL C
    .language_version:
      - 2
      - 0
    .max_flat_workgroup_size: 1024
    .name:           _ZL26rocblas_syr2k_her2k_kernelIlLb0ELb0ELb1ELi32EPK19rocblas_complex_numIfEPKS3_PKPS1_EvbiT_T4_T5_S9_lSB_S9_lT6_S9_li
    .private_segment_fixed_size: 0
    .sgpr_count:     34
    .sgpr_spill_count: 0
    .symbol:         _ZL26rocblas_syr2k_her2k_kernelIlLb0ELb0ELb1ELi32EPK19rocblas_complex_numIfEPKS3_PKPS1_EvbiT_T4_T5_S9_lSB_S9_lT6_S9_li.kd
    .uniform_work_group_size: 1
    .uses_dynamic_stack: false
    .vgpr_count:     106
    .vgpr_spill_count: 0
    .wavefront_size: 32
    .workgroup_processor_mode: 1
  - .args:
      - .offset:         0
        .size:           1
        .value_kind:     by_value
      - .offset:         4
        .size:           4
        .value_kind:     by_value
      - .offset:         8
        .size:           8
        .value_kind:     by_value
      - .offset:         16
        .size:           16
        .value_kind:     by_value
      - .address_space:  global
        .offset:         32
        .size:           8
        .value_kind:     global_buffer
      - .offset:         40
        .size:           8
        .value_kind:     by_value
      - .offset:         48
        .size:           8
        .value_kind:     by_value
      - .address_space:  global
        .offset:         56
        .size:           8
        .value_kind:     global_buffer
      - .offset:         64
        .size:           8
        .value_kind:     by_value
      - .offset:         72
        .size:           8
        .value_kind:     by_value
      - .address_space:  global
        .offset:         80
        .size:           8
        .value_kind:     global_buffer
      - .offset:         88
        .size:           8
        .value_kind:     by_value
      - .offset:         96
        .size:           8
        .value_kind:     by_value
      - .offset:         104
        .size:           4
        .value_kind:     by_value
    .group_segment_fixed_size: 32768
    .kernarg_segment_align: 8
    .kernarg_segment_size: 108
    .language:       OpenCL C
    .language_version:
      - 2
      - 0
    .max_flat_workgroup_size: 1024
    .name:           _ZL26rocblas_syr2k_her2k_kernelIlLb0ELb0ELb0ELi32E19rocblas_complex_numIdEPKPKS1_PKPS1_EvbiT_T4_T5_S9_lSB_S9_lT6_S9_li
    .private_segment_fixed_size: 0
    .sgpr_count:     38
    .sgpr_spill_count: 0
    .symbol:         _ZL26rocblas_syr2k_her2k_kernelIlLb0ELb0ELb0ELi32E19rocblas_complex_numIdEPKPKS1_PKPS1_EvbiT_T4_T5_S9_lSB_S9_lT6_S9_li.kd
    .uniform_work_group_size: 1
    .uses_dynamic_stack: false
    .vgpr_count:     52
    .vgpr_spill_count: 0
    .wavefront_size: 32
    .workgroup_processor_mode: 1
  - .args:
      - .offset:         0
        .size:           1
        .value_kind:     by_value
      - .offset:         4
        .size:           4
        .value_kind:     by_value
      - .offset:         8
        .size:           8
        .value_kind:     by_value
      - .offset:         16
        .size:           16
        .value_kind:     by_value
      - .address_space:  global
        .offset:         32
        .size:           8
        .value_kind:     global_buffer
      - .offset:         40
        .size:           8
        .value_kind:     by_value
      - .offset:         48
        .size:           8
        .value_kind:     by_value
      - .address_space:  global
        .offset:         56
        .size:           8
        .value_kind:     global_buffer
      - .offset:         64
        .size:           8
        .value_kind:     by_value
      - .offset:         72
        .size:           8
        .value_kind:     by_value
      - .address_space:  global
        .offset:         80
        .size:           8
        .value_kind:     global_buffer
      - .offset:         88
        .size:           8
        .value_kind:     by_value
      - .offset:         96
        .size:           8
        .value_kind:     by_value
      - .offset:         104
        .size:           4
        .value_kind:     by_value
    .group_segment_fixed_size: 32768
    .kernarg_segment_align: 8
    .kernarg_segment_size: 108
    .language:       OpenCL C
    .language_version:
      - 2
      - 0
    .max_flat_workgroup_size: 1024
    .name:           _ZL26rocblas_syr2k_her2k_kernelIlLb0ELb0ELb1ELi32E19rocblas_complex_numIdEPKPKS1_PKPS1_EvbiT_T4_T5_S9_lSB_S9_lT6_S9_li
    .private_segment_fixed_size: 0
    .sgpr_count:     38
    .sgpr_spill_count: 0
    .symbol:         _ZL26rocblas_syr2k_her2k_kernelIlLb0ELb0ELb1ELi32E19rocblas_complex_numIdEPKPKS1_PKPS1_EvbiT_T4_T5_S9_lSB_S9_lT6_S9_li.kd
    .uniform_work_group_size: 1
    .uses_dynamic_stack: false
    .vgpr_count:     52
    .vgpr_spill_count: 0
    .wavefront_size: 32
    .workgroup_processor_mode: 1
  - .args:
      - .offset:         0
        .size:           4
        .value_kind:     by_value
      - .offset:         8
        .size:           8
        .value_kind:     by_value
      - .address_space:  global
        .offset:         16
        .size:           8
        .value_kind:     global_buffer
      - .offset:         24
        .size:           8
        .value_kind:     by_value
      - .offset:         32
        .size:           8
        .value_kind:     by_value
      - .address_space:  global
        .offset:         40
        .size:           8
        .value_kind:     global_buffer
      - .offset:         48
        .size:           8
        .value_kind:     by_value
      - .offset:         56
        .size:           8
        .value_kind:     by_value
      - .address_space:  global
        .offset:         64
        .size:           8
        .value_kind:     global_buffer
      - .offset:         72
        .size:           8
        .value_kind:     by_value
      - .offset:         80
        .size:           8
        .value_kind:     by_value
      - .offset:         88
        .size:           4
        .value_kind:     by_value
    .group_segment_fixed_size: 8192
    .kernarg_segment_align: 8
    .kernarg_segment_size: 92
    .language:       OpenCL C
    .language_version:
      - 2
      - 0
    .max_flat_workgroup_size: 256
    .name:           _ZL37rocblas_syrkx_herkx_restricted_kernelIl19rocblas_complex_numIdELi16ELi32ELi8ELi1ELi1ELb0ELc84ELc76EKPKS1_KPS1_EviT_PT9_S7_lS9_S7_lPT10_S7_li
    .private_segment_fixed_size: 0
    .sgpr_count:     22
    .sgpr_spill_count: 0
    .symbol:         _ZL37rocblas_syrkx_herkx_restricted_kernelIl19rocblas_complex_numIdELi16ELi32ELi8ELi1ELi1ELb0ELc84ELc76EKPKS1_KPS1_EviT_PT9_S7_lS9_S7_lPT10_S7_li.kd
    .uniform_work_group_size: 1
    .uses_dynamic_stack: false
    .vgpr_count:     118
    .vgpr_spill_count: 0
    .wavefront_size: 32
    .workgroup_processor_mode: 1
  - .args:
      - .offset:         0
        .size:           4
        .value_kind:     by_value
      - .offset:         8
        .size:           8
        .value_kind:     by_value
      - .address_space:  global
        .offset:         16
        .size:           8
        .value_kind:     global_buffer
      - .offset:         24
        .size:           8
        .value_kind:     by_value
      - .offset:         32
        .size:           8
        .value_kind:     by_value
      - .address_space:  global
        .offset:         40
        .size:           8
        .value_kind:     global_buffer
      - .offset:         48
        .size:           8
        .value_kind:     by_value
      - .offset:         56
        .size:           8
        .value_kind:     by_value
      - .address_space:  global
        .offset:         64
        .size:           8
        .value_kind:     global_buffer
      - .offset:         72
        .size:           8
        .value_kind:     by_value
      - .offset:         80
        .size:           8
        .value_kind:     by_value
      - .offset:         88
        .size:           4
        .value_kind:     by_value
    .group_segment_fixed_size: 8192
    .kernarg_segment_align: 8
    .kernarg_segment_size: 92
    .language:       OpenCL C
    .language_version:
      - 2
      - 0
    .max_flat_workgroup_size: 256
    .name:           _ZL37rocblas_syrkx_herkx_restricted_kernelIl19rocblas_complex_numIdELi16ELi32ELi8ELi1ELi1ELb0ELc67ELc76EKPKS1_KPS1_EviT_PT9_S7_lS9_S7_lPT10_S7_li
    .private_segment_fixed_size: 0
    .sgpr_count:     22
    .sgpr_spill_count: 0
    .symbol:         _ZL37rocblas_syrkx_herkx_restricted_kernelIl19rocblas_complex_numIdELi16ELi32ELi8ELi1ELi1ELb0ELc67ELc76EKPKS1_KPS1_EviT_PT9_S7_lS9_S7_lPT10_S7_li.kd
    .uniform_work_group_size: 1
    .uses_dynamic_stack: false
    .vgpr_count:     118
    .vgpr_spill_count: 0
    .wavefront_size: 32
    .workgroup_processor_mode: 1
  - .args:
      - .offset:         0
        .size:           4
        .value_kind:     by_value
      - .offset:         8
        .size:           8
        .value_kind:     by_value
      - .address_space:  global
        .offset:         16
        .size:           8
        .value_kind:     global_buffer
      - .offset:         24
        .size:           8
        .value_kind:     by_value
      - .offset:         32
        .size:           8
        .value_kind:     by_value
      - .address_space:  global
        .offset:         40
        .size:           8
        .value_kind:     global_buffer
      - .offset:         48
        .size:           8
        .value_kind:     by_value
      - .offset:         56
        .size:           8
        .value_kind:     by_value
      - .address_space:  global
        .offset:         64
        .size:           8
        .value_kind:     global_buffer
      - .offset:         72
        .size:           8
        .value_kind:     by_value
      - .offset:         80
        .size:           8
        .value_kind:     by_value
      - .offset:         88
        .size:           4
        .value_kind:     by_value
    .group_segment_fixed_size: 8192
    .kernarg_segment_align: 8
    .kernarg_segment_size: 92
    .language:       OpenCL C
    .language_version:
      - 2
      - 0
    .max_flat_workgroup_size: 256
    .name:           _ZL37rocblas_syrkx_herkx_restricted_kernelIl19rocblas_complex_numIdELi16ELi32ELi8ELi1ELi1ELb0ELc78ELc76EKPKS1_KPS1_EviT_PT9_S7_lS9_S7_lPT10_S7_li
    .private_segment_fixed_size: 0
    .sgpr_count:     22
    .sgpr_spill_count: 0
    .symbol:         _ZL37rocblas_syrkx_herkx_restricted_kernelIl19rocblas_complex_numIdELi16ELi32ELi8ELi1ELi1ELb0ELc78ELc76EKPKS1_KPS1_EviT_PT9_S7_lS9_S7_lPT10_S7_li.kd
    .uniform_work_group_size: 1
    .uses_dynamic_stack: false
    .vgpr_count:     118
    .vgpr_spill_count: 0
    .wavefront_size: 32
    .workgroup_processor_mode: 1
  - .args:
      - .offset:         0
        .size:           4
        .value_kind:     by_value
      - .offset:         8
        .size:           8
        .value_kind:     by_value
      - .address_space:  global
        .offset:         16
        .size:           8
        .value_kind:     global_buffer
      - .offset:         24
        .size:           8
        .value_kind:     by_value
      - .offset:         32
        .size:           8
        .value_kind:     by_value
      - .address_space:  global
        .offset:         40
        .size:           8
        .value_kind:     global_buffer
      - .offset:         48
        .size:           8
        .value_kind:     by_value
      - .offset:         56
        .size:           8
        .value_kind:     by_value
      - .address_space:  global
        .offset:         64
        .size:           8
        .value_kind:     global_buffer
      - .offset:         72
        .size:           8
        .value_kind:     by_value
      - .offset:         80
        .size:           8
        .value_kind:     by_value
      - .offset:         88
        .size:           4
        .value_kind:     by_value
    .group_segment_fixed_size: 8192
    .kernarg_segment_align: 8
    .kernarg_segment_size: 92
    .language:       OpenCL C
    .language_version:
      - 2
      - 0
    .max_flat_workgroup_size: 256
    .name:           _ZL37rocblas_syrkx_herkx_restricted_kernelIl19rocblas_complex_numIdELi16ELi32ELi8ELi1ELi1ELb0ELc84ELc85EKPKS1_KPS1_EviT_PT9_S7_lS9_S7_lPT10_S7_li
    .private_segment_fixed_size: 0
    .sgpr_count:     22
    .sgpr_spill_count: 0
    .symbol:         _ZL37rocblas_syrkx_herkx_restricted_kernelIl19rocblas_complex_numIdELi16ELi32ELi8ELi1ELi1ELb0ELc84ELc85EKPKS1_KPS1_EviT_PT9_S7_lS9_S7_lPT10_S7_li.kd
    .uniform_work_group_size: 1
    .uses_dynamic_stack: false
    .vgpr_count:     118
    .vgpr_spill_count: 0
    .wavefront_size: 32
    .workgroup_processor_mode: 1
  - .args:
      - .offset:         0
        .size:           4
        .value_kind:     by_value
      - .offset:         8
        .size:           8
        .value_kind:     by_value
      - .address_space:  global
        .offset:         16
        .size:           8
        .value_kind:     global_buffer
      - .offset:         24
        .size:           8
        .value_kind:     by_value
      - .offset:         32
        .size:           8
        .value_kind:     by_value
      - .address_space:  global
        .offset:         40
        .size:           8
        .value_kind:     global_buffer
      - .offset:         48
        .size:           8
        .value_kind:     by_value
      - .offset:         56
        .size:           8
        .value_kind:     by_value
      - .address_space:  global
        .offset:         64
        .size:           8
        .value_kind:     global_buffer
      - .offset:         72
        .size:           8
        .value_kind:     by_value
      - .offset:         80
        .size:           8
        .value_kind:     by_value
      - .offset:         88
        .size:           4
        .value_kind:     by_value
    .group_segment_fixed_size: 8192
    .kernarg_segment_align: 8
    .kernarg_segment_size: 92
    .language:       OpenCL C
    .language_version:
      - 2
      - 0
    .max_flat_workgroup_size: 256
    .name:           _ZL37rocblas_syrkx_herkx_restricted_kernelIl19rocblas_complex_numIdELi16ELi32ELi8ELi1ELi1ELb0ELc67ELc85EKPKS1_KPS1_EviT_PT9_S7_lS9_S7_lPT10_S7_li
    .private_segment_fixed_size: 0
    .sgpr_count:     22
    .sgpr_spill_count: 0
    .symbol:         _ZL37rocblas_syrkx_herkx_restricted_kernelIl19rocblas_complex_numIdELi16ELi32ELi8ELi1ELi1ELb0ELc67ELc85EKPKS1_KPS1_EviT_PT9_S7_lS9_S7_lPT10_S7_li.kd
    .uniform_work_group_size: 1
    .uses_dynamic_stack: false
    .vgpr_count:     118
    .vgpr_spill_count: 0
    .wavefront_size: 32
    .workgroup_processor_mode: 1
  - .args:
      - .offset:         0
        .size:           4
        .value_kind:     by_value
      - .offset:         8
        .size:           8
        .value_kind:     by_value
      - .address_space:  global
        .offset:         16
        .size:           8
        .value_kind:     global_buffer
      - .offset:         24
        .size:           8
        .value_kind:     by_value
      - .offset:         32
        .size:           8
        .value_kind:     by_value
      - .address_space:  global
        .offset:         40
        .size:           8
        .value_kind:     global_buffer
      - .offset:         48
        .size:           8
        .value_kind:     by_value
      - .offset:         56
        .size:           8
        .value_kind:     by_value
      - .address_space:  global
        .offset:         64
        .size:           8
        .value_kind:     global_buffer
      - .offset:         72
        .size:           8
        .value_kind:     by_value
      - .offset:         80
        .size:           8
        .value_kind:     by_value
      - .offset:         88
        .size:           4
        .value_kind:     by_value
    .group_segment_fixed_size: 8192
    .kernarg_segment_align: 8
    .kernarg_segment_size: 92
    .language:       OpenCL C
    .language_version:
      - 2
      - 0
    .max_flat_workgroup_size: 256
    .name:           _ZL37rocblas_syrkx_herkx_restricted_kernelIl19rocblas_complex_numIdELi16ELi32ELi8ELi1ELi1ELb0ELc78ELc85EKPKS1_KPS1_EviT_PT9_S7_lS9_S7_lPT10_S7_li
    .private_segment_fixed_size: 0
    .sgpr_count:     22
    .sgpr_spill_count: 0
    .symbol:         _ZL37rocblas_syrkx_herkx_restricted_kernelIl19rocblas_complex_numIdELi16ELi32ELi8ELi1ELi1ELb0ELc78ELc85EKPKS1_KPS1_EviT_PT9_S7_lS9_S7_lPT10_S7_li.kd
    .uniform_work_group_size: 1
    .uses_dynamic_stack: false
    .vgpr_count:     118
    .vgpr_spill_count: 0
    .wavefront_size: 32
    .workgroup_processor_mode: 1
  - .args:
      - .offset:         0
        .size:           4
        .value_kind:     by_value
      - .offset:         8
        .size:           8
        .value_kind:     by_value
      - .address_space:  global
        .offset:         16
        .size:           8
        .value_kind:     global_buffer
      - .offset:         24
        .size:           8
        .value_kind:     by_value
      - .offset:         32
        .size:           8
        .value_kind:     by_value
      - .address_space:  global
        .offset:         40
        .size:           8
        .value_kind:     global_buffer
      - .offset:         48
        .size:           8
        .value_kind:     by_value
      - .offset:         56
        .size:           8
        .value_kind:     by_value
      - .address_space:  global
        .offset:         64
        .size:           8
        .value_kind:     global_buffer
      - .offset:         72
        .size:           8
        .value_kind:     by_value
      - .offset:         80
        .size:           8
        .value_kind:     by_value
      - .offset:         88
        .size:           4
        .value_kind:     by_value
    .group_segment_fixed_size: 8192
    .kernarg_segment_align: 8
    .kernarg_segment_size: 92
    .language:       OpenCL C
    .language_version:
      - 2
      - 0
    .max_flat_workgroup_size: 256
    .name:           _ZL37rocblas_syrkx_herkx_restricted_kernelIl19rocblas_complex_numIdELi16ELi32ELi8ELi1ELin1ELb0ELc84ELc76EKPKS1_KPS1_EviT_PT9_S7_lS9_S7_lPT10_S7_li
    .private_segment_fixed_size: 0
    .sgpr_count:     22
    .sgpr_spill_count: 0
    .symbol:         _ZL37rocblas_syrkx_herkx_restricted_kernelIl19rocblas_complex_numIdELi16ELi32ELi8ELi1ELin1ELb0ELc84ELc76EKPKS1_KPS1_EviT_PT9_S7_lS9_S7_lPT10_S7_li.kd
    .uniform_work_group_size: 1
    .uses_dynamic_stack: false
    .vgpr_count:     118
    .vgpr_spill_count: 0
    .wavefront_size: 32
    .workgroup_processor_mode: 1
  - .args:
      - .offset:         0
        .size:           4
        .value_kind:     by_value
      - .offset:         8
        .size:           8
        .value_kind:     by_value
      - .address_space:  global
        .offset:         16
        .size:           8
        .value_kind:     global_buffer
      - .offset:         24
        .size:           8
        .value_kind:     by_value
      - .offset:         32
        .size:           8
        .value_kind:     by_value
      - .address_space:  global
        .offset:         40
        .size:           8
        .value_kind:     global_buffer
      - .offset:         48
        .size:           8
        .value_kind:     by_value
      - .offset:         56
        .size:           8
        .value_kind:     by_value
      - .address_space:  global
        .offset:         64
        .size:           8
        .value_kind:     global_buffer
      - .offset:         72
        .size:           8
        .value_kind:     by_value
      - .offset:         80
        .size:           8
        .value_kind:     by_value
      - .offset:         88
        .size:           4
        .value_kind:     by_value
    .group_segment_fixed_size: 8192
    .kernarg_segment_align: 8
    .kernarg_segment_size: 92
    .language:       OpenCL C
    .language_version:
      - 2
      - 0
    .max_flat_workgroup_size: 256
    .name:           _ZL37rocblas_syrkx_herkx_restricted_kernelIl19rocblas_complex_numIdELi16ELi32ELi8ELi1ELin1ELb0ELc67ELc76EKPKS1_KPS1_EviT_PT9_S7_lS9_S7_lPT10_S7_li
    .private_segment_fixed_size: 0
    .sgpr_count:     22
    .sgpr_spill_count: 0
    .symbol:         _ZL37rocblas_syrkx_herkx_restricted_kernelIl19rocblas_complex_numIdELi16ELi32ELi8ELi1ELin1ELb0ELc67ELc76EKPKS1_KPS1_EviT_PT9_S7_lS9_S7_lPT10_S7_li.kd
    .uniform_work_group_size: 1
    .uses_dynamic_stack: false
    .vgpr_count:     118
    .vgpr_spill_count: 0
    .wavefront_size: 32
    .workgroup_processor_mode: 1
  - .args:
      - .offset:         0
        .size:           4
        .value_kind:     by_value
      - .offset:         8
        .size:           8
        .value_kind:     by_value
      - .address_space:  global
        .offset:         16
        .size:           8
        .value_kind:     global_buffer
      - .offset:         24
        .size:           8
        .value_kind:     by_value
      - .offset:         32
        .size:           8
        .value_kind:     by_value
      - .address_space:  global
        .offset:         40
        .size:           8
        .value_kind:     global_buffer
      - .offset:         48
        .size:           8
        .value_kind:     by_value
      - .offset:         56
        .size:           8
        .value_kind:     by_value
      - .address_space:  global
        .offset:         64
        .size:           8
        .value_kind:     global_buffer
      - .offset:         72
        .size:           8
        .value_kind:     by_value
      - .offset:         80
        .size:           8
        .value_kind:     by_value
      - .offset:         88
        .size:           4
        .value_kind:     by_value
    .group_segment_fixed_size: 8192
    .kernarg_segment_align: 8
    .kernarg_segment_size: 92
    .language:       OpenCL C
    .language_version:
      - 2
      - 0
    .max_flat_workgroup_size: 256
    .name:           _ZL37rocblas_syrkx_herkx_restricted_kernelIl19rocblas_complex_numIdELi16ELi32ELi8ELi1ELin1ELb0ELc78ELc76EKPKS1_KPS1_EviT_PT9_S7_lS9_S7_lPT10_S7_li
    .private_segment_fixed_size: 0
    .sgpr_count:     22
    .sgpr_spill_count: 0
    .symbol:         _ZL37rocblas_syrkx_herkx_restricted_kernelIl19rocblas_complex_numIdELi16ELi32ELi8ELi1ELin1ELb0ELc78ELc76EKPKS1_KPS1_EviT_PT9_S7_lS9_S7_lPT10_S7_li.kd
    .uniform_work_group_size: 1
    .uses_dynamic_stack: false
    .vgpr_count:     118
    .vgpr_spill_count: 0
    .wavefront_size: 32
    .workgroup_processor_mode: 1
  - .args:
      - .offset:         0
        .size:           4
        .value_kind:     by_value
      - .offset:         8
        .size:           8
        .value_kind:     by_value
      - .address_space:  global
        .offset:         16
        .size:           8
        .value_kind:     global_buffer
      - .offset:         24
        .size:           8
        .value_kind:     by_value
      - .offset:         32
        .size:           8
        .value_kind:     by_value
      - .address_space:  global
        .offset:         40
        .size:           8
        .value_kind:     global_buffer
      - .offset:         48
        .size:           8
        .value_kind:     by_value
      - .offset:         56
        .size:           8
        .value_kind:     by_value
      - .address_space:  global
        .offset:         64
        .size:           8
        .value_kind:     global_buffer
      - .offset:         72
        .size:           8
        .value_kind:     by_value
      - .offset:         80
        .size:           8
        .value_kind:     by_value
      - .offset:         88
        .size:           4
        .value_kind:     by_value
    .group_segment_fixed_size: 8192
    .kernarg_segment_align: 8
    .kernarg_segment_size: 92
    .language:       OpenCL C
    .language_version:
      - 2
      - 0
    .max_flat_workgroup_size: 256
    .name:           _ZL37rocblas_syrkx_herkx_restricted_kernelIl19rocblas_complex_numIdELi16ELi32ELi8ELi1ELin1ELb0ELc84ELc85EKPKS1_KPS1_EviT_PT9_S7_lS9_S7_lPT10_S7_li
    .private_segment_fixed_size: 0
    .sgpr_count:     22
    .sgpr_spill_count: 0
    .symbol:         _ZL37rocblas_syrkx_herkx_restricted_kernelIl19rocblas_complex_numIdELi16ELi32ELi8ELi1ELin1ELb0ELc84ELc85EKPKS1_KPS1_EviT_PT9_S7_lS9_S7_lPT10_S7_li.kd
    .uniform_work_group_size: 1
    .uses_dynamic_stack: false
    .vgpr_count:     118
    .vgpr_spill_count: 0
    .wavefront_size: 32
    .workgroup_processor_mode: 1
  - .args:
      - .offset:         0
        .size:           4
        .value_kind:     by_value
      - .offset:         8
        .size:           8
        .value_kind:     by_value
      - .address_space:  global
        .offset:         16
        .size:           8
        .value_kind:     global_buffer
      - .offset:         24
        .size:           8
        .value_kind:     by_value
      - .offset:         32
        .size:           8
        .value_kind:     by_value
      - .address_space:  global
        .offset:         40
        .size:           8
        .value_kind:     global_buffer
      - .offset:         48
        .size:           8
        .value_kind:     by_value
      - .offset:         56
        .size:           8
        .value_kind:     by_value
      - .address_space:  global
        .offset:         64
        .size:           8
        .value_kind:     global_buffer
      - .offset:         72
        .size:           8
        .value_kind:     by_value
      - .offset:         80
        .size:           8
        .value_kind:     by_value
      - .offset:         88
        .size:           4
        .value_kind:     by_value
    .group_segment_fixed_size: 8192
    .kernarg_segment_align: 8
    .kernarg_segment_size: 92
    .language:       OpenCL C
    .language_version:
      - 2
      - 0
    .max_flat_workgroup_size: 256
    .name:           _ZL37rocblas_syrkx_herkx_restricted_kernelIl19rocblas_complex_numIdELi16ELi32ELi8ELi1ELin1ELb0ELc67ELc85EKPKS1_KPS1_EviT_PT9_S7_lS9_S7_lPT10_S7_li
    .private_segment_fixed_size: 0
    .sgpr_count:     22
    .sgpr_spill_count: 0
    .symbol:         _ZL37rocblas_syrkx_herkx_restricted_kernelIl19rocblas_complex_numIdELi16ELi32ELi8ELi1ELin1ELb0ELc67ELc85EKPKS1_KPS1_EviT_PT9_S7_lS9_S7_lPT10_S7_li.kd
    .uniform_work_group_size: 1
    .uses_dynamic_stack: false
    .vgpr_count:     118
    .vgpr_spill_count: 0
    .wavefront_size: 32
    .workgroup_processor_mode: 1
  - .args:
      - .offset:         0
        .size:           4
        .value_kind:     by_value
      - .offset:         8
        .size:           8
        .value_kind:     by_value
      - .address_space:  global
        .offset:         16
        .size:           8
        .value_kind:     global_buffer
      - .offset:         24
        .size:           8
        .value_kind:     by_value
      - .offset:         32
        .size:           8
        .value_kind:     by_value
      - .address_space:  global
        .offset:         40
        .size:           8
        .value_kind:     global_buffer
      - .offset:         48
        .size:           8
        .value_kind:     by_value
      - .offset:         56
        .size:           8
        .value_kind:     by_value
      - .address_space:  global
        .offset:         64
        .size:           8
        .value_kind:     global_buffer
      - .offset:         72
        .size:           8
        .value_kind:     by_value
      - .offset:         80
        .size:           8
        .value_kind:     by_value
      - .offset:         88
        .size:           4
        .value_kind:     by_value
    .group_segment_fixed_size: 8192
    .kernarg_segment_align: 8
    .kernarg_segment_size: 92
    .language:       OpenCL C
    .language_version:
      - 2
      - 0
    .max_flat_workgroup_size: 256
    .name:           _ZL37rocblas_syrkx_herkx_restricted_kernelIl19rocblas_complex_numIdELi16ELi32ELi8ELi1ELin1ELb0ELc78ELc85EKPKS1_KPS1_EviT_PT9_S7_lS9_S7_lPT10_S7_li
    .private_segment_fixed_size: 0
    .sgpr_count:     22
    .sgpr_spill_count: 0
    .symbol:         _ZL37rocblas_syrkx_herkx_restricted_kernelIl19rocblas_complex_numIdELi16ELi32ELi8ELi1ELin1ELb0ELc78ELc85EKPKS1_KPS1_EviT_PT9_S7_lS9_S7_lPT10_S7_li.kd
    .uniform_work_group_size: 1
    .uses_dynamic_stack: false
    .vgpr_count:     118
    .vgpr_spill_count: 0
    .wavefront_size: 32
    .workgroup_processor_mode: 1
  - .args:
      - .offset:         0
        .size:           4
        .value_kind:     by_value
      - .offset:         8
        .size:           8
        .value_kind:     by_value
      - .address_space:  global
        .offset:         16
        .size:           8
        .value_kind:     global_buffer
      - .offset:         24
        .size:           8
        .value_kind:     by_value
      - .offset:         32
        .size:           8
        .value_kind:     by_value
      - .address_space:  global
        .offset:         40
        .size:           8
        .value_kind:     global_buffer
      - .offset:         48
        .size:           8
        .value_kind:     by_value
      - .offset:         56
        .size:           8
        .value_kind:     by_value
      - .address_space:  global
        .offset:         64
        .size:           8
        .value_kind:     global_buffer
      - .offset:         72
        .size:           8
        .value_kind:     by_value
      - .offset:         80
        .size:           8
        .value_kind:     by_value
      - .offset:         88
        .size:           4
        .value_kind:     by_value
    .group_segment_fixed_size: 8192
    .kernarg_segment_align: 8
    .kernarg_segment_size: 92
    .language:       OpenCL C
    .language_version:
      - 2
      - 0
    .max_flat_workgroup_size: 256
    .name:           _ZL37rocblas_syrkx_herkx_restricted_kernelIl19rocblas_complex_numIdELi16ELi32ELi8ELi1ELi0ELb0ELc84ELc76EKPKS1_KPS1_EviT_PT9_S7_lS9_S7_lPT10_S7_li
    .private_segment_fixed_size: 0
    .sgpr_count:     22
    .sgpr_spill_count: 0
    .symbol:         _ZL37rocblas_syrkx_herkx_restricted_kernelIl19rocblas_complex_numIdELi16ELi32ELi8ELi1ELi0ELb0ELc84ELc76EKPKS1_KPS1_EviT_PT9_S7_lS9_S7_lPT10_S7_li.kd
    .uniform_work_group_size: 1
    .uses_dynamic_stack: false
    .vgpr_count:     118
    .vgpr_spill_count: 0
    .wavefront_size: 32
    .workgroup_processor_mode: 1
  - .args:
      - .offset:         0
        .size:           4
        .value_kind:     by_value
      - .offset:         8
        .size:           8
        .value_kind:     by_value
      - .address_space:  global
        .offset:         16
        .size:           8
        .value_kind:     global_buffer
      - .offset:         24
        .size:           8
        .value_kind:     by_value
      - .offset:         32
        .size:           8
        .value_kind:     by_value
      - .address_space:  global
        .offset:         40
        .size:           8
        .value_kind:     global_buffer
      - .offset:         48
        .size:           8
        .value_kind:     by_value
      - .offset:         56
        .size:           8
        .value_kind:     by_value
      - .address_space:  global
        .offset:         64
        .size:           8
        .value_kind:     global_buffer
      - .offset:         72
        .size:           8
        .value_kind:     by_value
      - .offset:         80
        .size:           8
        .value_kind:     by_value
      - .offset:         88
        .size:           4
        .value_kind:     by_value
    .group_segment_fixed_size: 8192
    .kernarg_segment_align: 8
    .kernarg_segment_size: 92
    .language:       OpenCL C
    .language_version:
      - 2
      - 0
    .max_flat_workgroup_size: 256
    .name:           _ZL37rocblas_syrkx_herkx_restricted_kernelIl19rocblas_complex_numIdELi16ELi32ELi8ELi1ELi0ELb0ELc67ELc76EKPKS1_KPS1_EviT_PT9_S7_lS9_S7_lPT10_S7_li
    .private_segment_fixed_size: 0
    .sgpr_count:     22
    .sgpr_spill_count: 0
    .symbol:         _ZL37rocblas_syrkx_herkx_restricted_kernelIl19rocblas_complex_numIdELi16ELi32ELi8ELi1ELi0ELb0ELc67ELc76EKPKS1_KPS1_EviT_PT9_S7_lS9_S7_lPT10_S7_li.kd
    .uniform_work_group_size: 1
    .uses_dynamic_stack: false
    .vgpr_count:     118
    .vgpr_spill_count: 0
    .wavefront_size: 32
    .workgroup_processor_mode: 1
  - .args:
      - .offset:         0
        .size:           4
        .value_kind:     by_value
      - .offset:         8
        .size:           8
        .value_kind:     by_value
      - .address_space:  global
        .offset:         16
        .size:           8
        .value_kind:     global_buffer
      - .offset:         24
        .size:           8
        .value_kind:     by_value
      - .offset:         32
        .size:           8
        .value_kind:     by_value
      - .address_space:  global
        .offset:         40
        .size:           8
        .value_kind:     global_buffer
      - .offset:         48
        .size:           8
        .value_kind:     by_value
      - .offset:         56
        .size:           8
        .value_kind:     by_value
      - .address_space:  global
        .offset:         64
        .size:           8
        .value_kind:     global_buffer
      - .offset:         72
        .size:           8
        .value_kind:     by_value
      - .offset:         80
        .size:           8
        .value_kind:     by_value
      - .offset:         88
        .size:           4
        .value_kind:     by_value
    .group_segment_fixed_size: 8192
    .kernarg_segment_align: 8
    .kernarg_segment_size: 92
    .language:       OpenCL C
    .language_version:
      - 2
      - 0
    .max_flat_workgroup_size: 256
    .name:           _ZL37rocblas_syrkx_herkx_restricted_kernelIl19rocblas_complex_numIdELi16ELi32ELi8ELi1ELi0ELb0ELc78ELc76EKPKS1_KPS1_EviT_PT9_S7_lS9_S7_lPT10_S7_li
    .private_segment_fixed_size: 0
    .sgpr_count:     22
    .sgpr_spill_count: 0
    .symbol:         _ZL37rocblas_syrkx_herkx_restricted_kernelIl19rocblas_complex_numIdELi16ELi32ELi8ELi1ELi0ELb0ELc78ELc76EKPKS1_KPS1_EviT_PT9_S7_lS9_S7_lPT10_S7_li.kd
    .uniform_work_group_size: 1
    .uses_dynamic_stack: false
    .vgpr_count:     118
    .vgpr_spill_count: 0
    .wavefront_size: 32
    .workgroup_processor_mode: 1
  - .args:
      - .offset:         0
        .size:           4
        .value_kind:     by_value
      - .offset:         8
        .size:           8
        .value_kind:     by_value
      - .address_space:  global
        .offset:         16
        .size:           8
        .value_kind:     global_buffer
      - .offset:         24
        .size:           8
        .value_kind:     by_value
      - .offset:         32
        .size:           8
        .value_kind:     by_value
      - .address_space:  global
        .offset:         40
        .size:           8
        .value_kind:     global_buffer
      - .offset:         48
        .size:           8
        .value_kind:     by_value
      - .offset:         56
        .size:           8
        .value_kind:     by_value
      - .address_space:  global
        .offset:         64
        .size:           8
        .value_kind:     global_buffer
      - .offset:         72
        .size:           8
        .value_kind:     by_value
      - .offset:         80
        .size:           8
        .value_kind:     by_value
      - .offset:         88
        .size:           4
        .value_kind:     by_value
    .group_segment_fixed_size: 8192
    .kernarg_segment_align: 8
    .kernarg_segment_size: 92
    .language:       OpenCL C
    .language_version:
      - 2
      - 0
    .max_flat_workgroup_size: 256
    .name:           _ZL37rocblas_syrkx_herkx_restricted_kernelIl19rocblas_complex_numIdELi16ELi32ELi8ELi1ELi0ELb0ELc84ELc85EKPKS1_KPS1_EviT_PT9_S7_lS9_S7_lPT10_S7_li
    .private_segment_fixed_size: 0
    .sgpr_count:     22
    .sgpr_spill_count: 0
    .symbol:         _ZL37rocblas_syrkx_herkx_restricted_kernelIl19rocblas_complex_numIdELi16ELi32ELi8ELi1ELi0ELb0ELc84ELc85EKPKS1_KPS1_EviT_PT9_S7_lS9_S7_lPT10_S7_li.kd
    .uniform_work_group_size: 1
    .uses_dynamic_stack: false
    .vgpr_count:     118
    .vgpr_spill_count: 0
    .wavefront_size: 32
    .workgroup_processor_mode: 1
  - .args:
      - .offset:         0
        .size:           4
        .value_kind:     by_value
      - .offset:         8
        .size:           8
        .value_kind:     by_value
      - .address_space:  global
        .offset:         16
        .size:           8
        .value_kind:     global_buffer
      - .offset:         24
        .size:           8
        .value_kind:     by_value
      - .offset:         32
        .size:           8
        .value_kind:     by_value
      - .address_space:  global
        .offset:         40
        .size:           8
        .value_kind:     global_buffer
      - .offset:         48
        .size:           8
        .value_kind:     by_value
      - .offset:         56
        .size:           8
        .value_kind:     by_value
      - .address_space:  global
        .offset:         64
        .size:           8
        .value_kind:     global_buffer
      - .offset:         72
        .size:           8
        .value_kind:     by_value
      - .offset:         80
        .size:           8
        .value_kind:     by_value
      - .offset:         88
        .size:           4
        .value_kind:     by_value
    .group_segment_fixed_size: 8192
    .kernarg_segment_align: 8
    .kernarg_segment_size: 92
    .language:       OpenCL C
    .language_version:
      - 2
      - 0
    .max_flat_workgroup_size: 256
    .name:           _ZL37rocblas_syrkx_herkx_restricted_kernelIl19rocblas_complex_numIdELi16ELi32ELi8ELi1ELi0ELb0ELc67ELc85EKPKS1_KPS1_EviT_PT9_S7_lS9_S7_lPT10_S7_li
    .private_segment_fixed_size: 0
    .sgpr_count:     22
    .sgpr_spill_count: 0
    .symbol:         _ZL37rocblas_syrkx_herkx_restricted_kernelIl19rocblas_complex_numIdELi16ELi32ELi8ELi1ELi0ELb0ELc67ELc85EKPKS1_KPS1_EviT_PT9_S7_lS9_S7_lPT10_S7_li.kd
    .uniform_work_group_size: 1
    .uses_dynamic_stack: false
    .vgpr_count:     118
    .vgpr_spill_count: 0
    .wavefront_size: 32
    .workgroup_processor_mode: 1
  - .args:
      - .offset:         0
        .size:           4
        .value_kind:     by_value
      - .offset:         8
        .size:           8
        .value_kind:     by_value
      - .address_space:  global
        .offset:         16
        .size:           8
        .value_kind:     global_buffer
      - .offset:         24
        .size:           8
        .value_kind:     by_value
      - .offset:         32
        .size:           8
        .value_kind:     by_value
      - .address_space:  global
        .offset:         40
        .size:           8
        .value_kind:     global_buffer
      - .offset:         48
        .size:           8
        .value_kind:     by_value
      - .offset:         56
        .size:           8
        .value_kind:     by_value
      - .address_space:  global
        .offset:         64
        .size:           8
        .value_kind:     global_buffer
      - .offset:         72
        .size:           8
        .value_kind:     by_value
      - .offset:         80
        .size:           8
        .value_kind:     by_value
      - .offset:         88
        .size:           4
        .value_kind:     by_value
    .group_segment_fixed_size: 8192
    .kernarg_segment_align: 8
    .kernarg_segment_size: 92
    .language:       OpenCL C
    .language_version:
      - 2
      - 0
    .max_flat_workgroup_size: 256
    .name:           _ZL37rocblas_syrkx_herkx_restricted_kernelIl19rocblas_complex_numIdELi16ELi32ELi8ELi1ELi0ELb0ELc78ELc85EKPKS1_KPS1_EviT_PT9_S7_lS9_S7_lPT10_S7_li
    .private_segment_fixed_size: 0
    .sgpr_count:     22
    .sgpr_spill_count: 0
    .symbol:         _ZL37rocblas_syrkx_herkx_restricted_kernelIl19rocblas_complex_numIdELi16ELi32ELi8ELi1ELi0ELb0ELc78ELc85EKPKS1_KPS1_EviT_PT9_S7_lS9_S7_lPT10_S7_li.kd
    .uniform_work_group_size: 1
    .uses_dynamic_stack: false
    .vgpr_count:     118
    .vgpr_spill_count: 0
    .wavefront_size: 32
    .workgroup_processor_mode: 1
  - .args:
      - .offset:         0
        .size:           4
        .value_kind:     by_value
      - .offset:         8
        .size:           8
        .value_kind:     by_value
      - .address_space:  global
        .offset:         16
        .size:           8
        .value_kind:     global_buffer
      - .offset:         24
        .size:           8
        .value_kind:     by_value
      - .offset:         32
        .size:           8
        .value_kind:     by_value
      - .address_space:  global
        .offset:         40
        .size:           8
        .value_kind:     global_buffer
      - .offset:         48
        .size:           8
        .value_kind:     by_value
      - .offset:         56
        .size:           8
        .value_kind:     by_value
      - .address_space:  global
        .offset:         64
        .size:           8
        .value_kind:     global_buffer
      - .offset:         72
        .size:           8
        .value_kind:     by_value
      - .offset:         80
        .size:           8
        .value_kind:     by_value
      - .offset:         88
        .size:           4
        .value_kind:     by_value
    .group_segment_fixed_size: 8192
    .kernarg_segment_align: 8
    .kernarg_segment_size: 92
    .language:       OpenCL C
    .language_version:
      - 2
      - 0
    .max_flat_workgroup_size: 256
    .name:           _ZL37rocblas_syrkx_herkx_restricted_kernelIl19rocblas_complex_numIdELi16ELi32ELi8ELin1ELi0ELb0ELc84ELc76EKPKS1_KPS1_EviT_PT9_S7_lS9_S7_lPT10_S7_li
    .private_segment_fixed_size: 0
    .sgpr_count:     22
    .sgpr_spill_count: 0
    .symbol:         _ZL37rocblas_syrkx_herkx_restricted_kernelIl19rocblas_complex_numIdELi16ELi32ELi8ELin1ELi0ELb0ELc84ELc76EKPKS1_KPS1_EviT_PT9_S7_lS9_S7_lPT10_S7_li.kd
    .uniform_work_group_size: 1
    .uses_dynamic_stack: false
    .vgpr_count:     118
    .vgpr_spill_count: 0
    .wavefront_size: 32
    .workgroup_processor_mode: 1
  - .args:
      - .offset:         0
        .size:           4
        .value_kind:     by_value
      - .offset:         8
        .size:           8
        .value_kind:     by_value
      - .address_space:  global
        .offset:         16
        .size:           8
        .value_kind:     global_buffer
      - .offset:         24
        .size:           8
        .value_kind:     by_value
      - .offset:         32
        .size:           8
        .value_kind:     by_value
      - .address_space:  global
        .offset:         40
        .size:           8
        .value_kind:     global_buffer
      - .offset:         48
        .size:           8
        .value_kind:     by_value
      - .offset:         56
        .size:           8
        .value_kind:     by_value
      - .address_space:  global
        .offset:         64
        .size:           8
        .value_kind:     global_buffer
      - .offset:         72
        .size:           8
        .value_kind:     by_value
      - .offset:         80
        .size:           8
        .value_kind:     by_value
      - .offset:         88
        .size:           4
        .value_kind:     by_value
    .group_segment_fixed_size: 8192
    .kernarg_segment_align: 8
    .kernarg_segment_size: 92
    .language:       OpenCL C
    .language_version:
      - 2
      - 0
    .max_flat_workgroup_size: 256
    .name:           _ZL37rocblas_syrkx_herkx_restricted_kernelIl19rocblas_complex_numIdELi16ELi32ELi8ELin1ELi0ELb0ELc67ELc76EKPKS1_KPS1_EviT_PT9_S7_lS9_S7_lPT10_S7_li
    .private_segment_fixed_size: 0
    .sgpr_count:     22
    .sgpr_spill_count: 0
    .symbol:         _ZL37rocblas_syrkx_herkx_restricted_kernelIl19rocblas_complex_numIdELi16ELi32ELi8ELin1ELi0ELb0ELc67ELc76EKPKS1_KPS1_EviT_PT9_S7_lS9_S7_lPT10_S7_li.kd
    .uniform_work_group_size: 1
    .uses_dynamic_stack: false
    .vgpr_count:     118
    .vgpr_spill_count: 0
    .wavefront_size: 32
    .workgroup_processor_mode: 1
  - .args:
      - .offset:         0
        .size:           4
        .value_kind:     by_value
      - .offset:         8
        .size:           8
        .value_kind:     by_value
      - .address_space:  global
        .offset:         16
        .size:           8
        .value_kind:     global_buffer
      - .offset:         24
        .size:           8
        .value_kind:     by_value
      - .offset:         32
        .size:           8
        .value_kind:     by_value
      - .address_space:  global
        .offset:         40
        .size:           8
        .value_kind:     global_buffer
      - .offset:         48
        .size:           8
        .value_kind:     by_value
      - .offset:         56
        .size:           8
        .value_kind:     by_value
      - .address_space:  global
        .offset:         64
        .size:           8
        .value_kind:     global_buffer
      - .offset:         72
        .size:           8
        .value_kind:     by_value
      - .offset:         80
        .size:           8
        .value_kind:     by_value
      - .offset:         88
        .size:           4
        .value_kind:     by_value
    .group_segment_fixed_size: 8192
    .kernarg_segment_align: 8
    .kernarg_segment_size: 92
    .language:       OpenCL C
    .language_version:
      - 2
      - 0
    .max_flat_workgroup_size: 256
    .name:           _ZL37rocblas_syrkx_herkx_restricted_kernelIl19rocblas_complex_numIdELi16ELi32ELi8ELin1ELi0ELb0ELc78ELc76EKPKS1_KPS1_EviT_PT9_S7_lS9_S7_lPT10_S7_li
    .private_segment_fixed_size: 0
    .sgpr_count:     22
    .sgpr_spill_count: 0
    .symbol:         _ZL37rocblas_syrkx_herkx_restricted_kernelIl19rocblas_complex_numIdELi16ELi32ELi8ELin1ELi0ELb0ELc78ELc76EKPKS1_KPS1_EviT_PT9_S7_lS9_S7_lPT10_S7_li.kd
    .uniform_work_group_size: 1
    .uses_dynamic_stack: false
    .vgpr_count:     118
    .vgpr_spill_count: 0
    .wavefront_size: 32
    .workgroup_processor_mode: 1
  - .args:
      - .offset:         0
        .size:           4
        .value_kind:     by_value
      - .offset:         8
        .size:           8
        .value_kind:     by_value
      - .address_space:  global
        .offset:         16
        .size:           8
        .value_kind:     global_buffer
      - .offset:         24
        .size:           8
        .value_kind:     by_value
      - .offset:         32
        .size:           8
        .value_kind:     by_value
      - .address_space:  global
        .offset:         40
        .size:           8
        .value_kind:     global_buffer
      - .offset:         48
        .size:           8
        .value_kind:     by_value
      - .offset:         56
        .size:           8
        .value_kind:     by_value
      - .address_space:  global
        .offset:         64
        .size:           8
        .value_kind:     global_buffer
      - .offset:         72
        .size:           8
        .value_kind:     by_value
      - .offset:         80
        .size:           8
        .value_kind:     by_value
      - .offset:         88
        .size:           4
        .value_kind:     by_value
    .group_segment_fixed_size: 8192
    .kernarg_segment_align: 8
    .kernarg_segment_size: 92
    .language:       OpenCL C
    .language_version:
      - 2
      - 0
    .max_flat_workgroup_size: 256
    .name:           _ZL37rocblas_syrkx_herkx_restricted_kernelIl19rocblas_complex_numIdELi16ELi32ELi8ELin1ELi0ELb0ELc84ELc85EKPKS1_KPS1_EviT_PT9_S7_lS9_S7_lPT10_S7_li
    .private_segment_fixed_size: 0
    .sgpr_count:     22
    .sgpr_spill_count: 0
    .symbol:         _ZL37rocblas_syrkx_herkx_restricted_kernelIl19rocblas_complex_numIdELi16ELi32ELi8ELin1ELi0ELb0ELc84ELc85EKPKS1_KPS1_EviT_PT9_S7_lS9_S7_lPT10_S7_li.kd
    .uniform_work_group_size: 1
    .uses_dynamic_stack: false
    .vgpr_count:     118
    .vgpr_spill_count: 0
    .wavefront_size: 32
    .workgroup_processor_mode: 1
  - .args:
      - .offset:         0
        .size:           4
        .value_kind:     by_value
      - .offset:         8
        .size:           8
        .value_kind:     by_value
      - .address_space:  global
        .offset:         16
        .size:           8
        .value_kind:     global_buffer
      - .offset:         24
        .size:           8
        .value_kind:     by_value
      - .offset:         32
        .size:           8
        .value_kind:     by_value
      - .address_space:  global
        .offset:         40
        .size:           8
        .value_kind:     global_buffer
      - .offset:         48
        .size:           8
        .value_kind:     by_value
      - .offset:         56
        .size:           8
        .value_kind:     by_value
      - .address_space:  global
        .offset:         64
        .size:           8
        .value_kind:     global_buffer
      - .offset:         72
        .size:           8
        .value_kind:     by_value
      - .offset:         80
        .size:           8
        .value_kind:     by_value
      - .offset:         88
        .size:           4
        .value_kind:     by_value
    .group_segment_fixed_size: 8192
    .kernarg_segment_align: 8
    .kernarg_segment_size: 92
    .language:       OpenCL C
    .language_version:
      - 2
      - 0
    .max_flat_workgroup_size: 256
    .name:           _ZL37rocblas_syrkx_herkx_restricted_kernelIl19rocblas_complex_numIdELi16ELi32ELi8ELin1ELi0ELb0ELc67ELc85EKPKS1_KPS1_EviT_PT9_S7_lS9_S7_lPT10_S7_li
    .private_segment_fixed_size: 0
    .sgpr_count:     22
    .sgpr_spill_count: 0
    .symbol:         _ZL37rocblas_syrkx_herkx_restricted_kernelIl19rocblas_complex_numIdELi16ELi32ELi8ELin1ELi0ELb0ELc67ELc85EKPKS1_KPS1_EviT_PT9_S7_lS9_S7_lPT10_S7_li.kd
    .uniform_work_group_size: 1
    .uses_dynamic_stack: false
    .vgpr_count:     118
    .vgpr_spill_count: 0
    .wavefront_size: 32
    .workgroup_processor_mode: 1
  - .args:
      - .offset:         0
        .size:           4
        .value_kind:     by_value
      - .offset:         8
        .size:           8
        .value_kind:     by_value
      - .address_space:  global
        .offset:         16
        .size:           8
        .value_kind:     global_buffer
      - .offset:         24
        .size:           8
        .value_kind:     by_value
      - .offset:         32
        .size:           8
        .value_kind:     by_value
      - .address_space:  global
        .offset:         40
        .size:           8
        .value_kind:     global_buffer
      - .offset:         48
        .size:           8
        .value_kind:     by_value
      - .offset:         56
        .size:           8
        .value_kind:     by_value
      - .address_space:  global
        .offset:         64
        .size:           8
        .value_kind:     global_buffer
      - .offset:         72
        .size:           8
        .value_kind:     by_value
      - .offset:         80
        .size:           8
        .value_kind:     by_value
      - .offset:         88
        .size:           4
        .value_kind:     by_value
    .group_segment_fixed_size: 8192
    .kernarg_segment_align: 8
    .kernarg_segment_size: 92
    .language:       OpenCL C
    .language_version:
      - 2
      - 0
    .max_flat_workgroup_size: 256
    .name:           _ZL37rocblas_syrkx_herkx_restricted_kernelIl19rocblas_complex_numIdELi16ELi32ELi8ELin1ELi0ELb0ELc78ELc85EKPKS1_KPS1_EviT_PT9_S7_lS9_S7_lPT10_S7_li
    .private_segment_fixed_size: 0
    .sgpr_count:     22
    .sgpr_spill_count: 0
    .symbol:         _ZL37rocblas_syrkx_herkx_restricted_kernelIl19rocblas_complex_numIdELi16ELi32ELi8ELin1ELi0ELb0ELc78ELc85EKPKS1_KPS1_EviT_PT9_S7_lS9_S7_lPT10_S7_li.kd
    .uniform_work_group_size: 1
    .uses_dynamic_stack: false
    .vgpr_count:     118
    .vgpr_spill_count: 0
    .wavefront_size: 32
    .workgroup_processor_mode: 1
  - .args:
      - .offset:         0
        .size:           4
        .value_kind:     by_value
      - .offset:         8
        .size:           8
        .value_kind:     by_value
      - .offset:         16
        .size:           16
        .value_kind:     by_value
      - .address_space:  global
        .offset:         32
        .size:           8
        .value_kind:     global_buffer
      - .offset:         40
        .size:           8
        .value_kind:     by_value
      - .offset:         48
        .size:           8
        .value_kind:     by_value
      - .address_space:  global
        .offset:         56
        .size:           8
        .value_kind:     global_buffer
      - .offset:         64
        .size:           8
        .value_kind:     by_value
      - .offset:         72
        .size:           8
        .value_kind:     by_value
      - .offset:         80
        .size:           16
        .value_kind:     by_value
      - .address_space:  global
        .offset:         96
        .size:           8
        .value_kind:     global_buffer
      - .offset:         104
        .size:           8
        .value_kind:     by_value
      - .offset:         112
        .size:           8
        .value_kind:     by_value
      - .offset:         120
        .size:           4
        .value_kind:     by_value
    .group_segment_fixed_size: 8192
    .kernarg_segment_align: 8
    .kernarg_segment_size: 124
    .language:       OpenCL C
    .language_version:
      - 2
      - 0
    .max_flat_workgroup_size: 256
    .name:           _ZL37rocblas_syrkx_herkx_restricted_kernelIl19rocblas_complex_numIdELi16ELi32ELi8ELb1ELb0ELc84ELc76EKPKS1_KPS1_EviT_T0_PT8_S7_lSA_S7_lS8_PT9_S7_li
    .private_segment_fixed_size: 0
    .sgpr_count:     26
    .sgpr_spill_count: 0
    .symbol:         _ZL37rocblas_syrkx_herkx_restricted_kernelIl19rocblas_complex_numIdELi16ELi32ELi8ELb1ELb0ELc84ELc76EKPKS1_KPS1_EviT_T0_PT8_S7_lSA_S7_lS8_PT9_S7_li.kd
    .uniform_work_group_size: 1
    .uses_dynamic_stack: false
    .vgpr_count:     118
    .vgpr_spill_count: 0
    .wavefront_size: 32
    .workgroup_processor_mode: 1
  - .args:
      - .offset:         0
        .size:           4
        .value_kind:     by_value
      - .offset:         8
        .size:           8
        .value_kind:     by_value
      - .offset:         16
        .size:           16
        .value_kind:     by_value
      - .address_space:  global
        .offset:         32
        .size:           8
        .value_kind:     global_buffer
      - .offset:         40
        .size:           8
        .value_kind:     by_value
      - .offset:         48
        .size:           8
        .value_kind:     by_value
      - .address_space:  global
        .offset:         56
        .size:           8
        .value_kind:     global_buffer
      - .offset:         64
        .size:           8
        .value_kind:     by_value
      - .offset:         72
        .size:           8
        .value_kind:     by_value
      - .offset:         80
        .size:           16
        .value_kind:     by_value
      - .address_space:  global
        .offset:         96
        .size:           8
        .value_kind:     global_buffer
      - .offset:         104
        .size:           8
        .value_kind:     by_value
      - .offset:         112
        .size:           8
        .value_kind:     by_value
      - .offset:         120
        .size:           4
        .value_kind:     by_value
    .group_segment_fixed_size: 8192
    .kernarg_segment_align: 8
    .kernarg_segment_size: 124
    .language:       OpenCL C
    .language_version:
      - 2
      - 0
    .max_flat_workgroup_size: 256
    .name:           _ZL37rocblas_syrkx_herkx_restricted_kernelIl19rocblas_complex_numIdELi16ELi32ELi8ELb1ELb0ELc67ELc76EKPKS1_KPS1_EviT_T0_PT8_S7_lSA_S7_lS8_PT9_S7_li
    .private_segment_fixed_size: 0
    .sgpr_count:     26
    .sgpr_spill_count: 0
    .symbol:         _ZL37rocblas_syrkx_herkx_restricted_kernelIl19rocblas_complex_numIdELi16ELi32ELi8ELb1ELb0ELc67ELc76EKPKS1_KPS1_EviT_T0_PT8_S7_lSA_S7_lS8_PT9_S7_li.kd
    .uniform_work_group_size: 1
    .uses_dynamic_stack: false
    .vgpr_count:     118
    .vgpr_spill_count: 0
    .wavefront_size: 32
    .workgroup_processor_mode: 1
  - .args:
      - .offset:         0
        .size:           4
        .value_kind:     by_value
      - .offset:         8
        .size:           8
        .value_kind:     by_value
      - .offset:         16
        .size:           16
        .value_kind:     by_value
      - .address_space:  global
        .offset:         32
        .size:           8
        .value_kind:     global_buffer
      - .offset:         40
        .size:           8
        .value_kind:     by_value
      - .offset:         48
        .size:           8
        .value_kind:     by_value
      - .address_space:  global
        .offset:         56
        .size:           8
        .value_kind:     global_buffer
      - .offset:         64
        .size:           8
        .value_kind:     by_value
      - .offset:         72
        .size:           8
        .value_kind:     by_value
      - .offset:         80
        .size:           16
        .value_kind:     by_value
      - .address_space:  global
        .offset:         96
        .size:           8
        .value_kind:     global_buffer
      - .offset:         104
        .size:           8
        .value_kind:     by_value
      - .offset:         112
        .size:           8
        .value_kind:     by_value
      - .offset:         120
        .size:           4
        .value_kind:     by_value
    .group_segment_fixed_size: 8192
    .kernarg_segment_align: 8
    .kernarg_segment_size: 124
    .language:       OpenCL C
    .language_version:
      - 2
      - 0
    .max_flat_workgroup_size: 256
    .name:           _ZL37rocblas_syrkx_herkx_restricted_kernelIl19rocblas_complex_numIdELi16ELi32ELi8ELb1ELb0ELc78ELc76EKPKS1_KPS1_EviT_T0_PT8_S7_lSA_S7_lS8_PT9_S7_li
    .private_segment_fixed_size: 0
    .sgpr_count:     26
    .sgpr_spill_count: 0
    .symbol:         _ZL37rocblas_syrkx_herkx_restricted_kernelIl19rocblas_complex_numIdELi16ELi32ELi8ELb1ELb0ELc78ELc76EKPKS1_KPS1_EviT_T0_PT8_S7_lSA_S7_lS8_PT9_S7_li.kd
    .uniform_work_group_size: 1
    .uses_dynamic_stack: false
    .vgpr_count:     118
    .vgpr_spill_count: 0
    .wavefront_size: 32
    .workgroup_processor_mode: 1
  - .args:
      - .offset:         0
        .size:           4
        .value_kind:     by_value
      - .offset:         8
        .size:           8
        .value_kind:     by_value
      - .offset:         16
        .size:           16
        .value_kind:     by_value
      - .address_space:  global
        .offset:         32
        .size:           8
        .value_kind:     global_buffer
      - .offset:         40
        .size:           8
        .value_kind:     by_value
      - .offset:         48
        .size:           8
        .value_kind:     by_value
      - .address_space:  global
        .offset:         56
        .size:           8
        .value_kind:     global_buffer
      - .offset:         64
        .size:           8
        .value_kind:     by_value
      - .offset:         72
        .size:           8
        .value_kind:     by_value
      - .offset:         80
        .size:           16
        .value_kind:     by_value
      - .address_space:  global
        .offset:         96
        .size:           8
        .value_kind:     global_buffer
      - .offset:         104
        .size:           8
        .value_kind:     by_value
      - .offset:         112
        .size:           8
        .value_kind:     by_value
      - .offset:         120
        .size:           4
        .value_kind:     by_value
    .group_segment_fixed_size: 8192
    .kernarg_segment_align: 8
    .kernarg_segment_size: 124
    .language:       OpenCL C
    .language_version:
      - 2
      - 0
    .max_flat_workgroup_size: 256
    .name:           _ZL37rocblas_syrkx_herkx_restricted_kernelIl19rocblas_complex_numIdELi16ELi32ELi8ELb1ELb0ELc84ELc85EKPKS1_KPS1_EviT_T0_PT8_S7_lSA_S7_lS8_PT9_S7_li
    .private_segment_fixed_size: 0
    .sgpr_count:     26
    .sgpr_spill_count: 0
    .symbol:         _ZL37rocblas_syrkx_herkx_restricted_kernelIl19rocblas_complex_numIdELi16ELi32ELi8ELb1ELb0ELc84ELc85EKPKS1_KPS1_EviT_T0_PT8_S7_lSA_S7_lS8_PT9_S7_li.kd
    .uniform_work_group_size: 1
    .uses_dynamic_stack: false
    .vgpr_count:     118
    .vgpr_spill_count: 0
    .wavefront_size: 32
    .workgroup_processor_mode: 1
  - .args:
      - .offset:         0
        .size:           4
        .value_kind:     by_value
      - .offset:         8
        .size:           8
        .value_kind:     by_value
      - .offset:         16
        .size:           16
        .value_kind:     by_value
      - .address_space:  global
        .offset:         32
        .size:           8
        .value_kind:     global_buffer
      - .offset:         40
        .size:           8
        .value_kind:     by_value
      - .offset:         48
        .size:           8
        .value_kind:     by_value
      - .address_space:  global
        .offset:         56
        .size:           8
        .value_kind:     global_buffer
      - .offset:         64
        .size:           8
        .value_kind:     by_value
      - .offset:         72
        .size:           8
        .value_kind:     by_value
      - .offset:         80
        .size:           16
        .value_kind:     by_value
      - .address_space:  global
        .offset:         96
        .size:           8
        .value_kind:     global_buffer
      - .offset:         104
        .size:           8
        .value_kind:     by_value
      - .offset:         112
        .size:           8
        .value_kind:     by_value
      - .offset:         120
        .size:           4
        .value_kind:     by_value
    .group_segment_fixed_size: 8192
    .kernarg_segment_align: 8
    .kernarg_segment_size: 124
    .language:       OpenCL C
    .language_version:
      - 2
      - 0
    .max_flat_workgroup_size: 256
    .name:           _ZL37rocblas_syrkx_herkx_restricted_kernelIl19rocblas_complex_numIdELi16ELi32ELi8ELb1ELb0ELc67ELc85EKPKS1_KPS1_EviT_T0_PT8_S7_lSA_S7_lS8_PT9_S7_li
    .private_segment_fixed_size: 0
    .sgpr_count:     26
    .sgpr_spill_count: 0
    .symbol:         _ZL37rocblas_syrkx_herkx_restricted_kernelIl19rocblas_complex_numIdELi16ELi32ELi8ELb1ELb0ELc67ELc85EKPKS1_KPS1_EviT_T0_PT8_S7_lSA_S7_lS8_PT9_S7_li.kd
    .uniform_work_group_size: 1
    .uses_dynamic_stack: false
    .vgpr_count:     118
    .vgpr_spill_count: 0
    .wavefront_size: 32
    .workgroup_processor_mode: 1
  - .args:
      - .offset:         0
        .size:           4
        .value_kind:     by_value
      - .offset:         8
        .size:           8
        .value_kind:     by_value
      - .offset:         16
        .size:           16
        .value_kind:     by_value
      - .address_space:  global
        .offset:         32
        .size:           8
        .value_kind:     global_buffer
      - .offset:         40
        .size:           8
        .value_kind:     by_value
      - .offset:         48
        .size:           8
        .value_kind:     by_value
      - .address_space:  global
        .offset:         56
        .size:           8
        .value_kind:     global_buffer
      - .offset:         64
        .size:           8
        .value_kind:     by_value
      - .offset:         72
        .size:           8
        .value_kind:     by_value
      - .offset:         80
        .size:           16
        .value_kind:     by_value
      - .address_space:  global
        .offset:         96
        .size:           8
        .value_kind:     global_buffer
      - .offset:         104
        .size:           8
        .value_kind:     by_value
      - .offset:         112
        .size:           8
        .value_kind:     by_value
      - .offset:         120
        .size:           4
        .value_kind:     by_value
    .group_segment_fixed_size: 8192
    .kernarg_segment_align: 8
    .kernarg_segment_size: 124
    .language:       OpenCL C
    .language_version:
      - 2
      - 0
    .max_flat_workgroup_size: 256
    .name:           _ZL37rocblas_syrkx_herkx_restricted_kernelIl19rocblas_complex_numIdELi16ELi32ELi8ELb1ELb0ELc78ELc85EKPKS1_KPS1_EviT_T0_PT8_S7_lSA_S7_lS8_PT9_S7_li
    .private_segment_fixed_size: 0
    .sgpr_count:     26
    .sgpr_spill_count: 0
    .symbol:         _ZL37rocblas_syrkx_herkx_restricted_kernelIl19rocblas_complex_numIdELi16ELi32ELi8ELb1ELb0ELc78ELc85EKPKS1_KPS1_EviT_T0_PT8_S7_lSA_S7_lS8_PT9_S7_li.kd
    .uniform_work_group_size: 1
    .uses_dynamic_stack: false
    .vgpr_count:     118
    .vgpr_spill_count: 0
    .wavefront_size: 32
    .workgroup_processor_mode: 1
  - .args:
      - .offset:         0
        .size:           4
        .value_kind:     by_value
      - .offset:         8
        .size:           8
        .value_kind:     by_value
      - .offset:         16
        .size:           16
        .value_kind:     by_value
      - .address_space:  global
        .offset:         32
        .size:           8
        .value_kind:     global_buffer
      - .offset:         40
        .size:           8
        .value_kind:     by_value
      - .offset:         48
        .size:           8
        .value_kind:     by_value
      - .address_space:  global
        .offset:         56
        .size:           8
        .value_kind:     global_buffer
      - .offset:         64
        .size:           8
        .value_kind:     by_value
      - .offset:         72
        .size:           8
        .value_kind:     by_value
      - .offset:         80
        .size:           16
        .value_kind:     by_value
      - .address_space:  global
        .offset:         96
        .size:           8
        .value_kind:     global_buffer
      - .offset:         104
        .size:           8
        .value_kind:     by_value
      - .offset:         112
        .size:           8
        .value_kind:     by_value
      - .offset:         120
        .size:           4
        .value_kind:     by_value
    .group_segment_fixed_size: 8192
    .kernarg_segment_align: 8
    .kernarg_segment_size: 124
    .language:       OpenCL C
    .language_version:
      - 2
      - 0
    .max_flat_workgroup_size: 256
    .name:           _ZL37rocblas_syrkx_herkx_restricted_kernelIl19rocblas_complex_numIdELi16ELi32ELi8ELb0ELb0ELc84ELc76EKPKS1_KPS1_EviT_T0_PT8_S7_lSA_S7_lS8_PT9_S7_li
    .private_segment_fixed_size: 0
    .sgpr_count:     30
    .sgpr_spill_count: 0
    .symbol:         _ZL37rocblas_syrkx_herkx_restricted_kernelIl19rocblas_complex_numIdELi16ELi32ELi8ELb0ELb0ELc84ELc76EKPKS1_KPS1_EviT_T0_PT8_S7_lSA_S7_lS8_PT9_S7_li.kd
    .uniform_work_group_size: 1
    .uses_dynamic_stack: false
    .vgpr_count:     118
    .vgpr_spill_count: 0
    .wavefront_size: 32
    .workgroup_processor_mode: 1
  - .args:
      - .offset:         0
        .size:           4
        .value_kind:     by_value
      - .offset:         8
        .size:           8
        .value_kind:     by_value
      - .offset:         16
        .size:           16
        .value_kind:     by_value
      - .address_space:  global
        .offset:         32
        .size:           8
        .value_kind:     global_buffer
      - .offset:         40
        .size:           8
        .value_kind:     by_value
      - .offset:         48
        .size:           8
        .value_kind:     by_value
      - .address_space:  global
        .offset:         56
        .size:           8
        .value_kind:     global_buffer
      - .offset:         64
        .size:           8
        .value_kind:     by_value
      - .offset:         72
        .size:           8
        .value_kind:     by_value
      - .offset:         80
        .size:           16
        .value_kind:     by_value
      - .address_space:  global
        .offset:         96
        .size:           8
        .value_kind:     global_buffer
      - .offset:         104
        .size:           8
        .value_kind:     by_value
      - .offset:         112
        .size:           8
        .value_kind:     by_value
      - .offset:         120
        .size:           4
        .value_kind:     by_value
    .group_segment_fixed_size: 8192
    .kernarg_segment_align: 8
    .kernarg_segment_size: 124
    .language:       OpenCL C
    .language_version:
      - 2
      - 0
    .max_flat_workgroup_size: 256
    .name:           _ZL37rocblas_syrkx_herkx_restricted_kernelIl19rocblas_complex_numIdELi16ELi32ELi8ELb0ELb0ELc67ELc76EKPKS1_KPS1_EviT_T0_PT8_S7_lSA_S7_lS8_PT9_S7_li
    .private_segment_fixed_size: 0
    .sgpr_count:     30
    .sgpr_spill_count: 0
    .symbol:         _ZL37rocblas_syrkx_herkx_restricted_kernelIl19rocblas_complex_numIdELi16ELi32ELi8ELb0ELb0ELc67ELc76EKPKS1_KPS1_EviT_T0_PT8_S7_lSA_S7_lS8_PT9_S7_li.kd
    .uniform_work_group_size: 1
    .uses_dynamic_stack: false
    .vgpr_count:     118
    .vgpr_spill_count: 0
    .wavefront_size: 32
    .workgroup_processor_mode: 1
  - .args:
      - .offset:         0
        .size:           4
        .value_kind:     by_value
      - .offset:         8
        .size:           8
        .value_kind:     by_value
      - .offset:         16
        .size:           16
        .value_kind:     by_value
      - .address_space:  global
        .offset:         32
        .size:           8
        .value_kind:     global_buffer
      - .offset:         40
        .size:           8
        .value_kind:     by_value
      - .offset:         48
        .size:           8
        .value_kind:     by_value
      - .address_space:  global
        .offset:         56
        .size:           8
        .value_kind:     global_buffer
      - .offset:         64
        .size:           8
        .value_kind:     by_value
      - .offset:         72
        .size:           8
        .value_kind:     by_value
      - .offset:         80
        .size:           16
        .value_kind:     by_value
      - .address_space:  global
        .offset:         96
        .size:           8
        .value_kind:     global_buffer
      - .offset:         104
        .size:           8
        .value_kind:     by_value
      - .offset:         112
        .size:           8
        .value_kind:     by_value
      - .offset:         120
        .size:           4
        .value_kind:     by_value
    .group_segment_fixed_size: 8192
    .kernarg_segment_align: 8
    .kernarg_segment_size: 124
    .language:       OpenCL C
    .language_version:
      - 2
      - 0
    .max_flat_workgroup_size: 256
    .name:           _ZL37rocblas_syrkx_herkx_restricted_kernelIl19rocblas_complex_numIdELi16ELi32ELi8ELb0ELb0ELc78ELc76EKPKS1_KPS1_EviT_T0_PT8_S7_lSA_S7_lS8_PT9_S7_li
    .private_segment_fixed_size: 0
    .sgpr_count:     30
    .sgpr_spill_count: 0
    .symbol:         _ZL37rocblas_syrkx_herkx_restricted_kernelIl19rocblas_complex_numIdELi16ELi32ELi8ELb0ELb0ELc78ELc76EKPKS1_KPS1_EviT_T0_PT8_S7_lSA_S7_lS8_PT9_S7_li.kd
    .uniform_work_group_size: 1
    .uses_dynamic_stack: false
    .vgpr_count:     118
    .vgpr_spill_count: 0
    .wavefront_size: 32
    .workgroup_processor_mode: 1
  - .args:
      - .offset:         0
        .size:           4
        .value_kind:     by_value
      - .offset:         8
        .size:           8
        .value_kind:     by_value
      - .offset:         16
        .size:           16
        .value_kind:     by_value
      - .address_space:  global
        .offset:         32
        .size:           8
        .value_kind:     global_buffer
      - .offset:         40
        .size:           8
        .value_kind:     by_value
      - .offset:         48
        .size:           8
        .value_kind:     by_value
      - .address_space:  global
        .offset:         56
        .size:           8
        .value_kind:     global_buffer
      - .offset:         64
        .size:           8
        .value_kind:     by_value
      - .offset:         72
        .size:           8
        .value_kind:     by_value
      - .offset:         80
        .size:           16
        .value_kind:     by_value
      - .address_space:  global
        .offset:         96
        .size:           8
        .value_kind:     global_buffer
      - .offset:         104
        .size:           8
        .value_kind:     by_value
      - .offset:         112
        .size:           8
        .value_kind:     by_value
      - .offset:         120
        .size:           4
        .value_kind:     by_value
    .group_segment_fixed_size: 8192
    .kernarg_segment_align: 8
    .kernarg_segment_size: 124
    .language:       OpenCL C
    .language_version:
      - 2
      - 0
    .max_flat_workgroup_size: 256
    .name:           _ZL37rocblas_syrkx_herkx_restricted_kernelIl19rocblas_complex_numIdELi16ELi32ELi8ELb0ELb0ELc84ELc85EKPKS1_KPS1_EviT_T0_PT8_S7_lSA_S7_lS8_PT9_S7_li
    .private_segment_fixed_size: 0
    .sgpr_count:     30
    .sgpr_spill_count: 0
    .symbol:         _ZL37rocblas_syrkx_herkx_restricted_kernelIl19rocblas_complex_numIdELi16ELi32ELi8ELb0ELb0ELc84ELc85EKPKS1_KPS1_EviT_T0_PT8_S7_lSA_S7_lS8_PT9_S7_li.kd
    .uniform_work_group_size: 1
    .uses_dynamic_stack: false
    .vgpr_count:     118
    .vgpr_spill_count: 0
    .wavefront_size: 32
    .workgroup_processor_mode: 1
  - .args:
      - .offset:         0
        .size:           4
        .value_kind:     by_value
      - .offset:         8
        .size:           8
        .value_kind:     by_value
      - .offset:         16
        .size:           16
        .value_kind:     by_value
      - .address_space:  global
        .offset:         32
        .size:           8
        .value_kind:     global_buffer
      - .offset:         40
        .size:           8
        .value_kind:     by_value
      - .offset:         48
        .size:           8
        .value_kind:     by_value
      - .address_space:  global
        .offset:         56
        .size:           8
        .value_kind:     global_buffer
      - .offset:         64
        .size:           8
        .value_kind:     by_value
      - .offset:         72
        .size:           8
        .value_kind:     by_value
      - .offset:         80
        .size:           16
        .value_kind:     by_value
      - .address_space:  global
        .offset:         96
        .size:           8
        .value_kind:     global_buffer
      - .offset:         104
        .size:           8
        .value_kind:     by_value
      - .offset:         112
        .size:           8
        .value_kind:     by_value
      - .offset:         120
        .size:           4
        .value_kind:     by_value
    .group_segment_fixed_size: 8192
    .kernarg_segment_align: 8
    .kernarg_segment_size: 124
    .language:       OpenCL C
    .language_version:
      - 2
      - 0
    .max_flat_workgroup_size: 256
    .name:           _ZL37rocblas_syrkx_herkx_restricted_kernelIl19rocblas_complex_numIdELi16ELi32ELi8ELb0ELb0ELc67ELc85EKPKS1_KPS1_EviT_T0_PT8_S7_lSA_S7_lS8_PT9_S7_li
    .private_segment_fixed_size: 0
    .sgpr_count:     30
    .sgpr_spill_count: 0
    .symbol:         _ZL37rocblas_syrkx_herkx_restricted_kernelIl19rocblas_complex_numIdELi16ELi32ELi8ELb0ELb0ELc67ELc85EKPKS1_KPS1_EviT_T0_PT8_S7_lSA_S7_lS8_PT9_S7_li.kd
    .uniform_work_group_size: 1
    .uses_dynamic_stack: false
    .vgpr_count:     118
    .vgpr_spill_count: 0
    .wavefront_size: 32
    .workgroup_processor_mode: 1
  - .args:
      - .offset:         0
        .size:           4
        .value_kind:     by_value
      - .offset:         8
        .size:           8
        .value_kind:     by_value
      - .offset:         16
        .size:           16
        .value_kind:     by_value
      - .address_space:  global
        .offset:         32
        .size:           8
        .value_kind:     global_buffer
      - .offset:         40
        .size:           8
        .value_kind:     by_value
      - .offset:         48
        .size:           8
        .value_kind:     by_value
      - .address_space:  global
        .offset:         56
        .size:           8
        .value_kind:     global_buffer
      - .offset:         64
        .size:           8
        .value_kind:     by_value
      - .offset:         72
        .size:           8
        .value_kind:     by_value
      - .offset:         80
        .size:           16
        .value_kind:     by_value
      - .address_space:  global
        .offset:         96
        .size:           8
        .value_kind:     global_buffer
      - .offset:         104
        .size:           8
        .value_kind:     by_value
      - .offset:         112
        .size:           8
        .value_kind:     by_value
      - .offset:         120
        .size:           4
        .value_kind:     by_value
    .group_segment_fixed_size: 8192
    .kernarg_segment_align: 8
    .kernarg_segment_size: 124
    .language:       OpenCL C
    .language_version:
      - 2
      - 0
    .max_flat_workgroup_size: 256
    .name:           _ZL37rocblas_syrkx_herkx_restricted_kernelIl19rocblas_complex_numIdELi16ELi32ELi8ELb0ELb0ELc78ELc85EKPKS1_KPS1_EviT_T0_PT8_S7_lSA_S7_lS8_PT9_S7_li
    .private_segment_fixed_size: 0
    .sgpr_count:     30
    .sgpr_spill_count: 0
    .symbol:         _ZL37rocblas_syrkx_herkx_restricted_kernelIl19rocblas_complex_numIdELi16ELi32ELi8ELb0ELb0ELc78ELc85EKPKS1_KPS1_EviT_T0_PT8_S7_lSA_S7_lS8_PT9_S7_li.kd
    .uniform_work_group_size: 1
    .uses_dynamic_stack: false
    .vgpr_count:     118
    .vgpr_spill_count: 0
    .wavefront_size: 32
    .workgroup_processor_mode: 1
  - .args:
      - .offset:         0
        .size:           4
        .value_kind:     by_value
      - .offset:         8
        .size:           8
        .value_kind:     by_value
      - .offset:         16
        .size:           16
        .value_kind:     by_value
      - .address_space:  global
        .offset:         32
        .size:           8
        .value_kind:     global_buffer
      - .offset:         40
        .size:           8
        .value_kind:     by_value
      - .offset:         48
        .size:           8
        .value_kind:     by_value
      - .address_space:  global
        .offset:         56
        .size:           8
        .value_kind:     global_buffer
      - .offset:         64
        .size:           8
        .value_kind:     by_value
      - .offset:         72
        .size:           8
        .value_kind:     by_value
      - .offset:         80
        .size:           16
        .value_kind:     by_value
      - .address_space:  global
        .offset:         96
        .size:           8
        .value_kind:     global_buffer
      - .offset:         104
        .size:           8
        .value_kind:     by_value
      - .offset:         112
        .size:           8
        .value_kind:     by_value
      - .offset:         120
        .size:           4
        .value_kind:     by_value
    .group_segment_fixed_size: 8192
    .kernarg_segment_align: 8
    .kernarg_segment_size: 124
    .language:       OpenCL C
    .language_version:
      - 2
      - 0
    .max_flat_workgroup_size: 256
    .name:           _ZL41rocblas_syrkx_herkx_small_restrict_kernelIl19rocblas_complex_numIdELi16ELb1ELb0ELc84ELc76EKPKS1_KPS1_EviT_T0_PT6_S7_lSA_S7_lS8_PT7_S7_li
    .private_segment_fixed_size: 0
    .sgpr_count:     24
    .sgpr_spill_count: 0
    .symbol:         _ZL41rocblas_syrkx_herkx_small_restrict_kernelIl19rocblas_complex_numIdELi16ELb1ELb0ELc84ELc76EKPKS1_KPS1_EviT_T0_PT6_S7_lSA_S7_lS8_PT7_S7_li.kd
    .uniform_work_group_size: 1
    .uses_dynamic_stack: false
    .vgpr_count:     48
    .vgpr_spill_count: 0
    .wavefront_size: 32
    .workgroup_processor_mode: 1
  - .args:
      - .offset:         0
        .size:           4
        .value_kind:     by_value
      - .offset:         8
        .size:           8
        .value_kind:     by_value
      - .offset:         16
        .size:           16
        .value_kind:     by_value
      - .address_space:  global
        .offset:         32
        .size:           8
        .value_kind:     global_buffer
      - .offset:         40
        .size:           8
        .value_kind:     by_value
      - .offset:         48
        .size:           8
        .value_kind:     by_value
      - .address_space:  global
        .offset:         56
        .size:           8
        .value_kind:     global_buffer
      - .offset:         64
        .size:           8
        .value_kind:     by_value
      - .offset:         72
        .size:           8
        .value_kind:     by_value
      - .offset:         80
        .size:           16
        .value_kind:     by_value
      - .address_space:  global
        .offset:         96
        .size:           8
        .value_kind:     global_buffer
      - .offset:         104
        .size:           8
        .value_kind:     by_value
      - .offset:         112
        .size:           8
        .value_kind:     by_value
      - .offset:         120
        .size:           4
        .value_kind:     by_value
    .group_segment_fixed_size: 8192
    .kernarg_segment_align: 8
    .kernarg_segment_size: 124
    .language:       OpenCL C
    .language_version:
      - 2
      - 0
    .max_flat_workgroup_size: 256
    .name:           _ZL41rocblas_syrkx_herkx_small_restrict_kernelIl19rocblas_complex_numIdELi16ELb1ELb0ELc67ELc76EKPKS1_KPS1_EviT_T0_PT6_S7_lSA_S7_lS8_PT7_S7_li
    .private_segment_fixed_size: 0
    .sgpr_count:     24
    .sgpr_spill_count: 0
    .symbol:         _ZL41rocblas_syrkx_herkx_small_restrict_kernelIl19rocblas_complex_numIdELi16ELb1ELb0ELc67ELc76EKPKS1_KPS1_EviT_T0_PT6_S7_lSA_S7_lS8_PT7_S7_li.kd
    .uniform_work_group_size: 1
    .uses_dynamic_stack: false
    .vgpr_count:     48
    .vgpr_spill_count: 0
    .wavefront_size: 32
    .workgroup_processor_mode: 1
  - .args:
      - .offset:         0
        .size:           4
        .value_kind:     by_value
      - .offset:         8
        .size:           8
        .value_kind:     by_value
      - .offset:         16
        .size:           16
        .value_kind:     by_value
      - .address_space:  global
        .offset:         32
        .size:           8
        .value_kind:     global_buffer
      - .offset:         40
        .size:           8
        .value_kind:     by_value
      - .offset:         48
        .size:           8
        .value_kind:     by_value
      - .address_space:  global
        .offset:         56
        .size:           8
        .value_kind:     global_buffer
      - .offset:         64
        .size:           8
        .value_kind:     by_value
      - .offset:         72
        .size:           8
        .value_kind:     by_value
      - .offset:         80
        .size:           16
        .value_kind:     by_value
      - .address_space:  global
        .offset:         96
        .size:           8
        .value_kind:     global_buffer
      - .offset:         104
        .size:           8
        .value_kind:     by_value
      - .offset:         112
        .size:           8
        .value_kind:     by_value
      - .offset:         120
        .size:           4
        .value_kind:     by_value
    .group_segment_fixed_size: 8192
    .kernarg_segment_align: 8
    .kernarg_segment_size: 124
    .language:       OpenCL C
    .language_version:
      - 2
      - 0
    .max_flat_workgroup_size: 256
    .name:           _ZL41rocblas_syrkx_herkx_small_restrict_kernelIl19rocblas_complex_numIdELi16ELb1ELb0ELc78ELc76EKPKS1_KPS1_EviT_T0_PT6_S7_lSA_S7_lS8_PT7_S7_li
    .private_segment_fixed_size: 0
    .sgpr_count:     26
    .sgpr_spill_count: 0
    .symbol:         _ZL41rocblas_syrkx_herkx_small_restrict_kernelIl19rocblas_complex_numIdELi16ELb1ELb0ELc78ELc76EKPKS1_KPS1_EviT_T0_PT6_S7_lSA_S7_lS8_PT7_S7_li.kd
    .uniform_work_group_size: 1
    .uses_dynamic_stack: false
    .vgpr_count:     48
    .vgpr_spill_count: 0
    .wavefront_size: 32
    .workgroup_processor_mode: 1
  - .args:
      - .offset:         0
        .size:           4
        .value_kind:     by_value
      - .offset:         8
        .size:           8
        .value_kind:     by_value
      - .offset:         16
        .size:           16
        .value_kind:     by_value
      - .address_space:  global
        .offset:         32
        .size:           8
        .value_kind:     global_buffer
      - .offset:         40
        .size:           8
        .value_kind:     by_value
      - .offset:         48
        .size:           8
        .value_kind:     by_value
      - .address_space:  global
        .offset:         56
        .size:           8
        .value_kind:     global_buffer
      - .offset:         64
        .size:           8
        .value_kind:     by_value
      - .offset:         72
        .size:           8
        .value_kind:     by_value
      - .offset:         80
        .size:           16
        .value_kind:     by_value
      - .address_space:  global
        .offset:         96
        .size:           8
        .value_kind:     global_buffer
      - .offset:         104
        .size:           8
        .value_kind:     by_value
      - .offset:         112
        .size:           8
        .value_kind:     by_value
      - .offset:         120
        .size:           4
        .value_kind:     by_value
    .group_segment_fixed_size: 8192
    .kernarg_segment_align: 8
    .kernarg_segment_size: 124
    .language:       OpenCL C
    .language_version:
      - 2
      - 0
    .max_flat_workgroup_size: 256
    .name:           _ZL41rocblas_syrkx_herkx_small_restrict_kernelIl19rocblas_complex_numIdELi16ELb1ELb0ELc84ELc85EKPKS1_KPS1_EviT_T0_PT6_S7_lSA_S7_lS8_PT7_S7_li
    .private_segment_fixed_size: 0
    .sgpr_count:     24
    .sgpr_spill_count: 0
    .symbol:         _ZL41rocblas_syrkx_herkx_small_restrict_kernelIl19rocblas_complex_numIdELi16ELb1ELb0ELc84ELc85EKPKS1_KPS1_EviT_T0_PT6_S7_lSA_S7_lS8_PT7_S7_li.kd
    .uniform_work_group_size: 1
    .uses_dynamic_stack: false
    .vgpr_count:     48
    .vgpr_spill_count: 0
    .wavefront_size: 32
    .workgroup_processor_mode: 1
  - .args:
      - .offset:         0
        .size:           4
        .value_kind:     by_value
      - .offset:         8
        .size:           8
        .value_kind:     by_value
      - .offset:         16
        .size:           16
        .value_kind:     by_value
      - .address_space:  global
        .offset:         32
        .size:           8
        .value_kind:     global_buffer
      - .offset:         40
        .size:           8
        .value_kind:     by_value
      - .offset:         48
        .size:           8
        .value_kind:     by_value
      - .address_space:  global
        .offset:         56
        .size:           8
        .value_kind:     global_buffer
      - .offset:         64
        .size:           8
        .value_kind:     by_value
      - .offset:         72
        .size:           8
        .value_kind:     by_value
      - .offset:         80
        .size:           16
        .value_kind:     by_value
      - .address_space:  global
        .offset:         96
        .size:           8
        .value_kind:     global_buffer
      - .offset:         104
        .size:           8
        .value_kind:     by_value
      - .offset:         112
        .size:           8
        .value_kind:     by_value
      - .offset:         120
        .size:           4
        .value_kind:     by_value
    .group_segment_fixed_size: 8192
    .kernarg_segment_align: 8
    .kernarg_segment_size: 124
    .language:       OpenCL C
    .language_version:
      - 2
      - 0
    .max_flat_workgroup_size: 256
    .name:           _ZL41rocblas_syrkx_herkx_small_restrict_kernelIl19rocblas_complex_numIdELi16ELb1ELb0ELc67ELc85EKPKS1_KPS1_EviT_T0_PT6_S7_lSA_S7_lS8_PT7_S7_li
    .private_segment_fixed_size: 0
    .sgpr_count:     24
    .sgpr_spill_count: 0
    .symbol:         _ZL41rocblas_syrkx_herkx_small_restrict_kernelIl19rocblas_complex_numIdELi16ELb1ELb0ELc67ELc85EKPKS1_KPS1_EviT_T0_PT6_S7_lSA_S7_lS8_PT7_S7_li.kd
    .uniform_work_group_size: 1
    .uses_dynamic_stack: false
    .vgpr_count:     48
    .vgpr_spill_count: 0
    .wavefront_size: 32
    .workgroup_processor_mode: 1
  - .args:
      - .offset:         0
        .size:           4
        .value_kind:     by_value
      - .offset:         8
        .size:           8
        .value_kind:     by_value
      - .offset:         16
        .size:           16
        .value_kind:     by_value
      - .address_space:  global
        .offset:         32
        .size:           8
        .value_kind:     global_buffer
      - .offset:         40
        .size:           8
        .value_kind:     by_value
      - .offset:         48
        .size:           8
        .value_kind:     by_value
      - .address_space:  global
        .offset:         56
        .size:           8
        .value_kind:     global_buffer
      - .offset:         64
        .size:           8
        .value_kind:     by_value
      - .offset:         72
        .size:           8
        .value_kind:     by_value
      - .offset:         80
        .size:           16
        .value_kind:     by_value
      - .address_space:  global
        .offset:         96
        .size:           8
        .value_kind:     global_buffer
      - .offset:         104
        .size:           8
        .value_kind:     by_value
      - .offset:         112
        .size:           8
        .value_kind:     by_value
      - .offset:         120
        .size:           4
        .value_kind:     by_value
    .group_segment_fixed_size: 8192
    .kernarg_segment_align: 8
    .kernarg_segment_size: 124
    .language:       OpenCL C
    .language_version:
      - 2
      - 0
    .max_flat_workgroup_size: 256
    .name:           _ZL41rocblas_syrkx_herkx_small_restrict_kernelIl19rocblas_complex_numIdELi16ELb1ELb0ELc78ELc85EKPKS1_KPS1_EviT_T0_PT6_S7_lSA_S7_lS8_PT7_S7_li
    .private_segment_fixed_size: 0
    .sgpr_count:     26
    .sgpr_spill_count: 0
    .symbol:         _ZL41rocblas_syrkx_herkx_small_restrict_kernelIl19rocblas_complex_numIdELi16ELb1ELb0ELc78ELc85EKPKS1_KPS1_EviT_T0_PT6_S7_lSA_S7_lS8_PT7_S7_li.kd
    .uniform_work_group_size: 1
    .uses_dynamic_stack: false
    .vgpr_count:     48
    .vgpr_spill_count: 0
    .wavefront_size: 32
    .workgroup_processor_mode: 1
  - .args:
      - .offset:         0
        .size:           4
        .value_kind:     by_value
      - .offset:         8
        .size:           8
        .value_kind:     by_value
      - .offset:         16
        .size:           16
        .value_kind:     by_value
      - .address_space:  global
        .offset:         32
        .size:           8
        .value_kind:     global_buffer
      - .offset:         40
        .size:           8
        .value_kind:     by_value
      - .offset:         48
        .size:           8
        .value_kind:     by_value
      - .address_space:  global
        .offset:         56
        .size:           8
        .value_kind:     global_buffer
      - .offset:         64
        .size:           8
        .value_kind:     by_value
      - .offset:         72
        .size:           8
        .value_kind:     by_value
      - .offset:         80
        .size:           16
        .value_kind:     by_value
      - .address_space:  global
        .offset:         96
        .size:           8
        .value_kind:     global_buffer
      - .offset:         104
        .size:           8
        .value_kind:     by_value
      - .offset:         112
        .size:           8
        .value_kind:     by_value
      - .offset:         120
        .size:           4
        .value_kind:     by_value
    .group_segment_fixed_size: 8192
    .kernarg_segment_align: 8
    .kernarg_segment_size: 124
    .language:       OpenCL C
    .language_version:
      - 2
      - 0
    .max_flat_workgroup_size: 256
    .name:           _ZL41rocblas_syrkx_herkx_small_restrict_kernelIl19rocblas_complex_numIdELi16ELb0ELb0ELc84ELc76EKPKS1_KPS1_EviT_T0_PT6_S7_lSA_S7_lS8_PT7_S7_li
    .private_segment_fixed_size: 0
    .sgpr_count:     28
    .sgpr_spill_count: 0
    .symbol:         _ZL41rocblas_syrkx_herkx_small_restrict_kernelIl19rocblas_complex_numIdELi16ELb0ELb0ELc84ELc76EKPKS1_KPS1_EviT_T0_PT6_S7_lSA_S7_lS8_PT7_S7_li.kd
    .uniform_work_group_size: 1
    .uses_dynamic_stack: false
    .vgpr_count:     48
    .vgpr_spill_count: 0
    .wavefront_size: 32
    .workgroup_processor_mode: 1
  - .args:
      - .offset:         0
        .size:           4
        .value_kind:     by_value
      - .offset:         8
        .size:           8
        .value_kind:     by_value
      - .offset:         16
        .size:           16
        .value_kind:     by_value
      - .address_space:  global
        .offset:         32
        .size:           8
        .value_kind:     global_buffer
      - .offset:         40
        .size:           8
        .value_kind:     by_value
      - .offset:         48
        .size:           8
        .value_kind:     by_value
      - .address_space:  global
        .offset:         56
        .size:           8
        .value_kind:     global_buffer
      - .offset:         64
        .size:           8
        .value_kind:     by_value
      - .offset:         72
        .size:           8
        .value_kind:     by_value
      - .offset:         80
        .size:           16
        .value_kind:     by_value
      - .address_space:  global
        .offset:         96
        .size:           8
        .value_kind:     global_buffer
      - .offset:         104
        .size:           8
        .value_kind:     by_value
      - .offset:         112
        .size:           8
        .value_kind:     by_value
      - .offset:         120
        .size:           4
        .value_kind:     by_value
    .group_segment_fixed_size: 8192
    .kernarg_segment_align: 8
    .kernarg_segment_size: 124
    .language:       OpenCL C
    .language_version:
      - 2
      - 0
    .max_flat_workgroup_size: 256
    .name:           _ZL41rocblas_syrkx_herkx_small_restrict_kernelIl19rocblas_complex_numIdELi16ELb0ELb0ELc67ELc76EKPKS1_KPS1_EviT_T0_PT6_S7_lSA_S7_lS8_PT7_S7_li
    .private_segment_fixed_size: 0
    .sgpr_count:     28
    .sgpr_spill_count: 0
    .symbol:         _ZL41rocblas_syrkx_herkx_small_restrict_kernelIl19rocblas_complex_numIdELi16ELb0ELb0ELc67ELc76EKPKS1_KPS1_EviT_T0_PT6_S7_lSA_S7_lS8_PT7_S7_li.kd
    .uniform_work_group_size: 1
    .uses_dynamic_stack: false
    .vgpr_count:     48
    .vgpr_spill_count: 0
    .wavefront_size: 32
    .workgroup_processor_mode: 1
  - .args:
      - .offset:         0
        .size:           4
        .value_kind:     by_value
      - .offset:         8
        .size:           8
        .value_kind:     by_value
      - .offset:         16
        .size:           16
        .value_kind:     by_value
      - .address_space:  global
        .offset:         32
        .size:           8
        .value_kind:     global_buffer
      - .offset:         40
        .size:           8
        .value_kind:     by_value
      - .offset:         48
        .size:           8
        .value_kind:     by_value
      - .address_space:  global
        .offset:         56
        .size:           8
        .value_kind:     global_buffer
      - .offset:         64
        .size:           8
        .value_kind:     by_value
      - .offset:         72
        .size:           8
        .value_kind:     by_value
      - .offset:         80
        .size:           16
        .value_kind:     by_value
      - .address_space:  global
        .offset:         96
        .size:           8
        .value_kind:     global_buffer
      - .offset:         104
        .size:           8
        .value_kind:     by_value
      - .offset:         112
        .size:           8
        .value_kind:     by_value
      - .offset:         120
        .size:           4
        .value_kind:     by_value
    .group_segment_fixed_size: 8192
    .kernarg_segment_align: 8
    .kernarg_segment_size: 124
    .language:       OpenCL C
    .language_version:
      - 2
      - 0
    .max_flat_workgroup_size: 256
    .name:           _ZL41rocblas_syrkx_herkx_small_restrict_kernelIl19rocblas_complex_numIdELi16ELb0ELb0ELc78ELc76EKPKS1_KPS1_EviT_T0_PT6_S7_lSA_S7_lS8_PT7_S7_li
    .private_segment_fixed_size: 0
    .sgpr_count:     30
    .sgpr_spill_count: 0
    .symbol:         _ZL41rocblas_syrkx_herkx_small_restrict_kernelIl19rocblas_complex_numIdELi16ELb0ELb0ELc78ELc76EKPKS1_KPS1_EviT_T0_PT6_S7_lSA_S7_lS8_PT7_S7_li.kd
    .uniform_work_group_size: 1
    .uses_dynamic_stack: false
    .vgpr_count:     48
    .vgpr_spill_count: 0
    .wavefront_size: 32
    .workgroup_processor_mode: 1
  - .args:
      - .offset:         0
        .size:           4
        .value_kind:     by_value
      - .offset:         8
        .size:           8
        .value_kind:     by_value
      - .offset:         16
        .size:           16
        .value_kind:     by_value
      - .address_space:  global
        .offset:         32
        .size:           8
        .value_kind:     global_buffer
      - .offset:         40
        .size:           8
        .value_kind:     by_value
      - .offset:         48
        .size:           8
        .value_kind:     by_value
      - .address_space:  global
        .offset:         56
        .size:           8
        .value_kind:     global_buffer
      - .offset:         64
        .size:           8
        .value_kind:     by_value
      - .offset:         72
        .size:           8
        .value_kind:     by_value
      - .offset:         80
        .size:           16
        .value_kind:     by_value
      - .address_space:  global
        .offset:         96
        .size:           8
        .value_kind:     global_buffer
      - .offset:         104
        .size:           8
        .value_kind:     by_value
      - .offset:         112
        .size:           8
        .value_kind:     by_value
      - .offset:         120
        .size:           4
        .value_kind:     by_value
    .group_segment_fixed_size: 8192
    .kernarg_segment_align: 8
    .kernarg_segment_size: 124
    .language:       OpenCL C
    .language_version:
      - 2
      - 0
    .max_flat_workgroup_size: 256
    .name:           _ZL41rocblas_syrkx_herkx_small_restrict_kernelIl19rocblas_complex_numIdELi16ELb0ELb0ELc84ELc85EKPKS1_KPS1_EviT_T0_PT6_S7_lSA_S7_lS8_PT7_S7_li
    .private_segment_fixed_size: 0
    .sgpr_count:     28
    .sgpr_spill_count: 0
    .symbol:         _ZL41rocblas_syrkx_herkx_small_restrict_kernelIl19rocblas_complex_numIdELi16ELb0ELb0ELc84ELc85EKPKS1_KPS1_EviT_T0_PT6_S7_lSA_S7_lS8_PT7_S7_li.kd
    .uniform_work_group_size: 1
    .uses_dynamic_stack: false
    .vgpr_count:     48
    .vgpr_spill_count: 0
    .wavefront_size: 32
    .workgroup_processor_mode: 1
  - .args:
      - .offset:         0
        .size:           4
        .value_kind:     by_value
      - .offset:         8
        .size:           8
        .value_kind:     by_value
      - .offset:         16
        .size:           16
        .value_kind:     by_value
      - .address_space:  global
        .offset:         32
        .size:           8
        .value_kind:     global_buffer
      - .offset:         40
        .size:           8
        .value_kind:     by_value
      - .offset:         48
        .size:           8
        .value_kind:     by_value
      - .address_space:  global
        .offset:         56
        .size:           8
        .value_kind:     global_buffer
      - .offset:         64
        .size:           8
        .value_kind:     by_value
      - .offset:         72
        .size:           8
        .value_kind:     by_value
      - .offset:         80
        .size:           16
        .value_kind:     by_value
      - .address_space:  global
        .offset:         96
        .size:           8
        .value_kind:     global_buffer
      - .offset:         104
        .size:           8
        .value_kind:     by_value
      - .offset:         112
        .size:           8
        .value_kind:     by_value
      - .offset:         120
        .size:           4
        .value_kind:     by_value
    .group_segment_fixed_size: 8192
    .kernarg_segment_align: 8
    .kernarg_segment_size: 124
    .language:       OpenCL C
    .language_version:
      - 2
      - 0
    .max_flat_workgroup_size: 256
    .name:           _ZL41rocblas_syrkx_herkx_small_restrict_kernelIl19rocblas_complex_numIdELi16ELb0ELb0ELc67ELc85EKPKS1_KPS1_EviT_T0_PT6_S7_lSA_S7_lS8_PT7_S7_li
    .private_segment_fixed_size: 0
    .sgpr_count:     28
    .sgpr_spill_count: 0
    .symbol:         _ZL41rocblas_syrkx_herkx_small_restrict_kernelIl19rocblas_complex_numIdELi16ELb0ELb0ELc67ELc85EKPKS1_KPS1_EviT_T0_PT6_S7_lSA_S7_lS8_PT7_S7_li.kd
    .uniform_work_group_size: 1
    .uses_dynamic_stack: false
    .vgpr_count:     48
    .vgpr_spill_count: 0
    .wavefront_size: 32
    .workgroup_processor_mode: 1
  - .args:
      - .offset:         0
        .size:           4
        .value_kind:     by_value
      - .offset:         8
        .size:           8
        .value_kind:     by_value
      - .offset:         16
        .size:           16
        .value_kind:     by_value
      - .address_space:  global
        .offset:         32
        .size:           8
        .value_kind:     global_buffer
      - .offset:         40
        .size:           8
        .value_kind:     by_value
      - .offset:         48
        .size:           8
        .value_kind:     by_value
      - .address_space:  global
        .offset:         56
        .size:           8
        .value_kind:     global_buffer
      - .offset:         64
        .size:           8
        .value_kind:     by_value
      - .offset:         72
        .size:           8
        .value_kind:     by_value
      - .offset:         80
        .size:           16
        .value_kind:     by_value
      - .address_space:  global
        .offset:         96
        .size:           8
        .value_kind:     global_buffer
      - .offset:         104
        .size:           8
        .value_kind:     by_value
      - .offset:         112
        .size:           8
        .value_kind:     by_value
      - .offset:         120
        .size:           4
        .value_kind:     by_value
    .group_segment_fixed_size: 8192
    .kernarg_segment_align: 8
    .kernarg_segment_size: 124
    .language:       OpenCL C
    .language_version:
      - 2
      - 0
    .max_flat_workgroup_size: 256
    .name:           _ZL41rocblas_syrkx_herkx_small_restrict_kernelIl19rocblas_complex_numIdELi16ELb0ELb0ELc78ELc85EKPKS1_KPS1_EviT_T0_PT6_S7_lSA_S7_lS8_PT7_S7_li
    .private_segment_fixed_size: 0
    .sgpr_count:     30
    .sgpr_spill_count: 0
    .symbol:         _ZL41rocblas_syrkx_herkx_small_restrict_kernelIl19rocblas_complex_numIdELi16ELb0ELb0ELc78ELc85EKPKS1_KPS1_EviT_T0_PT6_S7_lSA_S7_lS8_PT7_S7_li.kd
    .uniform_work_group_size: 1
    .uses_dynamic_stack: false
    .vgpr_count:     48
    .vgpr_spill_count: 0
    .wavefront_size: 32
    .workgroup_processor_mode: 1
  - .args:
      - .offset:         0
        .size:           4
        .value_kind:     by_value
      - .offset:         8
        .size:           8
        .value_kind:     by_value
      - .offset:         16
        .size:           16
        .value_kind:     by_value
      - .address_space:  global
        .offset:         32
        .size:           8
        .value_kind:     global_buffer
      - .offset:         40
        .size:           8
        .value_kind:     by_value
      - .offset:         48
        .size:           8
        .value_kind:     by_value
      - .address_space:  global
        .offset:         56
        .size:           8
        .value_kind:     global_buffer
      - .offset:         64
        .size:           8
        .value_kind:     by_value
      - .offset:         72
        .size:           8
        .value_kind:     by_value
      - .offset:         80
        .size:           16
        .value_kind:     by_value
      - .address_space:  global
        .offset:         96
        .size:           8
        .value_kind:     global_buffer
      - .offset:         104
        .size:           8
        .value_kind:     by_value
      - .offset:         112
        .size:           8
        .value_kind:     by_value
      - .offset:         120
        .size:           4
        .value_kind:     by_value
    .group_segment_fixed_size: 8192
    .kernarg_segment_align: 8
    .kernarg_segment_size: 124
    .language:       OpenCL C
    .language_version:
      - 2
      - 0
    .max_flat_workgroup_size: 256
    .name:           _ZL32rocblas_syrkx_herkx_small_kernelIl19rocblas_complex_numIdELi16ELb1ELb0ELc84ELc76EKPKS1_KPS1_EviT_T0_PT6_S7_lSA_S7_lS8_PT7_S7_li
    .private_segment_fixed_size: 0
    .sgpr_count:     26
    .sgpr_spill_count: 0
    .symbol:         _ZL32rocblas_syrkx_herkx_small_kernelIl19rocblas_complex_numIdELi16ELb1ELb0ELc84ELc76EKPKS1_KPS1_EviT_T0_PT6_S7_lSA_S7_lS8_PT7_S7_li.kd
    .uniform_work_group_size: 1
    .uses_dynamic_stack: false
    .vgpr_count:     52
    .vgpr_spill_count: 0
    .wavefront_size: 32
    .workgroup_processor_mode: 1
  - .args:
      - .offset:         0
        .size:           4
        .value_kind:     by_value
      - .offset:         8
        .size:           8
        .value_kind:     by_value
      - .offset:         16
        .size:           16
        .value_kind:     by_value
      - .address_space:  global
        .offset:         32
        .size:           8
        .value_kind:     global_buffer
      - .offset:         40
        .size:           8
        .value_kind:     by_value
      - .offset:         48
        .size:           8
        .value_kind:     by_value
      - .address_space:  global
        .offset:         56
        .size:           8
        .value_kind:     global_buffer
      - .offset:         64
        .size:           8
        .value_kind:     by_value
      - .offset:         72
        .size:           8
        .value_kind:     by_value
      - .offset:         80
        .size:           16
        .value_kind:     by_value
      - .address_space:  global
        .offset:         96
        .size:           8
        .value_kind:     global_buffer
      - .offset:         104
        .size:           8
        .value_kind:     by_value
      - .offset:         112
        .size:           8
        .value_kind:     by_value
      - .offset:         120
        .size:           4
        .value_kind:     by_value
    .group_segment_fixed_size: 8192
    .kernarg_segment_align: 8
    .kernarg_segment_size: 124
    .language:       OpenCL C
    .language_version:
      - 2
      - 0
    .max_flat_workgroup_size: 256
    .name:           _ZL32rocblas_syrkx_herkx_small_kernelIl19rocblas_complex_numIdELi16ELb1ELb0ELc67ELc76EKPKS1_KPS1_EviT_T0_PT6_S7_lSA_S7_lS8_PT7_S7_li
    .private_segment_fixed_size: 0
    .sgpr_count:     26
    .sgpr_spill_count: 0
    .symbol:         _ZL32rocblas_syrkx_herkx_small_kernelIl19rocblas_complex_numIdELi16ELb1ELb0ELc67ELc76EKPKS1_KPS1_EviT_T0_PT6_S7_lSA_S7_lS8_PT7_S7_li.kd
    .uniform_work_group_size: 1
    .uses_dynamic_stack: false
    .vgpr_count:     53
    .vgpr_spill_count: 0
    .wavefront_size: 32
    .workgroup_processor_mode: 1
  - .args:
      - .offset:         0
        .size:           4
        .value_kind:     by_value
      - .offset:         8
        .size:           8
        .value_kind:     by_value
      - .offset:         16
        .size:           16
        .value_kind:     by_value
      - .address_space:  global
        .offset:         32
        .size:           8
        .value_kind:     global_buffer
      - .offset:         40
        .size:           8
        .value_kind:     by_value
      - .offset:         48
        .size:           8
        .value_kind:     by_value
      - .address_space:  global
        .offset:         56
        .size:           8
        .value_kind:     global_buffer
      - .offset:         64
        .size:           8
        .value_kind:     by_value
      - .offset:         72
        .size:           8
        .value_kind:     by_value
      - .offset:         80
        .size:           16
        .value_kind:     by_value
      - .address_space:  global
        .offset:         96
        .size:           8
        .value_kind:     global_buffer
      - .offset:         104
        .size:           8
        .value_kind:     by_value
      - .offset:         112
        .size:           8
        .value_kind:     by_value
      - .offset:         120
        .size:           4
        .value_kind:     by_value
    .group_segment_fixed_size: 8192
    .kernarg_segment_align: 8
    .kernarg_segment_size: 124
    .language:       OpenCL C
    .language_version:
      - 2
      - 0
    .max_flat_workgroup_size: 256
    .name:           _ZL32rocblas_syrkx_herkx_small_kernelIl19rocblas_complex_numIdELi16ELb1ELb0ELc78ELc76EKPKS1_KPS1_EviT_T0_PT6_S7_lSA_S7_lS8_PT7_S7_li
    .private_segment_fixed_size: 0
    .sgpr_count:     26
    .sgpr_spill_count: 0
    .symbol:         _ZL32rocblas_syrkx_herkx_small_kernelIl19rocblas_complex_numIdELi16ELb1ELb0ELc78ELc76EKPKS1_KPS1_EviT_T0_PT6_S7_lSA_S7_lS8_PT7_S7_li.kd
    .uniform_work_group_size: 1
    .uses_dynamic_stack: false
    .vgpr_count:     51
    .vgpr_spill_count: 0
    .wavefront_size: 32
    .workgroup_processor_mode: 1
  - .args:
      - .offset:         0
        .size:           4
        .value_kind:     by_value
      - .offset:         8
        .size:           8
        .value_kind:     by_value
      - .offset:         16
        .size:           16
        .value_kind:     by_value
      - .address_space:  global
        .offset:         32
        .size:           8
        .value_kind:     global_buffer
      - .offset:         40
        .size:           8
        .value_kind:     by_value
      - .offset:         48
        .size:           8
        .value_kind:     by_value
      - .address_space:  global
        .offset:         56
        .size:           8
        .value_kind:     global_buffer
      - .offset:         64
        .size:           8
        .value_kind:     by_value
      - .offset:         72
        .size:           8
        .value_kind:     by_value
      - .offset:         80
        .size:           16
        .value_kind:     by_value
      - .address_space:  global
        .offset:         96
        .size:           8
        .value_kind:     global_buffer
      - .offset:         104
        .size:           8
        .value_kind:     by_value
      - .offset:         112
        .size:           8
        .value_kind:     by_value
      - .offset:         120
        .size:           4
        .value_kind:     by_value
    .group_segment_fixed_size: 8192
    .kernarg_segment_align: 8
    .kernarg_segment_size: 124
    .language:       OpenCL C
    .language_version:
      - 2
      - 0
    .max_flat_workgroup_size: 256
    .name:           _ZL32rocblas_syrkx_herkx_small_kernelIl19rocblas_complex_numIdELi16ELb1ELb0ELc84ELc85EKPKS1_KPS1_EviT_T0_PT6_S7_lSA_S7_lS8_PT7_S7_li
    .private_segment_fixed_size: 0
    .sgpr_count:     26
    .sgpr_spill_count: 0
    .symbol:         _ZL32rocblas_syrkx_herkx_small_kernelIl19rocblas_complex_numIdELi16ELb1ELb0ELc84ELc85EKPKS1_KPS1_EviT_T0_PT6_S7_lSA_S7_lS8_PT7_S7_li.kd
    .uniform_work_group_size: 1
    .uses_dynamic_stack: false
    .vgpr_count:     52
    .vgpr_spill_count: 0
    .wavefront_size: 32
    .workgroup_processor_mode: 1
  - .args:
      - .offset:         0
        .size:           4
        .value_kind:     by_value
      - .offset:         8
        .size:           8
        .value_kind:     by_value
      - .offset:         16
        .size:           16
        .value_kind:     by_value
      - .address_space:  global
        .offset:         32
        .size:           8
        .value_kind:     global_buffer
      - .offset:         40
        .size:           8
        .value_kind:     by_value
      - .offset:         48
        .size:           8
        .value_kind:     by_value
      - .address_space:  global
        .offset:         56
        .size:           8
        .value_kind:     global_buffer
      - .offset:         64
        .size:           8
        .value_kind:     by_value
      - .offset:         72
        .size:           8
        .value_kind:     by_value
      - .offset:         80
        .size:           16
        .value_kind:     by_value
      - .address_space:  global
        .offset:         96
        .size:           8
        .value_kind:     global_buffer
      - .offset:         104
        .size:           8
        .value_kind:     by_value
      - .offset:         112
        .size:           8
        .value_kind:     by_value
      - .offset:         120
        .size:           4
        .value_kind:     by_value
    .group_segment_fixed_size: 8192
    .kernarg_segment_align: 8
    .kernarg_segment_size: 124
    .language:       OpenCL C
    .language_version:
      - 2
      - 0
    .max_flat_workgroup_size: 256
    .name:           _ZL32rocblas_syrkx_herkx_small_kernelIl19rocblas_complex_numIdELi16ELb1ELb0ELc67ELc85EKPKS1_KPS1_EviT_T0_PT6_S7_lSA_S7_lS8_PT7_S7_li
    .private_segment_fixed_size: 0
    .sgpr_count:     26
    .sgpr_spill_count: 0
    .symbol:         _ZL32rocblas_syrkx_herkx_small_kernelIl19rocblas_complex_numIdELi16ELb1ELb0ELc67ELc85EKPKS1_KPS1_EviT_T0_PT6_S7_lSA_S7_lS8_PT7_S7_li.kd
    .uniform_work_group_size: 1
    .uses_dynamic_stack: false
    .vgpr_count:     53
    .vgpr_spill_count: 0
    .wavefront_size: 32
    .workgroup_processor_mode: 1
  - .args:
      - .offset:         0
        .size:           4
        .value_kind:     by_value
      - .offset:         8
        .size:           8
        .value_kind:     by_value
      - .offset:         16
        .size:           16
        .value_kind:     by_value
      - .address_space:  global
        .offset:         32
        .size:           8
        .value_kind:     global_buffer
      - .offset:         40
        .size:           8
        .value_kind:     by_value
      - .offset:         48
        .size:           8
        .value_kind:     by_value
      - .address_space:  global
        .offset:         56
        .size:           8
        .value_kind:     global_buffer
      - .offset:         64
        .size:           8
        .value_kind:     by_value
      - .offset:         72
        .size:           8
        .value_kind:     by_value
      - .offset:         80
        .size:           16
        .value_kind:     by_value
      - .address_space:  global
        .offset:         96
        .size:           8
        .value_kind:     global_buffer
      - .offset:         104
        .size:           8
        .value_kind:     by_value
      - .offset:         112
        .size:           8
        .value_kind:     by_value
      - .offset:         120
        .size:           4
        .value_kind:     by_value
    .group_segment_fixed_size: 8192
    .kernarg_segment_align: 8
    .kernarg_segment_size: 124
    .language:       OpenCL C
    .language_version:
      - 2
      - 0
    .max_flat_workgroup_size: 256
    .name:           _ZL32rocblas_syrkx_herkx_small_kernelIl19rocblas_complex_numIdELi16ELb1ELb0ELc78ELc85EKPKS1_KPS1_EviT_T0_PT6_S7_lSA_S7_lS8_PT7_S7_li
    .private_segment_fixed_size: 0
    .sgpr_count:     26
    .sgpr_spill_count: 0
    .symbol:         _ZL32rocblas_syrkx_herkx_small_kernelIl19rocblas_complex_numIdELi16ELb1ELb0ELc78ELc85EKPKS1_KPS1_EviT_T0_PT6_S7_lSA_S7_lS8_PT7_S7_li.kd
    .uniform_work_group_size: 1
    .uses_dynamic_stack: false
    .vgpr_count:     51
    .vgpr_spill_count: 0
    .wavefront_size: 32
    .workgroup_processor_mode: 1
  - .args:
      - .offset:         0
        .size:           4
        .value_kind:     by_value
      - .offset:         8
        .size:           8
        .value_kind:     by_value
      - .offset:         16
        .size:           16
        .value_kind:     by_value
      - .address_space:  global
        .offset:         32
        .size:           8
        .value_kind:     global_buffer
      - .offset:         40
        .size:           8
        .value_kind:     by_value
      - .offset:         48
        .size:           8
        .value_kind:     by_value
      - .address_space:  global
        .offset:         56
        .size:           8
        .value_kind:     global_buffer
      - .offset:         64
        .size:           8
        .value_kind:     by_value
      - .offset:         72
        .size:           8
        .value_kind:     by_value
      - .offset:         80
        .size:           16
        .value_kind:     by_value
      - .address_space:  global
        .offset:         96
        .size:           8
        .value_kind:     global_buffer
      - .offset:         104
        .size:           8
        .value_kind:     by_value
      - .offset:         112
        .size:           8
        .value_kind:     by_value
      - .offset:         120
        .size:           4
        .value_kind:     by_value
    .group_segment_fixed_size: 8192
    .kernarg_segment_align: 8
    .kernarg_segment_size: 124
    .language:       OpenCL C
    .language_version:
      - 2
      - 0
    .max_flat_workgroup_size: 256
    .name:           _ZL32rocblas_syrkx_herkx_small_kernelIl19rocblas_complex_numIdELi16ELb0ELb0ELc84ELc76EKPKS1_KPS1_EviT_T0_PT6_S7_lSA_S7_lS8_PT7_S7_li
    .private_segment_fixed_size: 0
    .sgpr_count:     30
    .sgpr_spill_count: 0
    .symbol:         _ZL32rocblas_syrkx_herkx_small_kernelIl19rocblas_complex_numIdELi16ELb0ELb0ELc84ELc76EKPKS1_KPS1_EviT_T0_PT6_S7_lSA_S7_lS8_PT7_S7_li.kd
    .uniform_work_group_size: 1
    .uses_dynamic_stack: false
    .vgpr_count:     52
    .vgpr_spill_count: 0
    .wavefront_size: 32
    .workgroup_processor_mode: 1
  - .args:
      - .offset:         0
        .size:           4
        .value_kind:     by_value
      - .offset:         8
        .size:           8
        .value_kind:     by_value
      - .offset:         16
        .size:           16
        .value_kind:     by_value
      - .address_space:  global
        .offset:         32
        .size:           8
        .value_kind:     global_buffer
      - .offset:         40
        .size:           8
        .value_kind:     by_value
      - .offset:         48
        .size:           8
        .value_kind:     by_value
      - .address_space:  global
        .offset:         56
        .size:           8
        .value_kind:     global_buffer
      - .offset:         64
        .size:           8
        .value_kind:     by_value
      - .offset:         72
        .size:           8
        .value_kind:     by_value
      - .offset:         80
        .size:           16
        .value_kind:     by_value
      - .address_space:  global
        .offset:         96
        .size:           8
        .value_kind:     global_buffer
      - .offset:         104
        .size:           8
        .value_kind:     by_value
      - .offset:         112
        .size:           8
        .value_kind:     by_value
      - .offset:         120
        .size:           4
        .value_kind:     by_value
    .group_segment_fixed_size: 8192
    .kernarg_segment_align: 8
    .kernarg_segment_size: 124
    .language:       OpenCL C
    .language_version:
      - 2
      - 0
    .max_flat_workgroup_size: 256
    .name:           _ZL32rocblas_syrkx_herkx_small_kernelIl19rocblas_complex_numIdELi16ELb0ELb0ELc67ELc76EKPKS1_KPS1_EviT_T0_PT6_S7_lSA_S7_lS8_PT7_S7_li
    .private_segment_fixed_size: 0
    .sgpr_count:     30
    .sgpr_spill_count: 0
    .symbol:         _ZL32rocblas_syrkx_herkx_small_kernelIl19rocblas_complex_numIdELi16ELb0ELb0ELc67ELc76EKPKS1_KPS1_EviT_T0_PT6_S7_lSA_S7_lS8_PT7_S7_li.kd
    .uniform_work_group_size: 1
    .uses_dynamic_stack: false
    .vgpr_count:     53
    .vgpr_spill_count: 0
    .wavefront_size: 32
    .workgroup_processor_mode: 1
  - .args:
      - .offset:         0
        .size:           4
        .value_kind:     by_value
      - .offset:         8
        .size:           8
        .value_kind:     by_value
      - .offset:         16
        .size:           16
        .value_kind:     by_value
      - .address_space:  global
        .offset:         32
        .size:           8
        .value_kind:     global_buffer
      - .offset:         40
        .size:           8
        .value_kind:     by_value
      - .offset:         48
        .size:           8
        .value_kind:     by_value
      - .address_space:  global
        .offset:         56
        .size:           8
        .value_kind:     global_buffer
      - .offset:         64
        .size:           8
        .value_kind:     by_value
      - .offset:         72
        .size:           8
        .value_kind:     by_value
      - .offset:         80
        .size:           16
        .value_kind:     by_value
      - .address_space:  global
        .offset:         96
        .size:           8
        .value_kind:     global_buffer
      - .offset:         104
        .size:           8
        .value_kind:     by_value
      - .offset:         112
        .size:           8
        .value_kind:     by_value
      - .offset:         120
        .size:           4
        .value_kind:     by_value
    .group_segment_fixed_size: 8192
    .kernarg_segment_align: 8
    .kernarg_segment_size: 124
    .language:       OpenCL C
    .language_version:
      - 2
      - 0
    .max_flat_workgroup_size: 256
    .name:           _ZL32rocblas_syrkx_herkx_small_kernelIl19rocblas_complex_numIdELi16ELb0ELb0ELc78ELc76EKPKS1_KPS1_EviT_T0_PT6_S7_lSA_S7_lS8_PT7_S7_li
    .private_segment_fixed_size: 0
    .sgpr_count:     32
    .sgpr_spill_count: 0
    .symbol:         _ZL32rocblas_syrkx_herkx_small_kernelIl19rocblas_complex_numIdELi16ELb0ELb0ELc78ELc76EKPKS1_KPS1_EviT_T0_PT6_S7_lSA_S7_lS8_PT7_S7_li.kd
    .uniform_work_group_size: 1
    .uses_dynamic_stack: false
    .vgpr_count:     51
    .vgpr_spill_count: 0
    .wavefront_size: 32
    .workgroup_processor_mode: 1
  - .args:
      - .offset:         0
        .size:           4
        .value_kind:     by_value
      - .offset:         8
        .size:           8
        .value_kind:     by_value
      - .offset:         16
        .size:           16
        .value_kind:     by_value
      - .address_space:  global
        .offset:         32
        .size:           8
        .value_kind:     global_buffer
      - .offset:         40
        .size:           8
        .value_kind:     by_value
      - .offset:         48
        .size:           8
        .value_kind:     by_value
      - .address_space:  global
        .offset:         56
        .size:           8
        .value_kind:     global_buffer
      - .offset:         64
        .size:           8
        .value_kind:     by_value
      - .offset:         72
        .size:           8
        .value_kind:     by_value
      - .offset:         80
        .size:           16
        .value_kind:     by_value
      - .address_space:  global
        .offset:         96
        .size:           8
        .value_kind:     global_buffer
      - .offset:         104
        .size:           8
        .value_kind:     by_value
      - .offset:         112
        .size:           8
        .value_kind:     by_value
      - .offset:         120
        .size:           4
        .value_kind:     by_value
    .group_segment_fixed_size: 8192
    .kernarg_segment_align: 8
    .kernarg_segment_size: 124
    .language:       OpenCL C
    .language_version:
      - 2
      - 0
    .max_flat_workgroup_size: 256
    .name:           _ZL32rocblas_syrkx_herkx_small_kernelIl19rocblas_complex_numIdELi16ELb0ELb0ELc84ELc85EKPKS1_KPS1_EviT_T0_PT6_S7_lSA_S7_lS8_PT7_S7_li
    .private_segment_fixed_size: 0
    .sgpr_count:     30
    .sgpr_spill_count: 0
    .symbol:         _ZL32rocblas_syrkx_herkx_small_kernelIl19rocblas_complex_numIdELi16ELb0ELb0ELc84ELc85EKPKS1_KPS1_EviT_T0_PT6_S7_lSA_S7_lS8_PT7_S7_li.kd
    .uniform_work_group_size: 1
    .uses_dynamic_stack: false
    .vgpr_count:     52
    .vgpr_spill_count: 0
    .wavefront_size: 32
    .workgroup_processor_mode: 1
  - .args:
      - .offset:         0
        .size:           4
        .value_kind:     by_value
      - .offset:         8
        .size:           8
        .value_kind:     by_value
      - .offset:         16
        .size:           16
        .value_kind:     by_value
      - .address_space:  global
        .offset:         32
        .size:           8
        .value_kind:     global_buffer
      - .offset:         40
        .size:           8
        .value_kind:     by_value
      - .offset:         48
        .size:           8
        .value_kind:     by_value
      - .address_space:  global
        .offset:         56
        .size:           8
        .value_kind:     global_buffer
      - .offset:         64
        .size:           8
        .value_kind:     by_value
      - .offset:         72
        .size:           8
        .value_kind:     by_value
      - .offset:         80
        .size:           16
        .value_kind:     by_value
      - .address_space:  global
        .offset:         96
        .size:           8
        .value_kind:     global_buffer
      - .offset:         104
        .size:           8
        .value_kind:     by_value
      - .offset:         112
        .size:           8
        .value_kind:     by_value
      - .offset:         120
        .size:           4
        .value_kind:     by_value
    .group_segment_fixed_size: 8192
    .kernarg_segment_align: 8
    .kernarg_segment_size: 124
    .language:       OpenCL C
    .language_version:
      - 2
      - 0
    .max_flat_workgroup_size: 256
    .name:           _ZL32rocblas_syrkx_herkx_small_kernelIl19rocblas_complex_numIdELi16ELb0ELb0ELc67ELc85EKPKS1_KPS1_EviT_T0_PT6_S7_lSA_S7_lS8_PT7_S7_li
    .private_segment_fixed_size: 0
    .sgpr_count:     30
    .sgpr_spill_count: 0
    .symbol:         _ZL32rocblas_syrkx_herkx_small_kernelIl19rocblas_complex_numIdELi16ELb0ELb0ELc67ELc85EKPKS1_KPS1_EviT_T0_PT6_S7_lSA_S7_lS8_PT7_S7_li.kd
    .uniform_work_group_size: 1
    .uses_dynamic_stack: false
    .vgpr_count:     53
    .vgpr_spill_count: 0
    .wavefront_size: 32
    .workgroup_processor_mode: 1
  - .args:
      - .offset:         0
        .size:           4
        .value_kind:     by_value
      - .offset:         8
        .size:           8
        .value_kind:     by_value
      - .offset:         16
        .size:           16
        .value_kind:     by_value
      - .address_space:  global
        .offset:         32
        .size:           8
        .value_kind:     global_buffer
      - .offset:         40
        .size:           8
        .value_kind:     by_value
      - .offset:         48
        .size:           8
        .value_kind:     by_value
      - .address_space:  global
        .offset:         56
        .size:           8
        .value_kind:     global_buffer
      - .offset:         64
        .size:           8
        .value_kind:     by_value
      - .offset:         72
        .size:           8
        .value_kind:     by_value
      - .offset:         80
        .size:           16
        .value_kind:     by_value
      - .address_space:  global
        .offset:         96
        .size:           8
        .value_kind:     global_buffer
      - .offset:         104
        .size:           8
        .value_kind:     by_value
      - .offset:         112
        .size:           8
        .value_kind:     by_value
      - .offset:         120
        .size:           4
        .value_kind:     by_value
    .group_segment_fixed_size: 8192
    .kernarg_segment_align: 8
    .kernarg_segment_size: 124
    .language:       OpenCL C
    .language_version:
      - 2
      - 0
    .max_flat_workgroup_size: 256
    .name:           _ZL32rocblas_syrkx_herkx_small_kernelIl19rocblas_complex_numIdELi16ELb0ELb0ELc78ELc85EKPKS1_KPS1_EviT_T0_PT6_S7_lSA_S7_lS8_PT7_S7_li
    .private_segment_fixed_size: 0
    .sgpr_count:     32
    .sgpr_spill_count: 0
    .symbol:         _ZL32rocblas_syrkx_herkx_small_kernelIl19rocblas_complex_numIdELi16ELb0ELb0ELc78ELc85EKPKS1_KPS1_EviT_T0_PT6_S7_lSA_S7_lS8_PT7_S7_li.kd
    .uniform_work_group_size: 1
    .uses_dynamic_stack: false
    .vgpr_count:     51
    .vgpr_spill_count: 0
    .wavefront_size: 32
    .workgroup_processor_mode: 1
  - .args:
      - .offset:         0
        .size:           4
        .value_kind:     by_value
      - .offset:         8
        .size:           8
        .value_kind:     by_value
      - .offset:         16
        .size:           16
        .value_kind:     by_value
      - .address_space:  global
        .offset:         32
        .size:           8
        .value_kind:     global_buffer
      - .offset:         40
        .size:           8
        .value_kind:     by_value
      - .offset:         48
        .size:           8
        .value_kind:     by_value
      - .address_space:  global
        .offset:         56
        .size:           8
        .value_kind:     global_buffer
      - .offset:         64
        .size:           8
        .value_kind:     by_value
      - .offset:         72
        .size:           8
        .value_kind:     by_value
      - .offset:         80
        .size:           16
        .value_kind:     by_value
      - .address_space:  global
        .offset:         96
        .size:           8
        .value_kind:     global_buffer
      - .offset:         104
        .size:           8
        .value_kind:     by_value
      - .offset:         112
        .size:           8
        .value_kind:     by_value
      - .offset:         120
        .size:           4
        .value_kind:     by_value
    .group_segment_fixed_size: 8192
    .kernarg_segment_align: 8
    .kernarg_segment_size: 124
    .language:       OpenCL C
    .language_version:
      - 2
      - 0
    .max_flat_workgroup_size: 256
    .name:           _ZL34rocblas_syrkx_herkx_general_kernelIl19rocblas_complex_numIdELi16ELi32ELi8ELb1ELb0ELc84ELc76EKPKS1_KPS1_EviT_T0_PT8_S7_lSA_S7_lS8_PT9_S7_li
    .private_segment_fixed_size: 0
    .sgpr_count:     27
    .sgpr_spill_count: 0
    .symbol:         _ZL34rocblas_syrkx_herkx_general_kernelIl19rocblas_complex_numIdELi16ELi32ELi8ELb1ELb0ELc84ELc76EKPKS1_KPS1_EviT_T0_PT8_S7_lSA_S7_lS8_PT9_S7_li.kd
    .uniform_work_group_size: 1
    .uses_dynamic_stack: false
    .vgpr_count:     120
    .vgpr_spill_count: 0
    .wavefront_size: 32
    .workgroup_processor_mode: 1
  - .args:
      - .offset:         0
        .size:           4
        .value_kind:     by_value
      - .offset:         8
        .size:           8
        .value_kind:     by_value
      - .offset:         16
        .size:           16
        .value_kind:     by_value
      - .address_space:  global
        .offset:         32
        .size:           8
        .value_kind:     global_buffer
      - .offset:         40
        .size:           8
        .value_kind:     by_value
      - .offset:         48
        .size:           8
        .value_kind:     by_value
      - .address_space:  global
        .offset:         56
        .size:           8
        .value_kind:     global_buffer
      - .offset:         64
        .size:           8
        .value_kind:     by_value
      - .offset:         72
        .size:           8
        .value_kind:     by_value
      - .offset:         80
        .size:           16
        .value_kind:     by_value
      - .address_space:  global
        .offset:         96
        .size:           8
        .value_kind:     global_buffer
      - .offset:         104
        .size:           8
        .value_kind:     by_value
      - .offset:         112
        .size:           8
        .value_kind:     by_value
      - .offset:         120
        .size:           4
        .value_kind:     by_value
    .group_segment_fixed_size: 8192
    .kernarg_segment_align: 8
    .kernarg_segment_size: 124
    .language:       OpenCL C
    .language_version:
      - 2
      - 0
    .max_flat_workgroup_size: 256
    .name:           _ZL34rocblas_syrkx_herkx_general_kernelIl19rocblas_complex_numIdELi16ELi32ELi8ELb1ELb0ELc67ELc76EKPKS1_KPS1_EviT_T0_PT8_S7_lSA_S7_lS8_PT9_S7_li
    .private_segment_fixed_size: 0
    .sgpr_count:     30
    .sgpr_spill_count: 0
    .symbol:         _ZL34rocblas_syrkx_herkx_general_kernelIl19rocblas_complex_numIdELi16ELi32ELi8ELb1ELb0ELc67ELc76EKPKS1_KPS1_EviT_T0_PT8_S7_lSA_S7_lS8_PT9_S7_li.kd
    .uniform_work_group_size: 1
    .uses_dynamic_stack: false
    .vgpr_count:     121
    .vgpr_spill_count: 0
    .wavefront_size: 32
    .workgroup_processor_mode: 1
  - .args:
      - .offset:         0
        .size:           4
        .value_kind:     by_value
      - .offset:         8
        .size:           8
        .value_kind:     by_value
      - .offset:         16
        .size:           16
        .value_kind:     by_value
      - .address_space:  global
        .offset:         32
        .size:           8
        .value_kind:     global_buffer
      - .offset:         40
        .size:           8
        .value_kind:     by_value
      - .offset:         48
        .size:           8
        .value_kind:     by_value
      - .address_space:  global
        .offset:         56
        .size:           8
        .value_kind:     global_buffer
      - .offset:         64
        .size:           8
        .value_kind:     by_value
      - .offset:         72
        .size:           8
        .value_kind:     by_value
      - .offset:         80
        .size:           16
        .value_kind:     by_value
      - .address_space:  global
        .offset:         96
        .size:           8
        .value_kind:     global_buffer
      - .offset:         104
        .size:           8
        .value_kind:     by_value
      - .offset:         112
        .size:           8
        .value_kind:     by_value
      - .offset:         120
        .size:           4
        .value_kind:     by_value
    .group_segment_fixed_size: 8192
    .kernarg_segment_align: 8
    .kernarg_segment_size: 124
    .language:       OpenCL C
    .language_version:
      - 2
      - 0
    .max_flat_workgroup_size: 256
    .name:           _ZL34rocblas_syrkx_herkx_general_kernelIl19rocblas_complex_numIdELi16ELi32ELi8ELb1ELb0ELc78ELc76EKPKS1_KPS1_EviT_T0_PT8_S7_lSA_S7_lS8_PT9_S7_li
    .private_segment_fixed_size: 0
    .sgpr_count:     30
    .sgpr_spill_count: 0
    .symbol:         _ZL34rocblas_syrkx_herkx_general_kernelIl19rocblas_complex_numIdELi16ELi32ELi8ELb1ELb0ELc78ELc76EKPKS1_KPS1_EviT_T0_PT8_S7_lSA_S7_lS8_PT9_S7_li.kd
    .uniform_work_group_size: 1
    .uses_dynamic_stack: false
    .vgpr_count:     119
    .vgpr_spill_count: 0
    .wavefront_size: 32
    .workgroup_processor_mode: 1
  - .args:
      - .offset:         0
        .size:           4
        .value_kind:     by_value
      - .offset:         8
        .size:           8
        .value_kind:     by_value
      - .offset:         16
        .size:           16
        .value_kind:     by_value
      - .address_space:  global
        .offset:         32
        .size:           8
        .value_kind:     global_buffer
      - .offset:         40
        .size:           8
        .value_kind:     by_value
      - .offset:         48
        .size:           8
        .value_kind:     by_value
      - .address_space:  global
        .offset:         56
        .size:           8
        .value_kind:     global_buffer
      - .offset:         64
        .size:           8
        .value_kind:     by_value
      - .offset:         72
        .size:           8
        .value_kind:     by_value
      - .offset:         80
        .size:           16
        .value_kind:     by_value
      - .address_space:  global
        .offset:         96
        .size:           8
        .value_kind:     global_buffer
      - .offset:         104
        .size:           8
        .value_kind:     by_value
      - .offset:         112
        .size:           8
        .value_kind:     by_value
      - .offset:         120
        .size:           4
        .value_kind:     by_value
    .group_segment_fixed_size: 8192
    .kernarg_segment_align: 8
    .kernarg_segment_size: 124
    .language:       OpenCL C
    .language_version:
      - 2
      - 0
    .max_flat_workgroup_size: 256
    .name:           _ZL34rocblas_syrkx_herkx_general_kernelIl19rocblas_complex_numIdELi16ELi32ELi8ELb1ELb0ELc84ELc85EKPKS1_KPS1_EviT_T0_PT8_S7_lSA_S7_lS8_PT9_S7_li
    .private_segment_fixed_size: 0
    .sgpr_count:     27
    .sgpr_spill_count: 0
    .symbol:         _ZL34rocblas_syrkx_herkx_general_kernelIl19rocblas_complex_numIdELi16ELi32ELi8ELb1ELb0ELc84ELc85EKPKS1_KPS1_EviT_T0_PT8_S7_lSA_S7_lS8_PT9_S7_li.kd
    .uniform_work_group_size: 1
    .uses_dynamic_stack: false
    .vgpr_count:     120
    .vgpr_spill_count: 0
    .wavefront_size: 32
    .workgroup_processor_mode: 1
  - .args:
      - .offset:         0
        .size:           4
        .value_kind:     by_value
      - .offset:         8
        .size:           8
        .value_kind:     by_value
      - .offset:         16
        .size:           16
        .value_kind:     by_value
      - .address_space:  global
        .offset:         32
        .size:           8
        .value_kind:     global_buffer
      - .offset:         40
        .size:           8
        .value_kind:     by_value
      - .offset:         48
        .size:           8
        .value_kind:     by_value
      - .address_space:  global
        .offset:         56
        .size:           8
        .value_kind:     global_buffer
      - .offset:         64
        .size:           8
        .value_kind:     by_value
      - .offset:         72
        .size:           8
        .value_kind:     by_value
      - .offset:         80
        .size:           16
        .value_kind:     by_value
      - .address_space:  global
        .offset:         96
        .size:           8
        .value_kind:     global_buffer
      - .offset:         104
        .size:           8
        .value_kind:     by_value
      - .offset:         112
        .size:           8
        .value_kind:     by_value
      - .offset:         120
        .size:           4
        .value_kind:     by_value
    .group_segment_fixed_size: 8192
    .kernarg_segment_align: 8
    .kernarg_segment_size: 124
    .language:       OpenCL C
    .language_version:
      - 2
      - 0
    .max_flat_workgroup_size: 256
    .name:           _ZL34rocblas_syrkx_herkx_general_kernelIl19rocblas_complex_numIdELi16ELi32ELi8ELb1ELb0ELc67ELc85EKPKS1_KPS1_EviT_T0_PT8_S7_lSA_S7_lS8_PT9_S7_li
    .private_segment_fixed_size: 0
    .sgpr_count:     30
    .sgpr_spill_count: 0
    .symbol:         _ZL34rocblas_syrkx_herkx_general_kernelIl19rocblas_complex_numIdELi16ELi32ELi8ELb1ELb0ELc67ELc85EKPKS1_KPS1_EviT_T0_PT8_S7_lSA_S7_lS8_PT9_S7_li.kd
    .uniform_work_group_size: 1
    .uses_dynamic_stack: false
    .vgpr_count:     121
    .vgpr_spill_count: 0
    .wavefront_size: 32
    .workgroup_processor_mode: 1
  - .args:
      - .offset:         0
        .size:           4
        .value_kind:     by_value
      - .offset:         8
        .size:           8
        .value_kind:     by_value
      - .offset:         16
        .size:           16
        .value_kind:     by_value
      - .address_space:  global
        .offset:         32
        .size:           8
        .value_kind:     global_buffer
      - .offset:         40
        .size:           8
        .value_kind:     by_value
      - .offset:         48
        .size:           8
        .value_kind:     by_value
      - .address_space:  global
        .offset:         56
        .size:           8
        .value_kind:     global_buffer
      - .offset:         64
        .size:           8
        .value_kind:     by_value
      - .offset:         72
        .size:           8
        .value_kind:     by_value
      - .offset:         80
        .size:           16
        .value_kind:     by_value
      - .address_space:  global
        .offset:         96
        .size:           8
        .value_kind:     global_buffer
      - .offset:         104
        .size:           8
        .value_kind:     by_value
      - .offset:         112
        .size:           8
        .value_kind:     by_value
      - .offset:         120
        .size:           4
        .value_kind:     by_value
    .group_segment_fixed_size: 8192
    .kernarg_segment_align: 8
    .kernarg_segment_size: 124
    .language:       OpenCL C
    .language_version:
      - 2
      - 0
    .max_flat_workgroup_size: 256
    .name:           _ZL34rocblas_syrkx_herkx_general_kernelIl19rocblas_complex_numIdELi16ELi32ELi8ELb1ELb0ELc78ELc85EKPKS1_KPS1_EviT_T0_PT8_S7_lSA_S7_lS8_PT9_S7_li
    .private_segment_fixed_size: 0
    .sgpr_count:     30
    .sgpr_spill_count: 0
    .symbol:         _ZL34rocblas_syrkx_herkx_general_kernelIl19rocblas_complex_numIdELi16ELi32ELi8ELb1ELb0ELc78ELc85EKPKS1_KPS1_EviT_T0_PT8_S7_lSA_S7_lS8_PT9_S7_li.kd
    .uniform_work_group_size: 1
    .uses_dynamic_stack: false
    .vgpr_count:     119
    .vgpr_spill_count: 0
    .wavefront_size: 32
    .workgroup_processor_mode: 1
  - .args:
      - .offset:         0
        .size:           4
        .value_kind:     by_value
      - .offset:         8
        .size:           8
        .value_kind:     by_value
      - .offset:         16
        .size:           16
        .value_kind:     by_value
      - .address_space:  global
        .offset:         32
        .size:           8
        .value_kind:     global_buffer
      - .offset:         40
        .size:           8
        .value_kind:     by_value
      - .offset:         48
        .size:           8
        .value_kind:     by_value
      - .address_space:  global
        .offset:         56
        .size:           8
        .value_kind:     global_buffer
      - .offset:         64
        .size:           8
        .value_kind:     by_value
      - .offset:         72
        .size:           8
        .value_kind:     by_value
      - .offset:         80
        .size:           16
        .value_kind:     by_value
      - .address_space:  global
        .offset:         96
        .size:           8
        .value_kind:     global_buffer
      - .offset:         104
        .size:           8
        .value_kind:     by_value
      - .offset:         112
        .size:           8
        .value_kind:     by_value
      - .offset:         120
        .size:           4
        .value_kind:     by_value
    .group_segment_fixed_size: 8192
    .kernarg_segment_align: 8
    .kernarg_segment_size: 124
    .language:       OpenCL C
    .language_version:
      - 2
      - 0
    .max_flat_workgroup_size: 256
    .name:           _ZL34rocblas_syrkx_herkx_general_kernelIl19rocblas_complex_numIdELi16ELi32ELi8ELb0ELb0ELc84ELc76EKPKS1_KPS1_EviT_T0_PT8_S7_lSA_S7_lS8_PT9_S7_li
    .private_segment_fixed_size: 0
    .sgpr_count:     31
    .sgpr_spill_count: 0
    .symbol:         _ZL34rocblas_syrkx_herkx_general_kernelIl19rocblas_complex_numIdELi16ELi32ELi8ELb0ELb0ELc84ELc76EKPKS1_KPS1_EviT_T0_PT8_S7_lSA_S7_lS8_PT9_S7_li.kd
    .uniform_work_group_size: 1
    .uses_dynamic_stack: false
    .vgpr_count:     120
    .vgpr_spill_count: 0
    .wavefront_size: 32
    .workgroup_processor_mode: 1
  - .args:
      - .offset:         0
        .size:           4
        .value_kind:     by_value
      - .offset:         8
        .size:           8
        .value_kind:     by_value
      - .offset:         16
        .size:           16
        .value_kind:     by_value
      - .address_space:  global
        .offset:         32
        .size:           8
        .value_kind:     global_buffer
      - .offset:         40
        .size:           8
        .value_kind:     by_value
      - .offset:         48
        .size:           8
        .value_kind:     by_value
      - .address_space:  global
        .offset:         56
        .size:           8
        .value_kind:     global_buffer
      - .offset:         64
        .size:           8
        .value_kind:     by_value
      - .offset:         72
        .size:           8
        .value_kind:     by_value
      - .offset:         80
        .size:           16
        .value_kind:     by_value
      - .address_space:  global
        .offset:         96
        .size:           8
        .value_kind:     global_buffer
      - .offset:         104
        .size:           8
        .value_kind:     by_value
      - .offset:         112
        .size:           8
        .value_kind:     by_value
      - .offset:         120
        .size:           4
        .value_kind:     by_value
    .group_segment_fixed_size: 8192
    .kernarg_segment_align: 8
    .kernarg_segment_size: 124
    .language:       OpenCL C
    .language_version:
      - 2
      - 0
    .max_flat_workgroup_size: 256
    .name:           _ZL34rocblas_syrkx_herkx_general_kernelIl19rocblas_complex_numIdELi16ELi32ELi8ELb0ELb0ELc67ELc76EKPKS1_KPS1_EviT_T0_PT8_S7_lSA_S7_lS8_PT9_S7_li
    .private_segment_fixed_size: 0
    .sgpr_count:     34
    .sgpr_spill_count: 0
    .symbol:         _ZL34rocblas_syrkx_herkx_general_kernelIl19rocblas_complex_numIdELi16ELi32ELi8ELb0ELb0ELc67ELc76EKPKS1_KPS1_EviT_T0_PT8_S7_lSA_S7_lS8_PT9_S7_li.kd
    .uniform_work_group_size: 1
    .uses_dynamic_stack: false
    .vgpr_count:     121
    .vgpr_spill_count: 0
    .wavefront_size: 32
    .workgroup_processor_mode: 1
  - .args:
      - .offset:         0
        .size:           4
        .value_kind:     by_value
      - .offset:         8
        .size:           8
        .value_kind:     by_value
      - .offset:         16
        .size:           16
        .value_kind:     by_value
      - .address_space:  global
        .offset:         32
        .size:           8
        .value_kind:     global_buffer
      - .offset:         40
        .size:           8
        .value_kind:     by_value
      - .offset:         48
        .size:           8
        .value_kind:     by_value
      - .address_space:  global
        .offset:         56
        .size:           8
        .value_kind:     global_buffer
      - .offset:         64
        .size:           8
        .value_kind:     by_value
      - .offset:         72
        .size:           8
        .value_kind:     by_value
      - .offset:         80
        .size:           16
        .value_kind:     by_value
      - .address_space:  global
        .offset:         96
        .size:           8
        .value_kind:     global_buffer
      - .offset:         104
        .size:           8
        .value_kind:     by_value
      - .offset:         112
        .size:           8
        .value_kind:     by_value
      - .offset:         120
        .size:           4
        .value_kind:     by_value
    .group_segment_fixed_size: 8192
    .kernarg_segment_align: 8
    .kernarg_segment_size: 124
    .language:       OpenCL C
    .language_version:
      - 2
      - 0
    .max_flat_workgroup_size: 256
    .name:           _ZL34rocblas_syrkx_herkx_general_kernelIl19rocblas_complex_numIdELi16ELi32ELi8ELb0ELb0ELc78ELc76EKPKS1_KPS1_EviT_T0_PT8_S7_lSA_S7_lS8_PT9_S7_li
    .private_segment_fixed_size: 0
    .sgpr_count:     38
    .sgpr_spill_count: 0
    .symbol:         _ZL34rocblas_syrkx_herkx_general_kernelIl19rocblas_complex_numIdELi16ELi32ELi8ELb0ELb0ELc78ELc76EKPKS1_KPS1_EviT_T0_PT8_S7_lSA_S7_lS8_PT9_S7_li.kd
    .uniform_work_group_size: 1
    .uses_dynamic_stack: false
    .vgpr_count:     119
    .vgpr_spill_count: 0
    .wavefront_size: 32
    .workgroup_processor_mode: 1
  - .args:
      - .offset:         0
        .size:           4
        .value_kind:     by_value
      - .offset:         8
        .size:           8
        .value_kind:     by_value
      - .offset:         16
        .size:           16
        .value_kind:     by_value
      - .address_space:  global
        .offset:         32
        .size:           8
        .value_kind:     global_buffer
      - .offset:         40
        .size:           8
        .value_kind:     by_value
      - .offset:         48
        .size:           8
        .value_kind:     by_value
      - .address_space:  global
        .offset:         56
        .size:           8
        .value_kind:     global_buffer
      - .offset:         64
        .size:           8
        .value_kind:     by_value
      - .offset:         72
        .size:           8
        .value_kind:     by_value
      - .offset:         80
        .size:           16
        .value_kind:     by_value
      - .address_space:  global
        .offset:         96
        .size:           8
        .value_kind:     global_buffer
      - .offset:         104
        .size:           8
        .value_kind:     by_value
      - .offset:         112
        .size:           8
        .value_kind:     by_value
      - .offset:         120
        .size:           4
        .value_kind:     by_value
    .group_segment_fixed_size: 8192
    .kernarg_segment_align: 8
    .kernarg_segment_size: 124
    .language:       OpenCL C
    .language_version:
      - 2
      - 0
    .max_flat_workgroup_size: 256
    .name:           _ZL34rocblas_syrkx_herkx_general_kernelIl19rocblas_complex_numIdELi16ELi32ELi8ELb0ELb0ELc84ELc85EKPKS1_KPS1_EviT_T0_PT8_S7_lSA_S7_lS8_PT9_S7_li
    .private_segment_fixed_size: 0
    .sgpr_count:     31
    .sgpr_spill_count: 0
    .symbol:         _ZL34rocblas_syrkx_herkx_general_kernelIl19rocblas_complex_numIdELi16ELi32ELi8ELb0ELb0ELc84ELc85EKPKS1_KPS1_EviT_T0_PT8_S7_lSA_S7_lS8_PT9_S7_li.kd
    .uniform_work_group_size: 1
    .uses_dynamic_stack: false
    .vgpr_count:     120
    .vgpr_spill_count: 0
    .wavefront_size: 32
    .workgroup_processor_mode: 1
  - .args:
      - .offset:         0
        .size:           4
        .value_kind:     by_value
      - .offset:         8
        .size:           8
        .value_kind:     by_value
      - .offset:         16
        .size:           16
        .value_kind:     by_value
      - .address_space:  global
        .offset:         32
        .size:           8
        .value_kind:     global_buffer
      - .offset:         40
        .size:           8
        .value_kind:     by_value
      - .offset:         48
        .size:           8
        .value_kind:     by_value
      - .address_space:  global
        .offset:         56
        .size:           8
        .value_kind:     global_buffer
      - .offset:         64
        .size:           8
        .value_kind:     by_value
      - .offset:         72
        .size:           8
        .value_kind:     by_value
      - .offset:         80
        .size:           16
        .value_kind:     by_value
      - .address_space:  global
        .offset:         96
        .size:           8
        .value_kind:     global_buffer
      - .offset:         104
        .size:           8
        .value_kind:     by_value
      - .offset:         112
        .size:           8
        .value_kind:     by_value
      - .offset:         120
        .size:           4
        .value_kind:     by_value
    .group_segment_fixed_size: 8192
    .kernarg_segment_align: 8
    .kernarg_segment_size: 124
    .language:       OpenCL C
    .language_version:
      - 2
      - 0
    .max_flat_workgroup_size: 256
    .name:           _ZL34rocblas_syrkx_herkx_general_kernelIl19rocblas_complex_numIdELi16ELi32ELi8ELb0ELb0ELc67ELc85EKPKS1_KPS1_EviT_T0_PT8_S7_lSA_S7_lS8_PT9_S7_li
    .private_segment_fixed_size: 0
    .sgpr_count:     34
    .sgpr_spill_count: 0
    .symbol:         _ZL34rocblas_syrkx_herkx_general_kernelIl19rocblas_complex_numIdELi16ELi32ELi8ELb0ELb0ELc67ELc85EKPKS1_KPS1_EviT_T0_PT8_S7_lSA_S7_lS8_PT9_S7_li.kd
    .uniform_work_group_size: 1
    .uses_dynamic_stack: false
    .vgpr_count:     121
    .vgpr_spill_count: 0
    .wavefront_size: 32
    .workgroup_processor_mode: 1
  - .args:
      - .offset:         0
        .size:           4
        .value_kind:     by_value
      - .offset:         8
        .size:           8
        .value_kind:     by_value
      - .offset:         16
        .size:           16
        .value_kind:     by_value
      - .address_space:  global
        .offset:         32
        .size:           8
        .value_kind:     global_buffer
      - .offset:         40
        .size:           8
        .value_kind:     by_value
      - .offset:         48
        .size:           8
        .value_kind:     by_value
      - .address_space:  global
        .offset:         56
        .size:           8
        .value_kind:     global_buffer
      - .offset:         64
        .size:           8
        .value_kind:     by_value
      - .offset:         72
        .size:           8
        .value_kind:     by_value
      - .offset:         80
        .size:           16
        .value_kind:     by_value
      - .address_space:  global
        .offset:         96
        .size:           8
        .value_kind:     global_buffer
      - .offset:         104
        .size:           8
        .value_kind:     by_value
      - .offset:         112
        .size:           8
        .value_kind:     by_value
      - .offset:         120
        .size:           4
        .value_kind:     by_value
    .group_segment_fixed_size: 8192
    .kernarg_segment_align: 8
    .kernarg_segment_size: 124
    .language:       OpenCL C
    .language_version:
      - 2
      - 0
    .max_flat_workgroup_size: 256
    .name:           _ZL34rocblas_syrkx_herkx_general_kernelIl19rocblas_complex_numIdELi16ELi32ELi8ELb0ELb0ELc78ELc85EKPKS1_KPS1_EviT_T0_PT8_S7_lSA_S7_lS8_PT9_S7_li
    .private_segment_fixed_size: 0
    .sgpr_count:     38
    .sgpr_spill_count: 0
    .symbol:         _ZL34rocblas_syrkx_herkx_general_kernelIl19rocblas_complex_numIdELi16ELi32ELi8ELb0ELb0ELc78ELc85EKPKS1_KPS1_EviT_T0_PT8_S7_lSA_S7_lS8_PT9_S7_li.kd
    .uniform_work_group_size: 1
    .uses_dynamic_stack: false
    .vgpr_count:     119
    .vgpr_spill_count: 0
    .wavefront_size: 32
    .workgroup_processor_mode: 1
  - .args:
      - .offset:         0
        .size:           1
        .value_kind:     by_value
      - .offset:         4
        .size:           4
        .value_kind:     by_value
      - .offset:         8
        .size:           8
        .value_kind:     by_value
      - .offset:         16
        .size:           16
        .value_kind:     by_value
      - .offset:         32
        .size:           16
        .value_kind:     by_value
      - .address_space:  global
        .offset:         48
        .size:           8
        .value_kind:     global_buffer
      - .offset:         56
        .size:           8
        .value_kind:     by_value
      - .offset:         64
        .size:           8
        .value_kind:     by_value
      - .offset:         72
        .size:           4
        .value_kind:     by_value
      - .offset:         80
        .size:           4
        .value_kind:     hidden_block_count_x
      - .offset:         84
        .size:           4
        .value_kind:     hidden_block_count_y
      - .offset:         88
        .size:           4
        .value_kind:     hidden_block_count_z
      - .offset:         92
        .size:           2
        .value_kind:     hidden_group_size_x
      - .offset:         94
        .size:           2
        .value_kind:     hidden_group_size_y
      - .offset:         96
        .size:           2
        .value_kind:     hidden_group_size_z
      - .offset:         98
        .size:           2
        .value_kind:     hidden_remainder_x
      - .offset:         100
        .size:           2
        .value_kind:     hidden_remainder_y
      - .offset:         102
        .size:           2
        .value_kind:     hidden_remainder_z
      - .offset:         120
        .size:           8
        .value_kind:     hidden_global_offset_x
      - .offset:         128
        .size:           8
        .value_kind:     hidden_global_offset_y
      - .offset:         136
        .size:           8
        .value_kind:     hidden_global_offset_z
      - .offset:         144
        .size:           2
        .value_kind:     hidden_grid_dims
    .group_segment_fixed_size: 0
    .kernarg_segment_align: 8
    .kernarg_segment_size: 336
    .language:       OpenCL C
    .language_version:
      - 2
      - 0
    .max_flat_workgroup_size: 1024
    .name:           _ZL26rocblas_syr2k_scale_kernelIlLi128ELi8ELb0E19rocblas_complex_numIdES1_PKPS1_EvbiT_T3_T4_T5_S5_li
    .private_segment_fixed_size: 0
    .sgpr_count:     18
    .sgpr_spill_count: 0
    .symbol:         _ZL26rocblas_syr2k_scale_kernelIlLi128ELi8ELb0E19rocblas_complex_numIdES1_PKPS1_EvbiT_T3_T4_T5_S5_li.kd
    .uniform_work_group_size: 1
    .uses_dynamic_stack: false
    .vgpr_count:     10
    .vgpr_spill_count: 0
    .wavefront_size: 32
    .workgroup_processor_mode: 1
  - .args:
      - .offset:         0
        .size:           1
        .value_kind:     by_value
      - .offset:         4
        .size:           4
        .value_kind:     by_value
      - .offset:         8
        .size:           8
        .value_kind:     by_value
      - .address_space:  global
        .offset:         16
        .size:           8
        .value_kind:     global_buffer
      - .address_space:  global
        .offset:         24
        .size:           8
        .value_kind:     global_buffer
      - .offset:         32
        .size:           8
        .value_kind:     by_value
      - .offset:         40
        .size:           8
        .value_kind:     by_value
      - .address_space:  global
        .offset:         48
        .size:           8
        .value_kind:     global_buffer
      - .offset:         56
        .size:           8
        .value_kind:     by_value
      - .offset:         64
        .size:           8
        .value_kind:     by_value
      - .address_space:  global
        .offset:         72
        .size:           8
        .value_kind:     global_buffer
      - .offset:         80
        .size:           8
        .value_kind:     by_value
      - .offset:         88
        .size:           8
        .value_kind:     by_value
      - .offset:         96
        .size:           4
        .value_kind:     by_value
    .group_segment_fixed_size: 32768
    .kernarg_segment_align: 8
    .kernarg_segment_size: 100
    .language:       OpenCL C
    .language_version:
      - 2
      - 0
    .max_flat_workgroup_size: 1024
    .name:           _ZL26rocblas_syr2k_her2k_kernelIlLb0ELb0ELb0ELi32EPK19rocblas_complex_numIdEPKS3_PKPS1_EvbiT_T4_T5_S9_lSB_S9_lT6_S9_li
    .private_segment_fixed_size: 0
    .sgpr_count:     34
    .sgpr_spill_count: 0
    .symbol:         _ZL26rocblas_syr2k_her2k_kernelIlLb0ELb0ELb0ELi32EPK19rocblas_complex_numIdEPKS3_PKPS1_EvbiT_T4_T5_S9_lSB_S9_lT6_S9_li.kd
    .uniform_work_group_size: 1
    .uses_dynamic_stack: false
    .vgpr_count:     52
    .vgpr_spill_count: 0
    .wavefront_size: 32
    .workgroup_processor_mode: 1
  - .args:
      - .offset:         0
        .size:           1
        .value_kind:     by_value
      - .offset:         4
        .size:           4
        .value_kind:     by_value
      - .offset:         8
        .size:           8
        .value_kind:     by_value
      - .address_space:  global
        .offset:         16
        .size:           8
        .value_kind:     global_buffer
      - .address_space:  global
        .offset:         24
        .size:           8
        .value_kind:     global_buffer
      - .offset:         32
        .size:           8
        .value_kind:     by_value
      - .offset:         40
        .size:           8
        .value_kind:     by_value
      - .address_space:  global
        .offset:         48
        .size:           8
        .value_kind:     global_buffer
      - .offset:         56
        .size:           8
        .value_kind:     by_value
      - .offset:         64
        .size:           8
        .value_kind:     by_value
      - .address_space:  global
        .offset:         72
        .size:           8
        .value_kind:     global_buffer
      - .offset:         80
        .size:           8
        .value_kind:     by_value
      - .offset:         88
        .size:           8
        .value_kind:     by_value
      - .offset:         96
        .size:           4
        .value_kind:     by_value
    .group_segment_fixed_size: 32768
    .kernarg_segment_align: 8
    .kernarg_segment_size: 100
    .language:       OpenCL C
    .language_version:
      - 2
      - 0
    .max_flat_workgroup_size: 1024
    .name:           _ZL26rocblas_syr2k_her2k_kernelIlLb0ELb0ELb1ELi32EPK19rocblas_complex_numIdEPKS3_PKPS1_EvbiT_T4_T5_S9_lSB_S9_lT6_S9_li
    .private_segment_fixed_size: 0
    .sgpr_count:     34
    .sgpr_spill_count: 0
    .symbol:         _ZL26rocblas_syr2k_her2k_kernelIlLb0ELb0ELb1ELi32EPK19rocblas_complex_numIdEPKS3_PKPS1_EvbiT_T4_T5_S9_lSB_S9_lT6_S9_li.kd
    .uniform_work_group_size: 1
    .uses_dynamic_stack: false
    .vgpr_count:     52
    .vgpr_spill_count: 0
    .wavefront_size: 32
    .workgroup_processor_mode: 1
  - .args:
      - .offset:         0
        .size:           1
        .value_kind:     by_value
      - .offset:         4
        .size:           4
        .value_kind:     by_value
      - .offset:         8
        .size:           8
        .value_kind:     by_value
      - .offset:         16
        .size:           8
        .value_kind:     by_value
      - .address_space:  global
        .offset:         24
        .size:           8
        .value_kind:     global_buffer
      - .offset:         32
        .size:           8
        .value_kind:     by_value
      - .offset:         40
        .size:           8
        .value_kind:     by_value
      - .address_space:  global
        .offset:         48
        .size:           8
        .value_kind:     global_buffer
      - .offset:         56
        .size:           8
        .value_kind:     by_value
      - .offset:         64
        .size:           8
        .value_kind:     by_value
      - .address_space:  global
        .offset:         72
        .size:           8
        .value_kind:     global_buffer
      - .offset:         80
        .size:           8
        .value_kind:     by_value
      - .offset:         88
        .size:           8
        .value_kind:     by_value
      - .offset:         96
        .size:           4
        .value_kind:     by_value
    .group_segment_fixed_size: 16384
    .kernarg_segment_align: 8
    .kernarg_segment_size: 100
    .language:       OpenCL C
    .language_version:
      - 2
      - 0
    .max_flat_workgroup_size: 1024
    .name:           _ZL26rocblas_syr2k_her2k_kernelIlLb0ELb1ELb0ELi32E19rocblas_complex_numIfEPKPKS1_PKPS1_EvbiT_T4_T5_S9_lSB_S9_lT6_S9_li
    .private_segment_fixed_size: 0
    .sgpr_count:     31
    .sgpr_spill_count: 0
    .symbol:         _ZL26rocblas_syr2k_her2k_kernelIlLb0ELb1ELb0ELi32E19rocblas_complex_numIfEPKPKS1_PKPS1_EvbiT_T4_T5_S9_lSB_S9_lT6_S9_li.kd
    .uniform_work_group_size: 1
    .uses_dynamic_stack: false
    .vgpr_count:     110
    .vgpr_spill_count: 0
    .wavefront_size: 32
    .workgroup_processor_mode: 1
  - .args:
      - .offset:         0
        .size:           1
        .value_kind:     by_value
      - .offset:         4
        .size:           4
        .value_kind:     by_value
      - .offset:         8
        .size:           8
        .value_kind:     by_value
      - .offset:         16
        .size:           8
        .value_kind:     by_value
      - .address_space:  global
        .offset:         24
        .size:           8
        .value_kind:     global_buffer
      - .offset:         32
        .size:           8
        .value_kind:     by_value
      - .offset:         40
        .size:           8
        .value_kind:     by_value
      - .address_space:  global
        .offset:         48
        .size:           8
        .value_kind:     global_buffer
      - .offset:         56
        .size:           8
        .value_kind:     by_value
      - .offset:         64
        .size:           8
        .value_kind:     by_value
      - .address_space:  global
        .offset:         72
        .size:           8
        .value_kind:     global_buffer
      - .offset:         80
        .size:           8
        .value_kind:     by_value
      - .offset:         88
        .size:           8
        .value_kind:     by_value
      - .offset:         96
        .size:           4
        .value_kind:     by_value
    .group_segment_fixed_size: 16384
    .kernarg_segment_align: 8
    .kernarg_segment_size: 100
    .language:       OpenCL C
    .language_version:
      - 2
      - 0
    .max_flat_workgroup_size: 1024
    .name:           _ZL26rocblas_syr2k_her2k_kernelIlLb0ELb1ELb1ELi32E19rocblas_complex_numIfEPKPKS1_PKPS1_EvbiT_T4_T5_S9_lSB_S9_lT6_S9_li
    .private_segment_fixed_size: 0
    .sgpr_count:     31
    .sgpr_spill_count: 0
    .symbol:         _ZL26rocblas_syr2k_her2k_kernelIlLb0ELb1ELb1ELi32E19rocblas_complex_numIfEPKPKS1_PKPS1_EvbiT_T4_T5_S9_lSB_S9_lT6_S9_li.kd
    .uniform_work_group_size: 1
    .uses_dynamic_stack: false
    .vgpr_count:     110
    .vgpr_spill_count: 0
    .wavefront_size: 32
    .workgroup_processor_mode: 1
  - .args:
      - .offset:         0
        .size:           4
        .value_kind:     by_value
      - .offset:         8
        .size:           8
        .value_kind:     by_value
      - .address_space:  global
        .offset:         16
        .size:           8
        .value_kind:     global_buffer
      - .offset:         24
        .size:           8
        .value_kind:     by_value
      - .offset:         32
        .size:           8
        .value_kind:     by_value
      - .address_space:  global
        .offset:         40
        .size:           8
        .value_kind:     global_buffer
      - .offset:         48
        .size:           8
        .value_kind:     by_value
      - .offset:         56
        .size:           8
        .value_kind:     by_value
      - .address_space:  global
        .offset:         64
        .size:           8
        .value_kind:     global_buffer
      - .offset:         72
        .size:           8
        .value_kind:     by_value
      - .offset:         80
        .size:           8
        .value_kind:     by_value
      - .offset:         88
        .size:           4
        .value_kind:     by_value
    .group_segment_fixed_size: 4096
    .kernarg_segment_align: 8
    .kernarg_segment_size: 92
    .language:       OpenCL C
    .language_version:
      - 2
      - 0
    .max_flat_workgroup_size: 256
    .name:           _ZL37rocblas_syrkx_herkx_restricted_kernelIl19rocblas_complex_numIfELi16ELi32ELi8ELi1ELi1ELb1ELc84ELc76EKPKS1_KPS1_EviT_PT9_S7_lS9_S7_lPT10_S7_li
    .private_segment_fixed_size: 0
    .sgpr_count:     22
    .sgpr_spill_count: 0
    .symbol:         _ZL37rocblas_syrkx_herkx_restricted_kernelIl19rocblas_complex_numIfELi16ELi32ELi8ELi1ELi1ELb1ELc84ELc76EKPKS1_KPS1_EviT_PT9_S7_lS9_S7_lPT10_S7_li.kd
    .uniform_work_group_size: 1
    .uses_dynamic_stack: false
    .vgpr_count:     91
    .vgpr_spill_count: 0
    .wavefront_size: 32
    .workgroup_processor_mode: 1
  - .args:
      - .offset:         0
        .size:           4
        .value_kind:     by_value
      - .offset:         8
        .size:           8
        .value_kind:     by_value
      - .address_space:  global
        .offset:         16
        .size:           8
        .value_kind:     global_buffer
      - .offset:         24
        .size:           8
        .value_kind:     by_value
      - .offset:         32
        .size:           8
        .value_kind:     by_value
      - .address_space:  global
        .offset:         40
        .size:           8
        .value_kind:     global_buffer
      - .offset:         48
        .size:           8
        .value_kind:     by_value
      - .offset:         56
        .size:           8
        .value_kind:     by_value
      - .address_space:  global
        .offset:         64
        .size:           8
        .value_kind:     global_buffer
      - .offset:         72
        .size:           8
        .value_kind:     by_value
      - .offset:         80
        .size:           8
        .value_kind:     by_value
      - .offset:         88
        .size:           4
        .value_kind:     by_value
    .group_segment_fixed_size: 4096
    .kernarg_segment_align: 8
    .kernarg_segment_size: 92
    .language:       OpenCL C
    .language_version:
      - 2
      - 0
    .max_flat_workgroup_size: 256
    .name:           _ZL37rocblas_syrkx_herkx_restricted_kernelIl19rocblas_complex_numIfELi16ELi32ELi8ELi1ELi1ELb1ELc67ELc76EKPKS1_KPS1_EviT_PT9_S7_lS9_S7_lPT10_S7_li
    .private_segment_fixed_size: 0
    .sgpr_count:     22
    .sgpr_spill_count: 0
    .symbol:         _ZL37rocblas_syrkx_herkx_restricted_kernelIl19rocblas_complex_numIfELi16ELi32ELi8ELi1ELi1ELb1ELc67ELc76EKPKS1_KPS1_EviT_PT9_S7_lS9_S7_lPT10_S7_li.kd
    .uniform_work_group_size: 1
    .uses_dynamic_stack: false
    .vgpr_count:     91
    .vgpr_spill_count: 0
    .wavefront_size: 32
    .workgroup_processor_mode: 1
  - .args:
      - .offset:         0
        .size:           4
        .value_kind:     by_value
      - .offset:         8
        .size:           8
        .value_kind:     by_value
      - .address_space:  global
        .offset:         16
        .size:           8
        .value_kind:     global_buffer
      - .offset:         24
        .size:           8
        .value_kind:     by_value
      - .offset:         32
        .size:           8
        .value_kind:     by_value
      - .address_space:  global
        .offset:         40
        .size:           8
        .value_kind:     global_buffer
      - .offset:         48
        .size:           8
        .value_kind:     by_value
      - .offset:         56
        .size:           8
        .value_kind:     by_value
      - .address_space:  global
        .offset:         64
        .size:           8
        .value_kind:     global_buffer
      - .offset:         72
        .size:           8
        .value_kind:     by_value
      - .offset:         80
        .size:           8
        .value_kind:     by_value
      - .offset:         88
        .size:           4
        .value_kind:     by_value
    .group_segment_fixed_size: 4096
    .kernarg_segment_align: 8
    .kernarg_segment_size: 92
    .language:       OpenCL C
    .language_version:
      - 2
      - 0
    .max_flat_workgroup_size: 256
    .name:           _ZL37rocblas_syrkx_herkx_restricted_kernelIl19rocblas_complex_numIfELi16ELi32ELi8ELi1ELi1ELb1ELc78ELc76EKPKS1_KPS1_EviT_PT9_S7_lS9_S7_lPT10_S7_li
    .private_segment_fixed_size: 0
    .sgpr_count:     22
    .sgpr_spill_count: 0
    .symbol:         _ZL37rocblas_syrkx_herkx_restricted_kernelIl19rocblas_complex_numIfELi16ELi32ELi8ELi1ELi1ELb1ELc78ELc76EKPKS1_KPS1_EviT_PT9_S7_lS9_S7_lPT10_S7_li.kd
    .uniform_work_group_size: 1
    .uses_dynamic_stack: false
    .vgpr_count:     92
    .vgpr_spill_count: 0
    .wavefront_size: 32
    .workgroup_processor_mode: 1
  - .args:
      - .offset:         0
        .size:           4
        .value_kind:     by_value
      - .offset:         8
        .size:           8
        .value_kind:     by_value
      - .address_space:  global
        .offset:         16
        .size:           8
        .value_kind:     global_buffer
      - .offset:         24
        .size:           8
        .value_kind:     by_value
      - .offset:         32
        .size:           8
        .value_kind:     by_value
      - .address_space:  global
        .offset:         40
        .size:           8
        .value_kind:     global_buffer
      - .offset:         48
        .size:           8
        .value_kind:     by_value
      - .offset:         56
        .size:           8
        .value_kind:     by_value
      - .address_space:  global
        .offset:         64
        .size:           8
        .value_kind:     global_buffer
      - .offset:         72
        .size:           8
        .value_kind:     by_value
      - .offset:         80
        .size:           8
        .value_kind:     by_value
      - .offset:         88
        .size:           4
        .value_kind:     by_value
    .group_segment_fixed_size: 4096
    .kernarg_segment_align: 8
    .kernarg_segment_size: 92
    .language:       OpenCL C
    .language_version:
      - 2
      - 0
    .max_flat_workgroup_size: 256
    .name:           _ZL37rocblas_syrkx_herkx_restricted_kernelIl19rocblas_complex_numIfELi16ELi32ELi8ELi1ELi1ELb1ELc84ELc85EKPKS1_KPS1_EviT_PT9_S7_lS9_S7_lPT10_S7_li
    .private_segment_fixed_size: 0
    .sgpr_count:     22
    .sgpr_spill_count: 0
    .symbol:         _ZL37rocblas_syrkx_herkx_restricted_kernelIl19rocblas_complex_numIfELi16ELi32ELi8ELi1ELi1ELb1ELc84ELc85EKPKS1_KPS1_EviT_PT9_S7_lS9_S7_lPT10_S7_li.kd
    .uniform_work_group_size: 1
    .uses_dynamic_stack: false
    .vgpr_count:     91
    .vgpr_spill_count: 0
    .wavefront_size: 32
    .workgroup_processor_mode: 1
  - .args:
      - .offset:         0
        .size:           4
        .value_kind:     by_value
      - .offset:         8
        .size:           8
        .value_kind:     by_value
      - .address_space:  global
        .offset:         16
        .size:           8
        .value_kind:     global_buffer
      - .offset:         24
        .size:           8
        .value_kind:     by_value
      - .offset:         32
        .size:           8
        .value_kind:     by_value
      - .address_space:  global
        .offset:         40
        .size:           8
        .value_kind:     global_buffer
      - .offset:         48
        .size:           8
        .value_kind:     by_value
      - .offset:         56
        .size:           8
        .value_kind:     by_value
      - .address_space:  global
        .offset:         64
        .size:           8
        .value_kind:     global_buffer
      - .offset:         72
        .size:           8
        .value_kind:     by_value
      - .offset:         80
        .size:           8
        .value_kind:     by_value
      - .offset:         88
        .size:           4
        .value_kind:     by_value
    .group_segment_fixed_size: 4096
    .kernarg_segment_align: 8
    .kernarg_segment_size: 92
    .language:       OpenCL C
    .language_version:
      - 2
      - 0
    .max_flat_workgroup_size: 256
    .name:           _ZL37rocblas_syrkx_herkx_restricted_kernelIl19rocblas_complex_numIfELi16ELi32ELi8ELi1ELi1ELb1ELc67ELc85EKPKS1_KPS1_EviT_PT9_S7_lS9_S7_lPT10_S7_li
    .private_segment_fixed_size: 0
    .sgpr_count:     22
    .sgpr_spill_count: 0
    .symbol:         _ZL37rocblas_syrkx_herkx_restricted_kernelIl19rocblas_complex_numIfELi16ELi32ELi8ELi1ELi1ELb1ELc67ELc85EKPKS1_KPS1_EviT_PT9_S7_lS9_S7_lPT10_S7_li.kd
    .uniform_work_group_size: 1
    .uses_dynamic_stack: false
    .vgpr_count:     91
    .vgpr_spill_count: 0
    .wavefront_size: 32
    .workgroup_processor_mode: 1
  - .args:
      - .offset:         0
        .size:           4
        .value_kind:     by_value
      - .offset:         8
        .size:           8
        .value_kind:     by_value
      - .address_space:  global
        .offset:         16
        .size:           8
        .value_kind:     global_buffer
      - .offset:         24
        .size:           8
        .value_kind:     by_value
      - .offset:         32
        .size:           8
        .value_kind:     by_value
      - .address_space:  global
        .offset:         40
        .size:           8
        .value_kind:     global_buffer
      - .offset:         48
        .size:           8
        .value_kind:     by_value
      - .offset:         56
        .size:           8
        .value_kind:     by_value
      - .address_space:  global
        .offset:         64
        .size:           8
        .value_kind:     global_buffer
      - .offset:         72
        .size:           8
        .value_kind:     by_value
      - .offset:         80
        .size:           8
        .value_kind:     by_value
      - .offset:         88
        .size:           4
        .value_kind:     by_value
    .group_segment_fixed_size: 4096
    .kernarg_segment_align: 8
    .kernarg_segment_size: 92
    .language:       OpenCL C
    .language_version:
      - 2
      - 0
    .max_flat_workgroup_size: 256
    .name:           _ZL37rocblas_syrkx_herkx_restricted_kernelIl19rocblas_complex_numIfELi16ELi32ELi8ELi1ELi1ELb1ELc78ELc85EKPKS1_KPS1_EviT_PT9_S7_lS9_S7_lPT10_S7_li
    .private_segment_fixed_size: 0
    .sgpr_count:     22
    .sgpr_spill_count: 0
    .symbol:         _ZL37rocblas_syrkx_herkx_restricted_kernelIl19rocblas_complex_numIfELi16ELi32ELi8ELi1ELi1ELb1ELc78ELc85EKPKS1_KPS1_EviT_PT9_S7_lS9_S7_lPT10_S7_li.kd
    .uniform_work_group_size: 1
    .uses_dynamic_stack: false
    .vgpr_count:     92
    .vgpr_spill_count: 0
    .wavefront_size: 32
    .workgroup_processor_mode: 1
  - .args:
      - .offset:         0
        .size:           4
        .value_kind:     by_value
      - .offset:         8
        .size:           8
        .value_kind:     by_value
      - .address_space:  global
        .offset:         16
        .size:           8
        .value_kind:     global_buffer
      - .offset:         24
        .size:           8
        .value_kind:     by_value
      - .offset:         32
        .size:           8
        .value_kind:     by_value
      - .address_space:  global
        .offset:         40
        .size:           8
        .value_kind:     global_buffer
      - .offset:         48
        .size:           8
        .value_kind:     by_value
      - .offset:         56
        .size:           8
        .value_kind:     by_value
      - .address_space:  global
        .offset:         64
        .size:           8
        .value_kind:     global_buffer
      - .offset:         72
        .size:           8
        .value_kind:     by_value
      - .offset:         80
        .size:           8
        .value_kind:     by_value
      - .offset:         88
        .size:           4
        .value_kind:     by_value
    .group_segment_fixed_size: 4096
    .kernarg_segment_align: 8
    .kernarg_segment_size: 92
    .language:       OpenCL C
    .language_version:
      - 2
      - 0
    .max_flat_workgroup_size: 256
    .name:           _ZL37rocblas_syrkx_herkx_restricted_kernelIl19rocblas_complex_numIfELi16ELi32ELi8ELi1ELin1ELb1ELc84ELc76EKPKS1_KPS1_EviT_PT9_S7_lS9_S7_lPT10_S7_li
    .private_segment_fixed_size: 0
    .sgpr_count:     22
    .sgpr_spill_count: 0
    .symbol:         _ZL37rocblas_syrkx_herkx_restricted_kernelIl19rocblas_complex_numIfELi16ELi32ELi8ELi1ELin1ELb1ELc84ELc76EKPKS1_KPS1_EviT_PT9_S7_lS9_S7_lPT10_S7_li.kd
    .uniform_work_group_size: 1
    .uses_dynamic_stack: false
    .vgpr_count:     91
    .vgpr_spill_count: 0
    .wavefront_size: 32
    .workgroup_processor_mode: 1
  - .args:
      - .offset:         0
        .size:           4
        .value_kind:     by_value
      - .offset:         8
        .size:           8
        .value_kind:     by_value
      - .address_space:  global
        .offset:         16
        .size:           8
        .value_kind:     global_buffer
      - .offset:         24
        .size:           8
        .value_kind:     by_value
      - .offset:         32
        .size:           8
        .value_kind:     by_value
      - .address_space:  global
        .offset:         40
        .size:           8
        .value_kind:     global_buffer
      - .offset:         48
        .size:           8
        .value_kind:     by_value
      - .offset:         56
        .size:           8
        .value_kind:     by_value
      - .address_space:  global
        .offset:         64
        .size:           8
        .value_kind:     global_buffer
      - .offset:         72
        .size:           8
        .value_kind:     by_value
      - .offset:         80
        .size:           8
        .value_kind:     by_value
      - .offset:         88
        .size:           4
        .value_kind:     by_value
    .group_segment_fixed_size: 4096
    .kernarg_segment_align: 8
    .kernarg_segment_size: 92
    .language:       OpenCL C
    .language_version:
      - 2
      - 0
    .max_flat_workgroup_size: 256
    .name:           _ZL37rocblas_syrkx_herkx_restricted_kernelIl19rocblas_complex_numIfELi16ELi32ELi8ELi1ELin1ELb1ELc67ELc76EKPKS1_KPS1_EviT_PT9_S7_lS9_S7_lPT10_S7_li
    .private_segment_fixed_size: 0
    .sgpr_count:     22
    .sgpr_spill_count: 0
    .symbol:         _ZL37rocblas_syrkx_herkx_restricted_kernelIl19rocblas_complex_numIfELi16ELi32ELi8ELi1ELin1ELb1ELc67ELc76EKPKS1_KPS1_EviT_PT9_S7_lS9_S7_lPT10_S7_li.kd
    .uniform_work_group_size: 1
    .uses_dynamic_stack: false
    .vgpr_count:     91
    .vgpr_spill_count: 0
    .wavefront_size: 32
    .workgroup_processor_mode: 1
  - .args:
      - .offset:         0
        .size:           4
        .value_kind:     by_value
      - .offset:         8
        .size:           8
        .value_kind:     by_value
      - .address_space:  global
        .offset:         16
        .size:           8
        .value_kind:     global_buffer
      - .offset:         24
        .size:           8
        .value_kind:     by_value
      - .offset:         32
        .size:           8
        .value_kind:     by_value
      - .address_space:  global
        .offset:         40
        .size:           8
        .value_kind:     global_buffer
      - .offset:         48
        .size:           8
        .value_kind:     by_value
      - .offset:         56
        .size:           8
        .value_kind:     by_value
      - .address_space:  global
        .offset:         64
        .size:           8
        .value_kind:     global_buffer
      - .offset:         72
        .size:           8
        .value_kind:     by_value
      - .offset:         80
        .size:           8
        .value_kind:     by_value
      - .offset:         88
        .size:           4
        .value_kind:     by_value
    .group_segment_fixed_size: 4096
    .kernarg_segment_align: 8
    .kernarg_segment_size: 92
    .language:       OpenCL C
    .language_version:
      - 2
      - 0
    .max_flat_workgroup_size: 256
    .name:           _ZL37rocblas_syrkx_herkx_restricted_kernelIl19rocblas_complex_numIfELi16ELi32ELi8ELi1ELin1ELb1ELc78ELc76EKPKS1_KPS1_EviT_PT9_S7_lS9_S7_lPT10_S7_li
    .private_segment_fixed_size: 0
    .sgpr_count:     22
    .sgpr_spill_count: 0
    .symbol:         _ZL37rocblas_syrkx_herkx_restricted_kernelIl19rocblas_complex_numIfELi16ELi32ELi8ELi1ELin1ELb1ELc78ELc76EKPKS1_KPS1_EviT_PT9_S7_lS9_S7_lPT10_S7_li.kd
    .uniform_work_group_size: 1
    .uses_dynamic_stack: false
    .vgpr_count:     92
    .vgpr_spill_count: 0
    .wavefront_size: 32
    .workgroup_processor_mode: 1
  - .args:
      - .offset:         0
        .size:           4
        .value_kind:     by_value
      - .offset:         8
        .size:           8
        .value_kind:     by_value
      - .address_space:  global
        .offset:         16
        .size:           8
        .value_kind:     global_buffer
      - .offset:         24
        .size:           8
        .value_kind:     by_value
      - .offset:         32
        .size:           8
        .value_kind:     by_value
      - .address_space:  global
        .offset:         40
        .size:           8
        .value_kind:     global_buffer
      - .offset:         48
        .size:           8
        .value_kind:     by_value
      - .offset:         56
        .size:           8
        .value_kind:     by_value
      - .address_space:  global
        .offset:         64
        .size:           8
        .value_kind:     global_buffer
      - .offset:         72
        .size:           8
        .value_kind:     by_value
      - .offset:         80
        .size:           8
        .value_kind:     by_value
      - .offset:         88
        .size:           4
        .value_kind:     by_value
    .group_segment_fixed_size: 4096
    .kernarg_segment_align: 8
    .kernarg_segment_size: 92
    .language:       OpenCL C
    .language_version:
      - 2
      - 0
    .max_flat_workgroup_size: 256
    .name:           _ZL37rocblas_syrkx_herkx_restricted_kernelIl19rocblas_complex_numIfELi16ELi32ELi8ELi1ELin1ELb1ELc84ELc85EKPKS1_KPS1_EviT_PT9_S7_lS9_S7_lPT10_S7_li
    .private_segment_fixed_size: 0
    .sgpr_count:     22
    .sgpr_spill_count: 0
    .symbol:         _ZL37rocblas_syrkx_herkx_restricted_kernelIl19rocblas_complex_numIfELi16ELi32ELi8ELi1ELin1ELb1ELc84ELc85EKPKS1_KPS1_EviT_PT9_S7_lS9_S7_lPT10_S7_li.kd
    .uniform_work_group_size: 1
    .uses_dynamic_stack: false
    .vgpr_count:     91
    .vgpr_spill_count: 0
    .wavefront_size: 32
    .workgroup_processor_mode: 1
  - .args:
      - .offset:         0
        .size:           4
        .value_kind:     by_value
      - .offset:         8
        .size:           8
        .value_kind:     by_value
      - .address_space:  global
        .offset:         16
        .size:           8
        .value_kind:     global_buffer
      - .offset:         24
        .size:           8
        .value_kind:     by_value
      - .offset:         32
        .size:           8
        .value_kind:     by_value
      - .address_space:  global
        .offset:         40
        .size:           8
        .value_kind:     global_buffer
      - .offset:         48
        .size:           8
        .value_kind:     by_value
      - .offset:         56
        .size:           8
        .value_kind:     by_value
      - .address_space:  global
        .offset:         64
        .size:           8
        .value_kind:     global_buffer
      - .offset:         72
        .size:           8
        .value_kind:     by_value
      - .offset:         80
        .size:           8
        .value_kind:     by_value
      - .offset:         88
        .size:           4
        .value_kind:     by_value
    .group_segment_fixed_size: 4096
    .kernarg_segment_align: 8
    .kernarg_segment_size: 92
    .language:       OpenCL C
    .language_version:
      - 2
      - 0
    .max_flat_workgroup_size: 256
    .name:           _ZL37rocblas_syrkx_herkx_restricted_kernelIl19rocblas_complex_numIfELi16ELi32ELi8ELi1ELin1ELb1ELc67ELc85EKPKS1_KPS1_EviT_PT9_S7_lS9_S7_lPT10_S7_li
    .private_segment_fixed_size: 0
    .sgpr_count:     22
    .sgpr_spill_count: 0
    .symbol:         _ZL37rocblas_syrkx_herkx_restricted_kernelIl19rocblas_complex_numIfELi16ELi32ELi8ELi1ELin1ELb1ELc67ELc85EKPKS1_KPS1_EviT_PT9_S7_lS9_S7_lPT10_S7_li.kd
    .uniform_work_group_size: 1
    .uses_dynamic_stack: false
    .vgpr_count:     91
    .vgpr_spill_count: 0
    .wavefront_size: 32
    .workgroup_processor_mode: 1
  - .args:
      - .offset:         0
        .size:           4
        .value_kind:     by_value
      - .offset:         8
        .size:           8
        .value_kind:     by_value
      - .address_space:  global
        .offset:         16
        .size:           8
        .value_kind:     global_buffer
      - .offset:         24
        .size:           8
        .value_kind:     by_value
      - .offset:         32
        .size:           8
        .value_kind:     by_value
      - .address_space:  global
        .offset:         40
        .size:           8
        .value_kind:     global_buffer
      - .offset:         48
        .size:           8
        .value_kind:     by_value
      - .offset:         56
        .size:           8
        .value_kind:     by_value
      - .address_space:  global
        .offset:         64
        .size:           8
        .value_kind:     global_buffer
      - .offset:         72
        .size:           8
        .value_kind:     by_value
      - .offset:         80
        .size:           8
        .value_kind:     by_value
      - .offset:         88
        .size:           4
        .value_kind:     by_value
    .group_segment_fixed_size: 4096
    .kernarg_segment_align: 8
    .kernarg_segment_size: 92
    .language:       OpenCL C
    .language_version:
      - 2
      - 0
    .max_flat_workgroup_size: 256
    .name:           _ZL37rocblas_syrkx_herkx_restricted_kernelIl19rocblas_complex_numIfELi16ELi32ELi8ELi1ELin1ELb1ELc78ELc85EKPKS1_KPS1_EviT_PT9_S7_lS9_S7_lPT10_S7_li
    .private_segment_fixed_size: 0
    .sgpr_count:     22
    .sgpr_spill_count: 0
    .symbol:         _ZL37rocblas_syrkx_herkx_restricted_kernelIl19rocblas_complex_numIfELi16ELi32ELi8ELi1ELin1ELb1ELc78ELc85EKPKS1_KPS1_EviT_PT9_S7_lS9_S7_lPT10_S7_li.kd
    .uniform_work_group_size: 1
    .uses_dynamic_stack: false
    .vgpr_count:     92
    .vgpr_spill_count: 0
    .wavefront_size: 32
    .workgroup_processor_mode: 1
  - .args:
      - .offset:         0
        .size:           4
        .value_kind:     by_value
      - .offset:         8
        .size:           8
        .value_kind:     by_value
      - .address_space:  global
        .offset:         16
        .size:           8
        .value_kind:     global_buffer
      - .offset:         24
        .size:           8
        .value_kind:     by_value
      - .offset:         32
        .size:           8
        .value_kind:     by_value
      - .address_space:  global
        .offset:         40
        .size:           8
        .value_kind:     global_buffer
      - .offset:         48
        .size:           8
        .value_kind:     by_value
      - .offset:         56
        .size:           8
        .value_kind:     by_value
      - .address_space:  global
        .offset:         64
        .size:           8
        .value_kind:     global_buffer
      - .offset:         72
        .size:           8
        .value_kind:     by_value
      - .offset:         80
        .size:           8
        .value_kind:     by_value
      - .offset:         88
        .size:           4
        .value_kind:     by_value
    .group_segment_fixed_size: 4096
    .kernarg_segment_align: 8
    .kernarg_segment_size: 92
    .language:       OpenCL C
    .language_version:
      - 2
      - 0
    .max_flat_workgroup_size: 256
    .name:           _ZL37rocblas_syrkx_herkx_restricted_kernelIl19rocblas_complex_numIfELi16ELi32ELi8ELi1ELi0ELb1ELc84ELc76EKPKS1_KPS1_EviT_PT9_S7_lS9_S7_lPT10_S7_li
    .private_segment_fixed_size: 0
    .sgpr_count:     22
    .sgpr_spill_count: 0
    .symbol:         _ZL37rocblas_syrkx_herkx_restricted_kernelIl19rocblas_complex_numIfELi16ELi32ELi8ELi1ELi0ELb1ELc84ELc76EKPKS1_KPS1_EviT_PT9_S7_lS9_S7_lPT10_S7_li.kd
    .uniform_work_group_size: 1
    .uses_dynamic_stack: false
    .vgpr_count:     88
    .vgpr_spill_count: 0
    .wavefront_size: 32
    .workgroup_processor_mode: 1
  - .args:
      - .offset:         0
        .size:           4
        .value_kind:     by_value
      - .offset:         8
        .size:           8
        .value_kind:     by_value
      - .address_space:  global
        .offset:         16
        .size:           8
        .value_kind:     global_buffer
      - .offset:         24
        .size:           8
        .value_kind:     by_value
      - .offset:         32
        .size:           8
        .value_kind:     by_value
      - .address_space:  global
        .offset:         40
        .size:           8
        .value_kind:     global_buffer
      - .offset:         48
        .size:           8
        .value_kind:     by_value
      - .offset:         56
        .size:           8
        .value_kind:     by_value
      - .address_space:  global
        .offset:         64
        .size:           8
        .value_kind:     global_buffer
      - .offset:         72
        .size:           8
        .value_kind:     by_value
      - .offset:         80
        .size:           8
        .value_kind:     by_value
      - .offset:         88
        .size:           4
        .value_kind:     by_value
    .group_segment_fixed_size: 4096
    .kernarg_segment_align: 8
    .kernarg_segment_size: 92
    .language:       OpenCL C
    .language_version:
      - 2
      - 0
    .max_flat_workgroup_size: 256
    .name:           _ZL37rocblas_syrkx_herkx_restricted_kernelIl19rocblas_complex_numIfELi16ELi32ELi8ELi1ELi0ELb1ELc67ELc76EKPKS1_KPS1_EviT_PT9_S7_lS9_S7_lPT10_S7_li
    .private_segment_fixed_size: 0
    .sgpr_count:     22
    .sgpr_spill_count: 0
    .symbol:         _ZL37rocblas_syrkx_herkx_restricted_kernelIl19rocblas_complex_numIfELi16ELi32ELi8ELi1ELi0ELb1ELc67ELc76EKPKS1_KPS1_EviT_PT9_S7_lS9_S7_lPT10_S7_li.kd
    .uniform_work_group_size: 1
    .uses_dynamic_stack: false
    .vgpr_count:     88
    .vgpr_spill_count: 0
    .wavefront_size: 32
    .workgroup_processor_mode: 1
  - .args:
      - .offset:         0
        .size:           4
        .value_kind:     by_value
      - .offset:         8
        .size:           8
        .value_kind:     by_value
      - .address_space:  global
        .offset:         16
        .size:           8
        .value_kind:     global_buffer
      - .offset:         24
        .size:           8
        .value_kind:     by_value
      - .offset:         32
        .size:           8
        .value_kind:     by_value
      - .address_space:  global
        .offset:         40
        .size:           8
        .value_kind:     global_buffer
      - .offset:         48
        .size:           8
        .value_kind:     by_value
      - .offset:         56
        .size:           8
        .value_kind:     by_value
      - .address_space:  global
        .offset:         64
        .size:           8
        .value_kind:     global_buffer
      - .offset:         72
        .size:           8
        .value_kind:     by_value
      - .offset:         80
        .size:           8
        .value_kind:     by_value
      - .offset:         88
        .size:           4
        .value_kind:     by_value
    .group_segment_fixed_size: 4096
    .kernarg_segment_align: 8
    .kernarg_segment_size: 92
    .language:       OpenCL C
    .language_version:
      - 2
      - 0
    .max_flat_workgroup_size: 256
    .name:           _ZL37rocblas_syrkx_herkx_restricted_kernelIl19rocblas_complex_numIfELi16ELi32ELi8ELi1ELi0ELb1ELc78ELc76EKPKS1_KPS1_EviT_PT9_S7_lS9_S7_lPT10_S7_li
    .private_segment_fixed_size: 0
    .sgpr_count:     22
    .sgpr_spill_count: 0
    .symbol:         _ZL37rocblas_syrkx_herkx_restricted_kernelIl19rocblas_complex_numIfELi16ELi32ELi8ELi1ELi0ELb1ELc78ELc76EKPKS1_KPS1_EviT_PT9_S7_lS9_S7_lPT10_S7_li.kd
    .uniform_work_group_size: 1
    .uses_dynamic_stack: false
    .vgpr_count:     88
    .vgpr_spill_count: 0
    .wavefront_size: 32
    .workgroup_processor_mode: 1
  - .args:
      - .offset:         0
        .size:           4
        .value_kind:     by_value
      - .offset:         8
        .size:           8
        .value_kind:     by_value
      - .address_space:  global
        .offset:         16
        .size:           8
        .value_kind:     global_buffer
      - .offset:         24
        .size:           8
        .value_kind:     by_value
      - .offset:         32
        .size:           8
        .value_kind:     by_value
      - .address_space:  global
        .offset:         40
        .size:           8
        .value_kind:     global_buffer
      - .offset:         48
        .size:           8
        .value_kind:     by_value
      - .offset:         56
        .size:           8
        .value_kind:     by_value
      - .address_space:  global
        .offset:         64
        .size:           8
        .value_kind:     global_buffer
      - .offset:         72
        .size:           8
        .value_kind:     by_value
      - .offset:         80
        .size:           8
        .value_kind:     by_value
      - .offset:         88
        .size:           4
        .value_kind:     by_value
    .group_segment_fixed_size: 4096
    .kernarg_segment_align: 8
    .kernarg_segment_size: 92
    .language:       OpenCL C
    .language_version:
      - 2
      - 0
    .max_flat_workgroup_size: 256
    .name:           _ZL37rocblas_syrkx_herkx_restricted_kernelIl19rocblas_complex_numIfELi16ELi32ELi8ELi1ELi0ELb1ELc84ELc85EKPKS1_KPS1_EviT_PT9_S7_lS9_S7_lPT10_S7_li
    .private_segment_fixed_size: 0
    .sgpr_count:     22
    .sgpr_spill_count: 0
    .symbol:         _ZL37rocblas_syrkx_herkx_restricted_kernelIl19rocblas_complex_numIfELi16ELi32ELi8ELi1ELi0ELb1ELc84ELc85EKPKS1_KPS1_EviT_PT9_S7_lS9_S7_lPT10_S7_li.kd
    .uniform_work_group_size: 1
    .uses_dynamic_stack: false
    .vgpr_count:     88
    .vgpr_spill_count: 0
    .wavefront_size: 32
    .workgroup_processor_mode: 1
  - .args:
      - .offset:         0
        .size:           4
        .value_kind:     by_value
      - .offset:         8
        .size:           8
        .value_kind:     by_value
      - .address_space:  global
        .offset:         16
        .size:           8
        .value_kind:     global_buffer
      - .offset:         24
        .size:           8
        .value_kind:     by_value
      - .offset:         32
        .size:           8
        .value_kind:     by_value
      - .address_space:  global
        .offset:         40
        .size:           8
        .value_kind:     global_buffer
      - .offset:         48
        .size:           8
        .value_kind:     by_value
      - .offset:         56
        .size:           8
        .value_kind:     by_value
      - .address_space:  global
        .offset:         64
        .size:           8
        .value_kind:     global_buffer
      - .offset:         72
        .size:           8
        .value_kind:     by_value
      - .offset:         80
        .size:           8
        .value_kind:     by_value
      - .offset:         88
        .size:           4
        .value_kind:     by_value
    .group_segment_fixed_size: 4096
    .kernarg_segment_align: 8
    .kernarg_segment_size: 92
    .language:       OpenCL C
    .language_version:
      - 2
      - 0
    .max_flat_workgroup_size: 256
    .name:           _ZL37rocblas_syrkx_herkx_restricted_kernelIl19rocblas_complex_numIfELi16ELi32ELi8ELi1ELi0ELb1ELc67ELc85EKPKS1_KPS1_EviT_PT9_S7_lS9_S7_lPT10_S7_li
    .private_segment_fixed_size: 0
    .sgpr_count:     22
    .sgpr_spill_count: 0
    .symbol:         _ZL37rocblas_syrkx_herkx_restricted_kernelIl19rocblas_complex_numIfELi16ELi32ELi8ELi1ELi0ELb1ELc67ELc85EKPKS1_KPS1_EviT_PT9_S7_lS9_S7_lPT10_S7_li.kd
    .uniform_work_group_size: 1
    .uses_dynamic_stack: false
    .vgpr_count:     88
    .vgpr_spill_count: 0
    .wavefront_size: 32
    .workgroup_processor_mode: 1
  - .args:
      - .offset:         0
        .size:           4
        .value_kind:     by_value
      - .offset:         8
        .size:           8
        .value_kind:     by_value
      - .address_space:  global
        .offset:         16
        .size:           8
        .value_kind:     global_buffer
      - .offset:         24
        .size:           8
        .value_kind:     by_value
      - .offset:         32
        .size:           8
        .value_kind:     by_value
      - .address_space:  global
        .offset:         40
        .size:           8
        .value_kind:     global_buffer
      - .offset:         48
        .size:           8
        .value_kind:     by_value
      - .offset:         56
        .size:           8
        .value_kind:     by_value
      - .address_space:  global
        .offset:         64
        .size:           8
        .value_kind:     global_buffer
      - .offset:         72
        .size:           8
        .value_kind:     by_value
      - .offset:         80
        .size:           8
        .value_kind:     by_value
      - .offset:         88
        .size:           4
        .value_kind:     by_value
    .group_segment_fixed_size: 4096
    .kernarg_segment_align: 8
    .kernarg_segment_size: 92
    .language:       OpenCL C
    .language_version:
      - 2
      - 0
    .max_flat_workgroup_size: 256
    .name:           _ZL37rocblas_syrkx_herkx_restricted_kernelIl19rocblas_complex_numIfELi16ELi32ELi8ELi1ELi0ELb1ELc78ELc85EKPKS1_KPS1_EviT_PT9_S7_lS9_S7_lPT10_S7_li
    .private_segment_fixed_size: 0
    .sgpr_count:     22
    .sgpr_spill_count: 0
    .symbol:         _ZL37rocblas_syrkx_herkx_restricted_kernelIl19rocblas_complex_numIfELi16ELi32ELi8ELi1ELi0ELb1ELc78ELc85EKPKS1_KPS1_EviT_PT9_S7_lS9_S7_lPT10_S7_li.kd
    .uniform_work_group_size: 1
    .uses_dynamic_stack: false
    .vgpr_count:     88
    .vgpr_spill_count: 0
    .wavefront_size: 32
    .workgroup_processor_mode: 1
  - .args:
      - .offset:         0
        .size:           4
        .value_kind:     by_value
      - .offset:         8
        .size:           8
        .value_kind:     by_value
      - .address_space:  global
        .offset:         16
        .size:           8
        .value_kind:     global_buffer
      - .offset:         24
        .size:           8
        .value_kind:     by_value
      - .offset:         32
        .size:           8
        .value_kind:     by_value
      - .address_space:  global
        .offset:         40
        .size:           8
        .value_kind:     global_buffer
      - .offset:         48
        .size:           8
        .value_kind:     by_value
      - .offset:         56
        .size:           8
        .value_kind:     by_value
      - .address_space:  global
        .offset:         64
        .size:           8
        .value_kind:     global_buffer
      - .offset:         72
        .size:           8
        .value_kind:     by_value
      - .offset:         80
        .size:           8
        .value_kind:     by_value
      - .offset:         88
        .size:           4
        .value_kind:     by_value
    .group_segment_fixed_size: 4096
    .kernarg_segment_align: 8
    .kernarg_segment_size: 92
    .language:       OpenCL C
    .language_version:
      - 2
      - 0
    .max_flat_workgroup_size: 256
    .name:           _ZL37rocblas_syrkx_herkx_restricted_kernelIl19rocblas_complex_numIfELi16ELi32ELi8ELin1ELi0ELb1ELc84ELc76EKPKS1_KPS1_EviT_PT9_S7_lS9_S7_lPT10_S7_li
    .private_segment_fixed_size: 0
    .sgpr_count:     22
    .sgpr_spill_count: 0
    .symbol:         _ZL37rocblas_syrkx_herkx_restricted_kernelIl19rocblas_complex_numIfELi16ELi32ELi8ELin1ELi0ELb1ELc84ELc76EKPKS1_KPS1_EviT_PT9_S7_lS9_S7_lPT10_S7_li.kd
    .uniform_work_group_size: 1
    .uses_dynamic_stack: false
    .vgpr_count:     91
    .vgpr_spill_count: 0
    .wavefront_size: 32
    .workgroup_processor_mode: 1
  - .args:
      - .offset:         0
        .size:           4
        .value_kind:     by_value
      - .offset:         8
        .size:           8
        .value_kind:     by_value
      - .address_space:  global
        .offset:         16
        .size:           8
        .value_kind:     global_buffer
      - .offset:         24
        .size:           8
        .value_kind:     by_value
      - .offset:         32
        .size:           8
        .value_kind:     by_value
      - .address_space:  global
        .offset:         40
        .size:           8
        .value_kind:     global_buffer
      - .offset:         48
        .size:           8
        .value_kind:     by_value
      - .offset:         56
        .size:           8
        .value_kind:     by_value
      - .address_space:  global
        .offset:         64
        .size:           8
        .value_kind:     global_buffer
      - .offset:         72
        .size:           8
        .value_kind:     by_value
      - .offset:         80
        .size:           8
        .value_kind:     by_value
      - .offset:         88
        .size:           4
        .value_kind:     by_value
    .group_segment_fixed_size: 4096
    .kernarg_segment_align: 8
    .kernarg_segment_size: 92
    .language:       OpenCL C
    .language_version:
      - 2
      - 0
    .max_flat_workgroup_size: 256
    .name:           _ZL37rocblas_syrkx_herkx_restricted_kernelIl19rocblas_complex_numIfELi16ELi32ELi8ELin1ELi0ELb1ELc67ELc76EKPKS1_KPS1_EviT_PT9_S7_lS9_S7_lPT10_S7_li
    .private_segment_fixed_size: 0
    .sgpr_count:     22
    .sgpr_spill_count: 0
    .symbol:         _ZL37rocblas_syrkx_herkx_restricted_kernelIl19rocblas_complex_numIfELi16ELi32ELi8ELin1ELi0ELb1ELc67ELc76EKPKS1_KPS1_EviT_PT9_S7_lS9_S7_lPT10_S7_li.kd
    .uniform_work_group_size: 1
    .uses_dynamic_stack: false
    .vgpr_count:     91
    .vgpr_spill_count: 0
    .wavefront_size: 32
    .workgroup_processor_mode: 1
  - .args:
      - .offset:         0
        .size:           4
        .value_kind:     by_value
      - .offset:         8
        .size:           8
        .value_kind:     by_value
      - .address_space:  global
        .offset:         16
        .size:           8
        .value_kind:     global_buffer
      - .offset:         24
        .size:           8
        .value_kind:     by_value
      - .offset:         32
        .size:           8
        .value_kind:     by_value
      - .address_space:  global
        .offset:         40
        .size:           8
        .value_kind:     global_buffer
      - .offset:         48
        .size:           8
        .value_kind:     by_value
      - .offset:         56
        .size:           8
        .value_kind:     by_value
      - .address_space:  global
        .offset:         64
        .size:           8
        .value_kind:     global_buffer
      - .offset:         72
        .size:           8
        .value_kind:     by_value
      - .offset:         80
        .size:           8
        .value_kind:     by_value
      - .offset:         88
        .size:           4
        .value_kind:     by_value
    .group_segment_fixed_size: 4096
    .kernarg_segment_align: 8
    .kernarg_segment_size: 92
    .language:       OpenCL C
    .language_version:
      - 2
      - 0
    .max_flat_workgroup_size: 256
    .name:           _ZL37rocblas_syrkx_herkx_restricted_kernelIl19rocblas_complex_numIfELi16ELi32ELi8ELin1ELi0ELb1ELc78ELc76EKPKS1_KPS1_EviT_PT9_S7_lS9_S7_lPT10_S7_li
    .private_segment_fixed_size: 0
    .sgpr_count:     22
    .sgpr_spill_count: 0
    .symbol:         _ZL37rocblas_syrkx_herkx_restricted_kernelIl19rocblas_complex_numIfELi16ELi32ELi8ELin1ELi0ELb1ELc78ELc76EKPKS1_KPS1_EviT_PT9_S7_lS9_S7_lPT10_S7_li.kd
    .uniform_work_group_size: 1
    .uses_dynamic_stack: false
    .vgpr_count:     92
    .vgpr_spill_count: 0
    .wavefront_size: 32
    .workgroup_processor_mode: 1
  - .args:
      - .offset:         0
        .size:           4
        .value_kind:     by_value
      - .offset:         8
        .size:           8
        .value_kind:     by_value
      - .address_space:  global
        .offset:         16
        .size:           8
        .value_kind:     global_buffer
      - .offset:         24
        .size:           8
        .value_kind:     by_value
      - .offset:         32
        .size:           8
        .value_kind:     by_value
      - .address_space:  global
        .offset:         40
        .size:           8
        .value_kind:     global_buffer
      - .offset:         48
        .size:           8
        .value_kind:     by_value
      - .offset:         56
        .size:           8
        .value_kind:     by_value
      - .address_space:  global
        .offset:         64
        .size:           8
        .value_kind:     global_buffer
      - .offset:         72
        .size:           8
        .value_kind:     by_value
      - .offset:         80
        .size:           8
        .value_kind:     by_value
      - .offset:         88
        .size:           4
        .value_kind:     by_value
    .group_segment_fixed_size: 4096
    .kernarg_segment_align: 8
    .kernarg_segment_size: 92
    .language:       OpenCL C
    .language_version:
      - 2
      - 0
    .max_flat_workgroup_size: 256
    .name:           _ZL37rocblas_syrkx_herkx_restricted_kernelIl19rocblas_complex_numIfELi16ELi32ELi8ELin1ELi0ELb1ELc84ELc85EKPKS1_KPS1_EviT_PT9_S7_lS9_S7_lPT10_S7_li
    .private_segment_fixed_size: 0
    .sgpr_count:     22
    .sgpr_spill_count: 0
    .symbol:         _ZL37rocblas_syrkx_herkx_restricted_kernelIl19rocblas_complex_numIfELi16ELi32ELi8ELin1ELi0ELb1ELc84ELc85EKPKS1_KPS1_EviT_PT9_S7_lS9_S7_lPT10_S7_li.kd
    .uniform_work_group_size: 1
    .uses_dynamic_stack: false
    .vgpr_count:     91
    .vgpr_spill_count: 0
    .wavefront_size: 32
    .workgroup_processor_mode: 1
  - .args:
      - .offset:         0
        .size:           4
        .value_kind:     by_value
      - .offset:         8
        .size:           8
        .value_kind:     by_value
      - .address_space:  global
        .offset:         16
        .size:           8
        .value_kind:     global_buffer
      - .offset:         24
        .size:           8
        .value_kind:     by_value
      - .offset:         32
        .size:           8
        .value_kind:     by_value
      - .address_space:  global
        .offset:         40
        .size:           8
        .value_kind:     global_buffer
      - .offset:         48
        .size:           8
        .value_kind:     by_value
      - .offset:         56
        .size:           8
        .value_kind:     by_value
      - .address_space:  global
        .offset:         64
        .size:           8
        .value_kind:     global_buffer
      - .offset:         72
        .size:           8
        .value_kind:     by_value
      - .offset:         80
        .size:           8
        .value_kind:     by_value
      - .offset:         88
        .size:           4
        .value_kind:     by_value
    .group_segment_fixed_size: 4096
    .kernarg_segment_align: 8
    .kernarg_segment_size: 92
    .language:       OpenCL C
    .language_version:
      - 2
      - 0
    .max_flat_workgroup_size: 256
    .name:           _ZL37rocblas_syrkx_herkx_restricted_kernelIl19rocblas_complex_numIfELi16ELi32ELi8ELin1ELi0ELb1ELc67ELc85EKPKS1_KPS1_EviT_PT9_S7_lS9_S7_lPT10_S7_li
    .private_segment_fixed_size: 0
    .sgpr_count:     22
    .sgpr_spill_count: 0
    .symbol:         _ZL37rocblas_syrkx_herkx_restricted_kernelIl19rocblas_complex_numIfELi16ELi32ELi8ELin1ELi0ELb1ELc67ELc85EKPKS1_KPS1_EviT_PT9_S7_lS9_S7_lPT10_S7_li.kd
    .uniform_work_group_size: 1
    .uses_dynamic_stack: false
    .vgpr_count:     91
    .vgpr_spill_count: 0
    .wavefront_size: 32
    .workgroup_processor_mode: 1
  - .args:
      - .offset:         0
        .size:           4
        .value_kind:     by_value
      - .offset:         8
        .size:           8
        .value_kind:     by_value
      - .address_space:  global
        .offset:         16
        .size:           8
        .value_kind:     global_buffer
      - .offset:         24
        .size:           8
        .value_kind:     by_value
      - .offset:         32
        .size:           8
        .value_kind:     by_value
      - .address_space:  global
        .offset:         40
        .size:           8
        .value_kind:     global_buffer
      - .offset:         48
        .size:           8
        .value_kind:     by_value
      - .offset:         56
        .size:           8
        .value_kind:     by_value
      - .address_space:  global
        .offset:         64
        .size:           8
        .value_kind:     global_buffer
      - .offset:         72
        .size:           8
        .value_kind:     by_value
      - .offset:         80
        .size:           8
        .value_kind:     by_value
      - .offset:         88
        .size:           4
        .value_kind:     by_value
    .group_segment_fixed_size: 4096
    .kernarg_segment_align: 8
    .kernarg_segment_size: 92
    .language:       OpenCL C
    .language_version:
      - 2
      - 0
    .max_flat_workgroup_size: 256
    .name:           _ZL37rocblas_syrkx_herkx_restricted_kernelIl19rocblas_complex_numIfELi16ELi32ELi8ELin1ELi0ELb1ELc78ELc85EKPKS1_KPS1_EviT_PT9_S7_lS9_S7_lPT10_S7_li
    .private_segment_fixed_size: 0
    .sgpr_count:     22
    .sgpr_spill_count: 0
    .symbol:         _ZL37rocblas_syrkx_herkx_restricted_kernelIl19rocblas_complex_numIfELi16ELi32ELi8ELin1ELi0ELb1ELc78ELc85EKPKS1_KPS1_EviT_PT9_S7_lS9_S7_lPT10_S7_li.kd
    .uniform_work_group_size: 1
    .uses_dynamic_stack: false
    .vgpr_count:     92
    .vgpr_spill_count: 0
    .wavefront_size: 32
    .workgroup_processor_mode: 1
  - .args:
      - .offset:         0
        .size:           4
        .value_kind:     by_value
      - .offset:         8
        .size:           8
        .value_kind:     by_value
      - .offset:         16
        .size:           8
        .value_kind:     by_value
      - .address_space:  global
        .offset:         24
        .size:           8
        .value_kind:     global_buffer
      - .offset:         32
        .size:           8
        .value_kind:     by_value
      - .offset:         40
        .size:           8
        .value_kind:     by_value
      - .address_space:  global
        .offset:         48
        .size:           8
        .value_kind:     global_buffer
      - .offset:         56
        .size:           8
        .value_kind:     by_value
      - .offset:         64
        .size:           8
        .value_kind:     by_value
      - .offset:         72
        .size:           8
        .value_kind:     by_value
      - .address_space:  global
        .offset:         80
        .size:           8
        .value_kind:     global_buffer
      - .offset:         88
        .size:           8
        .value_kind:     by_value
      - .offset:         96
        .size:           8
        .value_kind:     by_value
      - .offset:         104
        .size:           4
        .value_kind:     by_value
    .group_segment_fixed_size: 4096
    .kernarg_segment_align: 8
    .kernarg_segment_size: 108
    .language:       OpenCL C
    .language_version:
      - 2
      - 0
    .max_flat_workgroup_size: 256
    .name:           _ZL37rocblas_syrkx_herkx_restricted_kernelIl19rocblas_complex_numIfELi16ELi32ELi8ELb1ELb1ELc84ELc76EKPKS1_KPS1_EviT_T0_PT8_S7_lSA_S7_lS8_PT9_S7_li
    .private_segment_fixed_size: 0
    .sgpr_count:     24
    .sgpr_spill_count: 0
    .symbol:         _ZL37rocblas_syrkx_herkx_restricted_kernelIl19rocblas_complex_numIfELi16ELi32ELi8ELb1ELb1ELc84ELc76EKPKS1_KPS1_EviT_T0_PT8_S7_lSA_S7_lS8_PT9_S7_li.kd
    .uniform_work_group_size: 1
    .uses_dynamic_stack: false
    .vgpr_count:     91
    .vgpr_spill_count: 0
    .wavefront_size: 32
    .workgroup_processor_mode: 1
  - .args:
      - .offset:         0
        .size:           4
        .value_kind:     by_value
      - .offset:         8
        .size:           8
        .value_kind:     by_value
      - .offset:         16
        .size:           8
        .value_kind:     by_value
      - .address_space:  global
        .offset:         24
        .size:           8
        .value_kind:     global_buffer
      - .offset:         32
        .size:           8
        .value_kind:     by_value
      - .offset:         40
        .size:           8
        .value_kind:     by_value
      - .address_space:  global
        .offset:         48
        .size:           8
        .value_kind:     global_buffer
      - .offset:         56
        .size:           8
        .value_kind:     by_value
      - .offset:         64
        .size:           8
        .value_kind:     by_value
      - .offset:         72
        .size:           8
        .value_kind:     by_value
      - .address_space:  global
        .offset:         80
        .size:           8
        .value_kind:     global_buffer
      - .offset:         88
        .size:           8
        .value_kind:     by_value
      - .offset:         96
        .size:           8
        .value_kind:     by_value
      - .offset:         104
        .size:           4
        .value_kind:     by_value
    .group_segment_fixed_size: 4096
    .kernarg_segment_align: 8
    .kernarg_segment_size: 108
    .language:       OpenCL C
    .language_version:
      - 2
      - 0
    .max_flat_workgroup_size: 256
    .name:           _ZL37rocblas_syrkx_herkx_restricted_kernelIl19rocblas_complex_numIfELi16ELi32ELi8ELb1ELb1ELc67ELc76EKPKS1_KPS1_EviT_T0_PT8_S7_lSA_S7_lS8_PT9_S7_li
    .private_segment_fixed_size: 0
    .sgpr_count:     24
    .sgpr_spill_count: 0
    .symbol:         _ZL37rocblas_syrkx_herkx_restricted_kernelIl19rocblas_complex_numIfELi16ELi32ELi8ELb1ELb1ELc67ELc76EKPKS1_KPS1_EviT_T0_PT8_S7_lSA_S7_lS8_PT9_S7_li.kd
    .uniform_work_group_size: 1
    .uses_dynamic_stack: false
    .vgpr_count:     91
    .vgpr_spill_count: 0
    .wavefront_size: 32
    .workgroup_processor_mode: 1
  - .args:
      - .offset:         0
        .size:           4
        .value_kind:     by_value
      - .offset:         8
        .size:           8
        .value_kind:     by_value
      - .offset:         16
        .size:           8
        .value_kind:     by_value
      - .address_space:  global
        .offset:         24
        .size:           8
        .value_kind:     global_buffer
      - .offset:         32
        .size:           8
        .value_kind:     by_value
      - .offset:         40
        .size:           8
        .value_kind:     by_value
      - .address_space:  global
        .offset:         48
        .size:           8
        .value_kind:     global_buffer
      - .offset:         56
        .size:           8
        .value_kind:     by_value
      - .offset:         64
        .size:           8
        .value_kind:     by_value
      - .offset:         72
        .size:           8
        .value_kind:     by_value
      - .address_space:  global
        .offset:         80
        .size:           8
        .value_kind:     global_buffer
      - .offset:         88
        .size:           8
        .value_kind:     by_value
      - .offset:         96
        .size:           8
        .value_kind:     by_value
      - .offset:         104
        .size:           4
        .value_kind:     by_value
    .group_segment_fixed_size: 4096
    .kernarg_segment_align: 8
    .kernarg_segment_size: 108
    .language:       OpenCL C
    .language_version:
      - 2
      - 0
    .max_flat_workgroup_size: 256
    .name:           _ZL37rocblas_syrkx_herkx_restricted_kernelIl19rocblas_complex_numIfELi16ELi32ELi8ELb1ELb1ELc78ELc76EKPKS1_KPS1_EviT_T0_PT8_S7_lSA_S7_lS8_PT9_S7_li
    .private_segment_fixed_size: 0
    .sgpr_count:     24
    .sgpr_spill_count: 0
    .symbol:         _ZL37rocblas_syrkx_herkx_restricted_kernelIl19rocblas_complex_numIfELi16ELi32ELi8ELb1ELb1ELc78ELc76EKPKS1_KPS1_EviT_T0_PT8_S7_lSA_S7_lS8_PT9_S7_li.kd
    .uniform_work_group_size: 1
    .uses_dynamic_stack: false
    .vgpr_count:     92
    .vgpr_spill_count: 0
    .wavefront_size: 32
    .workgroup_processor_mode: 1
  - .args:
      - .offset:         0
        .size:           4
        .value_kind:     by_value
      - .offset:         8
        .size:           8
        .value_kind:     by_value
      - .offset:         16
        .size:           8
        .value_kind:     by_value
      - .address_space:  global
        .offset:         24
        .size:           8
        .value_kind:     global_buffer
      - .offset:         32
        .size:           8
        .value_kind:     by_value
      - .offset:         40
        .size:           8
        .value_kind:     by_value
      - .address_space:  global
        .offset:         48
        .size:           8
        .value_kind:     global_buffer
      - .offset:         56
        .size:           8
        .value_kind:     by_value
      - .offset:         64
        .size:           8
        .value_kind:     by_value
      - .offset:         72
        .size:           8
        .value_kind:     by_value
      - .address_space:  global
        .offset:         80
        .size:           8
        .value_kind:     global_buffer
      - .offset:         88
        .size:           8
        .value_kind:     by_value
      - .offset:         96
        .size:           8
        .value_kind:     by_value
      - .offset:         104
        .size:           4
        .value_kind:     by_value
    .group_segment_fixed_size: 4096
    .kernarg_segment_align: 8
    .kernarg_segment_size: 108
    .language:       OpenCL C
    .language_version:
      - 2
      - 0
    .max_flat_workgroup_size: 256
    .name:           _ZL37rocblas_syrkx_herkx_restricted_kernelIl19rocblas_complex_numIfELi16ELi32ELi8ELb1ELb1ELc84ELc85EKPKS1_KPS1_EviT_T0_PT8_S7_lSA_S7_lS8_PT9_S7_li
    .private_segment_fixed_size: 0
    .sgpr_count:     24
    .sgpr_spill_count: 0
    .symbol:         _ZL37rocblas_syrkx_herkx_restricted_kernelIl19rocblas_complex_numIfELi16ELi32ELi8ELb1ELb1ELc84ELc85EKPKS1_KPS1_EviT_T0_PT8_S7_lSA_S7_lS8_PT9_S7_li.kd
    .uniform_work_group_size: 1
    .uses_dynamic_stack: false
    .vgpr_count:     91
    .vgpr_spill_count: 0
    .wavefront_size: 32
    .workgroup_processor_mode: 1
  - .args:
      - .offset:         0
        .size:           4
        .value_kind:     by_value
      - .offset:         8
        .size:           8
        .value_kind:     by_value
      - .offset:         16
        .size:           8
        .value_kind:     by_value
      - .address_space:  global
        .offset:         24
        .size:           8
        .value_kind:     global_buffer
      - .offset:         32
        .size:           8
        .value_kind:     by_value
      - .offset:         40
        .size:           8
        .value_kind:     by_value
      - .address_space:  global
        .offset:         48
        .size:           8
        .value_kind:     global_buffer
      - .offset:         56
        .size:           8
        .value_kind:     by_value
      - .offset:         64
        .size:           8
        .value_kind:     by_value
      - .offset:         72
        .size:           8
        .value_kind:     by_value
      - .address_space:  global
        .offset:         80
        .size:           8
        .value_kind:     global_buffer
      - .offset:         88
        .size:           8
        .value_kind:     by_value
      - .offset:         96
        .size:           8
        .value_kind:     by_value
      - .offset:         104
        .size:           4
        .value_kind:     by_value
    .group_segment_fixed_size: 4096
    .kernarg_segment_align: 8
    .kernarg_segment_size: 108
    .language:       OpenCL C
    .language_version:
      - 2
      - 0
    .max_flat_workgroup_size: 256
    .name:           _ZL37rocblas_syrkx_herkx_restricted_kernelIl19rocblas_complex_numIfELi16ELi32ELi8ELb1ELb1ELc67ELc85EKPKS1_KPS1_EviT_T0_PT8_S7_lSA_S7_lS8_PT9_S7_li
    .private_segment_fixed_size: 0
    .sgpr_count:     24
    .sgpr_spill_count: 0
    .symbol:         _ZL37rocblas_syrkx_herkx_restricted_kernelIl19rocblas_complex_numIfELi16ELi32ELi8ELb1ELb1ELc67ELc85EKPKS1_KPS1_EviT_T0_PT8_S7_lSA_S7_lS8_PT9_S7_li.kd
    .uniform_work_group_size: 1
    .uses_dynamic_stack: false
    .vgpr_count:     91
    .vgpr_spill_count: 0
    .wavefront_size: 32
    .workgroup_processor_mode: 1
  - .args:
      - .offset:         0
        .size:           4
        .value_kind:     by_value
      - .offset:         8
        .size:           8
        .value_kind:     by_value
      - .offset:         16
        .size:           8
        .value_kind:     by_value
      - .address_space:  global
        .offset:         24
        .size:           8
        .value_kind:     global_buffer
      - .offset:         32
        .size:           8
        .value_kind:     by_value
      - .offset:         40
        .size:           8
        .value_kind:     by_value
      - .address_space:  global
        .offset:         48
        .size:           8
        .value_kind:     global_buffer
      - .offset:         56
        .size:           8
        .value_kind:     by_value
      - .offset:         64
        .size:           8
        .value_kind:     by_value
      - .offset:         72
        .size:           8
        .value_kind:     by_value
      - .address_space:  global
        .offset:         80
        .size:           8
        .value_kind:     global_buffer
      - .offset:         88
        .size:           8
        .value_kind:     by_value
      - .offset:         96
        .size:           8
        .value_kind:     by_value
      - .offset:         104
        .size:           4
        .value_kind:     by_value
    .group_segment_fixed_size: 4096
    .kernarg_segment_align: 8
    .kernarg_segment_size: 108
    .language:       OpenCL C
    .language_version:
      - 2
      - 0
    .max_flat_workgroup_size: 256
    .name:           _ZL37rocblas_syrkx_herkx_restricted_kernelIl19rocblas_complex_numIfELi16ELi32ELi8ELb1ELb1ELc78ELc85EKPKS1_KPS1_EviT_T0_PT8_S7_lSA_S7_lS8_PT9_S7_li
    .private_segment_fixed_size: 0
    .sgpr_count:     24
    .sgpr_spill_count: 0
    .symbol:         _ZL37rocblas_syrkx_herkx_restricted_kernelIl19rocblas_complex_numIfELi16ELi32ELi8ELb1ELb1ELc78ELc85EKPKS1_KPS1_EviT_T0_PT8_S7_lSA_S7_lS8_PT9_S7_li.kd
    .uniform_work_group_size: 1
    .uses_dynamic_stack: false
    .vgpr_count:     92
    .vgpr_spill_count: 0
    .wavefront_size: 32
    .workgroup_processor_mode: 1
  - .args:
      - .offset:         0
        .size:           4
        .value_kind:     by_value
      - .offset:         8
        .size:           8
        .value_kind:     by_value
      - .offset:         16
        .size:           8
        .value_kind:     by_value
      - .address_space:  global
        .offset:         24
        .size:           8
        .value_kind:     global_buffer
      - .offset:         32
        .size:           8
        .value_kind:     by_value
      - .offset:         40
        .size:           8
        .value_kind:     by_value
      - .address_space:  global
        .offset:         48
        .size:           8
        .value_kind:     global_buffer
      - .offset:         56
        .size:           8
        .value_kind:     by_value
      - .offset:         64
        .size:           8
        .value_kind:     by_value
      - .offset:         72
        .size:           8
        .value_kind:     by_value
      - .address_space:  global
        .offset:         80
        .size:           8
        .value_kind:     global_buffer
      - .offset:         88
        .size:           8
        .value_kind:     by_value
      - .offset:         96
        .size:           8
        .value_kind:     by_value
      - .offset:         104
        .size:           4
        .value_kind:     by_value
    .group_segment_fixed_size: 4096
    .kernarg_segment_align: 8
    .kernarg_segment_size: 108
    .language:       OpenCL C
    .language_version:
      - 2
      - 0
    .max_flat_workgroup_size: 256
    .name:           _ZL37rocblas_syrkx_herkx_restricted_kernelIl19rocblas_complex_numIfELi16ELi32ELi8ELb0ELb1ELc84ELc76EKPKS1_KPS1_EviT_T0_PT8_S7_lSA_S7_lS8_PT9_S7_li
    .private_segment_fixed_size: 0
    .sgpr_count:     26
    .sgpr_spill_count: 0
    .symbol:         _ZL37rocblas_syrkx_herkx_restricted_kernelIl19rocblas_complex_numIfELi16ELi32ELi8ELb0ELb1ELc84ELc76EKPKS1_KPS1_EviT_T0_PT8_S7_lSA_S7_lS8_PT9_S7_li.kd
    .uniform_work_group_size: 1
    .uses_dynamic_stack: false
    .vgpr_count:     91
    .vgpr_spill_count: 0
    .wavefront_size: 32
    .workgroup_processor_mode: 1
  - .args:
      - .offset:         0
        .size:           4
        .value_kind:     by_value
      - .offset:         8
        .size:           8
        .value_kind:     by_value
      - .offset:         16
        .size:           8
        .value_kind:     by_value
      - .address_space:  global
        .offset:         24
        .size:           8
        .value_kind:     global_buffer
      - .offset:         32
        .size:           8
        .value_kind:     by_value
      - .offset:         40
        .size:           8
        .value_kind:     by_value
      - .address_space:  global
        .offset:         48
        .size:           8
        .value_kind:     global_buffer
      - .offset:         56
        .size:           8
        .value_kind:     by_value
      - .offset:         64
        .size:           8
        .value_kind:     by_value
      - .offset:         72
        .size:           8
        .value_kind:     by_value
      - .address_space:  global
        .offset:         80
        .size:           8
        .value_kind:     global_buffer
      - .offset:         88
        .size:           8
        .value_kind:     by_value
      - .offset:         96
        .size:           8
        .value_kind:     by_value
      - .offset:         104
        .size:           4
        .value_kind:     by_value
    .group_segment_fixed_size: 4096
    .kernarg_segment_align: 8
    .kernarg_segment_size: 108
    .language:       OpenCL C
    .language_version:
      - 2
      - 0
    .max_flat_workgroup_size: 256
    .name:           _ZL37rocblas_syrkx_herkx_restricted_kernelIl19rocblas_complex_numIfELi16ELi32ELi8ELb0ELb1ELc67ELc76EKPKS1_KPS1_EviT_T0_PT8_S7_lSA_S7_lS8_PT9_S7_li
    .private_segment_fixed_size: 0
    .sgpr_count:     26
    .sgpr_spill_count: 0
    .symbol:         _ZL37rocblas_syrkx_herkx_restricted_kernelIl19rocblas_complex_numIfELi16ELi32ELi8ELb0ELb1ELc67ELc76EKPKS1_KPS1_EviT_T0_PT8_S7_lSA_S7_lS8_PT9_S7_li.kd
    .uniform_work_group_size: 1
    .uses_dynamic_stack: false
    .vgpr_count:     91
    .vgpr_spill_count: 0
    .wavefront_size: 32
    .workgroup_processor_mode: 1
  - .args:
      - .offset:         0
        .size:           4
        .value_kind:     by_value
      - .offset:         8
        .size:           8
        .value_kind:     by_value
      - .offset:         16
        .size:           8
        .value_kind:     by_value
      - .address_space:  global
        .offset:         24
        .size:           8
        .value_kind:     global_buffer
      - .offset:         32
        .size:           8
        .value_kind:     by_value
      - .offset:         40
        .size:           8
        .value_kind:     by_value
      - .address_space:  global
        .offset:         48
        .size:           8
        .value_kind:     global_buffer
      - .offset:         56
        .size:           8
        .value_kind:     by_value
      - .offset:         64
        .size:           8
        .value_kind:     by_value
      - .offset:         72
        .size:           8
        .value_kind:     by_value
      - .address_space:  global
        .offset:         80
        .size:           8
        .value_kind:     global_buffer
      - .offset:         88
        .size:           8
        .value_kind:     by_value
      - .offset:         96
        .size:           8
        .value_kind:     by_value
      - .offset:         104
        .size:           4
        .value_kind:     by_value
    .group_segment_fixed_size: 4096
    .kernarg_segment_align: 8
    .kernarg_segment_size: 108
    .language:       OpenCL C
    .language_version:
      - 2
      - 0
    .max_flat_workgroup_size: 256
    .name:           _ZL37rocblas_syrkx_herkx_restricted_kernelIl19rocblas_complex_numIfELi16ELi32ELi8ELb0ELb1ELc78ELc76EKPKS1_KPS1_EviT_T0_PT8_S7_lSA_S7_lS8_PT9_S7_li
    .private_segment_fixed_size: 0
    .sgpr_count:     26
    .sgpr_spill_count: 0
    .symbol:         _ZL37rocblas_syrkx_herkx_restricted_kernelIl19rocblas_complex_numIfELi16ELi32ELi8ELb0ELb1ELc78ELc76EKPKS1_KPS1_EviT_T0_PT8_S7_lSA_S7_lS8_PT9_S7_li.kd
    .uniform_work_group_size: 1
    .uses_dynamic_stack: false
    .vgpr_count:     92
    .vgpr_spill_count: 0
    .wavefront_size: 32
    .workgroup_processor_mode: 1
  - .args:
      - .offset:         0
        .size:           4
        .value_kind:     by_value
      - .offset:         8
        .size:           8
        .value_kind:     by_value
      - .offset:         16
        .size:           8
        .value_kind:     by_value
      - .address_space:  global
        .offset:         24
        .size:           8
        .value_kind:     global_buffer
      - .offset:         32
        .size:           8
        .value_kind:     by_value
      - .offset:         40
        .size:           8
        .value_kind:     by_value
      - .address_space:  global
        .offset:         48
        .size:           8
        .value_kind:     global_buffer
      - .offset:         56
        .size:           8
        .value_kind:     by_value
      - .offset:         64
        .size:           8
        .value_kind:     by_value
      - .offset:         72
        .size:           8
        .value_kind:     by_value
      - .address_space:  global
        .offset:         80
        .size:           8
        .value_kind:     global_buffer
      - .offset:         88
        .size:           8
        .value_kind:     by_value
      - .offset:         96
        .size:           8
        .value_kind:     by_value
      - .offset:         104
        .size:           4
        .value_kind:     by_value
    .group_segment_fixed_size: 4096
    .kernarg_segment_align: 8
    .kernarg_segment_size: 108
    .language:       OpenCL C
    .language_version:
      - 2
      - 0
    .max_flat_workgroup_size: 256
    .name:           _ZL37rocblas_syrkx_herkx_restricted_kernelIl19rocblas_complex_numIfELi16ELi32ELi8ELb0ELb1ELc84ELc85EKPKS1_KPS1_EviT_T0_PT8_S7_lSA_S7_lS8_PT9_S7_li
    .private_segment_fixed_size: 0
    .sgpr_count:     26
    .sgpr_spill_count: 0
    .symbol:         _ZL37rocblas_syrkx_herkx_restricted_kernelIl19rocblas_complex_numIfELi16ELi32ELi8ELb0ELb1ELc84ELc85EKPKS1_KPS1_EviT_T0_PT8_S7_lSA_S7_lS8_PT9_S7_li.kd
    .uniform_work_group_size: 1
    .uses_dynamic_stack: false
    .vgpr_count:     91
    .vgpr_spill_count: 0
    .wavefront_size: 32
    .workgroup_processor_mode: 1
  - .args:
      - .offset:         0
        .size:           4
        .value_kind:     by_value
      - .offset:         8
        .size:           8
        .value_kind:     by_value
      - .offset:         16
        .size:           8
        .value_kind:     by_value
      - .address_space:  global
        .offset:         24
        .size:           8
        .value_kind:     global_buffer
      - .offset:         32
        .size:           8
        .value_kind:     by_value
      - .offset:         40
        .size:           8
        .value_kind:     by_value
      - .address_space:  global
        .offset:         48
        .size:           8
        .value_kind:     global_buffer
      - .offset:         56
        .size:           8
        .value_kind:     by_value
      - .offset:         64
        .size:           8
        .value_kind:     by_value
      - .offset:         72
        .size:           8
        .value_kind:     by_value
      - .address_space:  global
        .offset:         80
        .size:           8
        .value_kind:     global_buffer
      - .offset:         88
        .size:           8
        .value_kind:     by_value
      - .offset:         96
        .size:           8
        .value_kind:     by_value
      - .offset:         104
        .size:           4
        .value_kind:     by_value
    .group_segment_fixed_size: 4096
    .kernarg_segment_align: 8
    .kernarg_segment_size: 108
    .language:       OpenCL C
    .language_version:
      - 2
      - 0
    .max_flat_workgroup_size: 256
    .name:           _ZL37rocblas_syrkx_herkx_restricted_kernelIl19rocblas_complex_numIfELi16ELi32ELi8ELb0ELb1ELc67ELc85EKPKS1_KPS1_EviT_T0_PT8_S7_lSA_S7_lS8_PT9_S7_li
    .private_segment_fixed_size: 0
    .sgpr_count:     26
    .sgpr_spill_count: 0
    .symbol:         _ZL37rocblas_syrkx_herkx_restricted_kernelIl19rocblas_complex_numIfELi16ELi32ELi8ELb0ELb1ELc67ELc85EKPKS1_KPS1_EviT_T0_PT8_S7_lSA_S7_lS8_PT9_S7_li.kd
    .uniform_work_group_size: 1
    .uses_dynamic_stack: false
    .vgpr_count:     91
    .vgpr_spill_count: 0
    .wavefront_size: 32
    .workgroup_processor_mode: 1
  - .args:
      - .offset:         0
        .size:           4
        .value_kind:     by_value
      - .offset:         8
        .size:           8
        .value_kind:     by_value
      - .offset:         16
        .size:           8
        .value_kind:     by_value
      - .address_space:  global
        .offset:         24
        .size:           8
        .value_kind:     global_buffer
      - .offset:         32
        .size:           8
        .value_kind:     by_value
      - .offset:         40
        .size:           8
        .value_kind:     by_value
      - .address_space:  global
        .offset:         48
        .size:           8
        .value_kind:     global_buffer
      - .offset:         56
        .size:           8
        .value_kind:     by_value
      - .offset:         64
        .size:           8
        .value_kind:     by_value
      - .offset:         72
        .size:           8
        .value_kind:     by_value
      - .address_space:  global
        .offset:         80
        .size:           8
        .value_kind:     global_buffer
      - .offset:         88
        .size:           8
        .value_kind:     by_value
      - .offset:         96
        .size:           8
        .value_kind:     by_value
      - .offset:         104
        .size:           4
        .value_kind:     by_value
    .group_segment_fixed_size: 4096
    .kernarg_segment_align: 8
    .kernarg_segment_size: 108
    .language:       OpenCL C
    .language_version:
      - 2
      - 0
    .max_flat_workgroup_size: 256
    .name:           _ZL37rocblas_syrkx_herkx_restricted_kernelIl19rocblas_complex_numIfELi16ELi32ELi8ELb0ELb1ELc78ELc85EKPKS1_KPS1_EviT_T0_PT8_S7_lSA_S7_lS8_PT9_S7_li
    .private_segment_fixed_size: 0
    .sgpr_count:     26
    .sgpr_spill_count: 0
    .symbol:         _ZL37rocblas_syrkx_herkx_restricted_kernelIl19rocblas_complex_numIfELi16ELi32ELi8ELb0ELb1ELc78ELc85EKPKS1_KPS1_EviT_T0_PT8_S7_lSA_S7_lS8_PT9_S7_li.kd
    .uniform_work_group_size: 1
    .uses_dynamic_stack: false
    .vgpr_count:     92
    .vgpr_spill_count: 0
    .wavefront_size: 32
    .workgroup_processor_mode: 1
  - .args:
      - .offset:         0
        .size:           4
        .value_kind:     by_value
      - .offset:         8
        .size:           8
        .value_kind:     by_value
      - .offset:         16
        .size:           8
        .value_kind:     by_value
      - .address_space:  global
        .offset:         24
        .size:           8
        .value_kind:     global_buffer
      - .offset:         32
        .size:           8
        .value_kind:     by_value
      - .offset:         40
        .size:           8
        .value_kind:     by_value
      - .address_space:  global
        .offset:         48
        .size:           8
        .value_kind:     global_buffer
      - .offset:         56
        .size:           8
        .value_kind:     by_value
      - .offset:         64
        .size:           8
        .value_kind:     by_value
      - .offset:         72
        .size:           8
        .value_kind:     by_value
      - .address_space:  global
        .offset:         80
        .size:           8
        .value_kind:     global_buffer
      - .offset:         88
        .size:           8
        .value_kind:     by_value
      - .offset:         96
        .size:           8
        .value_kind:     by_value
      - .offset:         104
        .size:           4
        .value_kind:     by_value
    .group_segment_fixed_size: 4096
    .kernarg_segment_align: 8
    .kernarg_segment_size: 108
    .language:       OpenCL C
    .language_version:
      - 2
      - 0
    .max_flat_workgroup_size: 256
    .name:           _ZL41rocblas_syrkx_herkx_small_restrict_kernelIl19rocblas_complex_numIfELi16ELb1ELb1ELc84ELc76EKPKS1_KPS1_EviT_T0_PT6_S7_lSA_S7_lS8_PT7_S7_li
    .private_segment_fixed_size: 0
    .sgpr_count:     24
    .sgpr_spill_count: 0
    .symbol:         _ZL41rocblas_syrkx_herkx_small_restrict_kernelIl19rocblas_complex_numIfELi16ELb1ELb1ELc84ELc76EKPKS1_KPS1_EviT_T0_PT6_S7_lSA_S7_lS8_PT7_S7_li.kd
    .uniform_work_group_size: 1
    .uses_dynamic_stack: false
    .vgpr_count:     87
    .vgpr_spill_count: 0
    .wavefront_size: 32
    .workgroup_processor_mode: 1
  - .args:
      - .offset:         0
        .size:           4
        .value_kind:     by_value
      - .offset:         8
        .size:           8
        .value_kind:     by_value
      - .offset:         16
        .size:           8
        .value_kind:     by_value
      - .address_space:  global
        .offset:         24
        .size:           8
        .value_kind:     global_buffer
      - .offset:         32
        .size:           8
        .value_kind:     by_value
      - .offset:         40
        .size:           8
        .value_kind:     by_value
      - .address_space:  global
        .offset:         48
        .size:           8
        .value_kind:     global_buffer
      - .offset:         56
        .size:           8
        .value_kind:     by_value
      - .offset:         64
        .size:           8
        .value_kind:     by_value
      - .offset:         72
        .size:           8
        .value_kind:     by_value
      - .address_space:  global
        .offset:         80
        .size:           8
        .value_kind:     global_buffer
      - .offset:         88
        .size:           8
        .value_kind:     by_value
      - .offset:         96
        .size:           8
        .value_kind:     by_value
      - .offset:         104
        .size:           4
        .value_kind:     by_value
    .group_segment_fixed_size: 4096
    .kernarg_segment_align: 8
    .kernarg_segment_size: 108
    .language:       OpenCL C
    .language_version:
      - 2
      - 0
    .max_flat_workgroup_size: 256
    .name:           _ZL41rocblas_syrkx_herkx_small_restrict_kernelIl19rocblas_complex_numIfELi16ELb1ELb1ELc67ELc76EKPKS1_KPS1_EviT_T0_PT6_S7_lSA_S7_lS8_PT7_S7_li
    .private_segment_fixed_size: 0
    .sgpr_count:     24
    .sgpr_spill_count: 0
    .symbol:         _ZL41rocblas_syrkx_herkx_small_restrict_kernelIl19rocblas_complex_numIfELi16ELb1ELb1ELc67ELc76EKPKS1_KPS1_EviT_T0_PT6_S7_lSA_S7_lS8_PT7_S7_li.kd
    .uniform_work_group_size: 1
    .uses_dynamic_stack: false
    .vgpr_count:     87
    .vgpr_spill_count: 0
    .wavefront_size: 32
    .workgroup_processor_mode: 1
  - .args:
      - .offset:         0
        .size:           4
        .value_kind:     by_value
      - .offset:         8
        .size:           8
        .value_kind:     by_value
      - .offset:         16
        .size:           8
        .value_kind:     by_value
      - .address_space:  global
        .offset:         24
        .size:           8
        .value_kind:     global_buffer
      - .offset:         32
        .size:           8
        .value_kind:     by_value
      - .offset:         40
        .size:           8
        .value_kind:     by_value
      - .address_space:  global
        .offset:         48
        .size:           8
        .value_kind:     global_buffer
      - .offset:         56
        .size:           8
        .value_kind:     by_value
      - .offset:         64
        .size:           8
        .value_kind:     by_value
      - .offset:         72
        .size:           8
        .value_kind:     by_value
      - .address_space:  global
        .offset:         80
        .size:           8
        .value_kind:     global_buffer
      - .offset:         88
        .size:           8
        .value_kind:     by_value
      - .offset:         96
        .size:           8
        .value_kind:     by_value
      - .offset:         104
        .size:           4
        .value_kind:     by_value
    .group_segment_fixed_size: 4096
    .kernarg_segment_align: 8
    .kernarg_segment_size: 108
    .language:       OpenCL C
    .language_version:
      - 2
      - 0
    .max_flat_workgroup_size: 256
    .name:           _ZL41rocblas_syrkx_herkx_small_restrict_kernelIl19rocblas_complex_numIfELi16ELb1ELb1ELc78ELc76EKPKS1_KPS1_EviT_T0_PT6_S7_lSA_S7_lS8_PT7_S7_li
    .private_segment_fixed_size: 0
    .sgpr_count:     24
    .sgpr_spill_count: 0
    .symbol:         _ZL41rocblas_syrkx_herkx_small_restrict_kernelIl19rocblas_complex_numIfELi16ELb1ELb1ELc78ELc76EKPKS1_KPS1_EviT_T0_PT6_S7_lSA_S7_lS8_PT7_S7_li.kd
    .uniform_work_group_size: 1
    .uses_dynamic_stack: false
    .vgpr_count:     87
    .vgpr_spill_count: 0
    .wavefront_size: 32
    .workgroup_processor_mode: 1
  - .args:
      - .offset:         0
        .size:           4
        .value_kind:     by_value
      - .offset:         8
        .size:           8
        .value_kind:     by_value
      - .offset:         16
        .size:           8
        .value_kind:     by_value
      - .address_space:  global
        .offset:         24
        .size:           8
        .value_kind:     global_buffer
      - .offset:         32
        .size:           8
        .value_kind:     by_value
      - .offset:         40
        .size:           8
        .value_kind:     by_value
      - .address_space:  global
        .offset:         48
        .size:           8
        .value_kind:     global_buffer
      - .offset:         56
        .size:           8
        .value_kind:     by_value
      - .offset:         64
        .size:           8
        .value_kind:     by_value
      - .offset:         72
        .size:           8
        .value_kind:     by_value
      - .address_space:  global
        .offset:         80
        .size:           8
        .value_kind:     global_buffer
      - .offset:         88
        .size:           8
        .value_kind:     by_value
      - .offset:         96
        .size:           8
        .value_kind:     by_value
      - .offset:         104
        .size:           4
        .value_kind:     by_value
    .group_segment_fixed_size: 4096
    .kernarg_segment_align: 8
    .kernarg_segment_size: 108
    .language:       OpenCL C
    .language_version:
      - 2
      - 0
    .max_flat_workgroup_size: 256
    .name:           _ZL41rocblas_syrkx_herkx_small_restrict_kernelIl19rocblas_complex_numIfELi16ELb1ELb1ELc84ELc85EKPKS1_KPS1_EviT_T0_PT6_S7_lSA_S7_lS8_PT7_S7_li
    .private_segment_fixed_size: 0
    .sgpr_count:     24
    .sgpr_spill_count: 0
    .symbol:         _ZL41rocblas_syrkx_herkx_small_restrict_kernelIl19rocblas_complex_numIfELi16ELb1ELb1ELc84ELc85EKPKS1_KPS1_EviT_T0_PT6_S7_lSA_S7_lS8_PT7_S7_li.kd
    .uniform_work_group_size: 1
    .uses_dynamic_stack: false
    .vgpr_count:     87
    .vgpr_spill_count: 0
    .wavefront_size: 32
    .workgroup_processor_mode: 1
  - .args:
      - .offset:         0
        .size:           4
        .value_kind:     by_value
      - .offset:         8
        .size:           8
        .value_kind:     by_value
      - .offset:         16
        .size:           8
        .value_kind:     by_value
      - .address_space:  global
        .offset:         24
        .size:           8
        .value_kind:     global_buffer
      - .offset:         32
        .size:           8
        .value_kind:     by_value
      - .offset:         40
        .size:           8
        .value_kind:     by_value
      - .address_space:  global
        .offset:         48
        .size:           8
        .value_kind:     global_buffer
      - .offset:         56
        .size:           8
        .value_kind:     by_value
      - .offset:         64
        .size:           8
        .value_kind:     by_value
      - .offset:         72
        .size:           8
        .value_kind:     by_value
      - .address_space:  global
        .offset:         80
        .size:           8
        .value_kind:     global_buffer
      - .offset:         88
        .size:           8
        .value_kind:     by_value
      - .offset:         96
        .size:           8
        .value_kind:     by_value
      - .offset:         104
        .size:           4
        .value_kind:     by_value
    .group_segment_fixed_size: 4096
    .kernarg_segment_align: 8
    .kernarg_segment_size: 108
    .language:       OpenCL C
    .language_version:
      - 2
      - 0
    .max_flat_workgroup_size: 256
    .name:           _ZL41rocblas_syrkx_herkx_small_restrict_kernelIl19rocblas_complex_numIfELi16ELb1ELb1ELc67ELc85EKPKS1_KPS1_EviT_T0_PT6_S7_lSA_S7_lS8_PT7_S7_li
    .private_segment_fixed_size: 0
    .sgpr_count:     24
    .sgpr_spill_count: 0
    .symbol:         _ZL41rocblas_syrkx_herkx_small_restrict_kernelIl19rocblas_complex_numIfELi16ELb1ELb1ELc67ELc85EKPKS1_KPS1_EviT_T0_PT6_S7_lSA_S7_lS8_PT7_S7_li.kd
    .uniform_work_group_size: 1
    .uses_dynamic_stack: false
    .vgpr_count:     87
    .vgpr_spill_count: 0
    .wavefront_size: 32
    .workgroup_processor_mode: 1
  - .args:
      - .offset:         0
        .size:           4
        .value_kind:     by_value
      - .offset:         8
        .size:           8
        .value_kind:     by_value
      - .offset:         16
        .size:           8
        .value_kind:     by_value
      - .address_space:  global
        .offset:         24
        .size:           8
        .value_kind:     global_buffer
      - .offset:         32
        .size:           8
        .value_kind:     by_value
      - .offset:         40
        .size:           8
        .value_kind:     by_value
      - .address_space:  global
        .offset:         48
        .size:           8
        .value_kind:     global_buffer
      - .offset:         56
        .size:           8
        .value_kind:     by_value
      - .offset:         64
        .size:           8
        .value_kind:     by_value
      - .offset:         72
        .size:           8
        .value_kind:     by_value
      - .address_space:  global
        .offset:         80
        .size:           8
        .value_kind:     global_buffer
      - .offset:         88
        .size:           8
        .value_kind:     by_value
      - .offset:         96
        .size:           8
        .value_kind:     by_value
      - .offset:         104
        .size:           4
        .value_kind:     by_value
    .group_segment_fixed_size: 4096
    .kernarg_segment_align: 8
    .kernarg_segment_size: 108
    .language:       OpenCL C
    .language_version:
      - 2
      - 0
    .max_flat_workgroup_size: 256
    .name:           _ZL41rocblas_syrkx_herkx_small_restrict_kernelIl19rocblas_complex_numIfELi16ELb1ELb1ELc78ELc85EKPKS1_KPS1_EviT_T0_PT6_S7_lSA_S7_lS8_PT7_S7_li
    .private_segment_fixed_size: 0
    .sgpr_count:     24
    .sgpr_spill_count: 0
    .symbol:         _ZL41rocblas_syrkx_herkx_small_restrict_kernelIl19rocblas_complex_numIfELi16ELb1ELb1ELc78ELc85EKPKS1_KPS1_EviT_T0_PT6_S7_lSA_S7_lS8_PT7_S7_li.kd
    .uniform_work_group_size: 1
    .uses_dynamic_stack: false
    .vgpr_count:     87
    .vgpr_spill_count: 0
    .wavefront_size: 32
    .workgroup_processor_mode: 1
  - .args:
      - .offset:         0
        .size:           4
        .value_kind:     by_value
      - .offset:         8
        .size:           8
        .value_kind:     by_value
      - .offset:         16
        .size:           8
        .value_kind:     by_value
      - .address_space:  global
        .offset:         24
        .size:           8
        .value_kind:     global_buffer
      - .offset:         32
        .size:           8
        .value_kind:     by_value
      - .offset:         40
        .size:           8
        .value_kind:     by_value
      - .address_space:  global
        .offset:         48
        .size:           8
        .value_kind:     global_buffer
      - .offset:         56
        .size:           8
        .value_kind:     by_value
      - .offset:         64
        .size:           8
        .value_kind:     by_value
      - .offset:         72
        .size:           8
        .value_kind:     by_value
      - .address_space:  global
        .offset:         80
        .size:           8
        .value_kind:     global_buffer
      - .offset:         88
        .size:           8
        .value_kind:     by_value
      - .offset:         96
        .size:           8
        .value_kind:     by_value
      - .offset:         104
        .size:           4
        .value_kind:     by_value
    .group_segment_fixed_size: 4096
    .kernarg_segment_align: 8
    .kernarg_segment_size: 108
    .language:       OpenCL C
    .language_version:
      - 2
      - 0
    .max_flat_workgroup_size: 256
    .name:           _ZL41rocblas_syrkx_herkx_small_restrict_kernelIl19rocblas_complex_numIfELi16ELb0ELb1ELc84ELc76EKPKS1_KPS1_EviT_T0_PT6_S7_lSA_S7_lS8_PT7_S7_li
    .private_segment_fixed_size: 0
    .sgpr_count:     24
    .sgpr_spill_count: 0
    .symbol:         _ZL41rocblas_syrkx_herkx_small_restrict_kernelIl19rocblas_complex_numIfELi16ELb0ELb1ELc84ELc76EKPKS1_KPS1_EviT_T0_PT6_S7_lSA_S7_lS8_PT7_S7_li.kd
    .uniform_work_group_size: 1
    .uses_dynamic_stack: false
    .vgpr_count:     87
    .vgpr_spill_count: 0
    .wavefront_size: 32
    .workgroup_processor_mode: 1
  - .args:
      - .offset:         0
        .size:           4
        .value_kind:     by_value
      - .offset:         8
        .size:           8
        .value_kind:     by_value
      - .offset:         16
        .size:           8
        .value_kind:     by_value
      - .address_space:  global
        .offset:         24
        .size:           8
        .value_kind:     global_buffer
      - .offset:         32
        .size:           8
        .value_kind:     by_value
      - .offset:         40
        .size:           8
        .value_kind:     by_value
      - .address_space:  global
        .offset:         48
        .size:           8
        .value_kind:     global_buffer
      - .offset:         56
        .size:           8
        .value_kind:     by_value
      - .offset:         64
        .size:           8
        .value_kind:     by_value
      - .offset:         72
        .size:           8
        .value_kind:     by_value
      - .address_space:  global
        .offset:         80
        .size:           8
        .value_kind:     global_buffer
      - .offset:         88
        .size:           8
        .value_kind:     by_value
      - .offset:         96
        .size:           8
        .value_kind:     by_value
      - .offset:         104
        .size:           4
        .value_kind:     by_value
    .group_segment_fixed_size: 4096
    .kernarg_segment_align: 8
    .kernarg_segment_size: 108
    .language:       OpenCL C
    .language_version:
      - 2
      - 0
    .max_flat_workgroup_size: 256
    .name:           _ZL41rocblas_syrkx_herkx_small_restrict_kernelIl19rocblas_complex_numIfELi16ELb0ELb1ELc67ELc76EKPKS1_KPS1_EviT_T0_PT6_S7_lSA_S7_lS8_PT7_S7_li
    .private_segment_fixed_size: 0
    .sgpr_count:     24
    .sgpr_spill_count: 0
    .symbol:         _ZL41rocblas_syrkx_herkx_small_restrict_kernelIl19rocblas_complex_numIfELi16ELb0ELb1ELc67ELc76EKPKS1_KPS1_EviT_T0_PT6_S7_lSA_S7_lS8_PT7_S7_li.kd
    .uniform_work_group_size: 1
    .uses_dynamic_stack: false
    .vgpr_count:     87
    .vgpr_spill_count: 0
    .wavefront_size: 32
    .workgroup_processor_mode: 1
  - .args:
      - .offset:         0
        .size:           4
        .value_kind:     by_value
      - .offset:         8
        .size:           8
        .value_kind:     by_value
      - .offset:         16
        .size:           8
        .value_kind:     by_value
      - .address_space:  global
        .offset:         24
        .size:           8
        .value_kind:     global_buffer
      - .offset:         32
        .size:           8
        .value_kind:     by_value
      - .offset:         40
        .size:           8
        .value_kind:     by_value
      - .address_space:  global
        .offset:         48
        .size:           8
        .value_kind:     global_buffer
      - .offset:         56
        .size:           8
        .value_kind:     by_value
      - .offset:         64
        .size:           8
        .value_kind:     by_value
      - .offset:         72
        .size:           8
        .value_kind:     by_value
      - .address_space:  global
        .offset:         80
        .size:           8
        .value_kind:     global_buffer
      - .offset:         88
        .size:           8
        .value_kind:     by_value
      - .offset:         96
        .size:           8
        .value_kind:     by_value
      - .offset:         104
        .size:           4
        .value_kind:     by_value
    .group_segment_fixed_size: 4096
    .kernarg_segment_align: 8
    .kernarg_segment_size: 108
    .language:       OpenCL C
    .language_version:
      - 2
      - 0
    .max_flat_workgroup_size: 256
    .name:           _ZL41rocblas_syrkx_herkx_small_restrict_kernelIl19rocblas_complex_numIfELi16ELb0ELb1ELc78ELc76EKPKS1_KPS1_EviT_T0_PT6_S7_lSA_S7_lS8_PT7_S7_li
    .private_segment_fixed_size: 0
    .sgpr_count:     26
    .sgpr_spill_count: 0
    .symbol:         _ZL41rocblas_syrkx_herkx_small_restrict_kernelIl19rocblas_complex_numIfELi16ELb0ELb1ELc78ELc76EKPKS1_KPS1_EviT_T0_PT6_S7_lSA_S7_lS8_PT7_S7_li.kd
    .uniform_work_group_size: 1
    .uses_dynamic_stack: false
    .vgpr_count:     87
    .vgpr_spill_count: 0
    .wavefront_size: 32
    .workgroup_processor_mode: 1
  - .args:
      - .offset:         0
        .size:           4
        .value_kind:     by_value
      - .offset:         8
        .size:           8
        .value_kind:     by_value
      - .offset:         16
        .size:           8
        .value_kind:     by_value
      - .address_space:  global
        .offset:         24
        .size:           8
        .value_kind:     global_buffer
      - .offset:         32
        .size:           8
        .value_kind:     by_value
      - .offset:         40
        .size:           8
        .value_kind:     by_value
      - .address_space:  global
        .offset:         48
        .size:           8
        .value_kind:     global_buffer
      - .offset:         56
        .size:           8
        .value_kind:     by_value
      - .offset:         64
        .size:           8
        .value_kind:     by_value
      - .offset:         72
        .size:           8
        .value_kind:     by_value
      - .address_space:  global
        .offset:         80
        .size:           8
        .value_kind:     global_buffer
      - .offset:         88
        .size:           8
        .value_kind:     by_value
      - .offset:         96
        .size:           8
        .value_kind:     by_value
      - .offset:         104
        .size:           4
        .value_kind:     by_value
    .group_segment_fixed_size: 4096
    .kernarg_segment_align: 8
    .kernarg_segment_size: 108
    .language:       OpenCL C
    .language_version:
      - 2
      - 0
    .max_flat_workgroup_size: 256
    .name:           _ZL41rocblas_syrkx_herkx_small_restrict_kernelIl19rocblas_complex_numIfELi16ELb0ELb1ELc84ELc85EKPKS1_KPS1_EviT_T0_PT6_S7_lSA_S7_lS8_PT7_S7_li
    .private_segment_fixed_size: 0
    .sgpr_count:     24
    .sgpr_spill_count: 0
    .symbol:         _ZL41rocblas_syrkx_herkx_small_restrict_kernelIl19rocblas_complex_numIfELi16ELb0ELb1ELc84ELc85EKPKS1_KPS1_EviT_T0_PT6_S7_lSA_S7_lS8_PT7_S7_li.kd
    .uniform_work_group_size: 1
    .uses_dynamic_stack: false
    .vgpr_count:     87
    .vgpr_spill_count: 0
    .wavefront_size: 32
    .workgroup_processor_mode: 1
  - .args:
      - .offset:         0
        .size:           4
        .value_kind:     by_value
      - .offset:         8
        .size:           8
        .value_kind:     by_value
      - .offset:         16
        .size:           8
        .value_kind:     by_value
      - .address_space:  global
        .offset:         24
        .size:           8
        .value_kind:     global_buffer
      - .offset:         32
        .size:           8
        .value_kind:     by_value
      - .offset:         40
        .size:           8
        .value_kind:     by_value
      - .address_space:  global
        .offset:         48
        .size:           8
        .value_kind:     global_buffer
      - .offset:         56
        .size:           8
        .value_kind:     by_value
      - .offset:         64
        .size:           8
        .value_kind:     by_value
      - .offset:         72
        .size:           8
        .value_kind:     by_value
      - .address_space:  global
        .offset:         80
        .size:           8
        .value_kind:     global_buffer
      - .offset:         88
        .size:           8
        .value_kind:     by_value
      - .offset:         96
        .size:           8
        .value_kind:     by_value
      - .offset:         104
        .size:           4
        .value_kind:     by_value
    .group_segment_fixed_size: 4096
    .kernarg_segment_align: 8
    .kernarg_segment_size: 108
    .language:       OpenCL C
    .language_version:
      - 2
      - 0
    .max_flat_workgroup_size: 256
    .name:           _ZL41rocblas_syrkx_herkx_small_restrict_kernelIl19rocblas_complex_numIfELi16ELb0ELb1ELc67ELc85EKPKS1_KPS1_EviT_T0_PT6_S7_lSA_S7_lS8_PT7_S7_li
    .private_segment_fixed_size: 0
    .sgpr_count:     24
    .sgpr_spill_count: 0
    .symbol:         _ZL41rocblas_syrkx_herkx_small_restrict_kernelIl19rocblas_complex_numIfELi16ELb0ELb1ELc67ELc85EKPKS1_KPS1_EviT_T0_PT6_S7_lSA_S7_lS8_PT7_S7_li.kd
    .uniform_work_group_size: 1
    .uses_dynamic_stack: false
    .vgpr_count:     87
    .vgpr_spill_count: 0
    .wavefront_size: 32
    .workgroup_processor_mode: 1
  - .args:
      - .offset:         0
        .size:           4
        .value_kind:     by_value
      - .offset:         8
        .size:           8
        .value_kind:     by_value
      - .offset:         16
        .size:           8
        .value_kind:     by_value
      - .address_space:  global
        .offset:         24
        .size:           8
        .value_kind:     global_buffer
      - .offset:         32
        .size:           8
        .value_kind:     by_value
      - .offset:         40
        .size:           8
        .value_kind:     by_value
      - .address_space:  global
        .offset:         48
        .size:           8
        .value_kind:     global_buffer
      - .offset:         56
        .size:           8
        .value_kind:     by_value
      - .offset:         64
        .size:           8
        .value_kind:     by_value
      - .offset:         72
        .size:           8
        .value_kind:     by_value
      - .address_space:  global
        .offset:         80
        .size:           8
        .value_kind:     global_buffer
      - .offset:         88
        .size:           8
        .value_kind:     by_value
      - .offset:         96
        .size:           8
        .value_kind:     by_value
      - .offset:         104
        .size:           4
        .value_kind:     by_value
    .group_segment_fixed_size: 4096
    .kernarg_segment_align: 8
    .kernarg_segment_size: 108
    .language:       OpenCL C
    .language_version:
      - 2
      - 0
    .max_flat_workgroup_size: 256
    .name:           _ZL41rocblas_syrkx_herkx_small_restrict_kernelIl19rocblas_complex_numIfELi16ELb0ELb1ELc78ELc85EKPKS1_KPS1_EviT_T0_PT6_S7_lSA_S7_lS8_PT7_S7_li
    .private_segment_fixed_size: 0
    .sgpr_count:     26
    .sgpr_spill_count: 0
    .symbol:         _ZL41rocblas_syrkx_herkx_small_restrict_kernelIl19rocblas_complex_numIfELi16ELb0ELb1ELc78ELc85EKPKS1_KPS1_EviT_T0_PT6_S7_lSA_S7_lS8_PT7_S7_li.kd
    .uniform_work_group_size: 1
    .uses_dynamic_stack: false
    .vgpr_count:     87
    .vgpr_spill_count: 0
    .wavefront_size: 32
    .workgroup_processor_mode: 1
  - .args:
      - .offset:         0
        .size:           4
        .value_kind:     by_value
      - .offset:         8
        .size:           8
        .value_kind:     by_value
      - .offset:         16
        .size:           8
        .value_kind:     by_value
      - .address_space:  global
        .offset:         24
        .size:           8
        .value_kind:     global_buffer
      - .offset:         32
        .size:           8
        .value_kind:     by_value
      - .offset:         40
        .size:           8
        .value_kind:     by_value
      - .address_space:  global
        .offset:         48
        .size:           8
        .value_kind:     global_buffer
      - .offset:         56
        .size:           8
        .value_kind:     by_value
      - .offset:         64
        .size:           8
        .value_kind:     by_value
      - .offset:         72
        .size:           8
        .value_kind:     by_value
      - .address_space:  global
        .offset:         80
        .size:           8
        .value_kind:     global_buffer
      - .offset:         88
        .size:           8
        .value_kind:     by_value
      - .offset:         96
        .size:           8
        .value_kind:     by_value
      - .offset:         104
        .size:           4
        .value_kind:     by_value
    .group_segment_fixed_size: 4096
    .kernarg_segment_align: 8
    .kernarg_segment_size: 108
    .language:       OpenCL C
    .language_version:
      - 2
      - 0
    .max_flat_workgroup_size: 256
    .name:           _ZL32rocblas_syrkx_herkx_small_kernelIl19rocblas_complex_numIfELi16ELb1ELb1ELc84ELc76EKPKS1_KPS1_EviT_T0_PT6_S7_lSA_S7_lS8_PT7_S7_li
    .private_segment_fixed_size: 0
    .sgpr_count:     24
    .sgpr_spill_count: 0
    .symbol:         _ZL32rocblas_syrkx_herkx_small_kernelIl19rocblas_complex_numIfELi16ELb1ELb1ELc84ELc76EKPKS1_KPS1_EviT_T0_PT6_S7_lSA_S7_lS8_PT7_S7_li.kd
    .uniform_work_group_size: 1
    .uses_dynamic_stack: false
    .vgpr_count:     70
    .vgpr_spill_count: 0
    .wavefront_size: 32
    .workgroup_processor_mode: 1
  - .args:
      - .offset:         0
        .size:           4
        .value_kind:     by_value
      - .offset:         8
        .size:           8
        .value_kind:     by_value
      - .offset:         16
        .size:           8
        .value_kind:     by_value
      - .address_space:  global
        .offset:         24
        .size:           8
        .value_kind:     global_buffer
      - .offset:         32
        .size:           8
        .value_kind:     by_value
      - .offset:         40
        .size:           8
        .value_kind:     by_value
      - .address_space:  global
        .offset:         48
        .size:           8
        .value_kind:     global_buffer
      - .offset:         56
        .size:           8
        .value_kind:     by_value
      - .offset:         64
        .size:           8
        .value_kind:     by_value
      - .offset:         72
        .size:           8
        .value_kind:     by_value
      - .address_space:  global
        .offset:         80
        .size:           8
        .value_kind:     global_buffer
      - .offset:         88
        .size:           8
        .value_kind:     by_value
      - .offset:         96
        .size:           8
        .value_kind:     by_value
      - .offset:         104
        .size:           4
        .value_kind:     by_value
    .group_segment_fixed_size: 4096
    .kernarg_segment_align: 8
    .kernarg_segment_size: 108
    .language:       OpenCL C
    .language_version:
      - 2
      - 0
    .max_flat_workgroup_size: 256
    .name:           _ZL32rocblas_syrkx_herkx_small_kernelIl19rocblas_complex_numIfELi16ELb1ELb1ELc67ELc76EKPKS1_KPS1_EviT_T0_PT6_S7_lSA_S7_lS8_PT7_S7_li
    .private_segment_fixed_size: 0
    .sgpr_count:     24
    .sgpr_spill_count: 0
    .symbol:         _ZL32rocblas_syrkx_herkx_small_kernelIl19rocblas_complex_numIfELi16ELb1ELb1ELc67ELc76EKPKS1_KPS1_EviT_T0_PT6_S7_lSA_S7_lS8_PT7_S7_li.kd
    .uniform_work_group_size: 1
    .uses_dynamic_stack: false
    .vgpr_count:     70
    .vgpr_spill_count: 0
    .wavefront_size: 32
    .workgroup_processor_mode: 1
  - .args:
      - .offset:         0
        .size:           4
        .value_kind:     by_value
      - .offset:         8
        .size:           8
        .value_kind:     by_value
      - .offset:         16
        .size:           8
        .value_kind:     by_value
      - .address_space:  global
        .offset:         24
        .size:           8
        .value_kind:     global_buffer
      - .offset:         32
        .size:           8
        .value_kind:     by_value
      - .offset:         40
        .size:           8
        .value_kind:     by_value
      - .address_space:  global
        .offset:         48
        .size:           8
        .value_kind:     global_buffer
      - .offset:         56
        .size:           8
        .value_kind:     by_value
      - .offset:         64
        .size:           8
        .value_kind:     by_value
      - .offset:         72
        .size:           8
        .value_kind:     by_value
      - .address_space:  global
        .offset:         80
        .size:           8
        .value_kind:     global_buffer
      - .offset:         88
        .size:           8
        .value_kind:     by_value
      - .offset:         96
        .size:           8
        .value_kind:     by_value
      - .offset:         104
        .size:           4
        .value_kind:     by_value
    .group_segment_fixed_size: 4096
    .kernarg_segment_align: 8
    .kernarg_segment_size: 108
    .language:       OpenCL C
    .language_version:
      - 2
      - 0
    .max_flat_workgroup_size: 256
    .name:           _ZL32rocblas_syrkx_herkx_small_kernelIl19rocblas_complex_numIfELi16ELb1ELb1ELc78ELc76EKPKS1_KPS1_EviT_T0_PT6_S7_lSA_S7_lS8_PT7_S7_li
    .private_segment_fixed_size: 0
    .sgpr_count:     24
    .sgpr_spill_count: 0
    .symbol:         _ZL32rocblas_syrkx_herkx_small_kernelIl19rocblas_complex_numIfELi16ELb1ELb1ELc78ELc76EKPKS1_KPS1_EviT_T0_PT6_S7_lSA_S7_lS8_PT7_S7_li.kd
    .uniform_work_group_size: 1
    .uses_dynamic_stack: false
    .vgpr_count:     70
    .vgpr_spill_count: 0
    .wavefront_size: 32
    .workgroup_processor_mode: 1
  - .args:
      - .offset:         0
        .size:           4
        .value_kind:     by_value
      - .offset:         8
        .size:           8
        .value_kind:     by_value
      - .offset:         16
        .size:           8
        .value_kind:     by_value
      - .address_space:  global
        .offset:         24
        .size:           8
        .value_kind:     global_buffer
      - .offset:         32
        .size:           8
        .value_kind:     by_value
      - .offset:         40
        .size:           8
        .value_kind:     by_value
      - .address_space:  global
        .offset:         48
        .size:           8
        .value_kind:     global_buffer
      - .offset:         56
        .size:           8
        .value_kind:     by_value
      - .offset:         64
        .size:           8
        .value_kind:     by_value
      - .offset:         72
        .size:           8
        .value_kind:     by_value
      - .address_space:  global
        .offset:         80
        .size:           8
        .value_kind:     global_buffer
      - .offset:         88
        .size:           8
        .value_kind:     by_value
      - .offset:         96
        .size:           8
        .value_kind:     by_value
      - .offset:         104
        .size:           4
        .value_kind:     by_value
    .group_segment_fixed_size: 4096
    .kernarg_segment_align: 8
    .kernarg_segment_size: 108
    .language:       OpenCL C
    .language_version:
      - 2
      - 0
    .max_flat_workgroup_size: 256
    .name:           _ZL32rocblas_syrkx_herkx_small_kernelIl19rocblas_complex_numIfELi16ELb1ELb1ELc84ELc85EKPKS1_KPS1_EviT_T0_PT6_S7_lSA_S7_lS8_PT7_S7_li
    .private_segment_fixed_size: 0
    .sgpr_count:     24
    .sgpr_spill_count: 0
    .symbol:         _ZL32rocblas_syrkx_herkx_small_kernelIl19rocblas_complex_numIfELi16ELb1ELb1ELc84ELc85EKPKS1_KPS1_EviT_T0_PT6_S7_lSA_S7_lS8_PT7_S7_li.kd
    .uniform_work_group_size: 1
    .uses_dynamic_stack: false
    .vgpr_count:     70
    .vgpr_spill_count: 0
    .wavefront_size: 32
    .workgroup_processor_mode: 1
  - .args:
      - .offset:         0
        .size:           4
        .value_kind:     by_value
      - .offset:         8
        .size:           8
        .value_kind:     by_value
      - .offset:         16
        .size:           8
        .value_kind:     by_value
      - .address_space:  global
        .offset:         24
        .size:           8
        .value_kind:     global_buffer
      - .offset:         32
        .size:           8
        .value_kind:     by_value
      - .offset:         40
        .size:           8
        .value_kind:     by_value
      - .address_space:  global
        .offset:         48
        .size:           8
        .value_kind:     global_buffer
      - .offset:         56
        .size:           8
        .value_kind:     by_value
      - .offset:         64
        .size:           8
        .value_kind:     by_value
      - .offset:         72
        .size:           8
        .value_kind:     by_value
      - .address_space:  global
        .offset:         80
        .size:           8
        .value_kind:     global_buffer
      - .offset:         88
        .size:           8
        .value_kind:     by_value
      - .offset:         96
        .size:           8
        .value_kind:     by_value
      - .offset:         104
        .size:           4
        .value_kind:     by_value
    .group_segment_fixed_size: 4096
    .kernarg_segment_align: 8
    .kernarg_segment_size: 108
    .language:       OpenCL C
    .language_version:
      - 2
      - 0
    .max_flat_workgroup_size: 256
    .name:           _ZL32rocblas_syrkx_herkx_small_kernelIl19rocblas_complex_numIfELi16ELb1ELb1ELc67ELc85EKPKS1_KPS1_EviT_T0_PT6_S7_lSA_S7_lS8_PT7_S7_li
    .private_segment_fixed_size: 0
    .sgpr_count:     24
    .sgpr_spill_count: 0
    .symbol:         _ZL32rocblas_syrkx_herkx_small_kernelIl19rocblas_complex_numIfELi16ELb1ELb1ELc67ELc85EKPKS1_KPS1_EviT_T0_PT6_S7_lSA_S7_lS8_PT7_S7_li.kd
    .uniform_work_group_size: 1
    .uses_dynamic_stack: false
    .vgpr_count:     70
    .vgpr_spill_count: 0
    .wavefront_size: 32
    .workgroup_processor_mode: 1
  - .args:
      - .offset:         0
        .size:           4
        .value_kind:     by_value
      - .offset:         8
        .size:           8
        .value_kind:     by_value
      - .offset:         16
        .size:           8
        .value_kind:     by_value
      - .address_space:  global
        .offset:         24
        .size:           8
        .value_kind:     global_buffer
      - .offset:         32
        .size:           8
        .value_kind:     by_value
      - .offset:         40
        .size:           8
        .value_kind:     by_value
      - .address_space:  global
        .offset:         48
        .size:           8
        .value_kind:     global_buffer
      - .offset:         56
        .size:           8
        .value_kind:     by_value
      - .offset:         64
        .size:           8
        .value_kind:     by_value
      - .offset:         72
        .size:           8
        .value_kind:     by_value
      - .address_space:  global
        .offset:         80
        .size:           8
        .value_kind:     global_buffer
      - .offset:         88
        .size:           8
        .value_kind:     by_value
      - .offset:         96
        .size:           8
        .value_kind:     by_value
      - .offset:         104
        .size:           4
        .value_kind:     by_value
    .group_segment_fixed_size: 4096
    .kernarg_segment_align: 8
    .kernarg_segment_size: 108
    .language:       OpenCL C
    .language_version:
      - 2
      - 0
    .max_flat_workgroup_size: 256
    .name:           _ZL32rocblas_syrkx_herkx_small_kernelIl19rocblas_complex_numIfELi16ELb1ELb1ELc78ELc85EKPKS1_KPS1_EviT_T0_PT6_S7_lSA_S7_lS8_PT7_S7_li
    .private_segment_fixed_size: 0
    .sgpr_count:     24
    .sgpr_spill_count: 0
    .symbol:         _ZL32rocblas_syrkx_herkx_small_kernelIl19rocblas_complex_numIfELi16ELb1ELb1ELc78ELc85EKPKS1_KPS1_EviT_T0_PT6_S7_lSA_S7_lS8_PT7_S7_li.kd
    .uniform_work_group_size: 1
    .uses_dynamic_stack: false
    .vgpr_count:     70
    .vgpr_spill_count: 0
    .wavefront_size: 32
    .workgroup_processor_mode: 1
  - .args:
      - .offset:         0
        .size:           4
        .value_kind:     by_value
      - .offset:         8
        .size:           8
        .value_kind:     by_value
      - .offset:         16
        .size:           8
        .value_kind:     by_value
      - .address_space:  global
        .offset:         24
        .size:           8
        .value_kind:     global_buffer
      - .offset:         32
        .size:           8
        .value_kind:     by_value
      - .offset:         40
        .size:           8
        .value_kind:     by_value
      - .address_space:  global
        .offset:         48
        .size:           8
        .value_kind:     global_buffer
      - .offset:         56
        .size:           8
        .value_kind:     by_value
      - .offset:         64
        .size:           8
        .value_kind:     by_value
      - .offset:         72
        .size:           8
        .value_kind:     by_value
      - .address_space:  global
        .offset:         80
        .size:           8
        .value_kind:     global_buffer
      - .offset:         88
        .size:           8
        .value_kind:     by_value
      - .offset:         96
        .size:           8
        .value_kind:     by_value
      - .offset:         104
        .size:           4
        .value_kind:     by_value
    .group_segment_fixed_size: 4096
    .kernarg_segment_align: 8
    .kernarg_segment_size: 108
    .language:       OpenCL C
    .language_version:
      - 2
      - 0
    .max_flat_workgroup_size: 256
    .name:           _ZL32rocblas_syrkx_herkx_small_kernelIl19rocblas_complex_numIfELi16ELb0ELb1ELc84ELc76EKPKS1_KPS1_EviT_T0_PT6_S7_lSA_S7_lS8_PT7_S7_li
    .private_segment_fixed_size: 0
    .sgpr_count:     26
    .sgpr_spill_count: 0
    .symbol:         _ZL32rocblas_syrkx_herkx_small_kernelIl19rocblas_complex_numIfELi16ELb0ELb1ELc84ELc76EKPKS1_KPS1_EviT_T0_PT6_S7_lSA_S7_lS8_PT7_S7_li.kd
    .uniform_work_group_size: 1
    .uses_dynamic_stack: false
    .vgpr_count:     70
    .vgpr_spill_count: 0
    .wavefront_size: 32
    .workgroup_processor_mode: 1
  - .args:
      - .offset:         0
        .size:           4
        .value_kind:     by_value
      - .offset:         8
        .size:           8
        .value_kind:     by_value
      - .offset:         16
        .size:           8
        .value_kind:     by_value
      - .address_space:  global
        .offset:         24
        .size:           8
        .value_kind:     global_buffer
      - .offset:         32
        .size:           8
        .value_kind:     by_value
      - .offset:         40
        .size:           8
        .value_kind:     by_value
      - .address_space:  global
        .offset:         48
        .size:           8
        .value_kind:     global_buffer
      - .offset:         56
        .size:           8
        .value_kind:     by_value
      - .offset:         64
        .size:           8
        .value_kind:     by_value
      - .offset:         72
        .size:           8
        .value_kind:     by_value
      - .address_space:  global
        .offset:         80
        .size:           8
        .value_kind:     global_buffer
      - .offset:         88
        .size:           8
        .value_kind:     by_value
      - .offset:         96
        .size:           8
        .value_kind:     by_value
      - .offset:         104
        .size:           4
        .value_kind:     by_value
    .group_segment_fixed_size: 4096
    .kernarg_segment_align: 8
    .kernarg_segment_size: 108
    .language:       OpenCL C
    .language_version:
      - 2
      - 0
    .max_flat_workgroup_size: 256
    .name:           _ZL32rocblas_syrkx_herkx_small_kernelIl19rocblas_complex_numIfELi16ELb0ELb1ELc67ELc76EKPKS1_KPS1_EviT_T0_PT6_S7_lSA_S7_lS8_PT7_S7_li
    .private_segment_fixed_size: 0
    .sgpr_count:     26
    .sgpr_spill_count: 0
    .symbol:         _ZL32rocblas_syrkx_herkx_small_kernelIl19rocblas_complex_numIfELi16ELb0ELb1ELc67ELc76EKPKS1_KPS1_EviT_T0_PT6_S7_lSA_S7_lS8_PT7_S7_li.kd
    .uniform_work_group_size: 1
    .uses_dynamic_stack: false
    .vgpr_count:     70
    .vgpr_spill_count: 0
    .wavefront_size: 32
    .workgroup_processor_mode: 1
  - .args:
      - .offset:         0
        .size:           4
        .value_kind:     by_value
      - .offset:         8
        .size:           8
        .value_kind:     by_value
      - .offset:         16
        .size:           8
        .value_kind:     by_value
      - .address_space:  global
        .offset:         24
        .size:           8
        .value_kind:     global_buffer
      - .offset:         32
        .size:           8
        .value_kind:     by_value
      - .offset:         40
        .size:           8
        .value_kind:     by_value
      - .address_space:  global
        .offset:         48
        .size:           8
        .value_kind:     global_buffer
      - .offset:         56
        .size:           8
        .value_kind:     by_value
      - .offset:         64
        .size:           8
        .value_kind:     by_value
      - .offset:         72
        .size:           8
        .value_kind:     by_value
      - .address_space:  global
        .offset:         80
        .size:           8
        .value_kind:     global_buffer
      - .offset:         88
        .size:           8
        .value_kind:     by_value
      - .offset:         96
        .size:           8
        .value_kind:     by_value
      - .offset:         104
        .size:           4
        .value_kind:     by_value
    .group_segment_fixed_size: 4096
    .kernarg_segment_align: 8
    .kernarg_segment_size: 108
    .language:       OpenCL C
    .language_version:
      - 2
      - 0
    .max_flat_workgroup_size: 256
    .name:           _ZL32rocblas_syrkx_herkx_small_kernelIl19rocblas_complex_numIfELi16ELb0ELb1ELc78ELc76EKPKS1_KPS1_EviT_T0_PT6_S7_lSA_S7_lS8_PT7_S7_li
    .private_segment_fixed_size: 0
    .sgpr_count:     26
    .sgpr_spill_count: 0
    .symbol:         _ZL32rocblas_syrkx_herkx_small_kernelIl19rocblas_complex_numIfELi16ELb0ELb1ELc78ELc76EKPKS1_KPS1_EviT_T0_PT6_S7_lSA_S7_lS8_PT7_S7_li.kd
    .uniform_work_group_size: 1
    .uses_dynamic_stack: false
    .vgpr_count:     70
    .vgpr_spill_count: 0
    .wavefront_size: 32
    .workgroup_processor_mode: 1
  - .args:
      - .offset:         0
        .size:           4
        .value_kind:     by_value
      - .offset:         8
        .size:           8
        .value_kind:     by_value
      - .offset:         16
        .size:           8
        .value_kind:     by_value
      - .address_space:  global
        .offset:         24
        .size:           8
        .value_kind:     global_buffer
      - .offset:         32
        .size:           8
        .value_kind:     by_value
      - .offset:         40
        .size:           8
        .value_kind:     by_value
      - .address_space:  global
        .offset:         48
        .size:           8
        .value_kind:     global_buffer
      - .offset:         56
        .size:           8
        .value_kind:     by_value
      - .offset:         64
        .size:           8
        .value_kind:     by_value
      - .offset:         72
        .size:           8
        .value_kind:     by_value
      - .address_space:  global
        .offset:         80
        .size:           8
        .value_kind:     global_buffer
      - .offset:         88
        .size:           8
        .value_kind:     by_value
      - .offset:         96
        .size:           8
        .value_kind:     by_value
      - .offset:         104
        .size:           4
        .value_kind:     by_value
    .group_segment_fixed_size: 4096
    .kernarg_segment_align: 8
    .kernarg_segment_size: 108
    .language:       OpenCL C
    .language_version:
      - 2
      - 0
    .max_flat_workgroup_size: 256
    .name:           _ZL32rocblas_syrkx_herkx_small_kernelIl19rocblas_complex_numIfELi16ELb0ELb1ELc84ELc85EKPKS1_KPS1_EviT_T0_PT6_S7_lSA_S7_lS8_PT7_S7_li
    .private_segment_fixed_size: 0
    .sgpr_count:     26
    .sgpr_spill_count: 0
    .symbol:         _ZL32rocblas_syrkx_herkx_small_kernelIl19rocblas_complex_numIfELi16ELb0ELb1ELc84ELc85EKPKS1_KPS1_EviT_T0_PT6_S7_lSA_S7_lS8_PT7_S7_li.kd
    .uniform_work_group_size: 1
    .uses_dynamic_stack: false
    .vgpr_count:     70
    .vgpr_spill_count: 0
    .wavefront_size: 32
    .workgroup_processor_mode: 1
  - .args:
      - .offset:         0
        .size:           4
        .value_kind:     by_value
      - .offset:         8
        .size:           8
        .value_kind:     by_value
      - .offset:         16
        .size:           8
        .value_kind:     by_value
      - .address_space:  global
        .offset:         24
        .size:           8
        .value_kind:     global_buffer
      - .offset:         32
        .size:           8
        .value_kind:     by_value
      - .offset:         40
        .size:           8
        .value_kind:     by_value
      - .address_space:  global
        .offset:         48
        .size:           8
        .value_kind:     global_buffer
      - .offset:         56
        .size:           8
        .value_kind:     by_value
      - .offset:         64
        .size:           8
        .value_kind:     by_value
      - .offset:         72
        .size:           8
        .value_kind:     by_value
      - .address_space:  global
        .offset:         80
        .size:           8
        .value_kind:     global_buffer
      - .offset:         88
        .size:           8
        .value_kind:     by_value
      - .offset:         96
        .size:           8
        .value_kind:     by_value
      - .offset:         104
        .size:           4
        .value_kind:     by_value
    .group_segment_fixed_size: 4096
    .kernarg_segment_align: 8
    .kernarg_segment_size: 108
    .language:       OpenCL C
    .language_version:
      - 2
      - 0
    .max_flat_workgroup_size: 256
    .name:           _ZL32rocblas_syrkx_herkx_small_kernelIl19rocblas_complex_numIfELi16ELb0ELb1ELc67ELc85EKPKS1_KPS1_EviT_T0_PT6_S7_lSA_S7_lS8_PT7_S7_li
    .private_segment_fixed_size: 0
    .sgpr_count:     26
    .sgpr_spill_count: 0
    .symbol:         _ZL32rocblas_syrkx_herkx_small_kernelIl19rocblas_complex_numIfELi16ELb0ELb1ELc67ELc85EKPKS1_KPS1_EviT_T0_PT6_S7_lSA_S7_lS8_PT7_S7_li.kd
    .uniform_work_group_size: 1
    .uses_dynamic_stack: false
    .vgpr_count:     70
    .vgpr_spill_count: 0
    .wavefront_size: 32
    .workgroup_processor_mode: 1
  - .args:
      - .offset:         0
        .size:           4
        .value_kind:     by_value
      - .offset:         8
        .size:           8
        .value_kind:     by_value
      - .offset:         16
        .size:           8
        .value_kind:     by_value
      - .address_space:  global
        .offset:         24
        .size:           8
        .value_kind:     global_buffer
      - .offset:         32
        .size:           8
        .value_kind:     by_value
      - .offset:         40
        .size:           8
        .value_kind:     by_value
      - .address_space:  global
        .offset:         48
        .size:           8
        .value_kind:     global_buffer
      - .offset:         56
        .size:           8
        .value_kind:     by_value
      - .offset:         64
        .size:           8
        .value_kind:     by_value
      - .offset:         72
        .size:           8
        .value_kind:     by_value
      - .address_space:  global
        .offset:         80
        .size:           8
        .value_kind:     global_buffer
      - .offset:         88
        .size:           8
        .value_kind:     by_value
      - .offset:         96
        .size:           8
        .value_kind:     by_value
      - .offset:         104
        .size:           4
        .value_kind:     by_value
    .group_segment_fixed_size: 4096
    .kernarg_segment_align: 8
    .kernarg_segment_size: 108
    .language:       OpenCL C
    .language_version:
      - 2
      - 0
    .max_flat_workgroup_size: 256
    .name:           _ZL32rocblas_syrkx_herkx_small_kernelIl19rocblas_complex_numIfELi16ELb0ELb1ELc78ELc85EKPKS1_KPS1_EviT_T0_PT6_S7_lSA_S7_lS8_PT7_S7_li
    .private_segment_fixed_size: 0
    .sgpr_count:     26
    .sgpr_spill_count: 0
    .symbol:         _ZL32rocblas_syrkx_herkx_small_kernelIl19rocblas_complex_numIfELi16ELb0ELb1ELc78ELc85EKPKS1_KPS1_EviT_T0_PT6_S7_lSA_S7_lS8_PT7_S7_li.kd
    .uniform_work_group_size: 1
    .uses_dynamic_stack: false
    .vgpr_count:     70
    .vgpr_spill_count: 0
    .wavefront_size: 32
    .workgroup_processor_mode: 1
  - .args:
      - .offset:         0
        .size:           4
        .value_kind:     by_value
      - .offset:         8
        .size:           8
        .value_kind:     by_value
      - .offset:         16
        .size:           8
        .value_kind:     by_value
      - .address_space:  global
        .offset:         24
        .size:           8
        .value_kind:     global_buffer
      - .offset:         32
        .size:           8
        .value_kind:     by_value
      - .offset:         40
        .size:           8
        .value_kind:     by_value
      - .address_space:  global
        .offset:         48
        .size:           8
        .value_kind:     global_buffer
      - .offset:         56
        .size:           8
        .value_kind:     by_value
      - .offset:         64
        .size:           8
        .value_kind:     by_value
      - .offset:         72
        .size:           8
        .value_kind:     by_value
      - .address_space:  global
        .offset:         80
        .size:           8
        .value_kind:     global_buffer
      - .offset:         88
        .size:           8
        .value_kind:     by_value
      - .offset:         96
        .size:           8
        .value_kind:     by_value
      - .offset:         104
        .size:           4
        .value_kind:     by_value
    .group_segment_fixed_size: 4096
    .kernarg_segment_align: 8
    .kernarg_segment_size: 108
    .language:       OpenCL C
    .language_version:
      - 2
      - 0
    .max_flat_workgroup_size: 256
    .name:           _ZL34rocblas_syrkx_herkx_general_kernelIl19rocblas_complex_numIfELi16ELi32ELi8ELb1ELb1ELc84ELc76EKPKS1_KPS1_EviT_T0_PT8_S7_lSA_S7_lS8_PT9_S7_li
    .private_segment_fixed_size: 0
    .sgpr_count:     24
    .sgpr_spill_count: 0
    .symbol:         _ZL34rocblas_syrkx_herkx_general_kernelIl19rocblas_complex_numIfELi16ELi32ELi8ELb1ELb1ELc84ELc76EKPKS1_KPS1_EviT_T0_PT8_S7_lSA_S7_lS8_PT9_S7_li.kd
    .uniform_work_group_size: 1
    .uses_dynamic_stack: false
    .vgpr_count:     59
    .vgpr_spill_count: 0
    .wavefront_size: 32
    .workgroup_processor_mode: 1
  - .args:
      - .offset:         0
        .size:           4
        .value_kind:     by_value
      - .offset:         8
        .size:           8
        .value_kind:     by_value
      - .offset:         16
        .size:           8
        .value_kind:     by_value
      - .address_space:  global
        .offset:         24
        .size:           8
        .value_kind:     global_buffer
      - .offset:         32
        .size:           8
        .value_kind:     by_value
      - .offset:         40
        .size:           8
        .value_kind:     by_value
      - .address_space:  global
        .offset:         48
        .size:           8
        .value_kind:     global_buffer
      - .offset:         56
        .size:           8
        .value_kind:     by_value
      - .offset:         64
        .size:           8
        .value_kind:     by_value
      - .offset:         72
        .size:           8
        .value_kind:     by_value
      - .address_space:  global
        .offset:         80
        .size:           8
        .value_kind:     global_buffer
      - .offset:         88
        .size:           8
        .value_kind:     by_value
      - .offset:         96
        .size:           8
        .value_kind:     by_value
      - .offset:         104
        .size:           4
        .value_kind:     by_value
    .group_segment_fixed_size: 4096
    .kernarg_segment_align: 8
    .kernarg_segment_size: 108
    .language:       OpenCL C
    .language_version:
      - 2
      - 0
    .max_flat_workgroup_size: 256
    .name:           _ZL34rocblas_syrkx_herkx_general_kernelIl19rocblas_complex_numIfELi16ELi32ELi8ELb1ELb1ELc67ELc76EKPKS1_KPS1_EviT_T0_PT8_S7_lSA_S7_lS8_PT9_S7_li
    .private_segment_fixed_size: 0
    .sgpr_count:     26
    .sgpr_spill_count: 0
    .symbol:         _ZL34rocblas_syrkx_herkx_general_kernelIl19rocblas_complex_numIfELi16ELi32ELi8ELb1ELb1ELc67ELc76EKPKS1_KPS1_EviT_T0_PT8_S7_lSA_S7_lS8_PT9_S7_li.kd
    .uniform_work_group_size: 1
    .uses_dynamic_stack: false
    .vgpr_count:     59
    .vgpr_spill_count: 0
    .wavefront_size: 32
    .workgroup_processor_mode: 1
  - .args:
      - .offset:         0
        .size:           4
        .value_kind:     by_value
      - .offset:         8
        .size:           8
        .value_kind:     by_value
      - .offset:         16
        .size:           8
        .value_kind:     by_value
      - .address_space:  global
        .offset:         24
        .size:           8
        .value_kind:     global_buffer
      - .offset:         32
        .size:           8
        .value_kind:     by_value
      - .offset:         40
        .size:           8
        .value_kind:     by_value
      - .address_space:  global
        .offset:         48
        .size:           8
        .value_kind:     global_buffer
      - .offset:         56
        .size:           8
        .value_kind:     by_value
      - .offset:         64
        .size:           8
        .value_kind:     by_value
      - .offset:         72
        .size:           8
        .value_kind:     by_value
      - .address_space:  global
        .offset:         80
        .size:           8
        .value_kind:     global_buffer
      - .offset:         88
        .size:           8
        .value_kind:     by_value
      - .offset:         96
        .size:           8
        .value_kind:     by_value
      - .offset:         104
        .size:           4
        .value_kind:     by_value
    .group_segment_fixed_size: 4096
    .kernarg_segment_align: 8
    .kernarg_segment_size: 108
    .language:       OpenCL C
    .language_version:
      - 2
      - 0
    .max_flat_workgroup_size: 256
    .name:           _ZL34rocblas_syrkx_herkx_general_kernelIl19rocblas_complex_numIfELi16ELi32ELi8ELb1ELb1ELc78ELc76EKPKS1_KPS1_EviT_T0_PT8_S7_lSA_S7_lS8_PT9_S7_li
    .private_segment_fixed_size: 0
    .sgpr_count:     25
    .sgpr_spill_count: 0
    .symbol:         _ZL34rocblas_syrkx_herkx_general_kernelIl19rocblas_complex_numIfELi16ELi32ELi8ELb1ELb1ELc78ELc76EKPKS1_KPS1_EviT_T0_PT8_S7_lSA_S7_lS8_PT9_S7_li.kd
    .uniform_work_group_size: 1
    .uses_dynamic_stack: false
    .vgpr_count:     59
    .vgpr_spill_count: 0
    .wavefront_size: 32
    .workgroup_processor_mode: 1
  - .args:
      - .offset:         0
        .size:           4
        .value_kind:     by_value
      - .offset:         8
        .size:           8
        .value_kind:     by_value
      - .offset:         16
        .size:           8
        .value_kind:     by_value
      - .address_space:  global
        .offset:         24
        .size:           8
        .value_kind:     global_buffer
      - .offset:         32
        .size:           8
        .value_kind:     by_value
      - .offset:         40
        .size:           8
        .value_kind:     by_value
      - .address_space:  global
        .offset:         48
        .size:           8
        .value_kind:     global_buffer
      - .offset:         56
        .size:           8
        .value_kind:     by_value
      - .offset:         64
        .size:           8
        .value_kind:     by_value
      - .offset:         72
        .size:           8
        .value_kind:     by_value
      - .address_space:  global
        .offset:         80
        .size:           8
        .value_kind:     global_buffer
      - .offset:         88
        .size:           8
        .value_kind:     by_value
      - .offset:         96
        .size:           8
        .value_kind:     by_value
      - .offset:         104
        .size:           4
        .value_kind:     by_value
    .group_segment_fixed_size: 4096
    .kernarg_segment_align: 8
    .kernarg_segment_size: 108
    .language:       OpenCL C
    .language_version:
      - 2
      - 0
    .max_flat_workgroup_size: 256
    .name:           _ZL34rocblas_syrkx_herkx_general_kernelIl19rocblas_complex_numIfELi16ELi32ELi8ELb1ELb1ELc84ELc85EKPKS1_KPS1_EviT_T0_PT8_S7_lSA_S7_lS8_PT9_S7_li
    .private_segment_fixed_size: 0
    .sgpr_count:     24
    .sgpr_spill_count: 0
    .symbol:         _ZL34rocblas_syrkx_herkx_general_kernelIl19rocblas_complex_numIfELi16ELi32ELi8ELb1ELb1ELc84ELc85EKPKS1_KPS1_EviT_T0_PT8_S7_lSA_S7_lS8_PT9_S7_li.kd
    .uniform_work_group_size: 1
    .uses_dynamic_stack: false
    .vgpr_count:     59
    .vgpr_spill_count: 0
    .wavefront_size: 32
    .workgroup_processor_mode: 1
  - .args:
      - .offset:         0
        .size:           4
        .value_kind:     by_value
      - .offset:         8
        .size:           8
        .value_kind:     by_value
      - .offset:         16
        .size:           8
        .value_kind:     by_value
      - .address_space:  global
        .offset:         24
        .size:           8
        .value_kind:     global_buffer
      - .offset:         32
        .size:           8
        .value_kind:     by_value
      - .offset:         40
        .size:           8
        .value_kind:     by_value
      - .address_space:  global
        .offset:         48
        .size:           8
        .value_kind:     global_buffer
      - .offset:         56
        .size:           8
        .value_kind:     by_value
      - .offset:         64
        .size:           8
        .value_kind:     by_value
      - .offset:         72
        .size:           8
        .value_kind:     by_value
      - .address_space:  global
        .offset:         80
        .size:           8
        .value_kind:     global_buffer
      - .offset:         88
        .size:           8
        .value_kind:     by_value
      - .offset:         96
        .size:           8
        .value_kind:     by_value
      - .offset:         104
        .size:           4
        .value_kind:     by_value
    .group_segment_fixed_size: 4096
    .kernarg_segment_align: 8
    .kernarg_segment_size: 108
    .language:       OpenCL C
    .language_version:
      - 2
      - 0
    .max_flat_workgroup_size: 256
    .name:           _ZL34rocblas_syrkx_herkx_general_kernelIl19rocblas_complex_numIfELi16ELi32ELi8ELb1ELb1ELc67ELc85EKPKS1_KPS1_EviT_T0_PT8_S7_lSA_S7_lS8_PT9_S7_li
    .private_segment_fixed_size: 0
    .sgpr_count:     26
    .sgpr_spill_count: 0
    .symbol:         _ZL34rocblas_syrkx_herkx_general_kernelIl19rocblas_complex_numIfELi16ELi32ELi8ELb1ELb1ELc67ELc85EKPKS1_KPS1_EviT_T0_PT8_S7_lSA_S7_lS8_PT9_S7_li.kd
    .uniform_work_group_size: 1
    .uses_dynamic_stack: false
    .vgpr_count:     59
    .vgpr_spill_count: 0
    .wavefront_size: 32
    .workgroup_processor_mode: 1
  - .args:
      - .offset:         0
        .size:           4
        .value_kind:     by_value
      - .offset:         8
        .size:           8
        .value_kind:     by_value
      - .offset:         16
        .size:           8
        .value_kind:     by_value
      - .address_space:  global
        .offset:         24
        .size:           8
        .value_kind:     global_buffer
      - .offset:         32
        .size:           8
        .value_kind:     by_value
      - .offset:         40
        .size:           8
        .value_kind:     by_value
      - .address_space:  global
        .offset:         48
        .size:           8
        .value_kind:     global_buffer
      - .offset:         56
        .size:           8
        .value_kind:     by_value
      - .offset:         64
        .size:           8
        .value_kind:     by_value
      - .offset:         72
        .size:           8
        .value_kind:     by_value
      - .address_space:  global
        .offset:         80
        .size:           8
        .value_kind:     global_buffer
      - .offset:         88
        .size:           8
        .value_kind:     by_value
      - .offset:         96
        .size:           8
        .value_kind:     by_value
      - .offset:         104
        .size:           4
        .value_kind:     by_value
    .group_segment_fixed_size: 4096
    .kernarg_segment_align: 8
    .kernarg_segment_size: 108
    .language:       OpenCL C
    .language_version:
      - 2
      - 0
    .max_flat_workgroup_size: 256
    .name:           _ZL34rocblas_syrkx_herkx_general_kernelIl19rocblas_complex_numIfELi16ELi32ELi8ELb1ELb1ELc78ELc85EKPKS1_KPS1_EviT_T0_PT8_S7_lSA_S7_lS8_PT9_S7_li
    .private_segment_fixed_size: 0
    .sgpr_count:     25
    .sgpr_spill_count: 0
    .symbol:         _ZL34rocblas_syrkx_herkx_general_kernelIl19rocblas_complex_numIfELi16ELi32ELi8ELb1ELb1ELc78ELc85EKPKS1_KPS1_EviT_T0_PT8_S7_lSA_S7_lS8_PT9_S7_li.kd
    .uniform_work_group_size: 1
    .uses_dynamic_stack: false
    .vgpr_count:     59
    .vgpr_spill_count: 0
    .wavefront_size: 32
    .workgroup_processor_mode: 1
  - .args:
      - .offset:         0
        .size:           4
        .value_kind:     by_value
      - .offset:         8
        .size:           8
        .value_kind:     by_value
      - .offset:         16
        .size:           8
        .value_kind:     by_value
      - .address_space:  global
        .offset:         24
        .size:           8
        .value_kind:     global_buffer
      - .offset:         32
        .size:           8
        .value_kind:     by_value
      - .offset:         40
        .size:           8
        .value_kind:     by_value
      - .address_space:  global
        .offset:         48
        .size:           8
        .value_kind:     global_buffer
      - .offset:         56
        .size:           8
        .value_kind:     by_value
      - .offset:         64
        .size:           8
        .value_kind:     by_value
      - .offset:         72
        .size:           8
        .value_kind:     by_value
      - .address_space:  global
        .offset:         80
        .size:           8
        .value_kind:     global_buffer
      - .offset:         88
        .size:           8
        .value_kind:     by_value
      - .offset:         96
        .size:           8
        .value_kind:     by_value
      - .offset:         104
        .size:           4
        .value_kind:     by_value
    .group_segment_fixed_size: 4096
    .kernarg_segment_align: 8
    .kernarg_segment_size: 108
    .language:       OpenCL C
    .language_version:
      - 2
      - 0
    .max_flat_workgroup_size: 256
    .name:           _ZL34rocblas_syrkx_herkx_general_kernelIl19rocblas_complex_numIfELi16ELi32ELi8ELb0ELb1ELc84ELc76EKPKS1_KPS1_EviT_T0_PT8_S7_lSA_S7_lS8_PT9_S7_li
    .private_segment_fixed_size: 0
    .sgpr_count:     26
    .sgpr_spill_count: 0
    .symbol:         _ZL34rocblas_syrkx_herkx_general_kernelIl19rocblas_complex_numIfELi16ELi32ELi8ELb0ELb1ELc84ELc76EKPKS1_KPS1_EviT_T0_PT8_S7_lSA_S7_lS8_PT9_S7_li.kd
    .uniform_work_group_size: 1
    .uses_dynamic_stack: false
    .vgpr_count:     59
    .vgpr_spill_count: 0
    .wavefront_size: 32
    .workgroup_processor_mode: 1
  - .args:
      - .offset:         0
        .size:           4
        .value_kind:     by_value
      - .offset:         8
        .size:           8
        .value_kind:     by_value
      - .offset:         16
        .size:           8
        .value_kind:     by_value
      - .address_space:  global
        .offset:         24
        .size:           8
        .value_kind:     global_buffer
      - .offset:         32
        .size:           8
        .value_kind:     by_value
      - .offset:         40
        .size:           8
        .value_kind:     by_value
      - .address_space:  global
        .offset:         48
        .size:           8
        .value_kind:     global_buffer
      - .offset:         56
        .size:           8
        .value_kind:     by_value
      - .offset:         64
        .size:           8
        .value_kind:     by_value
      - .offset:         72
        .size:           8
        .value_kind:     by_value
      - .address_space:  global
        .offset:         80
        .size:           8
        .value_kind:     global_buffer
      - .offset:         88
        .size:           8
        .value_kind:     by_value
      - .offset:         96
        .size:           8
        .value_kind:     by_value
      - .offset:         104
        .size:           4
        .value_kind:     by_value
    .group_segment_fixed_size: 4096
    .kernarg_segment_align: 8
    .kernarg_segment_size: 108
    .language:       OpenCL C
    .language_version:
      - 2
      - 0
    .max_flat_workgroup_size: 256
    .name:           _ZL34rocblas_syrkx_herkx_general_kernelIl19rocblas_complex_numIfELi16ELi32ELi8ELb0ELb1ELc67ELc76EKPKS1_KPS1_EviT_T0_PT8_S7_lSA_S7_lS8_PT9_S7_li
    .private_segment_fixed_size: 0
    .sgpr_count:     28
    .sgpr_spill_count: 0
    .symbol:         _ZL34rocblas_syrkx_herkx_general_kernelIl19rocblas_complex_numIfELi16ELi32ELi8ELb0ELb1ELc67ELc76EKPKS1_KPS1_EviT_T0_PT8_S7_lSA_S7_lS8_PT9_S7_li.kd
    .uniform_work_group_size: 1
    .uses_dynamic_stack: false
    .vgpr_count:     59
    .vgpr_spill_count: 0
    .wavefront_size: 32
    .workgroup_processor_mode: 1
  - .args:
      - .offset:         0
        .size:           4
        .value_kind:     by_value
      - .offset:         8
        .size:           8
        .value_kind:     by_value
      - .offset:         16
        .size:           8
        .value_kind:     by_value
      - .address_space:  global
        .offset:         24
        .size:           8
        .value_kind:     global_buffer
      - .offset:         32
        .size:           8
        .value_kind:     by_value
      - .offset:         40
        .size:           8
        .value_kind:     by_value
      - .address_space:  global
        .offset:         48
        .size:           8
        .value_kind:     global_buffer
      - .offset:         56
        .size:           8
        .value_kind:     by_value
      - .offset:         64
        .size:           8
        .value_kind:     by_value
      - .offset:         72
        .size:           8
        .value_kind:     by_value
      - .address_space:  global
        .offset:         80
        .size:           8
        .value_kind:     global_buffer
      - .offset:         88
        .size:           8
        .value_kind:     by_value
      - .offset:         96
        .size:           8
        .value_kind:     by_value
      - .offset:         104
        .size:           4
        .value_kind:     by_value
    .group_segment_fixed_size: 4096
    .kernarg_segment_align: 8
    .kernarg_segment_size: 108
    .language:       OpenCL C
    .language_version:
      - 2
      - 0
    .max_flat_workgroup_size: 256
    .name:           _ZL34rocblas_syrkx_herkx_general_kernelIl19rocblas_complex_numIfELi16ELi32ELi8ELb0ELb1ELc78ELc76EKPKS1_KPS1_EviT_T0_PT8_S7_lSA_S7_lS8_PT9_S7_li
    .private_segment_fixed_size: 0
    .sgpr_count:     27
    .sgpr_spill_count: 0
    .symbol:         _ZL34rocblas_syrkx_herkx_general_kernelIl19rocblas_complex_numIfELi16ELi32ELi8ELb0ELb1ELc78ELc76EKPKS1_KPS1_EviT_T0_PT8_S7_lSA_S7_lS8_PT9_S7_li.kd
    .uniform_work_group_size: 1
    .uses_dynamic_stack: false
    .vgpr_count:     59
    .vgpr_spill_count: 0
    .wavefront_size: 32
    .workgroup_processor_mode: 1
  - .args:
      - .offset:         0
        .size:           4
        .value_kind:     by_value
      - .offset:         8
        .size:           8
        .value_kind:     by_value
      - .offset:         16
        .size:           8
        .value_kind:     by_value
      - .address_space:  global
        .offset:         24
        .size:           8
        .value_kind:     global_buffer
      - .offset:         32
        .size:           8
        .value_kind:     by_value
      - .offset:         40
        .size:           8
        .value_kind:     by_value
      - .address_space:  global
        .offset:         48
        .size:           8
        .value_kind:     global_buffer
      - .offset:         56
        .size:           8
        .value_kind:     by_value
      - .offset:         64
        .size:           8
        .value_kind:     by_value
      - .offset:         72
        .size:           8
        .value_kind:     by_value
      - .address_space:  global
        .offset:         80
        .size:           8
        .value_kind:     global_buffer
      - .offset:         88
        .size:           8
        .value_kind:     by_value
      - .offset:         96
        .size:           8
        .value_kind:     by_value
      - .offset:         104
        .size:           4
        .value_kind:     by_value
    .group_segment_fixed_size: 4096
    .kernarg_segment_align: 8
    .kernarg_segment_size: 108
    .language:       OpenCL C
    .language_version:
      - 2
      - 0
    .max_flat_workgroup_size: 256
    .name:           _ZL34rocblas_syrkx_herkx_general_kernelIl19rocblas_complex_numIfELi16ELi32ELi8ELb0ELb1ELc84ELc85EKPKS1_KPS1_EviT_T0_PT8_S7_lSA_S7_lS8_PT9_S7_li
    .private_segment_fixed_size: 0
    .sgpr_count:     26
    .sgpr_spill_count: 0
    .symbol:         _ZL34rocblas_syrkx_herkx_general_kernelIl19rocblas_complex_numIfELi16ELi32ELi8ELb0ELb1ELc84ELc85EKPKS1_KPS1_EviT_T0_PT8_S7_lSA_S7_lS8_PT9_S7_li.kd
    .uniform_work_group_size: 1
    .uses_dynamic_stack: false
    .vgpr_count:     59
    .vgpr_spill_count: 0
    .wavefront_size: 32
    .workgroup_processor_mode: 1
  - .args:
      - .offset:         0
        .size:           4
        .value_kind:     by_value
      - .offset:         8
        .size:           8
        .value_kind:     by_value
      - .offset:         16
        .size:           8
        .value_kind:     by_value
      - .address_space:  global
        .offset:         24
        .size:           8
        .value_kind:     global_buffer
      - .offset:         32
        .size:           8
        .value_kind:     by_value
      - .offset:         40
        .size:           8
        .value_kind:     by_value
      - .address_space:  global
        .offset:         48
        .size:           8
        .value_kind:     global_buffer
      - .offset:         56
        .size:           8
        .value_kind:     by_value
      - .offset:         64
        .size:           8
        .value_kind:     by_value
      - .offset:         72
        .size:           8
        .value_kind:     by_value
      - .address_space:  global
        .offset:         80
        .size:           8
        .value_kind:     global_buffer
      - .offset:         88
        .size:           8
        .value_kind:     by_value
      - .offset:         96
        .size:           8
        .value_kind:     by_value
      - .offset:         104
        .size:           4
        .value_kind:     by_value
    .group_segment_fixed_size: 4096
    .kernarg_segment_align: 8
    .kernarg_segment_size: 108
    .language:       OpenCL C
    .language_version:
      - 2
      - 0
    .max_flat_workgroup_size: 256
    .name:           _ZL34rocblas_syrkx_herkx_general_kernelIl19rocblas_complex_numIfELi16ELi32ELi8ELb0ELb1ELc67ELc85EKPKS1_KPS1_EviT_T0_PT8_S7_lSA_S7_lS8_PT9_S7_li
    .private_segment_fixed_size: 0
    .sgpr_count:     28
    .sgpr_spill_count: 0
    .symbol:         _ZL34rocblas_syrkx_herkx_general_kernelIl19rocblas_complex_numIfELi16ELi32ELi8ELb0ELb1ELc67ELc85EKPKS1_KPS1_EviT_T0_PT8_S7_lSA_S7_lS8_PT9_S7_li.kd
    .uniform_work_group_size: 1
    .uses_dynamic_stack: false
    .vgpr_count:     59
    .vgpr_spill_count: 0
    .wavefront_size: 32
    .workgroup_processor_mode: 1
  - .args:
      - .offset:         0
        .size:           4
        .value_kind:     by_value
      - .offset:         8
        .size:           8
        .value_kind:     by_value
      - .offset:         16
        .size:           8
        .value_kind:     by_value
      - .address_space:  global
        .offset:         24
        .size:           8
        .value_kind:     global_buffer
      - .offset:         32
        .size:           8
        .value_kind:     by_value
      - .offset:         40
        .size:           8
        .value_kind:     by_value
      - .address_space:  global
        .offset:         48
        .size:           8
        .value_kind:     global_buffer
      - .offset:         56
        .size:           8
        .value_kind:     by_value
      - .offset:         64
        .size:           8
        .value_kind:     by_value
      - .offset:         72
        .size:           8
        .value_kind:     by_value
      - .address_space:  global
        .offset:         80
        .size:           8
        .value_kind:     global_buffer
      - .offset:         88
        .size:           8
        .value_kind:     by_value
      - .offset:         96
        .size:           8
        .value_kind:     by_value
      - .offset:         104
        .size:           4
        .value_kind:     by_value
    .group_segment_fixed_size: 4096
    .kernarg_segment_align: 8
    .kernarg_segment_size: 108
    .language:       OpenCL C
    .language_version:
      - 2
      - 0
    .max_flat_workgroup_size: 256
    .name:           _ZL34rocblas_syrkx_herkx_general_kernelIl19rocblas_complex_numIfELi16ELi32ELi8ELb0ELb1ELc78ELc85EKPKS1_KPS1_EviT_T0_PT8_S7_lSA_S7_lS8_PT9_S7_li
    .private_segment_fixed_size: 0
    .sgpr_count:     27
    .sgpr_spill_count: 0
    .symbol:         _ZL34rocblas_syrkx_herkx_general_kernelIl19rocblas_complex_numIfELi16ELi32ELi8ELb0ELb1ELc78ELc85EKPKS1_KPS1_EviT_T0_PT8_S7_lSA_S7_lS8_PT9_S7_li.kd
    .uniform_work_group_size: 1
    .uses_dynamic_stack: false
    .vgpr_count:     59
    .vgpr_spill_count: 0
    .wavefront_size: 32
    .workgroup_processor_mode: 1
  - .args:
      - .offset:         0
        .size:           1
        .value_kind:     by_value
      - .offset:         4
        .size:           4
        .value_kind:     by_value
      - .offset:         8
        .size:           8
        .value_kind:     by_value
      - .offset:         16
        .size:           8
        .value_kind:     by_value
      - .offset:         24
        .size:           8
        .value_kind:     by_value
      - .address_space:  global
        .offset:         32
        .size:           8
        .value_kind:     global_buffer
      - .offset:         40
        .size:           8
        .value_kind:     by_value
      - .offset:         48
        .size:           8
        .value_kind:     by_value
      - .offset:         56
        .size:           4
        .value_kind:     by_value
      - .offset:         64
        .size:           4
        .value_kind:     hidden_block_count_x
      - .offset:         68
        .size:           4
        .value_kind:     hidden_block_count_y
      - .offset:         72
        .size:           4
        .value_kind:     hidden_block_count_z
      - .offset:         76
        .size:           2
        .value_kind:     hidden_group_size_x
      - .offset:         78
        .size:           2
        .value_kind:     hidden_group_size_y
      - .offset:         80
        .size:           2
        .value_kind:     hidden_group_size_z
      - .offset:         82
        .size:           2
        .value_kind:     hidden_remainder_x
      - .offset:         84
        .size:           2
        .value_kind:     hidden_remainder_y
      - .offset:         86
        .size:           2
        .value_kind:     hidden_remainder_z
      - .offset:         104
        .size:           8
        .value_kind:     hidden_global_offset_x
      - .offset:         112
        .size:           8
        .value_kind:     hidden_global_offset_y
      - .offset:         120
        .size:           8
        .value_kind:     hidden_global_offset_z
      - .offset:         128
        .size:           2
        .value_kind:     hidden_grid_dims
    .group_segment_fixed_size: 0
    .kernarg_segment_align: 8
    .kernarg_segment_size: 320
    .language:       OpenCL C
    .language_version:
      - 2
      - 0
    .max_flat_workgroup_size: 1024
    .name:           _ZL26rocblas_syr2k_scale_kernelIlLi128ELi8ELb1E19rocblas_complex_numIfES1_PKPS1_EvbiT_T3_T4_T5_S5_li
    .private_segment_fixed_size: 0
    .sgpr_count:     18
    .sgpr_spill_count: 0
    .symbol:         _ZL26rocblas_syr2k_scale_kernelIlLi128ELi8ELb1E19rocblas_complex_numIfES1_PKPS1_EvbiT_T3_T4_T5_S5_li.kd
    .uniform_work_group_size: 1
    .uses_dynamic_stack: false
    .vgpr_count:     8
    .vgpr_spill_count: 0
    .wavefront_size: 32
    .workgroup_processor_mode: 1
  - .args:
      - .offset:         0
        .size:           1
        .value_kind:     by_value
      - .offset:         4
        .size:           4
        .value_kind:     by_value
      - .offset:         8
        .size:           8
        .value_kind:     by_value
      - .address_space:  global
        .offset:         16
        .size:           8
        .value_kind:     global_buffer
      - .address_space:  global
        .offset:         24
        .size:           8
        .value_kind:     global_buffer
      - .offset:         32
        .size:           8
        .value_kind:     by_value
      - .offset:         40
        .size:           8
        .value_kind:     by_value
      - .address_space:  global
        .offset:         48
        .size:           8
        .value_kind:     global_buffer
      - .offset:         56
        .size:           8
        .value_kind:     by_value
      - .offset:         64
        .size:           8
        .value_kind:     by_value
      - .address_space:  global
        .offset:         72
        .size:           8
        .value_kind:     global_buffer
      - .offset:         80
        .size:           8
        .value_kind:     by_value
      - .offset:         88
        .size:           8
        .value_kind:     by_value
      - .offset:         96
        .size:           4
        .value_kind:     by_value
    .group_segment_fixed_size: 16384
    .kernarg_segment_align: 8
    .kernarg_segment_size: 100
    .language:       OpenCL C
    .language_version:
      - 2
      - 0
    .max_flat_workgroup_size: 1024
    .name:           _ZL26rocblas_syr2k_her2k_kernelIlLb0ELb1ELb0ELi32EPK19rocblas_complex_numIfEPKS3_PKPS1_EvbiT_T4_T5_S9_lSB_S9_lT6_S9_li
    .private_segment_fixed_size: 0
    .sgpr_count:     34
    .sgpr_spill_count: 0
    .symbol:         _ZL26rocblas_syr2k_her2k_kernelIlLb0ELb1ELb0ELi32EPK19rocblas_complex_numIfEPKS3_PKPS1_EvbiT_T4_T5_S9_lSB_S9_lT6_S9_li.kd
    .uniform_work_group_size: 1
    .uses_dynamic_stack: false
    .vgpr_count:     110
    .vgpr_spill_count: 0
    .wavefront_size: 32
    .workgroup_processor_mode: 1
  - .args:
      - .offset:         0
        .size:           1
        .value_kind:     by_value
      - .offset:         4
        .size:           4
        .value_kind:     by_value
      - .offset:         8
        .size:           8
        .value_kind:     by_value
      - .address_space:  global
        .offset:         16
        .size:           8
        .value_kind:     global_buffer
      - .address_space:  global
        .offset:         24
        .size:           8
        .value_kind:     global_buffer
      - .offset:         32
        .size:           8
        .value_kind:     by_value
      - .offset:         40
        .size:           8
        .value_kind:     by_value
      - .address_space:  global
        .offset:         48
        .size:           8
        .value_kind:     global_buffer
      - .offset:         56
        .size:           8
        .value_kind:     by_value
      - .offset:         64
        .size:           8
        .value_kind:     by_value
      - .address_space:  global
        .offset:         72
        .size:           8
        .value_kind:     global_buffer
      - .offset:         80
        .size:           8
        .value_kind:     by_value
      - .offset:         88
        .size:           8
        .value_kind:     by_value
      - .offset:         96
        .size:           4
        .value_kind:     by_value
    .group_segment_fixed_size: 16384
    .kernarg_segment_align: 8
    .kernarg_segment_size: 100
    .language:       OpenCL C
    .language_version:
      - 2
      - 0
    .max_flat_workgroup_size: 1024
    .name:           _ZL26rocblas_syr2k_her2k_kernelIlLb0ELb1ELb1ELi32EPK19rocblas_complex_numIfEPKS3_PKPS1_EvbiT_T4_T5_S9_lSB_S9_lT6_S9_li
    .private_segment_fixed_size: 0
    .sgpr_count:     34
    .sgpr_spill_count: 0
    .symbol:         _ZL26rocblas_syr2k_her2k_kernelIlLb0ELb1ELb1ELi32EPK19rocblas_complex_numIfEPKS3_PKPS1_EvbiT_T4_T5_S9_lSB_S9_lT6_S9_li.kd
    .uniform_work_group_size: 1
    .uses_dynamic_stack: false
    .vgpr_count:     110
    .vgpr_spill_count: 0
    .wavefront_size: 32
    .workgroup_processor_mode: 1
  - .args:
      - .offset:         0
        .size:           1
        .value_kind:     by_value
      - .offset:         4
        .size:           4
        .value_kind:     by_value
      - .offset:         8
        .size:           8
        .value_kind:     by_value
      - .offset:         16
        .size:           16
        .value_kind:     by_value
      - .address_space:  global
        .offset:         32
        .size:           8
        .value_kind:     global_buffer
      - .offset:         40
        .size:           8
        .value_kind:     by_value
      - .offset:         48
        .size:           8
        .value_kind:     by_value
      - .address_space:  global
        .offset:         56
        .size:           8
        .value_kind:     global_buffer
      - .offset:         64
        .size:           8
        .value_kind:     by_value
      - .offset:         72
        .size:           8
        .value_kind:     by_value
      - .address_space:  global
        .offset:         80
        .size:           8
        .value_kind:     global_buffer
      - .offset:         88
        .size:           8
        .value_kind:     by_value
      - .offset:         96
        .size:           8
        .value_kind:     by_value
      - .offset:         104
        .size:           4
        .value_kind:     by_value
    .group_segment_fixed_size: 32768
    .kernarg_segment_align: 8
    .kernarg_segment_size: 108
    .language:       OpenCL C
    .language_version:
      - 2
      - 0
    .max_flat_workgroup_size: 1024
    .name:           _ZL26rocblas_syr2k_her2k_kernelIlLb0ELb1ELb0ELi32E19rocblas_complex_numIdEPKPKS1_PKPS1_EvbiT_T4_T5_S9_lSB_S9_lT6_S9_li
    .private_segment_fixed_size: 0
    .sgpr_count:     36
    .sgpr_spill_count: 0
    .symbol:         _ZL26rocblas_syr2k_her2k_kernelIlLb0ELb1ELb0ELi32E19rocblas_complex_numIdEPKPKS1_PKPS1_EvbiT_T4_T5_S9_lSB_S9_lT6_S9_li.kd
    .uniform_work_group_size: 1
    .uses_dynamic_stack: false
    .vgpr_count:     62
    .vgpr_spill_count: 0
    .wavefront_size: 32
    .workgroup_processor_mode: 1
  - .args:
      - .offset:         0
        .size:           1
        .value_kind:     by_value
      - .offset:         4
        .size:           4
        .value_kind:     by_value
      - .offset:         8
        .size:           8
        .value_kind:     by_value
      - .offset:         16
        .size:           16
        .value_kind:     by_value
      - .address_space:  global
        .offset:         32
        .size:           8
        .value_kind:     global_buffer
      - .offset:         40
        .size:           8
        .value_kind:     by_value
      - .offset:         48
        .size:           8
        .value_kind:     by_value
      - .address_space:  global
        .offset:         56
        .size:           8
        .value_kind:     global_buffer
      - .offset:         64
        .size:           8
        .value_kind:     by_value
      - .offset:         72
        .size:           8
        .value_kind:     by_value
      - .address_space:  global
        .offset:         80
        .size:           8
        .value_kind:     global_buffer
      - .offset:         88
        .size:           8
        .value_kind:     by_value
      - .offset:         96
        .size:           8
        .value_kind:     by_value
      - .offset:         104
        .size:           4
        .value_kind:     by_value
    .group_segment_fixed_size: 32768
    .kernarg_segment_align: 8
    .kernarg_segment_size: 108
    .language:       OpenCL C
    .language_version:
      - 2
      - 0
    .max_flat_workgroup_size: 1024
    .name:           _ZL26rocblas_syr2k_her2k_kernelIlLb0ELb1ELb1ELi32E19rocblas_complex_numIdEPKPKS1_PKPS1_EvbiT_T4_T5_S9_lSB_S9_lT6_S9_li
    .private_segment_fixed_size: 0
    .sgpr_count:     38
    .sgpr_spill_count: 0
    .symbol:         _ZL26rocblas_syr2k_her2k_kernelIlLb0ELb1ELb1ELi32E19rocblas_complex_numIdEPKPKS1_PKPS1_EvbiT_T4_T5_S9_lSB_S9_lT6_S9_li.kd
    .uniform_work_group_size: 1
    .uses_dynamic_stack: false
    .vgpr_count:     62
    .vgpr_spill_count: 0
    .wavefront_size: 32
    .workgroup_processor_mode: 1
  - .args:
      - .offset:         0
        .size:           4
        .value_kind:     by_value
      - .offset:         8
        .size:           8
        .value_kind:     by_value
      - .address_space:  global
        .offset:         16
        .size:           8
        .value_kind:     global_buffer
      - .offset:         24
        .size:           8
        .value_kind:     by_value
      - .offset:         32
        .size:           8
        .value_kind:     by_value
      - .address_space:  global
        .offset:         40
        .size:           8
        .value_kind:     global_buffer
      - .offset:         48
        .size:           8
        .value_kind:     by_value
      - .offset:         56
        .size:           8
        .value_kind:     by_value
      - .address_space:  global
        .offset:         64
        .size:           8
        .value_kind:     global_buffer
      - .offset:         72
        .size:           8
        .value_kind:     by_value
      - .offset:         80
        .size:           8
        .value_kind:     by_value
      - .offset:         88
        .size:           4
        .value_kind:     by_value
    .group_segment_fixed_size: 8192
    .kernarg_segment_align: 8
    .kernarg_segment_size: 92
    .language:       OpenCL C
    .language_version:
      - 2
      - 0
    .max_flat_workgroup_size: 256
    .name:           _ZL37rocblas_syrkx_herkx_restricted_kernelIl19rocblas_complex_numIdELi16ELi32ELi8ELi1ELi1ELb1ELc84ELc76EKPKS1_KPS1_EviT_PT9_S7_lS9_S7_lPT10_S7_li
    .private_segment_fixed_size: 0
    .sgpr_count:     22
    .sgpr_spill_count: 0
    .symbol:         _ZL37rocblas_syrkx_herkx_restricted_kernelIl19rocblas_complex_numIdELi16ELi32ELi8ELi1ELi1ELb1ELc84ELc76EKPKS1_KPS1_EviT_PT9_S7_lS9_S7_lPT10_S7_li.kd
    .uniform_work_group_size: 1
    .uses_dynamic_stack: false
    .vgpr_count:     118
    .vgpr_spill_count: 0
    .wavefront_size: 32
    .workgroup_processor_mode: 1
  - .args:
      - .offset:         0
        .size:           4
        .value_kind:     by_value
      - .offset:         8
        .size:           8
        .value_kind:     by_value
      - .address_space:  global
        .offset:         16
        .size:           8
        .value_kind:     global_buffer
      - .offset:         24
        .size:           8
        .value_kind:     by_value
      - .offset:         32
        .size:           8
        .value_kind:     by_value
      - .address_space:  global
        .offset:         40
        .size:           8
        .value_kind:     global_buffer
      - .offset:         48
        .size:           8
        .value_kind:     by_value
      - .offset:         56
        .size:           8
        .value_kind:     by_value
      - .address_space:  global
        .offset:         64
        .size:           8
        .value_kind:     global_buffer
      - .offset:         72
        .size:           8
        .value_kind:     by_value
      - .offset:         80
        .size:           8
        .value_kind:     by_value
      - .offset:         88
        .size:           4
        .value_kind:     by_value
    .group_segment_fixed_size: 8192
    .kernarg_segment_align: 8
    .kernarg_segment_size: 92
    .language:       OpenCL C
    .language_version:
      - 2
      - 0
    .max_flat_workgroup_size: 256
    .name:           _ZL37rocblas_syrkx_herkx_restricted_kernelIl19rocblas_complex_numIdELi16ELi32ELi8ELi1ELi1ELb1ELc67ELc76EKPKS1_KPS1_EviT_PT9_S7_lS9_S7_lPT10_S7_li
    .private_segment_fixed_size: 0
    .sgpr_count:     22
    .sgpr_spill_count: 0
    .symbol:         _ZL37rocblas_syrkx_herkx_restricted_kernelIl19rocblas_complex_numIdELi16ELi32ELi8ELi1ELi1ELb1ELc67ELc76EKPKS1_KPS1_EviT_PT9_S7_lS9_S7_lPT10_S7_li.kd
    .uniform_work_group_size: 1
    .uses_dynamic_stack: false
    .vgpr_count:     118
    .vgpr_spill_count: 0
    .wavefront_size: 32
    .workgroup_processor_mode: 1
  - .args:
      - .offset:         0
        .size:           4
        .value_kind:     by_value
      - .offset:         8
        .size:           8
        .value_kind:     by_value
      - .address_space:  global
        .offset:         16
        .size:           8
        .value_kind:     global_buffer
      - .offset:         24
        .size:           8
        .value_kind:     by_value
      - .offset:         32
        .size:           8
        .value_kind:     by_value
      - .address_space:  global
        .offset:         40
        .size:           8
        .value_kind:     global_buffer
      - .offset:         48
        .size:           8
        .value_kind:     by_value
      - .offset:         56
        .size:           8
        .value_kind:     by_value
      - .address_space:  global
        .offset:         64
        .size:           8
        .value_kind:     global_buffer
      - .offset:         72
        .size:           8
        .value_kind:     by_value
      - .offset:         80
        .size:           8
        .value_kind:     by_value
      - .offset:         88
        .size:           4
        .value_kind:     by_value
    .group_segment_fixed_size: 8192
    .kernarg_segment_align: 8
    .kernarg_segment_size: 92
    .language:       OpenCL C
    .language_version:
      - 2
      - 0
    .max_flat_workgroup_size: 256
    .name:           _ZL37rocblas_syrkx_herkx_restricted_kernelIl19rocblas_complex_numIdELi16ELi32ELi8ELi1ELi1ELb1ELc78ELc76EKPKS1_KPS1_EviT_PT9_S7_lS9_S7_lPT10_S7_li
    .private_segment_fixed_size: 0
    .sgpr_count:     22
    .sgpr_spill_count: 0
    .symbol:         _ZL37rocblas_syrkx_herkx_restricted_kernelIl19rocblas_complex_numIdELi16ELi32ELi8ELi1ELi1ELb1ELc78ELc76EKPKS1_KPS1_EviT_PT9_S7_lS9_S7_lPT10_S7_li.kd
    .uniform_work_group_size: 1
    .uses_dynamic_stack: false
    .vgpr_count:     118
    .vgpr_spill_count: 0
    .wavefront_size: 32
    .workgroup_processor_mode: 1
  - .args:
      - .offset:         0
        .size:           4
        .value_kind:     by_value
      - .offset:         8
        .size:           8
        .value_kind:     by_value
      - .address_space:  global
        .offset:         16
        .size:           8
        .value_kind:     global_buffer
      - .offset:         24
        .size:           8
        .value_kind:     by_value
      - .offset:         32
        .size:           8
        .value_kind:     by_value
      - .address_space:  global
        .offset:         40
        .size:           8
        .value_kind:     global_buffer
      - .offset:         48
        .size:           8
        .value_kind:     by_value
      - .offset:         56
        .size:           8
        .value_kind:     by_value
      - .address_space:  global
        .offset:         64
        .size:           8
        .value_kind:     global_buffer
      - .offset:         72
        .size:           8
        .value_kind:     by_value
      - .offset:         80
        .size:           8
        .value_kind:     by_value
      - .offset:         88
        .size:           4
        .value_kind:     by_value
    .group_segment_fixed_size: 8192
    .kernarg_segment_align: 8
    .kernarg_segment_size: 92
    .language:       OpenCL C
    .language_version:
      - 2
      - 0
    .max_flat_workgroup_size: 256
    .name:           _ZL37rocblas_syrkx_herkx_restricted_kernelIl19rocblas_complex_numIdELi16ELi32ELi8ELi1ELi1ELb1ELc84ELc85EKPKS1_KPS1_EviT_PT9_S7_lS9_S7_lPT10_S7_li
    .private_segment_fixed_size: 0
    .sgpr_count:     22
    .sgpr_spill_count: 0
    .symbol:         _ZL37rocblas_syrkx_herkx_restricted_kernelIl19rocblas_complex_numIdELi16ELi32ELi8ELi1ELi1ELb1ELc84ELc85EKPKS1_KPS1_EviT_PT9_S7_lS9_S7_lPT10_S7_li.kd
    .uniform_work_group_size: 1
    .uses_dynamic_stack: false
    .vgpr_count:     118
    .vgpr_spill_count: 0
    .wavefront_size: 32
    .workgroup_processor_mode: 1
  - .args:
      - .offset:         0
        .size:           4
        .value_kind:     by_value
      - .offset:         8
        .size:           8
        .value_kind:     by_value
      - .address_space:  global
        .offset:         16
        .size:           8
        .value_kind:     global_buffer
      - .offset:         24
        .size:           8
        .value_kind:     by_value
      - .offset:         32
        .size:           8
        .value_kind:     by_value
      - .address_space:  global
        .offset:         40
        .size:           8
        .value_kind:     global_buffer
      - .offset:         48
        .size:           8
        .value_kind:     by_value
      - .offset:         56
        .size:           8
        .value_kind:     by_value
      - .address_space:  global
        .offset:         64
        .size:           8
        .value_kind:     global_buffer
      - .offset:         72
        .size:           8
        .value_kind:     by_value
      - .offset:         80
        .size:           8
        .value_kind:     by_value
      - .offset:         88
        .size:           4
        .value_kind:     by_value
    .group_segment_fixed_size: 8192
    .kernarg_segment_align: 8
    .kernarg_segment_size: 92
    .language:       OpenCL C
    .language_version:
      - 2
      - 0
    .max_flat_workgroup_size: 256
    .name:           _ZL37rocblas_syrkx_herkx_restricted_kernelIl19rocblas_complex_numIdELi16ELi32ELi8ELi1ELi1ELb1ELc67ELc85EKPKS1_KPS1_EviT_PT9_S7_lS9_S7_lPT10_S7_li
    .private_segment_fixed_size: 0
    .sgpr_count:     22
    .sgpr_spill_count: 0
    .symbol:         _ZL37rocblas_syrkx_herkx_restricted_kernelIl19rocblas_complex_numIdELi16ELi32ELi8ELi1ELi1ELb1ELc67ELc85EKPKS1_KPS1_EviT_PT9_S7_lS9_S7_lPT10_S7_li.kd
    .uniform_work_group_size: 1
    .uses_dynamic_stack: false
    .vgpr_count:     118
    .vgpr_spill_count: 0
    .wavefront_size: 32
    .workgroup_processor_mode: 1
  - .args:
      - .offset:         0
        .size:           4
        .value_kind:     by_value
      - .offset:         8
        .size:           8
        .value_kind:     by_value
      - .address_space:  global
        .offset:         16
        .size:           8
        .value_kind:     global_buffer
      - .offset:         24
        .size:           8
        .value_kind:     by_value
      - .offset:         32
        .size:           8
        .value_kind:     by_value
      - .address_space:  global
        .offset:         40
        .size:           8
        .value_kind:     global_buffer
      - .offset:         48
        .size:           8
        .value_kind:     by_value
      - .offset:         56
        .size:           8
        .value_kind:     by_value
      - .address_space:  global
        .offset:         64
        .size:           8
        .value_kind:     global_buffer
      - .offset:         72
        .size:           8
        .value_kind:     by_value
      - .offset:         80
        .size:           8
        .value_kind:     by_value
      - .offset:         88
        .size:           4
        .value_kind:     by_value
    .group_segment_fixed_size: 8192
    .kernarg_segment_align: 8
    .kernarg_segment_size: 92
    .language:       OpenCL C
    .language_version:
      - 2
      - 0
    .max_flat_workgroup_size: 256
    .name:           _ZL37rocblas_syrkx_herkx_restricted_kernelIl19rocblas_complex_numIdELi16ELi32ELi8ELi1ELi1ELb1ELc78ELc85EKPKS1_KPS1_EviT_PT9_S7_lS9_S7_lPT10_S7_li
    .private_segment_fixed_size: 0
    .sgpr_count:     22
    .sgpr_spill_count: 0
    .symbol:         _ZL37rocblas_syrkx_herkx_restricted_kernelIl19rocblas_complex_numIdELi16ELi32ELi8ELi1ELi1ELb1ELc78ELc85EKPKS1_KPS1_EviT_PT9_S7_lS9_S7_lPT10_S7_li.kd
    .uniform_work_group_size: 1
    .uses_dynamic_stack: false
    .vgpr_count:     118
    .vgpr_spill_count: 0
    .wavefront_size: 32
    .workgroup_processor_mode: 1
  - .args:
      - .offset:         0
        .size:           4
        .value_kind:     by_value
      - .offset:         8
        .size:           8
        .value_kind:     by_value
      - .address_space:  global
        .offset:         16
        .size:           8
        .value_kind:     global_buffer
      - .offset:         24
        .size:           8
        .value_kind:     by_value
      - .offset:         32
        .size:           8
        .value_kind:     by_value
      - .address_space:  global
        .offset:         40
        .size:           8
        .value_kind:     global_buffer
      - .offset:         48
        .size:           8
        .value_kind:     by_value
      - .offset:         56
        .size:           8
        .value_kind:     by_value
      - .address_space:  global
        .offset:         64
        .size:           8
        .value_kind:     global_buffer
      - .offset:         72
        .size:           8
        .value_kind:     by_value
      - .offset:         80
        .size:           8
        .value_kind:     by_value
      - .offset:         88
        .size:           4
        .value_kind:     by_value
    .group_segment_fixed_size: 8192
    .kernarg_segment_align: 8
    .kernarg_segment_size: 92
    .language:       OpenCL C
    .language_version:
      - 2
      - 0
    .max_flat_workgroup_size: 256
    .name:           _ZL37rocblas_syrkx_herkx_restricted_kernelIl19rocblas_complex_numIdELi16ELi32ELi8ELi1ELin1ELb1ELc84ELc76EKPKS1_KPS1_EviT_PT9_S7_lS9_S7_lPT10_S7_li
    .private_segment_fixed_size: 0
    .sgpr_count:     22
    .sgpr_spill_count: 0
    .symbol:         _ZL37rocblas_syrkx_herkx_restricted_kernelIl19rocblas_complex_numIdELi16ELi32ELi8ELi1ELin1ELb1ELc84ELc76EKPKS1_KPS1_EviT_PT9_S7_lS9_S7_lPT10_S7_li.kd
    .uniform_work_group_size: 1
    .uses_dynamic_stack: false
    .vgpr_count:     118
    .vgpr_spill_count: 0
    .wavefront_size: 32
    .workgroup_processor_mode: 1
  - .args:
      - .offset:         0
        .size:           4
        .value_kind:     by_value
      - .offset:         8
        .size:           8
        .value_kind:     by_value
      - .address_space:  global
        .offset:         16
        .size:           8
        .value_kind:     global_buffer
      - .offset:         24
        .size:           8
        .value_kind:     by_value
      - .offset:         32
        .size:           8
        .value_kind:     by_value
      - .address_space:  global
        .offset:         40
        .size:           8
        .value_kind:     global_buffer
      - .offset:         48
        .size:           8
        .value_kind:     by_value
      - .offset:         56
        .size:           8
        .value_kind:     by_value
      - .address_space:  global
        .offset:         64
        .size:           8
        .value_kind:     global_buffer
      - .offset:         72
        .size:           8
        .value_kind:     by_value
      - .offset:         80
        .size:           8
        .value_kind:     by_value
      - .offset:         88
        .size:           4
        .value_kind:     by_value
    .group_segment_fixed_size: 8192
    .kernarg_segment_align: 8
    .kernarg_segment_size: 92
    .language:       OpenCL C
    .language_version:
      - 2
      - 0
    .max_flat_workgroup_size: 256
    .name:           _ZL37rocblas_syrkx_herkx_restricted_kernelIl19rocblas_complex_numIdELi16ELi32ELi8ELi1ELin1ELb1ELc67ELc76EKPKS1_KPS1_EviT_PT9_S7_lS9_S7_lPT10_S7_li
    .private_segment_fixed_size: 0
    .sgpr_count:     22
    .sgpr_spill_count: 0
    .symbol:         _ZL37rocblas_syrkx_herkx_restricted_kernelIl19rocblas_complex_numIdELi16ELi32ELi8ELi1ELin1ELb1ELc67ELc76EKPKS1_KPS1_EviT_PT9_S7_lS9_S7_lPT10_S7_li.kd
    .uniform_work_group_size: 1
    .uses_dynamic_stack: false
    .vgpr_count:     118
    .vgpr_spill_count: 0
    .wavefront_size: 32
    .workgroup_processor_mode: 1
  - .args:
      - .offset:         0
        .size:           4
        .value_kind:     by_value
      - .offset:         8
        .size:           8
        .value_kind:     by_value
      - .address_space:  global
        .offset:         16
        .size:           8
        .value_kind:     global_buffer
      - .offset:         24
        .size:           8
        .value_kind:     by_value
      - .offset:         32
        .size:           8
        .value_kind:     by_value
      - .address_space:  global
        .offset:         40
        .size:           8
        .value_kind:     global_buffer
      - .offset:         48
        .size:           8
        .value_kind:     by_value
      - .offset:         56
        .size:           8
        .value_kind:     by_value
      - .address_space:  global
        .offset:         64
        .size:           8
        .value_kind:     global_buffer
      - .offset:         72
        .size:           8
        .value_kind:     by_value
      - .offset:         80
        .size:           8
        .value_kind:     by_value
      - .offset:         88
        .size:           4
        .value_kind:     by_value
    .group_segment_fixed_size: 8192
    .kernarg_segment_align: 8
    .kernarg_segment_size: 92
    .language:       OpenCL C
    .language_version:
      - 2
      - 0
    .max_flat_workgroup_size: 256
    .name:           _ZL37rocblas_syrkx_herkx_restricted_kernelIl19rocblas_complex_numIdELi16ELi32ELi8ELi1ELin1ELb1ELc78ELc76EKPKS1_KPS1_EviT_PT9_S7_lS9_S7_lPT10_S7_li
    .private_segment_fixed_size: 0
    .sgpr_count:     22
    .sgpr_spill_count: 0
    .symbol:         _ZL37rocblas_syrkx_herkx_restricted_kernelIl19rocblas_complex_numIdELi16ELi32ELi8ELi1ELin1ELb1ELc78ELc76EKPKS1_KPS1_EviT_PT9_S7_lS9_S7_lPT10_S7_li.kd
    .uniform_work_group_size: 1
    .uses_dynamic_stack: false
    .vgpr_count:     118
    .vgpr_spill_count: 0
    .wavefront_size: 32
    .workgroup_processor_mode: 1
  - .args:
      - .offset:         0
        .size:           4
        .value_kind:     by_value
      - .offset:         8
        .size:           8
        .value_kind:     by_value
      - .address_space:  global
        .offset:         16
        .size:           8
        .value_kind:     global_buffer
      - .offset:         24
        .size:           8
        .value_kind:     by_value
      - .offset:         32
        .size:           8
        .value_kind:     by_value
      - .address_space:  global
        .offset:         40
        .size:           8
        .value_kind:     global_buffer
      - .offset:         48
        .size:           8
        .value_kind:     by_value
      - .offset:         56
        .size:           8
        .value_kind:     by_value
      - .address_space:  global
        .offset:         64
        .size:           8
        .value_kind:     global_buffer
      - .offset:         72
        .size:           8
        .value_kind:     by_value
      - .offset:         80
        .size:           8
        .value_kind:     by_value
      - .offset:         88
        .size:           4
        .value_kind:     by_value
    .group_segment_fixed_size: 8192
    .kernarg_segment_align: 8
    .kernarg_segment_size: 92
    .language:       OpenCL C
    .language_version:
      - 2
      - 0
    .max_flat_workgroup_size: 256
    .name:           _ZL37rocblas_syrkx_herkx_restricted_kernelIl19rocblas_complex_numIdELi16ELi32ELi8ELi1ELin1ELb1ELc84ELc85EKPKS1_KPS1_EviT_PT9_S7_lS9_S7_lPT10_S7_li
    .private_segment_fixed_size: 0
    .sgpr_count:     22
    .sgpr_spill_count: 0
    .symbol:         _ZL37rocblas_syrkx_herkx_restricted_kernelIl19rocblas_complex_numIdELi16ELi32ELi8ELi1ELin1ELb1ELc84ELc85EKPKS1_KPS1_EviT_PT9_S7_lS9_S7_lPT10_S7_li.kd
    .uniform_work_group_size: 1
    .uses_dynamic_stack: false
    .vgpr_count:     118
    .vgpr_spill_count: 0
    .wavefront_size: 32
    .workgroup_processor_mode: 1
  - .args:
      - .offset:         0
        .size:           4
        .value_kind:     by_value
      - .offset:         8
        .size:           8
        .value_kind:     by_value
      - .address_space:  global
        .offset:         16
        .size:           8
        .value_kind:     global_buffer
      - .offset:         24
        .size:           8
        .value_kind:     by_value
      - .offset:         32
        .size:           8
        .value_kind:     by_value
      - .address_space:  global
        .offset:         40
        .size:           8
        .value_kind:     global_buffer
      - .offset:         48
        .size:           8
        .value_kind:     by_value
      - .offset:         56
        .size:           8
        .value_kind:     by_value
      - .address_space:  global
        .offset:         64
        .size:           8
        .value_kind:     global_buffer
      - .offset:         72
        .size:           8
        .value_kind:     by_value
      - .offset:         80
        .size:           8
        .value_kind:     by_value
      - .offset:         88
        .size:           4
        .value_kind:     by_value
    .group_segment_fixed_size: 8192
    .kernarg_segment_align: 8
    .kernarg_segment_size: 92
    .language:       OpenCL C
    .language_version:
      - 2
      - 0
    .max_flat_workgroup_size: 256
    .name:           _ZL37rocblas_syrkx_herkx_restricted_kernelIl19rocblas_complex_numIdELi16ELi32ELi8ELi1ELin1ELb1ELc67ELc85EKPKS1_KPS1_EviT_PT9_S7_lS9_S7_lPT10_S7_li
    .private_segment_fixed_size: 0
    .sgpr_count:     22
    .sgpr_spill_count: 0
    .symbol:         _ZL37rocblas_syrkx_herkx_restricted_kernelIl19rocblas_complex_numIdELi16ELi32ELi8ELi1ELin1ELb1ELc67ELc85EKPKS1_KPS1_EviT_PT9_S7_lS9_S7_lPT10_S7_li.kd
    .uniform_work_group_size: 1
    .uses_dynamic_stack: false
    .vgpr_count:     118
    .vgpr_spill_count: 0
    .wavefront_size: 32
    .workgroup_processor_mode: 1
  - .args:
      - .offset:         0
        .size:           4
        .value_kind:     by_value
      - .offset:         8
        .size:           8
        .value_kind:     by_value
      - .address_space:  global
        .offset:         16
        .size:           8
        .value_kind:     global_buffer
      - .offset:         24
        .size:           8
        .value_kind:     by_value
      - .offset:         32
        .size:           8
        .value_kind:     by_value
      - .address_space:  global
        .offset:         40
        .size:           8
        .value_kind:     global_buffer
      - .offset:         48
        .size:           8
        .value_kind:     by_value
      - .offset:         56
        .size:           8
        .value_kind:     by_value
      - .address_space:  global
        .offset:         64
        .size:           8
        .value_kind:     global_buffer
      - .offset:         72
        .size:           8
        .value_kind:     by_value
      - .offset:         80
        .size:           8
        .value_kind:     by_value
      - .offset:         88
        .size:           4
        .value_kind:     by_value
    .group_segment_fixed_size: 8192
    .kernarg_segment_align: 8
    .kernarg_segment_size: 92
    .language:       OpenCL C
    .language_version:
      - 2
      - 0
    .max_flat_workgroup_size: 256
    .name:           _ZL37rocblas_syrkx_herkx_restricted_kernelIl19rocblas_complex_numIdELi16ELi32ELi8ELi1ELin1ELb1ELc78ELc85EKPKS1_KPS1_EviT_PT9_S7_lS9_S7_lPT10_S7_li
    .private_segment_fixed_size: 0
    .sgpr_count:     22
    .sgpr_spill_count: 0
    .symbol:         _ZL37rocblas_syrkx_herkx_restricted_kernelIl19rocblas_complex_numIdELi16ELi32ELi8ELi1ELin1ELb1ELc78ELc85EKPKS1_KPS1_EviT_PT9_S7_lS9_S7_lPT10_S7_li.kd
    .uniform_work_group_size: 1
    .uses_dynamic_stack: false
    .vgpr_count:     118
    .vgpr_spill_count: 0
    .wavefront_size: 32
    .workgroup_processor_mode: 1
  - .args:
      - .offset:         0
        .size:           4
        .value_kind:     by_value
      - .offset:         8
        .size:           8
        .value_kind:     by_value
      - .address_space:  global
        .offset:         16
        .size:           8
        .value_kind:     global_buffer
      - .offset:         24
        .size:           8
        .value_kind:     by_value
      - .offset:         32
        .size:           8
        .value_kind:     by_value
      - .address_space:  global
        .offset:         40
        .size:           8
        .value_kind:     global_buffer
      - .offset:         48
        .size:           8
        .value_kind:     by_value
      - .offset:         56
        .size:           8
        .value_kind:     by_value
      - .address_space:  global
        .offset:         64
        .size:           8
        .value_kind:     global_buffer
      - .offset:         72
        .size:           8
        .value_kind:     by_value
      - .offset:         80
        .size:           8
        .value_kind:     by_value
      - .offset:         88
        .size:           4
        .value_kind:     by_value
    .group_segment_fixed_size: 8192
    .kernarg_segment_align: 8
    .kernarg_segment_size: 92
    .language:       OpenCL C
    .language_version:
      - 2
      - 0
    .max_flat_workgroup_size: 256
    .name:           _ZL37rocblas_syrkx_herkx_restricted_kernelIl19rocblas_complex_numIdELi16ELi32ELi8ELi1ELi0ELb1ELc84ELc76EKPKS1_KPS1_EviT_PT9_S7_lS9_S7_lPT10_S7_li
    .private_segment_fixed_size: 0
    .sgpr_count:     22
    .sgpr_spill_count: 0
    .symbol:         _ZL37rocblas_syrkx_herkx_restricted_kernelIl19rocblas_complex_numIdELi16ELi32ELi8ELi1ELi0ELb1ELc84ELc76EKPKS1_KPS1_EviT_PT9_S7_lS9_S7_lPT10_S7_li.kd
    .uniform_work_group_size: 1
    .uses_dynamic_stack: false
    .vgpr_count:     118
    .vgpr_spill_count: 0
    .wavefront_size: 32
    .workgroup_processor_mode: 1
  - .args:
      - .offset:         0
        .size:           4
        .value_kind:     by_value
      - .offset:         8
        .size:           8
        .value_kind:     by_value
      - .address_space:  global
        .offset:         16
        .size:           8
        .value_kind:     global_buffer
      - .offset:         24
        .size:           8
        .value_kind:     by_value
      - .offset:         32
        .size:           8
        .value_kind:     by_value
      - .address_space:  global
        .offset:         40
        .size:           8
        .value_kind:     global_buffer
      - .offset:         48
        .size:           8
        .value_kind:     by_value
      - .offset:         56
        .size:           8
        .value_kind:     by_value
      - .address_space:  global
        .offset:         64
        .size:           8
        .value_kind:     global_buffer
      - .offset:         72
        .size:           8
        .value_kind:     by_value
      - .offset:         80
        .size:           8
        .value_kind:     by_value
      - .offset:         88
        .size:           4
        .value_kind:     by_value
    .group_segment_fixed_size: 8192
    .kernarg_segment_align: 8
    .kernarg_segment_size: 92
    .language:       OpenCL C
    .language_version:
      - 2
      - 0
    .max_flat_workgroup_size: 256
    .name:           _ZL37rocblas_syrkx_herkx_restricted_kernelIl19rocblas_complex_numIdELi16ELi32ELi8ELi1ELi0ELb1ELc67ELc76EKPKS1_KPS1_EviT_PT9_S7_lS9_S7_lPT10_S7_li
    .private_segment_fixed_size: 0
    .sgpr_count:     22
    .sgpr_spill_count: 0
    .symbol:         _ZL37rocblas_syrkx_herkx_restricted_kernelIl19rocblas_complex_numIdELi16ELi32ELi8ELi1ELi0ELb1ELc67ELc76EKPKS1_KPS1_EviT_PT9_S7_lS9_S7_lPT10_S7_li.kd
    .uniform_work_group_size: 1
    .uses_dynamic_stack: false
    .vgpr_count:     118
    .vgpr_spill_count: 0
    .wavefront_size: 32
    .workgroup_processor_mode: 1
  - .args:
      - .offset:         0
        .size:           4
        .value_kind:     by_value
      - .offset:         8
        .size:           8
        .value_kind:     by_value
      - .address_space:  global
        .offset:         16
        .size:           8
        .value_kind:     global_buffer
      - .offset:         24
        .size:           8
        .value_kind:     by_value
      - .offset:         32
        .size:           8
        .value_kind:     by_value
      - .address_space:  global
        .offset:         40
        .size:           8
        .value_kind:     global_buffer
      - .offset:         48
        .size:           8
        .value_kind:     by_value
      - .offset:         56
        .size:           8
        .value_kind:     by_value
      - .address_space:  global
        .offset:         64
        .size:           8
        .value_kind:     global_buffer
      - .offset:         72
        .size:           8
        .value_kind:     by_value
      - .offset:         80
        .size:           8
        .value_kind:     by_value
      - .offset:         88
        .size:           4
        .value_kind:     by_value
    .group_segment_fixed_size: 8192
    .kernarg_segment_align: 8
    .kernarg_segment_size: 92
    .language:       OpenCL C
    .language_version:
      - 2
      - 0
    .max_flat_workgroup_size: 256
    .name:           _ZL37rocblas_syrkx_herkx_restricted_kernelIl19rocblas_complex_numIdELi16ELi32ELi8ELi1ELi0ELb1ELc78ELc76EKPKS1_KPS1_EviT_PT9_S7_lS9_S7_lPT10_S7_li
    .private_segment_fixed_size: 0
    .sgpr_count:     22
    .sgpr_spill_count: 0
    .symbol:         _ZL37rocblas_syrkx_herkx_restricted_kernelIl19rocblas_complex_numIdELi16ELi32ELi8ELi1ELi0ELb1ELc78ELc76EKPKS1_KPS1_EviT_PT9_S7_lS9_S7_lPT10_S7_li.kd
    .uniform_work_group_size: 1
    .uses_dynamic_stack: false
    .vgpr_count:     118
    .vgpr_spill_count: 0
    .wavefront_size: 32
    .workgroup_processor_mode: 1
  - .args:
      - .offset:         0
        .size:           4
        .value_kind:     by_value
      - .offset:         8
        .size:           8
        .value_kind:     by_value
      - .address_space:  global
        .offset:         16
        .size:           8
        .value_kind:     global_buffer
      - .offset:         24
        .size:           8
        .value_kind:     by_value
      - .offset:         32
        .size:           8
        .value_kind:     by_value
      - .address_space:  global
        .offset:         40
        .size:           8
        .value_kind:     global_buffer
      - .offset:         48
        .size:           8
        .value_kind:     by_value
      - .offset:         56
        .size:           8
        .value_kind:     by_value
      - .address_space:  global
        .offset:         64
        .size:           8
        .value_kind:     global_buffer
      - .offset:         72
        .size:           8
        .value_kind:     by_value
      - .offset:         80
        .size:           8
        .value_kind:     by_value
      - .offset:         88
        .size:           4
        .value_kind:     by_value
    .group_segment_fixed_size: 8192
    .kernarg_segment_align: 8
    .kernarg_segment_size: 92
    .language:       OpenCL C
    .language_version:
      - 2
      - 0
    .max_flat_workgroup_size: 256
    .name:           _ZL37rocblas_syrkx_herkx_restricted_kernelIl19rocblas_complex_numIdELi16ELi32ELi8ELi1ELi0ELb1ELc84ELc85EKPKS1_KPS1_EviT_PT9_S7_lS9_S7_lPT10_S7_li
    .private_segment_fixed_size: 0
    .sgpr_count:     22
    .sgpr_spill_count: 0
    .symbol:         _ZL37rocblas_syrkx_herkx_restricted_kernelIl19rocblas_complex_numIdELi16ELi32ELi8ELi1ELi0ELb1ELc84ELc85EKPKS1_KPS1_EviT_PT9_S7_lS9_S7_lPT10_S7_li.kd
    .uniform_work_group_size: 1
    .uses_dynamic_stack: false
    .vgpr_count:     118
    .vgpr_spill_count: 0
    .wavefront_size: 32
    .workgroup_processor_mode: 1
  - .args:
      - .offset:         0
        .size:           4
        .value_kind:     by_value
      - .offset:         8
        .size:           8
        .value_kind:     by_value
      - .address_space:  global
        .offset:         16
        .size:           8
        .value_kind:     global_buffer
      - .offset:         24
        .size:           8
        .value_kind:     by_value
      - .offset:         32
        .size:           8
        .value_kind:     by_value
      - .address_space:  global
        .offset:         40
        .size:           8
        .value_kind:     global_buffer
      - .offset:         48
        .size:           8
        .value_kind:     by_value
      - .offset:         56
        .size:           8
        .value_kind:     by_value
      - .address_space:  global
        .offset:         64
        .size:           8
        .value_kind:     global_buffer
      - .offset:         72
        .size:           8
        .value_kind:     by_value
      - .offset:         80
        .size:           8
        .value_kind:     by_value
      - .offset:         88
        .size:           4
        .value_kind:     by_value
    .group_segment_fixed_size: 8192
    .kernarg_segment_align: 8
    .kernarg_segment_size: 92
    .language:       OpenCL C
    .language_version:
      - 2
      - 0
    .max_flat_workgroup_size: 256
    .name:           _ZL37rocblas_syrkx_herkx_restricted_kernelIl19rocblas_complex_numIdELi16ELi32ELi8ELi1ELi0ELb1ELc67ELc85EKPKS1_KPS1_EviT_PT9_S7_lS9_S7_lPT10_S7_li
    .private_segment_fixed_size: 0
    .sgpr_count:     22
    .sgpr_spill_count: 0
    .symbol:         _ZL37rocblas_syrkx_herkx_restricted_kernelIl19rocblas_complex_numIdELi16ELi32ELi8ELi1ELi0ELb1ELc67ELc85EKPKS1_KPS1_EviT_PT9_S7_lS9_S7_lPT10_S7_li.kd
    .uniform_work_group_size: 1
    .uses_dynamic_stack: false
    .vgpr_count:     118
    .vgpr_spill_count: 0
    .wavefront_size: 32
    .workgroup_processor_mode: 1
  - .args:
      - .offset:         0
        .size:           4
        .value_kind:     by_value
      - .offset:         8
        .size:           8
        .value_kind:     by_value
      - .address_space:  global
        .offset:         16
        .size:           8
        .value_kind:     global_buffer
      - .offset:         24
        .size:           8
        .value_kind:     by_value
      - .offset:         32
        .size:           8
        .value_kind:     by_value
      - .address_space:  global
        .offset:         40
        .size:           8
        .value_kind:     global_buffer
      - .offset:         48
        .size:           8
        .value_kind:     by_value
      - .offset:         56
        .size:           8
        .value_kind:     by_value
      - .address_space:  global
        .offset:         64
        .size:           8
        .value_kind:     global_buffer
      - .offset:         72
        .size:           8
        .value_kind:     by_value
      - .offset:         80
        .size:           8
        .value_kind:     by_value
      - .offset:         88
        .size:           4
        .value_kind:     by_value
    .group_segment_fixed_size: 8192
    .kernarg_segment_align: 8
    .kernarg_segment_size: 92
    .language:       OpenCL C
    .language_version:
      - 2
      - 0
    .max_flat_workgroup_size: 256
    .name:           _ZL37rocblas_syrkx_herkx_restricted_kernelIl19rocblas_complex_numIdELi16ELi32ELi8ELi1ELi0ELb1ELc78ELc85EKPKS1_KPS1_EviT_PT9_S7_lS9_S7_lPT10_S7_li
    .private_segment_fixed_size: 0
    .sgpr_count:     22
    .sgpr_spill_count: 0
    .symbol:         _ZL37rocblas_syrkx_herkx_restricted_kernelIl19rocblas_complex_numIdELi16ELi32ELi8ELi1ELi0ELb1ELc78ELc85EKPKS1_KPS1_EviT_PT9_S7_lS9_S7_lPT10_S7_li.kd
    .uniform_work_group_size: 1
    .uses_dynamic_stack: false
    .vgpr_count:     118
    .vgpr_spill_count: 0
    .wavefront_size: 32
    .workgroup_processor_mode: 1
  - .args:
      - .offset:         0
        .size:           4
        .value_kind:     by_value
      - .offset:         8
        .size:           8
        .value_kind:     by_value
      - .address_space:  global
        .offset:         16
        .size:           8
        .value_kind:     global_buffer
      - .offset:         24
        .size:           8
        .value_kind:     by_value
      - .offset:         32
        .size:           8
        .value_kind:     by_value
      - .address_space:  global
        .offset:         40
        .size:           8
        .value_kind:     global_buffer
      - .offset:         48
        .size:           8
        .value_kind:     by_value
      - .offset:         56
        .size:           8
        .value_kind:     by_value
      - .address_space:  global
        .offset:         64
        .size:           8
        .value_kind:     global_buffer
      - .offset:         72
        .size:           8
        .value_kind:     by_value
      - .offset:         80
        .size:           8
        .value_kind:     by_value
      - .offset:         88
        .size:           4
        .value_kind:     by_value
    .group_segment_fixed_size: 8192
    .kernarg_segment_align: 8
    .kernarg_segment_size: 92
    .language:       OpenCL C
    .language_version:
      - 2
      - 0
    .max_flat_workgroup_size: 256
    .name:           _ZL37rocblas_syrkx_herkx_restricted_kernelIl19rocblas_complex_numIdELi16ELi32ELi8ELin1ELi0ELb1ELc84ELc76EKPKS1_KPS1_EviT_PT9_S7_lS9_S7_lPT10_S7_li
    .private_segment_fixed_size: 0
    .sgpr_count:     22
    .sgpr_spill_count: 0
    .symbol:         _ZL37rocblas_syrkx_herkx_restricted_kernelIl19rocblas_complex_numIdELi16ELi32ELi8ELin1ELi0ELb1ELc84ELc76EKPKS1_KPS1_EviT_PT9_S7_lS9_S7_lPT10_S7_li.kd
    .uniform_work_group_size: 1
    .uses_dynamic_stack: false
    .vgpr_count:     118
    .vgpr_spill_count: 0
    .wavefront_size: 32
    .workgroup_processor_mode: 1
  - .args:
      - .offset:         0
        .size:           4
        .value_kind:     by_value
      - .offset:         8
        .size:           8
        .value_kind:     by_value
      - .address_space:  global
        .offset:         16
        .size:           8
        .value_kind:     global_buffer
      - .offset:         24
        .size:           8
        .value_kind:     by_value
      - .offset:         32
        .size:           8
        .value_kind:     by_value
      - .address_space:  global
        .offset:         40
        .size:           8
        .value_kind:     global_buffer
      - .offset:         48
        .size:           8
        .value_kind:     by_value
      - .offset:         56
        .size:           8
        .value_kind:     by_value
      - .address_space:  global
        .offset:         64
        .size:           8
        .value_kind:     global_buffer
      - .offset:         72
        .size:           8
        .value_kind:     by_value
      - .offset:         80
        .size:           8
        .value_kind:     by_value
      - .offset:         88
        .size:           4
        .value_kind:     by_value
    .group_segment_fixed_size: 8192
    .kernarg_segment_align: 8
    .kernarg_segment_size: 92
    .language:       OpenCL C
    .language_version:
      - 2
      - 0
    .max_flat_workgroup_size: 256
    .name:           _ZL37rocblas_syrkx_herkx_restricted_kernelIl19rocblas_complex_numIdELi16ELi32ELi8ELin1ELi0ELb1ELc67ELc76EKPKS1_KPS1_EviT_PT9_S7_lS9_S7_lPT10_S7_li
    .private_segment_fixed_size: 0
    .sgpr_count:     22
    .sgpr_spill_count: 0
    .symbol:         _ZL37rocblas_syrkx_herkx_restricted_kernelIl19rocblas_complex_numIdELi16ELi32ELi8ELin1ELi0ELb1ELc67ELc76EKPKS1_KPS1_EviT_PT9_S7_lS9_S7_lPT10_S7_li.kd
    .uniform_work_group_size: 1
    .uses_dynamic_stack: false
    .vgpr_count:     118
    .vgpr_spill_count: 0
    .wavefront_size: 32
    .workgroup_processor_mode: 1
  - .args:
      - .offset:         0
        .size:           4
        .value_kind:     by_value
      - .offset:         8
        .size:           8
        .value_kind:     by_value
      - .address_space:  global
        .offset:         16
        .size:           8
        .value_kind:     global_buffer
      - .offset:         24
        .size:           8
        .value_kind:     by_value
      - .offset:         32
        .size:           8
        .value_kind:     by_value
      - .address_space:  global
        .offset:         40
        .size:           8
        .value_kind:     global_buffer
      - .offset:         48
        .size:           8
        .value_kind:     by_value
      - .offset:         56
        .size:           8
        .value_kind:     by_value
      - .address_space:  global
        .offset:         64
        .size:           8
        .value_kind:     global_buffer
      - .offset:         72
        .size:           8
        .value_kind:     by_value
      - .offset:         80
        .size:           8
        .value_kind:     by_value
      - .offset:         88
        .size:           4
        .value_kind:     by_value
    .group_segment_fixed_size: 8192
    .kernarg_segment_align: 8
    .kernarg_segment_size: 92
    .language:       OpenCL C
    .language_version:
      - 2
      - 0
    .max_flat_workgroup_size: 256
    .name:           _ZL37rocblas_syrkx_herkx_restricted_kernelIl19rocblas_complex_numIdELi16ELi32ELi8ELin1ELi0ELb1ELc78ELc76EKPKS1_KPS1_EviT_PT9_S7_lS9_S7_lPT10_S7_li
    .private_segment_fixed_size: 0
    .sgpr_count:     22
    .sgpr_spill_count: 0
    .symbol:         _ZL37rocblas_syrkx_herkx_restricted_kernelIl19rocblas_complex_numIdELi16ELi32ELi8ELin1ELi0ELb1ELc78ELc76EKPKS1_KPS1_EviT_PT9_S7_lS9_S7_lPT10_S7_li.kd
    .uniform_work_group_size: 1
    .uses_dynamic_stack: false
    .vgpr_count:     118
    .vgpr_spill_count: 0
    .wavefront_size: 32
    .workgroup_processor_mode: 1
  - .args:
      - .offset:         0
        .size:           4
        .value_kind:     by_value
      - .offset:         8
        .size:           8
        .value_kind:     by_value
      - .address_space:  global
        .offset:         16
        .size:           8
        .value_kind:     global_buffer
      - .offset:         24
        .size:           8
        .value_kind:     by_value
      - .offset:         32
        .size:           8
        .value_kind:     by_value
      - .address_space:  global
        .offset:         40
        .size:           8
        .value_kind:     global_buffer
      - .offset:         48
        .size:           8
        .value_kind:     by_value
      - .offset:         56
        .size:           8
        .value_kind:     by_value
      - .address_space:  global
        .offset:         64
        .size:           8
        .value_kind:     global_buffer
      - .offset:         72
        .size:           8
        .value_kind:     by_value
      - .offset:         80
        .size:           8
        .value_kind:     by_value
      - .offset:         88
        .size:           4
        .value_kind:     by_value
    .group_segment_fixed_size: 8192
    .kernarg_segment_align: 8
    .kernarg_segment_size: 92
    .language:       OpenCL C
    .language_version:
      - 2
      - 0
    .max_flat_workgroup_size: 256
    .name:           _ZL37rocblas_syrkx_herkx_restricted_kernelIl19rocblas_complex_numIdELi16ELi32ELi8ELin1ELi0ELb1ELc84ELc85EKPKS1_KPS1_EviT_PT9_S7_lS9_S7_lPT10_S7_li
    .private_segment_fixed_size: 0
    .sgpr_count:     22
    .sgpr_spill_count: 0
    .symbol:         _ZL37rocblas_syrkx_herkx_restricted_kernelIl19rocblas_complex_numIdELi16ELi32ELi8ELin1ELi0ELb1ELc84ELc85EKPKS1_KPS1_EviT_PT9_S7_lS9_S7_lPT10_S7_li.kd
    .uniform_work_group_size: 1
    .uses_dynamic_stack: false
    .vgpr_count:     118
    .vgpr_spill_count: 0
    .wavefront_size: 32
    .workgroup_processor_mode: 1
  - .args:
      - .offset:         0
        .size:           4
        .value_kind:     by_value
      - .offset:         8
        .size:           8
        .value_kind:     by_value
      - .address_space:  global
        .offset:         16
        .size:           8
        .value_kind:     global_buffer
      - .offset:         24
        .size:           8
        .value_kind:     by_value
      - .offset:         32
        .size:           8
        .value_kind:     by_value
      - .address_space:  global
        .offset:         40
        .size:           8
        .value_kind:     global_buffer
      - .offset:         48
        .size:           8
        .value_kind:     by_value
      - .offset:         56
        .size:           8
        .value_kind:     by_value
      - .address_space:  global
        .offset:         64
        .size:           8
        .value_kind:     global_buffer
      - .offset:         72
        .size:           8
        .value_kind:     by_value
      - .offset:         80
        .size:           8
        .value_kind:     by_value
      - .offset:         88
        .size:           4
        .value_kind:     by_value
    .group_segment_fixed_size: 8192
    .kernarg_segment_align: 8
    .kernarg_segment_size: 92
    .language:       OpenCL C
    .language_version:
      - 2
      - 0
    .max_flat_workgroup_size: 256
    .name:           _ZL37rocblas_syrkx_herkx_restricted_kernelIl19rocblas_complex_numIdELi16ELi32ELi8ELin1ELi0ELb1ELc67ELc85EKPKS1_KPS1_EviT_PT9_S7_lS9_S7_lPT10_S7_li
    .private_segment_fixed_size: 0
    .sgpr_count:     22
    .sgpr_spill_count: 0
    .symbol:         _ZL37rocblas_syrkx_herkx_restricted_kernelIl19rocblas_complex_numIdELi16ELi32ELi8ELin1ELi0ELb1ELc67ELc85EKPKS1_KPS1_EviT_PT9_S7_lS9_S7_lPT10_S7_li.kd
    .uniform_work_group_size: 1
    .uses_dynamic_stack: false
    .vgpr_count:     118
    .vgpr_spill_count: 0
    .wavefront_size: 32
    .workgroup_processor_mode: 1
  - .args:
      - .offset:         0
        .size:           4
        .value_kind:     by_value
      - .offset:         8
        .size:           8
        .value_kind:     by_value
      - .address_space:  global
        .offset:         16
        .size:           8
        .value_kind:     global_buffer
      - .offset:         24
        .size:           8
        .value_kind:     by_value
      - .offset:         32
        .size:           8
        .value_kind:     by_value
      - .address_space:  global
        .offset:         40
        .size:           8
        .value_kind:     global_buffer
      - .offset:         48
        .size:           8
        .value_kind:     by_value
      - .offset:         56
        .size:           8
        .value_kind:     by_value
      - .address_space:  global
        .offset:         64
        .size:           8
        .value_kind:     global_buffer
      - .offset:         72
        .size:           8
        .value_kind:     by_value
      - .offset:         80
        .size:           8
        .value_kind:     by_value
      - .offset:         88
        .size:           4
        .value_kind:     by_value
    .group_segment_fixed_size: 8192
    .kernarg_segment_align: 8
    .kernarg_segment_size: 92
    .language:       OpenCL C
    .language_version:
      - 2
      - 0
    .max_flat_workgroup_size: 256
    .name:           _ZL37rocblas_syrkx_herkx_restricted_kernelIl19rocblas_complex_numIdELi16ELi32ELi8ELin1ELi0ELb1ELc78ELc85EKPKS1_KPS1_EviT_PT9_S7_lS9_S7_lPT10_S7_li
    .private_segment_fixed_size: 0
    .sgpr_count:     22
    .sgpr_spill_count: 0
    .symbol:         _ZL37rocblas_syrkx_herkx_restricted_kernelIl19rocblas_complex_numIdELi16ELi32ELi8ELin1ELi0ELb1ELc78ELc85EKPKS1_KPS1_EviT_PT9_S7_lS9_S7_lPT10_S7_li.kd
    .uniform_work_group_size: 1
    .uses_dynamic_stack: false
    .vgpr_count:     118
    .vgpr_spill_count: 0
    .wavefront_size: 32
    .workgroup_processor_mode: 1
  - .args:
      - .offset:         0
        .size:           4
        .value_kind:     by_value
      - .offset:         8
        .size:           8
        .value_kind:     by_value
      - .offset:         16
        .size:           16
        .value_kind:     by_value
      - .address_space:  global
        .offset:         32
        .size:           8
        .value_kind:     global_buffer
      - .offset:         40
        .size:           8
        .value_kind:     by_value
      - .offset:         48
        .size:           8
        .value_kind:     by_value
      - .address_space:  global
        .offset:         56
        .size:           8
        .value_kind:     global_buffer
      - .offset:         64
        .size:           8
        .value_kind:     by_value
      - .offset:         72
        .size:           8
        .value_kind:     by_value
      - .offset:         80
        .size:           16
        .value_kind:     by_value
      - .address_space:  global
        .offset:         96
        .size:           8
        .value_kind:     global_buffer
      - .offset:         104
        .size:           8
        .value_kind:     by_value
      - .offset:         112
        .size:           8
        .value_kind:     by_value
      - .offset:         120
        .size:           4
        .value_kind:     by_value
    .group_segment_fixed_size: 8192
    .kernarg_segment_align: 8
    .kernarg_segment_size: 124
    .language:       OpenCL C
    .language_version:
      - 2
      - 0
    .max_flat_workgroup_size: 256
    .name:           _ZL37rocblas_syrkx_herkx_restricted_kernelIl19rocblas_complex_numIdELi16ELi32ELi8ELb1ELb1ELc84ELc76EKPKS1_KPS1_EviT_T0_PT8_S7_lSA_S7_lS8_PT9_S7_li
    .private_segment_fixed_size: 0
    .sgpr_count:     26
    .sgpr_spill_count: 0
    .symbol:         _ZL37rocblas_syrkx_herkx_restricted_kernelIl19rocblas_complex_numIdELi16ELi32ELi8ELb1ELb1ELc84ELc76EKPKS1_KPS1_EviT_T0_PT8_S7_lSA_S7_lS8_PT9_S7_li.kd
    .uniform_work_group_size: 1
    .uses_dynamic_stack: false
    .vgpr_count:     118
    .vgpr_spill_count: 0
    .wavefront_size: 32
    .workgroup_processor_mode: 1
  - .args:
      - .offset:         0
        .size:           4
        .value_kind:     by_value
      - .offset:         8
        .size:           8
        .value_kind:     by_value
      - .offset:         16
        .size:           16
        .value_kind:     by_value
      - .address_space:  global
        .offset:         32
        .size:           8
        .value_kind:     global_buffer
      - .offset:         40
        .size:           8
        .value_kind:     by_value
      - .offset:         48
        .size:           8
        .value_kind:     by_value
      - .address_space:  global
        .offset:         56
        .size:           8
        .value_kind:     global_buffer
      - .offset:         64
        .size:           8
        .value_kind:     by_value
      - .offset:         72
        .size:           8
        .value_kind:     by_value
      - .offset:         80
        .size:           16
        .value_kind:     by_value
      - .address_space:  global
        .offset:         96
        .size:           8
        .value_kind:     global_buffer
      - .offset:         104
        .size:           8
        .value_kind:     by_value
      - .offset:         112
        .size:           8
        .value_kind:     by_value
      - .offset:         120
        .size:           4
        .value_kind:     by_value
    .group_segment_fixed_size: 8192
    .kernarg_segment_align: 8
    .kernarg_segment_size: 124
    .language:       OpenCL C
    .language_version:
      - 2
      - 0
    .max_flat_workgroup_size: 256
    .name:           _ZL37rocblas_syrkx_herkx_restricted_kernelIl19rocblas_complex_numIdELi16ELi32ELi8ELb1ELb1ELc67ELc76EKPKS1_KPS1_EviT_T0_PT8_S7_lSA_S7_lS8_PT9_S7_li
    .private_segment_fixed_size: 0
    .sgpr_count:     26
    .sgpr_spill_count: 0
    .symbol:         _ZL37rocblas_syrkx_herkx_restricted_kernelIl19rocblas_complex_numIdELi16ELi32ELi8ELb1ELb1ELc67ELc76EKPKS1_KPS1_EviT_T0_PT8_S7_lSA_S7_lS8_PT9_S7_li.kd
    .uniform_work_group_size: 1
    .uses_dynamic_stack: false
    .vgpr_count:     118
    .vgpr_spill_count: 0
    .wavefront_size: 32
    .workgroup_processor_mode: 1
  - .args:
      - .offset:         0
        .size:           4
        .value_kind:     by_value
      - .offset:         8
        .size:           8
        .value_kind:     by_value
      - .offset:         16
        .size:           16
        .value_kind:     by_value
      - .address_space:  global
        .offset:         32
        .size:           8
        .value_kind:     global_buffer
      - .offset:         40
        .size:           8
        .value_kind:     by_value
      - .offset:         48
        .size:           8
        .value_kind:     by_value
      - .address_space:  global
        .offset:         56
        .size:           8
        .value_kind:     global_buffer
      - .offset:         64
        .size:           8
        .value_kind:     by_value
      - .offset:         72
        .size:           8
        .value_kind:     by_value
      - .offset:         80
        .size:           16
        .value_kind:     by_value
      - .address_space:  global
        .offset:         96
        .size:           8
        .value_kind:     global_buffer
      - .offset:         104
        .size:           8
        .value_kind:     by_value
      - .offset:         112
        .size:           8
        .value_kind:     by_value
      - .offset:         120
        .size:           4
        .value_kind:     by_value
    .group_segment_fixed_size: 8192
    .kernarg_segment_align: 8
    .kernarg_segment_size: 124
    .language:       OpenCL C
    .language_version:
      - 2
      - 0
    .max_flat_workgroup_size: 256
    .name:           _ZL37rocblas_syrkx_herkx_restricted_kernelIl19rocblas_complex_numIdELi16ELi32ELi8ELb1ELb1ELc78ELc76EKPKS1_KPS1_EviT_T0_PT8_S7_lSA_S7_lS8_PT9_S7_li
    .private_segment_fixed_size: 0
    .sgpr_count:     26
    .sgpr_spill_count: 0
    .symbol:         _ZL37rocblas_syrkx_herkx_restricted_kernelIl19rocblas_complex_numIdELi16ELi32ELi8ELb1ELb1ELc78ELc76EKPKS1_KPS1_EviT_T0_PT8_S7_lSA_S7_lS8_PT9_S7_li.kd
    .uniform_work_group_size: 1
    .uses_dynamic_stack: false
    .vgpr_count:     118
    .vgpr_spill_count: 0
    .wavefront_size: 32
    .workgroup_processor_mode: 1
  - .args:
      - .offset:         0
        .size:           4
        .value_kind:     by_value
      - .offset:         8
        .size:           8
        .value_kind:     by_value
      - .offset:         16
        .size:           16
        .value_kind:     by_value
      - .address_space:  global
        .offset:         32
        .size:           8
        .value_kind:     global_buffer
      - .offset:         40
        .size:           8
        .value_kind:     by_value
      - .offset:         48
        .size:           8
        .value_kind:     by_value
      - .address_space:  global
        .offset:         56
        .size:           8
        .value_kind:     global_buffer
      - .offset:         64
        .size:           8
        .value_kind:     by_value
      - .offset:         72
        .size:           8
        .value_kind:     by_value
      - .offset:         80
        .size:           16
        .value_kind:     by_value
      - .address_space:  global
        .offset:         96
        .size:           8
        .value_kind:     global_buffer
      - .offset:         104
        .size:           8
        .value_kind:     by_value
      - .offset:         112
        .size:           8
        .value_kind:     by_value
      - .offset:         120
        .size:           4
        .value_kind:     by_value
    .group_segment_fixed_size: 8192
    .kernarg_segment_align: 8
    .kernarg_segment_size: 124
    .language:       OpenCL C
    .language_version:
      - 2
      - 0
    .max_flat_workgroup_size: 256
    .name:           _ZL37rocblas_syrkx_herkx_restricted_kernelIl19rocblas_complex_numIdELi16ELi32ELi8ELb1ELb1ELc84ELc85EKPKS1_KPS1_EviT_T0_PT8_S7_lSA_S7_lS8_PT9_S7_li
    .private_segment_fixed_size: 0
    .sgpr_count:     26
    .sgpr_spill_count: 0
    .symbol:         _ZL37rocblas_syrkx_herkx_restricted_kernelIl19rocblas_complex_numIdELi16ELi32ELi8ELb1ELb1ELc84ELc85EKPKS1_KPS1_EviT_T0_PT8_S7_lSA_S7_lS8_PT9_S7_li.kd
    .uniform_work_group_size: 1
    .uses_dynamic_stack: false
    .vgpr_count:     118
    .vgpr_spill_count: 0
    .wavefront_size: 32
    .workgroup_processor_mode: 1
  - .args:
      - .offset:         0
        .size:           4
        .value_kind:     by_value
      - .offset:         8
        .size:           8
        .value_kind:     by_value
      - .offset:         16
        .size:           16
        .value_kind:     by_value
      - .address_space:  global
        .offset:         32
        .size:           8
        .value_kind:     global_buffer
      - .offset:         40
        .size:           8
        .value_kind:     by_value
      - .offset:         48
        .size:           8
        .value_kind:     by_value
      - .address_space:  global
        .offset:         56
        .size:           8
        .value_kind:     global_buffer
      - .offset:         64
        .size:           8
        .value_kind:     by_value
      - .offset:         72
        .size:           8
        .value_kind:     by_value
      - .offset:         80
        .size:           16
        .value_kind:     by_value
      - .address_space:  global
        .offset:         96
        .size:           8
        .value_kind:     global_buffer
      - .offset:         104
        .size:           8
        .value_kind:     by_value
      - .offset:         112
        .size:           8
        .value_kind:     by_value
      - .offset:         120
        .size:           4
        .value_kind:     by_value
    .group_segment_fixed_size: 8192
    .kernarg_segment_align: 8
    .kernarg_segment_size: 124
    .language:       OpenCL C
    .language_version:
      - 2
      - 0
    .max_flat_workgroup_size: 256
    .name:           _ZL37rocblas_syrkx_herkx_restricted_kernelIl19rocblas_complex_numIdELi16ELi32ELi8ELb1ELb1ELc67ELc85EKPKS1_KPS1_EviT_T0_PT8_S7_lSA_S7_lS8_PT9_S7_li
    .private_segment_fixed_size: 0
    .sgpr_count:     26
    .sgpr_spill_count: 0
    .symbol:         _ZL37rocblas_syrkx_herkx_restricted_kernelIl19rocblas_complex_numIdELi16ELi32ELi8ELb1ELb1ELc67ELc85EKPKS1_KPS1_EviT_T0_PT8_S7_lSA_S7_lS8_PT9_S7_li.kd
    .uniform_work_group_size: 1
    .uses_dynamic_stack: false
    .vgpr_count:     118
    .vgpr_spill_count: 0
    .wavefront_size: 32
    .workgroup_processor_mode: 1
  - .args:
      - .offset:         0
        .size:           4
        .value_kind:     by_value
      - .offset:         8
        .size:           8
        .value_kind:     by_value
      - .offset:         16
        .size:           16
        .value_kind:     by_value
      - .address_space:  global
        .offset:         32
        .size:           8
        .value_kind:     global_buffer
      - .offset:         40
        .size:           8
        .value_kind:     by_value
      - .offset:         48
        .size:           8
        .value_kind:     by_value
      - .address_space:  global
        .offset:         56
        .size:           8
        .value_kind:     global_buffer
      - .offset:         64
        .size:           8
        .value_kind:     by_value
      - .offset:         72
        .size:           8
        .value_kind:     by_value
      - .offset:         80
        .size:           16
        .value_kind:     by_value
      - .address_space:  global
        .offset:         96
        .size:           8
        .value_kind:     global_buffer
      - .offset:         104
        .size:           8
        .value_kind:     by_value
      - .offset:         112
        .size:           8
        .value_kind:     by_value
      - .offset:         120
        .size:           4
        .value_kind:     by_value
    .group_segment_fixed_size: 8192
    .kernarg_segment_align: 8
    .kernarg_segment_size: 124
    .language:       OpenCL C
    .language_version:
      - 2
      - 0
    .max_flat_workgroup_size: 256
    .name:           _ZL37rocblas_syrkx_herkx_restricted_kernelIl19rocblas_complex_numIdELi16ELi32ELi8ELb1ELb1ELc78ELc85EKPKS1_KPS1_EviT_T0_PT8_S7_lSA_S7_lS8_PT9_S7_li
    .private_segment_fixed_size: 0
    .sgpr_count:     26
    .sgpr_spill_count: 0
    .symbol:         _ZL37rocblas_syrkx_herkx_restricted_kernelIl19rocblas_complex_numIdELi16ELi32ELi8ELb1ELb1ELc78ELc85EKPKS1_KPS1_EviT_T0_PT8_S7_lSA_S7_lS8_PT9_S7_li.kd
    .uniform_work_group_size: 1
    .uses_dynamic_stack: false
    .vgpr_count:     118
    .vgpr_spill_count: 0
    .wavefront_size: 32
    .workgroup_processor_mode: 1
  - .args:
      - .offset:         0
        .size:           4
        .value_kind:     by_value
      - .offset:         8
        .size:           8
        .value_kind:     by_value
      - .offset:         16
        .size:           16
        .value_kind:     by_value
      - .address_space:  global
        .offset:         32
        .size:           8
        .value_kind:     global_buffer
      - .offset:         40
        .size:           8
        .value_kind:     by_value
      - .offset:         48
        .size:           8
        .value_kind:     by_value
      - .address_space:  global
        .offset:         56
        .size:           8
        .value_kind:     global_buffer
      - .offset:         64
        .size:           8
        .value_kind:     by_value
      - .offset:         72
        .size:           8
        .value_kind:     by_value
      - .offset:         80
        .size:           16
        .value_kind:     by_value
      - .address_space:  global
        .offset:         96
        .size:           8
        .value_kind:     global_buffer
      - .offset:         104
        .size:           8
        .value_kind:     by_value
      - .offset:         112
        .size:           8
        .value_kind:     by_value
      - .offset:         120
        .size:           4
        .value_kind:     by_value
    .group_segment_fixed_size: 8192
    .kernarg_segment_align: 8
    .kernarg_segment_size: 124
    .language:       OpenCL C
    .language_version:
      - 2
      - 0
    .max_flat_workgroup_size: 256
    .name:           _ZL37rocblas_syrkx_herkx_restricted_kernelIl19rocblas_complex_numIdELi16ELi32ELi8ELb0ELb1ELc84ELc76EKPKS1_KPS1_EviT_T0_PT8_S7_lSA_S7_lS8_PT9_S7_li
    .private_segment_fixed_size: 0
    .sgpr_count:     30
    .sgpr_spill_count: 0
    .symbol:         _ZL37rocblas_syrkx_herkx_restricted_kernelIl19rocblas_complex_numIdELi16ELi32ELi8ELb0ELb1ELc84ELc76EKPKS1_KPS1_EviT_T0_PT8_S7_lSA_S7_lS8_PT9_S7_li.kd
    .uniform_work_group_size: 1
    .uses_dynamic_stack: false
    .vgpr_count:     118
    .vgpr_spill_count: 0
    .wavefront_size: 32
    .workgroup_processor_mode: 1
  - .args:
      - .offset:         0
        .size:           4
        .value_kind:     by_value
      - .offset:         8
        .size:           8
        .value_kind:     by_value
      - .offset:         16
        .size:           16
        .value_kind:     by_value
      - .address_space:  global
        .offset:         32
        .size:           8
        .value_kind:     global_buffer
      - .offset:         40
        .size:           8
        .value_kind:     by_value
      - .offset:         48
        .size:           8
        .value_kind:     by_value
      - .address_space:  global
        .offset:         56
        .size:           8
        .value_kind:     global_buffer
      - .offset:         64
        .size:           8
        .value_kind:     by_value
      - .offset:         72
        .size:           8
        .value_kind:     by_value
      - .offset:         80
        .size:           16
        .value_kind:     by_value
      - .address_space:  global
        .offset:         96
        .size:           8
        .value_kind:     global_buffer
      - .offset:         104
        .size:           8
        .value_kind:     by_value
      - .offset:         112
        .size:           8
        .value_kind:     by_value
      - .offset:         120
        .size:           4
        .value_kind:     by_value
    .group_segment_fixed_size: 8192
    .kernarg_segment_align: 8
    .kernarg_segment_size: 124
    .language:       OpenCL C
    .language_version:
      - 2
      - 0
    .max_flat_workgroup_size: 256
    .name:           _ZL37rocblas_syrkx_herkx_restricted_kernelIl19rocblas_complex_numIdELi16ELi32ELi8ELb0ELb1ELc67ELc76EKPKS1_KPS1_EviT_T0_PT8_S7_lSA_S7_lS8_PT9_S7_li
    .private_segment_fixed_size: 0
    .sgpr_count:     30
    .sgpr_spill_count: 0
    .symbol:         _ZL37rocblas_syrkx_herkx_restricted_kernelIl19rocblas_complex_numIdELi16ELi32ELi8ELb0ELb1ELc67ELc76EKPKS1_KPS1_EviT_T0_PT8_S7_lSA_S7_lS8_PT9_S7_li.kd
    .uniform_work_group_size: 1
    .uses_dynamic_stack: false
    .vgpr_count:     118
    .vgpr_spill_count: 0
    .wavefront_size: 32
    .workgroup_processor_mode: 1
  - .args:
      - .offset:         0
        .size:           4
        .value_kind:     by_value
      - .offset:         8
        .size:           8
        .value_kind:     by_value
      - .offset:         16
        .size:           16
        .value_kind:     by_value
      - .address_space:  global
        .offset:         32
        .size:           8
        .value_kind:     global_buffer
      - .offset:         40
        .size:           8
        .value_kind:     by_value
      - .offset:         48
        .size:           8
        .value_kind:     by_value
      - .address_space:  global
        .offset:         56
        .size:           8
        .value_kind:     global_buffer
      - .offset:         64
        .size:           8
        .value_kind:     by_value
      - .offset:         72
        .size:           8
        .value_kind:     by_value
      - .offset:         80
        .size:           16
        .value_kind:     by_value
      - .address_space:  global
        .offset:         96
        .size:           8
        .value_kind:     global_buffer
      - .offset:         104
        .size:           8
        .value_kind:     by_value
      - .offset:         112
        .size:           8
        .value_kind:     by_value
      - .offset:         120
        .size:           4
        .value_kind:     by_value
    .group_segment_fixed_size: 8192
    .kernarg_segment_align: 8
    .kernarg_segment_size: 124
    .language:       OpenCL C
    .language_version:
      - 2
      - 0
    .max_flat_workgroup_size: 256
    .name:           _ZL37rocblas_syrkx_herkx_restricted_kernelIl19rocblas_complex_numIdELi16ELi32ELi8ELb0ELb1ELc78ELc76EKPKS1_KPS1_EviT_T0_PT8_S7_lSA_S7_lS8_PT9_S7_li
    .private_segment_fixed_size: 0
    .sgpr_count:     30
    .sgpr_spill_count: 0
    .symbol:         _ZL37rocblas_syrkx_herkx_restricted_kernelIl19rocblas_complex_numIdELi16ELi32ELi8ELb0ELb1ELc78ELc76EKPKS1_KPS1_EviT_T0_PT8_S7_lSA_S7_lS8_PT9_S7_li.kd
    .uniform_work_group_size: 1
    .uses_dynamic_stack: false
    .vgpr_count:     118
    .vgpr_spill_count: 0
    .wavefront_size: 32
    .workgroup_processor_mode: 1
  - .args:
      - .offset:         0
        .size:           4
        .value_kind:     by_value
      - .offset:         8
        .size:           8
        .value_kind:     by_value
      - .offset:         16
        .size:           16
        .value_kind:     by_value
      - .address_space:  global
        .offset:         32
        .size:           8
        .value_kind:     global_buffer
      - .offset:         40
        .size:           8
        .value_kind:     by_value
      - .offset:         48
        .size:           8
        .value_kind:     by_value
      - .address_space:  global
        .offset:         56
        .size:           8
        .value_kind:     global_buffer
      - .offset:         64
        .size:           8
        .value_kind:     by_value
      - .offset:         72
        .size:           8
        .value_kind:     by_value
      - .offset:         80
        .size:           16
        .value_kind:     by_value
      - .address_space:  global
        .offset:         96
        .size:           8
        .value_kind:     global_buffer
      - .offset:         104
        .size:           8
        .value_kind:     by_value
      - .offset:         112
        .size:           8
        .value_kind:     by_value
      - .offset:         120
        .size:           4
        .value_kind:     by_value
    .group_segment_fixed_size: 8192
    .kernarg_segment_align: 8
    .kernarg_segment_size: 124
    .language:       OpenCL C
    .language_version:
      - 2
      - 0
    .max_flat_workgroup_size: 256
    .name:           _ZL37rocblas_syrkx_herkx_restricted_kernelIl19rocblas_complex_numIdELi16ELi32ELi8ELb0ELb1ELc84ELc85EKPKS1_KPS1_EviT_T0_PT8_S7_lSA_S7_lS8_PT9_S7_li
    .private_segment_fixed_size: 0
    .sgpr_count:     30
    .sgpr_spill_count: 0
    .symbol:         _ZL37rocblas_syrkx_herkx_restricted_kernelIl19rocblas_complex_numIdELi16ELi32ELi8ELb0ELb1ELc84ELc85EKPKS1_KPS1_EviT_T0_PT8_S7_lSA_S7_lS8_PT9_S7_li.kd
    .uniform_work_group_size: 1
    .uses_dynamic_stack: false
    .vgpr_count:     118
    .vgpr_spill_count: 0
    .wavefront_size: 32
    .workgroup_processor_mode: 1
  - .args:
      - .offset:         0
        .size:           4
        .value_kind:     by_value
      - .offset:         8
        .size:           8
        .value_kind:     by_value
      - .offset:         16
        .size:           16
        .value_kind:     by_value
      - .address_space:  global
        .offset:         32
        .size:           8
        .value_kind:     global_buffer
      - .offset:         40
        .size:           8
        .value_kind:     by_value
      - .offset:         48
        .size:           8
        .value_kind:     by_value
      - .address_space:  global
        .offset:         56
        .size:           8
        .value_kind:     global_buffer
      - .offset:         64
        .size:           8
        .value_kind:     by_value
      - .offset:         72
        .size:           8
        .value_kind:     by_value
      - .offset:         80
        .size:           16
        .value_kind:     by_value
      - .address_space:  global
        .offset:         96
        .size:           8
        .value_kind:     global_buffer
      - .offset:         104
        .size:           8
        .value_kind:     by_value
      - .offset:         112
        .size:           8
        .value_kind:     by_value
      - .offset:         120
        .size:           4
        .value_kind:     by_value
    .group_segment_fixed_size: 8192
    .kernarg_segment_align: 8
    .kernarg_segment_size: 124
    .language:       OpenCL C
    .language_version:
      - 2
      - 0
    .max_flat_workgroup_size: 256
    .name:           _ZL37rocblas_syrkx_herkx_restricted_kernelIl19rocblas_complex_numIdELi16ELi32ELi8ELb0ELb1ELc67ELc85EKPKS1_KPS1_EviT_T0_PT8_S7_lSA_S7_lS8_PT9_S7_li
    .private_segment_fixed_size: 0
    .sgpr_count:     30
    .sgpr_spill_count: 0
    .symbol:         _ZL37rocblas_syrkx_herkx_restricted_kernelIl19rocblas_complex_numIdELi16ELi32ELi8ELb0ELb1ELc67ELc85EKPKS1_KPS1_EviT_T0_PT8_S7_lSA_S7_lS8_PT9_S7_li.kd
    .uniform_work_group_size: 1
    .uses_dynamic_stack: false
    .vgpr_count:     118
    .vgpr_spill_count: 0
    .wavefront_size: 32
    .workgroup_processor_mode: 1
  - .args:
      - .offset:         0
        .size:           4
        .value_kind:     by_value
      - .offset:         8
        .size:           8
        .value_kind:     by_value
      - .offset:         16
        .size:           16
        .value_kind:     by_value
      - .address_space:  global
        .offset:         32
        .size:           8
        .value_kind:     global_buffer
      - .offset:         40
        .size:           8
        .value_kind:     by_value
      - .offset:         48
        .size:           8
        .value_kind:     by_value
      - .address_space:  global
        .offset:         56
        .size:           8
        .value_kind:     global_buffer
      - .offset:         64
        .size:           8
        .value_kind:     by_value
      - .offset:         72
        .size:           8
        .value_kind:     by_value
      - .offset:         80
        .size:           16
        .value_kind:     by_value
      - .address_space:  global
        .offset:         96
        .size:           8
        .value_kind:     global_buffer
      - .offset:         104
        .size:           8
        .value_kind:     by_value
      - .offset:         112
        .size:           8
        .value_kind:     by_value
      - .offset:         120
        .size:           4
        .value_kind:     by_value
    .group_segment_fixed_size: 8192
    .kernarg_segment_align: 8
    .kernarg_segment_size: 124
    .language:       OpenCL C
    .language_version:
      - 2
      - 0
    .max_flat_workgroup_size: 256
    .name:           _ZL37rocblas_syrkx_herkx_restricted_kernelIl19rocblas_complex_numIdELi16ELi32ELi8ELb0ELb1ELc78ELc85EKPKS1_KPS1_EviT_T0_PT8_S7_lSA_S7_lS8_PT9_S7_li
    .private_segment_fixed_size: 0
    .sgpr_count:     30
    .sgpr_spill_count: 0
    .symbol:         _ZL37rocblas_syrkx_herkx_restricted_kernelIl19rocblas_complex_numIdELi16ELi32ELi8ELb0ELb1ELc78ELc85EKPKS1_KPS1_EviT_T0_PT8_S7_lSA_S7_lS8_PT9_S7_li.kd
    .uniform_work_group_size: 1
    .uses_dynamic_stack: false
    .vgpr_count:     118
    .vgpr_spill_count: 0
    .wavefront_size: 32
    .workgroup_processor_mode: 1
  - .args:
      - .offset:         0
        .size:           4
        .value_kind:     by_value
      - .offset:         8
        .size:           8
        .value_kind:     by_value
      - .offset:         16
        .size:           16
        .value_kind:     by_value
      - .address_space:  global
        .offset:         32
        .size:           8
        .value_kind:     global_buffer
      - .offset:         40
        .size:           8
        .value_kind:     by_value
      - .offset:         48
        .size:           8
        .value_kind:     by_value
      - .address_space:  global
        .offset:         56
        .size:           8
        .value_kind:     global_buffer
      - .offset:         64
        .size:           8
        .value_kind:     by_value
      - .offset:         72
        .size:           8
        .value_kind:     by_value
      - .offset:         80
        .size:           16
        .value_kind:     by_value
      - .address_space:  global
        .offset:         96
        .size:           8
        .value_kind:     global_buffer
      - .offset:         104
        .size:           8
        .value_kind:     by_value
      - .offset:         112
        .size:           8
        .value_kind:     by_value
      - .offset:         120
        .size:           4
        .value_kind:     by_value
    .group_segment_fixed_size: 8192
    .kernarg_segment_align: 8
    .kernarg_segment_size: 124
    .language:       OpenCL C
    .language_version:
      - 2
      - 0
    .max_flat_workgroup_size: 256
    .name:           _ZL41rocblas_syrkx_herkx_small_restrict_kernelIl19rocblas_complex_numIdELi16ELb1ELb1ELc84ELc76EKPKS1_KPS1_EviT_T0_PT6_S7_lSA_S7_lS8_PT7_S7_li
    .private_segment_fixed_size: 0
    .sgpr_count:     24
    .sgpr_spill_count: 0
    .symbol:         _ZL41rocblas_syrkx_herkx_small_restrict_kernelIl19rocblas_complex_numIdELi16ELb1ELb1ELc84ELc76EKPKS1_KPS1_EviT_T0_PT6_S7_lSA_S7_lS8_PT7_S7_li.kd
    .uniform_work_group_size: 1
    .uses_dynamic_stack: false
    .vgpr_count:     48
    .vgpr_spill_count: 0
    .wavefront_size: 32
    .workgroup_processor_mode: 1
  - .args:
      - .offset:         0
        .size:           4
        .value_kind:     by_value
      - .offset:         8
        .size:           8
        .value_kind:     by_value
      - .offset:         16
        .size:           16
        .value_kind:     by_value
      - .address_space:  global
        .offset:         32
        .size:           8
        .value_kind:     global_buffer
      - .offset:         40
        .size:           8
        .value_kind:     by_value
      - .offset:         48
        .size:           8
        .value_kind:     by_value
      - .address_space:  global
        .offset:         56
        .size:           8
        .value_kind:     global_buffer
      - .offset:         64
        .size:           8
        .value_kind:     by_value
      - .offset:         72
        .size:           8
        .value_kind:     by_value
      - .offset:         80
        .size:           16
        .value_kind:     by_value
      - .address_space:  global
        .offset:         96
        .size:           8
        .value_kind:     global_buffer
      - .offset:         104
        .size:           8
        .value_kind:     by_value
      - .offset:         112
        .size:           8
        .value_kind:     by_value
      - .offset:         120
        .size:           4
        .value_kind:     by_value
    .group_segment_fixed_size: 8192
    .kernarg_segment_align: 8
    .kernarg_segment_size: 124
    .language:       OpenCL C
    .language_version:
      - 2
      - 0
    .max_flat_workgroup_size: 256
    .name:           _ZL41rocblas_syrkx_herkx_small_restrict_kernelIl19rocblas_complex_numIdELi16ELb1ELb1ELc67ELc76EKPKS1_KPS1_EviT_T0_PT6_S7_lSA_S7_lS8_PT7_S7_li
    .private_segment_fixed_size: 0
    .sgpr_count:     24
    .sgpr_spill_count: 0
    .symbol:         _ZL41rocblas_syrkx_herkx_small_restrict_kernelIl19rocblas_complex_numIdELi16ELb1ELb1ELc67ELc76EKPKS1_KPS1_EviT_T0_PT6_S7_lSA_S7_lS8_PT7_S7_li.kd
    .uniform_work_group_size: 1
    .uses_dynamic_stack: false
    .vgpr_count:     48
    .vgpr_spill_count: 0
    .wavefront_size: 32
    .workgroup_processor_mode: 1
  - .args:
      - .offset:         0
        .size:           4
        .value_kind:     by_value
      - .offset:         8
        .size:           8
        .value_kind:     by_value
      - .offset:         16
        .size:           16
        .value_kind:     by_value
      - .address_space:  global
        .offset:         32
        .size:           8
        .value_kind:     global_buffer
      - .offset:         40
        .size:           8
        .value_kind:     by_value
      - .offset:         48
        .size:           8
        .value_kind:     by_value
      - .address_space:  global
        .offset:         56
        .size:           8
        .value_kind:     global_buffer
      - .offset:         64
        .size:           8
        .value_kind:     by_value
      - .offset:         72
        .size:           8
        .value_kind:     by_value
      - .offset:         80
        .size:           16
        .value_kind:     by_value
      - .address_space:  global
        .offset:         96
        .size:           8
        .value_kind:     global_buffer
      - .offset:         104
        .size:           8
        .value_kind:     by_value
      - .offset:         112
        .size:           8
        .value_kind:     by_value
      - .offset:         120
        .size:           4
        .value_kind:     by_value
    .group_segment_fixed_size: 8192
    .kernarg_segment_align: 8
    .kernarg_segment_size: 124
    .language:       OpenCL C
    .language_version:
      - 2
      - 0
    .max_flat_workgroup_size: 256
    .name:           _ZL41rocblas_syrkx_herkx_small_restrict_kernelIl19rocblas_complex_numIdELi16ELb1ELb1ELc78ELc76EKPKS1_KPS1_EviT_T0_PT6_S7_lSA_S7_lS8_PT7_S7_li
    .private_segment_fixed_size: 0
    .sgpr_count:     26
    .sgpr_spill_count: 0
    .symbol:         _ZL41rocblas_syrkx_herkx_small_restrict_kernelIl19rocblas_complex_numIdELi16ELb1ELb1ELc78ELc76EKPKS1_KPS1_EviT_T0_PT6_S7_lSA_S7_lS8_PT7_S7_li.kd
    .uniform_work_group_size: 1
    .uses_dynamic_stack: false
    .vgpr_count:     48
    .vgpr_spill_count: 0
    .wavefront_size: 32
    .workgroup_processor_mode: 1
  - .args:
      - .offset:         0
        .size:           4
        .value_kind:     by_value
      - .offset:         8
        .size:           8
        .value_kind:     by_value
      - .offset:         16
        .size:           16
        .value_kind:     by_value
      - .address_space:  global
        .offset:         32
        .size:           8
        .value_kind:     global_buffer
      - .offset:         40
        .size:           8
        .value_kind:     by_value
      - .offset:         48
        .size:           8
        .value_kind:     by_value
      - .address_space:  global
        .offset:         56
        .size:           8
        .value_kind:     global_buffer
      - .offset:         64
        .size:           8
        .value_kind:     by_value
      - .offset:         72
        .size:           8
        .value_kind:     by_value
      - .offset:         80
        .size:           16
        .value_kind:     by_value
      - .address_space:  global
        .offset:         96
        .size:           8
        .value_kind:     global_buffer
      - .offset:         104
        .size:           8
        .value_kind:     by_value
      - .offset:         112
        .size:           8
        .value_kind:     by_value
      - .offset:         120
        .size:           4
        .value_kind:     by_value
    .group_segment_fixed_size: 8192
    .kernarg_segment_align: 8
    .kernarg_segment_size: 124
    .language:       OpenCL C
    .language_version:
      - 2
      - 0
    .max_flat_workgroup_size: 256
    .name:           _ZL41rocblas_syrkx_herkx_small_restrict_kernelIl19rocblas_complex_numIdELi16ELb1ELb1ELc84ELc85EKPKS1_KPS1_EviT_T0_PT6_S7_lSA_S7_lS8_PT7_S7_li
    .private_segment_fixed_size: 0
    .sgpr_count:     24
    .sgpr_spill_count: 0
    .symbol:         _ZL41rocblas_syrkx_herkx_small_restrict_kernelIl19rocblas_complex_numIdELi16ELb1ELb1ELc84ELc85EKPKS1_KPS1_EviT_T0_PT6_S7_lSA_S7_lS8_PT7_S7_li.kd
    .uniform_work_group_size: 1
    .uses_dynamic_stack: false
    .vgpr_count:     48
    .vgpr_spill_count: 0
    .wavefront_size: 32
    .workgroup_processor_mode: 1
  - .args:
      - .offset:         0
        .size:           4
        .value_kind:     by_value
      - .offset:         8
        .size:           8
        .value_kind:     by_value
      - .offset:         16
        .size:           16
        .value_kind:     by_value
      - .address_space:  global
        .offset:         32
        .size:           8
        .value_kind:     global_buffer
      - .offset:         40
        .size:           8
        .value_kind:     by_value
      - .offset:         48
        .size:           8
        .value_kind:     by_value
      - .address_space:  global
        .offset:         56
        .size:           8
        .value_kind:     global_buffer
      - .offset:         64
        .size:           8
        .value_kind:     by_value
      - .offset:         72
        .size:           8
        .value_kind:     by_value
      - .offset:         80
        .size:           16
        .value_kind:     by_value
      - .address_space:  global
        .offset:         96
        .size:           8
        .value_kind:     global_buffer
      - .offset:         104
        .size:           8
        .value_kind:     by_value
      - .offset:         112
        .size:           8
        .value_kind:     by_value
      - .offset:         120
        .size:           4
        .value_kind:     by_value
    .group_segment_fixed_size: 8192
    .kernarg_segment_align: 8
    .kernarg_segment_size: 124
    .language:       OpenCL C
    .language_version:
      - 2
      - 0
    .max_flat_workgroup_size: 256
    .name:           _ZL41rocblas_syrkx_herkx_small_restrict_kernelIl19rocblas_complex_numIdELi16ELb1ELb1ELc67ELc85EKPKS1_KPS1_EviT_T0_PT6_S7_lSA_S7_lS8_PT7_S7_li
    .private_segment_fixed_size: 0
    .sgpr_count:     24
    .sgpr_spill_count: 0
    .symbol:         _ZL41rocblas_syrkx_herkx_small_restrict_kernelIl19rocblas_complex_numIdELi16ELb1ELb1ELc67ELc85EKPKS1_KPS1_EviT_T0_PT6_S7_lSA_S7_lS8_PT7_S7_li.kd
    .uniform_work_group_size: 1
    .uses_dynamic_stack: false
    .vgpr_count:     48
    .vgpr_spill_count: 0
    .wavefront_size: 32
    .workgroup_processor_mode: 1
  - .args:
      - .offset:         0
        .size:           4
        .value_kind:     by_value
      - .offset:         8
        .size:           8
        .value_kind:     by_value
      - .offset:         16
        .size:           16
        .value_kind:     by_value
      - .address_space:  global
        .offset:         32
        .size:           8
        .value_kind:     global_buffer
      - .offset:         40
        .size:           8
        .value_kind:     by_value
      - .offset:         48
        .size:           8
        .value_kind:     by_value
      - .address_space:  global
        .offset:         56
        .size:           8
        .value_kind:     global_buffer
      - .offset:         64
        .size:           8
        .value_kind:     by_value
      - .offset:         72
        .size:           8
        .value_kind:     by_value
      - .offset:         80
        .size:           16
        .value_kind:     by_value
      - .address_space:  global
        .offset:         96
        .size:           8
        .value_kind:     global_buffer
      - .offset:         104
        .size:           8
        .value_kind:     by_value
      - .offset:         112
        .size:           8
        .value_kind:     by_value
      - .offset:         120
        .size:           4
        .value_kind:     by_value
    .group_segment_fixed_size: 8192
    .kernarg_segment_align: 8
    .kernarg_segment_size: 124
    .language:       OpenCL C
    .language_version:
      - 2
      - 0
    .max_flat_workgroup_size: 256
    .name:           _ZL41rocblas_syrkx_herkx_small_restrict_kernelIl19rocblas_complex_numIdELi16ELb1ELb1ELc78ELc85EKPKS1_KPS1_EviT_T0_PT6_S7_lSA_S7_lS8_PT7_S7_li
    .private_segment_fixed_size: 0
    .sgpr_count:     26
    .sgpr_spill_count: 0
    .symbol:         _ZL41rocblas_syrkx_herkx_small_restrict_kernelIl19rocblas_complex_numIdELi16ELb1ELb1ELc78ELc85EKPKS1_KPS1_EviT_T0_PT6_S7_lSA_S7_lS8_PT7_S7_li.kd
    .uniform_work_group_size: 1
    .uses_dynamic_stack: false
    .vgpr_count:     48
    .vgpr_spill_count: 0
    .wavefront_size: 32
    .workgroup_processor_mode: 1
  - .args:
      - .offset:         0
        .size:           4
        .value_kind:     by_value
      - .offset:         8
        .size:           8
        .value_kind:     by_value
      - .offset:         16
        .size:           16
        .value_kind:     by_value
      - .address_space:  global
        .offset:         32
        .size:           8
        .value_kind:     global_buffer
      - .offset:         40
        .size:           8
        .value_kind:     by_value
      - .offset:         48
        .size:           8
        .value_kind:     by_value
      - .address_space:  global
        .offset:         56
        .size:           8
        .value_kind:     global_buffer
      - .offset:         64
        .size:           8
        .value_kind:     by_value
      - .offset:         72
        .size:           8
        .value_kind:     by_value
      - .offset:         80
        .size:           16
        .value_kind:     by_value
      - .address_space:  global
        .offset:         96
        .size:           8
        .value_kind:     global_buffer
      - .offset:         104
        .size:           8
        .value_kind:     by_value
      - .offset:         112
        .size:           8
        .value_kind:     by_value
      - .offset:         120
        .size:           4
        .value_kind:     by_value
    .group_segment_fixed_size: 8192
    .kernarg_segment_align: 8
    .kernarg_segment_size: 124
    .language:       OpenCL C
    .language_version:
      - 2
      - 0
    .max_flat_workgroup_size: 256
    .name:           _ZL41rocblas_syrkx_herkx_small_restrict_kernelIl19rocblas_complex_numIdELi16ELb0ELb1ELc84ELc76EKPKS1_KPS1_EviT_T0_PT6_S7_lSA_S7_lS8_PT7_S7_li
    .private_segment_fixed_size: 0
    .sgpr_count:     28
    .sgpr_spill_count: 0
    .symbol:         _ZL41rocblas_syrkx_herkx_small_restrict_kernelIl19rocblas_complex_numIdELi16ELb0ELb1ELc84ELc76EKPKS1_KPS1_EviT_T0_PT6_S7_lSA_S7_lS8_PT7_S7_li.kd
    .uniform_work_group_size: 1
    .uses_dynamic_stack: false
    .vgpr_count:     48
    .vgpr_spill_count: 0
    .wavefront_size: 32
    .workgroup_processor_mode: 1
  - .args:
      - .offset:         0
        .size:           4
        .value_kind:     by_value
      - .offset:         8
        .size:           8
        .value_kind:     by_value
      - .offset:         16
        .size:           16
        .value_kind:     by_value
      - .address_space:  global
        .offset:         32
        .size:           8
        .value_kind:     global_buffer
      - .offset:         40
        .size:           8
        .value_kind:     by_value
      - .offset:         48
        .size:           8
        .value_kind:     by_value
      - .address_space:  global
        .offset:         56
        .size:           8
        .value_kind:     global_buffer
      - .offset:         64
        .size:           8
        .value_kind:     by_value
      - .offset:         72
        .size:           8
        .value_kind:     by_value
      - .offset:         80
        .size:           16
        .value_kind:     by_value
      - .address_space:  global
        .offset:         96
        .size:           8
        .value_kind:     global_buffer
      - .offset:         104
        .size:           8
        .value_kind:     by_value
      - .offset:         112
        .size:           8
        .value_kind:     by_value
      - .offset:         120
        .size:           4
        .value_kind:     by_value
    .group_segment_fixed_size: 8192
    .kernarg_segment_align: 8
    .kernarg_segment_size: 124
    .language:       OpenCL C
    .language_version:
      - 2
      - 0
    .max_flat_workgroup_size: 256
    .name:           _ZL41rocblas_syrkx_herkx_small_restrict_kernelIl19rocblas_complex_numIdELi16ELb0ELb1ELc67ELc76EKPKS1_KPS1_EviT_T0_PT6_S7_lSA_S7_lS8_PT7_S7_li
    .private_segment_fixed_size: 0
    .sgpr_count:     28
    .sgpr_spill_count: 0
    .symbol:         _ZL41rocblas_syrkx_herkx_small_restrict_kernelIl19rocblas_complex_numIdELi16ELb0ELb1ELc67ELc76EKPKS1_KPS1_EviT_T0_PT6_S7_lSA_S7_lS8_PT7_S7_li.kd
    .uniform_work_group_size: 1
    .uses_dynamic_stack: false
    .vgpr_count:     48
    .vgpr_spill_count: 0
    .wavefront_size: 32
    .workgroup_processor_mode: 1
  - .args:
      - .offset:         0
        .size:           4
        .value_kind:     by_value
      - .offset:         8
        .size:           8
        .value_kind:     by_value
      - .offset:         16
        .size:           16
        .value_kind:     by_value
      - .address_space:  global
        .offset:         32
        .size:           8
        .value_kind:     global_buffer
      - .offset:         40
        .size:           8
        .value_kind:     by_value
      - .offset:         48
        .size:           8
        .value_kind:     by_value
      - .address_space:  global
        .offset:         56
        .size:           8
        .value_kind:     global_buffer
      - .offset:         64
        .size:           8
        .value_kind:     by_value
      - .offset:         72
        .size:           8
        .value_kind:     by_value
      - .offset:         80
        .size:           16
        .value_kind:     by_value
      - .address_space:  global
        .offset:         96
        .size:           8
        .value_kind:     global_buffer
      - .offset:         104
        .size:           8
        .value_kind:     by_value
      - .offset:         112
        .size:           8
        .value_kind:     by_value
      - .offset:         120
        .size:           4
        .value_kind:     by_value
    .group_segment_fixed_size: 8192
    .kernarg_segment_align: 8
    .kernarg_segment_size: 124
    .language:       OpenCL C
    .language_version:
      - 2
      - 0
    .max_flat_workgroup_size: 256
    .name:           _ZL41rocblas_syrkx_herkx_small_restrict_kernelIl19rocblas_complex_numIdELi16ELb0ELb1ELc78ELc76EKPKS1_KPS1_EviT_T0_PT6_S7_lSA_S7_lS8_PT7_S7_li
    .private_segment_fixed_size: 0
    .sgpr_count:     30
    .sgpr_spill_count: 0
    .symbol:         _ZL41rocblas_syrkx_herkx_small_restrict_kernelIl19rocblas_complex_numIdELi16ELb0ELb1ELc78ELc76EKPKS1_KPS1_EviT_T0_PT6_S7_lSA_S7_lS8_PT7_S7_li.kd
    .uniform_work_group_size: 1
    .uses_dynamic_stack: false
    .vgpr_count:     48
    .vgpr_spill_count: 0
    .wavefront_size: 32
    .workgroup_processor_mode: 1
  - .args:
      - .offset:         0
        .size:           4
        .value_kind:     by_value
      - .offset:         8
        .size:           8
        .value_kind:     by_value
      - .offset:         16
        .size:           16
        .value_kind:     by_value
      - .address_space:  global
        .offset:         32
        .size:           8
        .value_kind:     global_buffer
      - .offset:         40
        .size:           8
        .value_kind:     by_value
      - .offset:         48
        .size:           8
        .value_kind:     by_value
      - .address_space:  global
        .offset:         56
        .size:           8
        .value_kind:     global_buffer
      - .offset:         64
        .size:           8
        .value_kind:     by_value
      - .offset:         72
        .size:           8
        .value_kind:     by_value
      - .offset:         80
        .size:           16
        .value_kind:     by_value
      - .address_space:  global
        .offset:         96
        .size:           8
        .value_kind:     global_buffer
      - .offset:         104
        .size:           8
        .value_kind:     by_value
      - .offset:         112
        .size:           8
        .value_kind:     by_value
      - .offset:         120
        .size:           4
        .value_kind:     by_value
    .group_segment_fixed_size: 8192
    .kernarg_segment_align: 8
    .kernarg_segment_size: 124
    .language:       OpenCL C
    .language_version:
      - 2
      - 0
    .max_flat_workgroup_size: 256
    .name:           _ZL41rocblas_syrkx_herkx_small_restrict_kernelIl19rocblas_complex_numIdELi16ELb0ELb1ELc84ELc85EKPKS1_KPS1_EviT_T0_PT6_S7_lSA_S7_lS8_PT7_S7_li
    .private_segment_fixed_size: 0
    .sgpr_count:     28
    .sgpr_spill_count: 0
    .symbol:         _ZL41rocblas_syrkx_herkx_small_restrict_kernelIl19rocblas_complex_numIdELi16ELb0ELb1ELc84ELc85EKPKS1_KPS1_EviT_T0_PT6_S7_lSA_S7_lS8_PT7_S7_li.kd
    .uniform_work_group_size: 1
    .uses_dynamic_stack: false
    .vgpr_count:     48
    .vgpr_spill_count: 0
    .wavefront_size: 32
    .workgroup_processor_mode: 1
  - .args:
      - .offset:         0
        .size:           4
        .value_kind:     by_value
      - .offset:         8
        .size:           8
        .value_kind:     by_value
      - .offset:         16
        .size:           16
        .value_kind:     by_value
      - .address_space:  global
        .offset:         32
        .size:           8
        .value_kind:     global_buffer
      - .offset:         40
        .size:           8
        .value_kind:     by_value
      - .offset:         48
        .size:           8
        .value_kind:     by_value
      - .address_space:  global
        .offset:         56
        .size:           8
        .value_kind:     global_buffer
      - .offset:         64
        .size:           8
        .value_kind:     by_value
      - .offset:         72
        .size:           8
        .value_kind:     by_value
      - .offset:         80
        .size:           16
        .value_kind:     by_value
      - .address_space:  global
        .offset:         96
        .size:           8
        .value_kind:     global_buffer
      - .offset:         104
        .size:           8
        .value_kind:     by_value
      - .offset:         112
        .size:           8
        .value_kind:     by_value
      - .offset:         120
        .size:           4
        .value_kind:     by_value
    .group_segment_fixed_size: 8192
    .kernarg_segment_align: 8
    .kernarg_segment_size: 124
    .language:       OpenCL C
    .language_version:
      - 2
      - 0
    .max_flat_workgroup_size: 256
    .name:           _ZL41rocblas_syrkx_herkx_small_restrict_kernelIl19rocblas_complex_numIdELi16ELb0ELb1ELc67ELc85EKPKS1_KPS1_EviT_T0_PT6_S7_lSA_S7_lS8_PT7_S7_li
    .private_segment_fixed_size: 0
    .sgpr_count:     28
    .sgpr_spill_count: 0
    .symbol:         _ZL41rocblas_syrkx_herkx_small_restrict_kernelIl19rocblas_complex_numIdELi16ELb0ELb1ELc67ELc85EKPKS1_KPS1_EviT_T0_PT6_S7_lSA_S7_lS8_PT7_S7_li.kd
    .uniform_work_group_size: 1
    .uses_dynamic_stack: false
    .vgpr_count:     48
    .vgpr_spill_count: 0
    .wavefront_size: 32
    .workgroup_processor_mode: 1
  - .args:
      - .offset:         0
        .size:           4
        .value_kind:     by_value
      - .offset:         8
        .size:           8
        .value_kind:     by_value
      - .offset:         16
        .size:           16
        .value_kind:     by_value
      - .address_space:  global
        .offset:         32
        .size:           8
        .value_kind:     global_buffer
      - .offset:         40
        .size:           8
        .value_kind:     by_value
      - .offset:         48
        .size:           8
        .value_kind:     by_value
      - .address_space:  global
        .offset:         56
        .size:           8
        .value_kind:     global_buffer
      - .offset:         64
        .size:           8
        .value_kind:     by_value
      - .offset:         72
        .size:           8
        .value_kind:     by_value
      - .offset:         80
        .size:           16
        .value_kind:     by_value
      - .address_space:  global
        .offset:         96
        .size:           8
        .value_kind:     global_buffer
      - .offset:         104
        .size:           8
        .value_kind:     by_value
      - .offset:         112
        .size:           8
        .value_kind:     by_value
      - .offset:         120
        .size:           4
        .value_kind:     by_value
    .group_segment_fixed_size: 8192
    .kernarg_segment_align: 8
    .kernarg_segment_size: 124
    .language:       OpenCL C
    .language_version:
      - 2
      - 0
    .max_flat_workgroup_size: 256
    .name:           _ZL41rocblas_syrkx_herkx_small_restrict_kernelIl19rocblas_complex_numIdELi16ELb0ELb1ELc78ELc85EKPKS1_KPS1_EviT_T0_PT6_S7_lSA_S7_lS8_PT7_S7_li
    .private_segment_fixed_size: 0
    .sgpr_count:     30
    .sgpr_spill_count: 0
    .symbol:         _ZL41rocblas_syrkx_herkx_small_restrict_kernelIl19rocblas_complex_numIdELi16ELb0ELb1ELc78ELc85EKPKS1_KPS1_EviT_T0_PT6_S7_lSA_S7_lS8_PT7_S7_li.kd
    .uniform_work_group_size: 1
    .uses_dynamic_stack: false
    .vgpr_count:     48
    .vgpr_spill_count: 0
    .wavefront_size: 32
    .workgroup_processor_mode: 1
  - .args:
      - .offset:         0
        .size:           4
        .value_kind:     by_value
      - .offset:         8
        .size:           8
        .value_kind:     by_value
      - .offset:         16
        .size:           16
        .value_kind:     by_value
      - .address_space:  global
        .offset:         32
        .size:           8
        .value_kind:     global_buffer
      - .offset:         40
        .size:           8
        .value_kind:     by_value
      - .offset:         48
        .size:           8
        .value_kind:     by_value
      - .address_space:  global
        .offset:         56
        .size:           8
        .value_kind:     global_buffer
      - .offset:         64
        .size:           8
        .value_kind:     by_value
      - .offset:         72
        .size:           8
        .value_kind:     by_value
      - .offset:         80
        .size:           16
        .value_kind:     by_value
      - .address_space:  global
        .offset:         96
        .size:           8
        .value_kind:     global_buffer
      - .offset:         104
        .size:           8
        .value_kind:     by_value
      - .offset:         112
        .size:           8
        .value_kind:     by_value
      - .offset:         120
        .size:           4
        .value_kind:     by_value
    .group_segment_fixed_size: 8192
    .kernarg_segment_align: 8
    .kernarg_segment_size: 124
    .language:       OpenCL C
    .language_version:
      - 2
      - 0
    .max_flat_workgroup_size: 256
    .name:           _ZL32rocblas_syrkx_herkx_small_kernelIl19rocblas_complex_numIdELi16ELb1ELb1ELc84ELc76EKPKS1_KPS1_EviT_T0_PT6_S7_lSA_S7_lS8_PT7_S7_li
    .private_segment_fixed_size: 0
    .sgpr_count:     26
    .sgpr_spill_count: 0
    .symbol:         _ZL32rocblas_syrkx_herkx_small_kernelIl19rocblas_complex_numIdELi16ELb1ELb1ELc84ELc76EKPKS1_KPS1_EviT_T0_PT6_S7_lSA_S7_lS8_PT7_S7_li.kd
    .uniform_work_group_size: 1
    .uses_dynamic_stack: false
    .vgpr_count:     52
    .vgpr_spill_count: 0
    .wavefront_size: 32
    .workgroup_processor_mode: 1
  - .args:
      - .offset:         0
        .size:           4
        .value_kind:     by_value
      - .offset:         8
        .size:           8
        .value_kind:     by_value
      - .offset:         16
        .size:           16
        .value_kind:     by_value
      - .address_space:  global
        .offset:         32
        .size:           8
        .value_kind:     global_buffer
      - .offset:         40
        .size:           8
        .value_kind:     by_value
      - .offset:         48
        .size:           8
        .value_kind:     by_value
      - .address_space:  global
        .offset:         56
        .size:           8
        .value_kind:     global_buffer
      - .offset:         64
        .size:           8
        .value_kind:     by_value
      - .offset:         72
        .size:           8
        .value_kind:     by_value
      - .offset:         80
        .size:           16
        .value_kind:     by_value
      - .address_space:  global
        .offset:         96
        .size:           8
        .value_kind:     global_buffer
      - .offset:         104
        .size:           8
        .value_kind:     by_value
      - .offset:         112
        .size:           8
        .value_kind:     by_value
      - .offset:         120
        .size:           4
        .value_kind:     by_value
    .group_segment_fixed_size: 8192
    .kernarg_segment_align: 8
    .kernarg_segment_size: 124
    .language:       OpenCL C
    .language_version:
      - 2
      - 0
    .max_flat_workgroup_size: 256
    .name:           _ZL32rocblas_syrkx_herkx_small_kernelIl19rocblas_complex_numIdELi16ELb1ELb1ELc67ELc76EKPKS1_KPS1_EviT_T0_PT6_S7_lSA_S7_lS8_PT7_S7_li
    .private_segment_fixed_size: 0
    .sgpr_count:     26
    .sgpr_spill_count: 0
    .symbol:         _ZL32rocblas_syrkx_herkx_small_kernelIl19rocblas_complex_numIdELi16ELb1ELb1ELc67ELc76EKPKS1_KPS1_EviT_T0_PT6_S7_lSA_S7_lS8_PT7_S7_li.kd
    .uniform_work_group_size: 1
    .uses_dynamic_stack: false
    .vgpr_count:     53
    .vgpr_spill_count: 0
    .wavefront_size: 32
    .workgroup_processor_mode: 1
  - .args:
      - .offset:         0
        .size:           4
        .value_kind:     by_value
      - .offset:         8
        .size:           8
        .value_kind:     by_value
      - .offset:         16
        .size:           16
        .value_kind:     by_value
      - .address_space:  global
        .offset:         32
        .size:           8
        .value_kind:     global_buffer
      - .offset:         40
        .size:           8
        .value_kind:     by_value
      - .offset:         48
        .size:           8
        .value_kind:     by_value
      - .address_space:  global
        .offset:         56
        .size:           8
        .value_kind:     global_buffer
      - .offset:         64
        .size:           8
        .value_kind:     by_value
      - .offset:         72
        .size:           8
        .value_kind:     by_value
      - .offset:         80
        .size:           16
        .value_kind:     by_value
      - .address_space:  global
        .offset:         96
        .size:           8
        .value_kind:     global_buffer
      - .offset:         104
        .size:           8
        .value_kind:     by_value
      - .offset:         112
        .size:           8
        .value_kind:     by_value
      - .offset:         120
        .size:           4
        .value_kind:     by_value
    .group_segment_fixed_size: 8192
    .kernarg_segment_align: 8
    .kernarg_segment_size: 124
    .language:       OpenCL C
    .language_version:
      - 2
      - 0
    .max_flat_workgroup_size: 256
    .name:           _ZL32rocblas_syrkx_herkx_small_kernelIl19rocblas_complex_numIdELi16ELb1ELb1ELc78ELc76EKPKS1_KPS1_EviT_T0_PT6_S7_lSA_S7_lS8_PT7_S7_li
    .private_segment_fixed_size: 0
    .sgpr_count:     26
    .sgpr_spill_count: 0
    .symbol:         _ZL32rocblas_syrkx_herkx_small_kernelIl19rocblas_complex_numIdELi16ELb1ELb1ELc78ELc76EKPKS1_KPS1_EviT_T0_PT6_S7_lSA_S7_lS8_PT7_S7_li.kd
    .uniform_work_group_size: 1
    .uses_dynamic_stack: false
    .vgpr_count:     51
    .vgpr_spill_count: 0
    .wavefront_size: 32
    .workgroup_processor_mode: 1
  - .args:
      - .offset:         0
        .size:           4
        .value_kind:     by_value
      - .offset:         8
        .size:           8
        .value_kind:     by_value
      - .offset:         16
        .size:           16
        .value_kind:     by_value
      - .address_space:  global
        .offset:         32
        .size:           8
        .value_kind:     global_buffer
      - .offset:         40
        .size:           8
        .value_kind:     by_value
      - .offset:         48
        .size:           8
        .value_kind:     by_value
      - .address_space:  global
        .offset:         56
        .size:           8
        .value_kind:     global_buffer
      - .offset:         64
        .size:           8
        .value_kind:     by_value
      - .offset:         72
        .size:           8
        .value_kind:     by_value
      - .offset:         80
        .size:           16
        .value_kind:     by_value
      - .address_space:  global
        .offset:         96
        .size:           8
        .value_kind:     global_buffer
      - .offset:         104
        .size:           8
        .value_kind:     by_value
      - .offset:         112
        .size:           8
        .value_kind:     by_value
      - .offset:         120
        .size:           4
        .value_kind:     by_value
    .group_segment_fixed_size: 8192
    .kernarg_segment_align: 8
    .kernarg_segment_size: 124
    .language:       OpenCL C
    .language_version:
      - 2
      - 0
    .max_flat_workgroup_size: 256
    .name:           _ZL32rocblas_syrkx_herkx_small_kernelIl19rocblas_complex_numIdELi16ELb1ELb1ELc84ELc85EKPKS1_KPS1_EviT_T0_PT6_S7_lSA_S7_lS8_PT7_S7_li
    .private_segment_fixed_size: 0
    .sgpr_count:     26
    .sgpr_spill_count: 0
    .symbol:         _ZL32rocblas_syrkx_herkx_small_kernelIl19rocblas_complex_numIdELi16ELb1ELb1ELc84ELc85EKPKS1_KPS1_EviT_T0_PT6_S7_lSA_S7_lS8_PT7_S7_li.kd
    .uniform_work_group_size: 1
    .uses_dynamic_stack: false
    .vgpr_count:     52
    .vgpr_spill_count: 0
    .wavefront_size: 32
    .workgroup_processor_mode: 1
  - .args:
      - .offset:         0
        .size:           4
        .value_kind:     by_value
      - .offset:         8
        .size:           8
        .value_kind:     by_value
      - .offset:         16
        .size:           16
        .value_kind:     by_value
      - .address_space:  global
        .offset:         32
        .size:           8
        .value_kind:     global_buffer
      - .offset:         40
        .size:           8
        .value_kind:     by_value
      - .offset:         48
        .size:           8
        .value_kind:     by_value
      - .address_space:  global
        .offset:         56
        .size:           8
        .value_kind:     global_buffer
      - .offset:         64
        .size:           8
        .value_kind:     by_value
      - .offset:         72
        .size:           8
        .value_kind:     by_value
      - .offset:         80
        .size:           16
        .value_kind:     by_value
      - .address_space:  global
        .offset:         96
        .size:           8
        .value_kind:     global_buffer
      - .offset:         104
        .size:           8
        .value_kind:     by_value
      - .offset:         112
        .size:           8
        .value_kind:     by_value
      - .offset:         120
        .size:           4
        .value_kind:     by_value
    .group_segment_fixed_size: 8192
    .kernarg_segment_align: 8
    .kernarg_segment_size: 124
    .language:       OpenCL C
    .language_version:
      - 2
      - 0
    .max_flat_workgroup_size: 256
    .name:           _ZL32rocblas_syrkx_herkx_small_kernelIl19rocblas_complex_numIdELi16ELb1ELb1ELc67ELc85EKPKS1_KPS1_EviT_T0_PT6_S7_lSA_S7_lS8_PT7_S7_li
    .private_segment_fixed_size: 0
    .sgpr_count:     26
    .sgpr_spill_count: 0
    .symbol:         _ZL32rocblas_syrkx_herkx_small_kernelIl19rocblas_complex_numIdELi16ELb1ELb1ELc67ELc85EKPKS1_KPS1_EviT_T0_PT6_S7_lSA_S7_lS8_PT7_S7_li.kd
    .uniform_work_group_size: 1
    .uses_dynamic_stack: false
    .vgpr_count:     53
    .vgpr_spill_count: 0
    .wavefront_size: 32
    .workgroup_processor_mode: 1
  - .args:
      - .offset:         0
        .size:           4
        .value_kind:     by_value
      - .offset:         8
        .size:           8
        .value_kind:     by_value
      - .offset:         16
        .size:           16
        .value_kind:     by_value
      - .address_space:  global
        .offset:         32
        .size:           8
        .value_kind:     global_buffer
      - .offset:         40
        .size:           8
        .value_kind:     by_value
      - .offset:         48
        .size:           8
        .value_kind:     by_value
      - .address_space:  global
        .offset:         56
        .size:           8
        .value_kind:     global_buffer
      - .offset:         64
        .size:           8
        .value_kind:     by_value
      - .offset:         72
        .size:           8
        .value_kind:     by_value
      - .offset:         80
        .size:           16
        .value_kind:     by_value
      - .address_space:  global
        .offset:         96
        .size:           8
        .value_kind:     global_buffer
      - .offset:         104
        .size:           8
        .value_kind:     by_value
      - .offset:         112
        .size:           8
        .value_kind:     by_value
      - .offset:         120
        .size:           4
        .value_kind:     by_value
    .group_segment_fixed_size: 8192
    .kernarg_segment_align: 8
    .kernarg_segment_size: 124
    .language:       OpenCL C
    .language_version:
      - 2
      - 0
    .max_flat_workgroup_size: 256
    .name:           _ZL32rocblas_syrkx_herkx_small_kernelIl19rocblas_complex_numIdELi16ELb1ELb1ELc78ELc85EKPKS1_KPS1_EviT_T0_PT6_S7_lSA_S7_lS8_PT7_S7_li
    .private_segment_fixed_size: 0
    .sgpr_count:     26
    .sgpr_spill_count: 0
    .symbol:         _ZL32rocblas_syrkx_herkx_small_kernelIl19rocblas_complex_numIdELi16ELb1ELb1ELc78ELc85EKPKS1_KPS1_EviT_T0_PT6_S7_lSA_S7_lS8_PT7_S7_li.kd
    .uniform_work_group_size: 1
    .uses_dynamic_stack: false
    .vgpr_count:     51
    .vgpr_spill_count: 0
    .wavefront_size: 32
    .workgroup_processor_mode: 1
  - .args:
      - .offset:         0
        .size:           4
        .value_kind:     by_value
      - .offset:         8
        .size:           8
        .value_kind:     by_value
      - .offset:         16
        .size:           16
        .value_kind:     by_value
      - .address_space:  global
        .offset:         32
        .size:           8
        .value_kind:     global_buffer
      - .offset:         40
        .size:           8
        .value_kind:     by_value
      - .offset:         48
        .size:           8
        .value_kind:     by_value
      - .address_space:  global
        .offset:         56
        .size:           8
        .value_kind:     global_buffer
      - .offset:         64
        .size:           8
        .value_kind:     by_value
      - .offset:         72
        .size:           8
        .value_kind:     by_value
      - .offset:         80
        .size:           16
        .value_kind:     by_value
      - .address_space:  global
        .offset:         96
        .size:           8
        .value_kind:     global_buffer
      - .offset:         104
        .size:           8
        .value_kind:     by_value
      - .offset:         112
        .size:           8
        .value_kind:     by_value
      - .offset:         120
        .size:           4
        .value_kind:     by_value
    .group_segment_fixed_size: 8192
    .kernarg_segment_align: 8
    .kernarg_segment_size: 124
    .language:       OpenCL C
    .language_version:
      - 2
      - 0
    .max_flat_workgroup_size: 256
    .name:           _ZL32rocblas_syrkx_herkx_small_kernelIl19rocblas_complex_numIdELi16ELb0ELb1ELc84ELc76EKPKS1_KPS1_EviT_T0_PT6_S7_lSA_S7_lS8_PT7_S7_li
    .private_segment_fixed_size: 0
    .sgpr_count:     30
    .sgpr_spill_count: 0
    .symbol:         _ZL32rocblas_syrkx_herkx_small_kernelIl19rocblas_complex_numIdELi16ELb0ELb1ELc84ELc76EKPKS1_KPS1_EviT_T0_PT6_S7_lSA_S7_lS8_PT7_S7_li.kd
    .uniform_work_group_size: 1
    .uses_dynamic_stack: false
    .vgpr_count:     52
    .vgpr_spill_count: 0
    .wavefront_size: 32
    .workgroup_processor_mode: 1
  - .args:
      - .offset:         0
        .size:           4
        .value_kind:     by_value
      - .offset:         8
        .size:           8
        .value_kind:     by_value
      - .offset:         16
        .size:           16
        .value_kind:     by_value
      - .address_space:  global
        .offset:         32
        .size:           8
        .value_kind:     global_buffer
      - .offset:         40
        .size:           8
        .value_kind:     by_value
      - .offset:         48
        .size:           8
        .value_kind:     by_value
      - .address_space:  global
        .offset:         56
        .size:           8
        .value_kind:     global_buffer
      - .offset:         64
        .size:           8
        .value_kind:     by_value
      - .offset:         72
        .size:           8
        .value_kind:     by_value
      - .offset:         80
        .size:           16
        .value_kind:     by_value
      - .address_space:  global
        .offset:         96
        .size:           8
        .value_kind:     global_buffer
      - .offset:         104
        .size:           8
        .value_kind:     by_value
      - .offset:         112
        .size:           8
        .value_kind:     by_value
      - .offset:         120
        .size:           4
        .value_kind:     by_value
    .group_segment_fixed_size: 8192
    .kernarg_segment_align: 8
    .kernarg_segment_size: 124
    .language:       OpenCL C
    .language_version:
      - 2
      - 0
    .max_flat_workgroup_size: 256
    .name:           _ZL32rocblas_syrkx_herkx_small_kernelIl19rocblas_complex_numIdELi16ELb0ELb1ELc67ELc76EKPKS1_KPS1_EviT_T0_PT6_S7_lSA_S7_lS8_PT7_S7_li
    .private_segment_fixed_size: 0
    .sgpr_count:     30
    .sgpr_spill_count: 0
    .symbol:         _ZL32rocblas_syrkx_herkx_small_kernelIl19rocblas_complex_numIdELi16ELb0ELb1ELc67ELc76EKPKS1_KPS1_EviT_T0_PT6_S7_lSA_S7_lS8_PT7_S7_li.kd
    .uniform_work_group_size: 1
    .uses_dynamic_stack: false
    .vgpr_count:     53
    .vgpr_spill_count: 0
    .wavefront_size: 32
    .workgroup_processor_mode: 1
  - .args:
      - .offset:         0
        .size:           4
        .value_kind:     by_value
      - .offset:         8
        .size:           8
        .value_kind:     by_value
      - .offset:         16
        .size:           16
        .value_kind:     by_value
      - .address_space:  global
        .offset:         32
        .size:           8
        .value_kind:     global_buffer
      - .offset:         40
        .size:           8
        .value_kind:     by_value
      - .offset:         48
        .size:           8
        .value_kind:     by_value
      - .address_space:  global
        .offset:         56
        .size:           8
        .value_kind:     global_buffer
      - .offset:         64
        .size:           8
        .value_kind:     by_value
      - .offset:         72
        .size:           8
        .value_kind:     by_value
      - .offset:         80
        .size:           16
        .value_kind:     by_value
      - .address_space:  global
        .offset:         96
        .size:           8
        .value_kind:     global_buffer
      - .offset:         104
        .size:           8
        .value_kind:     by_value
      - .offset:         112
        .size:           8
        .value_kind:     by_value
      - .offset:         120
        .size:           4
        .value_kind:     by_value
    .group_segment_fixed_size: 8192
    .kernarg_segment_align: 8
    .kernarg_segment_size: 124
    .language:       OpenCL C
    .language_version:
      - 2
      - 0
    .max_flat_workgroup_size: 256
    .name:           _ZL32rocblas_syrkx_herkx_small_kernelIl19rocblas_complex_numIdELi16ELb0ELb1ELc78ELc76EKPKS1_KPS1_EviT_T0_PT6_S7_lSA_S7_lS8_PT7_S7_li
    .private_segment_fixed_size: 0
    .sgpr_count:     32
    .sgpr_spill_count: 0
    .symbol:         _ZL32rocblas_syrkx_herkx_small_kernelIl19rocblas_complex_numIdELi16ELb0ELb1ELc78ELc76EKPKS1_KPS1_EviT_T0_PT6_S7_lSA_S7_lS8_PT7_S7_li.kd
    .uniform_work_group_size: 1
    .uses_dynamic_stack: false
    .vgpr_count:     51
    .vgpr_spill_count: 0
    .wavefront_size: 32
    .workgroup_processor_mode: 1
  - .args:
      - .offset:         0
        .size:           4
        .value_kind:     by_value
      - .offset:         8
        .size:           8
        .value_kind:     by_value
      - .offset:         16
        .size:           16
        .value_kind:     by_value
      - .address_space:  global
        .offset:         32
        .size:           8
        .value_kind:     global_buffer
      - .offset:         40
        .size:           8
        .value_kind:     by_value
      - .offset:         48
        .size:           8
        .value_kind:     by_value
      - .address_space:  global
        .offset:         56
        .size:           8
        .value_kind:     global_buffer
      - .offset:         64
        .size:           8
        .value_kind:     by_value
      - .offset:         72
        .size:           8
        .value_kind:     by_value
      - .offset:         80
        .size:           16
        .value_kind:     by_value
      - .address_space:  global
        .offset:         96
        .size:           8
        .value_kind:     global_buffer
      - .offset:         104
        .size:           8
        .value_kind:     by_value
      - .offset:         112
        .size:           8
        .value_kind:     by_value
      - .offset:         120
        .size:           4
        .value_kind:     by_value
    .group_segment_fixed_size: 8192
    .kernarg_segment_align: 8
    .kernarg_segment_size: 124
    .language:       OpenCL C
    .language_version:
      - 2
      - 0
    .max_flat_workgroup_size: 256
    .name:           _ZL32rocblas_syrkx_herkx_small_kernelIl19rocblas_complex_numIdELi16ELb0ELb1ELc84ELc85EKPKS1_KPS1_EviT_T0_PT6_S7_lSA_S7_lS8_PT7_S7_li
    .private_segment_fixed_size: 0
    .sgpr_count:     30
    .sgpr_spill_count: 0
    .symbol:         _ZL32rocblas_syrkx_herkx_small_kernelIl19rocblas_complex_numIdELi16ELb0ELb1ELc84ELc85EKPKS1_KPS1_EviT_T0_PT6_S7_lSA_S7_lS8_PT7_S7_li.kd
    .uniform_work_group_size: 1
    .uses_dynamic_stack: false
    .vgpr_count:     52
    .vgpr_spill_count: 0
    .wavefront_size: 32
    .workgroup_processor_mode: 1
  - .args:
      - .offset:         0
        .size:           4
        .value_kind:     by_value
      - .offset:         8
        .size:           8
        .value_kind:     by_value
      - .offset:         16
        .size:           16
        .value_kind:     by_value
      - .address_space:  global
        .offset:         32
        .size:           8
        .value_kind:     global_buffer
      - .offset:         40
        .size:           8
        .value_kind:     by_value
      - .offset:         48
        .size:           8
        .value_kind:     by_value
      - .address_space:  global
        .offset:         56
        .size:           8
        .value_kind:     global_buffer
      - .offset:         64
        .size:           8
        .value_kind:     by_value
      - .offset:         72
        .size:           8
        .value_kind:     by_value
      - .offset:         80
        .size:           16
        .value_kind:     by_value
      - .address_space:  global
        .offset:         96
        .size:           8
        .value_kind:     global_buffer
      - .offset:         104
        .size:           8
        .value_kind:     by_value
      - .offset:         112
        .size:           8
        .value_kind:     by_value
      - .offset:         120
        .size:           4
        .value_kind:     by_value
    .group_segment_fixed_size: 8192
    .kernarg_segment_align: 8
    .kernarg_segment_size: 124
    .language:       OpenCL C
    .language_version:
      - 2
      - 0
    .max_flat_workgroup_size: 256
    .name:           _ZL32rocblas_syrkx_herkx_small_kernelIl19rocblas_complex_numIdELi16ELb0ELb1ELc67ELc85EKPKS1_KPS1_EviT_T0_PT6_S7_lSA_S7_lS8_PT7_S7_li
    .private_segment_fixed_size: 0
    .sgpr_count:     30
    .sgpr_spill_count: 0
    .symbol:         _ZL32rocblas_syrkx_herkx_small_kernelIl19rocblas_complex_numIdELi16ELb0ELb1ELc67ELc85EKPKS1_KPS1_EviT_T0_PT6_S7_lSA_S7_lS8_PT7_S7_li.kd
    .uniform_work_group_size: 1
    .uses_dynamic_stack: false
    .vgpr_count:     53
    .vgpr_spill_count: 0
    .wavefront_size: 32
    .workgroup_processor_mode: 1
  - .args:
      - .offset:         0
        .size:           4
        .value_kind:     by_value
      - .offset:         8
        .size:           8
        .value_kind:     by_value
      - .offset:         16
        .size:           16
        .value_kind:     by_value
      - .address_space:  global
        .offset:         32
        .size:           8
        .value_kind:     global_buffer
      - .offset:         40
        .size:           8
        .value_kind:     by_value
      - .offset:         48
        .size:           8
        .value_kind:     by_value
      - .address_space:  global
        .offset:         56
        .size:           8
        .value_kind:     global_buffer
      - .offset:         64
        .size:           8
        .value_kind:     by_value
      - .offset:         72
        .size:           8
        .value_kind:     by_value
      - .offset:         80
        .size:           16
        .value_kind:     by_value
      - .address_space:  global
        .offset:         96
        .size:           8
        .value_kind:     global_buffer
      - .offset:         104
        .size:           8
        .value_kind:     by_value
      - .offset:         112
        .size:           8
        .value_kind:     by_value
      - .offset:         120
        .size:           4
        .value_kind:     by_value
    .group_segment_fixed_size: 8192
    .kernarg_segment_align: 8
    .kernarg_segment_size: 124
    .language:       OpenCL C
    .language_version:
      - 2
      - 0
    .max_flat_workgroup_size: 256
    .name:           _ZL32rocblas_syrkx_herkx_small_kernelIl19rocblas_complex_numIdELi16ELb0ELb1ELc78ELc85EKPKS1_KPS1_EviT_T0_PT6_S7_lSA_S7_lS8_PT7_S7_li
    .private_segment_fixed_size: 0
    .sgpr_count:     32
    .sgpr_spill_count: 0
    .symbol:         _ZL32rocblas_syrkx_herkx_small_kernelIl19rocblas_complex_numIdELi16ELb0ELb1ELc78ELc85EKPKS1_KPS1_EviT_T0_PT6_S7_lSA_S7_lS8_PT7_S7_li.kd
    .uniform_work_group_size: 1
    .uses_dynamic_stack: false
    .vgpr_count:     51
    .vgpr_spill_count: 0
    .wavefront_size: 32
    .workgroup_processor_mode: 1
  - .args:
      - .offset:         0
        .size:           4
        .value_kind:     by_value
      - .offset:         8
        .size:           8
        .value_kind:     by_value
      - .offset:         16
        .size:           16
        .value_kind:     by_value
      - .address_space:  global
        .offset:         32
        .size:           8
        .value_kind:     global_buffer
      - .offset:         40
        .size:           8
        .value_kind:     by_value
      - .offset:         48
        .size:           8
        .value_kind:     by_value
      - .address_space:  global
        .offset:         56
        .size:           8
        .value_kind:     global_buffer
      - .offset:         64
        .size:           8
        .value_kind:     by_value
      - .offset:         72
        .size:           8
        .value_kind:     by_value
      - .offset:         80
        .size:           16
        .value_kind:     by_value
      - .address_space:  global
        .offset:         96
        .size:           8
        .value_kind:     global_buffer
      - .offset:         104
        .size:           8
        .value_kind:     by_value
      - .offset:         112
        .size:           8
        .value_kind:     by_value
      - .offset:         120
        .size:           4
        .value_kind:     by_value
    .group_segment_fixed_size: 8192
    .kernarg_segment_align: 8
    .kernarg_segment_size: 124
    .language:       OpenCL C
    .language_version:
      - 2
      - 0
    .max_flat_workgroup_size: 256
    .name:           _ZL34rocblas_syrkx_herkx_general_kernelIl19rocblas_complex_numIdELi16ELi32ELi8ELb1ELb1ELc84ELc76EKPKS1_KPS1_EviT_T0_PT8_S7_lSA_S7_lS8_PT9_S7_li
    .private_segment_fixed_size: 0
    .sgpr_count:     27
    .sgpr_spill_count: 0
    .symbol:         _ZL34rocblas_syrkx_herkx_general_kernelIl19rocblas_complex_numIdELi16ELi32ELi8ELb1ELb1ELc84ELc76EKPKS1_KPS1_EviT_T0_PT8_S7_lSA_S7_lS8_PT9_S7_li.kd
    .uniform_work_group_size: 1
    .uses_dynamic_stack: false
    .vgpr_count:     120
    .vgpr_spill_count: 0
    .wavefront_size: 32
    .workgroup_processor_mode: 1
  - .args:
      - .offset:         0
        .size:           4
        .value_kind:     by_value
      - .offset:         8
        .size:           8
        .value_kind:     by_value
      - .offset:         16
        .size:           16
        .value_kind:     by_value
      - .address_space:  global
        .offset:         32
        .size:           8
        .value_kind:     global_buffer
      - .offset:         40
        .size:           8
        .value_kind:     by_value
      - .offset:         48
        .size:           8
        .value_kind:     by_value
      - .address_space:  global
        .offset:         56
        .size:           8
        .value_kind:     global_buffer
      - .offset:         64
        .size:           8
        .value_kind:     by_value
      - .offset:         72
        .size:           8
        .value_kind:     by_value
      - .offset:         80
        .size:           16
        .value_kind:     by_value
      - .address_space:  global
        .offset:         96
        .size:           8
        .value_kind:     global_buffer
      - .offset:         104
        .size:           8
        .value_kind:     by_value
      - .offset:         112
        .size:           8
        .value_kind:     by_value
      - .offset:         120
        .size:           4
        .value_kind:     by_value
    .group_segment_fixed_size: 8192
    .kernarg_segment_align: 8
    .kernarg_segment_size: 124
    .language:       OpenCL C
    .language_version:
      - 2
      - 0
    .max_flat_workgroup_size: 256
    .name:           _ZL34rocblas_syrkx_herkx_general_kernelIl19rocblas_complex_numIdELi16ELi32ELi8ELb1ELb1ELc67ELc76EKPKS1_KPS1_EviT_T0_PT8_S7_lSA_S7_lS8_PT9_S7_li
    .private_segment_fixed_size: 0
    .sgpr_count:     30
    .sgpr_spill_count: 0
    .symbol:         _ZL34rocblas_syrkx_herkx_general_kernelIl19rocblas_complex_numIdELi16ELi32ELi8ELb1ELb1ELc67ELc76EKPKS1_KPS1_EviT_T0_PT8_S7_lSA_S7_lS8_PT9_S7_li.kd
    .uniform_work_group_size: 1
    .uses_dynamic_stack: false
    .vgpr_count:     121
    .vgpr_spill_count: 0
    .wavefront_size: 32
    .workgroup_processor_mode: 1
  - .args:
      - .offset:         0
        .size:           4
        .value_kind:     by_value
      - .offset:         8
        .size:           8
        .value_kind:     by_value
      - .offset:         16
        .size:           16
        .value_kind:     by_value
      - .address_space:  global
        .offset:         32
        .size:           8
        .value_kind:     global_buffer
      - .offset:         40
        .size:           8
        .value_kind:     by_value
      - .offset:         48
        .size:           8
        .value_kind:     by_value
      - .address_space:  global
        .offset:         56
        .size:           8
        .value_kind:     global_buffer
      - .offset:         64
        .size:           8
        .value_kind:     by_value
      - .offset:         72
        .size:           8
        .value_kind:     by_value
      - .offset:         80
        .size:           16
        .value_kind:     by_value
      - .address_space:  global
        .offset:         96
        .size:           8
        .value_kind:     global_buffer
      - .offset:         104
        .size:           8
        .value_kind:     by_value
      - .offset:         112
        .size:           8
        .value_kind:     by_value
      - .offset:         120
        .size:           4
        .value_kind:     by_value
    .group_segment_fixed_size: 8192
    .kernarg_segment_align: 8
    .kernarg_segment_size: 124
    .language:       OpenCL C
    .language_version:
      - 2
      - 0
    .max_flat_workgroup_size: 256
    .name:           _ZL34rocblas_syrkx_herkx_general_kernelIl19rocblas_complex_numIdELi16ELi32ELi8ELb1ELb1ELc78ELc76EKPKS1_KPS1_EviT_T0_PT8_S7_lSA_S7_lS8_PT9_S7_li
    .private_segment_fixed_size: 0
    .sgpr_count:     30
    .sgpr_spill_count: 0
    .symbol:         _ZL34rocblas_syrkx_herkx_general_kernelIl19rocblas_complex_numIdELi16ELi32ELi8ELb1ELb1ELc78ELc76EKPKS1_KPS1_EviT_T0_PT8_S7_lSA_S7_lS8_PT9_S7_li.kd
    .uniform_work_group_size: 1
    .uses_dynamic_stack: false
    .vgpr_count:     119
    .vgpr_spill_count: 0
    .wavefront_size: 32
    .workgroup_processor_mode: 1
  - .args:
      - .offset:         0
        .size:           4
        .value_kind:     by_value
      - .offset:         8
        .size:           8
        .value_kind:     by_value
      - .offset:         16
        .size:           16
        .value_kind:     by_value
      - .address_space:  global
        .offset:         32
        .size:           8
        .value_kind:     global_buffer
      - .offset:         40
        .size:           8
        .value_kind:     by_value
      - .offset:         48
        .size:           8
        .value_kind:     by_value
      - .address_space:  global
        .offset:         56
        .size:           8
        .value_kind:     global_buffer
      - .offset:         64
        .size:           8
        .value_kind:     by_value
      - .offset:         72
        .size:           8
        .value_kind:     by_value
      - .offset:         80
        .size:           16
        .value_kind:     by_value
      - .address_space:  global
        .offset:         96
        .size:           8
        .value_kind:     global_buffer
      - .offset:         104
        .size:           8
        .value_kind:     by_value
      - .offset:         112
        .size:           8
        .value_kind:     by_value
      - .offset:         120
        .size:           4
        .value_kind:     by_value
    .group_segment_fixed_size: 8192
    .kernarg_segment_align: 8
    .kernarg_segment_size: 124
    .language:       OpenCL C
    .language_version:
      - 2
      - 0
    .max_flat_workgroup_size: 256
    .name:           _ZL34rocblas_syrkx_herkx_general_kernelIl19rocblas_complex_numIdELi16ELi32ELi8ELb1ELb1ELc84ELc85EKPKS1_KPS1_EviT_T0_PT8_S7_lSA_S7_lS8_PT9_S7_li
    .private_segment_fixed_size: 0
    .sgpr_count:     27
    .sgpr_spill_count: 0
    .symbol:         _ZL34rocblas_syrkx_herkx_general_kernelIl19rocblas_complex_numIdELi16ELi32ELi8ELb1ELb1ELc84ELc85EKPKS1_KPS1_EviT_T0_PT8_S7_lSA_S7_lS8_PT9_S7_li.kd
    .uniform_work_group_size: 1
    .uses_dynamic_stack: false
    .vgpr_count:     120
    .vgpr_spill_count: 0
    .wavefront_size: 32
    .workgroup_processor_mode: 1
  - .args:
      - .offset:         0
        .size:           4
        .value_kind:     by_value
      - .offset:         8
        .size:           8
        .value_kind:     by_value
      - .offset:         16
        .size:           16
        .value_kind:     by_value
      - .address_space:  global
        .offset:         32
        .size:           8
        .value_kind:     global_buffer
      - .offset:         40
        .size:           8
        .value_kind:     by_value
      - .offset:         48
        .size:           8
        .value_kind:     by_value
      - .address_space:  global
        .offset:         56
        .size:           8
        .value_kind:     global_buffer
      - .offset:         64
        .size:           8
        .value_kind:     by_value
      - .offset:         72
        .size:           8
        .value_kind:     by_value
      - .offset:         80
        .size:           16
        .value_kind:     by_value
      - .address_space:  global
        .offset:         96
        .size:           8
        .value_kind:     global_buffer
      - .offset:         104
        .size:           8
        .value_kind:     by_value
      - .offset:         112
        .size:           8
        .value_kind:     by_value
      - .offset:         120
        .size:           4
        .value_kind:     by_value
    .group_segment_fixed_size: 8192
    .kernarg_segment_align: 8
    .kernarg_segment_size: 124
    .language:       OpenCL C
    .language_version:
      - 2
      - 0
    .max_flat_workgroup_size: 256
    .name:           _ZL34rocblas_syrkx_herkx_general_kernelIl19rocblas_complex_numIdELi16ELi32ELi8ELb1ELb1ELc67ELc85EKPKS1_KPS1_EviT_T0_PT8_S7_lSA_S7_lS8_PT9_S7_li
    .private_segment_fixed_size: 0
    .sgpr_count:     30
    .sgpr_spill_count: 0
    .symbol:         _ZL34rocblas_syrkx_herkx_general_kernelIl19rocblas_complex_numIdELi16ELi32ELi8ELb1ELb1ELc67ELc85EKPKS1_KPS1_EviT_T0_PT8_S7_lSA_S7_lS8_PT9_S7_li.kd
    .uniform_work_group_size: 1
    .uses_dynamic_stack: false
    .vgpr_count:     121
    .vgpr_spill_count: 0
    .wavefront_size: 32
    .workgroup_processor_mode: 1
  - .args:
      - .offset:         0
        .size:           4
        .value_kind:     by_value
      - .offset:         8
        .size:           8
        .value_kind:     by_value
      - .offset:         16
        .size:           16
        .value_kind:     by_value
      - .address_space:  global
        .offset:         32
        .size:           8
        .value_kind:     global_buffer
      - .offset:         40
        .size:           8
        .value_kind:     by_value
      - .offset:         48
        .size:           8
        .value_kind:     by_value
      - .address_space:  global
        .offset:         56
        .size:           8
        .value_kind:     global_buffer
      - .offset:         64
        .size:           8
        .value_kind:     by_value
      - .offset:         72
        .size:           8
        .value_kind:     by_value
      - .offset:         80
        .size:           16
        .value_kind:     by_value
      - .address_space:  global
        .offset:         96
        .size:           8
        .value_kind:     global_buffer
      - .offset:         104
        .size:           8
        .value_kind:     by_value
      - .offset:         112
        .size:           8
        .value_kind:     by_value
      - .offset:         120
        .size:           4
        .value_kind:     by_value
    .group_segment_fixed_size: 8192
    .kernarg_segment_align: 8
    .kernarg_segment_size: 124
    .language:       OpenCL C
    .language_version:
      - 2
      - 0
    .max_flat_workgroup_size: 256
    .name:           _ZL34rocblas_syrkx_herkx_general_kernelIl19rocblas_complex_numIdELi16ELi32ELi8ELb1ELb1ELc78ELc85EKPKS1_KPS1_EviT_T0_PT8_S7_lSA_S7_lS8_PT9_S7_li
    .private_segment_fixed_size: 0
    .sgpr_count:     30
    .sgpr_spill_count: 0
    .symbol:         _ZL34rocblas_syrkx_herkx_general_kernelIl19rocblas_complex_numIdELi16ELi32ELi8ELb1ELb1ELc78ELc85EKPKS1_KPS1_EviT_T0_PT8_S7_lSA_S7_lS8_PT9_S7_li.kd
    .uniform_work_group_size: 1
    .uses_dynamic_stack: false
    .vgpr_count:     119
    .vgpr_spill_count: 0
    .wavefront_size: 32
    .workgroup_processor_mode: 1
  - .args:
      - .offset:         0
        .size:           4
        .value_kind:     by_value
      - .offset:         8
        .size:           8
        .value_kind:     by_value
      - .offset:         16
        .size:           16
        .value_kind:     by_value
      - .address_space:  global
        .offset:         32
        .size:           8
        .value_kind:     global_buffer
      - .offset:         40
        .size:           8
        .value_kind:     by_value
      - .offset:         48
        .size:           8
        .value_kind:     by_value
      - .address_space:  global
        .offset:         56
        .size:           8
        .value_kind:     global_buffer
      - .offset:         64
        .size:           8
        .value_kind:     by_value
      - .offset:         72
        .size:           8
        .value_kind:     by_value
      - .offset:         80
        .size:           16
        .value_kind:     by_value
      - .address_space:  global
        .offset:         96
        .size:           8
        .value_kind:     global_buffer
      - .offset:         104
        .size:           8
        .value_kind:     by_value
      - .offset:         112
        .size:           8
        .value_kind:     by_value
      - .offset:         120
        .size:           4
        .value_kind:     by_value
    .group_segment_fixed_size: 8192
    .kernarg_segment_align: 8
    .kernarg_segment_size: 124
    .language:       OpenCL C
    .language_version:
      - 2
      - 0
    .max_flat_workgroup_size: 256
    .name:           _ZL34rocblas_syrkx_herkx_general_kernelIl19rocblas_complex_numIdELi16ELi32ELi8ELb0ELb1ELc84ELc76EKPKS1_KPS1_EviT_T0_PT8_S7_lSA_S7_lS8_PT9_S7_li
    .private_segment_fixed_size: 0
    .sgpr_count:     31
    .sgpr_spill_count: 0
    .symbol:         _ZL34rocblas_syrkx_herkx_general_kernelIl19rocblas_complex_numIdELi16ELi32ELi8ELb0ELb1ELc84ELc76EKPKS1_KPS1_EviT_T0_PT8_S7_lSA_S7_lS8_PT9_S7_li.kd
    .uniform_work_group_size: 1
    .uses_dynamic_stack: false
    .vgpr_count:     120
    .vgpr_spill_count: 0
    .wavefront_size: 32
    .workgroup_processor_mode: 1
  - .args:
      - .offset:         0
        .size:           4
        .value_kind:     by_value
      - .offset:         8
        .size:           8
        .value_kind:     by_value
      - .offset:         16
        .size:           16
        .value_kind:     by_value
      - .address_space:  global
        .offset:         32
        .size:           8
        .value_kind:     global_buffer
      - .offset:         40
        .size:           8
        .value_kind:     by_value
      - .offset:         48
        .size:           8
        .value_kind:     by_value
      - .address_space:  global
        .offset:         56
        .size:           8
        .value_kind:     global_buffer
      - .offset:         64
        .size:           8
        .value_kind:     by_value
      - .offset:         72
        .size:           8
        .value_kind:     by_value
      - .offset:         80
        .size:           16
        .value_kind:     by_value
      - .address_space:  global
        .offset:         96
        .size:           8
        .value_kind:     global_buffer
      - .offset:         104
        .size:           8
        .value_kind:     by_value
      - .offset:         112
        .size:           8
        .value_kind:     by_value
      - .offset:         120
        .size:           4
        .value_kind:     by_value
    .group_segment_fixed_size: 8192
    .kernarg_segment_align: 8
    .kernarg_segment_size: 124
    .language:       OpenCL C
    .language_version:
      - 2
      - 0
    .max_flat_workgroup_size: 256
    .name:           _ZL34rocblas_syrkx_herkx_general_kernelIl19rocblas_complex_numIdELi16ELi32ELi8ELb0ELb1ELc67ELc76EKPKS1_KPS1_EviT_T0_PT8_S7_lSA_S7_lS8_PT9_S7_li
    .private_segment_fixed_size: 0
    .sgpr_count:     34
    .sgpr_spill_count: 0
    .symbol:         _ZL34rocblas_syrkx_herkx_general_kernelIl19rocblas_complex_numIdELi16ELi32ELi8ELb0ELb1ELc67ELc76EKPKS1_KPS1_EviT_T0_PT8_S7_lSA_S7_lS8_PT9_S7_li.kd
    .uniform_work_group_size: 1
    .uses_dynamic_stack: false
    .vgpr_count:     121
    .vgpr_spill_count: 0
    .wavefront_size: 32
    .workgroup_processor_mode: 1
  - .args:
      - .offset:         0
        .size:           4
        .value_kind:     by_value
      - .offset:         8
        .size:           8
        .value_kind:     by_value
      - .offset:         16
        .size:           16
        .value_kind:     by_value
      - .address_space:  global
        .offset:         32
        .size:           8
        .value_kind:     global_buffer
      - .offset:         40
        .size:           8
        .value_kind:     by_value
      - .offset:         48
        .size:           8
        .value_kind:     by_value
      - .address_space:  global
        .offset:         56
        .size:           8
        .value_kind:     global_buffer
      - .offset:         64
        .size:           8
        .value_kind:     by_value
      - .offset:         72
        .size:           8
        .value_kind:     by_value
      - .offset:         80
        .size:           16
        .value_kind:     by_value
      - .address_space:  global
        .offset:         96
        .size:           8
        .value_kind:     global_buffer
      - .offset:         104
        .size:           8
        .value_kind:     by_value
      - .offset:         112
        .size:           8
        .value_kind:     by_value
      - .offset:         120
        .size:           4
        .value_kind:     by_value
    .group_segment_fixed_size: 8192
    .kernarg_segment_align: 8
    .kernarg_segment_size: 124
    .language:       OpenCL C
    .language_version:
      - 2
      - 0
    .max_flat_workgroup_size: 256
    .name:           _ZL34rocblas_syrkx_herkx_general_kernelIl19rocblas_complex_numIdELi16ELi32ELi8ELb0ELb1ELc78ELc76EKPKS1_KPS1_EviT_T0_PT8_S7_lSA_S7_lS8_PT9_S7_li
    .private_segment_fixed_size: 0
    .sgpr_count:     38
    .sgpr_spill_count: 0
    .symbol:         _ZL34rocblas_syrkx_herkx_general_kernelIl19rocblas_complex_numIdELi16ELi32ELi8ELb0ELb1ELc78ELc76EKPKS1_KPS1_EviT_T0_PT8_S7_lSA_S7_lS8_PT9_S7_li.kd
    .uniform_work_group_size: 1
    .uses_dynamic_stack: false
    .vgpr_count:     119
    .vgpr_spill_count: 0
    .wavefront_size: 32
    .workgroup_processor_mode: 1
  - .args:
      - .offset:         0
        .size:           4
        .value_kind:     by_value
      - .offset:         8
        .size:           8
        .value_kind:     by_value
      - .offset:         16
        .size:           16
        .value_kind:     by_value
      - .address_space:  global
        .offset:         32
        .size:           8
        .value_kind:     global_buffer
      - .offset:         40
        .size:           8
        .value_kind:     by_value
      - .offset:         48
        .size:           8
        .value_kind:     by_value
      - .address_space:  global
        .offset:         56
        .size:           8
        .value_kind:     global_buffer
      - .offset:         64
        .size:           8
        .value_kind:     by_value
      - .offset:         72
        .size:           8
        .value_kind:     by_value
      - .offset:         80
        .size:           16
        .value_kind:     by_value
      - .address_space:  global
        .offset:         96
        .size:           8
        .value_kind:     global_buffer
      - .offset:         104
        .size:           8
        .value_kind:     by_value
      - .offset:         112
        .size:           8
        .value_kind:     by_value
      - .offset:         120
        .size:           4
        .value_kind:     by_value
    .group_segment_fixed_size: 8192
    .kernarg_segment_align: 8
    .kernarg_segment_size: 124
    .language:       OpenCL C
    .language_version:
      - 2
      - 0
    .max_flat_workgroup_size: 256
    .name:           _ZL34rocblas_syrkx_herkx_general_kernelIl19rocblas_complex_numIdELi16ELi32ELi8ELb0ELb1ELc84ELc85EKPKS1_KPS1_EviT_T0_PT8_S7_lSA_S7_lS8_PT9_S7_li
    .private_segment_fixed_size: 0
    .sgpr_count:     31
    .sgpr_spill_count: 0
    .symbol:         _ZL34rocblas_syrkx_herkx_general_kernelIl19rocblas_complex_numIdELi16ELi32ELi8ELb0ELb1ELc84ELc85EKPKS1_KPS1_EviT_T0_PT8_S7_lSA_S7_lS8_PT9_S7_li.kd
    .uniform_work_group_size: 1
    .uses_dynamic_stack: false
    .vgpr_count:     120
    .vgpr_spill_count: 0
    .wavefront_size: 32
    .workgroup_processor_mode: 1
  - .args:
      - .offset:         0
        .size:           4
        .value_kind:     by_value
      - .offset:         8
        .size:           8
        .value_kind:     by_value
      - .offset:         16
        .size:           16
        .value_kind:     by_value
      - .address_space:  global
        .offset:         32
        .size:           8
        .value_kind:     global_buffer
      - .offset:         40
        .size:           8
        .value_kind:     by_value
      - .offset:         48
        .size:           8
        .value_kind:     by_value
      - .address_space:  global
        .offset:         56
        .size:           8
        .value_kind:     global_buffer
      - .offset:         64
        .size:           8
        .value_kind:     by_value
      - .offset:         72
        .size:           8
        .value_kind:     by_value
      - .offset:         80
        .size:           16
        .value_kind:     by_value
      - .address_space:  global
        .offset:         96
        .size:           8
        .value_kind:     global_buffer
      - .offset:         104
        .size:           8
        .value_kind:     by_value
      - .offset:         112
        .size:           8
        .value_kind:     by_value
      - .offset:         120
        .size:           4
        .value_kind:     by_value
    .group_segment_fixed_size: 8192
    .kernarg_segment_align: 8
    .kernarg_segment_size: 124
    .language:       OpenCL C
    .language_version:
      - 2
      - 0
    .max_flat_workgroup_size: 256
    .name:           _ZL34rocblas_syrkx_herkx_general_kernelIl19rocblas_complex_numIdELi16ELi32ELi8ELb0ELb1ELc67ELc85EKPKS1_KPS1_EviT_T0_PT8_S7_lSA_S7_lS8_PT9_S7_li
    .private_segment_fixed_size: 0
    .sgpr_count:     34
    .sgpr_spill_count: 0
    .symbol:         _ZL34rocblas_syrkx_herkx_general_kernelIl19rocblas_complex_numIdELi16ELi32ELi8ELb0ELb1ELc67ELc85EKPKS1_KPS1_EviT_T0_PT8_S7_lSA_S7_lS8_PT9_S7_li.kd
    .uniform_work_group_size: 1
    .uses_dynamic_stack: false
    .vgpr_count:     121
    .vgpr_spill_count: 0
    .wavefront_size: 32
    .workgroup_processor_mode: 1
  - .args:
      - .offset:         0
        .size:           4
        .value_kind:     by_value
      - .offset:         8
        .size:           8
        .value_kind:     by_value
      - .offset:         16
        .size:           16
        .value_kind:     by_value
      - .address_space:  global
        .offset:         32
        .size:           8
        .value_kind:     global_buffer
      - .offset:         40
        .size:           8
        .value_kind:     by_value
      - .offset:         48
        .size:           8
        .value_kind:     by_value
      - .address_space:  global
        .offset:         56
        .size:           8
        .value_kind:     global_buffer
      - .offset:         64
        .size:           8
        .value_kind:     by_value
      - .offset:         72
        .size:           8
        .value_kind:     by_value
      - .offset:         80
        .size:           16
        .value_kind:     by_value
      - .address_space:  global
        .offset:         96
        .size:           8
        .value_kind:     global_buffer
      - .offset:         104
        .size:           8
        .value_kind:     by_value
      - .offset:         112
        .size:           8
        .value_kind:     by_value
      - .offset:         120
        .size:           4
        .value_kind:     by_value
    .group_segment_fixed_size: 8192
    .kernarg_segment_align: 8
    .kernarg_segment_size: 124
    .language:       OpenCL C
    .language_version:
      - 2
      - 0
    .max_flat_workgroup_size: 256
    .name:           _ZL34rocblas_syrkx_herkx_general_kernelIl19rocblas_complex_numIdELi16ELi32ELi8ELb0ELb1ELc78ELc85EKPKS1_KPS1_EviT_T0_PT8_S7_lSA_S7_lS8_PT9_S7_li
    .private_segment_fixed_size: 0
    .sgpr_count:     38
    .sgpr_spill_count: 0
    .symbol:         _ZL34rocblas_syrkx_herkx_general_kernelIl19rocblas_complex_numIdELi16ELi32ELi8ELb0ELb1ELc78ELc85EKPKS1_KPS1_EviT_T0_PT8_S7_lSA_S7_lS8_PT9_S7_li.kd
    .uniform_work_group_size: 1
    .uses_dynamic_stack: false
    .vgpr_count:     119
    .vgpr_spill_count: 0
    .wavefront_size: 32
    .workgroup_processor_mode: 1
  - .args:
      - .offset:         0
        .size:           1
        .value_kind:     by_value
      - .offset:         4
        .size:           4
        .value_kind:     by_value
      - .offset:         8
        .size:           8
        .value_kind:     by_value
      - .offset:         16
        .size:           16
        .value_kind:     by_value
      - .offset:         32
        .size:           16
        .value_kind:     by_value
      - .address_space:  global
        .offset:         48
        .size:           8
        .value_kind:     global_buffer
      - .offset:         56
        .size:           8
        .value_kind:     by_value
      - .offset:         64
        .size:           8
        .value_kind:     by_value
      - .offset:         72
        .size:           4
        .value_kind:     by_value
      - .offset:         80
        .size:           4
        .value_kind:     hidden_block_count_x
      - .offset:         84
        .size:           4
        .value_kind:     hidden_block_count_y
      - .offset:         88
        .size:           4
        .value_kind:     hidden_block_count_z
      - .offset:         92
        .size:           2
        .value_kind:     hidden_group_size_x
      - .offset:         94
        .size:           2
        .value_kind:     hidden_group_size_y
      - .offset:         96
        .size:           2
        .value_kind:     hidden_group_size_z
      - .offset:         98
        .size:           2
        .value_kind:     hidden_remainder_x
      - .offset:         100
        .size:           2
        .value_kind:     hidden_remainder_y
      - .offset:         102
        .size:           2
        .value_kind:     hidden_remainder_z
      - .offset:         120
        .size:           8
        .value_kind:     hidden_global_offset_x
      - .offset:         128
        .size:           8
        .value_kind:     hidden_global_offset_y
      - .offset:         136
        .size:           8
        .value_kind:     hidden_global_offset_z
      - .offset:         144
        .size:           2
        .value_kind:     hidden_grid_dims
    .group_segment_fixed_size: 0
    .kernarg_segment_align: 8
    .kernarg_segment_size: 336
    .language:       OpenCL C
    .language_version:
      - 2
      - 0
    .max_flat_workgroup_size: 1024
    .name:           _ZL26rocblas_syr2k_scale_kernelIlLi128ELi8ELb1E19rocblas_complex_numIdES1_PKPS1_EvbiT_T3_T4_T5_S5_li
    .private_segment_fixed_size: 0
    .sgpr_count:     34
    .sgpr_spill_count: 0
    .symbol:         _ZL26rocblas_syr2k_scale_kernelIlLi128ELi8ELb1E19rocblas_complex_numIdES1_PKPS1_EvbiT_T3_T4_T5_S5_li.kd
    .uniform_work_group_size: 1
    .uses_dynamic_stack: false
    .vgpr_count:     11
    .vgpr_spill_count: 0
    .wavefront_size: 32
    .workgroup_processor_mode: 1
  - .args:
      - .offset:         0
        .size:           1
        .value_kind:     by_value
      - .offset:         4
        .size:           4
        .value_kind:     by_value
      - .offset:         8
        .size:           8
        .value_kind:     by_value
      - .address_space:  global
        .offset:         16
        .size:           8
        .value_kind:     global_buffer
      - .address_space:  global
        .offset:         24
        .size:           8
        .value_kind:     global_buffer
      - .offset:         32
        .size:           8
        .value_kind:     by_value
      - .offset:         40
        .size:           8
        .value_kind:     by_value
      - .address_space:  global
        .offset:         48
        .size:           8
        .value_kind:     global_buffer
      - .offset:         56
        .size:           8
        .value_kind:     by_value
      - .offset:         64
        .size:           8
        .value_kind:     by_value
      - .address_space:  global
        .offset:         72
        .size:           8
        .value_kind:     global_buffer
      - .offset:         80
        .size:           8
        .value_kind:     by_value
      - .offset:         88
        .size:           8
        .value_kind:     by_value
      - .offset:         96
        .size:           4
        .value_kind:     by_value
    .group_segment_fixed_size: 32768
    .kernarg_segment_align: 8
    .kernarg_segment_size: 100
    .language:       OpenCL C
    .language_version:
      - 2
      - 0
    .max_flat_workgroup_size: 1024
    .name:           _ZL26rocblas_syr2k_her2k_kernelIlLb0ELb1ELb0ELi32EPK19rocblas_complex_numIdEPKS3_PKPS1_EvbiT_T4_T5_S9_lSB_S9_lT6_S9_li
    .private_segment_fixed_size: 0
    .sgpr_count:     36
    .sgpr_spill_count: 0
    .symbol:         _ZL26rocblas_syr2k_her2k_kernelIlLb0ELb1ELb0ELi32EPK19rocblas_complex_numIdEPKS3_PKPS1_EvbiT_T4_T5_S9_lSB_S9_lT6_S9_li.kd
    .uniform_work_group_size: 1
    .uses_dynamic_stack: false
    .vgpr_count:     62
    .vgpr_spill_count: 0
    .wavefront_size: 32
    .workgroup_processor_mode: 1
  - .args:
      - .offset:         0
        .size:           1
        .value_kind:     by_value
      - .offset:         4
        .size:           4
        .value_kind:     by_value
      - .offset:         8
        .size:           8
        .value_kind:     by_value
      - .address_space:  global
        .offset:         16
        .size:           8
        .value_kind:     global_buffer
      - .address_space:  global
        .offset:         24
        .size:           8
        .value_kind:     global_buffer
      - .offset:         32
        .size:           8
        .value_kind:     by_value
      - .offset:         40
        .size:           8
        .value_kind:     by_value
      - .address_space:  global
        .offset:         48
        .size:           8
        .value_kind:     global_buffer
      - .offset:         56
        .size:           8
        .value_kind:     by_value
      - .offset:         64
        .size:           8
        .value_kind:     by_value
      - .address_space:  global
        .offset:         72
        .size:           8
        .value_kind:     global_buffer
      - .offset:         80
        .size:           8
        .value_kind:     by_value
      - .offset:         88
        .size:           8
        .value_kind:     by_value
      - .offset:         96
        .size:           4
        .value_kind:     by_value
    .group_segment_fixed_size: 32768
    .kernarg_segment_align: 8
    .kernarg_segment_size: 100
    .language:       OpenCL C
    .language_version:
      - 2
      - 0
    .max_flat_workgroup_size: 1024
    .name:           _ZL26rocblas_syr2k_her2k_kernelIlLb0ELb1ELb1ELi32EPK19rocblas_complex_numIdEPKS3_PKPS1_EvbiT_T4_T5_S9_lSB_S9_lT6_S9_li
    .private_segment_fixed_size: 0
    .sgpr_count:     34
    .sgpr_spill_count: 0
    .symbol:         _ZL26rocblas_syr2k_her2k_kernelIlLb0ELb1ELb1ELi32EPK19rocblas_complex_numIdEPKS3_PKPS1_EvbiT_T4_T5_S9_lSB_S9_lT6_S9_li.kd
    .uniform_work_group_size: 1
    .uses_dynamic_stack: false
    .vgpr_count:     62
    .vgpr_spill_count: 0
    .wavefront_size: 32
    .workgroup_processor_mode: 1
  - .args:
      - .offset:         0
        .size:           1
        .value_kind:     by_value
      - .offset:         4
        .size:           4
        .value_kind:     by_value
      - .offset:         8
        .size:           8
        .value_kind:     by_value
      - .offset:         16
        .size:           4
        .value_kind:     by_value
      - .address_space:  global
        .offset:         24
        .size:           8
        .value_kind:     global_buffer
      - .offset:         32
        .size:           8
        .value_kind:     by_value
      - .offset:         40
        .size:           8
        .value_kind:     by_value
      - .address_space:  global
        .offset:         48
        .size:           8
        .value_kind:     global_buffer
      - .offset:         56
        .size:           8
        .value_kind:     by_value
      - .offset:         64
        .size:           8
        .value_kind:     by_value
      - .address_space:  global
        .offset:         72
        .size:           8
        .value_kind:     global_buffer
      - .offset:         80
        .size:           8
        .value_kind:     by_value
      - .offset:         88
        .size:           8
        .value_kind:     by_value
      - .offset:         96
        .size:           4
        .value_kind:     by_value
    .group_segment_fixed_size: 8192
    .kernarg_segment_align: 8
    .kernarg_segment_size: 100
    .language:       OpenCL C
    .language_version:
      - 2
      - 0
    .max_flat_workgroup_size: 1024
    .name:           _ZL26rocblas_syr2k_her2k_kernelIlLb1ELb0ELb0ELi32EfPKfPfEvbiT_T4_T5_S3_lS5_S3_lT6_S3_li
    .private_segment_fixed_size: 0
    .sgpr_count:     34
    .sgpr_spill_count: 0
    .symbol:         _ZL26rocblas_syr2k_her2k_kernelIlLb1ELb0ELb0ELi32EfPKfPfEvbiT_T4_T5_S3_lS5_S3_lT6_S3_li.kd
    .uniform_work_group_size: 1
    .uses_dynamic_stack: false
    .vgpr_count:     35
    .vgpr_spill_count: 0
    .wavefront_size: 32
    .workgroup_processor_mode: 1
  - .args:
      - .offset:         0
        .size:           1
        .value_kind:     by_value
      - .offset:         4
        .size:           4
        .value_kind:     by_value
      - .offset:         8
        .size:           8
        .value_kind:     by_value
      - .offset:         16
        .size:           4
        .value_kind:     by_value
      - .address_space:  global
        .offset:         24
        .size:           8
        .value_kind:     global_buffer
      - .offset:         32
        .size:           8
        .value_kind:     by_value
      - .offset:         40
        .size:           8
        .value_kind:     by_value
      - .address_space:  global
        .offset:         48
        .size:           8
        .value_kind:     global_buffer
      - .offset:         56
        .size:           8
        .value_kind:     by_value
      - .offset:         64
        .size:           8
        .value_kind:     by_value
      - .address_space:  global
        .offset:         72
        .size:           8
        .value_kind:     global_buffer
      - .offset:         80
        .size:           8
        .value_kind:     by_value
      - .offset:         88
        .size:           8
        .value_kind:     by_value
      - .offset:         96
        .size:           4
        .value_kind:     by_value
    .group_segment_fixed_size: 8192
    .kernarg_segment_align: 8
    .kernarg_segment_size: 100
    .language:       OpenCL C
    .language_version:
      - 2
      - 0
    .max_flat_workgroup_size: 1024
    .name:           _ZL26rocblas_syr2k_her2k_kernelIlLb1ELb0ELb1ELi32EfPKfPfEvbiT_T4_T5_S3_lS5_S3_lT6_S3_li
    .private_segment_fixed_size: 0
    .sgpr_count:     34
    .sgpr_spill_count: 0
    .symbol:         _ZL26rocblas_syr2k_her2k_kernelIlLb1ELb0ELb1ELi32EfPKfPfEvbiT_T4_T5_S3_lS5_S3_lT6_S3_li.kd
    .uniform_work_group_size: 1
    .uses_dynamic_stack: false
    .vgpr_count:     35
    .vgpr_spill_count: 0
    .wavefront_size: 32
    .workgroup_processor_mode: 1
  - .args:
      - .offset:         0
        .size:           1
        .value_kind:     by_value
      - .offset:         4
        .size:           4
        .value_kind:     by_value
      - .offset:         8
        .size:           8
        .value_kind:     by_value
      - .address_space:  global
        .offset:         16
        .size:           8
        .value_kind:     global_buffer
      - .address_space:  global
        .offset:         24
        .size:           8
        .value_kind:     global_buffer
      - .offset:         32
        .size:           8
        .value_kind:     by_value
      - .offset:         40
        .size:           8
        .value_kind:     by_value
      - .address_space:  global
        .offset:         48
        .size:           8
        .value_kind:     global_buffer
      - .offset:         56
        .size:           8
        .value_kind:     by_value
      - .offset:         64
        .size:           8
        .value_kind:     by_value
      - .address_space:  global
        .offset:         72
        .size:           8
        .value_kind:     global_buffer
      - .offset:         80
        .size:           8
        .value_kind:     by_value
      - .offset:         88
        .size:           8
        .value_kind:     by_value
      - .offset:         96
        .size:           4
        .value_kind:     by_value
    .group_segment_fixed_size: 8192
    .kernarg_segment_align: 8
    .kernarg_segment_size: 100
    .language:       OpenCL C
    .language_version:
      - 2
      - 0
    .max_flat_workgroup_size: 1024
    .name:           _ZL26rocblas_syr2k_her2k_kernelIlLb1ELb0ELb0ELi32EPKfS1_PfEvbiT_T4_T5_S3_lS5_S3_lT6_S3_li
    .private_segment_fixed_size: 0
    .sgpr_count:     34
    .sgpr_spill_count: 0
    .symbol:         _ZL26rocblas_syr2k_her2k_kernelIlLb1ELb0ELb0ELi32EPKfS1_PfEvbiT_T4_T5_S3_lS5_S3_lT6_S3_li.kd
    .uniform_work_group_size: 1
    .uses_dynamic_stack: false
    .vgpr_count:     35
    .vgpr_spill_count: 0
    .wavefront_size: 32
    .workgroup_processor_mode: 1
  - .args:
      - .offset:         0
        .size:           1
        .value_kind:     by_value
      - .offset:         4
        .size:           4
        .value_kind:     by_value
      - .offset:         8
        .size:           8
        .value_kind:     by_value
      - .address_space:  global
        .offset:         16
        .size:           8
        .value_kind:     global_buffer
      - .address_space:  global
        .offset:         24
        .size:           8
        .value_kind:     global_buffer
      - .offset:         32
        .size:           8
        .value_kind:     by_value
      - .offset:         40
        .size:           8
        .value_kind:     by_value
      - .address_space:  global
        .offset:         48
        .size:           8
        .value_kind:     global_buffer
      - .offset:         56
        .size:           8
        .value_kind:     by_value
      - .offset:         64
        .size:           8
        .value_kind:     by_value
      - .address_space:  global
        .offset:         72
        .size:           8
        .value_kind:     global_buffer
      - .offset:         80
        .size:           8
        .value_kind:     by_value
      - .offset:         88
        .size:           8
        .value_kind:     by_value
      - .offset:         96
        .size:           4
        .value_kind:     by_value
    .group_segment_fixed_size: 8192
    .kernarg_segment_align: 8
    .kernarg_segment_size: 100
    .language:       OpenCL C
    .language_version:
      - 2
      - 0
    .max_flat_workgroup_size: 1024
    .name:           _ZL26rocblas_syr2k_her2k_kernelIlLb1ELb0ELb1ELi32EPKfS1_PfEvbiT_T4_T5_S3_lS5_S3_lT6_S3_li
    .private_segment_fixed_size: 0
    .sgpr_count:     34
    .sgpr_spill_count: 0
    .symbol:         _ZL26rocblas_syr2k_her2k_kernelIlLb1ELb0ELb1ELi32EPKfS1_PfEvbiT_T4_T5_S3_lS5_S3_lT6_S3_li.kd
    .uniform_work_group_size: 1
    .uses_dynamic_stack: false
    .vgpr_count:     35
    .vgpr_spill_count: 0
    .wavefront_size: 32
    .workgroup_processor_mode: 1
  - .args:
      - .offset:         0
        .size:           1
        .value_kind:     by_value
      - .offset:         4
        .size:           4
        .value_kind:     by_value
      - .offset:         8
        .size:           8
        .value_kind:     by_value
      - .offset:         16
        .size:           8
        .value_kind:     by_value
      - .address_space:  global
        .offset:         24
        .size:           8
        .value_kind:     global_buffer
      - .offset:         32
        .size:           8
        .value_kind:     by_value
      - .offset:         40
        .size:           8
        .value_kind:     by_value
      - .address_space:  global
        .offset:         48
        .size:           8
        .value_kind:     global_buffer
      - .offset:         56
        .size:           8
        .value_kind:     by_value
      - .offset:         64
        .size:           8
        .value_kind:     by_value
      - .address_space:  global
        .offset:         72
        .size:           8
        .value_kind:     global_buffer
      - .offset:         80
        .size:           8
        .value_kind:     by_value
      - .offset:         88
        .size:           8
        .value_kind:     by_value
      - .offset:         96
        .size:           4
        .value_kind:     by_value
    .group_segment_fixed_size: 16384
    .kernarg_segment_align: 8
    .kernarg_segment_size: 100
    .language:       OpenCL C
    .language_version:
      - 2
      - 0
    .max_flat_workgroup_size: 1024
    .name:           _ZL26rocblas_syr2k_her2k_kernelIlLb1ELb0ELb0ELi32EdPKdPdEvbiT_T4_T5_S3_lS5_S3_lT6_S3_li
    .private_segment_fixed_size: 0
    .sgpr_count:     38
    .sgpr_spill_count: 0
    .symbol:         _ZL26rocblas_syr2k_her2k_kernelIlLb1ELb0ELb0ELi32EdPKdPdEvbiT_T4_T5_S3_lS5_S3_lT6_S3_li.kd
    .uniform_work_group_size: 1
    .uses_dynamic_stack: false
    .vgpr_count:     35
    .vgpr_spill_count: 0
    .wavefront_size: 32
    .workgroup_processor_mode: 1
  - .args:
      - .offset:         0
        .size:           1
        .value_kind:     by_value
      - .offset:         4
        .size:           4
        .value_kind:     by_value
      - .offset:         8
        .size:           8
        .value_kind:     by_value
      - .offset:         16
        .size:           8
        .value_kind:     by_value
      - .address_space:  global
        .offset:         24
        .size:           8
        .value_kind:     global_buffer
      - .offset:         32
        .size:           8
        .value_kind:     by_value
      - .offset:         40
        .size:           8
        .value_kind:     by_value
      - .address_space:  global
        .offset:         48
        .size:           8
        .value_kind:     global_buffer
      - .offset:         56
        .size:           8
        .value_kind:     by_value
      - .offset:         64
        .size:           8
        .value_kind:     by_value
      - .address_space:  global
        .offset:         72
        .size:           8
        .value_kind:     global_buffer
      - .offset:         80
        .size:           8
        .value_kind:     by_value
      - .offset:         88
        .size:           8
        .value_kind:     by_value
      - .offset:         96
        .size:           4
        .value_kind:     by_value
    .group_segment_fixed_size: 16384
    .kernarg_segment_align: 8
    .kernarg_segment_size: 100
    .language:       OpenCL C
    .language_version:
      - 2
      - 0
    .max_flat_workgroup_size: 1024
    .name:           _ZL26rocblas_syr2k_her2k_kernelIlLb1ELb0ELb1ELi32EdPKdPdEvbiT_T4_T5_S3_lS5_S3_lT6_S3_li
    .private_segment_fixed_size: 0
    .sgpr_count:     34
    .sgpr_spill_count: 0
    .symbol:         _ZL26rocblas_syr2k_her2k_kernelIlLb1ELb0ELb1ELi32EdPKdPdEvbiT_T4_T5_S3_lS5_S3_lT6_S3_li.kd
    .uniform_work_group_size: 1
    .uses_dynamic_stack: false
    .vgpr_count:     35
    .vgpr_spill_count: 0
    .wavefront_size: 32
    .workgroup_processor_mode: 1
  - .args:
      - .offset:         0
        .size:           1
        .value_kind:     by_value
      - .offset:         4
        .size:           4
        .value_kind:     by_value
      - .offset:         8
        .size:           8
        .value_kind:     by_value
      - .address_space:  global
        .offset:         16
        .size:           8
        .value_kind:     global_buffer
      - .address_space:  global
        .offset:         24
        .size:           8
        .value_kind:     global_buffer
      - .offset:         32
        .size:           8
        .value_kind:     by_value
      - .offset:         40
        .size:           8
        .value_kind:     by_value
      - .address_space:  global
        .offset:         48
        .size:           8
        .value_kind:     global_buffer
      - .offset:         56
        .size:           8
        .value_kind:     by_value
      - .offset:         64
        .size:           8
        .value_kind:     by_value
      - .address_space:  global
        .offset:         72
        .size:           8
        .value_kind:     global_buffer
      - .offset:         80
        .size:           8
        .value_kind:     by_value
      - .offset:         88
        .size:           8
        .value_kind:     by_value
      - .offset:         96
        .size:           4
        .value_kind:     by_value
    .group_segment_fixed_size: 16384
    .kernarg_segment_align: 8
    .kernarg_segment_size: 100
    .language:       OpenCL C
    .language_version:
      - 2
      - 0
    .max_flat_workgroup_size: 1024
    .name:           _ZL26rocblas_syr2k_her2k_kernelIlLb1ELb0ELb0ELi32EPKdS1_PdEvbiT_T4_T5_S3_lS5_S3_lT6_S3_li
    .private_segment_fixed_size: 0
    .sgpr_count:     34
    .sgpr_spill_count: 0
    .symbol:         _ZL26rocblas_syr2k_her2k_kernelIlLb1ELb0ELb0ELi32EPKdS1_PdEvbiT_T4_T5_S3_lS5_S3_lT6_S3_li.kd
    .uniform_work_group_size: 1
    .uses_dynamic_stack: false
    .vgpr_count:     35
    .vgpr_spill_count: 0
    .wavefront_size: 32
    .workgroup_processor_mode: 1
  - .args:
      - .offset:         0
        .size:           1
        .value_kind:     by_value
      - .offset:         4
        .size:           4
        .value_kind:     by_value
      - .offset:         8
        .size:           8
        .value_kind:     by_value
      - .address_space:  global
        .offset:         16
        .size:           8
        .value_kind:     global_buffer
      - .address_space:  global
        .offset:         24
        .size:           8
        .value_kind:     global_buffer
      - .offset:         32
        .size:           8
        .value_kind:     by_value
      - .offset:         40
        .size:           8
        .value_kind:     by_value
      - .address_space:  global
        .offset:         48
        .size:           8
        .value_kind:     global_buffer
      - .offset:         56
        .size:           8
        .value_kind:     by_value
      - .offset:         64
        .size:           8
        .value_kind:     by_value
      - .address_space:  global
        .offset:         72
        .size:           8
        .value_kind:     global_buffer
      - .offset:         80
        .size:           8
        .value_kind:     by_value
      - .offset:         88
        .size:           8
        .value_kind:     by_value
      - .offset:         96
        .size:           4
        .value_kind:     by_value
    .group_segment_fixed_size: 16384
    .kernarg_segment_align: 8
    .kernarg_segment_size: 100
    .language:       OpenCL C
    .language_version:
      - 2
      - 0
    .max_flat_workgroup_size: 1024
    .name:           _ZL26rocblas_syr2k_her2k_kernelIlLb1ELb0ELb1ELi32EPKdS1_PdEvbiT_T4_T5_S3_lS5_S3_lT6_S3_li
    .private_segment_fixed_size: 0
    .sgpr_count:     34
    .sgpr_spill_count: 0
    .symbol:         _ZL26rocblas_syr2k_her2k_kernelIlLb1ELb0ELb1ELi32EPKdS1_PdEvbiT_T4_T5_S3_lS5_S3_lT6_S3_li.kd
    .uniform_work_group_size: 1
    .uses_dynamic_stack: false
    .vgpr_count:     35
    .vgpr_spill_count: 0
    .wavefront_size: 32
    .workgroup_processor_mode: 1
  - .args:
      - .offset:         0
        .size:           1
        .value_kind:     by_value
      - .offset:         4
        .size:           4
        .value_kind:     by_value
      - .offset:         8
        .size:           8
        .value_kind:     by_value
      - .offset:         16
        .size:           8
        .value_kind:     by_value
      - .address_space:  global
        .offset:         24
        .size:           8
        .value_kind:     global_buffer
      - .offset:         32
        .size:           8
        .value_kind:     by_value
      - .offset:         40
        .size:           8
        .value_kind:     by_value
      - .address_space:  global
        .offset:         48
        .size:           8
        .value_kind:     global_buffer
      - .offset:         56
        .size:           8
        .value_kind:     by_value
      - .offset:         64
        .size:           8
        .value_kind:     by_value
      - .address_space:  global
        .offset:         72
        .size:           8
        .value_kind:     global_buffer
      - .offset:         80
        .size:           8
        .value_kind:     by_value
      - .offset:         88
        .size:           8
        .value_kind:     by_value
      - .offset:         96
        .size:           4
        .value_kind:     by_value
    .group_segment_fixed_size: 16384
    .kernarg_segment_align: 8
    .kernarg_segment_size: 100
    .language:       OpenCL C
    .language_version:
      - 2
      - 0
    .max_flat_workgroup_size: 1024
    .name:           _ZL26rocblas_syr2k_her2k_kernelIlLb1ELb0ELb0ELi32E19rocblas_complex_numIfEPKS1_PS1_EvbiT_T4_T5_S5_lS7_S5_lT6_S5_li
    .private_segment_fixed_size: 0
    .sgpr_count:     34
    .sgpr_spill_count: 0
    .symbol:         _ZL26rocblas_syr2k_her2k_kernelIlLb1ELb0ELb0ELi32E19rocblas_complex_numIfEPKS1_PS1_EvbiT_T4_T5_S5_lS7_S5_lT6_S5_li.kd
    .uniform_work_group_size: 1
    .uses_dynamic_stack: false
    .vgpr_count:     40
    .vgpr_spill_count: 0
    .wavefront_size: 32
    .workgroup_processor_mode: 1
  - .args:
      - .offset:         0
        .size:           1
        .value_kind:     by_value
      - .offset:         4
        .size:           4
        .value_kind:     by_value
      - .offset:         8
        .size:           8
        .value_kind:     by_value
      - .offset:         16
        .size:           8
        .value_kind:     by_value
      - .address_space:  global
        .offset:         24
        .size:           8
        .value_kind:     global_buffer
      - .offset:         32
        .size:           8
        .value_kind:     by_value
      - .offset:         40
        .size:           8
        .value_kind:     by_value
      - .address_space:  global
        .offset:         48
        .size:           8
        .value_kind:     global_buffer
      - .offset:         56
        .size:           8
        .value_kind:     by_value
      - .offset:         64
        .size:           8
        .value_kind:     by_value
      - .address_space:  global
        .offset:         72
        .size:           8
        .value_kind:     global_buffer
      - .offset:         80
        .size:           8
        .value_kind:     by_value
      - .offset:         88
        .size:           8
        .value_kind:     by_value
      - .offset:         96
        .size:           4
        .value_kind:     by_value
    .group_segment_fixed_size: 16384
    .kernarg_segment_align: 8
    .kernarg_segment_size: 100
    .language:       OpenCL C
    .language_version:
      - 2
      - 0
    .max_flat_workgroup_size: 1024
    .name:           _ZL26rocblas_syr2k_her2k_kernelIlLb1ELb0ELb1ELi32E19rocblas_complex_numIfEPKS1_PS1_EvbiT_T4_T5_S5_lS7_S5_lT6_S5_li
    .private_segment_fixed_size: 0
    .sgpr_count:     34
    .sgpr_spill_count: 0
    .symbol:         _ZL26rocblas_syr2k_her2k_kernelIlLb1ELb0ELb1ELi32E19rocblas_complex_numIfEPKS1_PS1_EvbiT_T4_T5_S5_lS7_S5_lT6_S5_li.kd
    .uniform_work_group_size: 1
    .uses_dynamic_stack: false
    .vgpr_count:     40
    .vgpr_spill_count: 0
    .wavefront_size: 32
    .workgroup_processor_mode: 1
  - .args:
      - .offset:         0
        .size:           1
        .value_kind:     by_value
      - .offset:         4
        .size:           4
        .value_kind:     by_value
      - .offset:         8
        .size:           8
        .value_kind:     by_value
      - .address_space:  global
        .offset:         16
        .size:           8
        .value_kind:     global_buffer
      - .address_space:  global
        .offset:         24
        .size:           8
        .value_kind:     global_buffer
      - .offset:         32
        .size:           8
        .value_kind:     by_value
      - .offset:         40
        .size:           8
        .value_kind:     by_value
      - .address_space:  global
        .offset:         48
        .size:           8
        .value_kind:     global_buffer
      - .offset:         56
        .size:           8
        .value_kind:     by_value
      - .offset:         64
        .size:           8
        .value_kind:     by_value
      - .address_space:  global
        .offset:         72
        .size:           8
        .value_kind:     global_buffer
      - .offset:         80
        .size:           8
        .value_kind:     by_value
      - .offset:         88
        .size:           8
        .value_kind:     by_value
      - .offset:         96
        .size:           4
        .value_kind:     by_value
    .group_segment_fixed_size: 16384
    .kernarg_segment_align: 8
    .kernarg_segment_size: 100
    .language:       OpenCL C
    .language_version:
      - 2
      - 0
    .max_flat_workgroup_size: 1024
    .name:           _ZL26rocblas_syr2k_her2k_kernelIlLb1ELb0ELb0ELi32EPK19rocblas_complex_numIfES3_PS1_EvbiT_T4_T5_S5_lS7_S5_lT6_S5_li
    .private_segment_fixed_size: 0
    .sgpr_count:     34
    .sgpr_spill_count: 0
    .symbol:         _ZL26rocblas_syr2k_her2k_kernelIlLb1ELb0ELb0ELi32EPK19rocblas_complex_numIfES3_PS1_EvbiT_T4_T5_S5_lS7_S5_lT6_S5_li.kd
    .uniform_work_group_size: 1
    .uses_dynamic_stack: false
    .vgpr_count:     40
    .vgpr_spill_count: 0
    .wavefront_size: 32
    .workgroup_processor_mode: 1
  - .args:
      - .offset:         0
        .size:           1
        .value_kind:     by_value
      - .offset:         4
        .size:           4
        .value_kind:     by_value
      - .offset:         8
        .size:           8
        .value_kind:     by_value
      - .address_space:  global
        .offset:         16
        .size:           8
        .value_kind:     global_buffer
      - .address_space:  global
        .offset:         24
        .size:           8
        .value_kind:     global_buffer
      - .offset:         32
        .size:           8
        .value_kind:     by_value
      - .offset:         40
        .size:           8
        .value_kind:     by_value
      - .address_space:  global
        .offset:         48
        .size:           8
        .value_kind:     global_buffer
      - .offset:         56
        .size:           8
        .value_kind:     by_value
      - .offset:         64
        .size:           8
        .value_kind:     by_value
      - .address_space:  global
        .offset:         72
        .size:           8
        .value_kind:     global_buffer
      - .offset:         80
        .size:           8
        .value_kind:     by_value
      - .offset:         88
        .size:           8
        .value_kind:     by_value
      - .offset:         96
        .size:           4
        .value_kind:     by_value
    .group_segment_fixed_size: 16384
    .kernarg_segment_align: 8
    .kernarg_segment_size: 100
    .language:       OpenCL C
    .language_version:
      - 2
      - 0
    .max_flat_workgroup_size: 1024
    .name:           _ZL26rocblas_syr2k_her2k_kernelIlLb1ELb0ELb1ELi32EPK19rocblas_complex_numIfES3_PS1_EvbiT_T4_T5_S5_lS7_S5_lT6_S5_li
    .private_segment_fixed_size: 0
    .sgpr_count:     34
    .sgpr_spill_count: 0
    .symbol:         _ZL26rocblas_syr2k_her2k_kernelIlLb1ELb0ELb1ELi32EPK19rocblas_complex_numIfES3_PS1_EvbiT_T4_T5_S5_lS7_S5_lT6_S5_li.kd
    .uniform_work_group_size: 1
    .uses_dynamic_stack: false
    .vgpr_count:     40
    .vgpr_spill_count: 0
    .wavefront_size: 32
    .workgroup_processor_mode: 1
  - .args:
      - .offset:         0
        .size:           1
        .value_kind:     by_value
      - .offset:         4
        .size:           4
        .value_kind:     by_value
      - .offset:         8
        .size:           8
        .value_kind:     by_value
      - .offset:         16
        .size:           16
        .value_kind:     by_value
      - .address_space:  global
        .offset:         32
        .size:           8
        .value_kind:     global_buffer
      - .offset:         40
        .size:           8
        .value_kind:     by_value
      - .offset:         48
        .size:           8
        .value_kind:     by_value
      - .address_space:  global
        .offset:         56
        .size:           8
        .value_kind:     global_buffer
      - .offset:         64
        .size:           8
        .value_kind:     by_value
      - .offset:         72
        .size:           8
        .value_kind:     by_value
      - .address_space:  global
        .offset:         80
        .size:           8
        .value_kind:     global_buffer
      - .offset:         88
        .size:           8
        .value_kind:     by_value
      - .offset:         96
        .size:           8
        .value_kind:     by_value
      - .offset:         104
        .size:           4
        .value_kind:     by_value
    .group_segment_fixed_size: 32768
    .kernarg_segment_align: 8
    .kernarg_segment_size: 108
    .language:       OpenCL C
    .language_version:
      - 2
      - 0
    .max_flat_workgroup_size: 1024
    .name:           _ZL26rocblas_syr2k_her2k_kernelIlLb1ELb0ELb0ELi32E19rocblas_complex_numIdEPKS1_PS1_EvbiT_T4_T5_S5_lS7_S5_lT6_S5_li
    .private_segment_fixed_size: 0
    .sgpr_count:     38
    .sgpr_spill_count: 0
    .symbol:         _ZL26rocblas_syr2k_her2k_kernelIlLb1ELb0ELb0ELi32E19rocblas_complex_numIdEPKS1_PS1_EvbiT_T4_T5_S5_lS7_S5_lT6_S5_li.kd
    .uniform_work_group_size: 1
    .uses_dynamic_stack: false
    .vgpr_count:     62
    .vgpr_spill_count: 0
    .wavefront_size: 32
    .workgroup_processor_mode: 1
  - .args:
      - .offset:         0
        .size:           1
        .value_kind:     by_value
      - .offset:         4
        .size:           4
        .value_kind:     by_value
      - .offset:         8
        .size:           8
        .value_kind:     by_value
      - .offset:         16
        .size:           16
        .value_kind:     by_value
      - .address_space:  global
        .offset:         32
        .size:           8
        .value_kind:     global_buffer
      - .offset:         40
        .size:           8
        .value_kind:     by_value
      - .offset:         48
        .size:           8
        .value_kind:     by_value
      - .address_space:  global
        .offset:         56
        .size:           8
        .value_kind:     global_buffer
      - .offset:         64
        .size:           8
        .value_kind:     by_value
      - .offset:         72
        .size:           8
        .value_kind:     by_value
      - .address_space:  global
        .offset:         80
        .size:           8
        .value_kind:     global_buffer
      - .offset:         88
        .size:           8
        .value_kind:     by_value
      - .offset:         96
        .size:           8
        .value_kind:     by_value
      - .offset:         104
        .size:           4
        .value_kind:     by_value
    .group_segment_fixed_size: 32768
    .kernarg_segment_align: 8
    .kernarg_segment_size: 108
    .language:       OpenCL C
    .language_version:
      - 2
      - 0
    .max_flat_workgroup_size: 1024
    .name:           _ZL26rocblas_syr2k_her2k_kernelIlLb1ELb0ELb1ELi32E19rocblas_complex_numIdEPKS1_PS1_EvbiT_T4_T5_S5_lS7_S5_lT6_S5_li
    .private_segment_fixed_size: 0
    .sgpr_count:     34
    .sgpr_spill_count: 0
    .symbol:         _ZL26rocblas_syr2k_her2k_kernelIlLb1ELb0ELb1ELi32E19rocblas_complex_numIdEPKS1_PS1_EvbiT_T4_T5_S5_lS7_S5_lT6_S5_li.kd
    .uniform_work_group_size: 1
    .uses_dynamic_stack: false
    .vgpr_count:     62
    .vgpr_spill_count: 0
    .wavefront_size: 32
    .workgroup_processor_mode: 1
  - .args:
      - .offset:         0
        .size:           1
        .value_kind:     by_value
      - .offset:         4
        .size:           4
        .value_kind:     by_value
      - .offset:         8
        .size:           8
        .value_kind:     by_value
      - .address_space:  global
        .offset:         16
        .size:           8
        .value_kind:     global_buffer
      - .address_space:  global
        .offset:         24
        .size:           8
        .value_kind:     global_buffer
      - .offset:         32
        .size:           8
        .value_kind:     by_value
      - .offset:         40
        .size:           8
        .value_kind:     by_value
      - .address_space:  global
        .offset:         48
        .size:           8
        .value_kind:     global_buffer
      - .offset:         56
        .size:           8
        .value_kind:     by_value
      - .offset:         64
        .size:           8
        .value_kind:     by_value
      - .address_space:  global
        .offset:         72
        .size:           8
        .value_kind:     global_buffer
      - .offset:         80
        .size:           8
        .value_kind:     by_value
      - .offset:         88
        .size:           8
        .value_kind:     by_value
      - .offset:         96
        .size:           4
        .value_kind:     by_value
    .group_segment_fixed_size: 32768
    .kernarg_segment_align: 8
    .kernarg_segment_size: 100
    .language:       OpenCL C
    .language_version:
      - 2
      - 0
    .max_flat_workgroup_size: 1024
    .name:           _ZL26rocblas_syr2k_her2k_kernelIlLb1ELb0ELb0ELi32EPK19rocblas_complex_numIdES3_PS1_EvbiT_T4_T5_S5_lS7_S5_lT6_S5_li
    .private_segment_fixed_size: 0
    .sgpr_count:     34
    .sgpr_spill_count: 0
    .symbol:         _ZL26rocblas_syr2k_her2k_kernelIlLb1ELb0ELb0ELi32EPK19rocblas_complex_numIdES3_PS1_EvbiT_T4_T5_S5_lS7_S5_lT6_S5_li.kd
    .uniform_work_group_size: 1
    .uses_dynamic_stack: false
    .vgpr_count:     62
    .vgpr_spill_count: 0
    .wavefront_size: 32
    .workgroup_processor_mode: 1
  - .args:
      - .offset:         0
        .size:           1
        .value_kind:     by_value
      - .offset:         4
        .size:           4
        .value_kind:     by_value
      - .offset:         8
        .size:           8
        .value_kind:     by_value
      - .address_space:  global
        .offset:         16
        .size:           8
        .value_kind:     global_buffer
      - .address_space:  global
        .offset:         24
        .size:           8
        .value_kind:     global_buffer
      - .offset:         32
        .size:           8
        .value_kind:     by_value
      - .offset:         40
        .size:           8
        .value_kind:     by_value
      - .address_space:  global
        .offset:         48
        .size:           8
        .value_kind:     global_buffer
      - .offset:         56
        .size:           8
        .value_kind:     by_value
      - .offset:         64
        .size:           8
        .value_kind:     by_value
      - .address_space:  global
        .offset:         72
        .size:           8
        .value_kind:     global_buffer
      - .offset:         80
        .size:           8
        .value_kind:     by_value
      - .offset:         88
        .size:           8
        .value_kind:     by_value
      - .offset:         96
        .size:           4
        .value_kind:     by_value
    .group_segment_fixed_size: 32768
    .kernarg_segment_align: 8
    .kernarg_segment_size: 100
    .language:       OpenCL C
    .language_version:
      - 2
      - 0
    .max_flat_workgroup_size: 1024
    .name:           _ZL26rocblas_syr2k_her2k_kernelIlLb1ELb0ELb1ELi32EPK19rocblas_complex_numIdES3_PS1_EvbiT_T4_T5_S5_lS7_S5_lT6_S5_li
    .private_segment_fixed_size: 0
    .sgpr_count:     34
    .sgpr_spill_count: 0
    .symbol:         _ZL26rocblas_syr2k_her2k_kernelIlLb1ELb0ELb1ELi32EPK19rocblas_complex_numIdES3_PS1_EvbiT_T4_T5_S5_lS7_S5_lT6_S5_li.kd
    .uniform_work_group_size: 1
    .uses_dynamic_stack: false
    .vgpr_count:     62
    .vgpr_spill_count: 0
    .wavefront_size: 32
    .workgroup_processor_mode: 1
  - .args:
      - .offset:         0
        .size:           1
        .value_kind:     by_value
      - .offset:         4
        .size:           4
        .value_kind:     by_value
      - .offset:         8
        .size:           8
        .value_kind:     by_value
      - .offset:         16
        .size:           8
        .value_kind:     by_value
      - .address_space:  global
        .offset:         24
        .size:           8
        .value_kind:     global_buffer
      - .offset:         32
        .size:           8
        .value_kind:     by_value
      - .offset:         40
        .size:           8
        .value_kind:     by_value
      - .address_space:  global
        .offset:         48
        .size:           8
        .value_kind:     global_buffer
      - .offset:         56
        .size:           8
        .value_kind:     by_value
      - .offset:         64
        .size:           8
        .value_kind:     by_value
      - .address_space:  global
        .offset:         72
        .size:           8
        .value_kind:     global_buffer
      - .offset:         80
        .size:           8
        .value_kind:     by_value
      - .offset:         88
        .size:           8
        .value_kind:     by_value
      - .offset:         96
        .size:           4
        .value_kind:     by_value
    .group_segment_fixed_size: 16384
    .kernarg_segment_align: 8
    .kernarg_segment_size: 100
    .language:       OpenCL C
    .language_version:
      - 2
      - 0
    .max_flat_workgroup_size: 1024
    .name:           _ZL26rocblas_syr2k_her2k_kernelIlLb1ELb1ELb0ELi32E19rocblas_complex_numIfEPKS1_PS1_EvbiT_T4_T5_S5_lS7_S5_lT6_S5_li
    .private_segment_fixed_size: 0
    .sgpr_count:     34
    .sgpr_spill_count: 0
    .symbol:         _ZL26rocblas_syr2k_her2k_kernelIlLb1ELb1ELb0ELi32E19rocblas_complex_numIfEPKS1_PS1_EvbiT_T4_T5_S5_lS7_S5_lT6_S5_li.kd
    .uniform_work_group_size: 1
    .uses_dynamic_stack: false
    .vgpr_count:     40
    .vgpr_spill_count: 0
    .wavefront_size: 32
    .workgroup_processor_mode: 1
  - .args:
      - .offset:         0
        .size:           1
        .value_kind:     by_value
      - .offset:         4
        .size:           4
        .value_kind:     by_value
      - .offset:         8
        .size:           8
        .value_kind:     by_value
      - .offset:         16
        .size:           8
        .value_kind:     by_value
      - .address_space:  global
        .offset:         24
        .size:           8
        .value_kind:     global_buffer
      - .offset:         32
        .size:           8
        .value_kind:     by_value
      - .offset:         40
        .size:           8
        .value_kind:     by_value
      - .address_space:  global
        .offset:         48
        .size:           8
        .value_kind:     global_buffer
      - .offset:         56
        .size:           8
        .value_kind:     by_value
      - .offset:         64
        .size:           8
        .value_kind:     by_value
      - .address_space:  global
        .offset:         72
        .size:           8
        .value_kind:     global_buffer
      - .offset:         80
        .size:           8
        .value_kind:     by_value
      - .offset:         88
        .size:           8
        .value_kind:     by_value
      - .offset:         96
        .size:           4
        .value_kind:     by_value
    .group_segment_fixed_size: 16384
    .kernarg_segment_align: 8
    .kernarg_segment_size: 100
    .language:       OpenCL C
    .language_version:
      - 2
      - 0
    .max_flat_workgroup_size: 1024
    .name:           _ZL26rocblas_syr2k_her2k_kernelIlLb1ELb1ELb1ELi32E19rocblas_complex_numIfEPKS1_PS1_EvbiT_T4_T5_S5_lS7_S5_lT6_S5_li
    .private_segment_fixed_size: 0
    .sgpr_count:     34
    .sgpr_spill_count: 0
    .symbol:         _ZL26rocblas_syr2k_her2k_kernelIlLb1ELb1ELb1ELi32E19rocblas_complex_numIfEPKS1_PS1_EvbiT_T4_T5_S5_lS7_S5_lT6_S5_li.kd
    .uniform_work_group_size: 1
    .uses_dynamic_stack: false
    .vgpr_count:     40
    .vgpr_spill_count: 0
    .wavefront_size: 32
    .workgroup_processor_mode: 1
  - .args:
      - .offset:         0
        .size:           1
        .value_kind:     by_value
      - .offset:         4
        .size:           4
        .value_kind:     by_value
      - .offset:         8
        .size:           8
        .value_kind:     by_value
      - .address_space:  global
        .offset:         16
        .size:           8
        .value_kind:     global_buffer
      - .address_space:  global
        .offset:         24
        .size:           8
        .value_kind:     global_buffer
      - .offset:         32
        .size:           8
        .value_kind:     by_value
      - .offset:         40
        .size:           8
        .value_kind:     by_value
      - .address_space:  global
        .offset:         48
        .size:           8
        .value_kind:     global_buffer
      - .offset:         56
        .size:           8
        .value_kind:     by_value
      - .offset:         64
        .size:           8
        .value_kind:     by_value
      - .address_space:  global
        .offset:         72
        .size:           8
        .value_kind:     global_buffer
      - .offset:         80
        .size:           8
        .value_kind:     by_value
      - .offset:         88
        .size:           8
        .value_kind:     by_value
      - .offset:         96
        .size:           4
        .value_kind:     by_value
    .group_segment_fixed_size: 16384
    .kernarg_segment_align: 8
    .kernarg_segment_size: 100
    .language:       OpenCL C
    .language_version:
      - 2
      - 0
    .max_flat_workgroup_size: 1024
    .name:           _ZL26rocblas_syr2k_her2k_kernelIlLb1ELb1ELb0ELi32EPK19rocblas_complex_numIfES3_PS1_EvbiT_T4_T5_S5_lS7_S5_lT6_S5_li
    .private_segment_fixed_size: 0
    .sgpr_count:     34
    .sgpr_spill_count: 0
    .symbol:         _ZL26rocblas_syr2k_her2k_kernelIlLb1ELb1ELb0ELi32EPK19rocblas_complex_numIfES3_PS1_EvbiT_T4_T5_S5_lS7_S5_lT6_S5_li.kd
    .uniform_work_group_size: 1
    .uses_dynamic_stack: false
    .vgpr_count:     40
    .vgpr_spill_count: 0
    .wavefront_size: 32
    .workgroup_processor_mode: 1
  - .args:
      - .offset:         0
        .size:           1
        .value_kind:     by_value
      - .offset:         4
        .size:           4
        .value_kind:     by_value
      - .offset:         8
        .size:           8
        .value_kind:     by_value
      - .address_space:  global
        .offset:         16
        .size:           8
        .value_kind:     global_buffer
      - .address_space:  global
        .offset:         24
        .size:           8
        .value_kind:     global_buffer
      - .offset:         32
        .size:           8
        .value_kind:     by_value
      - .offset:         40
        .size:           8
        .value_kind:     by_value
      - .address_space:  global
        .offset:         48
        .size:           8
        .value_kind:     global_buffer
      - .offset:         56
        .size:           8
        .value_kind:     by_value
      - .offset:         64
        .size:           8
        .value_kind:     by_value
      - .address_space:  global
        .offset:         72
        .size:           8
        .value_kind:     global_buffer
      - .offset:         80
        .size:           8
        .value_kind:     by_value
      - .offset:         88
        .size:           8
        .value_kind:     by_value
      - .offset:         96
        .size:           4
        .value_kind:     by_value
    .group_segment_fixed_size: 16384
    .kernarg_segment_align: 8
    .kernarg_segment_size: 100
    .language:       OpenCL C
    .language_version:
      - 2
      - 0
    .max_flat_workgroup_size: 1024
    .name:           _ZL26rocblas_syr2k_her2k_kernelIlLb1ELb1ELb1ELi32EPK19rocblas_complex_numIfES3_PS1_EvbiT_T4_T5_S5_lS7_S5_lT6_S5_li
    .private_segment_fixed_size: 0
    .sgpr_count:     34
    .sgpr_spill_count: 0
    .symbol:         _ZL26rocblas_syr2k_her2k_kernelIlLb1ELb1ELb1ELi32EPK19rocblas_complex_numIfES3_PS1_EvbiT_T4_T5_S5_lS7_S5_lT6_S5_li.kd
    .uniform_work_group_size: 1
    .uses_dynamic_stack: false
    .vgpr_count:     40
    .vgpr_spill_count: 0
    .wavefront_size: 32
    .workgroup_processor_mode: 1
  - .args:
      - .offset:         0
        .size:           1
        .value_kind:     by_value
      - .offset:         4
        .size:           4
        .value_kind:     by_value
      - .offset:         8
        .size:           8
        .value_kind:     by_value
      - .offset:         16
        .size:           16
        .value_kind:     by_value
      - .address_space:  global
        .offset:         32
        .size:           8
        .value_kind:     global_buffer
      - .offset:         40
        .size:           8
        .value_kind:     by_value
      - .offset:         48
        .size:           8
        .value_kind:     by_value
      - .address_space:  global
        .offset:         56
        .size:           8
        .value_kind:     global_buffer
      - .offset:         64
        .size:           8
        .value_kind:     by_value
      - .offset:         72
        .size:           8
        .value_kind:     by_value
      - .address_space:  global
        .offset:         80
        .size:           8
        .value_kind:     global_buffer
      - .offset:         88
        .size:           8
        .value_kind:     by_value
      - .offset:         96
        .size:           8
        .value_kind:     by_value
      - .offset:         104
        .size:           4
        .value_kind:     by_value
    .group_segment_fixed_size: 32768
    .kernarg_segment_align: 8
    .kernarg_segment_size: 108
    .language:       OpenCL C
    .language_version:
      - 2
      - 0
    .max_flat_workgroup_size: 1024
    .name:           _ZL26rocblas_syr2k_her2k_kernelIlLb1ELb1ELb0ELi32E19rocblas_complex_numIdEPKS1_PS1_EvbiT_T4_T5_S5_lS7_S5_lT6_S5_li
    .private_segment_fixed_size: 0
    .sgpr_count:     38
    .sgpr_spill_count: 0
    .symbol:         _ZL26rocblas_syr2k_her2k_kernelIlLb1ELb1ELb0ELi32E19rocblas_complex_numIdEPKS1_PS1_EvbiT_T4_T5_S5_lS7_S5_lT6_S5_li.kd
    .uniform_work_group_size: 1
    .uses_dynamic_stack: false
    .vgpr_count:     62
    .vgpr_spill_count: 0
    .wavefront_size: 32
    .workgroup_processor_mode: 1
  - .args:
      - .offset:         0
        .size:           1
        .value_kind:     by_value
      - .offset:         4
        .size:           4
        .value_kind:     by_value
      - .offset:         8
        .size:           8
        .value_kind:     by_value
      - .offset:         16
        .size:           16
        .value_kind:     by_value
      - .address_space:  global
        .offset:         32
        .size:           8
        .value_kind:     global_buffer
      - .offset:         40
        .size:           8
        .value_kind:     by_value
      - .offset:         48
        .size:           8
        .value_kind:     by_value
      - .address_space:  global
        .offset:         56
        .size:           8
        .value_kind:     global_buffer
      - .offset:         64
        .size:           8
        .value_kind:     by_value
      - .offset:         72
        .size:           8
        .value_kind:     by_value
      - .address_space:  global
        .offset:         80
        .size:           8
        .value_kind:     global_buffer
      - .offset:         88
        .size:           8
        .value_kind:     by_value
      - .offset:         96
        .size:           8
        .value_kind:     by_value
      - .offset:         104
        .size:           4
        .value_kind:     by_value
    .group_segment_fixed_size: 32768
    .kernarg_segment_align: 8
    .kernarg_segment_size: 108
    .language:       OpenCL C
    .language_version:
      - 2
      - 0
    .max_flat_workgroup_size: 1024
    .name:           _ZL26rocblas_syr2k_her2k_kernelIlLb1ELb1ELb1ELi32E19rocblas_complex_numIdEPKS1_PS1_EvbiT_T4_T5_S5_lS7_S5_lT6_S5_li
    .private_segment_fixed_size: 0
    .sgpr_count:     34
    .sgpr_spill_count: 0
    .symbol:         _ZL26rocblas_syr2k_her2k_kernelIlLb1ELb1ELb1ELi32E19rocblas_complex_numIdEPKS1_PS1_EvbiT_T4_T5_S5_lS7_S5_lT6_S5_li.kd
    .uniform_work_group_size: 1
    .uses_dynamic_stack: false
    .vgpr_count:     62
    .vgpr_spill_count: 0
    .wavefront_size: 32
    .workgroup_processor_mode: 1
  - .args:
      - .offset:         0
        .size:           1
        .value_kind:     by_value
      - .offset:         4
        .size:           4
        .value_kind:     by_value
      - .offset:         8
        .size:           8
        .value_kind:     by_value
      - .address_space:  global
        .offset:         16
        .size:           8
        .value_kind:     global_buffer
      - .address_space:  global
        .offset:         24
        .size:           8
        .value_kind:     global_buffer
      - .offset:         32
        .size:           8
        .value_kind:     by_value
      - .offset:         40
        .size:           8
        .value_kind:     by_value
      - .address_space:  global
        .offset:         48
        .size:           8
        .value_kind:     global_buffer
      - .offset:         56
        .size:           8
        .value_kind:     by_value
      - .offset:         64
        .size:           8
        .value_kind:     by_value
      - .address_space:  global
        .offset:         72
        .size:           8
        .value_kind:     global_buffer
      - .offset:         80
        .size:           8
        .value_kind:     by_value
      - .offset:         88
        .size:           8
        .value_kind:     by_value
      - .offset:         96
        .size:           4
        .value_kind:     by_value
    .group_segment_fixed_size: 32768
    .kernarg_segment_align: 8
    .kernarg_segment_size: 100
    .language:       OpenCL C
    .language_version:
      - 2
      - 0
    .max_flat_workgroup_size: 1024
    .name:           _ZL26rocblas_syr2k_her2k_kernelIlLb1ELb1ELb0ELi32EPK19rocblas_complex_numIdES3_PS1_EvbiT_T4_T5_S5_lS7_S5_lT6_S5_li
    .private_segment_fixed_size: 0
    .sgpr_count:     34
    .sgpr_spill_count: 0
    .symbol:         _ZL26rocblas_syr2k_her2k_kernelIlLb1ELb1ELb0ELi32EPK19rocblas_complex_numIdES3_PS1_EvbiT_T4_T5_S5_lS7_S5_lT6_S5_li.kd
    .uniform_work_group_size: 1
    .uses_dynamic_stack: false
    .vgpr_count:     62
    .vgpr_spill_count: 0
    .wavefront_size: 32
    .workgroup_processor_mode: 1
  - .args:
      - .offset:         0
        .size:           1
        .value_kind:     by_value
      - .offset:         4
        .size:           4
        .value_kind:     by_value
      - .offset:         8
        .size:           8
        .value_kind:     by_value
      - .address_space:  global
        .offset:         16
        .size:           8
        .value_kind:     global_buffer
      - .address_space:  global
        .offset:         24
        .size:           8
        .value_kind:     global_buffer
      - .offset:         32
        .size:           8
        .value_kind:     by_value
      - .offset:         40
        .size:           8
        .value_kind:     by_value
      - .address_space:  global
        .offset:         48
        .size:           8
        .value_kind:     global_buffer
      - .offset:         56
        .size:           8
        .value_kind:     by_value
      - .offset:         64
        .size:           8
        .value_kind:     by_value
      - .address_space:  global
        .offset:         72
        .size:           8
        .value_kind:     global_buffer
      - .offset:         80
        .size:           8
        .value_kind:     by_value
      - .offset:         88
        .size:           8
        .value_kind:     by_value
      - .offset:         96
        .size:           4
        .value_kind:     by_value
    .group_segment_fixed_size: 32768
    .kernarg_segment_align: 8
    .kernarg_segment_size: 100
    .language:       OpenCL C
    .language_version:
      - 2
      - 0
    .max_flat_workgroup_size: 1024
    .name:           _ZL26rocblas_syr2k_her2k_kernelIlLb1ELb1ELb1ELi32EPK19rocblas_complex_numIdES3_PS1_EvbiT_T4_T5_S5_lS7_S5_lT6_S5_li
    .private_segment_fixed_size: 0
    .sgpr_count:     34
    .sgpr_spill_count: 0
    .symbol:         _ZL26rocblas_syr2k_her2k_kernelIlLb1ELb1ELb1ELi32EPK19rocblas_complex_numIdES3_PS1_EvbiT_T4_T5_S5_lS7_S5_lT6_S5_li.kd
    .uniform_work_group_size: 1
    .uses_dynamic_stack: false
    .vgpr_count:     62
    .vgpr_spill_count: 0
    .wavefront_size: 32
    .workgroup_processor_mode: 1
  - .args:
      - .offset:         0
        .size:           1
        .value_kind:     by_value
      - .offset:         4
        .size:           4
        .value_kind:     by_value
      - .offset:         8
        .size:           8
        .value_kind:     by_value
      - .offset:         16
        .size:           4
        .value_kind:     by_value
      - .address_space:  global
        .offset:         24
        .size:           8
        .value_kind:     global_buffer
      - .offset:         32
        .size:           8
        .value_kind:     by_value
      - .offset:         40
        .size:           8
        .value_kind:     by_value
      - .address_space:  global
        .offset:         48
        .size:           8
        .value_kind:     global_buffer
      - .offset:         56
        .size:           8
        .value_kind:     by_value
      - .offset:         64
        .size:           8
        .value_kind:     by_value
      - .address_space:  global
        .offset:         72
        .size:           8
        .value_kind:     global_buffer
      - .offset:         80
        .size:           8
        .value_kind:     by_value
      - .offset:         88
        .size:           8
        .value_kind:     by_value
      - .offset:         96
        .size:           4
        .value_kind:     by_value
    .group_segment_fixed_size: 8192
    .kernarg_segment_align: 8
    .kernarg_segment_size: 100
    .language:       OpenCL C
    .language_version:
      - 2
      - 0
    .max_flat_workgroup_size: 1024
    .name:           _ZL26rocblas_syr2k_her2k_kernelIlLb1ELb0ELb0ELi32EfPKPKfPKPfEvbiT_T4_T5_S7_lS9_S7_lT6_S7_li
    .private_segment_fixed_size: 0
    .sgpr_count:     34
    .sgpr_spill_count: 0
    .symbol:         _ZL26rocblas_syr2k_her2k_kernelIlLb1ELb0ELb0ELi32EfPKPKfPKPfEvbiT_T4_T5_S7_lS9_S7_lT6_S7_li.kd
    .uniform_work_group_size: 1
    .uses_dynamic_stack: false
    .vgpr_count:     35
    .vgpr_spill_count: 0
    .wavefront_size: 32
    .workgroup_processor_mode: 1
  - .args:
      - .offset:         0
        .size:           1
        .value_kind:     by_value
      - .offset:         4
        .size:           4
        .value_kind:     by_value
      - .offset:         8
        .size:           8
        .value_kind:     by_value
      - .offset:         16
        .size:           4
        .value_kind:     by_value
      - .address_space:  global
        .offset:         24
        .size:           8
        .value_kind:     global_buffer
      - .offset:         32
        .size:           8
        .value_kind:     by_value
      - .offset:         40
        .size:           8
        .value_kind:     by_value
      - .address_space:  global
        .offset:         48
        .size:           8
        .value_kind:     global_buffer
      - .offset:         56
        .size:           8
        .value_kind:     by_value
      - .offset:         64
        .size:           8
        .value_kind:     by_value
      - .address_space:  global
        .offset:         72
        .size:           8
        .value_kind:     global_buffer
      - .offset:         80
        .size:           8
        .value_kind:     by_value
      - .offset:         88
        .size:           8
        .value_kind:     by_value
      - .offset:         96
        .size:           4
        .value_kind:     by_value
    .group_segment_fixed_size: 8192
    .kernarg_segment_align: 8
    .kernarg_segment_size: 100
    .language:       OpenCL C
    .language_version:
      - 2
      - 0
    .max_flat_workgroup_size: 1024
    .name:           _ZL26rocblas_syr2k_her2k_kernelIlLb1ELb0ELb1ELi32EfPKPKfPKPfEvbiT_T4_T5_S7_lS9_S7_lT6_S7_li
    .private_segment_fixed_size: 0
    .sgpr_count:     32
    .sgpr_spill_count: 0
    .symbol:         _ZL26rocblas_syr2k_her2k_kernelIlLb1ELb0ELb1ELi32EfPKPKfPKPfEvbiT_T4_T5_S7_lS9_S7_lT6_S7_li.kd
    .uniform_work_group_size: 1
    .uses_dynamic_stack: false
    .vgpr_count:     35
    .vgpr_spill_count: 0
    .wavefront_size: 32
    .workgroup_processor_mode: 1
  - .args:
      - .offset:         0
        .size:           1
        .value_kind:     by_value
      - .offset:         4
        .size:           4
        .value_kind:     by_value
      - .offset:         8
        .size:           8
        .value_kind:     by_value
      - .address_space:  global
        .offset:         16
        .size:           8
        .value_kind:     global_buffer
      - .address_space:  global
        .offset:         24
        .size:           8
        .value_kind:     global_buffer
      - .offset:         32
        .size:           8
        .value_kind:     by_value
      - .offset:         40
        .size:           8
        .value_kind:     by_value
      - .address_space:  global
        .offset:         48
        .size:           8
        .value_kind:     global_buffer
      - .offset:         56
        .size:           8
        .value_kind:     by_value
      - .offset:         64
        .size:           8
        .value_kind:     by_value
      - .address_space:  global
        .offset:         72
        .size:           8
        .value_kind:     global_buffer
      - .offset:         80
        .size:           8
        .value_kind:     by_value
      - .offset:         88
        .size:           8
        .value_kind:     by_value
      - .offset:         96
        .size:           4
        .value_kind:     by_value
    .group_segment_fixed_size: 8192
    .kernarg_segment_align: 8
    .kernarg_segment_size: 100
    .language:       OpenCL C
    .language_version:
      - 2
      - 0
    .max_flat_workgroup_size: 1024
    .name:           _ZL26rocblas_syr2k_her2k_kernelIlLb1ELb0ELb0ELi32EPKfPKS1_PKPfEvbiT_T4_T5_S7_lS9_S7_lT6_S7_li
    .private_segment_fixed_size: 0
    .sgpr_count:     34
    .sgpr_spill_count: 0
    .symbol:         _ZL26rocblas_syr2k_her2k_kernelIlLb1ELb0ELb0ELi32EPKfPKS1_PKPfEvbiT_T4_T5_S7_lS9_S7_lT6_S7_li.kd
    .uniform_work_group_size: 1
    .uses_dynamic_stack: false
    .vgpr_count:     35
    .vgpr_spill_count: 0
    .wavefront_size: 32
    .workgroup_processor_mode: 1
  - .args:
      - .offset:         0
        .size:           1
        .value_kind:     by_value
      - .offset:         4
        .size:           4
        .value_kind:     by_value
      - .offset:         8
        .size:           8
        .value_kind:     by_value
      - .address_space:  global
        .offset:         16
        .size:           8
        .value_kind:     global_buffer
      - .address_space:  global
        .offset:         24
        .size:           8
        .value_kind:     global_buffer
      - .offset:         32
        .size:           8
        .value_kind:     by_value
      - .offset:         40
        .size:           8
        .value_kind:     by_value
      - .address_space:  global
        .offset:         48
        .size:           8
        .value_kind:     global_buffer
      - .offset:         56
        .size:           8
        .value_kind:     by_value
      - .offset:         64
        .size:           8
        .value_kind:     by_value
      - .address_space:  global
        .offset:         72
        .size:           8
        .value_kind:     global_buffer
      - .offset:         80
        .size:           8
        .value_kind:     by_value
      - .offset:         88
        .size:           8
        .value_kind:     by_value
      - .offset:         96
        .size:           4
        .value_kind:     by_value
    .group_segment_fixed_size: 8192
    .kernarg_segment_align: 8
    .kernarg_segment_size: 100
    .language:       OpenCL C
    .language_version:
      - 2
      - 0
    .max_flat_workgroup_size: 1024
    .name:           _ZL26rocblas_syr2k_her2k_kernelIlLb1ELb0ELb1ELi32EPKfPKS1_PKPfEvbiT_T4_T5_S7_lS9_S7_lT6_S7_li
    .private_segment_fixed_size: 0
    .sgpr_count:     34
    .sgpr_spill_count: 0
    .symbol:         _ZL26rocblas_syr2k_her2k_kernelIlLb1ELb0ELb1ELi32EPKfPKS1_PKPfEvbiT_T4_T5_S7_lS9_S7_lT6_S7_li.kd
    .uniform_work_group_size: 1
    .uses_dynamic_stack: false
    .vgpr_count:     35
    .vgpr_spill_count: 0
    .wavefront_size: 32
    .workgroup_processor_mode: 1
  - .args:
      - .offset:         0
        .size:           1
        .value_kind:     by_value
      - .offset:         4
        .size:           4
        .value_kind:     by_value
      - .offset:         8
        .size:           8
        .value_kind:     by_value
      - .offset:         16
        .size:           8
        .value_kind:     by_value
      - .address_space:  global
        .offset:         24
        .size:           8
        .value_kind:     global_buffer
      - .offset:         32
        .size:           8
        .value_kind:     by_value
      - .offset:         40
        .size:           8
        .value_kind:     by_value
      - .address_space:  global
        .offset:         48
        .size:           8
        .value_kind:     global_buffer
      - .offset:         56
        .size:           8
        .value_kind:     by_value
      - .offset:         64
        .size:           8
        .value_kind:     by_value
      - .address_space:  global
        .offset:         72
        .size:           8
        .value_kind:     global_buffer
      - .offset:         80
        .size:           8
        .value_kind:     by_value
      - .offset:         88
        .size:           8
        .value_kind:     by_value
      - .offset:         96
        .size:           4
        .value_kind:     by_value
    .group_segment_fixed_size: 16384
    .kernarg_segment_align: 8
    .kernarg_segment_size: 100
    .language:       OpenCL C
    .language_version:
      - 2
      - 0
    .max_flat_workgroup_size: 1024
    .name:           _ZL26rocblas_syr2k_her2k_kernelIlLb1ELb0ELb0ELi32EdPKPKdPKPdEvbiT_T4_T5_S7_lS9_S7_lT6_S7_li
    .private_segment_fixed_size: 0
    .sgpr_count:     34
    .sgpr_spill_count: 0
    .symbol:         _ZL26rocblas_syr2k_her2k_kernelIlLb1ELb0ELb0ELi32EdPKPKdPKPdEvbiT_T4_T5_S7_lS9_S7_lT6_S7_li.kd
    .uniform_work_group_size: 1
    .uses_dynamic_stack: false
    .vgpr_count:     35
    .vgpr_spill_count: 0
    .wavefront_size: 32
    .workgroup_processor_mode: 1
  - .args:
      - .offset:         0
        .size:           1
        .value_kind:     by_value
      - .offset:         4
        .size:           4
        .value_kind:     by_value
      - .offset:         8
        .size:           8
        .value_kind:     by_value
      - .offset:         16
        .size:           8
        .value_kind:     by_value
      - .address_space:  global
        .offset:         24
        .size:           8
        .value_kind:     global_buffer
      - .offset:         32
        .size:           8
        .value_kind:     by_value
      - .offset:         40
        .size:           8
        .value_kind:     by_value
      - .address_space:  global
        .offset:         48
        .size:           8
        .value_kind:     global_buffer
      - .offset:         56
        .size:           8
        .value_kind:     by_value
      - .offset:         64
        .size:           8
        .value_kind:     by_value
      - .address_space:  global
        .offset:         72
        .size:           8
        .value_kind:     global_buffer
      - .offset:         80
        .size:           8
        .value_kind:     by_value
      - .offset:         88
        .size:           8
        .value_kind:     by_value
      - .offset:         96
        .size:           4
        .value_kind:     by_value
    .group_segment_fixed_size: 16384
    .kernarg_segment_align: 8
    .kernarg_segment_size: 100
    .language:       OpenCL C
    .language_version:
      - 2
      - 0
    .max_flat_workgroup_size: 1024
    .name:           _ZL26rocblas_syr2k_her2k_kernelIlLb1ELb0ELb1ELi32EdPKPKdPKPdEvbiT_T4_T5_S7_lS9_S7_lT6_S7_li
    .private_segment_fixed_size: 0
    .sgpr_count:     34
    .sgpr_spill_count: 0
    .symbol:         _ZL26rocblas_syr2k_her2k_kernelIlLb1ELb0ELb1ELi32EdPKPKdPKPdEvbiT_T4_T5_S7_lS9_S7_lT6_S7_li.kd
    .uniform_work_group_size: 1
    .uses_dynamic_stack: false
    .vgpr_count:     35
    .vgpr_spill_count: 0
    .wavefront_size: 32
    .workgroup_processor_mode: 1
  - .args:
      - .offset:         0
        .size:           1
        .value_kind:     by_value
      - .offset:         4
        .size:           4
        .value_kind:     by_value
      - .offset:         8
        .size:           8
        .value_kind:     by_value
      - .address_space:  global
        .offset:         16
        .size:           8
        .value_kind:     global_buffer
      - .address_space:  global
        .offset:         24
        .size:           8
        .value_kind:     global_buffer
      - .offset:         32
        .size:           8
        .value_kind:     by_value
      - .offset:         40
        .size:           8
        .value_kind:     by_value
      - .address_space:  global
        .offset:         48
        .size:           8
        .value_kind:     global_buffer
      - .offset:         56
        .size:           8
        .value_kind:     by_value
      - .offset:         64
        .size:           8
        .value_kind:     by_value
      - .address_space:  global
        .offset:         72
        .size:           8
        .value_kind:     global_buffer
      - .offset:         80
        .size:           8
        .value_kind:     by_value
      - .offset:         88
        .size:           8
        .value_kind:     by_value
      - .offset:         96
        .size:           4
        .value_kind:     by_value
    .group_segment_fixed_size: 16384
    .kernarg_segment_align: 8
    .kernarg_segment_size: 100
    .language:       OpenCL C
    .language_version:
      - 2
      - 0
    .max_flat_workgroup_size: 1024
    .name:           _ZL26rocblas_syr2k_her2k_kernelIlLb1ELb0ELb0ELi32EPKdPKS1_PKPdEvbiT_T4_T5_S7_lS9_S7_lT6_S7_li
    .private_segment_fixed_size: 0
    .sgpr_count:     34
    .sgpr_spill_count: 0
    .symbol:         _ZL26rocblas_syr2k_her2k_kernelIlLb1ELb0ELb0ELi32EPKdPKS1_PKPdEvbiT_T4_T5_S7_lS9_S7_lT6_S7_li.kd
    .uniform_work_group_size: 1
    .uses_dynamic_stack: false
    .vgpr_count:     35
    .vgpr_spill_count: 0
    .wavefront_size: 32
    .workgroup_processor_mode: 1
  - .args:
      - .offset:         0
        .size:           1
        .value_kind:     by_value
      - .offset:         4
        .size:           4
        .value_kind:     by_value
      - .offset:         8
        .size:           8
        .value_kind:     by_value
      - .address_space:  global
        .offset:         16
        .size:           8
        .value_kind:     global_buffer
      - .address_space:  global
        .offset:         24
        .size:           8
        .value_kind:     global_buffer
      - .offset:         32
        .size:           8
        .value_kind:     by_value
      - .offset:         40
        .size:           8
        .value_kind:     by_value
      - .address_space:  global
        .offset:         48
        .size:           8
        .value_kind:     global_buffer
      - .offset:         56
        .size:           8
        .value_kind:     by_value
      - .offset:         64
        .size:           8
        .value_kind:     by_value
      - .address_space:  global
        .offset:         72
        .size:           8
        .value_kind:     global_buffer
      - .offset:         80
        .size:           8
        .value_kind:     by_value
      - .offset:         88
        .size:           8
        .value_kind:     by_value
      - .offset:         96
        .size:           4
        .value_kind:     by_value
    .group_segment_fixed_size: 16384
    .kernarg_segment_align: 8
    .kernarg_segment_size: 100
    .language:       OpenCL C
    .language_version:
      - 2
      - 0
    .max_flat_workgroup_size: 1024
    .name:           _ZL26rocblas_syr2k_her2k_kernelIlLb1ELb0ELb1ELi32EPKdPKS1_PKPdEvbiT_T4_T5_S7_lS9_S7_lT6_S7_li
    .private_segment_fixed_size: 0
    .sgpr_count:     34
    .sgpr_spill_count: 0
    .symbol:         _ZL26rocblas_syr2k_her2k_kernelIlLb1ELb0ELb1ELi32EPKdPKS1_PKPdEvbiT_T4_T5_S7_lS9_S7_lT6_S7_li.kd
    .uniform_work_group_size: 1
    .uses_dynamic_stack: false
    .vgpr_count:     35
    .vgpr_spill_count: 0
    .wavefront_size: 32
    .workgroup_processor_mode: 1
  - .args:
      - .offset:         0
        .size:           1
        .value_kind:     by_value
      - .offset:         4
        .size:           4
        .value_kind:     by_value
      - .offset:         8
        .size:           8
        .value_kind:     by_value
      - .offset:         16
        .size:           8
        .value_kind:     by_value
      - .address_space:  global
        .offset:         24
        .size:           8
        .value_kind:     global_buffer
      - .offset:         32
        .size:           8
        .value_kind:     by_value
      - .offset:         40
        .size:           8
        .value_kind:     by_value
      - .address_space:  global
        .offset:         48
        .size:           8
        .value_kind:     global_buffer
      - .offset:         56
        .size:           8
        .value_kind:     by_value
      - .offset:         64
        .size:           8
        .value_kind:     by_value
      - .address_space:  global
        .offset:         72
        .size:           8
        .value_kind:     global_buffer
      - .offset:         80
        .size:           8
        .value_kind:     by_value
      - .offset:         88
        .size:           8
        .value_kind:     by_value
      - .offset:         96
        .size:           4
        .value_kind:     by_value
    .group_segment_fixed_size: 16384
    .kernarg_segment_align: 8
    .kernarg_segment_size: 100
    .language:       OpenCL C
    .language_version:
      - 2
      - 0
    .max_flat_workgroup_size: 1024
    .name:           _ZL26rocblas_syr2k_her2k_kernelIlLb1ELb0ELb0ELi32E19rocblas_complex_numIfEPKPKS1_PKPS1_EvbiT_T4_T5_S9_lSB_S9_lT6_S9_li
    .private_segment_fixed_size: 0
    .sgpr_count:     34
    .sgpr_spill_count: 0
    .symbol:         _ZL26rocblas_syr2k_her2k_kernelIlLb1ELb0ELb0ELi32E19rocblas_complex_numIfEPKPKS1_PKPS1_EvbiT_T4_T5_S9_lSB_S9_lT6_S9_li.kd
    .uniform_work_group_size: 1
    .uses_dynamic_stack: false
    .vgpr_count:     163
    .vgpr_spill_count: 0
    .wavefront_size: 32
    .workgroup_processor_mode: 1
  - .args:
      - .offset:         0
        .size:           1
        .value_kind:     by_value
      - .offset:         4
        .size:           4
        .value_kind:     by_value
      - .offset:         8
        .size:           8
        .value_kind:     by_value
      - .offset:         16
        .size:           8
        .value_kind:     by_value
      - .address_space:  global
        .offset:         24
        .size:           8
        .value_kind:     global_buffer
      - .offset:         32
        .size:           8
        .value_kind:     by_value
      - .offset:         40
        .size:           8
        .value_kind:     by_value
      - .address_space:  global
        .offset:         48
        .size:           8
        .value_kind:     global_buffer
      - .offset:         56
        .size:           8
        .value_kind:     by_value
      - .offset:         64
        .size:           8
        .value_kind:     by_value
      - .address_space:  global
        .offset:         72
        .size:           8
        .value_kind:     global_buffer
      - .offset:         80
        .size:           8
        .value_kind:     by_value
      - .offset:         88
        .size:           8
        .value_kind:     by_value
      - .offset:         96
        .size:           4
        .value_kind:     by_value
    .group_segment_fixed_size: 16384
    .kernarg_segment_align: 8
    .kernarg_segment_size: 100
    .language:       OpenCL C
    .language_version:
      - 2
      - 0
    .max_flat_workgroup_size: 1024
    .name:           _ZL26rocblas_syr2k_her2k_kernelIlLb1ELb0ELb1ELi32E19rocblas_complex_numIfEPKPKS1_PKPS1_EvbiT_T4_T5_S9_lSB_S9_lT6_S9_li
    .private_segment_fixed_size: 0
    .sgpr_count:     32
    .sgpr_spill_count: 0
    .symbol:         _ZL26rocblas_syr2k_her2k_kernelIlLb1ELb0ELb1ELi32E19rocblas_complex_numIfEPKPKS1_PKPS1_EvbiT_T4_T5_S9_lSB_S9_lT6_S9_li.kd
    .uniform_work_group_size: 1
    .uses_dynamic_stack: false
    .vgpr_count:     163
    .vgpr_spill_count: 0
    .wavefront_size: 32
    .workgroup_processor_mode: 1
  - .args:
      - .offset:         0
        .size:           1
        .value_kind:     by_value
      - .offset:         4
        .size:           4
        .value_kind:     by_value
      - .offset:         8
        .size:           8
        .value_kind:     by_value
      - .address_space:  global
        .offset:         16
        .size:           8
        .value_kind:     global_buffer
      - .address_space:  global
        .offset:         24
        .size:           8
        .value_kind:     global_buffer
      - .offset:         32
        .size:           8
        .value_kind:     by_value
      - .offset:         40
        .size:           8
        .value_kind:     by_value
      - .address_space:  global
        .offset:         48
        .size:           8
        .value_kind:     global_buffer
      - .offset:         56
        .size:           8
        .value_kind:     by_value
      - .offset:         64
        .size:           8
        .value_kind:     by_value
      - .address_space:  global
        .offset:         72
        .size:           8
        .value_kind:     global_buffer
      - .offset:         80
        .size:           8
        .value_kind:     by_value
      - .offset:         88
        .size:           8
        .value_kind:     by_value
      - .offset:         96
        .size:           4
        .value_kind:     by_value
    .group_segment_fixed_size: 16384
    .kernarg_segment_align: 8
    .kernarg_segment_size: 100
    .language:       OpenCL C
    .language_version:
      - 2
      - 0
    .max_flat_workgroup_size: 1024
    .name:           _ZL26rocblas_syr2k_her2k_kernelIlLb1ELb0ELb0ELi32EPK19rocblas_complex_numIfEPKS3_PKPS1_EvbiT_T4_T5_S9_lSB_S9_lT6_S9_li
    .private_segment_fixed_size: 0
    .sgpr_count:     34
    .sgpr_spill_count: 0
    .symbol:         _ZL26rocblas_syr2k_her2k_kernelIlLb1ELb0ELb0ELi32EPK19rocblas_complex_numIfEPKS3_PKPS1_EvbiT_T4_T5_S9_lSB_S9_lT6_S9_li.kd
    .uniform_work_group_size: 1
    .uses_dynamic_stack: false
    .vgpr_count:     163
    .vgpr_spill_count: 0
    .wavefront_size: 32
    .workgroup_processor_mode: 1
  - .args:
      - .offset:         0
        .size:           1
        .value_kind:     by_value
      - .offset:         4
        .size:           4
        .value_kind:     by_value
      - .offset:         8
        .size:           8
        .value_kind:     by_value
      - .address_space:  global
        .offset:         16
        .size:           8
        .value_kind:     global_buffer
      - .address_space:  global
        .offset:         24
        .size:           8
        .value_kind:     global_buffer
      - .offset:         32
        .size:           8
        .value_kind:     by_value
      - .offset:         40
        .size:           8
        .value_kind:     by_value
      - .address_space:  global
        .offset:         48
        .size:           8
        .value_kind:     global_buffer
      - .offset:         56
        .size:           8
        .value_kind:     by_value
      - .offset:         64
        .size:           8
        .value_kind:     by_value
      - .address_space:  global
        .offset:         72
        .size:           8
        .value_kind:     global_buffer
      - .offset:         80
        .size:           8
        .value_kind:     by_value
      - .offset:         88
        .size:           8
        .value_kind:     by_value
      - .offset:         96
        .size:           4
        .value_kind:     by_value
    .group_segment_fixed_size: 16384
    .kernarg_segment_align: 8
    .kernarg_segment_size: 100
    .language:       OpenCL C
    .language_version:
      - 2
      - 0
    .max_flat_workgroup_size: 1024
    .name:           _ZL26rocblas_syr2k_her2k_kernelIlLb1ELb0ELb1ELi32EPK19rocblas_complex_numIfEPKS3_PKPS1_EvbiT_T4_T5_S9_lSB_S9_lT6_S9_li
    .private_segment_fixed_size: 0
    .sgpr_count:     34
    .sgpr_spill_count: 0
    .symbol:         _ZL26rocblas_syr2k_her2k_kernelIlLb1ELb0ELb1ELi32EPK19rocblas_complex_numIfEPKS3_PKPS1_EvbiT_T4_T5_S9_lSB_S9_lT6_S9_li.kd
    .uniform_work_group_size: 1
    .uses_dynamic_stack: false
    .vgpr_count:     163
    .vgpr_spill_count: 0
    .wavefront_size: 32
    .workgroup_processor_mode: 1
  - .args:
      - .offset:         0
        .size:           1
        .value_kind:     by_value
      - .offset:         4
        .size:           4
        .value_kind:     by_value
      - .offset:         8
        .size:           8
        .value_kind:     by_value
      - .offset:         16
        .size:           16
        .value_kind:     by_value
      - .address_space:  global
        .offset:         32
        .size:           8
        .value_kind:     global_buffer
      - .offset:         40
        .size:           8
        .value_kind:     by_value
      - .offset:         48
        .size:           8
        .value_kind:     by_value
      - .address_space:  global
        .offset:         56
        .size:           8
        .value_kind:     global_buffer
      - .offset:         64
        .size:           8
        .value_kind:     by_value
      - .offset:         72
        .size:           8
        .value_kind:     by_value
      - .address_space:  global
        .offset:         80
        .size:           8
        .value_kind:     global_buffer
      - .offset:         88
        .size:           8
        .value_kind:     by_value
      - .offset:         96
        .size:           8
        .value_kind:     by_value
      - .offset:         104
        .size:           4
        .value_kind:     by_value
    .group_segment_fixed_size: 32768
    .kernarg_segment_align: 8
    .kernarg_segment_size: 108
    .language:       OpenCL C
    .language_version:
      - 2
      - 0
    .max_flat_workgroup_size: 1024
    .name:           _ZL26rocblas_syr2k_her2k_kernelIlLb1ELb0ELb0ELi32E19rocblas_complex_numIdEPKPKS1_PKPS1_EvbiT_T4_T5_S9_lSB_S9_lT6_S9_li
    .private_segment_fixed_size: 0
    .sgpr_count:     38
    .sgpr_spill_count: 0
    .symbol:         _ZL26rocblas_syr2k_her2k_kernelIlLb1ELb0ELb0ELi32E19rocblas_complex_numIdEPKPKS1_PKPS1_EvbiT_T4_T5_S9_lSB_S9_lT6_S9_li.kd
    .uniform_work_group_size: 1
    .uses_dynamic_stack: false
    .vgpr_count:     62
    .vgpr_spill_count: 0
    .wavefront_size: 32
    .workgroup_processor_mode: 1
  - .args:
      - .offset:         0
        .size:           1
        .value_kind:     by_value
      - .offset:         4
        .size:           4
        .value_kind:     by_value
      - .offset:         8
        .size:           8
        .value_kind:     by_value
      - .offset:         16
        .size:           16
        .value_kind:     by_value
      - .address_space:  global
        .offset:         32
        .size:           8
        .value_kind:     global_buffer
      - .offset:         40
        .size:           8
        .value_kind:     by_value
      - .offset:         48
        .size:           8
        .value_kind:     by_value
      - .address_space:  global
        .offset:         56
        .size:           8
        .value_kind:     global_buffer
      - .offset:         64
        .size:           8
        .value_kind:     by_value
      - .offset:         72
        .size:           8
        .value_kind:     by_value
      - .address_space:  global
        .offset:         80
        .size:           8
        .value_kind:     global_buffer
      - .offset:         88
        .size:           8
        .value_kind:     by_value
      - .offset:         96
        .size:           8
        .value_kind:     by_value
      - .offset:         104
        .size:           4
        .value_kind:     by_value
    .group_segment_fixed_size: 32768
    .kernarg_segment_align: 8
    .kernarg_segment_size: 108
    .language:       OpenCL C
    .language_version:
      - 2
      - 0
    .max_flat_workgroup_size: 1024
    .name:           _ZL26rocblas_syr2k_her2k_kernelIlLb1ELb0ELb1ELi32E19rocblas_complex_numIdEPKPKS1_PKPS1_EvbiT_T4_T5_S9_lSB_S9_lT6_S9_li
    .private_segment_fixed_size: 0
    .sgpr_count:     38
    .sgpr_spill_count: 0
    .symbol:         _ZL26rocblas_syr2k_her2k_kernelIlLb1ELb0ELb1ELi32E19rocblas_complex_numIdEPKPKS1_PKPS1_EvbiT_T4_T5_S9_lSB_S9_lT6_S9_li.kd
    .uniform_work_group_size: 1
    .uses_dynamic_stack: false
    .vgpr_count:     62
    .vgpr_spill_count: 0
    .wavefront_size: 32
    .workgroup_processor_mode: 1
  - .args:
      - .offset:         0
        .size:           1
        .value_kind:     by_value
      - .offset:         4
        .size:           4
        .value_kind:     by_value
      - .offset:         8
        .size:           8
        .value_kind:     by_value
      - .address_space:  global
        .offset:         16
        .size:           8
        .value_kind:     global_buffer
      - .address_space:  global
        .offset:         24
        .size:           8
        .value_kind:     global_buffer
      - .offset:         32
        .size:           8
        .value_kind:     by_value
      - .offset:         40
        .size:           8
        .value_kind:     by_value
      - .address_space:  global
        .offset:         48
        .size:           8
        .value_kind:     global_buffer
      - .offset:         56
        .size:           8
        .value_kind:     by_value
      - .offset:         64
        .size:           8
        .value_kind:     by_value
      - .address_space:  global
        .offset:         72
        .size:           8
        .value_kind:     global_buffer
      - .offset:         80
        .size:           8
        .value_kind:     by_value
      - .offset:         88
        .size:           8
        .value_kind:     by_value
      - .offset:         96
        .size:           4
        .value_kind:     by_value
    .group_segment_fixed_size: 32768
    .kernarg_segment_align: 8
    .kernarg_segment_size: 100
    .language:       OpenCL C
    .language_version:
      - 2
      - 0
    .max_flat_workgroup_size: 1024
    .name:           _ZL26rocblas_syr2k_her2k_kernelIlLb1ELb0ELb0ELi32EPK19rocblas_complex_numIdEPKS3_PKPS1_EvbiT_T4_T5_S9_lSB_S9_lT6_S9_li
    .private_segment_fixed_size: 0
    .sgpr_count:     34
    .sgpr_spill_count: 0
    .symbol:         _ZL26rocblas_syr2k_her2k_kernelIlLb1ELb0ELb0ELi32EPK19rocblas_complex_numIdEPKS3_PKPS1_EvbiT_T4_T5_S9_lSB_S9_lT6_S9_li.kd
    .uniform_work_group_size: 1
    .uses_dynamic_stack: false
    .vgpr_count:     62
    .vgpr_spill_count: 0
    .wavefront_size: 32
    .workgroup_processor_mode: 1
  - .args:
      - .offset:         0
        .size:           1
        .value_kind:     by_value
      - .offset:         4
        .size:           4
        .value_kind:     by_value
      - .offset:         8
        .size:           8
        .value_kind:     by_value
      - .address_space:  global
        .offset:         16
        .size:           8
        .value_kind:     global_buffer
      - .address_space:  global
        .offset:         24
        .size:           8
        .value_kind:     global_buffer
      - .offset:         32
        .size:           8
        .value_kind:     by_value
      - .offset:         40
        .size:           8
        .value_kind:     by_value
      - .address_space:  global
        .offset:         48
        .size:           8
        .value_kind:     global_buffer
      - .offset:         56
        .size:           8
        .value_kind:     by_value
      - .offset:         64
        .size:           8
        .value_kind:     by_value
      - .address_space:  global
        .offset:         72
        .size:           8
        .value_kind:     global_buffer
      - .offset:         80
        .size:           8
        .value_kind:     by_value
      - .offset:         88
        .size:           8
        .value_kind:     by_value
      - .offset:         96
        .size:           4
        .value_kind:     by_value
    .group_segment_fixed_size: 32768
    .kernarg_segment_align: 8
    .kernarg_segment_size: 100
    .language:       OpenCL C
    .language_version:
      - 2
      - 0
    .max_flat_workgroup_size: 1024
    .name:           _ZL26rocblas_syr2k_her2k_kernelIlLb1ELb0ELb1ELi32EPK19rocblas_complex_numIdEPKS3_PKPS1_EvbiT_T4_T5_S9_lSB_S9_lT6_S9_li
    .private_segment_fixed_size: 0
    .sgpr_count:     38
    .sgpr_spill_count: 0
    .symbol:         _ZL26rocblas_syr2k_her2k_kernelIlLb1ELb0ELb1ELi32EPK19rocblas_complex_numIdEPKS3_PKPS1_EvbiT_T4_T5_S9_lSB_S9_lT6_S9_li.kd
    .uniform_work_group_size: 1
    .uses_dynamic_stack: false
    .vgpr_count:     62
    .vgpr_spill_count: 0
    .wavefront_size: 32
    .workgroup_processor_mode: 1
  - .args:
      - .offset:         0
        .size:           1
        .value_kind:     by_value
      - .offset:         4
        .size:           4
        .value_kind:     by_value
      - .offset:         8
        .size:           8
        .value_kind:     by_value
      - .offset:         16
        .size:           8
        .value_kind:     by_value
      - .address_space:  global
        .offset:         24
        .size:           8
        .value_kind:     global_buffer
      - .offset:         32
        .size:           8
        .value_kind:     by_value
      - .offset:         40
        .size:           8
        .value_kind:     by_value
      - .address_space:  global
        .offset:         48
        .size:           8
        .value_kind:     global_buffer
      - .offset:         56
        .size:           8
        .value_kind:     by_value
      - .offset:         64
        .size:           8
        .value_kind:     by_value
      - .address_space:  global
        .offset:         72
        .size:           8
        .value_kind:     global_buffer
      - .offset:         80
        .size:           8
        .value_kind:     by_value
      - .offset:         88
        .size:           8
        .value_kind:     by_value
      - .offset:         96
        .size:           4
        .value_kind:     by_value
    .group_segment_fixed_size: 16384
    .kernarg_segment_align: 8
    .kernarg_segment_size: 100
    .language:       OpenCL C
    .language_version:
      - 2
      - 0
    .max_flat_workgroup_size: 1024
    .name:           _ZL26rocblas_syr2k_her2k_kernelIlLb1ELb1ELb0ELi32E19rocblas_complex_numIfEPKPKS1_PKPS1_EvbiT_T4_T5_S9_lSB_S9_lT6_S9_li
    .private_segment_fixed_size: 0
    .sgpr_count:     34
    .sgpr_spill_count: 0
    .symbol:         _ZL26rocblas_syr2k_her2k_kernelIlLb1ELb1ELb0ELi32E19rocblas_complex_numIfEPKPKS1_PKPS1_EvbiT_T4_T5_S9_lSB_S9_lT6_S9_li.kd
    .uniform_work_group_size: 1
    .uses_dynamic_stack: false
    .vgpr_count:     163
    .vgpr_spill_count: 0
    .wavefront_size: 32
    .workgroup_processor_mode: 1
  - .args:
      - .offset:         0
        .size:           1
        .value_kind:     by_value
      - .offset:         4
        .size:           4
        .value_kind:     by_value
      - .offset:         8
        .size:           8
        .value_kind:     by_value
      - .offset:         16
        .size:           8
        .value_kind:     by_value
      - .address_space:  global
        .offset:         24
        .size:           8
        .value_kind:     global_buffer
      - .offset:         32
        .size:           8
        .value_kind:     by_value
      - .offset:         40
        .size:           8
        .value_kind:     by_value
      - .address_space:  global
        .offset:         48
        .size:           8
        .value_kind:     global_buffer
      - .offset:         56
        .size:           8
        .value_kind:     by_value
      - .offset:         64
        .size:           8
        .value_kind:     by_value
      - .address_space:  global
        .offset:         72
        .size:           8
        .value_kind:     global_buffer
      - .offset:         80
        .size:           8
        .value_kind:     by_value
      - .offset:         88
        .size:           8
        .value_kind:     by_value
      - .offset:         96
        .size:           4
        .value_kind:     by_value
    .group_segment_fixed_size: 16384
    .kernarg_segment_align: 8
    .kernarg_segment_size: 100
    .language:       OpenCL C
    .language_version:
      - 2
      - 0
    .max_flat_workgroup_size: 1024
    .name:           _ZL26rocblas_syr2k_her2k_kernelIlLb1ELb1ELb1ELi32E19rocblas_complex_numIfEPKPKS1_PKPS1_EvbiT_T4_T5_S9_lSB_S9_lT6_S9_li
    .private_segment_fixed_size: 0
    .sgpr_count:     32
    .sgpr_spill_count: 0
    .symbol:         _ZL26rocblas_syr2k_her2k_kernelIlLb1ELb1ELb1ELi32E19rocblas_complex_numIfEPKPKS1_PKPS1_EvbiT_T4_T5_S9_lSB_S9_lT6_S9_li.kd
    .uniform_work_group_size: 1
    .uses_dynamic_stack: false
    .vgpr_count:     163
    .vgpr_spill_count: 0
    .wavefront_size: 32
    .workgroup_processor_mode: 1
  - .args:
      - .offset:         0
        .size:           1
        .value_kind:     by_value
      - .offset:         4
        .size:           4
        .value_kind:     by_value
      - .offset:         8
        .size:           8
        .value_kind:     by_value
      - .address_space:  global
        .offset:         16
        .size:           8
        .value_kind:     global_buffer
      - .address_space:  global
        .offset:         24
        .size:           8
        .value_kind:     global_buffer
      - .offset:         32
        .size:           8
        .value_kind:     by_value
      - .offset:         40
        .size:           8
        .value_kind:     by_value
      - .address_space:  global
        .offset:         48
        .size:           8
        .value_kind:     global_buffer
      - .offset:         56
        .size:           8
        .value_kind:     by_value
      - .offset:         64
        .size:           8
        .value_kind:     by_value
      - .address_space:  global
        .offset:         72
        .size:           8
        .value_kind:     global_buffer
      - .offset:         80
        .size:           8
        .value_kind:     by_value
      - .offset:         88
        .size:           8
        .value_kind:     by_value
      - .offset:         96
        .size:           4
        .value_kind:     by_value
    .group_segment_fixed_size: 16384
    .kernarg_segment_align: 8
    .kernarg_segment_size: 100
    .language:       OpenCL C
    .language_version:
      - 2
      - 0
    .max_flat_workgroup_size: 1024
    .name:           _ZL26rocblas_syr2k_her2k_kernelIlLb1ELb1ELb0ELi32EPK19rocblas_complex_numIfEPKS3_PKPS1_EvbiT_T4_T5_S9_lSB_S9_lT6_S9_li
    .private_segment_fixed_size: 0
    .sgpr_count:     34
    .sgpr_spill_count: 0
    .symbol:         _ZL26rocblas_syr2k_her2k_kernelIlLb1ELb1ELb0ELi32EPK19rocblas_complex_numIfEPKS3_PKPS1_EvbiT_T4_T5_S9_lSB_S9_lT6_S9_li.kd
    .uniform_work_group_size: 1
    .uses_dynamic_stack: false
    .vgpr_count:     163
    .vgpr_spill_count: 0
    .wavefront_size: 32
    .workgroup_processor_mode: 1
  - .args:
      - .offset:         0
        .size:           1
        .value_kind:     by_value
      - .offset:         4
        .size:           4
        .value_kind:     by_value
      - .offset:         8
        .size:           8
        .value_kind:     by_value
      - .address_space:  global
        .offset:         16
        .size:           8
        .value_kind:     global_buffer
      - .address_space:  global
        .offset:         24
        .size:           8
        .value_kind:     global_buffer
      - .offset:         32
        .size:           8
        .value_kind:     by_value
      - .offset:         40
        .size:           8
        .value_kind:     by_value
      - .address_space:  global
        .offset:         48
        .size:           8
        .value_kind:     global_buffer
      - .offset:         56
        .size:           8
        .value_kind:     by_value
      - .offset:         64
        .size:           8
        .value_kind:     by_value
      - .address_space:  global
        .offset:         72
        .size:           8
        .value_kind:     global_buffer
      - .offset:         80
        .size:           8
        .value_kind:     by_value
      - .offset:         88
        .size:           8
        .value_kind:     by_value
      - .offset:         96
        .size:           4
        .value_kind:     by_value
    .group_segment_fixed_size: 16384
    .kernarg_segment_align: 8
    .kernarg_segment_size: 100
    .language:       OpenCL C
    .language_version:
      - 2
      - 0
    .max_flat_workgroup_size: 1024
    .name:           _ZL26rocblas_syr2k_her2k_kernelIlLb1ELb1ELb1ELi32EPK19rocblas_complex_numIfEPKS3_PKPS1_EvbiT_T4_T5_S9_lSB_S9_lT6_S9_li
    .private_segment_fixed_size: 0
    .sgpr_count:     34
    .sgpr_spill_count: 0
    .symbol:         _ZL26rocblas_syr2k_her2k_kernelIlLb1ELb1ELb1ELi32EPK19rocblas_complex_numIfEPKS3_PKPS1_EvbiT_T4_T5_S9_lSB_S9_lT6_S9_li.kd
    .uniform_work_group_size: 1
    .uses_dynamic_stack: false
    .vgpr_count:     163
    .vgpr_spill_count: 0
    .wavefront_size: 32
    .workgroup_processor_mode: 1
  - .args:
      - .offset:         0
        .size:           1
        .value_kind:     by_value
      - .offset:         4
        .size:           4
        .value_kind:     by_value
      - .offset:         8
        .size:           8
        .value_kind:     by_value
      - .offset:         16
        .size:           16
        .value_kind:     by_value
      - .address_space:  global
        .offset:         32
        .size:           8
        .value_kind:     global_buffer
      - .offset:         40
        .size:           8
        .value_kind:     by_value
      - .offset:         48
        .size:           8
        .value_kind:     by_value
      - .address_space:  global
        .offset:         56
        .size:           8
        .value_kind:     global_buffer
      - .offset:         64
        .size:           8
        .value_kind:     by_value
      - .offset:         72
        .size:           8
        .value_kind:     by_value
      - .address_space:  global
        .offset:         80
        .size:           8
        .value_kind:     global_buffer
      - .offset:         88
        .size:           8
        .value_kind:     by_value
      - .offset:         96
        .size:           8
        .value_kind:     by_value
      - .offset:         104
        .size:           4
        .value_kind:     by_value
    .group_segment_fixed_size: 32768
    .kernarg_segment_align: 8
    .kernarg_segment_size: 108
    .language:       OpenCL C
    .language_version:
      - 2
      - 0
    .max_flat_workgroup_size: 1024
    .name:           _ZL26rocblas_syr2k_her2k_kernelIlLb1ELb1ELb0ELi32E19rocblas_complex_numIdEPKPKS1_PKPS1_EvbiT_T4_T5_S9_lSB_S9_lT6_S9_li
    .private_segment_fixed_size: 0
    .sgpr_count:     38
    .sgpr_spill_count: 0
    .symbol:         _ZL26rocblas_syr2k_her2k_kernelIlLb1ELb1ELb0ELi32E19rocblas_complex_numIdEPKPKS1_PKPS1_EvbiT_T4_T5_S9_lSB_S9_lT6_S9_li.kd
    .uniform_work_group_size: 1
    .uses_dynamic_stack: false
    .vgpr_count:     62
    .vgpr_spill_count: 0
    .wavefront_size: 32
    .workgroup_processor_mode: 1
  - .args:
      - .offset:         0
        .size:           1
        .value_kind:     by_value
      - .offset:         4
        .size:           4
        .value_kind:     by_value
      - .offset:         8
        .size:           8
        .value_kind:     by_value
      - .offset:         16
        .size:           16
        .value_kind:     by_value
      - .address_space:  global
        .offset:         32
        .size:           8
        .value_kind:     global_buffer
      - .offset:         40
        .size:           8
        .value_kind:     by_value
      - .offset:         48
        .size:           8
        .value_kind:     by_value
      - .address_space:  global
        .offset:         56
        .size:           8
        .value_kind:     global_buffer
      - .offset:         64
        .size:           8
        .value_kind:     by_value
      - .offset:         72
        .size:           8
        .value_kind:     by_value
      - .address_space:  global
        .offset:         80
        .size:           8
        .value_kind:     global_buffer
      - .offset:         88
        .size:           8
        .value_kind:     by_value
      - .offset:         96
        .size:           8
        .value_kind:     by_value
      - .offset:         104
        .size:           4
        .value_kind:     by_value
    .group_segment_fixed_size: 32768
    .kernarg_segment_align: 8
    .kernarg_segment_size: 108
    .language:       OpenCL C
    .language_version:
      - 2
      - 0
    .max_flat_workgroup_size: 1024
    .name:           _ZL26rocblas_syr2k_her2k_kernelIlLb1ELb1ELb1ELi32E19rocblas_complex_numIdEPKPKS1_PKPS1_EvbiT_T4_T5_S9_lSB_S9_lT6_S9_li
    .private_segment_fixed_size: 0
    .sgpr_count:     38
    .sgpr_spill_count: 0
    .symbol:         _ZL26rocblas_syr2k_her2k_kernelIlLb1ELb1ELb1ELi32E19rocblas_complex_numIdEPKPKS1_PKPS1_EvbiT_T4_T5_S9_lSB_S9_lT6_S9_li.kd
    .uniform_work_group_size: 1
    .uses_dynamic_stack: false
    .vgpr_count:     62
    .vgpr_spill_count: 0
    .wavefront_size: 32
    .workgroup_processor_mode: 1
  - .args:
      - .offset:         0
        .size:           1
        .value_kind:     by_value
      - .offset:         4
        .size:           4
        .value_kind:     by_value
      - .offset:         8
        .size:           8
        .value_kind:     by_value
      - .address_space:  global
        .offset:         16
        .size:           8
        .value_kind:     global_buffer
      - .address_space:  global
        .offset:         24
        .size:           8
        .value_kind:     global_buffer
      - .offset:         32
        .size:           8
        .value_kind:     by_value
      - .offset:         40
        .size:           8
        .value_kind:     by_value
      - .address_space:  global
        .offset:         48
        .size:           8
        .value_kind:     global_buffer
      - .offset:         56
        .size:           8
        .value_kind:     by_value
      - .offset:         64
        .size:           8
        .value_kind:     by_value
      - .address_space:  global
        .offset:         72
        .size:           8
        .value_kind:     global_buffer
      - .offset:         80
        .size:           8
        .value_kind:     by_value
      - .offset:         88
        .size:           8
        .value_kind:     by_value
      - .offset:         96
        .size:           4
        .value_kind:     by_value
    .group_segment_fixed_size: 32768
    .kernarg_segment_align: 8
    .kernarg_segment_size: 100
    .language:       OpenCL C
    .language_version:
      - 2
      - 0
    .max_flat_workgroup_size: 1024
    .name:           _ZL26rocblas_syr2k_her2k_kernelIlLb1ELb1ELb0ELi32EPK19rocblas_complex_numIdEPKS3_PKPS1_EvbiT_T4_T5_S9_lSB_S9_lT6_S9_li
    .private_segment_fixed_size: 0
    .sgpr_count:     34
    .sgpr_spill_count: 0
    .symbol:         _ZL26rocblas_syr2k_her2k_kernelIlLb1ELb1ELb0ELi32EPK19rocblas_complex_numIdEPKS3_PKPS1_EvbiT_T4_T5_S9_lSB_S9_lT6_S9_li.kd
    .uniform_work_group_size: 1
    .uses_dynamic_stack: false
    .vgpr_count:     62
    .vgpr_spill_count: 0
    .wavefront_size: 32
    .workgroup_processor_mode: 1
  - .args:
      - .offset:         0
        .size:           1
        .value_kind:     by_value
      - .offset:         4
        .size:           4
        .value_kind:     by_value
      - .offset:         8
        .size:           8
        .value_kind:     by_value
      - .address_space:  global
        .offset:         16
        .size:           8
        .value_kind:     global_buffer
      - .address_space:  global
        .offset:         24
        .size:           8
        .value_kind:     global_buffer
      - .offset:         32
        .size:           8
        .value_kind:     by_value
      - .offset:         40
        .size:           8
        .value_kind:     by_value
      - .address_space:  global
        .offset:         48
        .size:           8
        .value_kind:     global_buffer
      - .offset:         56
        .size:           8
        .value_kind:     by_value
      - .offset:         64
        .size:           8
        .value_kind:     by_value
      - .address_space:  global
        .offset:         72
        .size:           8
        .value_kind:     global_buffer
      - .offset:         80
        .size:           8
        .value_kind:     by_value
      - .offset:         88
        .size:           8
        .value_kind:     by_value
      - .offset:         96
        .size:           4
        .value_kind:     by_value
    .group_segment_fixed_size: 32768
    .kernarg_segment_align: 8
    .kernarg_segment_size: 100
    .language:       OpenCL C
    .language_version:
      - 2
      - 0
    .max_flat_workgroup_size: 1024
    .name:           _ZL26rocblas_syr2k_her2k_kernelIlLb1ELb1ELb1ELi32EPK19rocblas_complex_numIdEPKS3_PKPS1_EvbiT_T4_T5_S9_lSB_S9_lT6_S9_li
    .private_segment_fixed_size: 0
    .sgpr_count:     38
    .sgpr_spill_count: 0
    .symbol:         _ZL26rocblas_syr2k_her2k_kernelIlLb1ELb1ELb1ELi32EPK19rocblas_complex_numIdEPKS3_PKPS1_EvbiT_T4_T5_S9_lSB_S9_lT6_S9_li.kd
    .uniform_work_group_size: 1
    .uses_dynamic_stack: false
    .vgpr_count:     62
    .vgpr_spill_count: 0
    .wavefront_size: 32
    .workgroup_processor_mode: 1
  - .args:
      - .offset:         0
        .size:           1
        .value_kind:     by_value
      - .offset:         4
        .size:           4
        .value_kind:     by_value
      - .offset:         8
        .size:           4
        .value_kind:     by_value
      - .offset:         12
        .size:           4
        .value_kind:     by_value
      - .address_space:  global
        .offset:         16
        .size:           8
        .value_kind:     global_buffer
      - .offset:         24
        .size:           4
        .value_kind:     by_value
      - .offset:         32
        .size:           8
        .value_kind:     by_value
      - .address_space:  global
        .offset:         40
        .size:           8
        .value_kind:     global_buffer
      - .offset:         48
        .size:           4
        .value_kind:     by_value
      - .offset:         56
        .size:           8
        .value_kind:     by_value
      - .address_space:  global
        .offset:         64
        .size:           8
        .value_kind:     global_buffer
      - .offset:         72
        .size:           4
        .value_kind:     by_value
      - .offset:         80
        .size:           8
        .value_kind:     by_value
      - .offset:         88
        .size:           4
        .value_kind:     by_value
    .group_segment_fixed_size: 8192
    .kernarg_segment_align: 8
    .kernarg_segment_size: 92
    .language:       OpenCL C
    .language_version:
      - 2
      - 0
    .max_flat_workgroup_size: 1024
    .name:           _ZL26rocblas_syr2k_her2k_kernelIiLb1ELb0ELb0ELi32EfPKfPfEvbiT_T4_T5_S3_lS5_S3_lT6_S3_li
    .private_segment_fixed_size: 0
    .sgpr_count:     24
    .sgpr_spill_count: 0
    .symbol:         _ZL26rocblas_syr2k_her2k_kernelIiLb1ELb0ELb0ELi32EfPKfPfEvbiT_T4_T5_S3_lS5_S3_lT6_S3_li.kd
    .uniform_work_group_size: 1
    .uses_dynamic_stack: false
    .vgpr_count:     37
    .vgpr_spill_count: 0
    .wavefront_size: 32
    .workgroup_processor_mode: 1
  - .args:
      - .offset:         0
        .size:           1
        .value_kind:     by_value
      - .offset:         4
        .size:           4
        .value_kind:     by_value
      - .offset:         8
        .size:           4
        .value_kind:     by_value
      - .offset:         12
        .size:           4
        .value_kind:     by_value
      - .address_space:  global
        .offset:         16
        .size:           8
        .value_kind:     global_buffer
      - .offset:         24
        .size:           4
        .value_kind:     by_value
      - .offset:         32
        .size:           8
        .value_kind:     by_value
      - .address_space:  global
        .offset:         40
        .size:           8
        .value_kind:     global_buffer
      - .offset:         48
        .size:           4
        .value_kind:     by_value
      - .offset:         56
        .size:           8
        .value_kind:     by_value
      - .address_space:  global
        .offset:         64
        .size:           8
        .value_kind:     global_buffer
      - .offset:         72
        .size:           4
        .value_kind:     by_value
      - .offset:         80
        .size:           8
        .value_kind:     by_value
      - .offset:         88
        .size:           4
        .value_kind:     by_value
    .group_segment_fixed_size: 8192
    .kernarg_segment_align: 8
    .kernarg_segment_size: 92
    .language:       OpenCL C
    .language_version:
      - 2
      - 0
    .max_flat_workgroup_size: 1024
    .name:           _ZL26rocblas_syr2k_her2k_kernelIiLb1ELb0ELb1ELi32EfPKfPfEvbiT_T4_T5_S3_lS5_S3_lT6_S3_li
    .private_segment_fixed_size: 0
    .sgpr_count:     25
    .sgpr_spill_count: 0
    .symbol:         _ZL26rocblas_syr2k_her2k_kernelIiLb1ELb0ELb1ELi32EfPKfPfEvbiT_T4_T5_S3_lS5_S3_lT6_S3_li.kd
    .uniform_work_group_size: 1
    .uses_dynamic_stack: false
    .vgpr_count:     39
    .vgpr_spill_count: 0
    .wavefront_size: 32
    .workgroup_processor_mode: 1
  - .args:
      - .offset:         0
        .size:           1
        .value_kind:     by_value
      - .offset:         4
        .size:           4
        .value_kind:     by_value
      - .offset:         8
        .size:           4
        .value_kind:     by_value
      - .address_space:  global
        .offset:         16
        .size:           8
        .value_kind:     global_buffer
      - .address_space:  global
        .offset:         24
        .size:           8
        .value_kind:     global_buffer
      - .offset:         32
        .size:           4
        .value_kind:     by_value
      - .offset:         40
        .size:           8
        .value_kind:     by_value
      - .address_space:  global
        .offset:         48
        .size:           8
        .value_kind:     global_buffer
      - .offset:         56
        .size:           4
        .value_kind:     by_value
      - .offset:         64
        .size:           8
        .value_kind:     by_value
      - .address_space:  global
        .offset:         72
        .size:           8
        .value_kind:     global_buffer
      - .offset:         80
        .size:           4
        .value_kind:     by_value
      - .offset:         88
        .size:           8
        .value_kind:     by_value
      - .offset:         96
        .size:           4
        .value_kind:     by_value
    .group_segment_fixed_size: 8192
    .kernarg_segment_align: 8
    .kernarg_segment_size: 100
    .language:       OpenCL C
    .language_version:
      - 2
      - 0
    .max_flat_workgroup_size: 1024
    .name:           _ZL26rocblas_syr2k_her2k_kernelIiLb1ELb0ELb0ELi32EPKfS1_PfEvbiT_T4_T5_S3_lS5_S3_lT6_S3_li
    .private_segment_fixed_size: 0
    .sgpr_count:     26
    .sgpr_spill_count: 0
    .symbol:         _ZL26rocblas_syr2k_her2k_kernelIiLb1ELb0ELb0ELi32EPKfS1_PfEvbiT_T4_T5_S3_lS5_S3_lT6_S3_li.kd
    .uniform_work_group_size: 1
    .uses_dynamic_stack: false
    .vgpr_count:     37
    .vgpr_spill_count: 0
    .wavefront_size: 32
    .workgroup_processor_mode: 1
  - .args:
      - .offset:         0
        .size:           1
        .value_kind:     by_value
      - .offset:         4
        .size:           4
        .value_kind:     by_value
      - .offset:         8
        .size:           4
        .value_kind:     by_value
      - .address_space:  global
        .offset:         16
        .size:           8
        .value_kind:     global_buffer
      - .address_space:  global
        .offset:         24
        .size:           8
        .value_kind:     global_buffer
      - .offset:         32
        .size:           4
        .value_kind:     by_value
      - .offset:         40
        .size:           8
        .value_kind:     by_value
      - .address_space:  global
        .offset:         48
        .size:           8
        .value_kind:     global_buffer
      - .offset:         56
        .size:           4
        .value_kind:     by_value
      - .offset:         64
        .size:           8
        .value_kind:     by_value
      - .address_space:  global
        .offset:         72
        .size:           8
        .value_kind:     global_buffer
      - .offset:         80
        .size:           4
        .value_kind:     by_value
      - .offset:         88
        .size:           8
        .value_kind:     by_value
      - .offset:         96
        .size:           4
        .value_kind:     by_value
    .group_segment_fixed_size: 8192
    .kernarg_segment_align: 8
    .kernarg_segment_size: 100
    .language:       OpenCL C
    .language_version:
      - 2
      - 0
    .max_flat_workgroup_size: 1024
    .name:           _ZL26rocblas_syr2k_her2k_kernelIiLb1ELb0ELb1ELi32EPKfS1_PfEvbiT_T4_T5_S3_lS5_S3_lT6_S3_li
    .private_segment_fixed_size: 0
    .sgpr_count:     26
    .sgpr_spill_count: 0
    .symbol:         _ZL26rocblas_syr2k_her2k_kernelIiLb1ELb0ELb1ELi32EPKfS1_PfEvbiT_T4_T5_S3_lS5_S3_lT6_S3_li.kd
    .uniform_work_group_size: 1
    .uses_dynamic_stack: false
    .vgpr_count:     39
    .vgpr_spill_count: 0
    .wavefront_size: 32
    .workgroup_processor_mode: 1
  - .args:
      - .offset:         0
        .size:           1
        .value_kind:     by_value
      - .offset:         4
        .size:           4
        .value_kind:     by_value
      - .offset:         8
        .size:           4
        .value_kind:     by_value
      - .offset:         16
        .size:           8
        .value_kind:     by_value
      - .address_space:  global
        .offset:         24
        .size:           8
        .value_kind:     global_buffer
      - .offset:         32
        .size:           4
        .value_kind:     by_value
      - .offset:         40
        .size:           8
        .value_kind:     by_value
      - .address_space:  global
        .offset:         48
        .size:           8
        .value_kind:     global_buffer
      - .offset:         56
        .size:           4
        .value_kind:     by_value
      - .offset:         64
        .size:           8
        .value_kind:     by_value
      - .address_space:  global
        .offset:         72
        .size:           8
        .value_kind:     global_buffer
      - .offset:         80
        .size:           4
        .value_kind:     by_value
      - .offset:         88
        .size:           8
        .value_kind:     by_value
      - .offset:         96
        .size:           4
        .value_kind:     by_value
    .group_segment_fixed_size: 16384
    .kernarg_segment_align: 8
    .kernarg_segment_size: 100
    .language:       OpenCL C
    .language_version:
      - 2
      - 0
    .max_flat_workgroup_size: 1024
    .name:           _ZL26rocblas_syr2k_her2k_kernelIiLb1ELb0ELb0ELi32EdPKdPdEvbiT_T4_T5_S3_lS5_S3_lT6_S3_li
    .private_segment_fixed_size: 0
    .sgpr_count:     26
    .sgpr_spill_count: 0
    .symbol:         _ZL26rocblas_syr2k_her2k_kernelIiLb1ELb0ELb0ELi32EdPKdPdEvbiT_T4_T5_S3_lS5_S3_lT6_S3_li.kd
    .uniform_work_group_size: 1
    .uses_dynamic_stack: false
    .vgpr_count:     37
    .vgpr_spill_count: 0
    .wavefront_size: 32
    .workgroup_processor_mode: 1
  - .args:
      - .offset:         0
        .size:           1
        .value_kind:     by_value
      - .offset:         4
        .size:           4
        .value_kind:     by_value
      - .offset:         8
        .size:           4
        .value_kind:     by_value
      - .offset:         16
        .size:           8
        .value_kind:     by_value
      - .address_space:  global
        .offset:         24
        .size:           8
        .value_kind:     global_buffer
      - .offset:         32
        .size:           4
        .value_kind:     by_value
      - .offset:         40
        .size:           8
        .value_kind:     by_value
      - .address_space:  global
        .offset:         48
        .size:           8
        .value_kind:     global_buffer
      - .offset:         56
        .size:           4
        .value_kind:     by_value
      - .offset:         64
        .size:           8
        .value_kind:     by_value
      - .address_space:  global
        .offset:         72
        .size:           8
        .value_kind:     global_buffer
      - .offset:         80
        .size:           4
        .value_kind:     by_value
      - .offset:         88
        .size:           8
        .value_kind:     by_value
      - .offset:         96
        .size:           4
        .value_kind:     by_value
    .group_segment_fixed_size: 16384
    .kernarg_segment_align: 8
    .kernarg_segment_size: 100
    .language:       OpenCL C
    .language_version:
      - 2
      - 0
    .max_flat_workgroup_size: 1024
    .name:           _ZL26rocblas_syr2k_her2k_kernelIiLb1ELb0ELb1ELi32EdPKdPdEvbiT_T4_T5_S3_lS5_S3_lT6_S3_li
    .private_segment_fixed_size: 0
    .sgpr_count:     26
    .sgpr_spill_count: 0
    .symbol:         _ZL26rocblas_syr2k_her2k_kernelIiLb1ELb0ELb1ELi32EdPKdPdEvbiT_T4_T5_S3_lS5_S3_lT6_S3_li.kd
    .uniform_work_group_size: 1
    .uses_dynamic_stack: false
    .vgpr_count:     39
    .vgpr_spill_count: 0
    .wavefront_size: 32
    .workgroup_processor_mode: 1
  - .args:
      - .offset:         0
        .size:           1
        .value_kind:     by_value
      - .offset:         4
        .size:           4
        .value_kind:     by_value
      - .offset:         8
        .size:           4
        .value_kind:     by_value
      - .address_space:  global
        .offset:         16
        .size:           8
        .value_kind:     global_buffer
      - .address_space:  global
        .offset:         24
        .size:           8
        .value_kind:     global_buffer
      - .offset:         32
        .size:           4
        .value_kind:     by_value
      - .offset:         40
        .size:           8
        .value_kind:     by_value
      - .address_space:  global
        .offset:         48
        .size:           8
        .value_kind:     global_buffer
      - .offset:         56
        .size:           4
        .value_kind:     by_value
      - .offset:         64
        .size:           8
        .value_kind:     by_value
      - .address_space:  global
        .offset:         72
        .size:           8
        .value_kind:     global_buffer
      - .offset:         80
        .size:           4
        .value_kind:     by_value
      - .offset:         88
        .size:           8
        .value_kind:     by_value
      - .offset:         96
        .size:           4
        .value_kind:     by_value
    .group_segment_fixed_size: 16384
    .kernarg_segment_align: 8
    .kernarg_segment_size: 100
    .language:       OpenCL C
    .language_version:
      - 2
      - 0
    .max_flat_workgroup_size: 1024
    .name:           _ZL26rocblas_syr2k_her2k_kernelIiLb1ELb0ELb0ELi32EPKdS1_PdEvbiT_T4_T5_S3_lS5_S3_lT6_S3_li
    .private_segment_fixed_size: 0
    .sgpr_count:     26
    .sgpr_spill_count: 0
    .symbol:         _ZL26rocblas_syr2k_her2k_kernelIiLb1ELb0ELb0ELi32EPKdS1_PdEvbiT_T4_T5_S3_lS5_S3_lT6_S3_li.kd
    .uniform_work_group_size: 1
    .uses_dynamic_stack: false
    .vgpr_count:     37
    .vgpr_spill_count: 0
    .wavefront_size: 32
    .workgroup_processor_mode: 1
  - .args:
      - .offset:         0
        .size:           1
        .value_kind:     by_value
      - .offset:         4
        .size:           4
        .value_kind:     by_value
      - .offset:         8
        .size:           4
        .value_kind:     by_value
      - .address_space:  global
        .offset:         16
        .size:           8
        .value_kind:     global_buffer
      - .address_space:  global
        .offset:         24
        .size:           8
        .value_kind:     global_buffer
      - .offset:         32
        .size:           4
        .value_kind:     by_value
      - .offset:         40
        .size:           8
        .value_kind:     by_value
      - .address_space:  global
        .offset:         48
        .size:           8
        .value_kind:     global_buffer
      - .offset:         56
        .size:           4
        .value_kind:     by_value
      - .offset:         64
        .size:           8
        .value_kind:     by_value
      - .address_space:  global
        .offset:         72
        .size:           8
        .value_kind:     global_buffer
      - .offset:         80
        .size:           4
        .value_kind:     by_value
      - .offset:         88
        .size:           8
        .value_kind:     by_value
      - .offset:         96
        .size:           4
        .value_kind:     by_value
    .group_segment_fixed_size: 16384
    .kernarg_segment_align: 8
    .kernarg_segment_size: 100
    .language:       OpenCL C
    .language_version:
      - 2
      - 0
    .max_flat_workgroup_size: 1024
    .name:           _ZL26rocblas_syr2k_her2k_kernelIiLb1ELb0ELb1ELi32EPKdS1_PdEvbiT_T4_T5_S3_lS5_S3_lT6_S3_li
    .private_segment_fixed_size: 0
    .sgpr_count:     26
    .sgpr_spill_count: 0
    .symbol:         _ZL26rocblas_syr2k_her2k_kernelIiLb1ELb0ELb1ELi32EPKdS1_PdEvbiT_T4_T5_S3_lS5_S3_lT6_S3_li.kd
    .uniform_work_group_size: 1
    .uses_dynamic_stack: false
    .vgpr_count:     39
    .vgpr_spill_count: 0
    .wavefront_size: 32
    .workgroup_processor_mode: 1
  - .args:
      - .offset:         0
        .size:           1
        .value_kind:     by_value
      - .offset:         4
        .size:           4
        .value_kind:     by_value
      - .offset:         8
        .size:           4
        .value_kind:     by_value
      - .offset:         12
        .size:           8
        .value_kind:     by_value
      - .address_space:  global
        .offset:         24
        .size:           8
        .value_kind:     global_buffer
      - .offset:         32
        .size:           4
        .value_kind:     by_value
      - .offset:         40
        .size:           8
        .value_kind:     by_value
      - .address_space:  global
        .offset:         48
        .size:           8
        .value_kind:     global_buffer
      - .offset:         56
        .size:           4
        .value_kind:     by_value
      - .offset:         64
        .size:           8
        .value_kind:     by_value
      - .address_space:  global
        .offset:         72
        .size:           8
        .value_kind:     global_buffer
      - .offset:         80
        .size:           4
        .value_kind:     by_value
      - .offset:         88
        .size:           8
        .value_kind:     by_value
      - .offset:         96
        .size:           4
        .value_kind:     by_value
    .group_segment_fixed_size: 16384
    .kernarg_segment_align: 8
    .kernarg_segment_size: 100
    .language:       OpenCL C
    .language_version:
      - 2
      - 0
    .max_flat_workgroup_size: 1024
    .name:           _ZL26rocblas_syr2k_her2k_kernelIiLb1ELb0ELb0ELi32E19rocblas_complex_numIfEPKS1_PS1_EvbiT_T4_T5_S5_lS7_S5_lT6_S5_li
    .private_segment_fixed_size: 0
    .sgpr_count:     26
    .sgpr_spill_count: 0
    .symbol:         _ZL26rocblas_syr2k_her2k_kernelIiLb1ELb0ELb0ELi32E19rocblas_complex_numIfEPKS1_PS1_EvbiT_T4_T5_S5_lS7_S5_lT6_S5_li.kd
    .uniform_work_group_size: 1
    .uses_dynamic_stack: false
    .vgpr_count:     42
    .vgpr_spill_count: 0
    .wavefront_size: 32
    .workgroup_processor_mode: 1
  - .args:
      - .offset:         0
        .size:           1
        .value_kind:     by_value
      - .offset:         4
        .size:           4
        .value_kind:     by_value
      - .offset:         8
        .size:           4
        .value_kind:     by_value
      - .offset:         12
        .size:           8
        .value_kind:     by_value
      - .address_space:  global
        .offset:         24
        .size:           8
        .value_kind:     global_buffer
      - .offset:         32
        .size:           4
        .value_kind:     by_value
      - .offset:         40
        .size:           8
        .value_kind:     by_value
      - .address_space:  global
        .offset:         48
        .size:           8
        .value_kind:     global_buffer
      - .offset:         56
        .size:           4
        .value_kind:     by_value
      - .offset:         64
        .size:           8
        .value_kind:     by_value
      - .address_space:  global
        .offset:         72
        .size:           8
        .value_kind:     global_buffer
      - .offset:         80
        .size:           4
        .value_kind:     by_value
      - .offset:         88
        .size:           8
        .value_kind:     by_value
      - .offset:         96
        .size:           4
        .value_kind:     by_value
    .group_segment_fixed_size: 16384
    .kernarg_segment_align: 8
    .kernarg_segment_size: 100
    .language:       OpenCL C
    .language_version:
      - 2
      - 0
    .max_flat_workgroup_size: 1024
    .name:           _ZL26rocblas_syr2k_her2k_kernelIiLb1ELb0ELb1ELi32E19rocblas_complex_numIfEPKS1_PS1_EvbiT_T4_T5_S5_lS7_S5_lT6_S5_li
    .private_segment_fixed_size: 0
    .sgpr_count:     24
    .sgpr_spill_count: 0
    .symbol:         _ZL26rocblas_syr2k_her2k_kernelIiLb1ELb0ELb1ELi32E19rocblas_complex_numIfEPKS1_PS1_EvbiT_T4_T5_S5_lS7_S5_lT6_S5_li.kd
    .uniform_work_group_size: 1
    .uses_dynamic_stack: false
    .vgpr_count:     42
    .vgpr_spill_count: 0
    .wavefront_size: 32
    .workgroup_processor_mode: 1
  - .args:
      - .offset:         0
        .size:           1
        .value_kind:     by_value
      - .offset:         4
        .size:           4
        .value_kind:     by_value
      - .offset:         8
        .size:           4
        .value_kind:     by_value
      - .address_space:  global
        .offset:         16
        .size:           8
        .value_kind:     global_buffer
      - .address_space:  global
        .offset:         24
        .size:           8
        .value_kind:     global_buffer
      - .offset:         32
        .size:           4
        .value_kind:     by_value
      - .offset:         40
        .size:           8
        .value_kind:     by_value
      - .address_space:  global
        .offset:         48
        .size:           8
        .value_kind:     global_buffer
      - .offset:         56
        .size:           4
        .value_kind:     by_value
      - .offset:         64
        .size:           8
        .value_kind:     by_value
      - .address_space:  global
        .offset:         72
        .size:           8
        .value_kind:     global_buffer
      - .offset:         80
        .size:           4
        .value_kind:     by_value
      - .offset:         88
        .size:           8
        .value_kind:     by_value
      - .offset:         96
        .size:           4
        .value_kind:     by_value
    .group_segment_fixed_size: 16384
    .kernarg_segment_align: 8
    .kernarg_segment_size: 100
    .language:       OpenCL C
    .language_version:
      - 2
      - 0
    .max_flat_workgroup_size: 1024
    .name:           _ZL26rocblas_syr2k_her2k_kernelIiLb1ELb0ELb0ELi32EPK19rocblas_complex_numIfES3_PS1_EvbiT_T4_T5_S5_lS7_S5_lT6_S5_li
    .private_segment_fixed_size: 0
    .sgpr_count:     26
    .sgpr_spill_count: 0
    .symbol:         _ZL26rocblas_syr2k_her2k_kernelIiLb1ELb0ELb0ELi32EPK19rocblas_complex_numIfES3_PS1_EvbiT_T4_T5_S5_lS7_S5_lT6_S5_li.kd
    .uniform_work_group_size: 1
    .uses_dynamic_stack: false
    .vgpr_count:     42
    .vgpr_spill_count: 0
    .wavefront_size: 32
    .workgroup_processor_mode: 1
  - .args:
      - .offset:         0
        .size:           1
        .value_kind:     by_value
      - .offset:         4
        .size:           4
        .value_kind:     by_value
      - .offset:         8
        .size:           4
        .value_kind:     by_value
      - .address_space:  global
        .offset:         16
        .size:           8
        .value_kind:     global_buffer
      - .address_space:  global
        .offset:         24
        .size:           8
        .value_kind:     global_buffer
      - .offset:         32
        .size:           4
        .value_kind:     by_value
      - .offset:         40
        .size:           8
        .value_kind:     by_value
      - .address_space:  global
        .offset:         48
        .size:           8
        .value_kind:     global_buffer
      - .offset:         56
        .size:           4
        .value_kind:     by_value
      - .offset:         64
        .size:           8
        .value_kind:     by_value
      - .address_space:  global
        .offset:         72
        .size:           8
        .value_kind:     global_buffer
      - .offset:         80
        .size:           4
        .value_kind:     by_value
      - .offset:         88
        .size:           8
        .value_kind:     by_value
      - .offset:         96
        .size:           4
        .value_kind:     by_value
    .group_segment_fixed_size: 16384
    .kernarg_segment_align: 8
    .kernarg_segment_size: 100
    .language:       OpenCL C
    .language_version:
      - 2
      - 0
    .max_flat_workgroup_size: 1024
    .name:           _ZL26rocblas_syr2k_her2k_kernelIiLb1ELb0ELb1ELi32EPK19rocblas_complex_numIfES3_PS1_EvbiT_T4_T5_S5_lS7_S5_lT6_S5_li
    .private_segment_fixed_size: 0
    .sgpr_count:     26
    .sgpr_spill_count: 0
    .symbol:         _ZL26rocblas_syr2k_her2k_kernelIiLb1ELb0ELb1ELi32EPK19rocblas_complex_numIfES3_PS1_EvbiT_T4_T5_S5_lS7_S5_lT6_S5_li.kd
    .uniform_work_group_size: 1
    .uses_dynamic_stack: false
    .vgpr_count:     42
    .vgpr_spill_count: 0
    .wavefront_size: 32
    .workgroup_processor_mode: 1
  - .args:
      - .offset:         0
        .size:           1
        .value_kind:     by_value
      - .offset:         4
        .size:           4
        .value_kind:     by_value
      - .offset:         8
        .size:           4
        .value_kind:     by_value
      - .offset:         16
        .size:           16
        .value_kind:     by_value
      - .address_space:  global
        .offset:         32
        .size:           8
        .value_kind:     global_buffer
      - .offset:         40
        .size:           4
        .value_kind:     by_value
      - .offset:         48
        .size:           8
        .value_kind:     by_value
      - .address_space:  global
        .offset:         56
        .size:           8
        .value_kind:     global_buffer
      - .offset:         64
        .size:           4
        .value_kind:     by_value
      - .offset:         72
        .size:           8
        .value_kind:     by_value
      - .address_space:  global
        .offset:         80
        .size:           8
        .value_kind:     global_buffer
      - .offset:         88
        .size:           4
        .value_kind:     by_value
      - .offset:         96
        .size:           8
        .value_kind:     by_value
      - .offset:         104
        .size:           4
        .value_kind:     by_value
    .group_segment_fixed_size: 32768
    .kernarg_segment_align: 8
    .kernarg_segment_size: 108
    .language:       OpenCL C
    .language_version:
      - 2
      - 0
    .max_flat_workgroup_size: 1024
    .name:           _ZL26rocblas_syr2k_her2k_kernelIiLb1ELb0ELb0ELi32E19rocblas_complex_numIdEPKS1_PS1_EvbiT_T4_T5_S5_lS7_S5_lT6_S5_li
    .private_segment_fixed_size: 0
    .sgpr_count:     28
    .sgpr_spill_count: 0
    .symbol:         _ZL26rocblas_syr2k_her2k_kernelIiLb1ELb0ELb0ELi32E19rocblas_complex_numIdEPKS1_PS1_EvbiT_T4_T5_S5_lS7_S5_lT6_S5_li.kd
    .uniform_work_group_size: 1
    .uses_dynamic_stack: false
    .vgpr_count:     64
    .vgpr_spill_count: 0
    .wavefront_size: 32
    .workgroup_processor_mode: 1
  - .args:
      - .offset:         0
        .size:           1
        .value_kind:     by_value
      - .offset:         4
        .size:           4
        .value_kind:     by_value
      - .offset:         8
        .size:           4
        .value_kind:     by_value
      - .offset:         16
        .size:           16
        .value_kind:     by_value
      - .address_space:  global
        .offset:         32
        .size:           8
        .value_kind:     global_buffer
      - .offset:         40
        .size:           4
        .value_kind:     by_value
      - .offset:         48
        .size:           8
        .value_kind:     by_value
      - .address_space:  global
        .offset:         56
        .size:           8
        .value_kind:     global_buffer
      - .offset:         64
        .size:           4
        .value_kind:     by_value
      - .offset:         72
        .size:           8
        .value_kind:     by_value
      - .address_space:  global
        .offset:         80
        .size:           8
        .value_kind:     global_buffer
      - .offset:         88
        .size:           4
        .value_kind:     by_value
      - .offset:         96
        .size:           8
        .value_kind:     by_value
      - .offset:         104
        .size:           4
        .value_kind:     by_value
    .group_segment_fixed_size: 32768
    .kernarg_segment_align: 8
    .kernarg_segment_size: 108
    .language:       OpenCL C
    .language_version:
      - 2
      - 0
    .max_flat_workgroup_size: 1024
    .name:           _ZL26rocblas_syr2k_her2k_kernelIiLb1ELb0ELb1ELi32E19rocblas_complex_numIdEPKS1_PS1_EvbiT_T4_T5_S5_lS7_S5_lT6_S5_li
    .private_segment_fixed_size: 0
    .sgpr_count:     28
    .sgpr_spill_count: 0
    .symbol:         _ZL26rocblas_syr2k_her2k_kernelIiLb1ELb0ELb1ELi32E19rocblas_complex_numIdEPKS1_PS1_EvbiT_T4_T5_S5_lS7_S5_lT6_S5_li.kd
    .uniform_work_group_size: 1
    .uses_dynamic_stack: false
    .vgpr_count:     66
    .vgpr_spill_count: 0
    .wavefront_size: 32
    .workgroup_processor_mode: 1
  - .args:
      - .offset:         0
        .size:           1
        .value_kind:     by_value
      - .offset:         4
        .size:           4
        .value_kind:     by_value
      - .offset:         8
        .size:           4
        .value_kind:     by_value
      - .address_space:  global
        .offset:         16
        .size:           8
        .value_kind:     global_buffer
      - .address_space:  global
        .offset:         24
        .size:           8
        .value_kind:     global_buffer
      - .offset:         32
        .size:           4
        .value_kind:     by_value
      - .offset:         40
        .size:           8
        .value_kind:     by_value
      - .address_space:  global
        .offset:         48
        .size:           8
        .value_kind:     global_buffer
      - .offset:         56
        .size:           4
        .value_kind:     by_value
      - .offset:         64
        .size:           8
        .value_kind:     by_value
      - .address_space:  global
        .offset:         72
        .size:           8
        .value_kind:     global_buffer
      - .offset:         80
        .size:           4
        .value_kind:     by_value
      - .offset:         88
        .size:           8
        .value_kind:     by_value
      - .offset:         96
        .size:           4
        .value_kind:     by_value
    .group_segment_fixed_size: 32768
    .kernarg_segment_align: 8
    .kernarg_segment_size: 100
    .language:       OpenCL C
    .language_version:
      - 2
      - 0
    .max_flat_workgroup_size: 1024
    .name:           _ZL26rocblas_syr2k_her2k_kernelIiLb1ELb0ELb0ELi32EPK19rocblas_complex_numIdES3_PS1_EvbiT_T4_T5_S5_lS7_S5_lT6_S5_li
    .private_segment_fixed_size: 0
    .sgpr_count:     30
    .sgpr_spill_count: 0
    .symbol:         _ZL26rocblas_syr2k_her2k_kernelIiLb1ELb0ELb0ELi32EPK19rocblas_complex_numIdES3_PS1_EvbiT_T4_T5_S5_lS7_S5_lT6_S5_li.kd
    .uniform_work_group_size: 1
    .uses_dynamic_stack: false
    .vgpr_count:     64
    .vgpr_spill_count: 0
    .wavefront_size: 32
    .workgroup_processor_mode: 1
  - .args:
      - .offset:         0
        .size:           1
        .value_kind:     by_value
      - .offset:         4
        .size:           4
        .value_kind:     by_value
      - .offset:         8
        .size:           4
        .value_kind:     by_value
      - .address_space:  global
        .offset:         16
        .size:           8
        .value_kind:     global_buffer
      - .address_space:  global
        .offset:         24
        .size:           8
        .value_kind:     global_buffer
      - .offset:         32
        .size:           4
        .value_kind:     by_value
      - .offset:         40
        .size:           8
        .value_kind:     by_value
      - .address_space:  global
        .offset:         48
        .size:           8
        .value_kind:     global_buffer
      - .offset:         56
        .size:           4
        .value_kind:     by_value
      - .offset:         64
        .size:           8
        .value_kind:     by_value
      - .address_space:  global
        .offset:         72
        .size:           8
        .value_kind:     global_buffer
      - .offset:         80
        .size:           4
        .value_kind:     by_value
      - .offset:         88
        .size:           8
        .value_kind:     by_value
      - .offset:         96
        .size:           4
        .value_kind:     by_value
    .group_segment_fixed_size: 32768
    .kernarg_segment_align: 8
    .kernarg_segment_size: 100
    .language:       OpenCL C
    .language_version:
      - 2
      - 0
    .max_flat_workgroup_size: 1024
    .name:           _ZL26rocblas_syr2k_her2k_kernelIiLb1ELb0ELb1ELi32EPK19rocblas_complex_numIdES3_PS1_EvbiT_T4_T5_S5_lS7_S5_lT6_S5_li
    .private_segment_fixed_size: 0
    .sgpr_count:     30
    .sgpr_spill_count: 0
    .symbol:         _ZL26rocblas_syr2k_her2k_kernelIiLb1ELb0ELb1ELi32EPK19rocblas_complex_numIdES3_PS1_EvbiT_T4_T5_S5_lS7_S5_lT6_S5_li.kd
    .uniform_work_group_size: 1
    .uses_dynamic_stack: false
    .vgpr_count:     66
    .vgpr_spill_count: 0
    .wavefront_size: 32
    .workgroup_processor_mode: 1
  - .args:
      - .offset:         0
        .size:           1
        .value_kind:     by_value
      - .offset:         4
        .size:           4
        .value_kind:     by_value
      - .offset:         8
        .size:           4
        .value_kind:     by_value
      - .offset:         12
        .size:           4
        .value_kind:     by_value
      - .address_space:  global
        .offset:         16
        .size:           8
        .value_kind:     global_buffer
      - .offset:         24
        .size:           4
        .value_kind:     by_value
      - .offset:         32
        .size:           8
        .value_kind:     by_value
      - .address_space:  global
        .offset:         40
        .size:           8
        .value_kind:     global_buffer
      - .offset:         48
        .size:           4
        .value_kind:     by_value
      - .offset:         56
        .size:           8
        .value_kind:     by_value
      - .address_space:  global
        .offset:         64
        .size:           8
        .value_kind:     global_buffer
      - .offset:         72
        .size:           4
        .value_kind:     by_value
      - .offset:         80
        .size:           8
        .value_kind:     by_value
      - .offset:         88
        .size:           4
        .value_kind:     by_value
    .group_segment_fixed_size: 8192
    .kernarg_segment_align: 8
    .kernarg_segment_size: 92
    .language:       OpenCL C
    .language_version:
      - 2
      - 0
    .max_flat_workgroup_size: 1024
    .name:           _ZL26rocblas_syr2k_her2k_kernelIiLb1ELb0ELb0ELi32EfPKPKfPKPfEvbiT_T4_T5_S7_lS9_S7_lT6_S7_li
    .private_segment_fixed_size: 0
    .sgpr_count:     27
    .sgpr_spill_count: 0
    .symbol:         _ZL26rocblas_syr2k_her2k_kernelIiLb1ELb0ELb0ELi32EfPKPKfPKPfEvbiT_T4_T5_S7_lS9_S7_lT6_S7_li.kd
    .uniform_work_group_size: 1
    .uses_dynamic_stack: false
    .vgpr_count:     37
    .vgpr_spill_count: 0
    .wavefront_size: 32
    .workgroup_processor_mode: 1
  - .args:
      - .offset:         0
        .size:           1
        .value_kind:     by_value
      - .offset:         4
        .size:           4
        .value_kind:     by_value
      - .offset:         8
        .size:           4
        .value_kind:     by_value
      - .offset:         12
        .size:           4
        .value_kind:     by_value
      - .address_space:  global
        .offset:         16
        .size:           8
        .value_kind:     global_buffer
      - .offset:         24
        .size:           4
        .value_kind:     by_value
      - .offset:         32
        .size:           8
        .value_kind:     by_value
      - .address_space:  global
        .offset:         40
        .size:           8
        .value_kind:     global_buffer
      - .offset:         48
        .size:           4
        .value_kind:     by_value
      - .offset:         56
        .size:           8
        .value_kind:     by_value
      - .address_space:  global
        .offset:         64
        .size:           8
        .value_kind:     global_buffer
      - .offset:         72
        .size:           4
        .value_kind:     by_value
      - .offset:         80
        .size:           8
        .value_kind:     by_value
      - .offset:         88
        .size:           4
        .value_kind:     by_value
    .group_segment_fixed_size: 8192
    .kernarg_segment_align: 8
    .kernarg_segment_size: 92
    .language:       OpenCL C
    .language_version:
      - 2
      - 0
    .max_flat_workgroup_size: 1024
    .name:           _ZL26rocblas_syr2k_her2k_kernelIiLb1ELb0ELb1ELi32EfPKPKfPKPfEvbiT_T4_T5_S7_lS9_S7_lT6_S7_li
    .private_segment_fixed_size: 0
    .sgpr_count:     27
    .sgpr_spill_count: 0
    .symbol:         _ZL26rocblas_syr2k_her2k_kernelIiLb1ELb0ELb1ELi32EfPKPKfPKPfEvbiT_T4_T5_S7_lS9_S7_lT6_S7_li.kd
    .uniform_work_group_size: 1
    .uses_dynamic_stack: false
    .vgpr_count:     39
    .vgpr_spill_count: 0
    .wavefront_size: 32
    .workgroup_processor_mode: 1
  - .args:
      - .offset:         0
        .size:           1
        .value_kind:     by_value
      - .offset:         4
        .size:           4
        .value_kind:     by_value
      - .offset:         8
        .size:           4
        .value_kind:     by_value
      - .address_space:  global
        .offset:         16
        .size:           8
        .value_kind:     global_buffer
      - .address_space:  global
        .offset:         24
        .size:           8
        .value_kind:     global_buffer
      - .offset:         32
        .size:           4
        .value_kind:     by_value
      - .offset:         40
        .size:           8
        .value_kind:     by_value
      - .address_space:  global
        .offset:         48
        .size:           8
        .value_kind:     global_buffer
      - .offset:         56
        .size:           4
        .value_kind:     by_value
      - .offset:         64
        .size:           8
        .value_kind:     by_value
      - .address_space:  global
        .offset:         72
        .size:           8
        .value_kind:     global_buffer
      - .offset:         80
        .size:           4
        .value_kind:     by_value
      - .offset:         88
        .size:           8
        .value_kind:     by_value
      - .offset:         96
        .size:           4
        .value_kind:     by_value
    .group_segment_fixed_size: 8192
    .kernarg_segment_align: 8
    .kernarg_segment_size: 100
    .language:       OpenCL C
    .language_version:
      - 2
      - 0
    .max_flat_workgroup_size: 1024
    .name:           _ZL26rocblas_syr2k_her2k_kernelIiLb1ELb0ELb0ELi32EPKfPKS1_PKPfEvbiT_T4_T5_S7_lS9_S7_lT6_S7_li
    .private_segment_fixed_size: 0
    .sgpr_count:     28
    .sgpr_spill_count: 0
    .symbol:         _ZL26rocblas_syr2k_her2k_kernelIiLb1ELb0ELb0ELi32EPKfPKS1_PKPfEvbiT_T4_T5_S7_lS9_S7_lT6_S7_li.kd
    .uniform_work_group_size: 1
    .uses_dynamic_stack: false
    .vgpr_count:     37
    .vgpr_spill_count: 0
    .wavefront_size: 32
    .workgroup_processor_mode: 1
  - .args:
      - .offset:         0
        .size:           1
        .value_kind:     by_value
      - .offset:         4
        .size:           4
        .value_kind:     by_value
      - .offset:         8
        .size:           4
        .value_kind:     by_value
      - .address_space:  global
        .offset:         16
        .size:           8
        .value_kind:     global_buffer
      - .address_space:  global
        .offset:         24
        .size:           8
        .value_kind:     global_buffer
      - .offset:         32
        .size:           4
        .value_kind:     by_value
      - .offset:         40
        .size:           8
        .value_kind:     by_value
      - .address_space:  global
        .offset:         48
        .size:           8
        .value_kind:     global_buffer
      - .offset:         56
        .size:           4
        .value_kind:     by_value
      - .offset:         64
        .size:           8
        .value_kind:     by_value
      - .address_space:  global
        .offset:         72
        .size:           8
        .value_kind:     global_buffer
      - .offset:         80
        .size:           4
        .value_kind:     by_value
      - .offset:         88
        .size:           8
        .value_kind:     by_value
      - .offset:         96
        .size:           4
        .value_kind:     by_value
    .group_segment_fixed_size: 8192
    .kernarg_segment_align: 8
    .kernarg_segment_size: 100
    .language:       OpenCL C
    .language_version:
      - 2
      - 0
    .max_flat_workgroup_size: 1024
    .name:           _ZL26rocblas_syr2k_her2k_kernelIiLb1ELb0ELb1ELi32EPKfPKS1_PKPfEvbiT_T4_T5_S7_lS9_S7_lT6_S7_li
    .private_segment_fixed_size: 0
    .sgpr_count:     28
    .sgpr_spill_count: 0
    .symbol:         _ZL26rocblas_syr2k_her2k_kernelIiLb1ELb0ELb1ELi32EPKfPKS1_PKPfEvbiT_T4_T5_S7_lS9_S7_lT6_S7_li.kd
    .uniform_work_group_size: 1
    .uses_dynamic_stack: false
    .vgpr_count:     39
    .vgpr_spill_count: 0
    .wavefront_size: 32
    .workgroup_processor_mode: 1
  - .args:
      - .offset:         0
        .size:           1
        .value_kind:     by_value
      - .offset:         4
        .size:           4
        .value_kind:     by_value
      - .offset:         8
        .size:           4
        .value_kind:     by_value
      - .offset:         16
        .size:           8
        .value_kind:     by_value
      - .address_space:  global
        .offset:         24
        .size:           8
        .value_kind:     global_buffer
      - .offset:         32
        .size:           4
        .value_kind:     by_value
      - .offset:         40
        .size:           8
        .value_kind:     by_value
      - .address_space:  global
        .offset:         48
        .size:           8
        .value_kind:     global_buffer
      - .offset:         56
        .size:           4
        .value_kind:     by_value
      - .offset:         64
        .size:           8
        .value_kind:     by_value
      - .address_space:  global
        .offset:         72
        .size:           8
        .value_kind:     global_buffer
      - .offset:         80
        .size:           4
        .value_kind:     by_value
      - .offset:         88
        .size:           8
        .value_kind:     by_value
      - .offset:         96
        .size:           4
        .value_kind:     by_value
    .group_segment_fixed_size: 16384
    .kernarg_segment_align: 8
    .kernarg_segment_size: 100
    .language:       OpenCL C
    .language_version:
      - 2
      - 0
    .max_flat_workgroup_size: 1024
    .name:           _ZL26rocblas_syr2k_her2k_kernelIiLb1ELb0ELb0ELi32EdPKPKdPKPdEvbiT_T4_T5_S7_lS9_S7_lT6_S7_li
    .private_segment_fixed_size: 0
    .sgpr_count:     29
    .sgpr_spill_count: 0
    .symbol:         _ZL26rocblas_syr2k_her2k_kernelIiLb1ELb0ELb0ELi32EdPKPKdPKPdEvbiT_T4_T5_S7_lS9_S7_lT6_S7_li.kd
    .uniform_work_group_size: 1
    .uses_dynamic_stack: false
    .vgpr_count:     37
    .vgpr_spill_count: 0
    .wavefront_size: 32
    .workgroup_processor_mode: 1
  - .args:
      - .offset:         0
        .size:           1
        .value_kind:     by_value
      - .offset:         4
        .size:           4
        .value_kind:     by_value
      - .offset:         8
        .size:           4
        .value_kind:     by_value
      - .offset:         16
        .size:           8
        .value_kind:     by_value
      - .address_space:  global
        .offset:         24
        .size:           8
        .value_kind:     global_buffer
      - .offset:         32
        .size:           4
        .value_kind:     by_value
      - .offset:         40
        .size:           8
        .value_kind:     by_value
      - .address_space:  global
        .offset:         48
        .size:           8
        .value_kind:     global_buffer
      - .offset:         56
        .size:           4
        .value_kind:     by_value
      - .offset:         64
        .size:           8
        .value_kind:     by_value
      - .address_space:  global
        .offset:         72
        .size:           8
        .value_kind:     global_buffer
      - .offset:         80
        .size:           4
        .value_kind:     by_value
      - .offset:         88
        .size:           8
        .value_kind:     by_value
      - .offset:         96
        .size:           4
        .value_kind:     by_value
    .group_segment_fixed_size: 16384
    .kernarg_segment_align: 8
    .kernarg_segment_size: 100
    .language:       OpenCL C
    .language_version:
      - 2
      - 0
    .max_flat_workgroup_size: 1024
    .name:           _ZL26rocblas_syr2k_her2k_kernelIiLb1ELb0ELb1ELi32EdPKPKdPKPdEvbiT_T4_T5_S7_lS9_S7_lT6_S7_li
    .private_segment_fixed_size: 0
    .sgpr_count:     29
    .sgpr_spill_count: 0
    .symbol:         _ZL26rocblas_syr2k_her2k_kernelIiLb1ELb0ELb1ELi32EdPKPKdPKPdEvbiT_T4_T5_S7_lS9_S7_lT6_S7_li.kd
    .uniform_work_group_size: 1
    .uses_dynamic_stack: false
    .vgpr_count:     39
    .vgpr_spill_count: 0
    .wavefront_size: 32
    .workgroup_processor_mode: 1
  - .args:
      - .offset:         0
        .size:           1
        .value_kind:     by_value
      - .offset:         4
        .size:           4
        .value_kind:     by_value
      - .offset:         8
        .size:           4
        .value_kind:     by_value
      - .address_space:  global
        .offset:         16
        .size:           8
        .value_kind:     global_buffer
      - .address_space:  global
        .offset:         24
        .size:           8
        .value_kind:     global_buffer
      - .offset:         32
        .size:           4
        .value_kind:     by_value
      - .offset:         40
        .size:           8
        .value_kind:     by_value
      - .address_space:  global
        .offset:         48
        .size:           8
        .value_kind:     global_buffer
      - .offset:         56
        .size:           4
        .value_kind:     by_value
      - .offset:         64
        .size:           8
        .value_kind:     by_value
      - .address_space:  global
        .offset:         72
        .size:           8
        .value_kind:     global_buffer
      - .offset:         80
        .size:           4
        .value_kind:     by_value
      - .offset:         88
        .size:           8
        .value_kind:     by_value
      - .offset:         96
        .size:           4
        .value_kind:     by_value
    .group_segment_fixed_size: 16384
    .kernarg_segment_align: 8
    .kernarg_segment_size: 100
    .language:       OpenCL C
    .language_version:
      - 2
      - 0
    .max_flat_workgroup_size: 1024
    .name:           _ZL26rocblas_syr2k_her2k_kernelIiLb1ELb0ELb0ELi32EPKdPKS1_PKPdEvbiT_T4_T5_S7_lS9_S7_lT6_S7_li
    .private_segment_fixed_size: 0
    .sgpr_count:     29
    .sgpr_spill_count: 0
    .symbol:         _ZL26rocblas_syr2k_her2k_kernelIiLb1ELb0ELb0ELi32EPKdPKS1_PKPdEvbiT_T4_T5_S7_lS9_S7_lT6_S7_li.kd
    .uniform_work_group_size: 1
    .uses_dynamic_stack: false
    .vgpr_count:     37
    .vgpr_spill_count: 0
    .wavefront_size: 32
    .workgroup_processor_mode: 1
  - .args:
      - .offset:         0
        .size:           1
        .value_kind:     by_value
      - .offset:         4
        .size:           4
        .value_kind:     by_value
      - .offset:         8
        .size:           4
        .value_kind:     by_value
      - .address_space:  global
        .offset:         16
        .size:           8
        .value_kind:     global_buffer
      - .address_space:  global
        .offset:         24
        .size:           8
        .value_kind:     global_buffer
      - .offset:         32
        .size:           4
        .value_kind:     by_value
      - .offset:         40
        .size:           8
        .value_kind:     by_value
      - .address_space:  global
        .offset:         48
        .size:           8
        .value_kind:     global_buffer
      - .offset:         56
        .size:           4
        .value_kind:     by_value
      - .offset:         64
        .size:           8
        .value_kind:     by_value
      - .address_space:  global
        .offset:         72
        .size:           8
        .value_kind:     global_buffer
      - .offset:         80
        .size:           4
        .value_kind:     by_value
      - .offset:         88
        .size:           8
        .value_kind:     by_value
      - .offset:         96
        .size:           4
        .value_kind:     by_value
    .group_segment_fixed_size: 16384
    .kernarg_segment_align: 8
    .kernarg_segment_size: 100
    .language:       OpenCL C
    .language_version:
      - 2
      - 0
    .max_flat_workgroup_size: 1024
    .name:           _ZL26rocblas_syr2k_her2k_kernelIiLb1ELb0ELb1ELi32EPKdPKS1_PKPdEvbiT_T4_T5_S7_lS9_S7_lT6_S7_li
    .private_segment_fixed_size: 0
    .sgpr_count:     29
    .sgpr_spill_count: 0
    .symbol:         _ZL26rocblas_syr2k_her2k_kernelIiLb1ELb0ELb1ELi32EPKdPKS1_PKPdEvbiT_T4_T5_S7_lS9_S7_lT6_S7_li.kd
    .uniform_work_group_size: 1
    .uses_dynamic_stack: false
    .vgpr_count:     39
    .vgpr_spill_count: 0
    .wavefront_size: 32
    .workgroup_processor_mode: 1
  - .args:
      - .offset:         0
        .size:           1
        .value_kind:     by_value
      - .offset:         4
        .size:           4
        .value_kind:     by_value
      - .offset:         8
        .size:           4
        .value_kind:     by_value
      - .offset:         12
        .size:           8
        .value_kind:     by_value
      - .address_space:  global
        .offset:         24
        .size:           8
        .value_kind:     global_buffer
      - .offset:         32
        .size:           4
        .value_kind:     by_value
      - .offset:         40
        .size:           8
        .value_kind:     by_value
      - .address_space:  global
        .offset:         48
        .size:           8
        .value_kind:     global_buffer
      - .offset:         56
        .size:           4
        .value_kind:     by_value
      - .offset:         64
        .size:           8
        .value_kind:     by_value
      - .address_space:  global
        .offset:         72
        .size:           8
        .value_kind:     global_buffer
      - .offset:         80
        .size:           4
        .value_kind:     by_value
      - .offset:         88
        .size:           8
        .value_kind:     by_value
      - .offset:         96
        .size:           4
        .value_kind:     by_value
    .group_segment_fixed_size: 16384
    .kernarg_segment_align: 8
    .kernarg_segment_size: 100
    .language:       OpenCL C
    .language_version:
      - 2
      - 0
    .max_flat_workgroup_size: 1024
    .name:           _ZL26rocblas_syr2k_her2k_kernelIiLb1ELb0ELb0ELi32E19rocblas_complex_numIfEPKPKS1_PKPS1_EvbiT_T4_T5_S9_lSB_S9_lT6_S9_li
    .private_segment_fixed_size: 0
    .sgpr_count:     27
    .sgpr_spill_count: 0
    .symbol:         _ZL26rocblas_syr2k_her2k_kernelIiLb1ELb0ELb0ELi32E19rocblas_complex_numIfEPKPKS1_PKPS1_EvbiT_T4_T5_S9_lSB_S9_lT6_S9_li.kd
    .uniform_work_group_size: 1
    .uses_dynamic_stack: false
    .vgpr_count:     163
    .vgpr_spill_count: 0
    .wavefront_size: 32
    .workgroup_processor_mode: 1
  - .args:
      - .offset:         0
        .size:           1
        .value_kind:     by_value
      - .offset:         4
        .size:           4
        .value_kind:     by_value
      - .offset:         8
        .size:           4
        .value_kind:     by_value
      - .offset:         12
        .size:           8
        .value_kind:     by_value
      - .address_space:  global
        .offset:         24
        .size:           8
        .value_kind:     global_buffer
      - .offset:         32
        .size:           4
        .value_kind:     by_value
      - .offset:         40
        .size:           8
        .value_kind:     by_value
      - .address_space:  global
        .offset:         48
        .size:           8
        .value_kind:     global_buffer
      - .offset:         56
        .size:           4
        .value_kind:     by_value
      - .offset:         64
        .size:           8
        .value_kind:     by_value
      - .address_space:  global
        .offset:         72
        .size:           8
        .value_kind:     global_buffer
      - .offset:         80
        .size:           4
        .value_kind:     by_value
      - .offset:         88
        .size:           8
        .value_kind:     by_value
      - .offset:         96
        .size:           4
        .value_kind:     by_value
    .group_segment_fixed_size: 16384
    .kernarg_segment_align: 8
    .kernarg_segment_size: 100
    .language:       OpenCL C
    .language_version:
      - 2
      - 0
    .max_flat_workgroup_size: 1024
    .name:           _ZL26rocblas_syr2k_her2k_kernelIiLb1ELb0ELb1ELi32E19rocblas_complex_numIfEPKPKS1_PKPS1_EvbiT_T4_T5_S9_lSB_S9_lT6_S9_li
    .private_segment_fixed_size: 0
    .sgpr_count:     27
    .sgpr_spill_count: 0
    .symbol:         _ZL26rocblas_syr2k_her2k_kernelIiLb1ELb0ELb1ELi32E19rocblas_complex_numIfEPKPKS1_PKPS1_EvbiT_T4_T5_S9_lSB_S9_lT6_S9_li.kd
    .uniform_work_group_size: 1
    .uses_dynamic_stack: false
    .vgpr_count:     163
    .vgpr_spill_count: 0
    .wavefront_size: 32
    .workgroup_processor_mode: 1
  - .args:
      - .offset:         0
        .size:           1
        .value_kind:     by_value
      - .offset:         4
        .size:           4
        .value_kind:     by_value
      - .offset:         8
        .size:           4
        .value_kind:     by_value
      - .address_space:  global
        .offset:         16
        .size:           8
        .value_kind:     global_buffer
      - .address_space:  global
        .offset:         24
        .size:           8
        .value_kind:     global_buffer
      - .offset:         32
        .size:           4
        .value_kind:     by_value
      - .offset:         40
        .size:           8
        .value_kind:     by_value
      - .address_space:  global
        .offset:         48
        .size:           8
        .value_kind:     global_buffer
      - .offset:         56
        .size:           4
        .value_kind:     by_value
      - .offset:         64
        .size:           8
        .value_kind:     by_value
      - .address_space:  global
        .offset:         72
        .size:           8
        .value_kind:     global_buffer
      - .offset:         80
        .size:           4
        .value_kind:     by_value
      - .offset:         88
        .size:           8
        .value_kind:     by_value
      - .offset:         96
        .size:           4
        .value_kind:     by_value
    .group_segment_fixed_size: 16384
    .kernarg_segment_align: 8
    .kernarg_segment_size: 100
    .language:       OpenCL C
    .language_version:
      - 2
      - 0
    .max_flat_workgroup_size: 1024
    .name:           _ZL26rocblas_syr2k_her2k_kernelIiLb1ELb0ELb0ELi32EPK19rocblas_complex_numIfEPKS3_PKPS1_EvbiT_T4_T5_S9_lSB_S9_lT6_S9_li
    .private_segment_fixed_size: 0
    .sgpr_count:     29
    .sgpr_spill_count: 0
    .symbol:         _ZL26rocblas_syr2k_her2k_kernelIiLb1ELb0ELb0ELi32EPK19rocblas_complex_numIfEPKS3_PKPS1_EvbiT_T4_T5_S9_lSB_S9_lT6_S9_li.kd
    .uniform_work_group_size: 1
    .uses_dynamic_stack: false
    .vgpr_count:     163
    .vgpr_spill_count: 0
    .wavefront_size: 32
    .workgroup_processor_mode: 1
  - .args:
      - .offset:         0
        .size:           1
        .value_kind:     by_value
      - .offset:         4
        .size:           4
        .value_kind:     by_value
      - .offset:         8
        .size:           4
        .value_kind:     by_value
      - .address_space:  global
        .offset:         16
        .size:           8
        .value_kind:     global_buffer
      - .address_space:  global
        .offset:         24
        .size:           8
        .value_kind:     global_buffer
      - .offset:         32
        .size:           4
        .value_kind:     by_value
      - .offset:         40
        .size:           8
        .value_kind:     by_value
      - .address_space:  global
        .offset:         48
        .size:           8
        .value_kind:     global_buffer
      - .offset:         56
        .size:           4
        .value_kind:     by_value
      - .offset:         64
        .size:           8
        .value_kind:     by_value
      - .address_space:  global
        .offset:         72
        .size:           8
        .value_kind:     global_buffer
      - .offset:         80
        .size:           4
        .value_kind:     by_value
      - .offset:         88
        .size:           8
        .value_kind:     by_value
      - .offset:         96
        .size:           4
        .value_kind:     by_value
    .group_segment_fixed_size: 16384
    .kernarg_segment_align: 8
    .kernarg_segment_size: 100
    .language:       OpenCL C
    .language_version:
      - 2
      - 0
    .max_flat_workgroup_size: 1024
    .name:           _ZL26rocblas_syr2k_her2k_kernelIiLb1ELb0ELb1ELi32EPK19rocblas_complex_numIfEPKS3_PKPS1_EvbiT_T4_T5_S9_lSB_S9_lT6_S9_li
    .private_segment_fixed_size: 0
    .sgpr_count:     29
    .sgpr_spill_count: 0
    .symbol:         _ZL26rocblas_syr2k_her2k_kernelIiLb1ELb0ELb1ELi32EPK19rocblas_complex_numIfEPKS3_PKPS1_EvbiT_T4_T5_S9_lSB_S9_lT6_S9_li.kd
    .uniform_work_group_size: 1
    .uses_dynamic_stack: false
    .vgpr_count:     163
    .vgpr_spill_count: 0
    .wavefront_size: 32
    .workgroup_processor_mode: 1
  - .args:
      - .offset:         0
        .size:           1
        .value_kind:     by_value
      - .offset:         4
        .size:           4
        .value_kind:     by_value
      - .offset:         8
        .size:           4
        .value_kind:     by_value
      - .offset:         16
        .size:           16
        .value_kind:     by_value
      - .address_space:  global
        .offset:         32
        .size:           8
        .value_kind:     global_buffer
      - .offset:         40
        .size:           4
        .value_kind:     by_value
      - .offset:         48
        .size:           8
        .value_kind:     by_value
      - .address_space:  global
        .offset:         56
        .size:           8
        .value_kind:     global_buffer
      - .offset:         64
        .size:           4
        .value_kind:     by_value
      - .offset:         72
        .size:           8
        .value_kind:     by_value
      - .address_space:  global
        .offset:         80
        .size:           8
        .value_kind:     global_buffer
      - .offset:         88
        .size:           4
        .value_kind:     by_value
      - .offset:         96
        .size:           8
        .value_kind:     by_value
      - .offset:         104
        .size:           4
        .value_kind:     by_value
    .group_segment_fixed_size: 32768
    .kernarg_segment_align: 8
    .kernarg_segment_size: 108
    .language:       OpenCL C
    .language_version:
      - 2
      - 0
    .max_flat_workgroup_size: 1024
    .name:           _ZL26rocblas_syr2k_her2k_kernelIiLb1ELb0ELb0ELi32E19rocblas_complex_numIdEPKPKS1_PKPS1_EvbiT_T4_T5_S9_lSB_S9_lT6_S9_li
    .private_segment_fixed_size: 0
    .sgpr_count:     29
    .sgpr_spill_count: 0
    .symbol:         _ZL26rocblas_syr2k_her2k_kernelIiLb1ELb0ELb0ELi32E19rocblas_complex_numIdEPKPKS1_PKPS1_EvbiT_T4_T5_S9_lSB_S9_lT6_S9_li.kd
    .uniform_work_group_size: 1
    .uses_dynamic_stack: false
    .vgpr_count:     64
    .vgpr_spill_count: 0
    .wavefront_size: 32
    .workgroup_processor_mode: 1
  - .args:
      - .offset:         0
        .size:           1
        .value_kind:     by_value
      - .offset:         4
        .size:           4
        .value_kind:     by_value
      - .offset:         8
        .size:           4
        .value_kind:     by_value
      - .offset:         16
        .size:           16
        .value_kind:     by_value
      - .address_space:  global
        .offset:         32
        .size:           8
        .value_kind:     global_buffer
      - .offset:         40
        .size:           4
        .value_kind:     by_value
      - .offset:         48
        .size:           8
        .value_kind:     by_value
      - .address_space:  global
        .offset:         56
        .size:           8
        .value_kind:     global_buffer
      - .offset:         64
        .size:           4
        .value_kind:     by_value
      - .offset:         72
        .size:           8
        .value_kind:     by_value
      - .address_space:  global
        .offset:         80
        .size:           8
        .value_kind:     global_buffer
      - .offset:         88
        .size:           4
        .value_kind:     by_value
      - .offset:         96
        .size:           8
        .value_kind:     by_value
      - .offset:         104
        .size:           4
        .value_kind:     by_value
    .group_segment_fixed_size: 32768
    .kernarg_segment_align: 8
    .kernarg_segment_size: 108
    .language:       OpenCL C
    .language_version:
      - 2
      - 0
    .max_flat_workgroup_size: 1024
    .name:           _ZL26rocblas_syr2k_her2k_kernelIiLb1ELb0ELb1ELi32E19rocblas_complex_numIdEPKPKS1_PKPS1_EvbiT_T4_T5_S9_lSB_S9_lT6_S9_li
    .private_segment_fixed_size: 0
    .sgpr_count:     29
    .sgpr_spill_count: 0
    .symbol:         _ZL26rocblas_syr2k_her2k_kernelIiLb1ELb0ELb1ELi32E19rocblas_complex_numIdEPKPKS1_PKPS1_EvbiT_T4_T5_S9_lSB_S9_lT6_S9_li.kd
    .uniform_work_group_size: 1
    .uses_dynamic_stack: false
    .vgpr_count:     66
    .vgpr_spill_count: 0
    .wavefront_size: 32
    .workgroup_processor_mode: 1
  - .args:
      - .offset:         0
        .size:           1
        .value_kind:     by_value
      - .offset:         4
        .size:           4
        .value_kind:     by_value
      - .offset:         8
        .size:           4
        .value_kind:     by_value
      - .address_space:  global
        .offset:         16
        .size:           8
        .value_kind:     global_buffer
      - .address_space:  global
        .offset:         24
        .size:           8
        .value_kind:     global_buffer
      - .offset:         32
        .size:           4
        .value_kind:     by_value
      - .offset:         40
        .size:           8
        .value_kind:     by_value
      - .address_space:  global
        .offset:         48
        .size:           8
        .value_kind:     global_buffer
      - .offset:         56
        .size:           4
        .value_kind:     by_value
      - .offset:         64
        .size:           8
        .value_kind:     by_value
      - .address_space:  global
        .offset:         72
        .size:           8
        .value_kind:     global_buffer
      - .offset:         80
        .size:           4
        .value_kind:     by_value
      - .offset:         88
        .size:           8
        .value_kind:     by_value
      - .offset:         96
        .size:           4
        .value_kind:     by_value
    .group_segment_fixed_size: 32768
    .kernarg_segment_align: 8
    .kernarg_segment_size: 100
    .language:       OpenCL C
    .language_version:
      - 2
      - 0
    .max_flat_workgroup_size: 1024
    .name:           _ZL26rocblas_syr2k_her2k_kernelIiLb1ELb0ELb0ELi32EPK19rocblas_complex_numIdEPKS3_PKPS1_EvbiT_T4_T5_S9_lSB_S9_lT6_S9_li
    .private_segment_fixed_size: 0
    .sgpr_count:     31
    .sgpr_spill_count: 0
    .symbol:         _ZL26rocblas_syr2k_her2k_kernelIiLb1ELb0ELb0ELi32EPK19rocblas_complex_numIdEPKS3_PKPS1_EvbiT_T4_T5_S9_lSB_S9_lT6_S9_li.kd
    .uniform_work_group_size: 1
    .uses_dynamic_stack: false
    .vgpr_count:     64
    .vgpr_spill_count: 0
    .wavefront_size: 32
    .workgroup_processor_mode: 1
  - .args:
      - .offset:         0
        .size:           1
        .value_kind:     by_value
      - .offset:         4
        .size:           4
        .value_kind:     by_value
      - .offset:         8
        .size:           4
        .value_kind:     by_value
      - .address_space:  global
        .offset:         16
        .size:           8
        .value_kind:     global_buffer
      - .address_space:  global
        .offset:         24
        .size:           8
        .value_kind:     global_buffer
      - .offset:         32
        .size:           4
        .value_kind:     by_value
      - .offset:         40
        .size:           8
        .value_kind:     by_value
      - .address_space:  global
        .offset:         48
        .size:           8
        .value_kind:     global_buffer
      - .offset:         56
        .size:           4
        .value_kind:     by_value
      - .offset:         64
        .size:           8
        .value_kind:     by_value
      - .address_space:  global
        .offset:         72
        .size:           8
        .value_kind:     global_buffer
      - .offset:         80
        .size:           4
        .value_kind:     by_value
      - .offset:         88
        .size:           8
        .value_kind:     by_value
      - .offset:         96
        .size:           4
        .value_kind:     by_value
    .group_segment_fixed_size: 32768
    .kernarg_segment_align: 8
    .kernarg_segment_size: 100
    .language:       OpenCL C
    .language_version:
      - 2
      - 0
    .max_flat_workgroup_size: 1024
    .name:           _ZL26rocblas_syr2k_her2k_kernelIiLb1ELb0ELb1ELi32EPK19rocblas_complex_numIdEPKS3_PKPS1_EvbiT_T4_T5_S9_lSB_S9_lT6_S9_li
    .private_segment_fixed_size: 0
    .sgpr_count:     31
    .sgpr_spill_count: 0
    .symbol:         _ZL26rocblas_syr2k_her2k_kernelIiLb1ELb0ELb1ELi32EPK19rocblas_complex_numIdEPKS3_PKPS1_EvbiT_T4_T5_S9_lSB_S9_lT6_S9_li.kd
    .uniform_work_group_size: 1
    .uses_dynamic_stack: false
    .vgpr_count:     66
    .vgpr_spill_count: 0
    .wavefront_size: 32
    .workgroup_processor_mode: 1
  - .args:
      - .offset:         0
        .size:           1
        .value_kind:     by_value
      - .offset:         4
        .size:           4
        .value_kind:     by_value
      - .offset:         8
        .size:           4
        .value_kind:     by_value
      - .offset:         12
        .size:           8
        .value_kind:     by_value
      - .address_space:  global
        .offset:         24
        .size:           8
        .value_kind:     global_buffer
      - .offset:         32
        .size:           4
        .value_kind:     by_value
      - .offset:         40
        .size:           8
        .value_kind:     by_value
      - .address_space:  global
        .offset:         48
        .size:           8
        .value_kind:     global_buffer
      - .offset:         56
        .size:           4
        .value_kind:     by_value
      - .offset:         64
        .size:           8
        .value_kind:     by_value
      - .address_space:  global
        .offset:         72
        .size:           8
        .value_kind:     global_buffer
      - .offset:         80
        .size:           4
        .value_kind:     by_value
      - .offset:         88
        .size:           8
        .value_kind:     by_value
      - .offset:         96
        .size:           4
        .value_kind:     by_value
    .group_segment_fixed_size: 16384
    .kernarg_segment_align: 8
    .kernarg_segment_size: 100
    .language:       OpenCL C
    .language_version:
      - 2
      - 0
    .max_flat_workgroup_size: 1024
    .name:           _ZL26rocblas_syr2k_her2k_kernelIiLb1ELb1ELb0ELi32E19rocblas_complex_numIfEPKS1_PS1_EvbiT_T4_T5_S5_lS7_S5_lT6_S5_li
    .private_segment_fixed_size: 0
    .sgpr_count:     26
    .sgpr_spill_count: 0
    .symbol:         _ZL26rocblas_syr2k_her2k_kernelIiLb1ELb1ELb0ELi32E19rocblas_complex_numIfEPKS1_PS1_EvbiT_T4_T5_S5_lS7_S5_lT6_S5_li.kd
    .uniform_work_group_size: 1
    .uses_dynamic_stack: false
    .vgpr_count:     42
    .vgpr_spill_count: 0
    .wavefront_size: 32
    .workgroup_processor_mode: 1
  - .args:
      - .offset:         0
        .size:           1
        .value_kind:     by_value
      - .offset:         4
        .size:           4
        .value_kind:     by_value
      - .offset:         8
        .size:           4
        .value_kind:     by_value
      - .offset:         12
        .size:           8
        .value_kind:     by_value
      - .address_space:  global
        .offset:         24
        .size:           8
        .value_kind:     global_buffer
      - .offset:         32
        .size:           4
        .value_kind:     by_value
      - .offset:         40
        .size:           8
        .value_kind:     by_value
      - .address_space:  global
        .offset:         48
        .size:           8
        .value_kind:     global_buffer
      - .offset:         56
        .size:           4
        .value_kind:     by_value
      - .offset:         64
        .size:           8
        .value_kind:     by_value
      - .address_space:  global
        .offset:         72
        .size:           8
        .value_kind:     global_buffer
      - .offset:         80
        .size:           4
        .value_kind:     by_value
      - .offset:         88
        .size:           8
        .value_kind:     by_value
      - .offset:         96
        .size:           4
        .value_kind:     by_value
    .group_segment_fixed_size: 16384
    .kernarg_segment_align: 8
    .kernarg_segment_size: 100
    .language:       OpenCL C
    .language_version:
      - 2
      - 0
    .max_flat_workgroup_size: 1024
    .name:           _ZL26rocblas_syr2k_her2k_kernelIiLb1ELb1ELb1ELi32E19rocblas_complex_numIfEPKS1_PS1_EvbiT_T4_T5_S5_lS7_S5_lT6_S5_li
    .private_segment_fixed_size: 0
    .sgpr_count:     24
    .sgpr_spill_count: 0
    .symbol:         _ZL26rocblas_syr2k_her2k_kernelIiLb1ELb1ELb1ELi32E19rocblas_complex_numIfEPKS1_PS1_EvbiT_T4_T5_S5_lS7_S5_lT6_S5_li.kd
    .uniform_work_group_size: 1
    .uses_dynamic_stack: false
    .vgpr_count:     42
    .vgpr_spill_count: 0
    .wavefront_size: 32
    .workgroup_processor_mode: 1
  - .args:
      - .offset:         0
        .size:           1
        .value_kind:     by_value
      - .offset:         4
        .size:           4
        .value_kind:     by_value
      - .offset:         8
        .size:           4
        .value_kind:     by_value
      - .address_space:  global
        .offset:         16
        .size:           8
        .value_kind:     global_buffer
      - .address_space:  global
        .offset:         24
        .size:           8
        .value_kind:     global_buffer
      - .offset:         32
        .size:           4
        .value_kind:     by_value
      - .offset:         40
        .size:           8
        .value_kind:     by_value
      - .address_space:  global
        .offset:         48
        .size:           8
        .value_kind:     global_buffer
      - .offset:         56
        .size:           4
        .value_kind:     by_value
      - .offset:         64
        .size:           8
        .value_kind:     by_value
      - .address_space:  global
        .offset:         72
        .size:           8
        .value_kind:     global_buffer
      - .offset:         80
        .size:           4
        .value_kind:     by_value
      - .offset:         88
        .size:           8
        .value_kind:     by_value
      - .offset:         96
        .size:           4
        .value_kind:     by_value
    .group_segment_fixed_size: 16384
    .kernarg_segment_align: 8
    .kernarg_segment_size: 100
    .language:       OpenCL C
    .language_version:
      - 2
      - 0
    .max_flat_workgroup_size: 1024
    .name:           _ZL26rocblas_syr2k_her2k_kernelIiLb1ELb1ELb0ELi32EPK19rocblas_complex_numIfES3_PS1_EvbiT_T4_T5_S5_lS7_S5_lT6_S5_li
    .private_segment_fixed_size: 0
    .sgpr_count:     26
    .sgpr_spill_count: 0
    .symbol:         _ZL26rocblas_syr2k_her2k_kernelIiLb1ELb1ELb0ELi32EPK19rocblas_complex_numIfES3_PS1_EvbiT_T4_T5_S5_lS7_S5_lT6_S5_li.kd
    .uniform_work_group_size: 1
    .uses_dynamic_stack: false
    .vgpr_count:     42
    .vgpr_spill_count: 0
    .wavefront_size: 32
    .workgroup_processor_mode: 1
  - .args:
      - .offset:         0
        .size:           1
        .value_kind:     by_value
      - .offset:         4
        .size:           4
        .value_kind:     by_value
      - .offset:         8
        .size:           4
        .value_kind:     by_value
      - .address_space:  global
        .offset:         16
        .size:           8
        .value_kind:     global_buffer
      - .address_space:  global
        .offset:         24
        .size:           8
        .value_kind:     global_buffer
      - .offset:         32
        .size:           4
        .value_kind:     by_value
      - .offset:         40
        .size:           8
        .value_kind:     by_value
      - .address_space:  global
        .offset:         48
        .size:           8
        .value_kind:     global_buffer
      - .offset:         56
        .size:           4
        .value_kind:     by_value
      - .offset:         64
        .size:           8
        .value_kind:     by_value
      - .address_space:  global
        .offset:         72
        .size:           8
        .value_kind:     global_buffer
      - .offset:         80
        .size:           4
        .value_kind:     by_value
      - .offset:         88
        .size:           8
        .value_kind:     by_value
      - .offset:         96
        .size:           4
        .value_kind:     by_value
    .group_segment_fixed_size: 16384
    .kernarg_segment_align: 8
    .kernarg_segment_size: 100
    .language:       OpenCL C
    .language_version:
      - 2
      - 0
    .max_flat_workgroup_size: 1024
    .name:           _ZL26rocblas_syr2k_her2k_kernelIiLb1ELb1ELb1ELi32EPK19rocblas_complex_numIfES3_PS1_EvbiT_T4_T5_S5_lS7_S5_lT6_S5_li
    .private_segment_fixed_size: 0
    .sgpr_count:     26
    .sgpr_spill_count: 0
    .symbol:         _ZL26rocblas_syr2k_her2k_kernelIiLb1ELb1ELb1ELi32EPK19rocblas_complex_numIfES3_PS1_EvbiT_T4_T5_S5_lS7_S5_lT6_S5_li.kd
    .uniform_work_group_size: 1
    .uses_dynamic_stack: false
    .vgpr_count:     42
    .vgpr_spill_count: 0
    .wavefront_size: 32
    .workgroup_processor_mode: 1
  - .args:
      - .offset:         0
        .size:           1
        .value_kind:     by_value
      - .offset:         4
        .size:           4
        .value_kind:     by_value
      - .offset:         8
        .size:           4
        .value_kind:     by_value
      - .offset:         16
        .size:           16
        .value_kind:     by_value
      - .address_space:  global
        .offset:         32
        .size:           8
        .value_kind:     global_buffer
      - .offset:         40
        .size:           4
        .value_kind:     by_value
      - .offset:         48
        .size:           8
        .value_kind:     by_value
      - .address_space:  global
        .offset:         56
        .size:           8
        .value_kind:     global_buffer
      - .offset:         64
        .size:           4
        .value_kind:     by_value
      - .offset:         72
        .size:           8
        .value_kind:     by_value
      - .address_space:  global
        .offset:         80
        .size:           8
        .value_kind:     global_buffer
      - .offset:         88
        .size:           4
        .value_kind:     by_value
      - .offset:         96
        .size:           8
        .value_kind:     by_value
      - .offset:         104
        .size:           4
        .value_kind:     by_value
    .group_segment_fixed_size: 32768
    .kernarg_segment_align: 8
    .kernarg_segment_size: 108
    .language:       OpenCL C
    .language_version:
      - 2
      - 0
    .max_flat_workgroup_size: 1024
    .name:           _ZL26rocblas_syr2k_her2k_kernelIiLb1ELb1ELb0ELi32E19rocblas_complex_numIdEPKS1_PS1_EvbiT_T4_T5_S5_lS7_S5_lT6_S5_li
    .private_segment_fixed_size: 0
    .sgpr_count:     28
    .sgpr_spill_count: 0
    .symbol:         _ZL26rocblas_syr2k_her2k_kernelIiLb1ELb1ELb0ELi32E19rocblas_complex_numIdEPKS1_PS1_EvbiT_T4_T5_S5_lS7_S5_lT6_S5_li.kd
    .uniform_work_group_size: 1
    .uses_dynamic_stack: false
    .vgpr_count:     64
    .vgpr_spill_count: 0
    .wavefront_size: 32
    .workgroup_processor_mode: 1
  - .args:
      - .offset:         0
        .size:           1
        .value_kind:     by_value
      - .offset:         4
        .size:           4
        .value_kind:     by_value
      - .offset:         8
        .size:           4
        .value_kind:     by_value
      - .offset:         16
        .size:           16
        .value_kind:     by_value
      - .address_space:  global
        .offset:         32
        .size:           8
        .value_kind:     global_buffer
      - .offset:         40
        .size:           4
        .value_kind:     by_value
      - .offset:         48
        .size:           8
        .value_kind:     by_value
      - .address_space:  global
        .offset:         56
        .size:           8
        .value_kind:     global_buffer
      - .offset:         64
        .size:           4
        .value_kind:     by_value
      - .offset:         72
        .size:           8
        .value_kind:     by_value
      - .address_space:  global
        .offset:         80
        .size:           8
        .value_kind:     global_buffer
      - .offset:         88
        .size:           4
        .value_kind:     by_value
      - .offset:         96
        .size:           8
        .value_kind:     by_value
      - .offset:         104
        .size:           4
        .value_kind:     by_value
    .group_segment_fixed_size: 32768
    .kernarg_segment_align: 8
    .kernarg_segment_size: 108
    .language:       OpenCL C
    .language_version:
      - 2
      - 0
    .max_flat_workgroup_size: 1024
    .name:           _ZL26rocblas_syr2k_her2k_kernelIiLb1ELb1ELb1ELi32E19rocblas_complex_numIdEPKS1_PS1_EvbiT_T4_T5_S5_lS7_S5_lT6_S5_li
    .private_segment_fixed_size: 0
    .sgpr_count:     28
    .sgpr_spill_count: 0
    .symbol:         _ZL26rocblas_syr2k_her2k_kernelIiLb1ELb1ELb1ELi32E19rocblas_complex_numIdEPKS1_PS1_EvbiT_T4_T5_S5_lS7_S5_lT6_S5_li.kd
    .uniform_work_group_size: 1
    .uses_dynamic_stack: false
    .vgpr_count:     66
    .vgpr_spill_count: 0
    .wavefront_size: 32
    .workgroup_processor_mode: 1
  - .args:
      - .offset:         0
        .size:           1
        .value_kind:     by_value
      - .offset:         4
        .size:           4
        .value_kind:     by_value
      - .offset:         8
        .size:           4
        .value_kind:     by_value
      - .address_space:  global
        .offset:         16
        .size:           8
        .value_kind:     global_buffer
      - .address_space:  global
        .offset:         24
        .size:           8
        .value_kind:     global_buffer
      - .offset:         32
        .size:           4
        .value_kind:     by_value
      - .offset:         40
        .size:           8
        .value_kind:     by_value
      - .address_space:  global
        .offset:         48
        .size:           8
        .value_kind:     global_buffer
      - .offset:         56
        .size:           4
        .value_kind:     by_value
      - .offset:         64
        .size:           8
        .value_kind:     by_value
      - .address_space:  global
        .offset:         72
        .size:           8
        .value_kind:     global_buffer
      - .offset:         80
        .size:           4
        .value_kind:     by_value
      - .offset:         88
        .size:           8
        .value_kind:     by_value
      - .offset:         96
        .size:           4
        .value_kind:     by_value
    .group_segment_fixed_size: 32768
    .kernarg_segment_align: 8
    .kernarg_segment_size: 100
    .language:       OpenCL C
    .language_version:
      - 2
      - 0
    .max_flat_workgroup_size: 1024
    .name:           _ZL26rocblas_syr2k_her2k_kernelIiLb1ELb1ELb0ELi32EPK19rocblas_complex_numIdES3_PS1_EvbiT_T4_T5_S5_lS7_S5_lT6_S5_li
    .private_segment_fixed_size: 0
    .sgpr_count:     30
    .sgpr_spill_count: 0
    .symbol:         _ZL26rocblas_syr2k_her2k_kernelIiLb1ELb1ELb0ELi32EPK19rocblas_complex_numIdES3_PS1_EvbiT_T4_T5_S5_lS7_S5_lT6_S5_li.kd
    .uniform_work_group_size: 1
    .uses_dynamic_stack: false
    .vgpr_count:     64
    .vgpr_spill_count: 0
    .wavefront_size: 32
    .workgroup_processor_mode: 1
  - .args:
      - .offset:         0
        .size:           1
        .value_kind:     by_value
      - .offset:         4
        .size:           4
        .value_kind:     by_value
      - .offset:         8
        .size:           4
        .value_kind:     by_value
      - .address_space:  global
        .offset:         16
        .size:           8
        .value_kind:     global_buffer
      - .address_space:  global
        .offset:         24
        .size:           8
        .value_kind:     global_buffer
      - .offset:         32
        .size:           4
        .value_kind:     by_value
      - .offset:         40
        .size:           8
        .value_kind:     by_value
      - .address_space:  global
        .offset:         48
        .size:           8
        .value_kind:     global_buffer
      - .offset:         56
        .size:           4
        .value_kind:     by_value
      - .offset:         64
        .size:           8
        .value_kind:     by_value
      - .address_space:  global
        .offset:         72
        .size:           8
        .value_kind:     global_buffer
      - .offset:         80
        .size:           4
        .value_kind:     by_value
      - .offset:         88
        .size:           8
        .value_kind:     by_value
      - .offset:         96
        .size:           4
        .value_kind:     by_value
    .group_segment_fixed_size: 32768
    .kernarg_segment_align: 8
    .kernarg_segment_size: 100
    .language:       OpenCL C
    .language_version:
      - 2
      - 0
    .max_flat_workgroup_size: 1024
    .name:           _ZL26rocblas_syr2k_her2k_kernelIiLb1ELb1ELb1ELi32EPK19rocblas_complex_numIdES3_PS1_EvbiT_T4_T5_S5_lS7_S5_lT6_S5_li
    .private_segment_fixed_size: 0
    .sgpr_count:     30
    .sgpr_spill_count: 0
    .symbol:         _ZL26rocblas_syr2k_her2k_kernelIiLb1ELb1ELb1ELi32EPK19rocblas_complex_numIdES3_PS1_EvbiT_T4_T5_S5_lS7_S5_lT6_S5_li.kd
    .uniform_work_group_size: 1
    .uses_dynamic_stack: false
    .vgpr_count:     66
    .vgpr_spill_count: 0
    .wavefront_size: 32
    .workgroup_processor_mode: 1
  - .args:
      - .offset:         0
        .size:           1
        .value_kind:     by_value
      - .offset:         4
        .size:           4
        .value_kind:     by_value
      - .offset:         8
        .size:           4
        .value_kind:     by_value
      - .offset:         12
        .size:           8
        .value_kind:     by_value
      - .address_space:  global
        .offset:         24
        .size:           8
        .value_kind:     global_buffer
      - .offset:         32
        .size:           4
        .value_kind:     by_value
      - .offset:         40
        .size:           8
        .value_kind:     by_value
      - .address_space:  global
        .offset:         48
        .size:           8
        .value_kind:     global_buffer
      - .offset:         56
        .size:           4
        .value_kind:     by_value
      - .offset:         64
        .size:           8
        .value_kind:     by_value
      - .address_space:  global
        .offset:         72
        .size:           8
        .value_kind:     global_buffer
      - .offset:         80
        .size:           4
        .value_kind:     by_value
      - .offset:         88
        .size:           8
        .value_kind:     by_value
      - .offset:         96
        .size:           4
        .value_kind:     by_value
    .group_segment_fixed_size: 16384
    .kernarg_segment_align: 8
    .kernarg_segment_size: 100
    .language:       OpenCL C
    .language_version:
      - 2
      - 0
    .max_flat_workgroup_size: 1024
    .name:           _ZL26rocblas_syr2k_her2k_kernelIiLb1ELb1ELb0ELi32E19rocblas_complex_numIfEPKPKS1_PKPS1_EvbiT_T4_T5_S9_lSB_S9_lT6_S9_li
    .private_segment_fixed_size: 0
    .sgpr_count:     27
    .sgpr_spill_count: 0
    .symbol:         _ZL26rocblas_syr2k_her2k_kernelIiLb1ELb1ELb0ELi32E19rocblas_complex_numIfEPKPKS1_PKPS1_EvbiT_T4_T5_S9_lSB_S9_lT6_S9_li.kd
    .uniform_work_group_size: 1
    .uses_dynamic_stack: false
    .vgpr_count:     163
    .vgpr_spill_count: 0
    .wavefront_size: 32
    .workgroup_processor_mode: 1
  - .args:
      - .offset:         0
        .size:           1
        .value_kind:     by_value
      - .offset:         4
        .size:           4
        .value_kind:     by_value
      - .offset:         8
        .size:           4
        .value_kind:     by_value
      - .offset:         12
        .size:           8
        .value_kind:     by_value
      - .address_space:  global
        .offset:         24
        .size:           8
        .value_kind:     global_buffer
      - .offset:         32
        .size:           4
        .value_kind:     by_value
      - .offset:         40
        .size:           8
        .value_kind:     by_value
      - .address_space:  global
        .offset:         48
        .size:           8
        .value_kind:     global_buffer
      - .offset:         56
        .size:           4
        .value_kind:     by_value
      - .offset:         64
        .size:           8
        .value_kind:     by_value
      - .address_space:  global
        .offset:         72
        .size:           8
        .value_kind:     global_buffer
      - .offset:         80
        .size:           4
        .value_kind:     by_value
      - .offset:         88
        .size:           8
        .value_kind:     by_value
      - .offset:         96
        .size:           4
        .value_kind:     by_value
    .group_segment_fixed_size: 16384
    .kernarg_segment_align: 8
    .kernarg_segment_size: 100
    .language:       OpenCL C
    .language_version:
      - 2
      - 0
    .max_flat_workgroup_size: 1024
    .name:           _ZL26rocblas_syr2k_her2k_kernelIiLb1ELb1ELb1ELi32E19rocblas_complex_numIfEPKPKS1_PKPS1_EvbiT_T4_T5_S9_lSB_S9_lT6_S9_li
    .private_segment_fixed_size: 0
    .sgpr_count:     27
    .sgpr_spill_count: 0
    .symbol:         _ZL26rocblas_syr2k_her2k_kernelIiLb1ELb1ELb1ELi32E19rocblas_complex_numIfEPKPKS1_PKPS1_EvbiT_T4_T5_S9_lSB_S9_lT6_S9_li.kd
    .uniform_work_group_size: 1
    .uses_dynamic_stack: false
    .vgpr_count:     163
    .vgpr_spill_count: 0
    .wavefront_size: 32
    .workgroup_processor_mode: 1
  - .args:
      - .offset:         0
        .size:           1
        .value_kind:     by_value
      - .offset:         4
        .size:           4
        .value_kind:     by_value
      - .offset:         8
        .size:           4
        .value_kind:     by_value
      - .address_space:  global
        .offset:         16
        .size:           8
        .value_kind:     global_buffer
      - .address_space:  global
        .offset:         24
        .size:           8
        .value_kind:     global_buffer
      - .offset:         32
        .size:           4
        .value_kind:     by_value
      - .offset:         40
        .size:           8
        .value_kind:     by_value
      - .address_space:  global
        .offset:         48
        .size:           8
        .value_kind:     global_buffer
      - .offset:         56
        .size:           4
        .value_kind:     by_value
      - .offset:         64
        .size:           8
        .value_kind:     by_value
      - .address_space:  global
        .offset:         72
        .size:           8
        .value_kind:     global_buffer
      - .offset:         80
        .size:           4
        .value_kind:     by_value
      - .offset:         88
        .size:           8
        .value_kind:     by_value
      - .offset:         96
        .size:           4
        .value_kind:     by_value
    .group_segment_fixed_size: 16384
    .kernarg_segment_align: 8
    .kernarg_segment_size: 100
    .language:       OpenCL C
    .language_version:
      - 2
      - 0
    .max_flat_workgroup_size: 1024
    .name:           _ZL26rocblas_syr2k_her2k_kernelIiLb1ELb1ELb0ELi32EPK19rocblas_complex_numIfEPKS3_PKPS1_EvbiT_T4_T5_S9_lSB_S9_lT6_S9_li
    .private_segment_fixed_size: 0
    .sgpr_count:     29
    .sgpr_spill_count: 0
    .symbol:         _ZL26rocblas_syr2k_her2k_kernelIiLb1ELb1ELb0ELi32EPK19rocblas_complex_numIfEPKS3_PKPS1_EvbiT_T4_T5_S9_lSB_S9_lT6_S9_li.kd
    .uniform_work_group_size: 1
    .uses_dynamic_stack: false
    .vgpr_count:     163
    .vgpr_spill_count: 0
    .wavefront_size: 32
    .workgroup_processor_mode: 1
  - .args:
      - .offset:         0
        .size:           1
        .value_kind:     by_value
      - .offset:         4
        .size:           4
        .value_kind:     by_value
      - .offset:         8
        .size:           4
        .value_kind:     by_value
      - .address_space:  global
        .offset:         16
        .size:           8
        .value_kind:     global_buffer
      - .address_space:  global
        .offset:         24
        .size:           8
        .value_kind:     global_buffer
      - .offset:         32
        .size:           4
        .value_kind:     by_value
      - .offset:         40
        .size:           8
        .value_kind:     by_value
      - .address_space:  global
        .offset:         48
        .size:           8
        .value_kind:     global_buffer
      - .offset:         56
        .size:           4
        .value_kind:     by_value
      - .offset:         64
        .size:           8
        .value_kind:     by_value
      - .address_space:  global
        .offset:         72
        .size:           8
        .value_kind:     global_buffer
      - .offset:         80
        .size:           4
        .value_kind:     by_value
      - .offset:         88
        .size:           8
        .value_kind:     by_value
      - .offset:         96
        .size:           4
        .value_kind:     by_value
    .group_segment_fixed_size: 16384
    .kernarg_segment_align: 8
    .kernarg_segment_size: 100
    .language:       OpenCL C
    .language_version:
      - 2
      - 0
    .max_flat_workgroup_size: 1024
    .name:           _ZL26rocblas_syr2k_her2k_kernelIiLb1ELb1ELb1ELi32EPK19rocblas_complex_numIfEPKS3_PKPS1_EvbiT_T4_T5_S9_lSB_S9_lT6_S9_li
    .private_segment_fixed_size: 0
    .sgpr_count:     29
    .sgpr_spill_count: 0
    .symbol:         _ZL26rocblas_syr2k_her2k_kernelIiLb1ELb1ELb1ELi32EPK19rocblas_complex_numIfEPKS3_PKPS1_EvbiT_T4_T5_S9_lSB_S9_lT6_S9_li.kd
    .uniform_work_group_size: 1
    .uses_dynamic_stack: false
    .vgpr_count:     163
    .vgpr_spill_count: 0
    .wavefront_size: 32
    .workgroup_processor_mode: 1
  - .args:
      - .offset:         0
        .size:           1
        .value_kind:     by_value
      - .offset:         4
        .size:           4
        .value_kind:     by_value
      - .offset:         8
        .size:           4
        .value_kind:     by_value
      - .offset:         16
        .size:           16
        .value_kind:     by_value
      - .address_space:  global
        .offset:         32
        .size:           8
        .value_kind:     global_buffer
      - .offset:         40
        .size:           4
        .value_kind:     by_value
      - .offset:         48
        .size:           8
        .value_kind:     by_value
      - .address_space:  global
        .offset:         56
        .size:           8
        .value_kind:     global_buffer
      - .offset:         64
        .size:           4
        .value_kind:     by_value
      - .offset:         72
        .size:           8
        .value_kind:     by_value
      - .address_space:  global
        .offset:         80
        .size:           8
        .value_kind:     global_buffer
      - .offset:         88
        .size:           4
        .value_kind:     by_value
      - .offset:         96
        .size:           8
        .value_kind:     by_value
      - .offset:         104
        .size:           4
        .value_kind:     by_value
    .group_segment_fixed_size: 32768
    .kernarg_segment_align: 8
    .kernarg_segment_size: 108
    .language:       OpenCL C
    .language_version:
      - 2
      - 0
    .max_flat_workgroup_size: 1024
    .name:           _ZL26rocblas_syr2k_her2k_kernelIiLb1ELb1ELb0ELi32E19rocblas_complex_numIdEPKPKS1_PKPS1_EvbiT_T4_T5_S9_lSB_S9_lT6_S9_li
    .private_segment_fixed_size: 0
    .sgpr_count:     29
    .sgpr_spill_count: 0
    .symbol:         _ZL26rocblas_syr2k_her2k_kernelIiLb1ELb1ELb0ELi32E19rocblas_complex_numIdEPKPKS1_PKPS1_EvbiT_T4_T5_S9_lSB_S9_lT6_S9_li.kd
    .uniform_work_group_size: 1
    .uses_dynamic_stack: false
    .vgpr_count:     64
    .vgpr_spill_count: 0
    .wavefront_size: 32
    .workgroup_processor_mode: 1
  - .args:
      - .offset:         0
        .size:           1
        .value_kind:     by_value
      - .offset:         4
        .size:           4
        .value_kind:     by_value
      - .offset:         8
        .size:           4
        .value_kind:     by_value
      - .offset:         16
        .size:           16
        .value_kind:     by_value
      - .address_space:  global
        .offset:         32
        .size:           8
        .value_kind:     global_buffer
      - .offset:         40
        .size:           4
        .value_kind:     by_value
      - .offset:         48
        .size:           8
        .value_kind:     by_value
      - .address_space:  global
        .offset:         56
        .size:           8
        .value_kind:     global_buffer
      - .offset:         64
        .size:           4
        .value_kind:     by_value
      - .offset:         72
        .size:           8
        .value_kind:     by_value
      - .address_space:  global
        .offset:         80
        .size:           8
        .value_kind:     global_buffer
      - .offset:         88
        .size:           4
        .value_kind:     by_value
      - .offset:         96
        .size:           8
        .value_kind:     by_value
      - .offset:         104
        .size:           4
        .value_kind:     by_value
    .group_segment_fixed_size: 32768
    .kernarg_segment_align: 8
    .kernarg_segment_size: 108
    .language:       OpenCL C
    .language_version:
      - 2
      - 0
    .max_flat_workgroup_size: 1024
    .name:           _ZL26rocblas_syr2k_her2k_kernelIiLb1ELb1ELb1ELi32E19rocblas_complex_numIdEPKPKS1_PKPS1_EvbiT_T4_T5_S9_lSB_S9_lT6_S9_li
    .private_segment_fixed_size: 0
    .sgpr_count:     29
    .sgpr_spill_count: 0
    .symbol:         _ZL26rocblas_syr2k_her2k_kernelIiLb1ELb1ELb1ELi32E19rocblas_complex_numIdEPKPKS1_PKPS1_EvbiT_T4_T5_S9_lSB_S9_lT6_S9_li.kd
    .uniform_work_group_size: 1
    .uses_dynamic_stack: false
    .vgpr_count:     66
    .vgpr_spill_count: 0
    .wavefront_size: 32
    .workgroup_processor_mode: 1
  - .args:
      - .offset:         0
        .size:           1
        .value_kind:     by_value
      - .offset:         4
        .size:           4
        .value_kind:     by_value
      - .offset:         8
        .size:           4
        .value_kind:     by_value
      - .address_space:  global
        .offset:         16
        .size:           8
        .value_kind:     global_buffer
      - .address_space:  global
        .offset:         24
        .size:           8
        .value_kind:     global_buffer
      - .offset:         32
        .size:           4
        .value_kind:     by_value
      - .offset:         40
        .size:           8
        .value_kind:     by_value
      - .address_space:  global
        .offset:         48
        .size:           8
        .value_kind:     global_buffer
      - .offset:         56
        .size:           4
        .value_kind:     by_value
      - .offset:         64
        .size:           8
        .value_kind:     by_value
      - .address_space:  global
        .offset:         72
        .size:           8
        .value_kind:     global_buffer
      - .offset:         80
        .size:           4
        .value_kind:     by_value
      - .offset:         88
        .size:           8
        .value_kind:     by_value
      - .offset:         96
        .size:           4
        .value_kind:     by_value
    .group_segment_fixed_size: 32768
    .kernarg_segment_align: 8
    .kernarg_segment_size: 100
    .language:       OpenCL C
    .language_version:
      - 2
      - 0
    .max_flat_workgroup_size: 1024
    .name:           _ZL26rocblas_syr2k_her2k_kernelIiLb1ELb1ELb0ELi32EPK19rocblas_complex_numIdEPKS3_PKPS1_EvbiT_T4_T5_S9_lSB_S9_lT6_S9_li
    .private_segment_fixed_size: 0
    .sgpr_count:     31
    .sgpr_spill_count: 0
    .symbol:         _ZL26rocblas_syr2k_her2k_kernelIiLb1ELb1ELb0ELi32EPK19rocblas_complex_numIdEPKS3_PKPS1_EvbiT_T4_T5_S9_lSB_S9_lT6_S9_li.kd
    .uniform_work_group_size: 1
    .uses_dynamic_stack: false
    .vgpr_count:     64
    .vgpr_spill_count: 0
    .wavefront_size: 32
    .workgroup_processor_mode: 1
  - .args:
      - .offset:         0
        .size:           1
        .value_kind:     by_value
      - .offset:         4
        .size:           4
        .value_kind:     by_value
      - .offset:         8
        .size:           4
        .value_kind:     by_value
      - .address_space:  global
        .offset:         16
        .size:           8
        .value_kind:     global_buffer
      - .address_space:  global
        .offset:         24
        .size:           8
        .value_kind:     global_buffer
      - .offset:         32
        .size:           4
        .value_kind:     by_value
      - .offset:         40
        .size:           8
        .value_kind:     by_value
      - .address_space:  global
        .offset:         48
        .size:           8
        .value_kind:     global_buffer
      - .offset:         56
        .size:           4
        .value_kind:     by_value
      - .offset:         64
        .size:           8
        .value_kind:     by_value
      - .address_space:  global
        .offset:         72
        .size:           8
        .value_kind:     global_buffer
      - .offset:         80
        .size:           4
        .value_kind:     by_value
      - .offset:         88
        .size:           8
        .value_kind:     by_value
      - .offset:         96
        .size:           4
        .value_kind:     by_value
    .group_segment_fixed_size: 32768
    .kernarg_segment_align: 8
    .kernarg_segment_size: 100
    .language:       OpenCL C
    .language_version:
      - 2
      - 0
    .max_flat_workgroup_size: 1024
    .name:           _ZL26rocblas_syr2k_her2k_kernelIiLb1ELb1ELb1ELi32EPK19rocblas_complex_numIdEPKS3_PKPS1_EvbiT_T4_T5_S9_lSB_S9_lT6_S9_li
    .private_segment_fixed_size: 0
    .sgpr_count:     31
    .sgpr_spill_count: 0
    .symbol:         _ZL26rocblas_syr2k_her2k_kernelIiLb1ELb1ELb1ELi32EPK19rocblas_complex_numIdEPKS3_PKPS1_EvbiT_T4_T5_S9_lSB_S9_lT6_S9_li.kd
    .uniform_work_group_size: 1
    .uses_dynamic_stack: false
    .vgpr_count:     66
    .vgpr_spill_count: 0
    .wavefront_size: 32
    .workgroup_processor_mode: 1
amdhsa.target:   amdgcn-amd-amdhsa--gfx1100
amdhsa.version:
  - 1
  - 2
...

	.end_amdgpu_metadata
